;; amdgpu-corpus repo=vllm-project/vllm kind=compiled arch=gfx90a opt=O3
	.text
	.amdgcn_target "amdgcn-amd-amdhsa--gfx90a"
	.amdhsa_code_object_version 6
	.section	.text._ZN4vllm25paged_attention_v2_kernelIffLi32ELi8ELi128ELNS_18Fp8KVCacheDataTypeE0ELb1ELi512EEEvPfS2_PT_PKS3_PKT0_S9_ifPKiSB_iPKfiiiSD_SD_iiiii,"axG",@progbits,_ZN4vllm25paged_attention_v2_kernelIffLi32ELi8ELi128ELNS_18Fp8KVCacheDataTypeE0ELb1ELi512EEEvPfS2_PT_PKS3_PKT0_S9_ifPKiSB_iPKfiiiSD_SD_iiiii,comdat
	.protected	_ZN4vllm25paged_attention_v2_kernelIffLi32ELi8ELi128ELNS_18Fp8KVCacheDataTypeE0ELb1ELi512EEEvPfS2_PT_PKS3_PKT0_S9_ifPKiSB_iPKfiiiSD_SD_iiiii ; -- Begin function _ZN4vllm25paged_attention_v2_kernelIffLi32ELi8ELi128ELNS_18Fp8KVCacheDataTypeE0ELb1ELi512EEEvPfS2_PT_PKS3_PKT0_S9_ifPKiSB_iPKfiiiSD_SD_iiiii
	.globl	_ZN4vllm25paged_attention_v2_kernelIffLi32ELi8ELi128ELNS_18Fp8KVCacheDataTypeE0ELb1ELi512EEEvPfS2_PT_PKS3_PKT0_S9_ifPKiSB_iPKfiiiSD_SD_iiiii
	.p2align	8
	.type	_ZN4vllm25paged_attention_v2_kernelIffLi32ELi8ELi128ELNS_18Fp8KVCacheDataTypeE0ELb1ELi512EEEvPfS2_PT_PKS3_PKT0_S9_ifPKiSB_iPKfiiiSD_SD_iiiii,@function
_ZN4vllm25paged_attention_v2_kernelIffLi32ELi8ELi128ELNS_18Fp8KVCacheDataTypeE0ELb1ELi512EEEvPfS2_PT_PKS3_PKT0_S9_ifPKiSB_iPKfiiiSD_SD_iiiii: ; @_ZN4vllm25paged_attention_v2_kernelIffLi32ELi8ELi128ELNS_18Fp8KVCacheDataTypeE0ELb1ELi512EEEvPfS2_PT_PKS3_PKT0_S9_ifPKiSB_iPKfiiiSD_SD_iiiii
; %bb.0:
	s_load_dwordx2 s[0:1], s[4:5], 0x40
	s_mov_b32 s28, s7
	s_ashr_i32 s29, s7, 31
	s_lshl_b64 s[2:3], s[28:29], 2
	s_waitcnt lgkmcnt(0)
	s_add_u32 s0, s0, s2
	s_addc_u32 s1, s1, s3
	s_load_dword s29, s[0:1], 0x0
	s_lshl_b32 s48, s8, 9
	s_waitcnt lgkmcnt(0)
	s_cmp_ge_i32 s48, s29
	s_cbranch_scc1 .LBB0_61
; %bb.1:
	s_load_dword s9, s[4:5], 0x90
	s_load_dwordx2 s[38:39], s[4:5], 0x30
	s_mov_b32 s49, 0
	s_waitcnt lgkmcnt(0)
	s_abs_i32 s2, s9
	s_abs_i32 s0, s38
	v_cvt_f32_u32_e32 v1, s0
	s_sub_i32 s3, 0, s0
	s_xor_b32 s1, s9, s38
	s_ashr_i32 s1, s1, 31
	v_rcp_iflag_f32_e32 v1, v1
	v_mul_f32_e32 v1, 0x4f7ffffe, v1
	v_cvt_u32_f32_e32 v1, v1
	v_readfirstlane_b32 s7, v1
	s_mul_i32 s3, s3, s7
	s_mul_hi_u32 s3, s7, s3
	s_add_i32 s7, s7, s3
	s_mul_hi_u32 s3, s2, s7
	s_mul_i32 s7, s3, s0
	s_sub_i32 s2, s2, s7
	s_add_i32 s10, s3, 1
	s_sub_i32 s7, s2, s0
	s_cmp_ge_u32 s2, s0
	s_cselect_b32 s3, s10, s3
	s_cselect_b32 s2, s7, s2
	s_add_i32 s7, s3, 1
	s_cmp_ge_u32 s2, s0
	s_cselect_b32 s0, s7, s3
	s_xor_b32 s0, s0, s1
	s_sub_i32 s11, s0, s1
	s_abs_i32 s2, s11
	v_cvt_f32_u32_e32 v1, s2
	s_load_dwordx2 s[0:1], s[4:5], 0x50
	s_sub_i32 s7, 0, s2
	s_abs_i32 s3, s6
	v_rcp_iflag_f32_e32 v1, v1
	v_mul_f32_e32 v1, 0x4f7ffffe, v1
	v_cvt_u32_f32_e32 v1, v1
	v_readfirstlane_b32 s10, v1
	s_mul_i32 s7, s7, s10
	s_mul_hi_u32 s7, s10, s7
	s_add_i32 s10, s10, s7
	s_waitcnt lgkmcnt(0)
	s_cmp_eq_u64 s[0:1], 0
	s_mul_hi_u32 s10, s3, s10
	s_cbranch_scc1 .LBB0_3
; %bb.2:
	s_ashr_i32 s7, s6, 31
	s_lshl_b64 s[12:13], s[6:7], 2
	s_add_u32 s0, s0, s12
	s_addc_u32 s1, s1, s13
	s_load_dword s49, s[0:1], 0x0
.LBB0_3:
	s_load_dwordx4 s[12:15], s[4:5], 0x58
	s_ashr_i32 s7, s6, 31
	s_ashr_i32 s11, s11, 31
	v_and_b32_e32 v2, 7, v0
	s_lshl_b32 s24, s6, 5
	v_cmp_gt_u32_e32 vcc, 32, v0
	v_lshlrev_b32_e32 v4, 2, v0
	s_and_saveexec_b64 s[0:1], vcc
	s_cbranch_execz .LBB0_5
; %bb.4:
	s_load_dwordx2 s[16:17], s[4:5], 0x18
	s_waitcnt lgkmcnt(0)
	s_mul_i32 s18, s28, s12
	s_ashr_i32 s19, s18, 31
	s_lshl_b64 s[18:19], s[18:19], 2
	v_lshrrev_b32_e32 v3, 1, v0
	s_add_u32 s12, s16, s18
	s_addc_u32 s15, s17, s19
	s_ashr_i32 s25, s24, 31
	s_lshl_b64 s[16:17], s[24:25], 2
	s_add_u32 s16, s12, s16
	s_addc_u32 s17, s15, s17
	global_load_dword v1, v4, s[16:17]
	v_and_b32_e32 v3, 0x1fc, v3
	v_lshl_add_u32 v3, v2, 4, v3
	s_waitcnt vmcnt(0)
	ds_write_b32 v3, v1
.LBB0_5:
	s_or_b64 exec, exec, s[0:1]
	s_mul_i32 s1, s10, s2
	s_sub_i32 s1, s3, s1
	s_xor_b32 s0, s7, s11
	s_add_i32 s3, s10, 1
	s_sub_i32 s7, s1, s2
	s_load_dwordx4 s[16:19], s[4:5], 0x78
	s_cmp_ge_u32 s1, s2
	s_cselect_b32 s3, s3, s10
	s_load_dword s10, s[4:5], 0x88
	s_cselect_b32 s1, s7, s1
	s_add_i32 s7, s3, 1
	s_cmp_ge_u32 s1, s2
	s_cselect_b32 s1, s7, s3
	s_waitcnt lgkmcnt(0)
	s_abs_i32 s12, s19
	v_cvt_f32_u32_e32 v1, s12
	s_xor_b32 s1, s1, s0
	s_sub_i32 s2, s1, s0
	s_sub_i32 s0, 0, s12
	v_rcp_iflag_f32_e32 v1, v1
	s_add_i32 s11, s29, -1
	s_abs_i32 s3, s11
	v_mul_f32_e32 v1, 0x4f7ffffe, v1
	v_cvt_u32_f32_e32 v1, v1
	s_barrier
	v_readfirstlane_b32 s25, v1
	s_mul_i32 s0, s0, s25
	s_mul_hi_u32 s0, s25, s0
	s_add_i32 s25, s25, s0
	s_cmp_lt_i32 s10, 0
	s_mul_hi_u32 s7, s3, s25
	s_cbranch_scc0 .LBB0_7
; %bb.6:
	s_mul_i32 s0, s16, s38
	s_add_i32 s0, s2, s0
	s_mul_i32 s0, s0, s10
	s_sub_i32 s33, 1, s0
	s_mov_b64 s[0:1], 0
	s_branch .LBB0_8
.LBB0_7:
	s_mov_b64 s[0:1], -1
                                        ; implicit-def: $sgpr33
.LBB0_8:
	s_load_dwordx2 s[30:31], s[4:5], 0x38
	s_ashr_i32 s11, s11, 31
	s_andn2_b64 vcc, exec, s[0:1]
	s_ashr_i32 s19, s19, 31
	s_cbranch_vccnz .LBB0_10
; %bb.9:
	s_mul_i32 s0, s9, s16
	s_add_i32 s0, s0, s6
	s_mul_i32 s0, s0, s10
	s_add_i32 s33, s0, 1
.LBB0_10:
	s_load_dword s0, s[4:5], 0x48
	s_load_dwordx2 s[36:37], s[4:5], 0x28
	s_load_dword s16, s[4:5], 0x98
	s_load_dwordx4 s[20:23], s[4:5], 0x0
	s_load_dwordx2 s[26:27], s[4:5], 0x10
	s_mul_i32 s1, s7, s12
	s_waitcnt lgkmcnt(0)
	s_mul_i32 s34, s28, s0
	s_sub_i32 s1, s3, s1
	s_ashr_i32 s35, s34, 31
	s_xor_b32 s0, s11, s19
	s_add_i32 s3, s7, 1
	s_sub_i32 s10, s1, s12
	s_cmp_ge_u32 s1, s12
	s_cselect_b32 s3, s3, s7
	s_cselect_b32 s1, s10, s1
	s_add_i32 s7, s3, 1
	s_cmp_ge_u32 s1, s12
	s_cselect_b32 s1, s7, s3
	s_xor_b32 s1, s1, s0
	s_sub_i32 s47, s1, s0
	s_add_i32 s0, s29, 7
	s_ashr_i32 s1, s0, 31
	s_lshr_b32 s1, s1, 29
	s_add_i32 s0, s0, s1
	s_lshl_b32 s38, s8, 6
	s_ashr_i32 s7, s0, 3
	s_add_i32 s0, s38, 64
	v_lshrrev_b32_e32 v5, 6, v0
	s_min_i32 s46, s0, s7
	v_or_b32_e32 v10, s38, v5
	v_cmp_gt_i32_e64 s[0:1], s46, v10
	v_mov_b32_e32 v13, 0xff7fffff
	s_mul_i32 s14, s2, s14
	v_ashrrev_i32_e32 v11, 31, v10
	v_lshl_add_u32 v1, v5, 3, s48
	v_mbcnt_lo_u32_b32 v6, -1, 0
	s_and_saveexec_b64 s[40:41], s[0:1]
	s_cbranch_execz .LBB0_20
; %bb.11:
	s_load_dwordx2 s[2:3], s[4:5], 0x20
	s_ashr_i32 s15, s14, 31
	s_sub_i32 s50, s47, s17
	s_lshl_b64 s[4:5], s[14:15], 2
	v_bfe_u32 v7, v0, 3, 3
	s_waitcnt lgkmcnt(0)
	s_add_u32 s2, s2, s4
	s_addc_u32 s3, s3, s5
	s_abs_i32 s15, s18
	v_cvt_f32_u32_e32 v9, s15
	v_lshlrev_b32_e32 v3, 4, v7
	v_mov_b32_e32 v8, s3
	v_add_co_u32_e64 v3, s[2:3], s2, v3
	v_rcp_iflag_f32_e32 v9, v9
	v_and_b32_e32 v12, 3, v0
	v_addc_co_u32_e64 v8, s[2:3], 0, v8, s[2:3]
	v_lshlrev_b32_e32 v12, 2, v12
	v_add_co_u32_e64 v3, s[2:3], v3, v12
	v_addc_co_u32_e64 v14, s[2:3], 0, v8, s[2:3]
	v_mul_f32_e32 v8, 0x4f7ffffe, v9
	v_cvt_u32_f32_e32 v9, v8
	s_sub_i32 s4, 0, s15
	v_cmp_eq_u32_e32 vcc, 0, v2
	v_lshlrev_b32_e32 v8, 4, v2
	v_mul_lo_u32 v2, s4, v9
	v_mul_hi_u32 v2, v9, v2
	v_add_u32_e32 v9, v9, v2
	v_lshlrev_b32_e32 v2, 5, v0
	v_and_b32_e32 v2, 0x80, v2
	v_add_co_u32_e64 v12, s[4:5], v3, v2
	v_addc_co_u32_e64 v14, s[4:5], 0, v14, s[4:5]
	v_lshlrev_b32_e32 v13, 2, v7
	s_lshl_b64 s[4:5], s[34:35], 2
	s_add_u32 s4, s30, s4
	v_lshl_or_b32 v13, v5, 5, v13
	v_lshlrev_b64 v[2:3], 2, v[10:11]
	s_addc_u32 s5, s31, s5
	v_add_u32_e32 v16, 0x90, v13
	v_subrev_u32_e32 v13, s29, v7
	v_mbcnt_hi_u32_b32 v19, -1, v6
	v_mov_b32_e32 v15, s5
	v_add_co_u32_e64 v2, s[4:5], s4, v2
	v_add_u32_e32 v17, 1, v13
	v_and_b32_e32 v13, 64, v19
	s_mov_b32 s51, s13
	v_cmp_neq_f32_e64 s[2:3], s49, 0
	v_addc_co_u32_e64 v3, s[4:5], v15, v3, s[4:5]
	v_lshl_add_u32 v15, v5, 3, s48
	s_mov_b64 s[42:43], 0
	v_mov_b32_e32 v18, 0xff7fffff
	v_add_u32_e32 v20, 64, v13
	v_xor_b32_e32 v21, 4, v19
	v_xor_b32_e32 v22, 2, v19
	;; [unrolled: 1-line block ×3, first 2 shown]
	v_mov_b32_e32 v13, 0xff7fffff
	v_mov_b32_e32 v24, v10
	s_branch .LBB0_14
.LBB0_12:                               ;   in Loop: Header=BB0_14 Depth=1
	s_or_b64 exec, exec, s[44:45]
.LBB0_13:                               ;   in Loop: Header=BB0_14 Depth=1
	s_or_b64 exec, exec, s[10:11]
	v_add_co_u32_e64 v2, s[4:5], 8, v2
	v_add_u32_e32 v24, 2, v24
	v_addc_co_u32_e64 v3, s[4:5], 0, v3, s[4:5]
	v_cmp_le_i32_e64 s[4:5], s46, v24
	v_add_u32_e32 v15, 16, v15
	s_or_b64 s[42:43], s[4:5], s[42:43]
	v_add_u32_e32 v16, 64, v16
	s_andn2_b64 exec, exec, s[42:43]
	s_cbranch_execz .LBB0_19
.LBB0_14:                               ; =>This Inner Loop Header: Depth=1
	s_waitcnt lgkmcnt(0)
	v_sub_u32_e32 v26, 0, v15
	v_max_i32_e32 v26, v15, v26
	v_mul_hi_u32 v27, v26, s25
	v_mul_lo_u32 v28, v27, s12
	v_sub_u32_e32 v26, v26, v28
	v_add_u32_e32 v28, 1, v27
	v_cmp_le_u32_e64 s[4:5], s12, v26
	v_cndmask_b32_e64 v27, v27, v28, s[4:5]
	v_subrev_u32_e32 v28, s12, v26
	v_cndmask_b32_e64 v26, v26, v28, s[4:5]
	v_ashrrev_i32_e32 v25, 31, v15
	v_add_u32_e32 v28, 1, v27
	v_cmp_le_u32_e64 s[4:5], s12, v26
	v_xor_b32_e32 v25, s19, v25
	v_cndmask_b32_e64 v26, v27, v28, s[4:5]
	v_xor_b32_e32 v26, v26, v25
	v_sub_u32_e32 v25, v26, v25
	v_add_u32_e32 v26, s33, v25
	v_sub_u32_e32 v28, 0, v26
	v_ashrrev_i32_e32 v27, 31, v26
	v_max_i32_e32 v26, v26, v28
	v_mul_hi_u32 v28, v26, v9
	v_mul_lo_u32 v28, v28, s15
	v_sub_u32_e32 v26, v26, v28
	v_subrev_u32_e32 v28, s15, v26
	v_cmp_le_u32_e64 s[4:5], s15, v26
	v_cndmask_b32_e64 v26, v26, v28, s[4:5]
	v_subrev_u32_e32 v28, s15, v26
	v_cmp_le_u32_e64 s[4:5], s15, v26
	v_cndmask_b32_e64 v26, v26, v28, s[4:5]
	v_xor_b32_e32 v26, v26, v27
	v_sub_u32_e32 v26, v26, v27
	v_cmp_ne_u32_e64 s[4:5], 0, v26
	v_cmp_ge_i32_e64 s[10:11], s50, v25
	s_and_b64 s[4:5], s[4:5], s[10:11]
	s_and_b64 s[44:45], vcc, s[4:5]
	s_and_saveexec_b64 s[10:11], s[44:45]
	s_cbranch_execz .LBB0_16
; %bb.15:                               ;   in Loop: Header=BB0_14 Depth=1
	ds_write_b32 v16, v18
.LBB0_16:                               ;   in Loop: Header=BB0_14 Depth=1
	s_or_b64 exec, exec, s[10:11]
	s_xor_b64 s[4:5], s[4:5], -1
	s_and_saveexec_b64 s[10:11], s[4:5]
	s_cbranch_execz .LBB0_13
; %bb.17:                               ;   in Loop: Header=BB0_14 Depth=1
	global_load_dword v25, v[2:3], off
	s_waitcnt vmcnt(0)
	v_mad_i64_i32 v[26:27], s[4:5], v25, s51, 0
	v_lshlrev_b64 v[26:27], 2, v[26:27]
	v_add_co_u32_e64 v26, s[4:5], v12, v26
	v_addc_co_u32_e64 v27, s[4:5], v14, v27, s[4:5]
	global_load_dword v25, v[26:27], off offset:256
	global_load_dword v30, v[26:27], off
	global_load_dword v31, v[26:27], off offset:512
	global_load_dword v32, v[26:27], off offset:768
	ds_read_b128 v[26:29], v8
	v_cmp_lt_i32_e64 s[4:5], v21, v20
	v_cndmask_b32_e64 v33, v19, v21, s[4:5]
	v_lshlrev_b32_e32 v33, 2, v33
	v_cmp_lt_i32_e64 s[4:5], v22, v20
	s_waitcnt vmcnt(3) lgkmcnt(0)
	v_mul_f32_e32 v25, v27, v25
	s_waitcnt vmcnt(2)
	v_fmac_f32_e32 v25, v26, v30
	s_waitcnt vmcnt(1)
	v_fmac_f32_e32 v25, v28, v31
	;; [unrolled: 2-line block ×3, first 2 shown]
	ds_bpermute_b32 v26, v33, v25
	v_cndmask_b32_e64 v27, v19, v22, s[4:5]
	v_lshlrev_b32_e32 v27, 2, v27
	v_cmp_lt_i32_e64 s[4:5], v23, v20
	s_waitcnt lgkmcnt(0)
	v_add_f32_e32 v25, v25, v26
	ds_bpermute_b32 v26, v27, v25
	v_cndmask_b32_e64 v27, v19, v23, s[4:5]
	v_lshlrev_b32_e32 v27, 2, v27
	s_waitcnt lgkmcnt(0)
	v_add_f32_e32 v25, v25, v26
	ds_bpermute_b32 v26, v27, v25
	s_and_saveexec_b64 s[44:45], vcc
	s_cbranch_execz .LBB0_12
; %bb.18:                               ;   in Loop: Header=BB0_14 Depth=1
	v_add_u32_e32 v27, v17, v15
	v_cvt_f32_i32_e32 v27, v27
	s_waitcnt lgkmcnt(0)
	v_add_f32_e32 v25, v25, v26
	v_add_u32_e32 v28, v7, v15
	v_cmp_gt_i32_e64 s[4:5], s29, v28
	v_mul_f32_e32 v26, s49, v27
	v_cndmask_b32_e64 v26, 0, v26, s[2:3]
	v_fmac_f32_e32 v26, s39, v25
	v_cndmask_b32_e64 v25, 0, v26, s[4:5]
	ds_write_b32 v16, v25
	v_max_f32_e32 v25, v13, v13
	v_max_f32_e32 v25, v25, v26
	v_cndmask_b32_e64 v13, v13, v25, s[4:5]
	s_branch .LBB0_12
.LBB0_19:
	s_or_b64 exec, exec, s[42:43]
.LBB0_20:
	s_or_b64 exec, exec, s[40:41]
	v_mbcnt_hi_u32_b32 v2, -1, v6
	v_and_b32_e32 v3, 64, v2
	v_add_u32_e32 v3, 64, v3
	v_xor_b32_e32 v6, 32, v2
	v_cmp_lt_i32_e32 vcc, v6, v3
	v_cndmask_b32_e32 v6, v2, v6, vcc
	v_lshlrev_b32_e32 v8, 2, v6
	ds_bpermute_b32 v6, v8, v13
	v_xor_b32_e32 v9, 16, v2
	v_max_f32_e32 v7, v13, v13
	v_cmp_lt_i32_e32 vcc, v9, v3
	v_and_b32_e32 v14, 63, v0
	s_waitcnt lgkmcnt(0)
	v_max_f32_e32 v6, v6, v6
	v_max_f32_e32 v6, v7, v6
	v_cndmask_b32_e32 v7, v2, v9, vcc
	v_lshlrev_b32_e32 v12, 2, v7
	ds_bpermute_b32 v7, v12, v6
	v_xor_b32_e32 v9, 8, v2
	v_cmp_lt_i32_e32 vcc, v9, v3
	s_waitcnt lgkmcnt(0)
	v_max_f32_e32 v7, v7, v7
	v_max_f32_e32 v6, v6, v7
	v_cndmask_b32_e32 v7, v2, v9, vcc
	v_lshlrev_b32_e32 v13, 2, v7
	ds_bpermute_b32 v9, v13, v6
	v_cmp_eq_u32_e32 vcc, 0, v14
	v_lshlrev_b32_e32 v7, 2, v5
	s_and_saveexec_b64 s[2:3], vcc
	s_cbranch_execz .LBB0_22
; %bb.21:
	s_waitcnt lgkmcnt(0)
	v_max_f32_e32 v9, v9, v9
	v_max_f32_e32 v6, v6, v6
	;; [unrolled: 1-line block ×3, first 2 shown]
	ds_write_b32 v7, v6 offset:128
.LBB0_22:
	s_or_b64 exec, exec, s[2:3]
	v_cmp_gt_u32_e64 s[2:3], 2, v14
	v_mov_b32_e32 v6, 0xff7fffff
	s_waitcnt lgkmcnt(0)
	v_lshlrev_b32_e32 v9, 2, v14
	s_barrier
	s_and_saveexec_b64 s[4:5], s[2:3]
	s_cbranch_execz .LBB0_24
; %bb.23:
	ds_read_b32 v6, v9 offset:128
.LBB0_24:
	s_or_b64 exec, exec, s[4:5]
	v_xor_b32_e32 v15, 1, v2
	v_cmp_lt_i32_e64 s[4:5], v15, v3
	v_cndmask_b32_e64 v15, v2, v15, s[4:5]
	v_lshlrev_b32_e32 v15, 2, v15
	s_waitcnt lgkmcnt(0)
	ds_bpermute_b32 v16, v15, v6
	v_max_f32_e32 v6, v6, v6
	s_sub_i32 s4, s46, s38
	s_lshl_b32 s4, s4, 3
	s_add_i32 s4, s4, s48
	s_waitcnt lgkmcnt(0)
	v_max_f32_e32 v16, v16, v16
	v_max_f32_e32 v6, v6, v16
	v_lshlrev_b32_e32 v16, 2, v2
	v_and_b32_e32 v16, 0x100, v16
	ds_bpermute_b32 v6, v16, v6
	s_min_i32 s42, s4, s29
	s_sub_i32 s15, s42, s48
	v_cmp_gt_i32_e64 s[4:5], s15, v0
	v_mov_b32_e32 v17, 0
	s_and_saveexec_b64 s[38:39], s[4:5]
	s_cbranch_execz .LBB0_28
; %bb.25:
	v_mov_b32_e32 v17, 0x90
	v_lshl_add_u32 v18, v0, 2, v17
	s_mov_b64 s[40:41], 0
	v_mov_b32_e32 v17, 0
	v_mov_b32_e32 v19, v0
.LBB0_26:                               ; =>This Inner Loop Header: Depth=1
	ds_read_b32 v20, v18
	v_add_u32_e32 v19, 0x80, v19
	v_cmp_le_i32_e64 s[10:11], s15, v19
	s_or_b64 s[40:41], s[10:11], s[40:41]
	s_waitcnt lgkmcnt(0)
	v_sub_f32_e32 v20, v20, v6
	v_mul_f32_e32 v20, 0x3fb8aa3b, v20
	v_exp_f32_e32 v20, v20
	ds_write_b32 v18, v20
	v_add_f32_e32 v17, v17, v20
	v_add_u32_e32 v18, 0x200, v18
	s_andn2_b64 exec, exec, s[40:41]
	s_cbranch_execnz .LBB0_26
; %bb.27:
	s_or_b64 exec, exec, s[40:41]
.LBB0_28:
	s_or_b64 exec, exec, s[38:39]
	ds_bpermute_b32 v8, v8, v17
	s_waitcnt lgkmcnt(0)
	v_add_f32_e32 v8, v17, v8
	ds_bpermute_b32 v12, v12, v8
	s_waitcnt lgkmcnt(0)
	v_add_f32_e32 v8, v8, v12
	ds_bpermute_b32 v12, v13, v8
	v_xor_b32_e32 v13, 4, v2
	v_cmp_lt_i32_e64 s[10:11], v13, v3
	v_cndmask_b32_e64 v13, v2, v13, s[10:11]
	v_lshlrev_b32_e32 v13, 2, v13
	s_waitcnt lgkmcnt(0)
	v_add_f32_e32 v8, v8, v12
	ds_bpermute_b32 v12, v13, v8
	v_xor_b32_e32 v13, 2, v2
	v_cmp_lt_i32_e64 s[10:11], v13, v3
	v_cndmask_b32_e64 v2, v2, v13, s[10:11]
	v_lshlrev_b32_e32 v2, 2, v2
	s_waitcnt lgkmcnt(0)
	v_add_f32_e32 v3, v8, v12
	ds_bpermute_b32 v2, v2, v3
	s_waitcnt lgkmcnt(0)
	v_add_f32_e32 v2, v3, v2
	ds_bpermute_b32 v3, v15, v2
	s_waitcnt lgkmcnt(0)
	v_add_f32_e32 v2, v2, v3
	s_and_saveexec_b64 s[10:11], vcc
	s_cbranch_execz .LBB0_30
; %bb.29:
	ds_write_b32 v7, v2 offset:136
.LBB0_30:
	s_or_b64 exec, exec, s[10:11]
	s_waitcnt lgkmcnt(0)
	s_barrier
	s_and_saveexec_b64 s[10:11], s[2:3]
	s_cbranch_execz .LBB0_32
; %bb.31:
	ds_read_b32 v2, v9 offset:136
.LBB0_32:
	s_or_b64 exec, exec, s[10:11]
	s_waitcnt lgkmcnt(0)
	ds_bpermute_b32 v3, v15, v2
	s_waitcnt lgkmcnt(0)
	v_add_f32_e32 v2, v2, v3
	ds_bpermute_b32 v7, v16, v2
	s_and_saveexec_b64 s[2:3], s[4:5]
	s_cbranch_execz .LBB0_45
; %bb.33:
	s_waitcnt lgkmcnt(0)
	v_add_f32_e32 v2, 0x358637bd, v7
	v_div_scale_f32 v3, s[4:5], v2, v2, 1.0
	v_rcp_f32_e32 v8, v3
	v_div_scale_f32 v9, vcc, 1.0, v2, 1.0
	s_movk_i32 s4, 0x7f
	v_fma_f32 v12, -v3, v8, 1.0
	v_fmac_f32_e32 v8, v12, v8
	v_mul_f32_e32 v12, v9, v8
	v_fma_f32 v13, -v3, v12, v9
	v_fmac_f32_e32 v12, v13, v8
	v_fma_f32 v3, -v3, v12, v9
	v_div_fmas_f32 v3, v3, v8, v12
	v_div_fixup_f32 v2, v3, v2, 1.0
	v_xad_u32 v3, v0, -1, s42
	v_subrev_u32_e32 v8, s48, v3
	v_cmp_lt_u32_e32 vcc, s4, v8
	s_mov_b64 s[10:11], -1
	v_mov_b32_e32 v3, v0
	s_and_saveexec_b64 s[4:5], vcc
	s_cbranch_execz .LBB0_42
; %bb.34:
	v_lshrrev_b32_e32 v8, 7, v8
	v_add_u32_e32 v12, -1, v8
	v_lshrrev_b32_e32 v9, 1, v12
	v_mov_b32_e32 v3, v2
	v_add_u32_e32 v9, 1, v9
	v_cmp_lt_u32_e32 vcc, 13, v12
	v_mov_b32_e32 v16, 0
	s_and_saveexec_b64 s[10:11], vcc
	s_cbranch_execz .LBB0_38
; %bb.35:
	v_mov_b32_e32 v13, 0x90
	v_and_b32_e32 v12, -8, v9
	v_lshl_add_u32 v13, v0, 2, v13
	s_mov_b32 s40, 0
	s_mov_b64 s[38:39], 0
.LBB0_36:                               ; =>This Inner Loop Header: Depth=1
	ds_read2st64_b32 v[16:17], v13 offset1:2
	ds_read2st64_b32 v[18:19], v13 offset0:4 offset1:6
	ds_read2st64_b32 v[20:21], v13 offset0:8 offset1:10
	;; [unrolled: 1-line block ×3, first 2 shown]
	v_add_u32_e32 v12, -8, v12
	s_waitcnt lgkmcnt(3)
	v_pk_mul_f32 v[16:17], v[2:3], v[16:17]
	s_waitcnt lgkmcnt(2)
	v_pk_mul_f32 v[18:19], v[2:3], v[18:19]
	ds_write2st64_b32 v13, v16, v17 offset1:2
	ds_write2st64_b32 v13, v18, v19 offset0:4 offset1:6
	ds_read2st64_b32 v[18:19], v13 offset0:16 offset1:18
	s_waitcnt lgkmcnt(4)
	v_pk_mul_f32 v[16:17], v[2:3], v[20:21]
	ds_write2st64_b32 v13, v16, v17 offset0:8 offset1:10
	s_waitcnt lgkmcnt(4)
	v_pk_mul_f32 v[16:17], v[2:3], v[22:23]
	ds_write2st64_b32 v13, v16, v17 offset0:12 offset1:14
	ds_read2st64_b32 v[16:17], v13 offset0:20 offset1:22
	s_waitcnt lgkmcnt(3)
	v_pk_mul_f32 v[18:19], v[2:3], v[18:19]
	ds_read2st64_b32 v[20:21], v13 offset0:24 offset1:26
	ds_write2st64_b32 v13, v18, v19 offset0:16 offset1:18
	ds_read2st64_b32 v[18:19], v13 offset0:28 offset1:30
	s_waitcnt lgkmcnt(3)
	v_pk_mul_f32 v[16:17], v[2:3], v[16:17]
	ds_write2st64_b32 v13, v16, v17 offset0:20 offset1:22
	s_waitcnt lgkmcnt(3)
	v_pk_mul_f32 v[16:17], v[2:3], v[20:21]
	ds_write2st64_b32 v13, v16, v17 offset0:24 offset1:26
	s_waitcnt lgkmcnt(2)
	v_pk_mul_f32 v[16:17], v[2:3], v[18:19]
	s_add_i32 s40, s40, 16
	v_cmp_eq_u32_e32 vcc, 0, v12
	ds_write2st64_b32 v13, v16, v17 offset0:28 offset1:30
	v_add_u32_e32 v13, 0x2000, v13
	s_or_b64 s[38:39], vcc, s[38:39]
	v_mov_b32_e32 v16, s40
	s_andn2_b64 exec, exec, s[38:39]
	s_cbranch_execnz .LBB0_36
; %bb.37:
	s_or_b64 exec, exec, s[38:39]
.LBB0_38:
	s_or_b64 exec, exec, s[10:11]
	v_and_b32_e32 v9, 7, v9
	v_cmp_ne_u32_e32 vcc, 0, v9
	s_and_saveexec_b64 s[10:11], vcc
	s_cbranch_execz .LBB0_41
; %bb.39:
	v_lshlrev_b32_e32 v12, 9, v16
	s_movk_i32 s38, 0x90
	v_add3_u32 v12, v12, v4, s38
	s_mov_b64 s[38:39], 0
.LBB0_40:                               ; =>This Inner Loop Header: Depth=1
	ds_read2st64_b32 v[16:17], v12 offset1:2
	v_add_u32_e32 v9, -1, v9
	v_cmp_eq_u32_e32 vcc, 0, v9
	s_or_b64 s[38:39], vcc, s[38:39]
	s_waitcnt lgkmcnt(0)
	v_pk_mul_f32 v[16:17], v[2:3], v[16:17]
	ds_write2st64_b32 v12, v16, v17 offset1:2
	v_add_u32_e32 v12, 0x400, v12
	s_andn2_b64 exec, exec, s[38:39]
	s_cbranch_execnz .LBB0_40
.LBB0_41:
	s_or_b64 exec, exec, s[10:11]
	v_add_u32_e32 v8, 1, v8
	v_and_b32_e32 v9, 0x3fffffe, v8
	v_cmp_ne_u32_e32 vcc, v8, v9
	v_lshl_add_u32 v3, v9, 7, v0
	s_orn2_b64 s[10:11], vcc, exec
.LBB0_42:
	s_or_b64 exec, exec, s[4:5]
	s_and_b64 exec, exec, s[10:11]
	s_cbranch_execz .LBB0_45
; %bb.43:
	v_mov_b32_e32 v8, 0x90
	v_lshl_add_u32 v8, v3, 2, v8
	s_mov_b64 s[4:5], 0
.LBB0_44:                               ; =>This Inner Loop Header: Depth=1
	ds_read_b32 v9, v8
	v_add_u32_e32 v3, 0x80, v3
	v_cmp_le_i32_e32 vcc, s15, v3
	s_or_b64 s[4:5], vcc, s[4:5]
	s_waitcnt lgkmcnt(0)
	v_mul_f32_e32 v9, v2, v9
	ds_write_b32 v8, v9
	v_add_u32_e32 v8, 0x200, v8
	s_andn2_b64 exec, exec, s[4:5]
	s_cbranch_execnz .LBB0_44
.LBB0_45:
	s_or_b64 exec, exec, s[2:3]
	s_mul_i32 s2, s16, s28
	v_cmp_eq_u32_e32 vcc, 0, v0
	s_mul_i32 s2, s2, s9
	s_waitcnt lgkmcnt(0)
	s_barrier
	s_and_saveexec_b64 s[4:5], vcc
	s_cbranch_execz .LBB0_47
; %bb.46:
	s_ashr_i32 s3, s2, 31
	s_lshl_b64 s[10:11], s[2:3], 2
	s_add_u32 s3, s22, s10
	s_mul_i32 s22, s16, s6
	s_addc_u32 s9, s23, s11
	s_ashr_i32 s23, s22, 31
	s_lshl_b64 s[22:23], s[22:23], 2
	s_add_u32 s3, s3, s22
	s_addc_u32 s6, s9, s23
	s_ashr_i32 s9, s8, 31
	s_lshl_b64 s[38:39], s[8:9], 2
	s_add_u32 s40, s3, s38
	s_addc_u32 s41, s6, s39
	s_add_u32 s3, s20, s10
	s_addc_u32 s6, s21, s11
	s_add_u32 s3, s3, s22
	s_addc_u32 s6, s6, s23
	s_add_u32 s10, s3, s38
	v_mov_b32_e32 v2, 0
	s_addc_u32 s11, s6, s39
	global_store_dword v2, v6, s[40:41]
	global_store_dword v2, v7, s[10:11]
.LBB0_47:
	s_or_b64 exec, exec, s[4:5]
	v_mov_b32_e32 v19, 0
	s_and_saveexec_b64 s[4:5], s[0:1]
	s_cbranch_execz .LBB0_55
; %bb.48:
	s_ashr_i32 s15, s14, 31
	s_sub_i32 s3, s47, s17
	s_lshl_b64 s[0:1], s[14:15], 2
	s_add_u32 s0, s36, s0
	s_addc_u32 s1, s37, s1
	s_abs_i32 s9, s18
	v_cvt_f32_u32_e32 v2, s9
	v_lshlrev_b32_e32 v3, 4, v0
	v_and_b32_e32 v3, 0x3f0, v3
	v_add_co_u32_e32 v17, vcc, s0, v3
	v_rcp_iflag_f32_e32 v2, v2
	s_sub_i32 s0, 0, s9
	v_and_b32_e32 v16, 4, v4
	v_mov_b32_e32 v4, s1
	v_mul_f32_e32 v2, 0x4f7ffffe, v2
	v_cvt_u32_f32_e32 v2, v2
	s_add_i32 s14, s7, -1
	v_addc_co_u32_e32 v18, vcc, 0, v4, vcc
	v_mul_lo_u32 v3, s0, v2
	v_mul_hi_u32 v3, v2, v3
	s_lshl_b64 s[0:1], s[34:35], 2
	v_add_u32_e32 v20, v2, v3
	v_lshlrev_b64 v[2:3], 2, v[10:11]
	s_add_u32 s0, s30, s0
	v_add_co_u32_e32 v12, vcc, s0, v2
	v_and_b32_e32 v2, 1, v0
	s_addc_u32 s1, s31, s1
	v_lshlrev_b32_e32 v2, 4, v2
	v_mov_b32_e32 v4, s1
	v_lshl_or_b32 v2, v5, 5, v2
	v_addc_co_u32_e32 v13, vcc, v4, v3, vcc
	v_add_u32_e32 v11, 0x90, v2
	s_mov_b64 s[6:7], 0
	v_mov_b32_e32 v19, 0
	s_branch .LBB0_51
.LBB0_49:                               ;   in Loop: Header=BB0_51 Depth=1
	s_or_b64 exec, exec, s[10:11]
	s_waitcnt vmcnt(0) lgkmcnt(0)
	v_mul_f32_e32 v3, v7, v3
	v_fmac_f32_e32 v3, v6, v2
	v_fmac_f32_e32 v3, v8, v4
	;; [unrolled: 1-line block ×3, first 2 shown]
	v_add_f32_e32 v19, v19, v3
.LBB0_50:                               ;   in Loop: Header=BB0_51 Depth=1
	s_or_b64 exec, exec, s[0:1]
	v_add_co_u32_e32 v12, vcc, 8, v12
	v_add_u32_e32 v10, 2, v10
	v_addc_co_u32_e32 v13, vcc, 0, v13, vcc
	v_cmp_le_i32_e32 vcc, s46, v10
	v_add_u32_e32 v1, 16, v1
	s_or_b64 s[6:7], vcc, s[6:7]
	v_add_u32_e32 v11, 64, v11
	s_andn2_b64 exec, exec, s[6:7]
	s_cbranch_execz .LBB0_54
.LBB0_51:                               ; =>This Inner Loop Header: Depth=1
	v_sub_u32_e32 v3, 0, v1
	v_max_i32_e32 v3, v1, v3
	v_mul_hi_u32 v4, v3, s25
	v_mul_lo_u32 v5, v4, s12
	v_sub_u32_e32 v3, v3, v5
	v_add_u32_e32 v5, 1, v4
	v_cmp_le_u32_e32 vcc, s12, v3
	v_cndmask_b32_e32 v4, v4, v5, vcc
	v_subrev_u32_e32 v5, s12, v3
	v_cndmask_b32_e32 v3, v3, v5, vcc
	v_ashrrev_i32_e32 v2, 31, v1
	v_add_u32_e32 v5, 1, v4
	v_cmp_le_u32_e32 vcc, s12, v3
	v_xor_b32_e32 v2, s19, v2
	v_cndmask_b32_e32 v3, v4, v5, vcc
	v_xor_b32_e32 v3, v3, v2
	v_sub_u32_e32 v2, v3, v2
	v_add_u32_e32 v3, s33, v2
	v_sub_u32_e32 v5, 0, v3
	v_ashrrev_i32_e32 v4, 31, v3
	v_max_i32_e32 v3, v3, v5
	v_mul_hi_u32 v5, v3, v20
	v_mul_lo_u32 v5, v5, s9
	v_sub_u32_e32 v3, v3, v5
	v_subrev_u32_e32 v5, s9, v3
	v_cmp_le_u32_e32 vcc, s9, v3
	v_cndmask_b32_e32 v3, v3, v5, vcc
	v_subrev_u32_e32 v5, s9, v3
	v_cmp_le_u32_e32 vcc, s9, v3
	v_cndmask_b32_e32 v3, v3, v5, vcc
	v_xor_b32_e32 v3, v3, v4
	v_sub_u32_e32 v3, v3, v4
	v_cmp_eq_u32_e32 vcc, 0, v3
	v_cmp_lt_i32_e64 s[0:1], s3, v2
	s_or_b64 s[10:11], vcc, s[0:1]
	s_and_saveexec_b64 s[0:1], s[10:11]
	s_cbranch_execz .LBB0_50
; %bb.52:                               ;   in Loop: Header=BB0_51 Depth=1
	global_load_dword v2, v[12:13], off
	ds_read_b128 v[6:9], v11
	s_waitcnt vmcnt(0)
	v_mad_i64_i32 v[2:3], s[10:11], v2, s13, 0
	v_lshlrev_b64 v[2:3], 2, v[2:3]
	v_add_co_u32_e32 v2, vcc, v17, v2
	v_addc_co_u32_e32 v3, vcc, v18, v3, vcc
	global_load_dwordx4 v[2:5], v[2:3], off
	v_cmp_eq_u32_e32 vcc, s14, v10
	s_and_saveexec_b64 s[10:11], vcc
	s_cbranch_execz .LBB0_49
; %bb.53:                               ;   in Loop: Header=BB0_51 Depth=1
	v_add_u32_e32 v21, v16, v1
	v_cmp_gt_i32_e32 vcc, s29, v21
	v_add_u32_e32 v22, 1, v21
	s_waitcnt vmcnt(0)
	v_cndmask_b32_e32 v2, 0, v2, vcc
	v_cmp_gt_i32_e32 vcc, s29, v22
	v_add_u32_e32 v22, 2, v21
	v_cndmask_b32_e32 v3, 0, v3, vcc
	v_cmp_gt_i32_e32 vcc, s29, v22
	v_add_u32_e32 v21, 3, v21
	v_cndmask_b32_e32 v4, 0, v4, vcc
	v_cmp_gt_i32_e32 vcc, s29, v21
	v_cndmask_b32_e32 v5, 0, v5, vcc
	s_branch .LBB0_49
.LBB0_54:
	s_or_b64 exec, exec, s[6:7]
.LBB0_55:
	s_or_b64 exec, exec, s[4:5]
	ds_bpermute_b32 v1, v15, v19
	v_and_b32_e32 v2, 0x3c1, v0
	v_cmp_eq_u32_e32 vcc, 64, v2
	s_waitcnt lgkmcnt(0)
	s_barrier
	v_add_f32_e32 v1, v19, v1
	s_and_saveexec_b64 s[0:1], vcc
	s_cbranch_execz .LBB0_57
; %bb.56:
	v_mov_b32_e32 v3, 0x90
	v_lshl_add_u32 v3, v14, 1, v3
	ds_write_b32 v3, v1
.LBB0_57:
	s_or_b64 exec, exec, s[0:1]
	v_cmp_eq_u32_e32 vcc, 0, v2
	s_waitcnt lgkmcnt(0)
	s_barrier
	s_and_saveexec_b64 s[0:1], vcc
	s_cbranch_execz .LBB0_59
; %bb.58:
	v_mov_b32_e32 v2, 0x90
	v_lshl_add_u32 v2, v0, 1, v2
	ds_read_b32 v2, v2
	s_waitcnt lgkmcnt(0)
	v_add_f32_e32 v1, v1, v2
.LBB0_59:
	s_or_b64 exec, exec, s[0:1]
	s_barrier
	s_and_saveexec_b64 s[0:1], vcc
	s_cbranch_execz .LBB0_61
; %bb.60:
	s_lshl_b32 s0, s2, 5
	s_ashr_i32 s1, s0, 31
	s_lshl_b64 s[0:1], s[0:1], 2
	s_add_u32 s2, s26, s0
	s_mul_i32 s0, s16, s24
	s_addc_u32 s3, s27, s1
	s_ashr_i32 s1, s0, 31
	s_lshl_b64 s[0:1], s[0:1], 2
	s_add_u32 s2, s2, s0
	s_addc_u32 s3, s3, s1
	s_lshl_b32 s0, s8, 5
	s_ashr_i32 s1, s0, 31
	s_lshl_b64 s[0:1], s[0:1], 2
	s_add_u32 s0, s2, s0
	s_addc_u32 s1, s3, s1
	v_lshlrev_b32_e32 v0, 1, v0
	global_store_dword v0, v1, s[0:1]
.LBB0_61:
	s_endpgm
	.section	.rodata,"a",@progbits
	.p2align	6, 0x0
	.amdhsa_kernel _ZN4vllm25paged_attention_v2_kernelIffLi32ELi8ELi128ELNS_18Fp8KVCacheDataTypeE0ELb1ELi512EEEvPfS2_PT_PKS3_PKT0_S9_ifPKiSB_iPKfiiiSD_SD_iiiii
		.amdhsa_group_segment_fixed_size 144
		.amdhsa_private_segment_fixed_size 0
		.amdhsa_kernarg_size 400
		.amdhsa_user_sgpr_count 6
		.amdhsa_user_sgpr_private_segment_buffer 1
		.amdhsa_user_sgpr_dispatch_ptr 0
		.amdhsa_user_sgpr_queue_ptr 0
		.amdhsa_user_sgpr_kernarg_segment_ptr 1
		.amdhsa_user_sgpr_dispatch_id 0
		.amdhsa_user_sgpr_flat_scratch_init 0
		.amdhsa_user_sgpr_kernarg_preload_length 0
		.amdhsa_user_sgpr_kernarg_preload_offset 0
		.amdhsa_user_sgpr_private_segment_size 0
		.amdhsa_uses_dynamic_stack 0
		.amdhsa_system_sgpr_private_segment_wavefront_offset 0
		.amdhsa_system_sgpr_workgroup_id_x 1
		.amdhsa_system_sgpr_workgroup_id_y 1
		.amdhsa_system_sgpr_workgroup_id_z 1
		.amdhsa_system_sgpr_workgroup_info 0
		.amdhsa_system_vgpr_workitem_id 0
		.amdhsa_next_free_vgpr 34
		.amdhsa_next_free_sgpr 52
		.amdhsa_accum_offset 36
		.amdhsa_reserve_vcc 1
		.amdhsa_reserve_flat_scratch 0
		.amdhsa_float_round_mode_32 0
		.amdhsa_float_round_mode_16_64 0
		.amdhsa_float_denorm_mode_32 3
		.amdhsa_float_denorm_mode_16_64 3
		.amdhsa_dx10_clamp 1
		.amdhsa_ieee_mode 1
		.amdhsa_fp16_overflow 0
		.amdhsa_tg_split 0
		.amdhsa_exception_fp_ieee_invalid_op 0
		.amdhsa_exception_fp_denorm_src 0
		.amdhsa_exception_fp_ieee_div_zero 0
		.amdhsa_exception_fp_ieee_overflow 0
		.amdhsa_exception_fp_ieee_underflow 0
		.amdhsa_exception_fp_ieee_inexact 0
		.amdhsa_exception_int_div_zero 0
	.end_amdhsa_kernel
	.section	.text._ZN4vllm25paged_attention_v2_kernelIffLi32ELi8ELi128ELNS_18Fp8KVCacheDataTypeE0ELb1ELi512EEEvPfS2_PT_PKS3_PKT0_S9_ifPKiSB_iPKfiiiSD_SD_iiiii,"axG",@progbits,_ZN4vllm25paged_attention_v2_kernelIffLi32ELi8ELi128ELNS_18Fp8KVCacheDataTypeE0ELb1ELi512EEEvPfS2_PT_PKS3_PKT0_S9_ifPKiSB_iPKfiiiSD_SD_iiiii,comdat
.Lfunc_end0:
	.size	_ZN4vllm25paged_attention_v2_kernelIffLi32ELi8ELi128ELNS_18Fp8KVCacheDataTypeE0ELb1ELi512EEEvPfS2_PT_PKS3_PKT0_S9_ifPKiSB_iPKfiiiSD_SD_iiiii, .Lfunc_end0-_ZN4vllm25paged_attention_v2_kernelIffLi32ELi8ELi128ELNS_18Fp8KVCacheDataTypeE0ELb1ELi512EEEvPfS2_PT_PKS3_PKT0_S9_ifPKiSB_iPKfiiiSD_SD_iiiii
                                        ; -- End function
	.section	.AMDGPU.csdata,"",@progbits
; Kernel info:
; codeLenInByte = 3956
; NumSgprs: 56
; NumVgprs: 34
; NumAgprs: 0
; TotalNumVgprs: 34
; ScratchSize: 0
; MemoryBound: 0
; FloatMode: 240
; IeeeMode: 1
; LDSByteSize: 144 bytes/workgroup (compile time only)
; SGPRBlocks: 6
; VGPRBlocks: 4
; NumSGPRsForWavesPerEU: 56
; NumVGPRsForWavesPerEU: 34
; AccumOffset: 36
; Occupancy: 8
; WaveLimiterHint : 1
; COMPUTE_PGM_RSRC2:SCRATCH_EN: 0
; COMPUTE_PGM_RSRC2:USER_SGPR: 6
; COMPUTE_PGM_RSRC2:TRAP_HANDLER: 0
; COMPUTE_PGM_RSRC2:TGID_X_EN: 1
; COMPUTE_PGM_RSRC2:TGID_Y_EN: 1
; COMPUTE_PGM_RSRC2:TGID_Z_EN: 1
; COMPUTE_PGM_RSRC2:TIDIG_COMP_CNT: 0
; COMPUTE_PGM_RSRC3_GFX90A:ACCUM_OFFSET: 8
; COMPUTE_PGM_RSRC3_GFX90A:TG_SPLIT: 0
	.section	.text._ZN4vllm32paged_attention_v2_reduce_kernelIfLi32ELi128ELi512EEEvPT_PKfS4_PKS1_PKii,"axG",@progbits,_ZN4vllm32paged_attention_v2_reduce_kernelIfLi32ELi128ELi512EEEvPT_PKfS4_PKS1_PKii,comdat
	.protected	_ZN4vllm32paged_attention_v2_reduce_kernelIfLi32ELi128ELi512EEEvPT_PKfS4_PKS1_PKii ; -- Begin function _ZN4vllm32paged_attention_v2_reduce_kernelIfLi32ELi128ELi512EEEvPT_PKfS4_PKS1_PKii
	.globl	_ZN4vllm32paged_attention_v2_reduce_kernelIfLi32ELi128ELi512EEEvPT_PKfS4_PKS1_PKii
	.p2align	8
	.type	_ZN4vllm32paged_attention_v2_reduce_kernelIfLi32ELi128ELi512EEEvPT_PKfS4_PKS1_PKii,@function
_ZN4vllm32paged_attention_v2_reduce_kernelIfLi32ELi128ELi512EEEvPT_PKfS4_PKS1_PKii: ; @_ZN4vllm32paged_attention_v2_reduce_kernelIfLi32ELi128ELi512EEEvPT_PKfS4_PKS1_PKii
; %bb.0:
	s_load_dwordx4 s[8:11], s[4:5], 0x18
	s_add_u32 s12, s4, 48
	s_mov_b32 s14, s7
	s_addc_u32 s13, s5, 0
	s_ashr_i32 s15, s7, 31
	s_lshl_b64 s[0:1], s[14:15], 2
	s_waitcnt lgkmcnt(0)
	s_add_u32 s0, s10, s0
	s_addc_u32 s1, s11, s1
	s_load_dword s24, s[0:1], 0x0
	s_load_dwordx2 s[10:11], s[4:5], 0x0
	s_load_dword s7, s[4:5], 0x28
	s_load_dword s15, s[4:5], 0x30
	s_waitcnt lgkmcnt(0)
	s_add_i32 s0, s24, -1
	s_cmpk_gt_u32 s0, 0x1ff
	s_mov_b64 s[0:1], -1
	s_cbranch_scc0 .LBB1_25
; %bb.1:
	s_add_i32 s0, s24, 0x1ff
	s_load_dwordx2 s[20:21], s[4:5], 0x8
	s_ashr_i32 s1, s0, 31
	s_lshr_b32 s1, s1, 23
	s_add_i32 s0, s0, s1
	s_mul_i32 s22, s15, s14
	s_ashr_i32 s23, s0, 9
	s_mul_i32 s16, s22, s7
	s_mul_i32 s18, s6, s7
	s_ashr_i32 s17, s16, 31
	s_ashr_i32 s19, s18, 31
	v_cmp_gt_i32_e32 vcc, s23, v0
	v_mov_b32_e32 v4, 0xff7fffff
	s_and_saveexec_b64 s[2:3], vcc
	s_cbranch_execz .LBB1_5
; %bb.2:
	s_load_dword s25, s[12:13], 0xc
	s_load_dwordx2 s[0:1], s[4:5], 0x10
	s_lshl_b64 s[4:5], s[16:17], 2
	s_lshl_b64 s[26:27], s[18:19], 2
	v_lshlrev_b32_e32 v1, 2, v0
	s_waitcnt lgkmcnt(0)
	s_and_b32 s25, s25, 0xffff
	s_add_u32 s4, s4, s26
	s_addc_u32 s5, s5, s27
	s_add_u32 s0, s0, s4
	s_addc_u32 s1, s1, s5
	s_mov_b32 s28, 0
	v_mov_b32_e32 v3, s1
	v_add_co_u32_e64 v2, s[0:1], s0, v1
	v_addc_co_u32_e64 v3, s[0:1], 0, v3, s[0:1]
	s_lshl_b32 s26, s25, 2
	v_add_u32_e32 v1, 16, v1
	s_mov_b64 s[4:5], 0
	v_mov_b32_e32 v4, 0xff7fffff
	v_mov_b32_e32 v5, s28
	v_mov_b32_e32 v6, v0
.LBB1_3:                                ; =>This Inner Loop Header: Depth=1
	global_load_dword v7, v[2:3], off
	v_add_co_u32_e64 v2, s[0:1], s26, v2
	v_add_u32_e32 v6, s25, v6
	v_addc_co_u32_e64 v3, s[0:1], v3, v5, s[0:1]
	v_max_f32_e32 v4, v4, v4
	v_cmp_le_i32_e64 s[0:1], s23, v6
	s_or_b64 s[4:5], s[0:1], s[4:5]
	s_waitcnt vmcnt(0)
	ds_write_b32 v1, v7
	v_max_f32_e32 v7, v7, v7
	v_add_u32_e32 v1, s26, v1
	v_max_f32_e32 v4, v4, v7
	s_andn2_b64 exec, exec, s[4:5]
	s_cbranch_execnz .LBB1_3
; %bb.4:
	s_or_b64 exec, exec, s[4:5]
.LBB1_5:
	s_or_b64 exec, exec, s[2:3]
	v_mbcnt_lo_u32_b32 v1, -1, 0
	v_mbcnt_hi_u32_b32 v2, -1, v1
	v_and_b32_e32 v1, 64, v2
	v_add_u32_e32 v5, 64, v1
	v_xor_b32_e32 v1, 32, v2
	v_cmp_lt_i32_e64 s[0:1], v1, v5
	v_cndmask_b32_e64 v1, v2, v1, s[0:1]
	v_lshlrev_b32_e32 v1, 2, v1
	ds_bpermute_b32 v3, v1, v4
	v_xor_b32_e32 v6, 16, v2
	v_max_f32_e32 v4, v4, v4
	v_cmp_lt_i32_e64 s[0:1], v6, v5
	v_xor_b32_e32 v7, 8, v2
	s_waitcnt lgkmcnt(0)
	v_max_f32_e32 v3, v3, v3
	v_max_f32_e32 v3, v4, v3
	v_cndmask_b32_e64 v4, v2, v6, s[0:1]
	v_lshlrev_b32_e32 v4, 2, v4
	ds_bpermute_b32 v6, v4, v3
	v_cmp_lt_i32_e64 s[0:1], v7, v5
	v_xor_b32_e32 v8, 4, v2
	v_xor_b32_e32 v9, 2, v2
	v_lshrrev_b32_e32 v12, 6, v0
	s_waitcnt lgkmcnt(0)
	v_max_f32_e32 v6, v6, v6
	v_max_f32_e32 v3, v3, v6
	v_cndmask_b32_e64 v6, v2, v7, s[0:1]
	v_lshlrev_b32_e32 v6, 2, v6
	ds_bpermute_b32 v7, v6, v3
	v_cmp_lt_i32_e64 s[0:1], v8, v5
	s_waitcnt lgkmcnt(0)
	s_barrier
	v_max_f32_e32 v7, v7, v7
	v_max_f32_e32 v3, v3, v7
	v_cndmask_b32_e64 v7, v2, v8, s[0:1]
	v_lshlrev_b32_e32 v7, 2, v7
	ds_bpermute_b32 v8, v7, v3
	v_cmp_lt_i32_e64 s[0:1], v9, v5
	s_waitcnt lgkmcnt(0)
	v_max_f32_e32 v8, v8, v8
	v_max_f32_e32 v10, v3, v8
	v_cndmask_b32_e64 v3, v2, v9, s[0:1]
	v_lshlrev_b32_e32 v8, 2, v3
	ds_bpermute_b32 v9, v8, v10
	v_and_b32_e32 v3, 63, v0
	s_waitcnt lgkmcnt(0)
	v_max_f32_e32 v9, v9, v9
	v_max_f32_e32 v10, v10, v9
	v_xor_b32_e32 v9, 1, v2
	v_cmp_lt_i32_e64 s[0:1], v9, v5
	v_cndmask_b32_e64 v5, v2, v9, s[0:1]
	v_lshlrev_b32_e32 v5, 2, v5
	ds_bpermute_b32 v11, v5, v10
	v_cmp_eq_u32_e64 s[0:1], 0, v3
	v_lshlrev_b32_e32 v9, 2, v12
	s_and_saveexec_b64 s[2:3], s[0:1]
	s_cbranch_execz .LBB1_7
; %bb.6:
	s_waitcnt lgkmcnt(0)
	v_max_f32_e32 v11, v11, v11
	v_max_f32_e32 v10, v10, v10
	;; [unrolled: 1-line block ×3, first 2 shown]
	ds_write_b32 v9, v10
.LBB1_7:
	s_or_b64 exec, exec, s[2:3]
	v_cmp_gt_u32_e64 s[2:3], 2, v3
	s_waitcnt lgkmcnt(0)
	v_mov_b32_e32 v11, 0xff7fffff
	v_lshlrev_b32_e32 v10, 2, v3
	s_barrier
	s_and_saveexec_b64 s[4:5], s[2:3]
	s_cbranch_execz .LBB1_9
; %bb.8:
	ds_read_b32 v11, v10
.LBB1_9:
	s_or_b64 exec, exec, s[4:5]
	s_waitcnt lgkmcnt(0)
	ds_bpermute_b32 v3, v5, v11
	v_max_f32_e32 v11, v11, v11
	v_lshlrev_b32_e32 v2, 2, v2
	s_lshl_b32 s25, s23, 2
	v_mov_b32_e32 v13, 0
	s_waitcnt lgkmcnt(0)
	v_max_f32_e32 v3, v3, v3
	v_max_f32_e32 v3, v11, v3
	v_and_b32_e32 v11, 0x100, v2
	ds_bpermute_b32 v12, v11, v3
	s_and_saveexec_b64 s[4:5], vcc
	s_cbranch_execz .LBB1_13
; %bb.10:
	s_load_dword s30, s[12:13], 0xc
	s_lshl_b64 s[26:27], s[16:17], 2
	s_lshl_b64 s[28:29], s[18:19], 2
	v_lshlrev_b32_e32 v13, 2, v0
	s_mov_b32 s31, 0
	s_waitcnt lgkmcnt(0)
	s_and_b32 s17, s30, 0xffff
	s_add_u32 s19, s26, s28
	s_addc_u32 s26, s27, s29
	s_add_u32 s19, s20, s19
	s_addc_u32 s20, s21, s26
	v_mov_b32_e32 v3, s20
	v_add_co_u32_e32 v2, vcc, s19, v13
	v_addc_co_u32_e32 v3, vcc, 0, v3, vcc
	s_lshl_b32 s19, s17, 2
	v_add_u32_e32 v14, 16, v13
	s_mov_b64 s[20:21], 0
	v_mov_b32_e32 v13, 0
	s_mov_b32 s26, 0x3fb8aa3b
	s_mov_b32 s27, 0xc2ce8ed0
	;; [unrolled: 1-line block ×3, first 2 shown]
	v_mov_b32_e32 v15, 0x7f800000
	v_mov_b32_e32 v16, s31
	;; [unrolled: 1-line block ×3, first 2 shown]
.LBB1_11:                               ; =>This Inner Loop Header: Depth=1
	global_load_dword v18, v[2:3], off
	ds_read_b32 v19, v14
	v_add_co_u32_e32 v2, vcc, s19, v2
	v_add_u32_e32 v17, s17, v17
	v_addc_co_u32_e32 v3, vcc, v3, v16, vcc
	s_waitcnt lgkmcnt(0)
	v_sub_f32_e32 v19, v19, v12
	v_mul_f32_e32 v21, 0x3fb8aa3b, v19
	v_fma_f32 v22, v19, s26, -v21
	v_rndne_f32_e32 v23, v21
	v_fmac_f32_e32 v22, 0x32a5705f, v19
	v_sub_f32_e32 v21, v21, v23
	v_add_f32_e32 v21, v21, v22
	v_cvt_i32_f32_e32 v23, v23
	v_exp_f32_e32 v21, v21
	v_cmp_le_i32_e32 vcc, s23, v17
	s_or_b64 s[20:21], vcc, s[20:21]
	v_cmp_ngt_f32_e32 vcc, s27, v19
	v_ldexp_f32 v21, v21, v23
	v_cndmask_b32_e32 v21, 0, v21, vcc
	v_cmp_nlt_f32_e32 vcc, s28, v19
	v_cndmask_b32_e32 v19, v15, v21, vcc
	v_add_u32_e32 v20, s25, v14
	v_add_u32_e32 v14, s19, v14
	s_waitcnt vmcnt(0)
	v_mul_f32_e32 v21, v18, v19
	v_fmac_f32_e32 v13, v18, v19
	ds_write_b32 v20, v21
	s_andn2_b64 exec, exec, s[20:21]
	s_cbranch_execnz .LBB1_11
; %bb.12:
	s_or_b64 exec, exec, s[20:21]
.LBB1_13:
	s_or_b64 exec, exec, s[4:5]
	ds_bpermute_b32 v1, v1, v13
	s_waitcnt lgkmcnt(0)
	s_barrier
	v_add_f32_e32 v1, v13, v1
	ds_bpermute_b32 v2, v4, v1
	s_waitcnt lgkmcnt(0)
	v_add_f32_e32 v1, v1, v2
	ds_bpermute_b32 v2, v6, v1
	s_waitcnt lgkmcnt(0)
	;; [unrolled: 3-line block ×5, first 2 shown]
	v_add_f32_e32 v1, v1, v2
	s_and_saveexec_b64 s[4:5], s[0:1]
	s_cbranch_execz .LBB1_15
; %bb.14:
	ds_write_b32 v9, v1 offset:8
.LBB1_15:
	s_or_b64 exec, exec, s[4:5]
	s_waitcnt lgkmcnt(0)
	s_barrier
	s_and_saveexec_b64 s[0:1], s[2:3]
	s_cbranch_execz .LBB1_17
; %bb.16:
	ds_read_b32 v1, v10 offset:8
.LBB1_17:
	s_or_b64 exec, exec, s[0:1]
	s_waitcnt lgkmcnt(0)
	ds_bpermute_b32 v2, v5, v1
	v_cmp_gt_u32_e32 vcc, 32, v0
	s_waitcnt lgkmcnt(0)
	v_add_f32_e32 v1, v1, v2
	ds_bpermute_b32 v2, v11, v1
	s_and_saveexec_b64 s[0:1], vcc
	s_cbranch_execz .LBB1_24
; %bb.18:
	s_cmp_gt_i32 s24, 0
	s_mov_b32 s4, 0
	s_cbranch_scc1 .LBB1_20
; %bb.19:
	v_mov_b32_e32 v1, 0
	v_mov_b32_e32 v4, s4
	s_cbranch_execz .LBB1_21
	s_branch .LBB1_23
.LBB1_20:
                                        ; implicit-def: $sgpr4
	v_mov_b32_e32 v4, s4
.LBB1_21:
	s_waitcnt lgkmcnt(0)
	v_add_f32_e32 v1, 0x358637bd, v2
	v_div_scale_f32 v2, s[2:3], v1, v1, 1.0
	v_rcp_f32_e32 v3, v2
	s_lshl_b32 s4, s16, 5
	s_lshl_b32 s16, s18, 5
	s_ashr_i32 s5, s4, 31
	v_fma_f32 v4, -v2, v3, 1.0
	v_fmac_f32_e32 v3, v4, v3
	v_div_scale_f32 v4, vcc, 1.0, v1, 1.0
	v_mul_f32_e32 v5, v4, v3
	s_ashr_i32 s17, s16, 31
	s_max_i32 s2, s23, 1
	v_fma_f32 v6, -v2, v5, v4
	s_add_i32 s3, s25, 16
	s_lshl_b64 s[4:5], s[4:5], 2
	s_lshl_b64 s[16:17], s[16:17], 2
	v_fmac_f32_e32 v5, v6, v3
	s_add_u32 s4, s4, s16
	v_fma_f32 v2, -v2, v5, v4
	s_addc_u32 s5, s5, s17
	v_div_fmas_f32 v2, v2, v3, v5
	s_add_u32 s4, s8, s4
	v_div_fixup_f32 v5, v2, v1, 1.0
	v_lshlrev_b32_e32 v2, 2, v0
	s_addc_u32 s5, s9, s5
	v_mov_b32_e32 v1, 0
	v_mov_b32_e32 v3, s5
	v_add_co_u32_e32 v2, vcc, s4, v2
	v_addc_co_u32_e32 v3, vcc, 0, v3, vcc
	v_mov_b32_e32 v4, v1
.LBB1_22:                               ; =>This Inner Loop Header: Depth=1
	global_load_dword v6, v[2:3], off
	v_mov_b32_e32 v7, s3
	ds_read_b32 v7, v7
	s_add_i32 s2, s2, -1
	v_add_co_u32_e32 v2, vcc, 0x80, v2
	s_add_i32 s3, s3, 4
	v_addc_co_u32_e32 v3, vcc, 0, v3, vcc
	s_cmp_eq_u32 s2, 0
	s_waitcnt vmcnt(0) lgkmcnt(0)
	v_mul_f32_e32 v6, v6, v7
	v_fmac_f32_e32 v4, v5, v6
	s_cbranch_scc0 .LBB1_22
.LBB1_23:
	s_lshl_b32 s2, s22, 5
	s_ashr_i32 s3, s2, 31
	s_lshl_b64 s[2:3], s[2:3], 2
	s_add_u32 s4, s10, s2
	s_addc_u32 s5, s11, s3
	s_lshl_b32 s2, s6, 5
	s_ashr_i32 s3, s2, 31
	s_lshl_b64 s[2:3], s[2:3], 2
	s_add_u32 s2, s4, s2
	s_addc_u32 s3, s5, s3
	s_waitcnt lgkmcnt(0)
	v_lshlrev_b64 v[2:3], 2, v[0:1]
	v_mov_b32_e32 v1, s3
	v_add_co_u32_e32 v2, vcc, s2, v2
	v_addc_co_u32_e32 v3, vcc, v1, v3, vcc
	global_store_dword v[2:3], v4, off
.LBB1_24:
	s_or_b64 exec, exec, s[0:1]
	s_mov_b64 s[0:1], 0
.LBB1_25:
	s_and_b64 vcc, exec, s[0:1]
	s_cbranch_vccz .LBB1_34
; %bb.26:
	v_cmp_gt_u32_e32 vcc, 32, v0
	s_and_saveexec_b64 s[0:1], vcc
	s_cbranch_execz .LBB1_34
; %bb.27:
	s_mul_i32 s15, s15, s14
	s_lshl_b32 s0, s15, 5
	s_ashr_i32 s1, s0, 31
	s_lshl_b64 s[0:1], s[0:1], 2
	s_add_u32 s2, s10, s0
	s_addc_u32 s3, s11, s1
	s_lshl_b32 s0, s6, 5
	s_ashr_i32 s1, s0, 31
	s_lshl_b64 s[0:1], s[0:1], 2
	s_add_u32 s4, s2, s0
	s_mul_i32 s0, s7, s15
	s_addc_u32 s10, s3, s1
	s_lshl_b32 s0, s0, 5
	s_ashr_i32 s1, s0, 31
	s_lshl_b64 s[0:1], s[0:1], 2
	s_add_u32 s2, s8, s0
	s_mul_i32 s6, s6, s7
	s_addc_u32 s3, s9, s1
	s_lshl_b32 s0, s6, 5
	s_load_dword s6, s[12:13], 0xc
	s_ashr_i32 s1, s0, 31
	s_lshl_b64 s[0:1], s[0:1], 2
	s_add_u32 s5, s2, s0
	s_addc_u32 s7, s3, s1
	s_waitcnt lgkmcnt(0)
	s_and_b32 s6, s6, 0xffff
	v_cvt_f32_u32_e32 v1, s6
	v_add_u32_e32 v2, s6, v0
	v_mov_b32_e32 v4, s6
	v_cmp_gt_u32_e32 vcc, 32, v2
	v_rcp_iflag_f32_e32 v1, v1
	s_cmp_eq_u32 s6, 1
	v_max_u32_e32 v3, 32, v2
	v_addc_co_u32_e64 v2, s[0:1], v0, v4, vcc
	v_mul_f32_e32 v1, 0x4f7ffffe, v1
	v_cvt_u32_f32_e32 v1, v1
	s_cselect_b64 s[2:3], -1, 0
	s_sub_i32 s0, 0, s6
	v_sub_u32_e32 v2, v3, v2
	v_mul_lo_u32 v3, s0, v1
	v_mul_hi_u32 v3, v1, v3
	v_add_u32_e32 v1, v1, v3
	v_mul_hi_u32 v1, v2, v1
	v_mul_lo_u32 v3, v1, s6
	v_sub_u32_e32 v2, v2, v3
	v_add_u32_e32 v3, 1, v1
	v_cmp_le_u32_e64 s[0:1], s6, v2
	v_cndmask_b32_e64 v1, v1, v3, s[0:1]
	v_subrev_u32_e32 v3, s6, v2
	v_cndmask_b32_e64 v2, v2, v3, s[0:1]
	v_add_u32_e32 v3, 1, v1
	v_cmp_le_u32_e64 s[0:1], s6, v2
	v_cndmask_b32_e64 v1, v1, v3, s[0:1]
	v_addc_co_u32_e32 v1, vcc, 1, v1, vcc
	v_cmp_lt_u32_e32 vcc, 3, v1
	s_and_b64 s[8:9], vcc, s[2:3]
	s_mov_b64 s[2:3], -1
	s_and_saveexec_b64 s[0:1], s[8:9]
	s_cbranch_execz .LBB1_31
; %bb.28:
	v_and_b32_e32 v4, -4, v1
	s_mov_b64 s[2:3], 0
	v_mov_b32_e32 v3, 0
	v_mov_b32_e32 v5, s7
	;; [unrolled: 1-line block ×5, first 2 shown]
.LBB1_29:                               ; =>This Inner Loop Header: Depth=1
	v_lshlrev_b64 v[12:13], 2, v[2:3]
	v_add_co_u32_e32 v8, vcc, s5, v12
	v_addc_co_u32_e32 v9, vcc, v5, v13, vcc
	global_load_dwordx4 v[8:11], v[8:9], off
	v_add_co_u32_e32 v12, vcc, s4, v12
	v_add_u32_e32 v7, -4, v7
	v_addc_co_u32_e32 v13, vcc, v6, v13, vcc
	v_cmp_eq_u32_e32 vcc, 0, v7
	v_add_u32_e32 v2, 4, v2
	s_or_b64 s[2:3], vcc, s[2:3]
	s_waitcnt vmcnt(0)
	global_store_dwordx4 v[12:13], v[8:11], off
	s_andn2_b64 exec, exec, s[2:3]
	s_cbranch_execnz .LBB1_29
; %bb.30:
	s_or_b64 exec, exec, s[2:3]
	v_cmp_ne_u32_e32 vcc, v1, v4
	v_add_u32_e32 v0, v0, v4
	s_orn2_b64 s[2:3], vcc, exec
.LBB1_31:
	s_or_b64 exec, exec, s[0:1]
	s_and_b64 exec, exec, s[2:3]
	s_cbranch_execz .LBB1_34
; %bb.32:
	s_mov_b32 s3, 0
	v_mov_b32_e32 v1, 0
	v_lshlrev_b64 v[2:3], 2, v[0:1]
	s_lshl_b32 s2, s6, 2
	s_mov_b64 s[0:1], 0
	v_mov_b32_e32 v1, s7
	v_mov_b32_e32 v4, s10
	;; [unrolled: 1-line block ×3, first 2 shown]
.LBB1_33:                               ; =>This Inner Loop Header: Depth=1
	v_add_co_u32_e32 v6, vcc, s5, v2
	v_addc_co_u32_e32 v7, vcc, v1, v3, vcc
	global_load_dword v8, v[6:7], off
	v_add_co_u32_e32 v6, vcc, s4, v2
	v_addc_co_u32_e32 v7, vcc, v4, v3, vcc
	v_add_co_u32_e32 v2, vcc, s2, v2
	v_add_u32_e32 v0, s6, v0
	v_addc_co_u32_e32 v3, vcc, v3, v5, vcc
	v_cmp_lt_u32_e32 vcc, 31, v0
	s_or_b64 s[0:1], vcc, s[0:1]
	s_waitcnt vmcnt(0)
	global_store_dword v[6:7], v8, off
	s_andn2_b64 exec, exec, s[0:1]
	s_cbranch_execnz .LBB1_33
.LBB1_34:
	s_endpgm
	.section	.rodata,"a",@progbits
	.p2align	6, 0x0
	.amdhsa_kernel _ZN4vllm32paged_attention_v2_reduce_kernelIfLi32ELi128ELi512EEEvPT_PKfS4_PKS1_PKii
		.amdhsa_group_segment_fixed_size 16
		.amdhsa_private_segment_fixed_size 0
		.amdhsa_kernarg_size 304
		.amdhsa_user_sgpr_count 6
		.amdhsa_user_sgpr_private_segment_buffer 1
		.amdhsa_user_sgpr_dispatch_ptr 0
		.amdhsa_user_sgpr_queue_ptr 0
		.amdhsa_user_sgpr_kernarg_segment_ptr 1
		.amdhsa_user_sgpr_dispatch_id 0
		.amdhsa_user_sgpr_flat_scratch_init 0
		.amdhsa_user_sgpr_kernarg_preload_length 0
		.amdhsa_user_sgpr_kernarg_preload_offset 0
		.amdhsa_user_sgpr_private_segment_size 0
		.amdhsa_uses_dynamic_stack 0
		.amdhsa_system_sgpr_private_segment_wavefront_offset 0
		.amdhsa_system_sgpr_workgroup_id_x 1
		.amdhsa_system_sgpr_workgroup_id_y 1
		.amdhsa_system_sgpr_workgroup_id_z 0
		.amdhsa_system_sgpr_workgroup_info 0
		.amdhsa_system_vgpr_workitem_id 0
		.amdhsa_next_free_vgpr 24
		.amdhsa_next_free_sgpr 32
		.amdhsa_accum_offset 24
		.amdhsa_reserve_vcc 1
		.amdhsa_reserve_flat_scratch 0
		.amdhsa_float_round_mode_32 0
		.amdhsa_float_round_mode_16_64 0
		.amdhsa_float_denorm_mode_32 3
		.amdhsa_float_denorm_mode_16_64 3
		.amdhsa_dx10_clamp 1
		.amdhsa_ieee_mode 1
		.amdhsa_fp16_overflow 0
		.amdhsa_tg_split 0
		.amdhsa_exception_fp_ieee_invalid_op 0
		.amdhsa_exception_fp_denorm_src 0
		.amdhsa_exception_fp_ieee_div_zero 0
		.amdhsa_exception_fp_ieee_overflow 0
		.amdhsa_exception_fp_ieee_underflow 0
		.amdhsa_exception_fp_ieee_inexact 0
		.amdhsa_exception_int_div_zero 0
	.end_amdhsa_kernel
	.section	.text._ZN4vllm32paged_attention_v2_reduce_kernelIfLi32ELi128ELi512EEEvPT_PKfS4_PKS1_PKii,"axG",@progbits,_ZN4vllm32paged_attention_v2_reduce_kernelIfLi32ELi128ELi512EEEvPT_PKfS4_PKS1_PKii,comdat
.Lfunc_end1:
	.size	_ZN4vllm32paged_attention_v2_reduce_kernelIfLi32ELi128ELi512EEEvPT_PKfS4_PKS1_PKii, .Lfunc_end1-_ZN4vllm32paged_attention_v2_reduce_kernelIfLi32ELi128ELi512EEEvPT_PKfS4_PKS1_PKii
                                        ; -- End function
	.section	.AMDGPU.csdata,"",@progbits
; Kernel info:
; codeLenInByte = 2136
; NumSgprs: 36
; NumVgprs: 24
; NumAgprs: 0
; TotalNumVgprs: 24
; ScratchSize: 0
; MemoryBound: 0
; FloatMode: 240
; IeeeMode: 1
; LDSByteSize: 16 bytes/workgroup (compile time only)
; SGPRBlocks: 4
; VGPRBlocks: 2
; NumSGPRsForWavesPerEU: 36
; NumVGPRsForWavesPerEU: 24
; AccumOffset: 24
; Occupancy: 8
; WaveLimiterHint : 0
; COMPUTE_PGM_RSRC2:SCRATCH_EN: 0
; COMPUTE_PGM_RSRC2:USER_SGPR: 6
; COMPUTE_PGM_RSRC2:TRAP_HANDLER: 0
; COMPUTE_PGM_RSRC2:TGID_X_EN: 1
; COMPUTE_PGM_RSRC2:TGID_Y_EN: 1
; COMPUTE_PGM_RSRC2:TGID_Z_EN: 0
; COMPUTE_PGM_RSRC2:TIDIG_COMP_CNT: 0
; COMPUTE_PGM_RSRC3_GFX90A:ACCUM_OFFSET: 5
; COMPUTE_PGM_RSRC3_GFX90A:TG_SPLIT: 0
	.section	.text._ZN4vllm25paged_attention_v2_kernelIffLi64ELi8ELi128ELNS_18Fp8KVCacheDataTypeE0ELb1ELi512EEEvPfS2_PT_PKS3_PKT0_S9_ifPKiSB_iPKfiiiSD_SD_iiiii,"axG",@progbits,_ZN4vllm25paged_attention_v2_kernelIffLi64ELi8ELi128ELNS_18Fp8KVCacheDataTypeE0ELb1ELi512EEEvPfS2_PT_PKS3_PKT0_S9_ifPKiSB_iPKfiiiSD_SD_iiiii,comdat
	.protected	_ZN4vllm25paged_attention_v2_kernelIffLi64ELi8ELi128ELNS_18Fp8KVCacheDataTypeE0ELb1ELi512EEEvPfS2_PT_PKS3_PKT0_S9_ifPKiSB_iPKfiiiSD_SD_iiiii ; -- Begin function _ZN4vllm25paged_attention_v2_kernelIffLi64ELi8ELi128ELNS_18Fp8KVCacheDataTypeE0ELb1ELi512EEEvPfS2_PT_PKS3_PKT0_S9_ifPKiSB_iPKfiiiSD_SD_iiiii
	.globl	_ZN4vllm25paged_attention_v2_kernelIffLi64ELi8ELi128ELNS_18Fp8KVCacheDataTypeE0ELb1ELi512EEEvPfS2_PT_PKS3_PKT0_S9_ifPKiSB_iPKfiiiSD_SD_iiiii
	.p2align	8
	.type	_ZN4vllm25paged_attention_v2_kernelIffLi64ELi8ELi128ELNS_18Fp8KVCacheDataTypeE0ELb1ELi512EEEvPfS2_PT_PKS3_PKT0_S9_ifPKiSB_iPKfiiiSD_SD_iiiii,@function
_ZN4vllm25paged_attention_v2_kernelIffLi64ELi8ELi128ELNS_18Fp8KVCacheDataTypeE0ELb1ELi512EEEvPfS2_PT_PKS3_PKT0_S9_ifPKiSB_iPKfiiiSD_SD_iiiii: ; @_ZN4vllm25paged_attention_v2_kernelIffLi64ELi8ELi128ELNS_18Fp8KVCacheDataTypeE0ELb1ELi512EEEvPfS2_PT_PKS3_PKT0_S9_ifPKiSB_iPKfiiiSD_SD_iiiii
; %bb.0:
	s_load_dwordx2 s[0:1], s[4:5], 0x40
	s_mov_b32 s30, s7
	s_ashr_i32 s31, s7, 31
	s_lshl_b64 s[2:3], s[30:31], 2
	s_waitcnt lgkmcnt(0)
	s_add_u32 s0, s0, s2
	s_addc_u32 s1, s1, s3
	s_load_dword s31, s[0:1], 0x0
	s_lshl_b32 s52, s8, 9
	s_waitcnt lgkmcnt(0)
	s_cmp_ge_i32 s52, s31
	s_cbranch_scc1 .LBB2_67
; %bb.1:
	s_load_dword s9, s[4:5], 0x90
	s_load_dwordx2 s[40:41], s[4:5], 0x30
	s_waitcnt lgkmcnt(0)
	s_abs_i32 s2, s9
	s_abs_i32 s0, s40
	v_cvt_f32_u32_e32 v1, s0
	s_sub_i32 s3, 0, s0
	s_xor_b32 s1, s9, s40
	s_ashr_i32 s1, s1, 31
	v_rcp_iflag_f32_e32 v1, v1
	v_mul_f32_e32 v1, 0x4f7ffffe, v1
	v_cvt_u32_f32_e32 v1, v1
	v_readfirstlane_b32 s7, v1
	s_mul_i32 s3, s3, s7
	s_mul_hi_u32 s3, s7, s3
	s_add_i32 s7, s7, s3
	s_mul_hi_u32 s3, s2, s7
	s_mul_i32 s7, s3, s0
	s_sub_i32 s2, s2, s7
	s_add_i32 s10, s3, 1
	s_sub_i32 s7, s2, s0
	s_cmp_ge_u32 s2, s0
	s_cselect_b32 s3, s10, s3
	s_cselect_b32 s2, s7, s2
	s_add_i32 s7, s3, 1
	s_cmp_ge_u32 s2, s0
	s_cselect_b32 s0, s7, s3
	s_xor_b32 s0, s0, s1
	s_sub_i32 s2, s0, s1
	s_abs_i32 s10, s2
	v_cvt_f32_u32_e32 v1, s10
	s_load_dwordx2 s[0:1], s[4:5], 0x50
	s_sub_i32 s3, 0, s10
	s_abs_i32 s11, s6
	v_rcp_iflag_f32_e32 v1, v1
	s_mov_b32 s7, 0
	v_mul_f32_e32 v1, 0x4f7ffffe, v1
	v_cvt_u32_f32_e32 v1, v1
	v_readfirstlane_b32 s12, v1
	s_mul_i32 s3, s3, s12
	s_mul_hi_u32 s3, s12, s3
	s_add_i32 s12, s12, s3
	s_waitcnt lgkmcnt(0)
	s_cmp_eq_u64 s[0:1], 0
	s_mul_hi_u32 s12, s11, s12
	s_cbranch_scc1 .LBB2_3
; %bb.2:
	s_ashr_i32 s7, s6, 31
	s_lshl_b64 s[14:15], s[6:7], 2
	s_add_u32 s0, s0, s14
	s_addc_u32 s1, s1, s15
	s_load_dword s7, s[0:1], 0x0
.LBB2_3:
	s_load_dwordx4 s[16:19], s[4:5], 0x58
	s_ashr_i32 s13, s6, 31
	s_ashr_i32 s20, s2, 31
	v_and_b32_e32 v2, 7, v0
	s_lshl_b32 s14, s6, 6
	v_cmp_gt_u32_e64 s[0:1], 64, v0
	v_lshlrev_b32_e32 v4, 2, v0
	v_lshrrev_b32_e32 v1, 1, v0
	s_and_saveexec_b64 s[2:3], s[0:1]
	s_cbranch_execz .LBB2_5
; %bb.4:
	s_load_dwordx2 s[22:23], s[4:5], 0x18
	s_waitcnt lgkmcnt(0)
	s_mul_i32 s24, s30, s16
	s_ashr_i32 s25, s24, 31
	s_lshl_b64 s[24:25], s[24:25], 2
	v_and_b32_e32 v5, 0x1fc, v1
	s_add_u32 s16, s22, s24
	s_addc_u32 s19, s23, s25
	s_ashr_i32 s15, s14, 31
	s_lshl_b64 s[22:23], s[14:15], 2
	s_add_u32 s22, s16, s22
	s_addc_u32 s23, s19, s23
	global_load_dword v3, v4, s[22:23]
	v_lshl_add_u32 v5, v2, 5, v5
	s_waitcnt vmcnt(0)
	ds_write_b32 v5, v3
.LBB2_5:
	s_or_b64 exec, exec, s[2:3]
	s_mul_i32 s3, s12, s10
	s_sub_i32 s3, s11, s3
	s_xor_b32 s2, s13, s20
	s_add_i32 s11, s12, 1
	s_sub_i32 s13, s3, s10
	s_load_dwordx4 s[20:23], s[4:5], 0x78
	s_cmp_ge_u32 s3, s10
	s_cselect_b32 s11, s11, s12
	s_cselect_b32 s3, s13, s3
	s_load_dword s13, s[4:5], 0x88
	s_add_i32 s12, s11, 1
	s_cmp_ge_u32 s3, s10
	s_cselect_b32 s3, s12, s11
	s_waitcnt lgkmcnt(0)
	s_abs_i32 s33, s23
	v_cvt_f32_u32_e32 v3, s33
	s_xor_b32 s3, s3, s2
	s_sub_i32 s10, s3, s2
	s_sub_i32 s2, 0, s33
	v_rcp_iflag_f32_e32 v3, v3
	s_add_i32 s15, s31, -1
	s_abs_i32 s11, s15
	v_mul_f32_e32 v3, 0x4f7ffffe, v3
	v_cvt_u32_f32_e32 v3, v3
	s_barrier
	v_readfirstlane_b32 s48, v3
	s_mul_i32 s2, s2, s48
	s_mul_hi_u32 s2, s48, s2
	s_add_i32 s48, s48, s2
	s_cmp_lt_i32 s13, 0
	s_mul_hi_u32 s12, s11, s48
	s_cbranch_scc0 .LBB2_7
; %bb.6:
	s_mul_i32 s2, s20, s40
	s_add_i32 s2, s10, s2
	s_mul_i32 s2, s2, s13
	s_sub_i32 s49, 1, s2
	s_mov_b64 s[2:3], 0
	s_branch .LBB2_8
.LBB2_7:
	s_mov_b64 s[2:3], -1
                                        ; implicit-def: $sgpr49
.LBB2_8:
	s_load_dwordx2 s[34:35], s[4:5], 0x38
	s_ashr_i32 s16, s15, 31
	s_andn2_b64 vcc, exec, s[2:3]
	s_ashr_i32 s23, s23, 31
	s_cbranch_vccnz .LBB2_10
; %bb.9:
	s_mul_i32 s2, s9, s20
	s_add_i32 s2, s2, s6
	s_mul_i32 s2, s2, s13
	s_add_i32 s49, s2, 1
.LBB2_10:
	s_load_dword s2, s[4:5], 0x48
	s_load_dwordx2 s[38:39], s[4:5], 0x28
	s_load_dword s15, s[4:5], 0x98
	s_load_dwordx4 s[24:27], s[4:5], 0x0
	s_load_dwordx2 s[28:29], s[4:5], 0x10
	s_mul_i32 s3, s12, s33
	s_waitcnt lgkmcnt(0)
	s_mul_i32 s36, s30, s2
	s_sub_i32 s3, s11, s3
	s_ashr_i32 s37, s36, 31
	s_xor_b32 s2, s16, s23
	s_add_i32 s11, s12, 1
	s_sub_i32 s13, s3, s33
	s_cmp_ge_u32 s3, s33
	s_cselect_b32 s11, s11, s12
	s_cselect_b32 s3, s13, s3
	s_add_i32 s12, s11, 1
	s_cmp_ge_u32 s3, s33
	s_cselect_b32 s3, s12, s11
	s_xor_b32 s3, s3, s2
	s_sub_i32 s51, s3, s2
	s_add_i32 s2, s31, 7
	s_ashr_i32 s3, s2, 31
	s_lshr_b32 s3, s3, 29
	s_add_i32 s2, s2, s3
	s_lshl_b32 s16, s8, 6
	s_ashr_i32 s50, s2, 3
	s_add_i32 s2, s16, 64
	v_lshrrev_b32_e32 v5, 6, v0
	s_min_i32 s20, s2, s50
	v_or_b32_e32 v14, s16, v5
	v_cmp_gt_i32_e64 s[2:3], s20, v14
	v_mov_b32_e32 v11, 0xff7fffff
	s_mul_i32 s18, s10, s18
	v_ashrrev_i32_e32 v15, 31, v14
	v_lshl_add_u32 v20, v5, 3, s52
	v_mbcnt_lo_u32_b32 v6, -1, 0
	s_and_saveexec_b64 s[42:43], s[2:3]
	s_cbranch_execz .LBB2_20
; %bb.11:
	s_load_dwordx2 s[4:5], s[4:5], 0x20
	s_ashr_i32 s19, s18, 31
	s_sub_i32 s40, s51, s21
	s_lshl_b64 s[10:11], s[18:19], 2
	v_bfe_u32 v7, v0, 3, 3
	s_waitcnt lgkmcnt(0)
	s_add_u32 s4, s4, s10
	s_addc_u32 s5, s5, s11
	s_abs_i32 s19, s22
	v_cvt_f32_u32_e32 v9, s19
	v_lshlrev_b32_e32 v3, 4, v7
	v_mov_b32_e32 v8, s5
	v_add_co_u32_e64 v3, s[4:5], s4, v3
	v_rcp_iflag_f32_e32 v9, v9
	v_and_b32_e32 v10, 3, v0
	v_addc_co_u32_e64 v8, s[4:5], 0, v8, s[4:5]
	v_lshlrev_b32_e32 v10, 2, v10
	v_add_co_u32_e64 v3, s[4:5], v3, v10
	v_addc_co_u32_e64 v12, s[4:5], 0, v8, s[4:5]
	v_mul_f32_e32 v8, 0x4f7ffffe, v9
	v_cvt_u32_f32_e32 v9, v8
	s_sub_i32 s10, 0, s19
	v_cmp_eq_u32_e32 vcc, 0, v2
	v_lshlrev_b32_e32 v8, 5, v2
	v_mul_lo_u32 v2, s10, v9
	v_mul_hi_u32 v2, v9, v2
	v_add_u32_e32 v9, v9, v2
	v_lshlrev_b32_e32 v2, 5, v0
	v_and_b32_e32 v2, 0x80, v2
	v_add_co_u32_e64 v10, s[10:11], v3, v2
	v_addc_co_u32_e64 v12, s[10:11], 0, v12, s[10:11]
	v_lshlrev_b32_e32 v11, 2, v7
	s_lshl_b64 s[10:11], s[36:37], 2
	s_add_u32 s10, s34, s10
	v_lshl_or_b32 v11, v5, 5, v11
	v_lshlrev_b64 v[2:3], 2, v[14:15]
	s_addc_u32 s11, s35, s11
	v_add_u32_e32 v16, 0x110, v11
	v_subrev_u32_e32 v11, s31, v7
	v_mbcnt_hi_u32_b32 v19, -1, v6
	v_mov_b32_e32 v13, s11
	v_add_co_u32_e64 v2, s[10:11], s10, v2
	v_add_u32_e32 v17, 1, v11
	v_and_b32_e32 v11, 64, v19
	s_mov_b32 s53, s17
	v_cmp_neq_f32_e64 s[4:5], s7, 0
	v_addc_co_u32_e64 v3, s[10:11], v13, v3, s[10:11]
	v_lshl_add_u32 v13, v5, 3, s52
	s_mov_b64 s[44:45], 0
	v_mov_b32_e32 v18, 0xff7fffff
	v_add_u32_e32 v21, 64, v11
	v_xor_b32_e32 v22, 4, v19
	v_xor_b32_e32 v23, 2, v19
	;; [unrolled: 1-line block ×3, first 2 shown]
	v_mov_b32_e32 v11, 0xff7fffff
	v_mov_b32_e32 v25, v14
	s_branch .LBB2_14
.LBB2_12:                               ;   in Loop: Header=BB2_14 Depth=1
	s_or_b64 exec, exec, s[46:47]
.LBB2_13:                               ;   in Loop: Header=BB2_14 Depth=1
	s_or_b64 exec, exec, s[12:13]
	v_add_co_u32_e64 v2, s[10:11], 8, v2
	v_add_u32_e32 v25, 2, v25
	v_addc_co_u32_e64 v3, s[10:11], 0, v3, s[10:11]
	v_cmp_le_i32_e64 s[10:11], s20, v25
	v_add_u32_e32 v13, 16, v13
	s_or_b64 s[44:45], s[10:11], s[44:45]
	v_add_u32_e32 v16, 64, v16
	s_andn2_b64 exec, exec, s[44:45]
	s_cbranch_execz .LBB2_19
.LBB2_14:                               ; =>This Inner Loop Header: Depth=1
	s_waitcnt lgkmcnt(0)
	v_sub_u32_e32 v27, 0, v13
	v_max_i32_e32 v27, v13, v27
	v_mul_hi_u32 v28, v27, s48
	v_mul_lo_u32 v29, v28, s33
	v_sub_u32_e32 v27, v27, v29
	v_add_u32_e32 v29, 1, v28
	v_cmp_le_u32_e64 s[10:11], s33, v27
	v_cndmask_b32_e64 v28, v28, v29, s[10:11]
	v_subrev_u32_e32 v29, s33, v27
	v_cndmask_b32_e64 v27, v27, v29, s[10:11]
	v_ashrrev_i32_e32 v26, 31, v13
	v_add_u32_e32 v29, 1, v28
	v_cmp_le_u32_e64 s[10:11], s33, v27
	v_xor_b32_e32 v26, s23, v26
	v_cndmask_b32_e64 v27, v28, v29, s[10:11]
	v_xor_b32_e32 v27, v27, v26
	v_sub_u32_e32 v26, v27, v26
	v_add_u32_e32 v27, s49, v26
	v_sub_u32_e32 v29, 0, v27
	v_ashrrev_i32_e32 v28, 31, v27
	v_max_i32_e32 v27, v27, v29
	v_mul_hi_u32 v29, v27, v9
	v_mul_lo_u32 v29, v29, s19
	v_sub_u32_e32 v27, v27, v29
	v_subrev_u32_e32 v29, s19, v27
	v_cmp_le_u32_e64 s[10:11], s19, v27
	v_cndmask_b32_e64 v27, v27, v29, s[10:11]
	v_subrev_u32_e32 v29, s19, v27
	v_cmp_le_u32_e64 s[10:11], s19, v27
	v_cndmask_b32_e64 v27, v27, v29, s[10:11]
	v_xor_b32_e32 v27, v27, v28
	v_sub_u32_e32 v27, v27, v28
	v_cmp_ne_u32_e64 s[10:11], 0, v27
	v_cmp_ge_i32_e64 s[12:13], s40, v26
	s_and_b64 s[10:11], s[10:11], s[12:13]
	s_and_b64 s[46:47], vcc, s[10:11]
	s_and_saveexec_b64 s[12:13], s[46:47]
	s_cbranch_execz .LBB2_16
; %bb.15:                               ;   in Loop: Header=BB2_14 Depth=1
	ds_write_b32 v16, v18
.LBB2_16:                               ;   in Loop: Header=BB2_14 Depth=1
	s_or_b64 exec, exec, s[12:13]
	s_xor_b64 s[10:11], s[10:11], -1
	s_and_saveexec_b64 s[12:13], s[10:11]
	s_cbranch_execz .LBB2_13
; %bb.17:                               ;   in Loop: Header=BB2_14 Depth=1
	global_load_dword v26, v[2:3], off
	s_waitcnt vmcnt(0)
	v_mad_i64_i32 v[26:27], s[10:11], v26, s53, 0
	v_lshlrev_b64 v[26:27], 2, v[26:27]
	v_add_co_u32_e64 v26, s[10:11], v10, v26
	v_addc_co_u32_e64 v27, s[10:11], v12, v27, s[10:11]
	global_load_dword v34, v[26:27], off offset:256
	global_load_dword v35, v[26:27], off
	global_load_dword v36, v[26:27], off offset:512
	global_load_dword v37, v[26:27], off offset:768
	;; [unrolled: 1-line block ×6, first 2 shown]
	ds_read_b128 v[26:29], v8
	ds_read_b128 v[30:33], v8 offset:16
	v_cmp_lt_i32_e64 s[10:11], v22, v21
	v_cndmask_b32_e64 v42, v19, v22, s[10:11]
	v_lshlrev_b32_e32 v42, 2, v42
	v_cmp_lt_i32_e64 s[10:11], v23, v21
	s_waitcnt vmcnt(7) lgkmcnt(1)
	v_mul_f32_e32 v27, v27, v34
	s_waitcnt vmcnt(6)
	v_fmac_f32_e32 v27, v26, v35
	s_waitcnt vmcnt(5)
	v_fmac_f32_e32 v27, v28, v36
	;; [unrolled: 2-line block ×3, first 2 shown]
	s_waitcnt vmcnt(3) lgkmcnt(0)
	v_fmac_f32_e32 v27, v30, v38
	s_waitcnt vmcnt(2)
	v_fmac_f32_e32 v27, v31, v39
	s_waitcnt vmcnt(1)
	;; [unrolled: 2-line block ×3, first 2 shown]
	v_fmac_f32_e32 v27, v33, v41
	ds_bpermute_b32 v26, v42, v27
	v_cndmask_b32_e64 v28, v19, v23, s[10:11]
	v_lshlrev_b32_e32 v28, 2, v28
	v_cmp_lt_i32_e64 s[10:11], v24, v21
	s_waitcnt lgkmcnt(0)
	v_add_f32_e32 v26, v27, v26
	ds_bpermute_b32 v27, v28, v26
	v_cndmask_b32_e64 v28, v19, v24, s[10:11]
	v_lshlrev_b32_e32 v28, 2, v28
	s_waitcnt lgkmcnt(0)
	v_add_f32_e32 v26, v26, v27
	ds_bpermute_b32 v27, v28, v26
	s_and_saveexec_b64 s[46:47], vcc
	s_cbranch_execz .LBB2_12
; %bb.18:                               ;   in Loop: Header=BB2_14 Depth=1
	v_add_u32_e32 v28, v17, v13
	v_cvt_f32_i32_e32 v28, v28
	s_waitcnt lgkmcnt(0)
	v_add_f32_e32 v26, v26, v27
	v_add_u32_e32 v29, v7, v13
	v_cmp_gt_i32_e64 s[10:11], s31, v29
	v_mul_f32_e32 v27, s7, v28
	v_cndmask_b32_e64 v27, 0, v27, s[4:5]
	v_fmac_f32_e32 v27, s41, v26
	v_cndmask_b32_e64 v26, 0, v27, s[10:11]
	ds_write_b32 v16, v26
	v_max_f32_e32 v26, v11, v11
	v_max_f32_e32 v26, v26, v27
	v_cndmask_b32_e64 v11, v11, v26, s[10:11]
	s_branch .LBB2_12
.LBB2_19:
	s_or_b64 exec, exec, s[44:45]
.LBB2_20:
	s_or_b64 exec, exec, s[42:43]
	v_mbcnt_hi_u32_b32 v2, -1, v6
	v_and_b32_e32 v3, 64, v2
	v_add_u32_e32 v3, 64, v3
	v_xor_b32_e32 v6, 32, v2
	v_cmp_lt_i32_e32 vcc, v6, v3
	v_cndmask_b32_e32 v6, v2, v6, vcc
	v_lshlrev_b32_e32 v8, 2, v6
	ds_bpermute_b32 v6, v8, v11
	v_xor_b32_e32 v9, 16, v2
	v_max_f32_e32 v7, v11, v11
	v_cmp_lt_i32_e32 vcc, v9, v3
	v_and_b32_e32 v21, 63, v0
	s_waitcnt lgkmcnt(0)
	v_max_f32_e32 v6, v6, v6
	v_max_f32_e32 v6, v7, v6
	v_cndmask_b32_e32 v7, v2, v9, vcc
	v_lshlrev_b32_e32 v10, 2, v7
	ds_bpermute_b32 v7, v10, v6
	v_xor_b32_e32 v9, 8, v2
	v_cmp_lt_i32_e32 vcc, v9, v3
	s_waitcnt lgkmcnt(0)
	v_max_f32_e32 v7, v7, v7
	v_max_f32_e32 v6, v6, v7
	v_cndmask_b32_e32 v7, v2, v9, vcc
	v_lshlrev_b32_e32 v11, 2, v7
	ds_bpermute_b32 v9, v11, v6
	v_cmp_eq_u32_e32 vcc, 0, v21
	v_lshlrev_b32_e32 v7, 2, v5
	s_and_saveexec_b64 s[4:5], vcc
	s_cbranch_execz .LBB2_22
; %bb.21:
	s_waitcnt lgkmcnt(0)
	v_max_f32_e32 v9, v9, v9
	v_max_f32_e32 v6, v6, v6
	;; [unrolled: 1-line block ×3, first 2 shown]
	ds_write_b32 v7, v6 offset:256
.LBB2_22:
	s_or_b64 exec, exec, s[4:5]
	v_cmp_gt_u32_e64 s[4:5], 2, v21
	v_mov_b32_e32 v6, 0xff7fffff
	s_waitcnt lgkmcnt(0)
	v_lshlrev_b32_e32 v9, 2, v21
	s_barrier
	s_and_saveexec_b64 s[10:11], s[4:5]
	s_cbranch_execz .LBB2_24
; %bb.23:
	ds_read_b32 v6, v9 offset:256
.LBB2_24:
	s_or_b64 exec, exec, s[10:11]
	v_xor_b32_e32 v12, 1, v2
	v_cmp_lt_i32_e64 s[10:11], v12, v3
	v_cndmask_b32_e64 v12, v2, v12, s[10:11]
	v_lshlrev_b32_e32 v22, 2, v12
	s_waitcnt lgkmcnt(0)
	ds_bpermute_b32 v12, v22, v6
	v_max_f32_e32 v6, v6, v6
	s_sub_i32 s7, s20, s16
	s_lshl_b32 s7, s7, 3
	s_add_i32 s7, s7, s52
	s_waitcnt lgkmcnt(0)
	v_max_f32_e32 v12, v12, v12
	v_max_f32_e32 v6, v6, v12
	v_lshlrev_b32_e32 v12, 2, v2
	v_and_b32_e32 v12, 0x100, v12
	ds_bpermute_b32 v6, v12, v6
	s_min_i32 s19, s7, s31
	s_sub_i32 s7, s19, s52
	v_cmp_gt_i32_e64 s[10:11], s7, v0
	v_mov_b32_e32 v13, 0
	s_and_saveexec_b64 s[40:41], s[10:11]
	s_cbranch_execz .LBB2_28
; %bb.25:
	v_mov_b32_e32 v13, 0x110
	v_lshl_add_u32 v16, v0, 2, v13
	s_mov_b64 s[42:43], 0
	v_mov_b32_e32 v13, 0
	v_mov_b32_e32 v17, v0
.LBB2_26:                               ; =>This Inner Loop Header: Depth=1
	ds_read_b32 v18, v16
	v_add_u32_e32 v17, 0x80, v17
	v_cmp_le_i32_e64 s[12:13], s7, v17
	s_or_b64 s[42:43], s[12:13], s[42:43]
	s_waitcnt lgkmcnt(0)
	v_sub_f32_e32 v18, v18, v6
	v_mul_f32_e32 v18, 0x3fb8aa3b, v18
	v_exp_f32_e32 v18, v18
	ds_write_b32 v16, v18
	v_add_f32_e32 v13, v13, v18
	v_add_u32_e32 v16, 0x200, v16
	s_andn2_b64 exec, exec, s[42:43]
	s_cbranch_execnz .LBB2_26
; %bb.27:
	s_or_b64 exec, exec, s[42:43]
.LBB2_28:
	s_or_b64 exec, exec, s[40:41]
	ds_bpermute_b32 v8, v8, v13
	s_waitcnt lgkmcnt(0)
	v_add_f32_e32 v8, v13, v8
	ds_bpermute_b32 v10, v10, v8
	s_waitcnt lgkmcnt(0)
	v_add_f32_e32 v8, v8, v10
	ds_bpermute_b32 v10, v11, v8
	v_xor_b32_e32 v11, 4, v2
	v_cmp_lt_i32_e64 s[12:13], v11, v3
	v_cndmask_b32_e64 v11, v2, v11, s[12:13]
	v_lshlrev_b32_e32 v11, 2, v11
	s_waitcnt lgkmcnt(0)
	v_add_f32_e32 v8, v8, v10
	ds_bpermute_b32 v10, v11, v8
	v_xor_b32_e32 v11, 2, v2
	v_cmp_lt_i32_e64 s[12:13], v11, v3
	v_cndmask_b32_e64 v2, v2, v11, s[12:13]
	v_lshlrev_b32_e32 v2, 2, v2
	s_waitcnt lgkmcnt(0)
	v_add_f32_e32 v3, v8, v10
	ds_bpermute_b32 v2, v2, v3
	s_waitcnt lgkmcnt(0)
	v_add_f32_e32 v2, v3, v2
	ds_bpermute_b32 v3, v22, v2
	s_waitcnt lgkmcnt(0)
	v_add_f32_e32 v2, v2, v3
	s_and_saveexec_b64 s[12:13], vcc
	s_cbranch_execz .LBB2_30
; %bb.29:
	ds_write_b32 v7, v2 offset:264
.LBB2_30:
	s_or_b64 exec, exec, s[12:13]
	s_waitcnt lgkmcnt(0)
	s_barrier
	s_and_saveexec_b64 s[12:13], s[4:5]
	s_cbranch_execz .LBB2_32
; %bb.31:
	ds_read_b32 v2, v9 offset:264
.LBB2_32:
	s_or_b64 exec, exec, s[12:13]
	s_waitcnt lgkmcnt(0)
	ds_bpermute_b32 v3, v22, v2
	s_waitcnt lgkmcnt(0)
	v_add_f32_e32 v2, v2, v3
	ds_bpermute_b32 v7, v12, v2
	s_and_saveexec_b64 s[4:5], s[10:11]
	s_cbranch_execz .LBB2_45
; %bb.33:
	s_waitcnt lgkmcnt(0)
	v_add_f32_e32 v2, 0x358637bd, v7
	v_div_scale_f32 v3, s[10:11], v2, v2, 1.0
	v_rcp_f32_e32 v8, v3
	v_div_scale_f32 v9, vcc, 1.0, v2, 1.0
	s_movk_i32 s10, 0x7f
	v_fma_f32 v10, -v3, v8, 1.0
	v_fmac_f32_e32 v8, v10, v8
	v_mul_f32_e32 v10, v9, v8
	v_fma_f32 v11, -v3, v10, v9
	v_fmac_f32_e32 v10, v11, v8
	v_fma_f32 v3, -v3, v10, v9
	v_div_fmas_f32 v3, v3, v8, v10
	v_div_fixup_f32 v2, v3, v2, 1.0
	v_xad_u32 v3, v0, -1, s19
	v_subrev_u32_e32 v8, s52, v3
	v_cmp_lt_u32_e32 vcc, s10, v8
	s_mov_b64 s[12:13], -1
	v_mov_b32_e32 v3, v0
	s_and_saveexec_b64 s[10:11], vcc
	s_cbranch_execz .LBB2_42
; %bb.34:
	v_lshrrev_b32_e32 v8, 7, v8
	v_add_u32_e32 v10, -1, v8
	v_lshrrev_b32_e32 v9, 1, v10
	v_mov_b32_e32 v3, v2
	v_add_u32_e32 v9, 1, v9
	v_cmp_lt_u32_e32 vcc, 13, v10
	v_mov_b32_e32 v12, 0
	s_and_saveexec_b64 s[12:13], vcc
	s_cbranch_execz .LBB2_38
; %bb.35:
	v_mov_b32_e32 v11, 0x110
	v_and_b32_e32 v10, -8, v9
	v_lshl_add_u32 v11, v0, 2, v11
	s_mov_b32 s19, 0
	s_mov_b64 s[40:41], 0
.LBB2_36:                               ; =>This Inner Loop Header: Depth=1
	ds_read2st64_b32 v[12:13], v11 offset1:2
	ds_read2st64_b32 v[16:17], v11 offset0:4 offset1:6
	ds_read2st64_b32 v[18:19], v11 offset0:8 offset1:10
	;; [unrolled: 1-line block ×3, first 2 shown]
	v_add_u32_e32 v10, -8, v10
	s_waitcnt lgkmcnt(3)
	v_pk_mul_f32 v[12:13], v[2:3], v[12:13]
	s_waitcnt lgkmcnt(2)
	v_pk_mul_f32 v[16:17], v[2:3], v[16:17]
	ds_write2st64_b32 v11, v12, v13 offset1:2
	ds_write2st64_b32 v11, v16, v17 offset0:4 offset1:6
	ds_read2st64_b32 v[16:17], v11 offset0:16 offset1:18
	s_waitcnt lgkmcnt(4)
	v_pk_mul_f32 v[12:13], v[2:3], v[18:19]
	ds_write2st64_b32 v11, v12, v13 offset0:8 offset1:10
	s_waitcnt lgkmcnt(4)
	v_pk_mul_f32 v[12:13], v[2:3], v[24:25]
	ds_write2st64_b32 v11, v12, v13 offset0:12 offset1:14
	ds_read2st64_b32 v[12:13], v11 offset0:20 offset1:22
	s_waitcnt lgkmcnt(3)
	v_pk_mul_f32 v[16:17], v[2:3], v[16:17]
	ds_read2st64_b32 v[18:19], v11 offset0:24 offset1:26
	ds_write2st64_b32 v11, v16, v17 offset0:16 offset1:18
	ds_read2st64_b32 v[16:17], v11 offset0:28 offset1:30
	s_waitcnt lgkmcnt(3)
	v_pk_mul_f32 v[12:13], v[2:3], v[12:13]
	ds_write2st64_b32 v11, v12, v13 offset0:20 offset1:22
	s_waitcnt lgkmcnt(3)
	v_pk_mul_f32 v[12:13], v[2:3], v[18:19]
	ds_write2st64_b32 v11, v12, v13 offset0:24 offset1:26
	s_waitcnt lgkmcnt(2)
	v_pk_mul_f32 v[12:13], v[2:3], v[16:17]
	s_add_i32 s19, s19, 16
	v_cmp_eq_u32_e32 vcc, 0, v10
	ds_write2st64_b32 v11, v12, v13 offset0:28 offset1:30
	v_add_u32_e32 v11, 0x2000, v11
	s_or_b64 s[40:41], vcc, s[40:41]
	v_mov_b32_e32 v12, s19
	s_andn2_b64 exec, exec, s[40:41]
	s_cbranch_execnz .LBB2_36
; %bb.37:
	s_or_b64 exec, exec, s[40:41]
.LBB2_38:
	s_or_b64 exec, exec, s[12:13]
	v_and_b32_e32 v9, 7, v9
	v_cmp_ne_u32_e32 vcc, 0, v9
	s_and_saveexec_b64 s[12:13], vcc
	s_cbranch_execz .LBB2_41
; %bb.39:
	v_lshlrev_b32_e32 v10, 9, v12
	s_movk_i32 s19, 0x110
	v_add3_u32 v10, v10, v4, s19
	s_mov_b64 s[40:41], 0
.LBB2_40:                               ; =>This Inner Loop Header: Depth=1
	ds_read2st64_b32 v[12:13], v10 offset1:2
	v_add_u32_e32 v9, -1, v9
	v_cmp_eq_u32_e32 vcc, 0, v9
	s_or_b64 s[40:41], vcc, s[40:41]
	s_waitcnt lgkmcnt(0)
	v_pk_mul_f32 v[12:13], v[2:3], v[12:13]
	ds_write2st64_b32 v10, v12, v13 offset1:2
	v_add_u32_e32 v10, 0x400, v10
	s_andn2_b64 exec, exec, s[40:41]
	s_cbranch_execnz .LBB2_40
.LBB2_41:
	s_or_b64 exec, exec, s[12:13]
	v_add_u32_e32 v8, 1, v8
	v_and_b32_e32 v9, 0x3fffffe, v8
	v_cmp_ne_u32_e32 vcc, v8, v9
	v_lshl_add_u32 v3, v9, 7, v0
	s_orn2_b64 s[12:13], vcc, exec
.LBB2_42:
	s_or_b64 exec, exec, s[10:11]
	s_and_b64 exec, exec, s[12:13]
	s_cbranch_execz .LBB2_45
; %bb.43:
	v_mov_b32_e32 v8, 0x110
	v_lshl_add_u32 v8, v3, 2, v8
	s_mov_b64 s[10:11], 0
.LBB2_44:                               ; =>This Inner Loop Header: Depth=1
	ds_read_b32 v9, v8
	v_add_u32_e32 v3, 0x80, v3
	v_cmp_le_i32_e32 vcc, s7, v3
	s_or_b64 s[10:11], vcc, s[10:11]
	s_waitcnt lgkmcnt(0)
	v_mul_f32_e32 v9, v2, v9
	ds_write_b32 v8, v9
	v_add_u32_e32 v8, 0x200, v8
	s_andn2_b64 exec, exec, s[10:11]
	s_cbranch_execnz .LBB2_44
.LBB2_45:
	s_or_b64 exec, exec, s[4:5]
	s_mul_i32 s4, s15, s30
	v_cmp_eq_u32_e32 vcc, 0, v0
	s_mul_i32 s4, s4, s9
	s_waitcnt lgkmcnt(0)
	s_barrier
	s_and_saveexec_b64 s[10:11], vcc
	s_cbranch_execz .LBB2_47
; %bb.46:
	s_ashr_i32 s5, s4, 31
	s_lshl_b64 s[12:13], s[4:5], 2
	s_add_u32 s5, s26, s12
	s_mul_i32 s6, s15, s6
	s_addc_u32 s9, s27, s13
	s_ashr_i32 s7, s6, 31
	s_lshl_b64 s[6:7], s[6:7], 2
	s_add_u32 s5, s5, s6
	s_addc_u32 s19, s9, s7
	s_ashr_i32 s9, s8, 31
	s_lshl_b64 s[8:9], s[8:9], 2
	s_add_u32 s26, s5, s8
	s_addc_u32 s27, s19, s9
	s_add_u32 s5, s24, s12
	s_addc_u32 s12, s25, s13
	;; [unrolled: 2-line block ×3, first 2 shown]
	s_add_u32 s6, s5, s8
	v_mov_b32_e32 v2, 0
	s_addc_u32 s7, s7, s9
	global_store_dword v2, v6, s[26:27]
	global_store_dword v2, v7, s[6:7]
.LBB2_47:
	s_or_b64 exec, exec, s[10:11]
	v_mov_b32_e32 v17, 0
	v_and_b32_e32 v23, 1, v0
	v_mov_b32_e32 v16, 0
	s_and_saveexec_b64 s[6:7], s[2:3]
	s_cbranch_execz .LBB2_57
; %bb.48:
	s_ashr_i32 s19, s18, 31
	s_sub_i32 s5, s51, s21
	s_lshl_b64 s[2:3], s[18:19], 2
	s_add_u32 s2, s38, s2
	s_addc_u32 s3, s39, s3
	s_abs_i32 s18, s22
	v_cvt_f32_u32_e32 v2, s18
	v_lshlrev_b32_e32 v3, 4, v0
	s_sub_i32 s8, 0, s18
	v_and_b32_e32 v3, 0x3f0, v3
	v_rcp_iflag_f32_e32 v2, v2
	v_and_b32_e32 v24, 4, v4
	s_add_i32 s50, s50, -1
	v_mov_b32_e32 v4, s3
	v_mul_f32_e32 v2, 0x4f7ffffe, v2
	v_cvt_u32_f32_e32 v2, v2
	v_add_co_u32_e32 v26, vcc, s2, v3
	s_lshl_b64 s[2:3], s[36:37], 2
	v_mul_lo_u32 v6, s8, v2
	v_mul_hi_u32 v6, v2, v6
	v_add_u32_e32 v25, v2, v6
	v_addc_co_u32_e32 v27, vcc, 0, v4, vcc
	v_lshlrev_b64 v[2:3], 2, v[14:15]
	s_add_u32 s2, s34, s2
	s_addc_u32 s3, s35, s3
	v_add_co_u32_e32 v18, vcc, s2, v2
	v_lshlrev_b32_e32 v2, 4, v23
	v_mov_b32_e32 v4, s3
	v_lshl_or_b32 v2, v5, 5, v2
	v_mov_b32_e32 v17, 0
	v_addc_co_u32_e32 v19, vcc, v4, v3, vcc
	v_add_u32_e32 v15, 0x110, v2
	s_mov_b64 s[8:9], 0
	v_mov_b32_e32 v16, v17
	s_branch .LBB2_51
.LBB2_49:                               ;   in Loop: Header=BB2_51 Depth=1
	s_or_b64 exec, exec, s[2:3]
	s_waitcnt vmcnt(1) lgkmcnt(0)
	v_mul_f32_e32 v7, v3, v7
	s_waitcnt vmcnt(0)
	v_mul_f32_e32 v3, v3, v11
	v_fmac_f32_e32 v7, v2, v6
	v_fmac_f32_e32 v3, v2, v10
	;; [unrolled: 1-line block ×6, first 2 shown]
	v_add_f32_e32 v16, v16, v7
	v_add_f32_e32 v17, v17, v3
.LBB2_50:                               ;   in Loop: Header=BB2_51 Depth=1
	s_or_b64 exec, exec, s[10:11]
	v_add_co_u32_e32 v18, vcc, 8, v18
	v_add_u32_e32 v14, 2, v14
	v_addc_co_u32_e32 v19, vcc, 0, v19, vcc
	v_cmp_le_i32_e32 vcc, s20, v14
	v_add_u32_e32 v20, 16, v20
	s_or_b64 s[8:9], vcc, s[8:9]
	v_add_u32_e32 v15, 64, v15
	s_andn2_b64 exec, exec, s[8:9]
	s_cbranch_execz .LBB2_56
.LBB2_51:                               ; =>This Inner Loop Header: Depth=1
	v_sub_u32_e32 v3, 0, v20
	v_max_i32_e32 v3, v20, v3
	v_mul_hi_u32 v4, v3, s48
	v_mul_lo_u32 v5, v4, s33
	v_sub_u32_e32 v3, v3, v5
	v_add_u32_e32 v5, 1, v4
	v_cmp_le_u32_e32 vcc, s33, v3
	v_cndmask_b32_e32 v4, v4, v5, vcc
	v_subrev_u32_e32 v5, s33, v3
	v_cndmask_b32_e32 v3, v3, v5, vcc
	v_ashrrev_i32_e32 v2, 31, v20
	v_add_u32_e32 v5, 1, v4
	v_cmp_le_u32_e32 vcc, s33, v3
	v_xor_b32_e32 v2, s23, v2
	v_cndmask_b32_e32 v3, v4, v5, vcc
	v_xor_b32_e32 v3, v3, v2
	v_sub_u32_e32 v2, v3, v2
	v_add_u32_e32 v3, s49, v2
	v_sub_u32_e32 v5, 0, v3
	v_ashrrev_i32_e32 v4, 31, v3
	v_max_i32_e32 v3, v3, v5
	v_mul_hi_u32 v5, v3, v25
	v_mul_lo_u32 v5, v5, s18
	v_sub_u32_e32 v3, v3, v5
	v_subrev_u32_e32 v5, s18, v3
	v_cmp_le_u32_e32 vcc, s18, v3
	v_cndmask_b32_e32 v3, v3, v5, vcc
	v_subrev_u32_e32 v5, s18, v3
	v_cmp_le_u32_e32 vcc, s18, v3
	v_cndmask_b32_e32 v3, v3, v5, vcc
	v_xor_b32_e32 v3, v3, v4
	v_sub_u32_e32 v3, v3, v4
	v_cmp_eq_u32_e32 vcc, 0, v3
	v_cmp_lt_i32_e64 s[2:3], s5, v2
	s_or_b64 s[2:3], vcc, s[2:3]
	s_and_saveexec_b64 s[10:11], s[2:3]
	s_cbranch_execz .LBB2_50
; %bb.52:                               ;   in Loop: Header=BB2_51 Depth=1
	global_load_dword v2, v[18:19], off
	v_add_u32_e32 v28, v24, v20
	v_add_u32_e32 v31, 1, v28
	;; [unrolled: 1-line block ×4, first 2 shown]
	s_waitcnt vmcnt(0)
	v_mad_i64_i32 v[2:3], s[2:3], v2, s17, 0
	v_lshlrev_b64 v[2:3], 2, v[2:3]
	v_add_co_u32_e32 v10, vcc, v26, v2
	v_addc_co_u32_e32 v11, vcc, v27, v3, vcc
	global_load_dwordx4 v[6:9], v[10:11], off
	ds_read_b128 v[2:5], v15
	v_cmp_eq_u32_e32 vcc, s50, v14
	s_and_saveexec_b64 s[12:13], vcc
	s_cbranch_execz .LBB2_54
; %bb.53:                               ;   in Loop: Header=BB2_51 Depth=1
	v_cmp_gt_i32_e64 s[2:3], s31, v28
	s_waitcnt vmcnt(0)
	v_cndmask_b32_e64 v6, 0, v6, s[2:3]
	v_cmp_gt_i32_e64 s[2:3], s31, v31
	v_cndmask_b32_e64 v7, 0, v7, s[2:3]
	v_cmp_gt_i32_e64 s[2:3], s31, v30
	v_cndmask_b32_e64 v8, 0, v8, s[2:3]
	v_cmp_gt_i32_e64 s[2:3], s31, v29
	v_cndmask_b32_e64 v9, 0, v9, s[2:3]
.LBB2_54:                               ;   in Loop: Header=BB2_51 Depth=1
	s_or_b64 exec, exec, s[12:13]
	global_load_dwordx4 v[10:13], v[10:11], off offset:1024
	s_and_saveexec_b64 s[2:3], vcc
	s_cbranch_execz .LBB2_49
; %bb.55:                               ;   in Loop: Header=BB2_51 Depth=1
	v_cmp_gt_i32_e32 vcc, s31, v28
	s_waitcnt vmcnt(0)
	v_cndmask_b32_e32 v10, 0, v10, vcc
	v_cmp_gt_i32_e32 vcc, s31, v31
	v_cndmask_b32_e32 v11, 0, v11, vcc
	v_cmp_gt_i32_e32 vcc, s31, v30
	;; [unrolled: 2-line block ×3, first 2 shown]
	v_cndmask_b32_e32 v13, 0, v13, vcc
	s_branch .LBB2_49
.LBB2_56:
	s_or_b64 exec, exec, s[8:9]
.LBB2_57:
	s_or_b64 exec, exec, s[6:7]
	ds_bpermute_b32 v2, v22, v16
	ds_bpermute_b32 v3, v22, v17
	v_and_b32_e32 v4, 0x3c1, v0
	v_cmp_eq_u32_e32 vcc, 64, v4
	s_waitcnt lgkmcnt(0)
	s_barrier
	v_pk_add_f32 v[2:3], v[16:17], v[2:3]
	s_and_saveexec_b64 s[2:3], vcc
	s_cbranch_execz .LBB2_59
; %bb.58:
	v_mov_b32_e32 v5, 0x110
	v_lshl_add_u32 v5, v21, 1, v5
	ds_write2_b32 v5, v2, v3 offset1:32
.LBB2_59:
	s_or_b64 exec, exec, s[2:3]
	s_waitcnt lgkmcnt(0)
	s_barrier
	s_and_saveexec_b64 s[2:3], s[0:1]
	s_cbranch_execz .LBB2_65
; %bb.60:
	v_cmp_eq_u32_e32 vcc, 0, v23
	s_and_saveexec_b64 s[0:1], vcc
	s_cbranch_execz .LBB2_62
; %bb.61:
	v_mov_b32_e32 v5, 0x110
	v_lshl_add_u32 v5, v1, 2, v5
	ds_read_b32 v5, v5
	s_waitcnt lgkmcnt(0)
	v_add_f32_e32 v2, v2, v5
.LBB2_62:
	s_or_b64 exec, exec, s[0:1]
	s_and_saveexec_b64 s[0:1], vcc
	s_cbranch_execz .LBB2_64
; %bb.63:
	v_mov_b32_e32 v5, 0x110
	v_lshl_add_u32 v1, v1, 2, v5
	ds_read_b32 v1, v1 offset:128
	s_waitcnt lgkmcnt(0)
	v_add_f32_e32 v3, v3, v1
.LBB2_64:
	s_or_b64 exec, exec, s[0:1]
.LBB2_65:
	s_or_b64 exec, exec, s[2:3]
	v_cmp_eq_u32_e32 vcc, 0, v4
	s_barrier
	s_and_saveexec_b64 s[0:1], vcc
	s_cbranch_execz .LBB2_67
; %bb.66:
	s_lshl_b32 s0, s4, 6
	s_ashr_i32 s1, s0, 31
	s_lshl_b64 s[0:1], s[0:1], 2
	s_add_u32 s2, s28, s0
	s_mul_i32 s0, s15, s14
	s_addc_u32 s3, s29, s1
	s_ashr_i32 s1, s0, 31
	s_lshl_b64 s[0:1], s[0:1], 2
	s_add_u32 s2, s2, s0
	s_addc_u32 s3, s3, s1
	s_ashr_i32 s17, s16, 31
	s_lshl_b64 s[0:1], s[16:17], 2
	s_add_u32 s0, s2, s0
	s_addc_u32 s1, s3, s1
	v_lshlrev_b32_e32 v0, 1, v0
	global_store_dword v0, v2, s[0:1]
	global_store_dword v0, v3, s[0:1] offset:128
.LBB2_67:
	s_endpgm
	.section	.rodata,"a",@progbits
	.p2align	6, 0x0
	.amdhsa_kernel _ZN4vllm25paged_attention_v2_kernelIffLi64ELi8ELi128ELNS_18Fp8KVCacheDataTypeE0ELb1ELi512EEEvPfS2_PT_PKS3_PKT0_S9_ifPKiSB_iPKfiiiSD_SD_iiiii
		.amdhsa_group_segment_fixed_size 272
		.amdhsa_private_segment_fixed_size 0
		.amdhsa_kernarg_size 400
		.amdhsa_user_sgpr_count 6
		.amdhsa_user_sgpr_private_segment_buffer 1
		.amdhsa_user_sgpr_dispatch_ptr 0
		.amdhsa_user_sgpr_queue_ptr 0
		.amdhsa_user_sgpr_kernarg_segment_ptr 1
		.amdhsa_user_sgpr_dispatch_id 0
		.amdhsa_user_sgpr_flat_scratch_init 0
		.amdhsa_user_sgpr_kernarg_preload_length 0
		.amdhsa_user_sgpr_kernarg_preload_offset 0
		.amdhsa_user_sgpr_private_segment_size 0
		.amdhsa_uses_dynamic_stack 0
		.amdhsa_system_sgpr_private_segment_wavefront_offset 0
		.amdhsa_system_sgpr_workgroup_id_x 1
		.amdhsa_system_sgpr_workgroup_id_y 1
		.amdhsa_system_sgpr_workgroup_id_z 1
		.amdhsa_system_sgpr_workgroup_info 0
		.amdhsa_system_vgpr_workitem_id 0
		.amdhsa_next_free_vgpr 43
		.amdhsa_next_free_sgpr 54
		.amdhsa_accum_offset 44
		.amdhsa_reserve_vcc 1
		.amdhsa_reserve_flat_scratch 0
		.amdhsa_float_round_mode_32 0
		.amdhsa_float_round_mode_16_64 0
		.amdhsa_float_denorm_mode_32 3
		.amdhsa_float_denorm_mode_16_64 3
		.amdhsa_dx10_clamp 1
		.amdhsa_ieee_mode 1
		.amdhsa_fp16_overflow 0
		.amdhsa_tg_split 0
		.amdhsa_exception_fp_ieee_invalid_op 0
		.amdhsa_exception_fp_denorm_src 0
		.amdhsa_exception_fp_ieee_div_zero 0
		.amdhsa_exception_fp_ieee_overflow 0
		.amdhsa_exception_fp_ieee_underflow 0
		.amdhsa_exception_fp_ieee_inexact 0
		.amdhsa_exception_int_div_zero 0
	.end_amdhsa_kernel
	.section	.text._ZN4vllm25paged_attention_v2_kernelIffLi64ELi8ELi128ELNS_18Fp8KVCacheDataTypeE0ELb1ELi512EEEvPfS2_PT_PKS3_PKT0_S9_ifPKiSB_iPKfiiiSD_SD_iiiii,"axG",@progbits,_ZN4vllm25paged_attention_v2_kernelIffLi64ELi8ELi128ELNS_18Fp8KVCacheDataTypeE0ELb1ELi512EEEvPfS2_PT_PKS3_PKT0_S9_ifPKiSB_iPKfiiiSD_SD_iiiii,comdat
.Lfunc_end2:
	.size	_ZN4vllm25paged_attention_v2_kernelIffLi64ELi8ELi128ELNS_18Fp8KVCacheDataTypeE0ELb1ELi512EEEvPfS2_PT_PKS3_PKT0_S9_ifPKiSB_iPKfiiiSD_SD_iiiii, .Lfunc_end2-_ZN4vllm25paged_attention_v2_kernelIffLi64ELi8ELi128ELNS_18Fp8KVCacheDataTypeE0ELb1ELi512EEEvPfS2_PT_PKS3_PKT0_S9_ifPKiSB_iPKfiiiSD_SD_iiiii
                                        ; -- End function
	.section	.AMDGPU.csdata,"",@progbits
; Kernel info:
; codeLenInByte = 4228
; NumSgprs: 58
; NumVgprs: 43
; NumAgprs: 0
; TotalNumVgprs: 43
; ScratchSize: 0
; MemoryBound: 0
; FloatMode: 240
; IeeeMode: 1
; LDSByteSize: 272 bytes/workgroup (compile time only)
; SGPRBlocks: 7
; VGPRBlocks: 5
; NumSGPRsForWavesPerEU: 58
; NumVGPRsForWavesPerEU: 43
; AccumOffset: 44
; Occupancy: 8
; WaveLimiterHint : 1
; COMPUTE_PGM_RSRC2:SCRATCH_EN: 0
; COMPUTE_PGM_RSRC2:USER_SGPR: 6
; COMPUTE_PGM_RSRC2:TRAP_HANDLER: 0
; COMPUTE_PGM_RSRC2:TGID_X_EN: 1
; COMPUTE_PGM_RSRC2:TGID_Y_EN: 1
; COMPUTE_PGM_RSRC2:TGID_Z_EN: 1
; COMPUTE_PGM_RSRC2:TIDIG_COMP_CNT: 0
; COMPUTE_PGM_RSRC3_GFX90A:ACCUM_OFFSET: 10
; COMPUTE_PGM_RSRC3_GFX90A:TG_SPLIT: 0
	.section	.text._ZN4vllm32paged_attention_v2_reduce_kernelIfLi64ELi128ELi512EEEvPT_PKfS4_PKS1_PKii,"axG",@progbits,_ZN4vllm32paged_attention_v2_reduce_kernelIfLi64ELi128ELi512EEEvPT_PKfS4_PKS1_PKii,comdat
	.protected	_ZN4vllm32paged_attention_v2_reduce_kernelIfLi64ELi128ELi512EEEvPT_PKfS4_PKS1_PKii ; -- Begin function _ZN4vllm32paged_attention_v2_reduce_kernelIfLi64ELi128ELi512EEEvPT_PKfS4_PKS1_PKii
	.globl	_ZN4vllm32paged_attention_v2_reduce_kernelIfLi64ELi128ELi512EEEvPT_PKfS4_PKS1_PKii
	.p2align	8
	.type	_ZN4vllm32paged_attention_v2_reduce_kernelIfLi64ELi128ELi512EEEvPT_PKfS4_PKS1_PKii,@function
_ZN4vllm32paged_attention_v2_reduce_kernelIfLi64ELi128ELi512EEEvPT_PKfS4_PKS1_PKii: ; @_ZN4vllm32paged_attention_v2_reduce_kernelIfLi64ELi128ELi512EEEvPT_PKfS4_PKS1_PKii
; %bb.0:
	s_load_dwordx4 s[8:11], s[4:5], 0x18
	s_add_u32 s12, s4, 48
	s_mov_b32 s14, s7
	s_addc_u32 s13, s5, 0
	s_ashr_i32 s15, s7, 31
	s_lshl_b64 s[0:1], s[14:15], 2
	s_waitcnt lgkmcnt(0)
	s_add_u32 s0, s10, s0
	s_addc_u32 s1, s11, s1
	s_load_dword s24, s[0:1], 0x0
	s_load_dwordx2 s[10:11], s[4:5], 0x0
	s_load_dword s7, s[4:5], 0x28
	s_load_dword s15, s[4:5], 0x30
	s_waitcnt lgkmcnt(0)
	s_add_i32 s0, s24, -1
	s_cmpk_gt_u32 s0, 0x1ff
	s_mov_b64 s[0:1], -1
	s_cbranch_scc0 .LBB3_25
; %bb.1:
	s_add_i32 s0, s24, 0x1ff
	s_load_dwordx2 s[20:21], s[4:5], 0x8
	s_ashr_i32 s1, s0, 31
	s_lshr_b32 s1, s1, 23
	s_add_i32 s0, s0, s1
	s_mul_i32 s22, s15, s14
	s_ashr_i32 s23, s0, 9
	s_mul_i32 s16, s22, s7
	s_mul_i32 s18, s6, s7
	s_ashr_i32 s17, s16, 31
	s_ashr_i32 s19, s18, 31
	v_cmp_gt_i32_e32 vcc, s23, v0
	v_mov_b32_e32 v4, 0xff7fffff
	s_and_saveexec_b64 s[2:3], vcc
	s_cbranch_execz .LBB3_5
; %bb.2:
	s_load_dword s25, s[12:13], 0xc
	s_load_dwordx2 s[0:1], s[4:5], 0x10
	s_lshl_b64 s[4:5], s[16:17], 2
	s_lshl_b64 s[26:27], s[18:19], 2
	v_lshlrev_b32_e32 v1, 2, v0
	s_waitcnt lgkmcnt(0)
	s_and_b32 s25, s25, 0xffff
	s_add_u32 s4, s4, s26
	s_addc_u32 s5, s5, s27
	s_add_u32 s0, s0, s4
	s_addc_u32 s1, s1, s5
	s_mov_b32 s28, 0
	v_mov_b32_e32 v3, s1
	v_add_co_u32_e64 v2, s[0:1], s0, v1
	v_addc_co_u32_e64 v3, s[0:1], 0, v3, s[0:1]
	s_lshl_b32 s26, s25, 2
	v_add_u32_e32 v1, 16, v1
	s_mov_b64 s[4:5], 0
	v_mov_b32_e32 v4, 0xff7fffff
	v_mov_b32_e32 v5, s28
	;; [unrolled: 1-line block ×3, first 2 shown]
.LBB3_3:                                ; =>This Inner Loop Header: Depth=1
	global_load_dword v7, v[2:3], off
	v_add_co_u32_e64 v2, s[0:1], s26, v2
	v_add_u32_e32 v6, s25, v6
	v_addc_co_u32_e64 v3, s[0:1], v3, v5, s[0:1]
	v_max_f32_e32 v4, v4, v4
	v_cmp_le_i32_e64 s[0:1], s23, v6
	s_or_b64 s[4:5], s[0:1], s[4:5]
	s_waitcnt vmcnt(0)
	ds_write_b32 v1, v7
	v_max_f32_e32 v7, v7, v7
	v_add_u32_e32 v1, s26, v1
	v_max_f32_e32 v4, v4, v7
	s_andn2_b64 exec, exec, s[4:5]
	s_cbranch_execnz .LBB3_3
; %bb.4:
	s_or_b64 exec, exec, s[4:5]
.LBB3_5:
	s_or_b64 exec, exec, s[2:3]
	v_mbcnt_lo_u32_b32 v1, -1, 0
	v_mbcnt_hi_u32_b32 v2, -1, v1
	v_and_b32_e32 v1, 64, v2
	v_add_u32_e32 v5, 64, v1
	v_xor_b32_e32 v1, 32, v2
	v_cmp_lt_i32_e64 s[0:1], v1, v5
	v_cndmask_b32_e64 v1, v2, v1, s[0:1]
	v_lshlrev_b32_e32 v1, 2, v1
	ds_bpermute_b32 v3, v1, v4
	v_xor_b32_e32 v6, 16, v2
	v_max_f32_e32 v4, v4, v4
	v_cmp_lt_i32_e64 s[0:1], v6, v5
	v_xor_b32_e32 v7, 8, v2
	s_waitcnt lgkmcnt(0)
	v_max_f32_e32 v3, v3, v3
	v_max_f32_e32 v3, v4, v3
	v_cndmask_b32_e64 v4, v2, v6, s[0:1]
	v_lshlrev_b32_e32 v4, 2, v4
	ds_bpermute_b32 v6, v4, v3
	v_cmp_lt_i32_e64 s[0:1], v7, v5
	v_xor_b32_e32 v8, 4, v2
	v_xor_b32_e32 v9, 2, v2
	v_lshrrev_b32_e32 v12, 6, v0
	s_waitcnt lgkmcnt(0)
	v_max_f32_e32 v6, v6, v6
	v_max_f32_e32 v3, v3, v6
	v_cndmask_b32_e64 v6, v2, v7, s[0:1]
	v_lshlrev_b32_e32 v6, 2, v6
	ds_bpermute_b32 v7, v6, v3
	v_cmp_lt_i32_e64 s[0:1], v8, v5
	s_waitcnt lgkmcnt(0)
	s_barrier
	v_max_f32_e32 v7, v7, v7
	v_max_f32_e32 v3, v3, v7
	v_cndmask_b32_e64 v7, v2, v8, s[0:1]
	v_lshlrev_b32_e32 v7, 2, v7
	ds_bpermute_b32 v8, v7, v3
	v_cmp_lt_i32_e64 s[0:1], v9, v5
	s_waitcnt lgkmcnt(0)
	v_max_f32_e32 v8, v8, v8
	v_max_f32_e32 v10, v3, v8
	v_cndmask_b32_e64 v3, v2, v9, s[0:1]
	v_lshlrev_b32_e32 v8, 2, v3
	ds_bpermute_b32 v9, v8, v10
	v_and_b32_e32 v3, 63, v0
	s_waitcnt lgkmcnt(0)
	v_max_f32_e32 v9, v9, v9
	v_max_f32_e32 v10, v10, v9
	v_xor_b32_e32 v9, 1, v2
	v_cmp_lt_i32_e64 s[0:1], v9, v5
	v_cndmask_b32_e64 v5, v2, v9, s[0:1]
	v_lshlrev_b32_e32 v5, 2, v5
	ds_bpermute_b32 v11, v5, v10
	v_cmp_eq_u32_e64 s[0:1], 0, v3
	v_lshlrev_b32_e32 v9, 2, v12
	s_and_saveexec_b64 s[2:3], s[0:1]
	s_cbranch_execz .LBB3_7
; %bb.6:
	s_waitcnt lgkmcnt(0)
	v_max_f32_e32 v11, v11, v11
	v_max_f32_e32 v10, v10, v10
	;; [unrolled: 1-line block ×3, first 2 shown]
	ds_write_b32 v9, v10
.LBB3_7:
	s_or_b64 exec, exec, s[2:3]
	v_cmp_gt_u32_e64 s[2:3], 2, v3
	s_waitcnt lgkmcnt(0)
	v_mov_b32_e32 v11, 0xff7fffff
	v_lshlrev_b32_e32 v10, 2, v3
	s_barrier
	s_and_saveexec_b64 s[4:5], s[2:3]
	s_cbranch_execz .LBB3_9
; %bb.8:
	ds_read_b32 v11, v10
.LBB3_9:
	s_or_b64 exec, exec, s[4:5]
	s_waitcnt lgkmcnt(0)
	ds_bpermute_b32 v3, v5, v11
	v_max_f32_e32 v11, v11, v11
	v_lshlrev_b32_e32 v2, 2, v2
	s_lshl_b32 s25, s23, 2
	v_mov_b32_e32 v13, 0
	s_waitcnt lgkmcnt(0)
	v_max_f32_e32 v3, v3, v3
	v_max_f32_e32 v3, v11, v3
	v_and_b32_e32 v11, 0x100, v2
	ds_bpermute_b32 v12, v11, v3
	s_and_saveexec_b64 s[4:5], vcc
	s_cbranch_execz .LBB3_13
; %bb.10:
	s_load_dword s30, s[12:13], 0xc
	s_lshl_b64 s[26:27], s[16:17], 2
	s_lshl_b64 s[28:29], s[18:19], 2
	v_lshlrev_b32_e32 v13, 2, v0
	s_mov_b32 s31, 0
	s_waitcnt lgkmcnt(0)
	s_and_b32 s17, s30, 0xffff
	s_add_u32 s19, s26, s28
	s_addc_u32 s26, s27, s29
	s_add_u32 s19, s20, s19
	s_addc_u32 s20, s21, s26
	v_mov_b32_e32 v3, s20
	v_add_co_u32_e32 v2, vcc, s19, v13
	v_addc_co_u32_e32 v3, vcc, 0, v3, vcc
	s_lshl_b32 s19, s17, 2
	v_add_u32_e32 v14, 16, v13
	s_mov_b64 s[20:21], 0
	v_mov_b32_e32 v13, 0
	s_mov_b32 s26, 0x3fb8aa3b
	s_mov_b32 s27, 0xc2ce8ed0
	;; [unrolled: 1-line block ×3, first 2 shown]
	v_mov_b32_e32 v15, 0x7f800000
	v_mov_b32_e32 v16, s31
	;; [unrolled: 1-line block ×3, first 2 shown]
.LBB3_11:                               ; =>This Inner Loop Header: Depth=1
	global_load_dword v18, v[2:3], off
	ds_read_b32 v19, v14
	v_add_co_u32_e32 v2, vcc, s19, v2
	v_add_u32_e32 v17, s17, v17
	v_addc_co_u32_e32 v3, vcc, v3, v16, vcc
	s_waitcnt lgkmcnt(0)
	v_sub_f32_e32 v19, v19, v12
	v_mul_f32_e32 v21, 0x3fb8aa3b, v19
	v_fma_f32 v22, v19, s26, -v21
	v_rndne_f32_e32 v23, v21
	v_fmac_f32_e32 v22, 0x32a5705f, v19
	v_sub_f32_e32 v21, v21, v23
	v_add_f32_e32 v21, v21, v22
	v_cvt_i32_f32_e32 v23, v23
	v_exp_f32_e32 v21, v21
	v_cmp_le_i32_e32 vcc, s23, v17
	s_or_b64 s[20:21], vcc, s[20:21]
	v_cmp_ngt_f32_e32 vcc, s27, v19
	v_ldexp_f32 v21, v21, v23
	v_cndmask_b32_e32 v21, 0, v21, vcc
	v_cmp_nlt_f32_e32 vcc, s28, v19
	v_cndmask_b32_e32 v19, v15, v21, vcc
	v_add_u32_e32 v20, s25, v14
	v_add_u32_e32 v14, s19, v14
	s_waitcnt vmcnt(0)
	v_mul_f32_e32 v21, v18, v19
	v_fmac_f32_e32 v13, v18, v19
	ds_write_b32 v20, v21
	s_andn2_b64 exec, exec, s[20:21]
	s_cbranch_execnz .LBB3_11
; %bb.12:
	s_or_b64 exec, exec, s[20:21]
.LBB3_13:
	s_or_b64 exec, exec, s[4:5]
	ds_bpermute_b32 v1, v1, v13
	s_waitcnt lgkmcnt(0)
	s_barrier
	v_add_f32_e32 v1, v13, v1
	ds_bpermute_b32 v2, v4, v1
	s_waitcnt lgkmcnt(0)
	v_add_f32_e32 v1, v1, v2
	ds_bpermute_b32 v2, v6, v1
	s_waitcnt lgkmcnt(0)
	;; [unrolled: 3-line block ×5, first 2 shown]
	v_add_f32_e32 v1, v1, v2
	s_and_saveexec_b64 s[4:5], s[0:1]
	s_cbranch_execz .LBB3_15
; %bb.14:
	ds_write_b32 v9, v1 offset:8
.LBB3_15:
	s_or_b64 exec, exec, s[4:5]
	s_waitcnt lgkmcnt(0)
	s_barrier
	s_and_saveexec_b64 s[0:1], s[2:3]
	s_cbranch_execz .LBB3_17
; %bb.16:
	ds_read_b32 v1, v10 offset:8
.LBB3_17:
	s_or_b64 exec, exec, s[0:1]
	s_waitcnt lgkmcnt(0)
	ds_bpermute_b32 v2, v5, v1
	v_cmp_gt_u32_e32 vcc, 64, v0
	s_waitcnt lgkmcnt(0)
	v_add_f32_e32 v1, v1, v2
	ds_bpermute_b32 v2, v11, v1
	s_and_saveexec_b64 s[0:1], vcc
	s_cbranch_execz .LBB3_24
; %bb.18:
	s_cmp_gt_i32 s24, 0
	s_mov_b32 s4, 0
	s_cbranch_scc1 .LBB3_20
; %bb.19:
	v_mov_b32_e32 v1, 0
	v_mov_b32_e32 v4, s4
	s_cbranch_execz .LBB3_21
	s_branch .LBB3_23
.LBB3_20:
                                        ; implicit-def: $sgpr4
	v_mov_b32_e32 v4, s4
.LBB3_21:
	s_waitcnt lgkmcnt(0)
	v_add_f32_e32 v1, 0x358637bd, v2
	v_div_scale_f32 v2, s[2:3], v1, v1, 1.0
	v_rcp_f32_e32 v3, v2
	s_lshl_b32 s4, s16, 6
	s_lshl_b32 s16, s18, 6
	s_ashr_i32 s5, s4, 31
	v_fma_f32 v4, -v2, v3, 1.0
	v_fmac_f32_e32 v3, v4, v3
	v_div_scale_f32 v4, vcc, 1.0, v1, 1.0
	v_mul_f32_e32 v5, v4, v3
	s_ashr_i32 s17, s16, 31
	s_max_i32 s2, s23, 1
	v_fma_f32 v6, -v2, v5, v4
	s_add_i32 s3, s25, 16
	s_lshl_b64 s[4:5], s[4:5], 2
	s_lshl_b64 s[16:17], s[16:17], 2
	v_fmac_f32_e32 v5, v6, v3
	s_add_u32 s4, s4, s16
	v_fma_f32 v2, -v2, v5, v4
	s_addc_u32 s5, s5, s17
	v_div_fmas_f32 v2, v2, v3, v5
	s_add_u32 s4, s8, s4
	v_div_fixup_f32 v5, v2, v1, 1.0
	v_lshlrev_b32_e32 v2, 2, v0
	s_addc_u32 s5, s9, s5
	v_mov_b32_e32 v1, 0
	v_mov_b32_e32 v3, s5
	v_add_co_u32_e32 v2, vcc, s4, v2
	v_addc_co_u32_e32 v3, vcc, 0, v3, vcc
	v_mov_b32_e32 v4, v1
.LBB3_22:                               ; =>This Inner Loop Header: Depth=1
	global_load_dword v6, v[2:3], off
	v_mov_b32_e32 v7, s3
	ds_read_b32 v7, v7
	s_add_i32 s2, s2, -1
	v_add_co_u32_e32 v2, vcc, 0x100, v2
	s_add_i32 s3, s3, 4
	v_addc_co_u32_e32 v3, vcc, 0, v3, vcc
	s_cmp_eq_u32 s2, 0
	s_waitcnt vmcnt(0) lgkmcnt(0)
	v_mul_f32_e32 v6, v6, v7
	v_fmac_f32_e32 v4, v5, v6
	s_cbranch_scc0 .LBB3_22
.LBB3_23:
	s_lshl_b32 s2, s22, 6
	s_ashr_i32 s3, s2, 31
	s_lshl_b64 s[2:3], s[2:3], 2
	s_add_u32 s4, s10, s2
	s_addc_u32 s5, s11, s3
	s_lshl_b32 s2, s6, 6
	s_ashr_i32 s3, s2, 31
	s_lshl_b64 s[2:3], s[2:3], 2
	s_add_u32 s2, s4, s2
	s_addc_u32 s3, s5, s3
	s_waitcnt lgkmcnt(0)
	v_lshlrev_b64 v[2:3], 2, v[0:1]
	v_mov_b32_e32 v1, s3
	v_add_co_u32_e32 v2, vcc, s2, v2
	v_addc_co_u32_e32 v3, vcc, v1, v3, vcc
	global_store_dword v[2:3], v4, off
.LBB3_24:
	s_or_b64 exec, exec, s[0:1]
	s_mov_b64 s[0:1], 0
.LBB3_25:
	s_and_b64 vcc, exec, s[0:1]
	s_cbranch_vccz .LBB3_34
; %bb.26:
	v_cmp_gt_u32_e32 vcc, 64, v0
	s_and_saveexec_b64 s[0:1], vcc
	s_cbranch_execz .LBB3_34
; %bb.27:
	s_mul_i32 s15, s15, s14
	s_lshl_b32 s0, s15, 6
	s_ashr_i32 s1, s0, 31
	s_lshl_b64 s[0:1], s[0:1], 2
	s_add_u32 s2, s10, s0
	s_addc_u32 s3, s11, s1
	s_lshl_b32 s0, s6, 6
	s_ashr_i32 s1, s0, 31
	s_lshl_b64 s[0:1], s[0:1], 2
	s_add_u32 s4, s2, s0
	s_mul_i32 s0, s7, s15
	s_addc_u32 s10, s3, s1
	s_lshl_b32 s0, s0, 6
	s_ashr_i32 s1, s0, 31
	s_lshl_b64 s[0:1], s[0:1], 2
	s_add_u32 s2, s8, s0
	s_mul_i32 s6, s6, s7
	s_addc_u32 s3, s9, s1
	s_lshl_b32 s0, s6, 6
	s_load_dword s6, s[12:13], 0xc
	s_ashr_i32 s1, s0, 31
	s_lshl_b64 s[0:1], s[0:1], 2
	s_add_u32 s5, s2, s0
	s_addc_u32 s7, s3, s1
	s_waitcnt lgkmcnt(0)
	s_and_b32 s6, s6, 0xffff
	v_cvt_f32_u32_e32 v1, s6
	v_add_u32_e32 v2, s6, v0
	v_mov_b32_e32 v4, s6
	v_cmp_gt_u32_e32 vcc, 64, v2
	v_rcp_iflag_f32_e32 v1, v1
	s_cmp_eq_u32 s6, 1
	v_max_u32_e32 v3, 64, v2
	v_addc_co_u32_e64 v2, s[0:1], v0, v4, vcc
	v_mul_f32_e32 v1, 0x4f7ffffe, v1
	v_cvt_u32_f32_e32 v1, v1
	s_cselect_b64 s[2:3], -1, 0
	s_sub_i32 s0, 0, s6
	v_sub_u32_e32 v2, v3, v2
	v_mul_lo_u32 v3, s0, v1
	v_mul_hi_u32 v3, v1, v3
	v_add_u32_e32 v1, v1, v3
	v_mul_hi_u32 v1, v2, v1
	v_mul_lo_u32 v3, v1, s6
	v_sub_u32_e32 v2, v2, v3
	v_add_u32_e32 v3, 1, v1
	v_cmp_le_u32_e64 s[0:1], s6, v2
	v_cndmask_b32_e64 v1, v1, v3, s[0:1]
	v_subrev_u32_e32 v3, s6, v2
	v_cndmask_b32_e64 v2, v2, v3, s[0:1]
	v_add_u32_e32 v3, 1, v1
	v_cmp_le_u32_e64 s[0:1], s6, v2
	v_cndmask_b32_e64 v1, v1, v3, s[0:1]
	v_addc_co_u32_e32 v1, vcc, 1, v1, vcc
	v_cmp_lt_u32_e32 vcc, 3, v1
	s_and_b64 s[8:9], vcc, s[2:3]
	s_mov_b64 s[2:3], -1
	s_and_saveexec_b64 s[0:1], s[8:9]
	s_cbranch_execz .LBB3_31
; %bb.28:
	v_and_b32_e32 v4, -4, v1
	s_mov_b64 s[2:3], 0
	v_mov_b32_e32 v3, 0
	v_mov_b32_e32 v5, s7
	;; [unrolled: 1-line block ×5, first 2 shown]
.LBB3_29:                               ; =>This Inner Loop Header: Depth=1
	v_lshlrev_b64 v[12:13], 2, v[2:3]
	v_add_co_u32_e32 v8, vcc, s5, v12
	v_addc_co_u32_e32 v9, vcc, v5, v13, vcc
	global_load_dwordx4 v[8:11], v[8:9], off
	v_add_co_u32_e32 v12, vcc, s4, v12
	v_add_u32_e32 v7, -4, v7
	v_addc_co_u32_e32 v13, vcc, v6, v13, vcc
	v_cmp_eq_u32_e32 vcc, 0, v7
	v_add_u32_e32 v2, 4, v2
	s_or_b64 s[2:3], vcc, s[2:3]
	s_waitcnt vmcnt(0)
	global_store_dwordx4 v[12:13], v[8:11], off
	s_andn2_b64 exec, exec, s[2:3]
	s_cbranch_execnz .LBB3_29
; %bb.30:
	s_or_b64 exec, exec, s[2:3]
	v_cmp_ne_u32_e32 vcc, v1, v4
	v_add_u32_e32 v0, v0, v4
	s_orn2_b64 s[2:3], vcc, exec
.LBB3_31:
	s_or_b64 exec, exec, s[0:1]
	s_and_b64 exec, exec, s[2:3]
	s_cbranch_execz .LBB3_34
; %bb.32:
	s_mov_b32 s3, 0
	v_mov_b32_e32 v1, 0
	v_lshlrev_b64 v[2:3], 2, v[0:1]
	s_lshl_b32 s2, s6, 2
	s_mov_b64 s[0:1], 0
	v_mov_b32_e32 v1, s7
	v_mov_b32_e32 v4, s10
	;; [unrolled: 1-line block ×3, first 2 shown]
.LBB3_33:                               ; =>This Inner Loop Header: Depth=1
	v_add_co_u32_e32 v6, vcc, s5, v2
	v_addc_co_u32_e32 v7, vcc, v1, v3, vcc
	global_load_dword v8, v[6:7], off
	v_add_co_u32_e32 v6, vcc, s4, v2
	v_addc_co_u32_e32 v7, vcc, v4, v3, vcc
	v_add_co_u32_e32 v2, vcc, s2, v2
	v_add_u32_e32 v0, s6, v0
	v_addc_co_u32_e32 v3, vcc, v3, v5, vcc
	v_cmp_lt_u32_e32 vcc, 63, v0
	s_or_b64 s[0:1], vcc, s[0:1]
	s_waitcnt vmcnt(0)
	global_store_dword v[6:7], v8, off
	s_andn2_b64 exec, exec, s[0:1]
	s_cbranch_execnz .LBB3_33
.LBB3_34:
	s_endpgm
	.section	.rodata,"a",@progbits
	.p2align	6, 0x0
	.amdhsa_kernel _ZN4vllm32paged_attention_v2_reduce_kernelIfLi64ELi128ELi512EEEvPT_PKfS4_PKS1_PKii
		.amdhsa_group_segment_fixed_size 16
		.amdhsa_private_segment_fixed_size 0
		.amdhsa_kernarg_size 304
		.amdhsa_user_sgpr_count 6
		.amdhsa_user_sgpr_private_segment_buffer 1
		.amdhsa_user_sgpr_dispatch_ptr 0
		.amdhsa_user_sgpr_queue_ptr 0
		.amdhsa_user_sgpr_kernarg_segment_ptr 1
		.amdhsa_user_sgpr_dispatch_id 0
		.amdhsa_user_sgpr_flat_scratch_init 0
		.amdhsa_user_sgpr_kernarg_preload_length 0
		.amdhsa_user_sgpr_kernarg_preload_offset 0
		.amdhsa_user_sgpr_private_segment_size 0
		.amdhsa_uses_dynamic_stack 0
		.amdhsa_system_sgpr_private_segment_wavefront_offset 0
		.amdhsa_system_sgpr_workgroup_id_x 1
		.amdhsa_system_sgpr_workgroup_id_y 1
		.amdhsa_system_sgpr_workgroup_id_z 0
		.amdhsa_system_sgpr_workgroup_info 0
		.amdhsa_system_vgpr_workitem_id 0
		.amdhsa_next_free_vgpr 24
		.amdhsa_next_free_sgpr 32
		.amdhsa_accum_offset 24
		.amdhsa_reserve_vcc 1
		.amdhsa_reserve_flat_scratch 0
		.amdhsa_float_round_mode_32 0
		.amdhsa_float_round_mode_16_64 0
		.amdhsa_float_denorm_mode_32 3
		.amdhsa_float_denorm_mode_16_64 3
		.amdhsa_dx10_clamp 1
		.amdhsa_ieee_mode 1
		.amdhsa_fp16_overflow 0
		.amdhsa_tg_split 0
		.amdhsa_exception_fp_ieee_invalid_op 0
		.amdhsa_exception_fp_denorm_src 0
		.amdhsa_exception_fp_ieee_div_zero 0
		.amdhsa_exception_fp_ieee_overflow 0
		.amdhsa_exception_fp_ieee_underflow 0
		.amdhsa_exception_fp_ieee_inexact 0
		.amdhsa_exception_int_div_zero 0
	.end_amdhsa_kernel
	.section	.text._ZN4vllm32paged_attention_v2_reduce_kernelIfLi64ELi128ELi512EEEvPT_PKfS4_PKS1_PKii,"axG",@progbits,_ZN4vllm32paged_attention_v2_reduce_kernelIfLi64ELi128ELi512EEEvPT_PKfS4_PKS1_PKii,comdat
.Lfunc_end3:
	.size	_ZN4vllm32paged_attention_v2_reduce_kernelIfLi64ELi128ELi512EEEvPT_PKfS4_PKS1_PKii, .Lfunc_end3-_ZN4vllm32paged_attention_v2_reduce_kernelIfLi64ELi128ELi512EEEvPT_PKfS4_PKS1_PKii
                                        ; -- End function
	.section	.AMDGPU.csdata,"",@progbits
; Kernel info:
; codeLenInByte = 2136
; NumSgprs: 36
; NumVgprs: 24
; NumAgprs: 0
; TotalNumVgprs: 24
; ScratchSize: 0
; MemoryBound: 0
; FloatMode: 240
; IeeeMode: 1
; LDSByteSize: 16 bytes/workgroup (compile time only)
; SGPRBlocks: 4
; VGPRBlocks: 2
; NumSGPRsForWavesPerEU: 36
; NumVGPRsForWavesPerEU: 24
; AccumOffset: 24
; Occupancy: 8
; WaveLimiterHint : 0
; COMPUTE_PGM_RSRC2:SCRATCH_EN: 0
; COMPUTE_PGM_RSRC2:USER_SGPR: 6
; COMPUTE_PGM_RSRC2:TRAP_HANDLER: 0
; COMPUTE_PGM_RSRC2:TGID_X_EN: 1
; COMPUTE_PGM_RSRC2:TGID_Y_EN: 1
; COMPUTE_PGM_RSRC2:TGID_Z_EN: 0
; COMPUTE_PGM_RSRC2:TIDIG_COMP_CNT: 0
; COMPUTE_PGM_RSRC3_GFX90A:ACCUM_OFFSET: 5
; COMPUTE_PGM_RSRC3_GFX90A:TG_SPLIT: 0
	.section	.text._ZN4vllm25paged_attention_v2_kernelIffLi80ELi8ELi128ELNS_18Fp8KVCacheDataTypeE0ELb1ELi512EEEvPfS2_PT_PKS3_PKT0_S9_ifPKiSB_iPKfiiiSD_SD_iiiii,"axG",@progbits,_ZN4vllm25paged_attention_v2_kernelIffLi80ELi8ELi128ELNS_18Fp8KVCacheDataTypeE0ELb1ELi512EEEvPfS2_PT_PKS3_PKT0_S9_ifPKiSB_iPKfiiiSD_SD_iiiii,comdat
	.protected	_ZN4vllm25paged_attention_v2_kernelIffLi80ELi8ELi128ELNS_18Fp8KVCacheDataTypeE0ELb1ELi512EEEvPfS2_PT_PKS3_PKT0_S9_ifPKiSB_iPKfiiiSD_SD_iiiii ; -- Begin function _ZN4vllm25paged_attention_v2_kernelIffLi80ELi8ELi128ELNS_18Fp8KVCacheDataTypeE0ELb1ELi512EEEvPfS2_PT_PKS3_PKT0_S9_ifPKiSB_iPKfiiiSD_SD_iiiii
	.globl	_ZN4vllm25paged_attention_v2_kernelIffLi80ELi8ELi128ELNS_18Fp8KVCacheDataTypeE0ELb1ELi512EEEvPfS2_PT_PKS3_PKT0_S9_ifPKiSB_iPKfiiiSD_SD_iiiii
	.p2align	8
	.type	_ZN4vllm25paged_attention_v2_kernelIffLi80ELi8ELi128ELNS_18Fp8KVCacheDataTypeE0ELb1ELi512EEEvPfS2_PT_PKS3_PKT0_S9_ifPKiSB_iPKfiiiSD_SD_iiiii,@function
_ZN4vllm25paged_attention_v2_kernelIffLi80ELi8ELi128ELNS_18Fp8KVCacheDataTypeE0ELb1ELi512EEEvPfS2_PT_PKS3_PKT0_S9_ifPKiSB_iPKfiiiSD_SD_iiiii: ; @_ZN4vllm25paged_attention_v2_kernelIffLi80ELi8ELi128ELNS_18Fp8KVCacheDataTypeE0ELb1ELi512EEEvPfS2_PT_PKS3_PKT0_S9_ifPKiSB_iPKfiiiSD_SD_iiiii
; %bb.0:
	s_load_dwordx2 s[0:1], s[4:5], 0x40
	s_mov_b32 s28, s7
	s_ashr_i32 s29, s7, 31
	s_lshl_b64 s[2:3], s[28:29], 2
	s_waitcnt lgkmcnt(0)
	s_add_u32 s0, s0, s2
	s_addc_u32 s1, s1, s3
	s_load_dword s29, s[0:1], 0x0
	s_lshl_b32 s48, s8, 9
	s_waitcnt lgkmcnt(0)
	s_cmp_ge_i32 s48, s29
	s_cbranch_scc1 .LBB4_79
; %bb.1:
	s_load_dword s9, s[4:5], 0x90
	s_load_dwordx2 s[38:39], s[4:5], 0x30
	s_mov_b32 s49, 0
	s_waitcnt lgkmcnt(0)
	s_abs_i32 s2, s9
	s_abs_i32 s0, s38
	v_cvt_f32_u32_e32 v1, s0
	s_sub_i32 s3, 0, s0
	s_xor_b32 s1, s9, s38
	s_ashr_i32 s1, s1, 31
	v_rcp_iflag_f32_e32 v1, v1
	v_mul_f32_e32 v1, 0x4f7ffffe, v1
	v_cvt_u32_f32_e32 v1, v1
	v_readfirstlane_b32 s7, v1
	s_mul_i32 s3, s3, s7
	s_mul_hi_u32 s3, s7, s3
	s_add_i32 s7, s7, s3
	s_mul_hi_u32 s3, s2, s7
	s_mul_i32 s7, s3, s0
	s_sub_i32 s2, s2, s7
	s_add_i32 s10, s3, 1
	s_sub_i32 s7, s2, s0
	s_cmp_ge_u32 s2, s0
	s_cselect_b32 s3, s10, s3
	s_cselect_b32 s2, s7, s2
	s_add_i32 s7, s3, 1
	s_cmp_ge_u32 s2, s0
	s_cselect_b32 s0, s7, s3
	s_xor_b32 s0, s0, s1
	s_sub_i32 s11, s0, s1
	s_abs_i32 s2, s11
	v_cvt_f32_u32_e32 v1, s2
	s_load_dwordx2 s[0:1], s[4:5], 0x50
	s_sub_i32 s7, 0, s2
	s_abs_i32 s3, s6
	v_rcp_iflag_f32_e32 v1, v1
	v_mul_f32_e32 v1, 0x4f7ffffe, v1
	v_cvt_u32_f32_e32 v1, v1
	v_readfirstlane_b32 s10, v1
	s_mul_i32 s7, s7, s10
	s_mul_hi_u32 s7, s10, s7
	s_add_i32 s10, s10, s7
	s_waitcnt lgkmcnt(0)
	s_cmp_eq_u64 s[0:1], 0
	s_mul_hi_u32 s10, s3, s10
	s_cbranch_scc1 .LBB4_3
; %bb.2:
	s_ashr_i32 s7, s6, 31
	s_lshl_b64 s[12:13], s[6:7], 2
	s_add_u32 s0, s0, s12
	s_addc_u32 s1, s1, s13
	s_load_dword s49, s[0:1], 0x0
.LBB4_3:
	s_load_dwordx4 s[12:15], s[4:5], 0x58
	s_movk_i32 s0, 0x50
	s_ashr_i32 s7, s6, 31
	s_ashr_i32 s11, s11, 31
	v_and_b32_e32 v2, 7, v0
	s_mul_i32 s24, s6, 0x50
	v_cmp_gt_u32_e32 vcc, s0, v0
	v_lshlrev_b32_e32 v4, 2, v0
	v_lshrrev_b32_e32 v1, 1, v0
	s_and_saveexec_b64 s[0:1], vcc
	s_cbranch_execz .LBB4_5
; %bb.4:
	s_load_dwordx2 s[16:17], s[4:5], 0x18
	s_waitcnt lgkmcnt(0)
	s_mul_i32 s18, s28, s12
	s_ashr_i32 s19, s18, 31
	s_lshl_b64 s[18:19], s[18:19], 2
	v_and_b32_e32 v5, 0x1fc, v1
	s_add_u32 s12, s16, s18
	s_addc_u32 s15, s17, s19
	s_ashr_i32 s25, s24, 31
	s_lshl_b64 s[16:17], s[24:25], 2
	s_add_u32 s16, s12, s16
	s_addc_u32 s17, s15, s17
	global_load_dword v3, v4, s[16:17]
	v_mad_u32_u24 v5, v2, 40, v5
	s_waitcnt vmcnt(0)
	ds_write_b32 v5, v3
.LBB4_5:
	s_or_b64 exec, exec, s[0:1]
	s_mul_i32 s1, s10, s2
	s_sub_i32 s1, s3, s1
	s_xor_b32 s0, s7, s11
	s_add_i32 s3, s10, 1
	s_sub_i32 s7, s1, s2
	s_load_dwordx4 s[16:19], s[4:5], 0x78
	s_cmp_ge_u32 s1, s2
	s_cselect_b32 s3, s3, s10
	s_load_dword s10, s[4:5], 0x88
	s_cselect_b32 s1, s7, s1
	s_add_i32 s7, s3, 1
	s_cmp_ge_u32 s1, s2
	s_cselect_b32 s1, s7, s3
	s_waitcnt lgkmcnt(0)
	s_abs_i32 s25, s19
	v_cvt_f32_u32_e32 v3, s25
	s_xor_b32 s1, s1, s0
	s_sub_i32 s2, s1, s0
	s_sub_i32 s0, 0, s25
	v_rcp_iflag_f32_e32 v3, v3
	s_add_i32 s11, s29, -1
	s_abs_i32 s3, s11
	v_mul_f32_e32 v3, 0x4f7ffffe, v3
	v_cvt_u32_f32_e32 v3, v3
	s_barrier
	v_readfirstlane_b32 s33, v3
	s_mul_i32 s0, s0, s33
	s_mul_hi_u32 s0, s33, s0
	s_add_i32 s33, s33, s0
	s_cmp_lt_i32 s10, 0
	s_mul_hi_u32 s7, s3, s33
	s_cbranch_scc0 .LBB4_7
; %bb.6:
	s_mul_i32 s0, s16, s38
	s_add_i32 s0, s2, s0
	s_mul_i32 s0, s0, s10
	s_sub_i32 s46, 1, s0
	s_mov_b64 s[0:1], 0
	s_branch .LBB4_8
.LBB4_7:
	s_mov_b64 s[0:1], -1
                                        ; implicit-def: $sgpr46
.LBB4_8:
	s_load_dwordx2 s[30:31], s[4:5], 0x38
	s_ashr_i32 s11, s11, 31
	s_andn2_b64 vcc, exec, s[0:1]
	s_ashr_i32 s19, s19, 31
	s_cbranch_vccnz .LBB4_10
; %bb.9:
	s_mul_i32 s0, s9, s16
	s_add_i32 s0, s0, s6
	s_mul_i32 s0, s0, s10
	s_add_i32 s46, s0, 1
.LBB4_10:
	s_load_dword s0, s[4:5], 0x48
	s_load_dwordx2 s[36:37], s[4:5], 0x28
	s_load_dword s16, s[4:5], 0x98
	s_load_dwordx4 s[20:23], s[4:5], 0x0
	s_load_dwordx2 s[26:27], s[4:5], 0x10
	s_mul_i32 s1, s7, s25
	s_waitcnt lgkmcnt(0)
	s_mul_i32 s34, s28, s0
	s_sub_i32 s1, s3, s1
	s_ashr_i32 s35, s34, 31
	s_xor_b32 s0, s11, s19
	s_add_i32 s3, s7, 1
	s_sub_i32 s10, s1, s25
	s_cmp_ge_u32 s1, s25
	s_cselect_b32 s3, s3, s7
	s_cselect_b32 s1, s10, s1
	s_add_i32 s7, s3, 1
	s_cmp_ge_u32 s1, s25
	s_cselect_b32 s1, s7, s3
	s_xor_b32 s1, s1, s0
	s_sub_i32 s12, s1, s0
	s_add_i32 s0, s29, 7
	s_ashr_i32 s1, s0, 31
	s_lshr_b32 s1, s1, 29
	s_add_i32 s0, s0, s1
	s_lshl_b32 s38, s8, 6
	s_ashr_i32 s7, s0, 3
	s_add_i32 s0, s38, 64
	v_lshrrev_b32_e32 v5, 6, v0
	s_min_i32 s47, s0, s7
	v_or_b32_e32 v18, s38, v5
	v_cmp_gt_i32_e64 s[0:1], s47, v18
	v_mov_b32_e32 v11, 0xff7fffff
	s_mul_i32 s14, s2, s14
	v_ashrrev_i32_e32 v19, 31, v18
	v_lshl_add_u32 v17, v5, 3, s48
	v_mbcnt_lo_u32_b32 v6, -1, 0
	s_and_saveexec_b64 s[40:41], s[0:1]
	s_cbranch_execz .LBB4_20
; %bb.11:
	s_load_dwordx2 s[2:3], s[4:5], 0x20
	s_ashr_i32 s15, s14, 31
	s_sub_i32 s50, s12, s17
	s_lshl_b64 s[4:5], s[14:15], 2
	v_bfe_u32 v7, v0, 3, 3
	s_waitcnt lgkmcnt(0)
	s_add_u32 s2, s2, s4
	s_addc_u32 s3, s3, s5
	s_abs_i32 s15, s18
	v_cvt_f32_u32_e32 v9, s15
	v_lshlrev_b32_e32 v3, 4, v7
	v_mov_b32_e32 v8, s3
	v_add_co_u32_e64 v3, s[2:3], s2, v3
	v_rcp_iflag_f32_e32 v9, v9
	v_and_b32_e32 v10, 3, v0
	v_addc_co_u32_e64 v8, s[2:3], 0, v8, s[2:3]
	v_lshlrev_b32_e32 v10, 2, v10
	v_add_co_u32_e64 v3, s[2:3], v3, v10
	v_addc_co_u32_e64 v12, s[2:3], 0, v8, s[2:3]
	v_mul_f32_e32 v8, 0x4f7ffffe, v9
	v_cvt_u32_f32_e32 v9, v8
	s_sub_i32 s4, 0, s15
	v_cmp_eq_u32_e32 vcc, 0, v2
	v_mul_u32_u24_e32 v8, 40, v2
	v_mul_lo_u32 v2, s4, v9
	v_mul_hi_u32 v2, v9, v2
	v_add_u32_e32 v9, v9, v2
	v_lshlrev_b32_e32 v2, 5, v0
	v_and_b32_e32 v2, 0x80, v2
	v_add_co_u32_e64 v10, s[4:5], v3, v2
	v_addc_co_u32_e64 v12, s[4:5], 0, v12, s[4:5]
	v_lshlrev_b32_e32 v11, 2, v7
	s_lshl_b64 s[4:5], s[34:35], 2
	s_add_u32 s4, s30, s4
	v_lshl_or_b32 v11, v5, 5, v11
	v_lshlrev_b64 v[2:3], 2, v[18:19]
	s_addc_u32 s5, s31, s5
	v_add_u32_e32 v14, 0x150, v11
	v_subrev_u32_e32 v11, s29, v7
	v_mbcnt_hi_u32_b32 v20, -1, v6
	v_mov_b32_e32 v13, s5
	v_add_co_u32_e64 v2, s[4:5], s4, v2
	v_add_u32_e32 v15, 1, v11
	v_and_b32_e32 v11, 64, v20
	s_mov_b32 s51, s13
	v_cmp_neq_f32_e64 s[2:3], s49, 0
	v_addc_co_u32_e64 v3, s[4:5], v13, v3, s[4:5]
	v_lshl_add_u32 v13, v5, 3, s48
	s_mov_b64 s[42:43], 0
	v_mov_b32_e32 v16, 0xff7fffff
	v_add_u32_e32 v21, 64, v11
	v_xor_b32_e32 v22, 4, v20
	v_xor_b32_e32 v23, 2, v20
	;; [unrolled: 1-line block ×3, first 2 shown]
	v_mov_b32_e32 v11, 0xff7fffff
	v_mov_b32_e32 v25, v18
	s_branch .LBB4_14
.LBB4_12:                               ;   in Loop: Header=BB4_14 Depth=1
	s_or_b64 exec, exec, s[44:45]
.LBB4_13:                               ;   in Loop: Header=BB4_14 Depth=1
	s_or_b64 exec, exec, s[10:11]
	v_add_co_u32_e64 v2, s[4:5], 8, v2
	v_add_u32_e32 v25, 2, v25
	v_addc_co_u32_e64 v3, s[4:5], 0, v3, s[4:5]
	v_cmp_le_i32_e64 s[4:5], s47, v25
	v_add_u32_e32 v13, 16, v13
	s_or_b64 s[42:43], s[4:5], s[42:43]
	v_add_u32_e32 v14, 64, v14
	s_andn2_b64 exec, exec, s[42:43]
	s_cbranch_execz .LBB4_19
.LBB4_14:                               ; =>This Inner Loop Header: Depth=1
	s_waitcnt lgkmcnt(0)
	v_sub_u32_e32 v27, 0, v13
	v_max_i32_e32 v27, v13, v27
	v_mul_hi_u32 v28, v27, s33
	v_mul_lo_u32 v29, v28, s25
	v_sub_u32_e32 v27, v27, v29
	v_add_u32_e32 v29, 1, v28
	v_cmp_le_u32_e64 s[4:5], s25, v27
	v_cndmask_b32_e64 v28, v28, v29, s[4:5]
	v_subrev_u32_e32 v29, s25, v27
	v_cndmask_b32_e64 v27, v27, v29, s[4:5]
	v_ashrrev_i32_e32 v26, 31, v13
	v_add_u32_e32 v29, 1, v28
	v_cmp_le_u32_e64 s[4:5], s25, v27
	v_xor_b32_e32 v26, s19, v26
	v_cndmask_b32_e64 v27, v28, v29, s[4:5]
	v_xor_b32_e32 v27, v27, v26
	v_sub_u32_e32 v26, v27, v26
	v_add_u32_e32 v27, s46, v26
	v_sub_u32_e32 v29, 0, v27
	v_ashrrev_i32_e32 v28, 31, v27
	v_max_i32_e32 v27, v27, v29
	v_mul_hi_u32 v29, v27, v9
	v_mul_lo_u32 v29, v29, s15
	v_sub_u32_e32 v27, v27, v29
	v_subrev_u32_e32 v29, s15, v27
	v_cmp_le_u32_e64 s[4:5], s15, v27
	v_cndmask_b32_e64 v27, v27, v29, s[4:5]
	v_subrev_u32_e32 v29, s15, v27
	v_cmp_le_u32_e64 s[4:5], s15, v27
	v_cndmask_b32_e64 v27, v27, v29, s[4:5]
	v_xor_b32_e32 v27, v27, v28
	v_sub_u32_e32 v27, v27, v28
	v_cmp_ne_u32_e64 s[4:5], 0, v27
	v_cmp_ge_i32_e64 s[10:11], s50, v26
	s_and_b64 s[4:5], s[4:5], s[10:11]
	s_and_b64 s[44:45], vcc, s[4:5]
	s_and_saveexec_b64 s[10:11], s[44:45]
	s_cbranch_execz .LBB4_16
; %bb.15:                               ;   in Loop: Header=BB4_14 Depth=1
	ds_write_b32 v14, v16
.LBB4_16:                               ;   in Loop: Header=BB4_14 Depth=1
	s_or_b64 exec, exec, s[10:11]
	s_xor_b64 s[4:5], s[4:5], -1
	s_and_saveexec_b64 s[10:11], s[4:5]
	s_cbranch_execz .LBB4_13
; %bb.17:                               ;   in Loop: Header=BB4_14 Depth=1
	global_load_dword v26, v[2:3], off
	s_waitcnt vmcnt(0)
	v_mad_i64_i32 v[26:27], s[4:5], v26, s51, 0
	v_lshlrev_b64 v[26:27], 2, v[26:27]
	v_add_co_u32_e64 v26, s[4:5], v10, v26
	v_addc_co_u32_e64 v27, s[4:5], v12, v27, s[4:5]
	global_load_dword v36, v[26:27], off offset:256
	global_load_dword v37, v[26:27], off
	global_load_dword v38, v[26:27], off offset:512
	global_load_dword v39, v[26:27], off offset:768
	;; [unrolled: 1-line block ×8, first 2 shown]
	ds_read2_b64 v[26:29], v8 offset1:1
	ds_read2_b64 v[30:33], v8 offset0:2 offset1:3
	ds_read_b64 v[34:35], v8 offset:32
	v_cmp_lt_i32_e64 s[4:5], v22, v21
	v_cndmask_b32_e64 v46, v20, v22, s[4:5]
	v_lshlrev_b32_e32 v46, 2, v46
	v_cmp_lt_i32_e64 s[4:5], v23, v21
	s_waitcnt vmcnt(9) lgkmcnt(2)
	v_mul_f32_e32 v27, v27, v36
	s_waitcnt vmcnt(8)
	v_fmac_f32_e32 v27, v26, v37
	s_waitcnt vmcnt(7)
	v_fmac_f32_e32 v27, v28, v38
	;; [unrolled: 2-line block ×3, first 2 shown]
	s_waitcnt vmcnt(5) lgkmcnt(1)
	v_fmac_f32_e32 v27, v30, v40
	s_waitcnt vmcnt(4)
	v_fmac_f32_e32 v27, v31, v41
	s_waitcnt vmcnt(3)
	;; [unrolled: 2-line block ×3, first 2 shown]
	v_fmac_f32_e32 v27, v33, v43
	s_waitcnt vmcnt(1) lgkmcnt(0)
	v_fmac_f32_e32 v27, v34, v44
	s_waitcnt vmcnt(0)
	v_fmac_f32_e32 v27, v35, v45
	ds_bpermute_b32 v26, v46, v27
	v_cndmask_b32_e64 v28, v20, v23, s[4:5]
	v_lshlrev_b32_e32 v28, 2, v28
	v_cmp_lt_i32_e64 s[4:5], v24, v21
	s_waitcnt lgkmcnt(0)
	v_add_f32_e32 v26, v27, v26
	ds_bpermute_b32 v27, v28, v26
	v_cndmask_b32_e64 v28, v20, v24, s[4:5]
	v_lshlrev_b32_e32 v28, 2, v28
	s_waitcnt lgkmcnt(0)
	v_add_f32_e32 v26, v26, v27
	ds_bpermute_b32 v27, v28, v26
	s_and_saveexec_b64 s[44:45], vcc
	s_cbranch_execz .LBB4_12
; %bb.18:                               ;   in Loop: Header=BB4_14 Depth=1
	v_add_u32_e32 v28, v15, v13
	v_cvt_f32_i32_e32 v28, v28
	s_waitcnt lgkmcnt(0)
	v_add_f32_e32 v26, v26, v27
	v_add_u32_e32 v29, v7, v13
	v_cmp_gt_i32_e64 s[4:5], s29, v29
	v_mul_f32_e32 v27, s49, v28
	v_cndmask_b32_e64 v27, 0, v27, s[2:3]
	v_fmac_f32_e32 v27, s39, v26
	v_cndmask_b32_e64 v26, 0, v27, s[4:5]
	ds_write_b32 v14, v26
	v_max_f32_e32 v26, v11, v11
	v_max_f32_e32 v26, v26, v27
	v_cndmask_b32_e64 v11, v11, v26, s[4:5]
	s_branch .LBB4_12
.LBB4_19:
	s_or_b64 exec, exec, s[42:43]
.LBB4_20:
	s_or_b64 exec, exec, s[40:41]
	v_mbcnt_hi_u32_b32 v2, -1, v6
	v_and_b32_e32 v3, 64, v2
	v_add_u32_e32 v3, 64, v3
	v_xor_b32_e32 v6, 32, v2
	v_cmp_lt_i32_e32 vcc, v6, v3
	v_cndmask_b32_e32 v6, v2, v6, vcc
	v_lshlrev_b32_e32 v9, 2, v6
	ds_bpermute_b32 v6, v9, v11
	v_xor_b32_e32 v8, 16, v2
	v_max_f32_e32 v7, v11, v11
	v_cmp_lt_i32_e32 vcc, v8, v3
	s_waitcnt lgkmcnt(0)
	v_max_f32_e32 v6, v6, v6
	v_max_f32_e32 v6, v7, v6
	v_cndmask_b32_e32 v7, v2, v8, vcc
	v_lshlrev_b32_e32 v11, 2, v7
	ds_bpermute_b32 v7, v11, v6
	v_xor_b32_e32 v8, 8, v2
	v_cmp_lt_i32_e32 vcc, v8, v3
	s_waitcnt lgkmcnt(0)
	v_max_f32_e32 v7, v7, v7
	v_max_f32_e32 v7, v6, v7
	v_cndmask_b32_e32 v6, v2, v8, vcc
	v_lshlrev_b32_e32 v12, 2, v6
	ds_bpermute_b32 v10, v12, v7
	v_and_b32_e32 v6, 63, v0
	v_cmp_eq_u32_e32 vcc, 0, v6
	v_lshlrev_b32_e32 v8, 2, v5
	s_and_saveexec_b64 s[2:3], vcc
	s_cbranch_execz .LBB4_22
; %bb.21:
	s_waitcnt lgkmcnt(0)
	v_max_f32_e32 v10, v10, v10
	v_max_f32_e32 v7, v7, v7
	;; [unrolled: 1-line block ×3, first 2 shown]
	ds_write_b32 v8, v7 offset:320
.LBB4_22:
	s_or_b64 exec, exec, s[2:3]
	v_cmp_gt_u32_e64 s[2:3], 2, v6
	v_mov_b32_e32 v7, 0xff7fffff
	s_waitcnt lgkmcnt(0)
	v_lshlrev_b32_e32 v10, 2, v6
	s_barrier
	s_and_saveexec_b64 s[4:5], s[2:3]
	s_cbranch_execz .LBB4_24
; %bb.23:
	ds_read_b32 v7, v10 offset:320
.LBB4_24:
	s_or_b64 exec, exec, s[4:5]
	v_xor_b32_e32 v13, 1, v2
	v_cmp_lt_i32_e64 s[4:5], v13, v3
	v_cndmask_b32_e64 v13, v2, v13, s[4:5]
	v_lshlrev_b32_e32 v22, 2, v13
	s_waitcnt lgkmcnt(0)
	ds_bpermute_b32 v13, v22, v7
	v_max_f32_e32 v7, v7, v7
	s_sub_i32 s4, s47, s38
	s_lshl_b32 s4, s4, 3
	s_add_i32 s4, s4, s48
	s_waitcnt lgkmcnt(0)
	v_max_f32_e32 v13, v13, v13
	v_max_f32_e32 v7, v7, v13
	v_lshlrev_b32_e32 v13, 2, v2
	v_and_b32_e32 v13, 0x100, v13
	ds_bpermute_b32 v7, v13, v7
	s_min_i32 s42, s4, s29
	s_sub_i32 s15, s42, s48
	v_cmp_gt_i32_e64 s[4:5], s15, v0
	v_mov_b32_e32 v14, 0
	s_and_saveexec_b64 s[38:39], s[4:5]
	s_cbranch_execz .LBB4_28
; %bb.25:
	v_mov_b32_e32 v14, 0x150
	v_lshl_add_u32 v15, v0, 2, v14
	s_mov_b64 s[40:41], 0
	v_mov_b32_e32 v14, 0
	v_mov_b32_e32 v16, v0
.LBB4_26:                               ; =>This Inner Loop Header: Depth=1
	ds_read_b32 v20, v15
	v_add_u32_e32 v16, 0x80, v16
	v_cmp_le_i32_e64 s[10:11], s15, v16
	s_or_b64 s[40:41], s[10:11], s[40:41]
	s_waitcnt lgkmcnt(0)
	v_sub_f32_e32 v20, v20, v7
	v_mul_f32_e32 v20, 0x3fb8aa3b, v20
	v_exp_f32_e32 v20, v20
	ds_write_b32 v15, v20
	v_add_f32_e32 v14, v14, v20
	v_add_u32_e32 v15, 0x200, v15
	s_andn2_b64 exec, exec, s[40:41]
	s_cbranch_execnz .LBB4_26
; %bb.27:
	s_or_b64 exec, exec, s[40:41]
.LBB4_28:
	s_or_b64 exec, exec, s[38:39]
	ds_bpermute_b32 v9, v9, v14
	s_waitcnt lgkmcnt(0)
	v_add_f32_e32 v9, v14, v9
	ds_bpermute_b32 v11, v11, v9
	s_waitcnt lgkmcnt(0)
	v_add_f32_e32 v9, v9, v11
	ds_bpermute_b32 v11, v12, v9
	v_xor_b32_e32 v12, 4, v2
	v_cmp_lt_i32_e64 s[10:11], v12, v3
	v_cndmask_b32_e64 v12, v2, v12, s[10:11]
	v_lshlrev_b32_e32 v12, 2, v12
	s_waitcnt lgkmcnt(0)
	v_add_f32_e32 v9, v9, v11
	ds_bpermute_b32 v11, v12, v9
	v_xor_b32_e32 v12, 2, v2
	v_cmp_lt_i32_e64 s[10:11], v12, v3
	v_cndmask_b32_e64 v2, v2, v12, s[10:11]
	v_lshlrev_b32_e32 v2, 2, v2
	s_waitcnt lgkmcnt(0)
	v_add_f32_e32 v3, v9, v11
	ds_bpermute_b32 v2, v2, v3
	s_waitcnt lgkmcnt(0)
	v_add_f32_e32 v2, v3, v2
	ds_bpermute_b32 v3, v22, v2
	s_waitcnt lgkmcnt(0)
	v_add_f32_e32 v2, v2, v3
	s_and_saveexec_b64 s[10:11], vcc
	s_cbranch_execz .LBB4_30
; %bb.29:
	ds_write_b32 v8, v2 offset:328
.LBB4_30:
	s_or_b64 exec, exec, s[10:11]
	s_waitcnt lgkmcnt(0)
	s_barrier
	s_and_saveexec_b64 s[10:11], s[2:3]
	s_cbranch_execz .LBB4_32
; %bb.31:
	ds_read_b32 v2, v10 offset:328
.LBB4_32:
	s_or_b64 exec, exec, s[10:11]
	s_waitcnt lgkmcnt(0)
	ds_bpermute_b32 v3, v22, v2
	s_waitcnt lgkmcnt(0)
	v_add_f32_e32 v2, v2, v3
	ds_bpermute_b32 v8, v13, v2
	s_and_saveexec_b64 s[2:3], s[4:5]
	s_cbranch_execz .LBB4_45
; %bb.33:
	s_waitcnt lgkmcnt(0)
	v_add_f32_e32 v2, 0x358637bd, v8
	v_div_scale_f32 v3, s[4:5], v2, v2, 1.0
	v_rcp_f32_e32 v9, v3
	v_div_scale_f32 v10, vcc, 1.0, v2, 1.0
	s_movk_i32 s4, 0x7f
	v_fma_f32 v11, -v3, v9, 1.0
	v_fmac_f32_e32 v9, v11, v9
	v_mul_f32_e32 v11, v10, v9
	v_fma_f32 v12, -v3, v11, v10
	v_fmac_f32_e32 v11, v12, v9
	v_fma_f32 v3, -v3, v11, v10
	v_div_fmas_f32 v3, v3, v9, v11
	v_div_fixup_f32 v2, v3, v2, 1.0
	v_xad_u32 v3, v0, -1, s42
	v_subrev_u32_e32 v9, s48, v3
	v_cmp_lt_u32_e32 vcc, s4, v9
	s_mov_b64 s[10:11], -1
	v_mov_b32_e32 v3, v0
	s_and_saveexec_b64 s[4:5], vcc
	s_cbranch_execz .LBB4_42
; %bb.34:
	v_lshrrev_b32_e32 v9, 7, v9
	v_add_u32_e32 v11, -1, v9
	v_lshrrev_b32_e32 v10, 1, v11
	v_mov_b32_e32 v3, v2
	v_add_u32_e32 v10, 1, v10
	v_cmp_lt_u32_e32 vcc, 13, v11
	v_mov_b32_e32 v13, 0
	s_and_saveexec_b64 s[10:11], vcc
	s_cbranch_execz .LBB4_38
; %bb.35:
	v_mov_b32_e32 v12, 0x150
	v_and_b32_e32 v11, -8, v10
	v_lshl_add_u32 v12, v0, 2, v12
	s_mov_b32 s40, 0
	s_mov_b64 s[38:39], 0
.LBB4_36:                               ; =>This Inner Loop Header: Depth=1
	ds_read2st64_b32 v[14:15], v12 offset1:2
	ds_read2st64_b32 v[20:21], v12 offset0:4 offset1:6
	ds_read2st64_b32 v[24:25], v12 offset0:8 offset1:10
	;; [unrolled: 1-line block ×3, first 2 shown]
	v_add_u32_e32 v11, -8, v11
	s_waitcnt lgkmcnt(3)
	v_pk_mul_f32 v[14:15], v[2:3], v[14:15]
	s_waitcnt lgkmcnt(2)
	v_pk_mul_f32 v[20:21], v[2:3], v[20:21]
	ds_write2st64_b32 v12, v14, v15 offset1:2
	ds_write2st64_b32 v12, v20, v21 offset0:4 offset1:6
	ds_read2st64_b32 v[20:21], v12 offset0:16 offset1:18
	s_waitcnt lgkmcnt(4)
	v_pk_mul_f32 v[14:15], v[2:3], v[24:25]
	ds_write2st64_b32 v12, v14, v15 offset0:8 offset1:10
	s_waitcnt lgkmcnt(4)
	v_pk_mul_f32 v[14:15], v[2:3], v[26:27]
	ds_write2st64_b32 v12, v14, v15 offset0:12 offset1:14
	ds_read2st64_b32 v[14:15], v12 offset0:20 offset1:22
	s_waitcnt lgkmcnt(3)
	v_pk_mul_f32 v[20:21], v[2:3], v[20:21]
	ds_read2st64_b32 v[24:25], v12 offset0:24 offset1:26
	ds_write2st64_b32 v12, v20, v21 offset0:16 offset1:18
	ds_read2st64_b32 v[20:21], v12 offset0:28 offset1:30
	s_waitcnt lgkmcnt(3)
	v_pk_mul_f32 v[14:15], v[2:3], v[14:15]
	ds_write2st64_b32 v12, v14, v15 offset0:20 offset1:22
	s_waitcnt lgkmcnt(3)
	v_pk_mul_f32 v[14:15], v[2:3], v[24:25]
	ds_write2st64_b32 v12, v14, v15 offset0:24 offset1:26
	s_waitcnt lgkmcnt(2)
	v_pk_mul_f32 v[14:15], v[2:3], v[20:21]
	s_add_i32 s40, s40, 16
	v_cmp_eq_u32_e32 vcc, 0, v11
	ds_write2st64_b32 v12, v14, v15 offset0:28 offset1:30
	v_add_u32_e32 v12, 0x2000, v12
	s_or_b64 s[38:39], vcc, s[38:39]
	v_mov_b32_e32 v13, s40
	s_andn2_b64 exec, exec, s[38:39]
	s_cbranch_execnz .LBB4_36
; %bb.37:
	s_or_b64 exec, exec, s[38:39]
.LBB4_38:
	s_or_b64 exec, exec, s[10:11]
	v_and_b32_e32 v10, 7, v10
	v_cmp_ne_u32_e32 vcc, 0, v10
	s_and_saveexec_b64 s[10:11], vcc
	s_cbranch_execz .LBB4_41
; %bb.39:
	v_lshlrev_b32_e32 v11, 9, v13
	s_movk_i32 s38, 0x150
	v_add3_u32 v11, v11, v4, s38
	s_mov_b64 s[38:39], 0
.LBB4_40:                               ; =>This Inner Loop Header: Depth=1
	ds_read2st64_b32 v[12:13], v11 offset1:2
	v_add_u32_e32 v10, -1, v10
	v_cmp_eq_u32_e32 vcc, 0, v10
	s_or_b64 s[38:39], vcc, s[38:39]
	s_waitcnt lgkmcnt(0)
	v_pk_mul_f32 v[12:13], v[2:3], v[12:13]
	ds_write2st64_b32 v11, v12, v13 offset1:2
	v_add_u32_e32 v11, 0x400, v11
	s_andn2_b64 exec, exec, s[38:39]
	s_cbranch_execnz .LBB4_40
.LBB4_41:
	s_or_b64 exec, exec, s[10:11]
	v_add_u32_e32 v9, 1, v9
	v_and_b32_e32 v10, 0x3fffffe, v9
	v_cmp_ne_u32_e32 vcc, v9, v10
	v_lshl_add_u32 v3, v10, 7, v0
	s_orn2_b64 s[10:11], vcc, exec
.LBB4_42:
	s_or_b64 exec, exec, s[4:5]
	s_and_b64 exec, exec, s[10:11]
	s_cbranch_execz .LBB4_45
; %bb.43:
	v_mov_b32_e32 v9, 0x150
	v_lshl_add_u32 v9, v3, 2, v9
	s_mov_b64 s[4:5], 0
.LBB4_44:                               ; =>This Inner Loop Header: Depth=1
	ds_read_b32 v10, v9
	v_add_u32_e32 v3, 0x80, v3
	v_cmp_le_i32_e32 vcc, s15, v3
	s_or_b64 s[4:5], vcc, s[4:5]
	s_waitcnt lgkmcnt(0)
	v_mul_f32_e32 v10, v2, v10
	ds_write_b32 v9, v10
	v_add_u32_e32 v9, 0x200, v9
	s_andn2_b64 exec, exec, s[4:5]
	s_cbranch_execnz .LBB4_44
.LBB4_45:
	s_or_b64 exec, exec, s[2:3]
	s_mul_i32 s2, s16, s28
	v_cmp_eq_u32_e32 vcc, 0, v0
	s_mul_i32 s10, s2, s9
	s_waitcnt lgkmcnt(0)
	s_barrier
	s_and_saveexec_b64 s[2:3], vcc
	s_cbranch_execz .LBB4_47
; %bb.46:
	s_ashr_i32 s11, s10, 31
	s_lshl_b64 s[4:5], s[10:11], 2
	s_add_u32 s9, s22, s4
	s_mul_i32 s22, s16, s6
	s_addc_u32 s11, s23, s5
	s_ashr_i32 s23, s22, 31
	s_lshl_b64 s[22:23], s[22:23], 2
	s_add_u32 s6, s9, s22
	s_addc_u32 s11, s11, s23
	s_ashr_i32 s9, s8, 31
	s_lshl_b64 s[38:39], s[8:9], 2
	s_add_u32 s40, s6, s38
	s_addc_u32 s41, s11, s39
	s_add_u32 s4, s20, s4
	s_addc_u32 s5, s21, s5
	;; [unrolled: 2-line block ×3, first 2 shown]
	s_add_u32 s4, s4, s38
	v_mov_b32_e32 v2, 0
	s_addc_u32 s5, s5, s39
	global_store_dword v2, v7, s[40:41]
	global_store_dword v2, v8, s[4:5]
.LBB4_47:
	s_or_b64 exec, exec, s[2:3]
	s_mov_b32 s4, 0
	v_mov_b32_e32 v16, 0
	v_lshrrev_b32_e32 v24, 1, v6
	v_and_b32_e32 v23, 1, v0
	v_mov_b32_e32 v15, 0
	v_mov_b32_e32 v14, 0
	s_and_saveexec_b64 s[20:21], s[0:1]
	s_cbranch_execz .LBB4_61
; %bb.48:
	s_ashr_i32 s15, s14, 31
	s_sub_i32 s9, s12, s17
	s_lshl_b64 s[0:1], s[14:15], 2
	s_add_u32 s11, s36, s0
	s_addc_u32 s14, s37, s1
	s_abs_i32 s15, s18
	v_cvt_f32_u32_e32 v2, s15
	v_and_b32_e32 v25, 4, v4
	v_or_b32_e32 v4, 64, v24
	s_movk_i32 s0, 0x50
	v_rcp_iflag_f32_e32 v3, v2
	v_cmp_gt_u32_e32 vcc, s0, v4
	s_sub_i32 s0, 0, s15
	s_add_i32 s18, s7, -1
	v_mul_f32_e32 v3, 0x4f7ffffe, v3
	v_cvt_u32_f32_e32 v3, v3
	s_mov_b32 s6, s4
	v_lshl_or_b32 v2, v24, 3, v25
	v_lshl_or_b32 v4, v4, 3, v25
	v_mul_lo_u32 v6, s0, v3
	s_lshl_b64 s[0:1], s[34:35], 2
	v_mul_hi_u32 v6, v3, v6
	s_add_u32 s0, s30, s0
	v_add_u32_e32 v26, v3, v6
	v_lshlrev_b64 v[6:7], 2, v[18:19]
	s_addc_u32 s1, s31, s1
	v_mov_b32_e32 v3, s1
	v_add_co_u32_e64 v20, s[0:1], s0, v6
	v_addc_co_u32_e64 v21, s[0:1], v3, v7, s[0:1]
	v_lshlrev_b32_e32 v3, 4, v23
	v_lshl_or_b32 v3, v5, 5, v3
	s_mov_b32 s5, s4
	v_mov_b32_e32 v16, s6
	s_mov_b32 s17, s13
	v_add_u32_e32 v19, 0x150, v3
	s_mov_b64 s[12:13], 0
	v_mov_b32_e32 v15, s5
	v_mov_b32_e32 v14, s4
	v_lshlrev_b32_e32 v27, 2, v2
	v_lshlrev_b32_e32 v28, 2, v4
	s_branch .LBB4_52
.LBB4_49:                               ;   in Loop: Header=BB4_52 Depth=1
	s_or_b64 exec, exec, s[2:3]
	s_waitcnt vmcnt(0)
	v_mul_f32_e32 v3, v3, v7
	v_fmac_f32_e32 v3, v2, v6
	v_fmac_f32_e32 v3, v4, v8
	;; [unrolled: 1-line block ×3, first 2 shown]
	v_add_f32_e32 v16, v16, v3
.LBB4_50:                               ;   in Loop: Header=BB4_52 Depth=1
	s_or_b64 exec, exec, s[6:7]
.LBB4_51:                               ;   in Loop: Header=BB4_52 Depth=1
	s_or_b64 exec, exec, s[4:5]
	v_add_co_u32_e64 v20, s[0:1], 8, v20
	v_add_u32_e32 v18, 2, v18
	v_addc_co_u32_e64 v21, s[0:1], 0, v21, s[0:1]
	v_cmp_le_i32_e64 s[0:1], s47, v18
	v_add_u32_e32 v17, 16, v17
	s_or_b64 s[12:13], s[0:1], s[12:13]
	v_add_u32_e32 v19, 64, v19
	s_andn2_b64 exec, exec, s[12:13]
	s_cbranch_execz .LBB4_60
.LBB4_52:                               ; =>This Inner Loop Header: Depth=1
	v_sub_u32_e32 v3, 0, v17
	v_max_i32_e32 v3, v17, v3
	v_mul_hi_u32 v4, v3, s33
	v_mul_lo_u32 v5, v4, s25
	v_sub_u32_e32 v3, v3, v5
	v_add_u32_e32 v5, 1, v4
	v_cmp_le_u32_e64 s[0:1], s25, v3
	v_cndmask_b32_e64 v4, v4, v5, s[0:1]
	v_subrev_u32_e32 v5, s25, v3
	v_cndmask_b32_e64 v3, v3, v5, s[0:1]
	v_ashrrev_i32_e32 v2, 31, v17
	v_add_u32_e32 v5, 1, v4
	v_cmp_le_u32_e64 s[0:1], s25, v3
	v_xor_b32_e32 v2, s19, v2
	v_cndmask_b32_e64 v3, v4, v5, s[0:1]
	v_xor_b32_e32 v3, v3, v2
	v_sub_u32_e32 v2, v3, v2
	v_add_u32_e32 v3, s46, v2
	v_sub_u32_e32 v5, 0, v3
	v_ashrrev_i32_e32 v4, 31, v3
	v_max_i32_e32 v3, v3, v5
	v_mul_hi_u32 v5, v3, v26
	v_mul_lo_u32 v5, v5, s15
	v_sub_u32_e32 v3, v3, v5
	v_subrev_u32_e32 v5, s15, v3
	v_cmp_le_u32_e64 s[0:1], s15, v3
	v_cndmask_b32_e64 v3, v3, v5, s[0:1]
	v_subrev_u32_e32 v5, s15, v3
	v_cmp_le_u32_e64 s[0:1], s15, v3
	v_cndmask_b32_e64 v3, v3, v5, s[0:1]
	v_xor_b32_e32 v3, v3, v4
	v_sub_u32_e32 v3, v3, v4
	v_cmp_eq_u32_e64 s[0:1], 0, v3
	v_cmp_lt_i32_e64 s[2:3], s9, v2
	s_or_b64 s[0:1], s[0:1], s[2:3]
	s_and_saveexec_b64 s[4:5], s[0:1]
	s_cbranch_execz .LBB4_51
; %bb.53:                               ;   in Loop: Header=BB4_52 Depth=1
	global_load_dword v2, v[20:21], off
	v_mov_b32_e32 v4, s14
	v_add_u32_e32 v29, v25, v17
	s_waitcnt vmcnt(0)
	v_mad_i64_i32 v[2:3], s[0:1], v2, s17, 0
	v_lshlrev_b64 v[2:3], 2, v[2:3]
	v_add_co_u32_e64 v30, s[0:1], s11, v2
	v_addc_co_u32_e64 v31, s[0:1], v4, v3, s[0:1]
	v_add_co_u32_e64 v10, s[0:1], v30, v27
	v_addc_co_u32_e64 v11, s[0:1], 0, v31, s[0:1]
	global_load_dwordx4 v[6:9], v[10:11], off
	ds_read_b128 v[2:5], v19
	v_cmp_eq_u32_e64 s[0:1], s18, v18
	s_and_saveexec_b64 s[6:7], s[0:1]
	s_cbranch_execz .LBB4_55
; %bb.54:                               ;   in Loop: Header=BB4_52 Depth=1
	v_cmp_gt_i32_e64 s[2:3], s29, v29
	v_add_u32_e32 v12, 1, v29
	s_waitcnt vmcnt(0)
	v_cndmask_b32_e64 v6, 0, v6, s[2:3]
	v_cmp_gt_i32_e64 s[2:3], s29, v12
	v_add_u32_e32 v12, 2, v29
	v_cndmask_b32_e64 v7, 0, v7, s[2:3]
	v_cmp_gt_i32_e64 s[2:3], s29, v12
	v_add_u32_e32 v12, 3, v29
	v_cndmask_b32_e64 v8, 0, v8, s[2:3]
	v_cmp_gt_i32_e64 s[2:3], s29, v12
	v_cndmask_b32_e64 v9, 0, v9, s[2:3]
.LBB4_55:                               ;   in Loop: Header=BB4_52 Depth=1
	s_or_b64 exec, exec, s[6:7]
	global_load_dwordx4 v[10:13], v[10:11], off offset:1024
	s_and_saveexec_b64 s[6:7], s[0:1]
	s_cbranch_execz .LBB4_57
; %bb.56:                               ;   in Loop: Header=BB4_52 Depth=1
	v_cmp_gt_i32_e64 s[2:3], s29, v29
	v_add_u32_e32 v32, 1, v29
	s_waitcnt vmcnt(0)
	v_cndmask_b32_e64 v10, 0, v10, s[2:3]
	v_cmp_gt_i32_e64 s[2:3], s29, v32
	v_add_u32_e32 v32, 2, v29
	v_cndmask_b32_e64 v11, 0, v11, s[2:3]
	v_cmp_gt_i32_e64 s[2:3], s29, v32
	v_add_u32_e32 v32, 3, v29
	v_cndmask_b32_e64 v12, 0, v12, s[2:3]
	v_cmp_gt_i32_e64 s[2:3], s29, v32
	v_cndmask_b32_e64 v13, 0, v13, s[2:3]
.LBB4_57:                               ;   in Loop: Header=BB4_52 Depth=1
	s_or_b64 exec, exec, s[6:7]
	s_waitcnt vmcnt(1) lgkmcnt(0)
	v_mul_f32_e32 v7, v3, v7
	v_fmac_f32_e32 v7, v2, v6
	s_waitcnt vmcnt(0)
	v_mul_f32_e32 v6, v3, v11
	v_fmac_f32_e32 v6, v2, v10
	v_fmac_f32_e32 v7, v4, v8
	;; [unrolled: 1-line block ×5, first 2 shown]
	v_add_f32_e32 v14, v14, v7
	v_add_f32_e32 v15, v15, v6
	s_and_saveexec_b64 s[6:7], vcc
	s_cbranch_execz .LBB4_50
; %bb.58:                               ;   in Loop: Header=BB4_52 Depth=1
	v_add_co_u32_e64 v6, s[2:3], v30, v28
	v_addc_co_u32_e64 v7, s[2:3], 0, v31, s[2:3]
	global_load_dwordx4 v[6:9], v[6:7], off
	s_and_saveexec_b64 s[2:3], s[0:1]
	s_cbranch_execz .LBB4_49
; %bb.59:                               ;   in Loop: Header=BB4_52 Depth=1
	v_cmp_gt_i32_e64 s[0:1], s29, v29
	v_add_u32_e32 v10, 1, v29
	s_waitcnt vmcnt(0)
	v_cndmask_b32_e64 v6, 0, v6, s[0:1]
	v_cmp_gt_i32_e64 s[0:1], s29, v10
	v_add_u32_e32 v10, 2, v29
	v_cndmask_b32_e64 v7, 0, v7, s[0:1]
	v_cmp_gt_i32_e64 s[0:1], s29, v10
	v_add_u32_e32 v10, 3, v29
	v_cndmask_b32_e64 v8, 0, v8, s[0:1]
	v_cmp_gt_i32_e64 s[0:1], s29, v10
	v_cndmask_b32_e64 v9, 0, v9, s[0:1]
	s_branch .LBB4_49
.LBB4_60:
	s_or_b64 exec, exec, s[12:13]
.LBB4_61:
	s_or_b64 exec, exec, s[20:21]
	ds_bpermute_b32 v2, v22, v14
	ds_bpermute_b32 v3, v22, v15
	;; [unrolled: 1-line block ×3, first 2 shown]
	v_and_b32_e32 v5, 0x3c0, v0
	v_cmp_eq_u32_e32 vcc, 64, v5
	s_waitcnt lgkmcnt(0)
	v_pk_add_f32 v[2:3], v[14:15], v[2:3]
	v_add_f32_e32 v4, v16, v4
	s_barrier
	s_and_saveexec_b64 s[2:3], vcc
	s_cbranch_execz .LBB4_66
; %bb.62:
	v_cmp_eq_u32_e32 vcc, 0, v23
	s_and_saveexec_b64 s[0:1], vcc
	s_cbranch_execz .LBB4_64
; %bb.63:
	v_mov_b32_e32 v5, 0x150
	v_lshl_add_u32 v5, v24, 2, v5
	ds_write2_b32 v5, v2, v3 offset1:32
.LBB4_64:
	s_or_b64 exec, exec, s[0:1]
	v_or_b32_e32 v5, 64, v24
	s_movk_i32 s0, 0x50
	v_cmp_gt_u32_e64 s[0:1], s0, v5
	s_and_b64 s[0:1], vcc, s[0:1]
	s_and_b64 exec, exec, s[0:1]
	s_cbranch_execz .LBB4_66
; %bb.65:
	v_mov_b32_e32 v5, 0x150
	v_lshl_add_u32 v5, v24, 2, v5
	ds_write_b32 v5, v4 offset:256
.LBB4_66:
	s_or_b64 exec, exec, s[2:3]
	v_cmp_gt_u32_e32 vcc, 64, v0
	s_waitcnt lgkmcnt(0)
	s_barrier
	s_and_saveexec_b64 s[4:5], vcc
	s_cbranch_execz .LBB4_74
; %bb.67:
	v_cmp_eq_u32_e64 s[0:1], 0, v23
	s_and_saveexec_b64 s[2:3], s[0:1]
	s_cbranch_execz .LBB4_69
; %bb.68:
	v_mov_b32_e32 v0, 0x150
	v_lshl_add_u32 v0, v1, 2, v0
	ds_read_b32 v0, v0
	s_waitcnt lgkmcnt(0)
	v_add_f32_e32 v2, v2, v0
.LBB4_69:
	s_or_b64 exec, exec, s[2:3]
	s_and_saveexec_b64 s[2:3], s[0:1]
	s_cbranch_execz .LBB4_71
; %bb.70:
	v_mov_b32_e32 v0, 0x150
	v_lshl_add_u32 v0, v1, 2, v0
	ds_read_b32 v0, v0 offset:128
	s_waitcnt lgkmcnt(0)
	v_add_f32_e32 v3, v3, v0
.LBB4_71:
	s_or_b64 exec, exec, s[2:3]
	v_or_b32_e32 v0, 64, v1
	s_movk_i32 s2, 0x50
	v_cmp_gt_u32_e64 s[2:3], s2, v0
	s_and_b64 s[2:3], s[0:1], s[2:3]
	s_and_saveexec_b64 s[0:1], s[2:3]
	s_cbranch_execz .LBB4_73
; %bb.72:
	v_mov_b32_e32 v0, 0x150
	v_lshl_add_u32 v0, v1, 2, v0
	ds_read_b32 v0, v0 offset:256
	s_waitcnt lgkmcnt(0)
	v_add_f32_e32 v4, v4, v0
.LBB4_73:
	s_or_b64 exec, exec, s[0:1]
.LBB4_74:
	s_or_b64 exec, exec, s[4:5]
	s_barrier
	s_and_saveexec_b64 s[0:1], vcc
	s_cbranch_execz .LBB4_79
; %bb.75:
	s_mul_i32 s0, s10, 0x50
	s_ashr_i32 s1, s0, 31
	s_lshl_b64 s[0:1], s[0:1], 2
	s_add_u32 s2, s26, s0
	s_mul_i32 s0, s16, s24
	s_addc_u32 s3, s27, s1
	s_ashr_i32 s1, s0, 31
	s_lshl_b64 s[0:1], s[0:1], 2
	s_add_u32 s2, s2, s0
	s_mul_i32 s0, s8, 0x50
	s_addc_u32 s3, s3, s1
	s_ashr_i32 s1, s0, 31
	s_lshl_b64 s[0:1], s[0:1], 2
	s_add_u32 s2, s2, s0
	s_movk_i32 s4, 0x50
	s_addc_u32 s3, s3, s1
	v_cmp_eq_u32_e32 vcc, 0, v23
	v_lshlrev_b32_e32 v0, 2, v1
	s_and_saveexec_b64 s[0:1], vcc
	s_cbranch_execz .LBB4_77
; %bb.76:
	global_store_dword v0, v2, s[2:3]
	global_store_dword v0, v3, s[2:3] offset:128
.LBB4_77:
	s_or_b64 exec, exec, s[0:1]
	v_or_b32_e32 v1, 64, v1
	v_cmp_gt_u32_e64 s[0:1], s4, v1
	s_and_b64 s[0:1], vcc, s[0:1]
	s_and_b64 exec, exec, s[0:1]
	s_cbranch_execz .LBB4_79
; %bb.78:
	global_store_dword v0, v4, s[2:3] offset:256
.LBB4_79:
	s_endpgm
	.section	.rodata,"a",@progbits
	.p2align	6, 0x0
	.amdhsa_kernel _ZN4vllm25paged_attention_v2_kernelIffLi80ELi8ELi128ELNS_18Fp8KVCacheDataTypeE0ELb1ELi512EEEvPfS2_PT_PKS3_PKT0_S9_ifPKiSB_iPKfiiiSD_SD_iiiii
		.amdhsa_group_segment_fixed_size 336
		.amdhsa_private_segment_fixed_size 0
		.amdhsa_kernarg_size 400
		.amdhsa_user_sgpr_count 6
		.amdhsa_user_sgpr_private_segment_buffer 1
		.amdhsa_user_sgpr_dispatch_ptr 0
		.amdhsa_user_sgpr_queue_ptr 0
		.amdhsa_user_sgpr_kernarg_segment_ptr 1
		.amdhsa_user_sgpr_dispatch_id 0
		.amdhsa_user_sgpr_flat_scratch_init 0
		.amdhsa_user_sgpr_kernarg_preload_length 0
		.amdhsa_user_sgpr_kernarg_preload_offset 0
		.amdhsa_user_sgpr_private_segment_size 0
		.amdhsa_uses_dynamic_stack 0
		.amdhsa_system_sgpr_private_segment_wavefront_offset 0
		.amdhsa_system_sgpr_workgroup_id_x 1
		.amdhsa_system_sgpr_workgroup_id_y 1
		.amdhsa_system_sgpr_workgroup_id_z 1
		.amdhsa_system_sgpr_workgroup_info 0
		.amdhsa_system_vgpr_workitem_id 0
		.amdhsa_next_free_vgpr 47
		.amdhsa_next_free_sgpr 52
		.amdhsa_accum_offset 48
		.amdhsa_reserve_vcc 1
		.amdhsa_reserve_flat_scratch 0
		.amdhsa_float_round_mode_32 0
		.amdhsa_float_round_mode_16_64 0
		.amdhsa_float_denorm_mode_32 3
		.amdhsa_float_denorm_mode_16_64 3
		.amdhsa_dx10_clamp 1
		.amdhsa_ieee_mode 1
		.amdhsa_fp16_overflow 0
		.amdhsa_tg_split 0
		.amdhsa_exception_fp_ieee_invalid_op 0
		.amdhsa_exception_fp_denorm_src 0
		.amdhsa_exception_fp_ieee_div_zero 0
		.amdhsa_exception_fp_ieee_overflow 0
		.amdhsa_exception_fp_ieee_underflow 0
		.amdhsa_exception_fp_ieee_inexact 0
		.amdhsa_exception_int_div_zero 0
	.end_amdhsa_kernel
	.section	.text._ZN4vllm25paged_attention_v2_kernelIffLi80ELi8ELi128ELNS_18Fp8KVCacheDataTypeE0ELb1ELi512EEEvPfS2_PT_PKS3_PKT0_S9_ifPKiSB_iPKfiiiSD_SD_iiiii,"axG",@progbits,_ZN4vllm25paged_attention_v2_kernelIffLi80ELi8ELi128ELNS_18Fp8KVCacheDataTypeE0ELb1ELi512EEEvPfS2_PT_PKS3_PKT0_S9_ifPKiSB_iPKfiiiSD_SD_iiiii,comdat
.Lfunc_end4:
	.size	_ZN4vllm25paged_attention_v2_kernelIffLi80ELi8ELi128ELNS_18Fp8KVCacheDataTypeE0ELb1ELi512EEEvPfS2_PT_PKS3_PKT0_S9_ifPKiSB_iPKfiiiSD_SD_iiiii, .Lfunc_end4-_ZN4vllm25paged_attention_v2_kernelIffLi80ELi8ELi128ELNS_18Fp8KVCacheDataTypeE0ELb1ELi512EEEvPfS2_PT_PKS3_PKT0_S9_ifPKiSB_iPKfiiiSD_SD_iiiii
                                        ; -- End function
	.section	.AMDGPU.csdata,"",@progbits
; Kernel info:
; codeLenInByte = 4812
; NumSgprs: 56
; NumVgprs: 47
; NumAgprs: 0
; TotalNumVgprs: 47
; ScratchSize: 0
; MemoryBound: 0
; FloatMode: 240
; IeeeMode: 1
; LDSByteSize: 336 bytes/workgroup (compile time only)
; SGPRBlocks: 6
; VGPRBlocks: 5
; NumSGPRsForWavesPerEU: 56
; NumVGPRsForWavesPerEU: 47
; AccumOffset: 48
; Occupancy: 8
; WaveLimiterHint : 1
; COMPUTE_PGM_RSRC2:SCRATCH_EN: 0
; COMPUTE_PGM_RSRC2:USER_SGPR: 6
; COMPUTE_PGM_RSRC2:TRAP_HANDLER: 0
; COMPUTE_PGM_RSRC2:TGID_X_EN: 1
; COMPUTE_PGM_RSRC2:TGID_Y_EN: 1
; COMPUTE_PGM_RSRC2:TGID_Z_EN: 1
; COMPUTE_PGM_RSRC2:TIDIG_COMP_CNT: 0
; COMPUTE_PGM_RSRC3_GFX90A:ACCUM_OFFSET: 11
; COMPUTE_PGM_RSRC3_GFX90A:TG_SPLIT: 0
	.section	.text._ZN4vllm32paged_attention_v2_reduce_kernelIfLi80ELi128ELi512EEEvPT_PKfS4_PKS1_PKii,"axG",@progbits,_ZN4vllm32paged_attention_v2_reduce_kernelIfLi80ELi128ELi512EEEvPT_PKfS4_PKS1_PKii,comdat
	.protected	_ZN4vllm32paged_attention_v2_reduce_kernelIfLi80ELi128ELi512EEEvPT_PKfS4_PKS1_PKii ; -- Begin function _ZN4vllm32paged_attention_v2_reduce_kernelIfLi80ELi128ELi512EEEvPT_PKfS4_PKS1_PKii
	.globl	_ZN4vllm32paged_attention_v2_reduce_kernelIfLi80ELi128ELi512EEEvPT_PKfS4_PKS1_PKii
	.p2align	8
	.type	_ZN4vllm32paged_attention_v2_reduce_kernelIfLi80ELi128ELi512EEEvPT_PKfS4_PKS1_PKii,@function
_ZN4vllm32paged_attention_v2_reduce_kernelIfLi80ELi128ELi512EEEvPT_PKfS4_PKS1_PKii: ; @_ZN4vllm32paged_attention_v2_reduce_kernelIfLi80ELi128ELi512EEEvPT_PKfS4_PKS1_PKii
; %bb.0:
	s_load_dwordx4 s[8:11], s[4:5], 0x18
	s_add_u32 s12, s4, 48
	s_mov_b32 s14, s7
	s_addc_u32 s13, s5, 0
	s_ashr_i32 s15, s7, 31
	s_lshl_b64 s[0:1], s[14:15], 2
	s_waitcnt lgkmcnt(0)
	s_add_u32 s0, s10, s0
	s_addc_u32 s1, s11, s1
	s_load_dword s24, s[0:1], 0x0
	s_load_dwordx2 s[10:11], s[4:5], 0x0
	s_load_dword s7, s[4:5], 0x28
	s_load_dword s15, s[4:5], 0x30
	s_waitcnt lgkmcnt(0)
	s_add_i32 s0, s24, -1
	s_cmpk_gt_u32 s0, 0x1ff
	s_mov_b64 s[0:1], -1
	s_cbranch_scc0 .LBB5_25
; %bb.1:
	s_add_i32 s0, s24, 0x1ff
	s_load_dwordx2 s[20:21], s[4:5], 0x8
	s_ashr_i32 s1, s0, 31
	s_lshr_b32 s1, s1, 23
	s_add_i32 s0, s0, s1
	s_mul_i32 s22, s15, s14
	s_ashr_i32 s23, s0, 9
	s_mul_i32 s16, s22, s7
	s_mul_i32 s18, s6, s7
	s_ashr_i32 s17, s16, 31
	s_ashr_i32 s19, s18, 31
	v_cmp_gt_i32_e32 vcc, s23, v0
	v_mov_b32_e32 v4, 0xff7fffff
	s_and_saveexec_b64 s[2:3], vcc
	s_cbranch_execz .LBB5_5
; %bb.2:
	s_load_dword s25, s[12:13], 0xc
	s_load_dwordx2 s[0:1], s[4:5], 0x10
	s_lshl_b64 s[4:5], s[16:17], 2
	s_lshl_b64 s[26:27], s[18:19], 2
	v_lshlrev_b32_e32 v1, 2, v0
	s_waitcnt lgkmcnt(0)
	s_and_b32 s25, s25, 0xffff
	s_add_u32 s4, s4, s26
	s_addc_u32 s5, s5, s27
	s_add_u32 s0, s0, s4
	s_addc_u32 s1, s1, s5
	s_mov_b32 s28, 0
	v_mov_b32_e32 v3, s1
	v_add_co_u32_e64 v2, s[0:1], s0, v1
	v_addc_co_u32_e64 v3, s[0:1], 0, v3, s[0:1]
	s_lshl_b32 s26, s25, 2
	v_add_u32_e32 v1, 16, v1
	s_mov_b64 s[4:5], 0
	v_mov_b32_e32 v4, 0xff7fffff
	v_mov_b32_e32 v5, s28
	;; [unrolled: 1-line block ×3, first 2 shown]
.LBB5_3:                                ; =>This Inner Loop Header: Depth=1
	global_load_dword v7, v[2:3], off
	v_add_co_u32_e64 v2, s[0:1], s26, v2
	v_add_u32_e32 v6, s25, v6
	v_addc_co_u32_e64 v3, s[0:1], v3, v5, s[0:1]
	v_max_f32_e32 v4, v4, v4
	v_cmp_le_i32_e64 s[0:1], s23, v6
	s_or_b64 s[4:5], s[0:1], s[4:5]
	s_waitcnt vmcnt(0)
	ds_write_b32 v1, v7
	v_max_f32_e32 v7, v7, v7
	v_add_u32_e32 v1, s26, v1
	v_max_f32_e32 v4, v4, v7
	s_andn2_b64 exec, exec, s[4:5]
	s_cbranch_execnz .LBB5_3
; %bb.4:
	s_or_b64 exec, exec, s[4:5]
.LBB5_5:
	s_or_b64 exec, exec, s[2:3]
	v_mbcnt_lo_u32_b32 v1, -1, 0
	v_mbcnt_hi_u32_b32 v2, -1, v1
	v_and_b32_e32 v1, 64, v2
	v_add_u32_e32 v5, 64, v1
	v_xor_b32_e32 v1, 32, v2
	v_cmp_lt_i32_e64 s[0:1], v1, v5
	v_cndmask_b32_e64 v1, v2, v1, s[0:1]
	v_lshlrev_b32_e32 v1, 2, v1
	ds_bpermute_b32 v3, v1, v4
	v_xor_b32_e32 v6, 16, v2
	v_max_f32_e32 v4, v4, v4
	v_cmp_lt_i32_e64 s[0:1], v6, v5
	v_xor_b32_e32 v7, 8, v2
	s_waitcnt lgkmcnt(0)
	v_max_f32_e32 v3, v3, v3
	v_max_f32_e32 v3, v4, v3
	v_cndmask_b32_e64 v4, v2, v6, s[0:1]
	v_lshlrev_b32_e32 v4, 2, v4
	ds_bpermute_b32 v6, v4, v3
	v_cmp_lt_i32_e64 s[0:1], v7, v5
	v_xor_b32_e32 v8, 4, v2
	v_xor_b32_e32 v9, 2, v2
	v_lshrrev_b32_e32 v12, 6, v0
	s_waitcnt lgkmcnt(0)
	v_max_f32_e32 v6, v6, v6
	v_max_f32_e32 v3, v3, v6
	v_cndmask_b32_e64 v6, v2, v7, s[0:1]
	v_lshlrev_b32_e32 v6, 2, v6
	ds_bpermute_b32 v7, v6, v3
	v_cmp_lt_i32_e64 s[0:1], v8, v5
	s_waitcnt lgkmcnt(0)
	s_barrier
	v_max_f32_e32 v7, v7, v7
	v_max_f32_e32 v3, v3, v7
	v_cndmask_b32_e64 v7, v2, v8, s[0:1]
	v_lshlrev_b32_e32 v7, 2, v7
	ds_bpermute_b32 v8, v7, v3
	v_cmp_lt_i32_e64 s[0:1], v9, v5
	s_waitcnt lgkmcnt(0)
	v_max_f32_e32 v8, v8, v8
	v_max_f32_e32 v10, v3, v8
	v_cndmask_b32_e64 v3, v2, v9, s[0:1]
	v_lshlrev_b32_e32 v8, 2, v3
	ds_bpermute_b32 v9, v8, v10
	v_and_b32_e32 v3, 63, v0
	s_waitcnt lgkmcnt(0)
	v_max_f32_e32 v9, v9, v9
	v_max_f32_e32 v10, v10, v9
	v_xor_b32_e32 v9, 1, v2
	v_cmp_lt_i32_e64 s[0:1], v9, v5
	v_cndmask_b32_e64 v5, v2, v9, s[0:1]
	v_lshlrev_b32_e32 v5, 2, v5
	ds_bpermute_b32 v11, v5, v10
	v_cmp_eq_u32_e64 s[0:1], 0, v3
	v_lshlrev_b32_e32 v9, 2, v12
	s_and_saveexec_b64 s[2:3], s[0:1]
	s_cbranch_execz .LBB5_7
; %bb.6:
	s_waitcnt lgkmcnt(0)
	v_max_f32_e32 v11, v11, v11
	v_max_f32_e32 v10, v10, v10
	;; [unrolled: 1-line block ×3, first 2 shown]
	ds_write_b32 v9, v10
.LBB5_7:
	s_or_b64 exec, exec, s[2:3]
	v_cmp_gt_u32_e64 s[2:3], 2, v3
	s_waitcnt lgkmcnt(0)
	v_mov_b32_e32 v11, 0xff7fffff
	v_lshlrev_b32_e32 v10, 2, v3
	s_barrier
	s_and_saveexec_b64 s[4:5], s[2:3]
	s_cbranch_execz .LBB5_9
; %bb.8:
	ds_read_b32 v11, v10
.LBB5_9:
	s_or_b64 exec, exec, s[4:5]
	s_waitcnt lgkmcnt(0)
	ds_bpermute_b32 v3, v5, v11
	v_max_f32_e32 v11, v11, v11
	v_lshlrev_b32_e32 v2, 2, v2
	s_lshl_b32 s25, s23, 2
	v_mov_b32_e32 v13, 0
	s_waitcnt lgkmcnt(0)
	v_max_f32_e32 v3, v3, v3
	v_max_f32_e32 v3, v11, v3
	v_and_b32_e32 v11, 0x100, v2
	ds_bpermute_b32 v12, v11, v3
	s_and_saveexec_b64 s[4:5], vcc
	s_cbranch_execz .LBB5_13
; %bb.10:
	s_load_dword s30, s[12:13], 0xc
	s_lshl_b64 s[26:27], s[16:17], 2
	s_lshl_b64 s[28:29], s[18:19], 2
	v_lshlrev_b32_e32 v13, 2, v0
	s_mov_b32 s31, 0
	s_waitcnt lgkmcnt(0)
	s_and_b32 s17, s30, 0xffff
	s_add_u32 s19, s26, s28
	s_addc_u32 s26, s27, s29
	s_add_u32 s19, s20, s19
	s_addc_u32 s20, s21, s26
	v_mov_b32_e32 v3, s20
	v_add_co_u32_e32 v2, vcc, s19, v13
	v_addc_co_u32_e32 v3, vcc, 0, v3, vcc
	s_lshl_b32 s19, s17, 2
	v_add_u32_e32 v14, 16, v13
	s_mov_b64 s[20:21], 0
	v_mov_b32_e32 v13, 0
	s_mov_b32 s26, 0x3fb8aa3b
	s_mov_b32 s27, 0xc2ce8ed0
	;; [unrolled: 1-line block ×3, first 2 shown]
	v_mov_b32_e32 v15, 0x7f800000
	v_mov_b32_e32 v16, s31
	;; [unrolled: 1-line block ×3, first 2 shown]
.LBB5_11:                               ; =>This Inner Loop Header: Depth=1
	global_load_dword v18, v[2:3], off
	ds_read_b32 v19, v14
	v_add_co_u32_e32 v2, vcc, s19, v2
	v_add_u32_e32 v17, s17, v17
	v_addc_co_u32_e32 v3, vcc, v3, v16, vcc
	s_waitcnt lgkmcnt(0)
	v_sub_f32_e32 v19, v19, v12
	v_mul_f32_e32 v21, 0x3fb8aa3b, v19
	v_fma_f32 v22, v19, s26, -v21
	v_rndne_f32_e32 v23, v21
	v_fmac_f32_e32 v22, 0x32a5705f, v19
	v_sub_f32_e32 v21, v21, v23
	v_add_f32_e32 v21, v21, v22
	v_cvt_i32_f32_e32 v23, v23
	v_exp_f32_e32 v21, v21
	v_cmp_le_i32_e32 vcc, s23, v17
	s_or_b64 s[20:21], vcc, s[20:21]
	v_cmp_ngt_f32_e32 vcc, s27, v19
	v_ldexp_f32 v21, v21, v23
	v_cndmask_b32_e32 v21, 0, v21, vcc
	v_cmp_nlt_f32_e32 vcc, s28, v19
	v_cndmask_b32_e32 v19, v15, v21, vcc
	v_add_u32_e32 v20, s25, v14
	v_add_u32_e32 v14, s19, v14
	s_waitcnt vmcnt(0)
	v_mul_f32_e32 v21, v18, v19
	v_fmac_f32_e32 v13, v18, v19
	ds_write_b32 v20, v21
	s_andn2_b64 exec, exec, s[20:21]
	s_cbranch_execnz .LBB5_11
; %bb.12:
	s_or_b64 exec, exec, s[20:21]
.LBB5_13:
	s_or_b64 exec, exec, s[4:5]
	ds_bpermute_b32 v1, v1, v13
	s_waitcnt lgkmcnt(0)
	s_barrier
	v_add_f32_e32 v1, v13, v1
	ds_bpermute_b32 v2, v4, v1
	s_waitcnt lgkmcnt(0)
	v_add_f32_e32 v1, v1, v2
	ds_bpermute_b32 v2, v6, v1
	s_waitcnt lgkmcnt(0)
	v_add_f32_e32 v1, v1, v2
	ds_bpermute_b32 v2, v7, v1
	s_waitcnt lgkmcnt(0)
	v_add_f32_e32 v1, v1, v2
	ds_bpermute_b32 v2, v8, v1
	s_waitcnt lgkmcnt(0)
	v_add_f32_e32 v1, v1, v2
	ds_bpermute_b32 v2, v5, v1
	s_waitcnt lgkmcnt(0)
	v_add_f32_e32 v1, v1, v2
	s_and_saveexec_b64 s[4:5], s[0:1]
	s_cbranch_execz .LBB5_15
; %bb.14:
	ds_write_b32 v9, v1 offset:8
.LBB5_15:
	s_or_b64 exec, exec, s[4:5]
	s_waitcnt lgkmcnt(0)
	s_barrier
	s_and_saveexec_b64 s[0:1], s[2:3]
	s_cbranch_execz .LBB5_17
; %bb.16:
	ds_read_b32 v1, v10 offset:8
.LBB5_17:
	s_or_b64 exec, exec, s[0:1]
	s_waitcnt lgkmcnt(0)
	ds_bpermute_b32 v2, v5, v1
	s_movk_i32 s0, 0x50
	v_cmp_gt_u32_e32 vcc, s0, v0
	s_waitcnt lgkmcnt(0)
	v_add_f32_e32 v1, v1, v2
	ds_bpermute_b32 v2, v11, v1
	s_and_saveexec_b64 s[0:1], vcc
	s_cbranch_execz .LBB5_24
; %bb.18:
	s_cmp_gt_i32 s24, 0
	s_mov_b32 s4, 0
	s_cbranch_scc1 .LBB5_20
; %bb.19:
	v_mov_b32_e32 v1, 0
	v_mov_b32_e32 v4, s4
	s_cbranch_execz .LBB5_21
	s_branch .LBB5_23
.LBB5_20:
                                        ; implicit-def: $sgpr4
	v_mov_b32_e32 v4, s4
.LBB5_21:
	s_waitcnt lgkmcnt(0)
	v_add_f32_e32 v1, 0x358637bd, v2
	v_div_scale_f32 v2, s[2:3], v1, v1, 1.0
	v_rcp_f32_e32 v3, v2
	s_mul_i32 s4, s16, 0x50
	s_mul_i32 s16, s18, 0x50
	s_ashr_i32 s5, s4, 31
	v_fma_f32 v4, -v2, v3, 1.0
	v_fmac_f32_e32 v3, v4, v3
	v_div_scale_f32 v4, vcc, 1.0, v1, 1.0
	v_mul_f32_e32 v5, v4, v3
	s_ashr_i32 s17, s16, 31
	s_max_i32 s2, s23, 1
	v_fma_f32 v6, -v2, v5, v4
	s_add_i32 s3, s25, 16
	s_lshl_b64 s[4:5], s[4:5], 2
	s_lshl_b64 s[16:17], s[16:17], 2
	v_fmac_f32_e32 v5, v6, v3
	s_add_u32 s4, s4, s16
	v_fma_f32 v2, -v2, v5, v4
	s_addc_u32 s5, s5, s17
	v_div_fmas_f32 v2, v2, v3, v5
	s_add_u32 s4, s8, s4
	v_div_fixup_f32 v5, v2, v1, 1.0
	v_lshlrev_b32_e32 v2, 2, v0
	s_addc_u32 s5, s9, s5
	v_mov_b32_e32 v1, 0
	v_mov_b32_e32 v3, s5
	v_add_co_u32_e32 v2, vcc, s4, v2
	v_addc_co_u32_e32 v3, vcc, 0, v3, vcc
	v_mov_b32_e32 v4, v1
.LBB5_22:                               ; =>This Inner Loop Header: Depth=1
	global_load_dword v6, v[2:3], off
	v_mov_b32_e32 v7, s3
	ds_read_b32 v7, v7
	s_add_i32 s2, s2, -1
	v_add_co_u32_e32 v2, vcc, 0x140, v2
	s_add_i32 s3, s3, 4
	v_addc_co_u32_e32 v3, vcc, 0, v3, vcc
	s_cmp_eq_u32 s2, 0
	s_waitcnt vmcnt(0) lgkmcnt(0)
	v_mul_f32_e32 v6, v6, v7
	v_fmac_f32_e32 v4, v5, v6
	s_cbranch_scc0 .LBB5_22
.LBB5_23:
	s_mul_i32 s2, s22, 0x50
	s_ashr_i32 s3, s2, 31
	s_lshl_b64 s[2:3], s[2:3], 2
	s_add_u32 s4, s10, s2
	s_mul_i32 s2, s6, 0x50
	s_addc_u32 s5, s11, s3
	s_ashr_i32 s3, s2, 31
	s_lshl_b64 s[2:3], s[2:3], 2
	s_add_u32 s2, s4, s2
	s_addc_u32 s3, s5, s3
	s_waitcnt lgkmcnt(0)
	v_lshlrev_b64 v[2:3], 2, v[0:1]
	v_mov_b32_e32 v1, s3
	v_add_co_u32_e32 v2, vcc, s2, v2
	v_addc_co_u32_e32 v3, vcc, v1, v3, vcc
	global_store_dword v[2:3], v4, off
.LBB5_24:
	s_or_b64 exec, exec, s[0:1]
	s_mov_b64 s[0:1], 0
.LBB5_25:
	s_and_b64 vcc, exec, s[0:1]
	s_cbranch_vccz .LBB5_34
; %bb.26:
	s_movk_i32 s0, 0x50
	v_cmp_gt_u32_e32 vcc, s0, v0
	s_and_saveexec_b64 s[2:3], vcc
	s_cbranch_execz .LBB5_34
; %bb.27:
	s_mul_i32 s1, s15, s14
	s_mul_i32 s2, s1, 0x50
	s_ashr_i32 s3, s2, 31
	s_lshl_b64 s[4:5], s[2:3], 2
	s_add_u32 s1, s10, s4
	s_mul_i32 s14, s6, 0x50
	s_addc_u32 s3, s11, s5
	s_ashr_i32 s15, s14, 31
	s_lshl_b64 s[4:5], s[14:15], 2
	s_add_u32 s4, s1, s4
	s_mul_i32 s2, s2, s7
	s_addc_u32 s10, s3, s5
	s_ashr_i32 s3, s2, 31
	s_lshl_b64 s[2:3], s[2:3], 2
	s_add_u32 s1, s8, s2
	s_load_dword s8, s[12:13], 0xc
	s_mul_i32 s2, s14, s7
	s_addc_u32 s6, s9, s3
	s_ashr_i32 s3, s2, 31
	s_lshl_b64 s[2:3], s[2:3], 2
	s_add_u32 s5, s1, s2
	s_addc_u32 s7, s6, s3
	s_waitcnt lgkmcnt(0)
	s_and_b32 s6, s8, 0xffff
	v_cvt_f32_u32_e32 v1, s6
	v_add_u32_e32 v2, s6, v0
	v_mov_b32_e32 v4, s6
	v_cmp_gt_u32_e32 vcc, s0, v2
	v_rcp_iflag_f32_e32 v1, v1
	s_cmp_eq_u32 s6, 1
	v_max_u32_e32 v3, 0x50, v2
	v_addc_co_u32_e64 v2, s[0:1], v0, v4, vcc
	v_mul_f32_e32 v1, 0x4f7ffffe, v1
	v_cvt_u32_f32_e32 v1, v1
	s_cselect_b64 s[2:3], -1, 0
	s_sub_i32 s0, 0, s6
	v_sub_u32_e32 v2, v3, v2
	v_mul_lo_u32 v3, s0, v1
	v_mul_hi_u32 v3, v1, v3
	v_add_u32_e32 v1, v1, v3
	v_mul_hi_u32 v1, v2, v1
	v_mul_lo_u32 v3, v1, s6
	v_sub_u32_e32 v2, v2, v3
	v_add_u32_e32 v3, 1, v1
	v_cmp_le_u32_e64 s[0:1], s6, v2
	v_cndmask_b32_e64 v1, v1, v3, s[0:1]
	v_subrev_u32_e32 v3, s6, v2
	v_cndmask_b32_e64 v2, v2, v3, s[0:1]
	v_add_u32_e32 v3, 1, v1
	v_cmp_le_u32_e64 s[0:1], s6, v2
	v_cndmask_b32_e64 v1, v1, v3, s[0:1]
	v_addc_co_u32_e32 v1, vcc, 1, v1, vcc
	v_cmp_lt_u32_e32 vcc, 3, v1
	s_and_b64 s[8:9], vcc, s[2:3]
	s_mov_b64 s[2:3], -1
	s_and_saveexec_b64 s[0:1], s[8:9]
	s_cbranch_execz .LBB5_31
; %bb.28:
	v_and_b32_e32 v4, -4, v1
	s_mov_b64 s[2:3], 0
	v_mov_b32_e32 v3, 0
	v_mov_b32_e32 v5, s7
	;; [unrolled: 1-line block ×5, first 2 shown]
.LBB5_29:                               ; =>This Inner Loop Header: Depth=1
	v_lshlrev_b64 v[12:13], 2, v[2:3]
	v_add_co_u32_e32 v8, vcc, s5, v12
	v_addc_co_u32_e32 v9, vcc, v5, v13, vcc
	global_load_dwordx4 v[8:11], v[8:9], off
	v_add_co_u32_e32 v12, vcc, s4, v12
	v_add_u32_e32 v7, -4, v7
	v_addc_co_u32_e32 v13, vcc, v6, v13, vcc
	v_cmp_eq_u32_e32 vcc, 0, v7
	v_add_u32_e32 v2, 4, v2
	s_or_b64 s[2:3], vcc, s[2:3]
	s_waitcnt vmcnt(0)
	global_store_dwordx4 v[12:13], v[8:11], off
	s_andn2_b64 exec, exec, s[2:3]
	s_cbranch_execnz .LBB5_29
; %bb.30:
	s_or_b64 exec, exec, s[2:3]
	v_cmp_ne_u32_e32 vcc, v1, v4
	v_add_u32_e32 v0, v0, v4
	s_orn2_b64 s[2:3], vcc, exec
.LBB5_31:
	s_or_b64 exec, exec, s[0:1]
	s_and_b64 exec, exec, s[2:3]
	s_cbranch_execz .LBB5_34
; %bb.32:
	s_mov_b32 s3, 0
	v_mov_b32_e32 v1, 0
	v_lshlrev_b64 v[2:3], 2, v[0:1]
	s_lshl_b32 s2, s6, 2
	s_mov_b64 s[0:1], 0
	v_mov_b32_e32 v1, s7
	v_mov_b32_e32 v4, s10
	;; [unrolled: 1-line block ×3, first 2 shown]
	s_movk_i32 s3, 0x4f
.LBB5_33:                               ; =>This Inner Loop Header: Depth=1
	v_add_co_u32_e32 v6, vcc, s5, v2
	v_addc_co_u32_e32 v7, vcc, v1, v3, vcc
	global_load_dword v8, v[6:7], off
	v_add_co_u32_e32 v6, vcc, s4, v2
	v_addc_co_u32_e32 v7, vcc, v4, v3, vcc
	v_add_co_u32_e32 v2, vcc, s2, v2
	v_add_u32_e32 v0, s6, v0
	v_addc_co_u32_e32 v3, vcc, v3, v5, vcc
	v_cmp_lt_u32_e32 vcc, s3, v0
	s_or_b64 s[0:1], vcc, s[0:1]
	s_waitcnt vmcnt(0)
	global_store_dword v[6:7], v8, off
	s_andn2_b64 exec, exec, s[0:1]
	s_cbranch_execnz .LBB5_33
.LBB5_34:
	s_endpgm
	.section	.rodata,"a",@progbits
	.p2align	6, 0x0
	.amdhsa_kernel _ZN4vllm32paged_attention_v2_reduce_kernelIfLi80ELi128ELi512EEEvPT_PKfS4_PKS1_PKii
		.amdhsa_group_segment_fixed_size 16
		.amdhsa_private_segment_fixed_size 0
		.amdhsa_kernarg_size 304
		.amdhsa_user_sgpr_count 6
		.amdhsa_user_sgpr_private_segment_buffer 1
		.amdhsa_user_sgpr_dispatch_ptr 0
		.amdhsa_user_sgpr_queue_ptr 0
		.amdhsa_user_sgpr_kernarg_segment_ptr 1
		.amdhsa_user_sgpr_dispatch_id 0
		.amdhsa_user_sgpr_flat_scratch_init 0
		.amdhsa_user_sgpr_kernarg_preload_length 0
		.amdhsa_user_sgpr_kernarg_preload_offset 0
		.amdhsa_user_sgpr_private_segment_size 0
		.amdhsa_uses_dynamic_stack 0
		.amdhsa_system_sgpr_private_segment_wavefront_offset 0
		.amdhsa_system_sgpr_workgroup_id_x 1
		.amdhsa_system_sgpr_workgroup_id_y 1
		.amdhsa_system_sgpr_workgroup_id_z 0
		.amdhsa_system_sgpr_workgroup_info 0
		.amdhsa_system_vgpr_workitem_id 0
		.amdhsa_next_free_vgpr 24
		.amdhsa_next_free_sgpr 32
		.amdhsa_accum_offset 24
		.amdhsa_reserve_vcc 1
		.amdhsa_reserve_flat_scratch 0
		.amdhsa_float_round_mode_32 0
		.amdhsa_float_round_mode_16_64 0
		.amdhsa_float_denorm_mode_32 3
		.amdhsa_float_denorm_mode_16_64 3
		.amdhsa_dx10_clamp 1
		.amdhsa_ieee_mode 1
		.amdhsa_fp16_overflow 0
		.amdhsa_tg_split 0
		.amdhsa_exception_fp_ieee_invalid_op 0
		.amdhsa_exception_fp_denorm_src 0
		.amdhsa_exception_fp_ieee_div_zero 0
		.amdhsa_exception_fp_ieee_overflow 0
		.amdhsa_exception_fp_ieee_underflow 0
		.amdhsa_exception_fp_ieee_inexact 0
		.amdhsa_exception_int_div_zero 0
	.end_amdhsa_kernel
	.section	.text._ZN4vllm32paged_attention_v2_reduce_kernelIfLi80ELi128ELi512EEEvPT_PKfS4_PKS1_PKii,"axG",@progbits,_ZN4vllm32paged_attention_v2_reduce_kernelIfLi80ELi128ELi512EEEvPT_PKfS4_PKS1_PKii,comdat
.Lfunc_end5:
	.size	_ZN4vllm32paged_attention_v2_reduce_kernelIfLi80ELi128ELi512EEEvPT_PKfS4_PKS1_PKii, .Lfunc_end5-_ZN4vllm32paged_attention_v2_reduce_kernelIfLi80ELi128ELi512EEEvPT_PKfS4_PKS1_PKii
                                        ; -- End function
	.section	.AMDGPU.csdata,"",@progbits
; Kernel info:
; codeLenInByte = 2168
; NumSgprs: 36
; NumVgprs: 24
; NumAgprs: 0
; TotalNumVgprs: 24
; ScratchSize: 0
; MemoryBound: 0
; FloatMode: 240
; IeeeMode: 1
; LDSByteSize: 16 bytes/workgroup (compile time only)
; SGPRBlocks: 4
; VGPRBlocks: 2
; NumSGPRsForWavesPerEU: 36
; NumVGPRsForWavesPerEU: 24
; AccumOffset: 24
; Occupancy: 8
; WaveLimiterHint : 0
; COMPUTE_PGM_RSRC2:SCRATCH_EN: 0
; COMPUTE_PGM_RSRC2:USER_SGPR: 6
; COMPUTE_PGM_RSRC2:TRAP_HANDLER: 0
; COMPUTE_PGM_RSRC2:TGID_X_EN: 1
; COMPUTE_PGM_RSRC2:TGID_Y_EN: 1
; COMPUTE_PGM_RSRC2:TGID_Z_EN: 0
; COMPUTE_PGM_RSRC2:TIDIG_COMP_CNT: 0
; COMPUTE_PGM_RSRC3_GFX90A:ACCUM_OFFSET: 5
; COMPUTE_PGM_RSRC3_GFX90A:TG_SPLIT: 0
	.section	.text._ZN4vllm25paged_attention_v2_kernelIffLi96ELi8ELi128ELNS_18Fp8KVCacheDataTypeE0ELb1ELi512EEEvPfS2_PT_PKS3_PKT0_S9_ifPKiSB_iPKfiiiSD_SD_iiiii,"axG",@progbits,_ZN4vllm25paged_attention_v2_kernelIffLi96ELi8ELi128ELNS_18Fp8KVCacheDataTypeE0ELb1ELi512EEEvPfS2_PT_PKS3_PKT0_S9_ifPKiSB_iPKfiiiSD_SD_iiiii,comdat
	.protected	_ZN4vllm25paged_attention_v2_kernelIffLi96ELi8ELi128ELNS_18Fp8KVCacheDataTypeE0ELb1ELi512EEEvPfS2_PT_PKS3_PKT0_S9_ifPKiSB_iPKfiiiSD_SD_iiiii ; -- Begin function _ZN4vllm25paged_attention_v2_kernelIffLi96ELi8ELi128ELNS_18Fp8KVCacheDataTypeE0ELb1ELi512EEEvPfS2_PT_PKS3_PKT0_S9_ifPKiSB_iPKfiiiSD_SD_iiiii
	.globl	_ZN4vllm25paged_attention_v2_kernelIffLi96ELi8ELi128ELNS_18Fp8KVCacheDataTypeE0ELb1ELi512EEEvPfS2_PT_PKS3_PKT0_S9_ifPKiSB_iPKfiiiSD_SD_iiiii
	.p2align	8
	.type	_ZN4vllm25paged_attention_v2_kernelIffLi96ELi8ELi128ELNS_18Fp8KVCacheDataTypeE0ELb1ELi512EEEvPfS2_PT_PKS3_PKT0_S9_ifPKiSB_iPKfiiiSD_SD_iiiii,@function
_ZN4vllm25paged_attention_v2_kernelIffLi96ELi8ELi128ELNS_18Fp8KVCacheDataTypeE0ELb1ELi512EEEvPfS2_PT_PKS3_PKT0_S9_ifPKiSB_iPKfiiiSD_SD_iiiii: ; @_ZN4vllm25paged_attention_v2_kernelIffLi96ELi8ELi128ELNS_18Fp8KVCacheDataTypeE0ELb1ELi512EEEvPfS2_PT_PKS3_PKT0_S9_ifPKiSB_iPKfiiiSD_SD_iiiii
; %bb.0:
	s_load_dwordx2 s[0:1], s[4:5], 0x40
	s_mov_b32 s28, s7
	s_ashr_i32 s29, s7, 31
	s_lshl_b64 s[2:3], s[28:29], 2
	s_waitcnt lgkmcnt(0)
	s_add_u32 s0, s0, s2
	s_addc_u32 s1, s1, s3
	s_load_dword s29, s[0:1], 0x0
	s_lshl_b32 s48, s8, 9
	s_waitcnt lgkmcnt(0)
	s_cmp_ge_i32 s48, s29
	s_cbranch_scc1 .LBB6_69
; %bb.1:
	s_load_dword s9, s[4:5], 0x90
	s_load_dwordx2 s[38:39], s[4:5], 0x30
	s_mov_b32 s49, 0
	s_waitcnt lgkmcnt(0)
	s_abs_i32 s2, s9
	s_abs_i32 s0, s38
	v_cvt_f32_u32_e32 v1, s0
	s_sub_i32 s3, 0, s0
	s_xor_b32 s1, s9, s38
	s_ashr_i32 s1, s1, 31
	v_rcp_iflag_f32_e32 v1, v1
	v_mul_f32_e32 v1, 0x4f7ffffe, v1
	v_cvt_u32_f32_e32 v1, v1
	v_readfirstlane_b32 s7, v1
	s_mul_i32 s3, s3, s7
	s_mul_hi_u32 s3, s7, s3
	s_add_i32 s7, s7, s3
	s_mul_hi_u32 s3, s2, s7
	s_mul_i32 s7, s3, s0
	s_sub_i32 s2, s2, s7
	s_add_i32 s10, s3, 1
	s_sub_i32 s7, s2, s0
	s_cmp_ge_u32 s2, s0
	s_cselect_b32 s3, s10, s3
	s_cselect_b32 s2, s7, s2
	s_add_i32 s7, s3, 1
	s_cmp_ge_u32 s2, s0
	s_cselect_b32 s0, s7, s3
	s_xor_b32 s0, s0, s1
	s_sub_i32 s11, s0, s1
	s_abs_i32 s2, s11
	v_cvt_f32_u32_e32 v1, s2
	s_load_dwordx2 s[0:1], s[4:5], 0x50
	s_sub_i32 s7, 0, s2
	s_abs_i32 s3, s6
	v_rcp_iflag_f32_e32 v1, v1
	v_mul_f32_e32 v1, 0x4f7ffffe, v1
	v_cvt_u32_f32_e32 v1, v1
	v_readfirstlane_b32 s10, v1
	s_mul_i32 s7, s7, s10
	s_mul_hi_u32 s7, s10, s7
	s_add_i32 s10, s10, s7
	s_waitcnt lgkmcnt(0)
	s_cmp_eq_u64 s[0:1], 0
	s_mul_hi_u32 s10, s3, s10
	s_cbranch_scc1 .LBB6_3
; %bb.2:
	s_ashr_i32 s7, s6, 31
	s_lshl_b64 s[12:13], s[6:7], 2
	s_add_u32 s0, s0, s12
	s_addc_u32 s1, s1, s13
	s_load_dword s49, s[0:1], 0x0
.LBB6_3:
	s_load_dwordx4 s[12:15], s[4:5], 0x58
	s_movk_i32 s0, 0x60
	s_ashr_i32 s7, s6, 31
	s_ashr_i32 s11, s11, 31
	v_and_b32_e32 v2, 7, v0
	s_mul_i32 s24, s6, 0x60
	v_cmp_gt_u32_e32 vcc, s0, v0
	v_lshlrev_b32_e32 v4, 2, v0
	v_lshrrev_b32_e32 v1, 1, v0
	s_and_saveexec_b64 s[0:1], vcc
	s_cbranch_execz .LBB6_5
; %bb.4:
	s_load_dwordx2 s[16:17], s[4:5], 0x18
	s_waitcnt lgkmcnt(0)
	s_mul_i32 s18, s28, s12
	s_ashr_i32 s19, s18, 31
	s_lshl_b64 s[18:19], s[18:19], 2
	v_and_b32_e32 v5, 0x1fc, v1
	s_add_u32 s12, s16, s18
	s_addc_u32 s15, s17, s19
	s_ashr_i32 s25, s24, 31
	s_lshl_b64 s[16:17], s[24:25], 2
	s_add_u32 s16, s12, s16
	s_addc_u32 s17, s15, s17
	global_load_dword v3, v4, s[16:17]
	v_mad_u32_u24 v5, v2, 48, v5
	s_waitcnt vmcnt(0)
	ds_write_b32 v5, v3
.LBB6_5:
	s_or_b64 exec, exec, s[0:1]
	s_mul_i32 s1, s10, s2
	s_sub_i32 s1, s3, s1
	s_xor_b32 s0, s7, s11
	s_add_i32 s3, s10, 1
	s_sub_i32 s7, s1, s2
	s_load_dwordx4 s[16:19], s[4:5], 0x78
	s_cmp_ge_u32 s1, s2
	s_cselect_b32 s3, s3, s10
	s_load_dword s10, s[4:5], 0x88
	s_cselect_b32 s1, s7, s1
	s_add_i32 s7, s3, 1
	s_cmp_ge_u32 s1, s2
	s_cselect_b32 s1, s7, s3
	s_waitcnt lgkmcnt(0)
	s_abs_i32 s25, s19
	v_cvt_f32_u32_e32 v3, s25
	s_xor_b32 s1, s1, s0
	s_sub_i32 s2, s1, s0
	s_sub_i32 s0, 0, s25
	v_rcp_iflag_f32_e32 v3, v3
	s_add_i32 s11, s29, -1
	s_abs_i32 s3, s11
	v_mul_f32_e32 v3, 0x4f7ffffe, v3
	v_cvt_u32_f32_e32 v3, v3
	s_barrier
	v_readfirstlane_b32 s33, v3
	s_mul_i32 s0, s0, s33
	s_mul_hi_u32 s0, s33, s0
	s_add_i32 s33, s33, s0
	s_cmp_lt_i32 s10, 0
	s_mul_hi_u32 s7, s3, s33
	s_cbranch_scc0 .LBB6_7
; %bb.6:
	s_mul_i32 s0, s16, s38
	s_add_i32 s0, s2, s0
	s_mul_i32 s0, s0, s10
	s_sub_i32 s46, 1, s0
	s_mov_b64 s[0:1], 0
	s_branch .LBB6_8
.LBB6_7:
	s_mov_b64 s[0:1], -1
                                        ; implicit-def: $sgpr46
.LBB6_8:
	s_load_dwordx2 s[30:31], s[4:5], 0x38
	s_ashr_i32 s11, s11, 31
	s_andn2_b64 vcc, exec, s[0:1]
	s_ashr_i32 s19, s19, 31
	s_cbranch_vccnz .LBB6_10
; %bb.9:
	s_mul_i32 s0, s9, s16
	s_add_i32 s0, s0, s6
	s_mul_i32 s0, s0, s10
	s_add_i32 s46, s0, 1
.LBB6_10:
	s_load_dword s0, s[4:5], 0x48
	s_load_dwordx2 s[36:37], s[4:5], 0x28
	s_load_dword s16, s[4:5], 0x98
	s_load_dwordx4 s[20:23], s[4:5], 0x0
	s_load_dwordx2 s[26:27], s[4:5], 0x10
	s_mul_i32 s1, s7, s25
	s_waitcnt lgkmcnt(0)
	s_mul_i32 s34, s28, s0
	s_sub_i32 s1, s3, s1
	s_ashr_i32 s35, s34, 31
	s_xor_b32 s0, s11, s19
	s_add_i32 s3, s7, 1
	s_sub_i32 s10, s1, s25
	s_cmp_ge_u32 s1, s25
	s_cselect_b32 s3, s3, s7
	s_cselect_b32 s1, s10, s1
	s_add_i32 s7, s3, 1
	s_cmp_ge_u32 s1, s25
	s_cselect_b32 s1, s7, s3
	s_xor_b32 s1, s1, s0
	s_sub_i32 s12, s1, s0
	s_add_i32 s0, s29, 7
	s_ashr_i32 s1, s0, 31
	s_lshr_b32 s1, s1, 29
	s_add_i32 s0, s0, s1
	s_lshl_b32 s38, s8, 6
	s_ashr_i32 s7, s0, 3
	s_add_i32 s0, s38, 64
	v_lshrrev_b32_e32 v5, 6, v0
	s_min_i32 s47, s0, s7
	v_or_b32_e32 v22, s38, v5
	v_cmp_gt_i32_e64 s[0:1], s47, v22
	v_mov_b32_e32 v11, 0xff7fffff
	s_mul_i32 s14, s2, s14
	v_ashrrev_i32_e32 v23, 31, v22
	v_lshl_add_u32 v21, v5, 3, s48
	v_mbcnt_lo_u32_b32 v6, -1, 0
	s_and_saveexec_b64 s[40:41], s[0:1]
	s_cbranch_execz .LBB6_20
; %bb.11:
	s_load_dwordx2 s[2:3], s[4:5], 0x20
	s_ashr_i32 s15, s14, 31
	s_sub_i32 s50, s12, s17
	s_lshl_b64 s[4:5], s[14:15], 2
	v_bfe_u32 v7, v0, 3, 3
	s_waitcnt lgkmcnt(0)
	s_add_u32 s2, s2, s4
	s_addc_u32 s3, s3, s5
	s_abs_i32 s15, s18
	v_cvt_f32_u32_e32 v9, s15
	v_lshlrev_b32_e32 v3, 4, v7
	v_mov_b32_e32 v8, s3
	v_add_co_u32_e64 v3, s[2:3], s2, v3
	v_rcp_iflag_f32_e32 v9, v9
	v_and_b32_e32 v10, 3, v0
	v_addc_co_u32_e64 v8, s[2:3], 0, v8, s[2:3]
	v_lshlrev_b32_e32 v10, 2, v10
	v_add_co_u32_e64 v3, s[2:3], v3, v10
	v_addc_co_u32_e64 v12, s[2:3], 0, v8, s[2:3]
	v_mul_f32_e32 v8, 0x4f7ffffe, v9
	v_cvt_u32_f32_e32 v9, v8
	s_sub_i32 s4, 0, s15
	v_cmp_eq_u32_e32 vcc, 0, v2
	v_mul_u32_u24_e32 v8, 48, v2
	v_mul_lo_u32 v2, s4, v9
	v_mul_hi_u32 v2, v9, v2
	v_add_u32_e32 v9, v9, v2
	v_lshlrev_b32_e32 v2, 5, v0
	v_and_b32_e32 v2, 0x80, v2
	v_add_co_u32_e64 v10, s[4:5], v3, v2
	v_addc_co_u32_e64 v12, s[4:5], 0, v12, s[4:5]
	v_lshlrev_b32_e32 v11, 2, v7
	s_lshl_b64 s[4:5], s[34:35], 2
	s_add_u32 s4, s30, s4
	v_lshl_or_b32 v11, v5, 5, v11
	v_lshlrev_b64 v[2:3], 2, v[22:23]
	s_addc_u32 s5, s31, s5
	v_add_u32_e32 v14, 0x190, v11
	v_subrev_u32_e32 v11, s29, v7
	v_mbcnt_hi_u32_b32 v17, -1, v6
	v_mov_b32_e32 v13, s5
	v_add_co_u32_e64 v2, s[4:5], s4, v2
	v_add_u32_e32 v15, 1, v11
	v_and_b32_e32 v11, 64, v17
	s_mov_b32 s51, s13
	v_cmp_neq_f32_e64 s[2:3], s49, 0
	v_addc_co_u32_e64 v3, s[4:5], v13, v3, s[4:5]
	v_lshl_add_u32 v13, v5, 3, s48
	s_mov_b64 s[42:43], 0
	v_mov_b32_e32 v16, 0xff7fffff
	v_add_u32_e32 v18, 64, v11
	v_xor_b32_e32 v19, 4, v17
	v_xor_b32_e32 v20, 2, v17
	;; [unrolled: 1-line block ×3, first 2 shown]
	v_mov_b32_e32 v11, 0xff7fffff
	v_mov_b32_e32 v25, v22
	s_branch .LBB6_14
.LBB6_12:                               ;   in Loop: Header=BB6_14 Depth=1
	s_or_b64 exec, exec, s[44:45]
.LBB6_13:                               ;   in Loop: Header=BB6_14 Depth=1
	s_or_b64 exec, exec, s[10:11]
	v_add_co_u32_e64 v2, s[4:5], 8, v2
	v_add_u32_e32 v25, 2, v25
	v_addc_co_u32_e64 v3, s[4:5], 0, v3, s[4:5]
	v_cmp_le_i32_e64 s[4:5], s47, v25
	v_add_u32_e32 v13, 16, v13
	s_or_b64 s[42:43], s[4:5], s[42:43]
	v_add_u32_e32 v14, 64, v14
	s_andn2_b64 exec, exec, s[42:43]
	s_cbranch_execz .LBB6_19
.LBB6_14:                               ; =>This Inner Loop Header: Depth=1
	s_waitcnt lgkmcnt(0)
	v_sub_u32_e32 v27, 0, v13
	v_max_i32_e32 v27, v13, v27
	v_mul_hi_u32 v28, v27, s33
	v_mul_lo_u32 v29, v28, s25
	v_sub_u32_e32 v27, v27, v29
	v_add_u32_e32 v29, 1, v28
	v_cmp_le_u32_e64 s[4:5], s25, v27
	v_cndmask_b32_e64 v28, v28, v29, s[4:5]
	v_subrev_u32_e32 v29, s25, v27
	v_cndmask_b32_e64 v27, v27, v29, s[4:5]
	v_ashrrev_i32_e32 v26, 31, v13
	v_add_u32_e32 v29, 1, v28
	v_cmp_le_u32_e64 s[4:5], s25, v27
	v_xor_b32_e32 v26, s19, v26
	v_cndmask_b32_e64 v27, v28, v29, s[4:5]
	v_xor_b32_e32 v27, v27, v26
	v_sub_u32_e32 v26, v27, v26
	v_add_u32_e32 v27, s46, v26
	v_sub_u32_e32 v29, 0, v27
	v_ashrrev_i32_e32 v28, 31, v27
	v_max_i32_e32 v27, v27, v29
	v_mul_hi_u32 v29, v27, v9
	v_mul_lo_u32 v29, v29, s15
	v_sub_u32_e32 v27, v27, v29
	v_subrev_u32_e32 v29, s15, v27
	v_cmp_le_u32_e64 s[4:5], s15, v27
	v_cndmask_b32_e64 v27, v27, v29, s[4:5]
	v_subrev_u32_e32 v29, s15, v27
	v_cmp_le_u32_e64 s[4:5], s15, v27
	v_cndmask_b32_e64 v27, v27, v29, s[4:5]
	v_xor_b32_e32 v27, v27, v28
	v_sub_u32_e32 v27, v27, v28
	v_cmp_ne_u32_e64 s[4:5], 0, v27
	v_cmp_ge_i32_e64 s[10:11], s50, v26
	s_and_b64 s[4:5], s[4:5], s[10:11]
	s_and_b64 s[44:45], vcc, s[4:5]
	s_and_saveexec_b64 s[10:11], s[44:45]
	s_cbranch_execz .LBB6_16
; %bb.15:                               ;   in Loop: Header=BB6_14 Depth=1
	ds_write_b32 v14, v16
.LBB6_16:                               ;   in Loop: Header=BB6_14 Depth=1
	s_or_b64 exec, exec, s[10:11]
	s_xor_b64 s[4:5], s[4:5], -1
	s_and_saveexec_b64 s[10:11], s[4:5]
	s_cbranch_execz .LBB6_13
; %bb.17:                               ;   in Loop: Header=BB6_14 Depth=1
	global_load_dword v26, v[2:3], off
	s_waitcnt vmcnt(0)
	v_mad_i64_i32 v[26:27], s[4:5], v26, s51, 0
	v_lshlrev_b64 v[26:27], 2, v[26:27]
	v_add_co_u32_e64 v26, s[4:5], v10, v26
	v_addc_co_u32_e64 v27, s[4:5], v12, v27, s[4:5]
	global_load_dword v38, v[26:27], off offset:256
	global_load_dword v39, v[26:27], off
	global_load_dword v40, v[26:27], off offset:512
	global_load_dword v41, v[26:27], off offset:768
	;; [unrolled: 1-line block ×10, first 2 shown]
	ds_read_b128 v[26:29], v8
	ds_read_b128 v[30:33], v8 offset:16
	ds_read_b128 v[34:37], v8 offset:32
	v_cmp_lt_i32_e64 s[4:5], v19, v18
	v_cndmask_b32_e64 v50, v17, v19, s[4:5]
	v_lshlrev_b32_e32 v50, 2, v50
	v_cmp_lt_i32_e64 s[4:5], v20, v18
	s_waitcnt vmcnt(11) lgkmcnt(2)
	v_mul_f32_e32 v27, v27, v38
	s_waitcnt vmcnt(10)
	v_fmac_f32_e32 v27, v26, v39
	s_waitcnt vmcnt(9)
	v_fmac_f32_e32 v27, v28, v40
	;; [unrolled: 2-line block ×3, first 2 shown]
	s_waitcnt vmcnt(7) lgkmcnt(1)
	v_fmac_f32_e32 v27, v30, v42
	s_waitcnt vmcnt(6)
	v_fmac_f32_e32 v27, v31, v43
	s_waitcnt vmcnt(5)
	;; [unrolled: 2-line block ×3, first 2 shown]
	v_fmac_f32_e32 v27, v33, v45
	s_waitcnt vmcnt(3) lgkmcnt(0)
	v_fmac_f32_e32 v27, v34, v46
	s_waitcnt vmcnt(2)
	v_fmac_f32_e32 v27, v35, v47
	s_waitcnt vmcnt(1)
	;; [unrolled: 2-line block ×3, first 2 shown]
	v_fmac_f32_e32 v27, v37, v49
	ds_bpermute_b32 v26, v50, v27
	v_cndmask_b32_e64 v28, v17, v20, s[4:5]
	v_lshlrev_b32_e32 v28, 2, v28
	v_cmp_lt_i32_e64 s[4:5], v24, v18
	s_waitcnt lgkmcnt(0)
	v_add_f32_e32 v26, v27, v26
	ds_bpermute_b32 v27, v28, v26
	v_cndmask_b32_e64 v28, v17, v24, s[4:5]
	v_lshlrev_b32_e32 v28, 2, v28
	s_waitcnt lgkmcnt(0)
	v_add_f32_e32 v26, v26, v27
	ds_bpermute_b32 v27, v28, v26
	s_and_saveexec_b64 s[44:45], vcc
	s_cbranch_execz .LBB6_12
; %bb.18:                               ;   in Loop: Header=BB6_14 Depth=1
	v_add_u32_e32 v28, v15, v13
	v_cvt_f32_i32_e32 v28, v28
	s_waitcnt lgkmcnt(0)
	v_add_f32_e32 v26, v26, v27
	v_add_u32_e32 v29, v7, v13
	v_cmp_gt_i32_e64 s[4:5], s29, v29
	v_mul_f32_e32 v27, s49, v28
	v_cndmask_b32_e64 v27, 0, v27, s[2:3]
	v_fmac_f32_e32 v27, s39, v26
	v_cndmask_b32_e64 v26, 0, v27, s[4:5]
	ds_write_b32 v14, v26
	v_max_f32_e32 v26, v11, v11
	v_max_f32_e32 v26, v26, v27
	v_cndmask_b32_e64 v11, v11, v26, s[4:5]
	s_branch .LBB6_12
.LBB6_19:
	s_or_b64 exec, exec, s[42:43]
.LBB6_20:
	s_or_b64 exec, exec, s[40:41]
	v_mbcnt_hi_u32_b32 v2, -1, v6
	v_and_b32_e32 v3, 64, v2
	v_add_u32_e32 v3, 64, v3
	v_xor_b32_e32 v6, 32, v2
	v_cmp_lt_i32_e32 vcc, v6, v3
	v_cndmask_b32_e32 v6, v2, v6, vcc
	v_lshlrev_b32_e32 v8, 2, v6
	ds_bpermute_b32 v6, v8, v11
	v_xor_b32_e32 v9, 16, v2
	v_max_f32_e32 v7, v11, v11
	v_cmp_lt_i32_e32 vcc, v9, v3
	v_and_b32_e32 v26, 63, v0
	s_waitcnt lgkmcnt(0)
	v_max_f32_e32 v6, v6, v6
	v_max_f32_e32 v6, v7, v6
	v_cndmask_b32_e32 v7, v2, v9, vcc
	v_lshlrev_b32_e32 v10, 2, v7
	ds_bpermute_b32 v7, v10, v6
	v_xor_b32_e32 v9, 8, v2
	v_cmp_lt_i32_e32 vcc, v9, v3
	s_waitcnt lgkmcnt(0)
	v_max_f32_e32 v7, v7, v7
	v_max_f32_e32 v6, v6, v7
	v_cndmask_b32_e32 v7, v2, v9, vcc
	v_lshlrev_b32_e32 v11, 2, v7
	ds_bpermute_b32 v9, v11, v6
	v_cmp_eq_u32_e32 vcc, 0, v26
	v_lshlrev_b32_e32 v7, 2, v5
	s_and_saveexec_b64 s[2:3], vcc
	s_cbranch_execz .LBB6_22
; %bb.21:
	s_waitcnt lgkmcnt(0)
	v_max_f32_e32 v9, v9, v9
	v_max_f32_e32 v6, v6, v6
	;; [unrolled: 1-line block ×3, first 2 shown]
	ds_write_b32 v7, v6 offset:384
.LBB6_22:
	s_or_b64 exec, exec, s[2:3]
	v_cmp_gt_u32_e64 s[2:3], 2, v26
	v_mov_b32_e32 v6, 0xff7fffff
	s_waitcnt lgkmcnt(0)
	v_lshlrev_b32_e32 v9, 2, v26
	s_barrier
	s_and_saveexec_b64 s[4:5], s[2:3]
	s_cbranch_execz .LBB6_24
; %bb.23:
	ds_read_b32 v6, v9 offset:384
.LBB6_24:
	s_or_b64 exec, exec, s[4:5]
	v_xor_b32_e32 v12, 1, v2
	v_cmp_lt_i32_e64 s[4:5], v12, v3
	v_cndmask_b32_e64 v12, v2, v12, s[4:5]
	v_lshlrev_b32_e32 v27, 2, v12
	s_waitcnt lgkmcnt(0)
	ds_bpermute_b32 v12, v27, v6
	v_max_f32_e32 v6, v6, v6
	s_sub_i32 s4, s47, s38
	s_lshl_b32 s4, s4, 3
	s_add_i32 s4, s4, s48
	s_waitcnt lgkmcnt(0)
	v_max_f32_e32 v12, v12, v12
	v_max_f32_e32 v6, v6, v12
	v_lshlrev_b32_e32 v12, 2, v2
	v_and_b32_e32 v12, 0x100, v12
	ds_bpermute_b32 v6, v12, v6
	s_min_i32 s42, s4, s29
	s_sub_i32 s15, s42, s48
	v_cmp_gt_i32_e64 s[4:5], s15, v0
	v_mov_b32_e32 v13, 0
	s_and_saveexec_b64 s[38:39], s[4:5]
	s_cbranch_execz .LBB6_28
; %bb.25:
	v_mov_b32_e32 v13, 0x190
	v_lshl_add_u32 v14, v0, 2, v13
	s_mov_b64 s[40:41], 0
	v_mov_b32_e32 v13, 0
	v_mov_b32_e32 v15, v0
.LBB6_26:                               ; =>This Inner Loop Header: Depth=1
	ds_read_b32 v16, v14
	v_add_u32_e32 v15, 0x80, v15
	v_cmp_le_i32_e64 s[10:11], s15, v15
	s_or_b64 s[40:41], s[10:11], s[40:41]
	s_waitcnt lgkmcnt(0)
	v_sub_f32_e32 v16, v16, v6
	v_mul_f32_e32 v16, 0x3fb8aa3b, v16
	v_exp_f32_e32 v16, v16
	ds_write_b32 v14, v16
	v_add_f32_e32 v13, v13, v16
	v_add_u32_e32 v14, 0x200, v14
	s_andn2_b64 exec, exec, s[40:41]
	s_cbranch_execnz .LBB6_26
; %bb.27:
	s_or_b64 exec, exec, s[40:41]
.LBB6_28:
	s_or_b64 exec, exec, s[38:39]
	ds_bpermute_b32 v8, v8, v13
	s_waitcnt lgkmcnt(0)
	v_add_f32_e32 v8, v13, v8
	ds_bpermute_b32 v10, v10, v8
	s_waitcnt lgkmcnt(0)
	v_add_f32_e32 v8, v8, v10
	ds_bpermute_b32 v10, v11, v8
	v_xor_b32_e32 v11, 4, v2
	v_cmp_lt_i32_e64 s[10:11], v11, v3
	v_cndmask_b32_e64 v11, v2, v11, s[10:11]
	v_lshlrev_b32_e32 v11, 2, v11
	s_waitcnt lgkmcnt(0)
	v_add_f32_e32 v8, v8, v10
	ds_bpermute_b32 v10, v11, v8
	v_xor_b32_e32 v11, 2, v2
	v_cmp_lt_i32_e64 s[10:11], v11, v3
	v_cndmask_b32_e64 v2, v2, v11, s[10:11]
	v_lshlrev_b32_e32 v2, 2, v2
	s_waitcnt lgkmcnt(0)
	v_add_f32_e32 v3, v8, v10
	ds_bpermute_b32 v2, v2, v3
	s_waitcnt lgkmcnt(0)
	v_add_f32_e32 v2, v3, v2
	ds_bpermute_b32 v3, v27, v2
	s_waitcnt lgkmcnt(0)
	v_add_f32_e32 v2, v2, v3
	s_and_saveexec_b64 s[10:11], vcc
	s_cbranch_execz .LBB6_30
; %bb.29:
	ds_write_b32 v7, v2 offset:392
.LBB6_30:
	s_or_b64 exec, exec, s[10:11]
	s_waitcnt lgkmcnt(0)
	s_barrier
	s_and_saveexec_b64 s[10:11], s[2:3]
	s_cbranch_execz .LBB6_32
; %bb.31:
	ds_read_b32 v2, v9 offset:392
.LBB6_32:
	s_or_b64 exec, exec, s[10:11]
	s_waitcnt lgkmcnt(0)
	ds_bpermute_b32 v3, v27, v2
	s_waitcnt lgkmcnt(0)
	v_add_f32_e32 v2, v2, v3
	ds_bpermute_b32 v7, v12, v2
	s_and_saveexec_b64 s[2:3], s[4:5]
	s_cbranch_execz .LBB6_45
; %bb.33:
	s_waitcnt lgkmcnt(0)
	v_add_f32_e32 v2, 0x358637bd, v7
	v_div_scale_f32 v3, s[4:5], v2, v2, 1.0
	v_rcp_f32_e32 v8, v3
	v_div_scale_f32 v9, vcc, 1.0, v2, 1.0
	s_movk_i32 s4, 0x7f
	v_fma_f32 v10, -v3, v8, 1.0
	v_fmac_f32_e32 v8, v10, v8
	v_mul_f32_e32 v10, v9, v8
	v_fma_f32 v11, -v3, v10, v9
	v_fmac_f32_e32 v10, v11, v8
	v_fma_f32 v3, -v3, v10, v9
	v_div_fmas_f32 v3, v3, v8, v10
	v_div_fixup_f32 v2, v3, v2, 1.0
	v_xad_u32 v3, v0, -1, s42
	v_subrev_u32_e32 v8, s48, v3
	v_cmp_lt_u32_e32 vcc, s4, v8
	s_mov_b64 s[10:11], -1
	v_mov_b32_e32 v3, v0
	s_and_saveexec_b64 s[4:5], vcc
	s_cbranch_execz .LBB6_42
; %bb.34:
	v_lshrrev_b32_e32 v8, 7, v8
	v_add_u32_e32 v10, -1, v8
	v_lshrrev_b32_e32 v9, 1, v10
	v_mov_b32_e32 v3, v2
	v_add_u32_e32 v9, 1, v9
	v_cmp_lt_u32_e32 vcc, 13, v10
	v_mov_b32_e32 v12, 0
	s_and_saveexec_b64 s[10:11], vcc
	s_cbranch_execz .LBB6_38
; %bb.35:
	v_mov_b32_e32 v11, 0x190
	v_and_b32_e32 v10, -8, v9
	v_lshl_add_u32 v11, v0, 2, v11
	s_mov_b32 s40, 0
	s_mov_b64 s[38:39], 0
.LBB6_36:                               ; =>This Inner Loop Header: Depth=1
	ds_read2st64_b32 v[12:13], v11 offset1:2
	ds_read2st64_b32 v[14:15], v11 offset0:4 offset1:6
	ds_read2st64_b32 v[16:17], v11 offset0:8 offset1:10
	;; [unrolled: 1-line block ×3, first 2 shown]
	v_add_u32_e32 v10, -8, v10
	s_waitcnt lgkmcnt(3)
	v_pk_mul_f32 v[12:13], v[2:3], v[12:13]
	s_waitcnt lgkmcnt(2)
	v_pk_mul_f32 v[14:15], v[2:3], v[14:15]
	ds_write2st64_b32 v11, v12, v13 offset1:2
	ds_write2st64_b32 v11, v14, v15 offset0:4 offset1:6
	ds_read2st64_b32 v[14:15], v11 offset0:16 offset1:18
	s_waitcnt lgkmcnt(4)
	v_pk_mul_f32 v[12:13], v[2:3], v[16:17]
	ds_write2st64_b32 v11, v12, v13 offset0:8 offset1:10
	s_waitcnt lgkmcnt(4)
	v_pk_mul_f32 v[12:13], v[2:3], v[18:19]
	ds_write2st64_b32 v11, v12, v13 offset0:12 offset1:14
	ds_read2st64_b32 v[12:13], v11 offset0:20 offset1:22
	s_waitcnt lgkmcnt(3)
	v_pk_mul_f32 v[14:15], v[2:3], v[14:15]
	ds_read2st64_b32 v[16:17], v11 offset0:24 offset1:26
	ds_write2st64_b32 v11, v14, v15 offset0:16 offset1:18
	ds_read2st64_b32 v[14:15], v11 offset0:28 offset1:30
	s_waitcnt lgkmcnt(3)
	v_pk_mul_f32 v[12:13], v[2:3], v[12:13]
	ds_write2st64_b32 v11, v12, v13 offset0:20 offset1:22
	s_waitcnt lgkmcnt(3)
	v_pk_mul_f32 v[12:13], v[2:3], v[16:17]
	ds_write2st64_b32 v11, v12, v13 offset0:24 offset1:26
	s_waitcnt lgkmcnt(2)
	v_pk_mul_f32 v[12:13], v[2:3], v[14:15]
	s_add_i32 s40, s40, 16
	v_cmp_eq_u32_e32 vcc, 0, v10
	ds_write2st64_b32 v11, v12, v13 offset0:28 offset1:30
	v_add_u32_e32 v11, 0x2000, v11
	s_or_b64 s[38:39], vcc, s[38:39]
	v_mov_b32_e32 v12, s40
	s_andn2_b64 exec, exec, s[38:39]
	s_cbranch_execnz .LBB6_36
; %bb.37:
	s_or_b64 exec, exec, s[38:39]
.LBB6_38:
	s_or_b64 exec, exec, s[10:11]
	v_and_b32_e32 v9, 7, v9
	v_cmp_ne_u32_e32 vcc, 0, v9
	s_and_saveexec_b64 s[10:11], vcc
	s_cbranch_execz .LBB6_41
; %bb.39:
	v_lshlrev_b32_e32 v10, 9, v12
	s_movk_i32 s38, 0x190
	v_add3_u32 v10, v10, v4, s38
	s_mov_b64 s[38:39], 0
.LBB6_40:                               ; =>This Inner Loop Header: Depth=1
	ds_read2st64_b32 v[12:13], v10 offset1:2
	v_add_u32_e32 v9, -1, v9
	v_cmp_eq_u32_e32 vcc, 0, v9
	s_or_b64 s[38:39], vcc, s[38:39]
	s_waitcnt lgkmcnt(0)
	v_pk_mul_f32 v[12:13], v[2:3], v[12:13]
	ds_write2st64_b32 v10, v12, v13 offset1:2
	v_add_u32_e32 v10, 0x400, v10
	s_andn2_b64 exec, exec, s[38:39]
	s_cbranch_execnz .LBB6_40
.LBB6_41:
	s_or_b64 exec, exec, s[10:11]
	v_add_u32_e32 v8, 1, v8
	v_and_b32_e32 v9, 0x3fffffe, v8
	v_cmp_ne_u32_e32 vcc, v8, v9
	v_lshl_add_u32 v3, v9, 7, v0
	s_orn2_b64 s[10:11], vcc, exec
.LBB6_42:
	s_or_b64 exec, exec, s[4:5]
	s_and_b64 exec, exec, s[10:11]
	s_cbranch_execz .LBB6_45
; %bb.43:
	v_mov_b32_e32 v8, 0x190
	v_lshl_add_u32 v8, v3, 2, v8
	s_mov_b64 s[4:5], 0
.LBB6_44:                               ; =>This Inner Loop Header: Depth=1
	ds_read_b32 v9, v8
	v_add_u32_e32 v3, 0x80, v3
	v_cmp_le_i32_e32 vcc, s15, v3
	s_or_b64 s[4:5], vcc, s[4:5]
	s_waitcnt lgkmcnt(0)
	v_mul_f32_e32 v9, v2, v9
	ds_write_b32 v8, v9
	v_add_u32_e32 v8, 0x200, v8
	s_andn2_b64 exec, exec, s[4:5]
	s_cbranch_execnz .LBB6_44
.LBB6_45:
	s_or_b64 exec, exec, s[2:3]
	s_mul_i32 s2, s16, s28
	v_cmp_eq_u32_e32 vcc, 0, v0
	s_mul_i32 s2, s2, s9
	s_waitcnt lgkmcnt(0)
	s_barrier
	s_and_saveexec_b64 s[4:5], vcc
	s_cbranch_execz .LBB6_47
; %bb.46:
	s_ashr_i32 s3, s2, 31
	s_lshl_b64 s[10:11], s[2:3], 2
	s_add_u32 s3, s22, s10
	s_mul_i32 s22, s16, s6
	s_addc_u32 s9, s23, s11
	s_ashr_i32 s23, s22, 31
	s_lshl_b64 s[22:23], s[22:23], 2
	s_add_u32 s3, s3, s22
	s_addc_u32 s6, s9, s23
	s_ashr_i32 s9, s8, 31
	s_lshl_b64 s[38:39], s[8:9], 2
	s_add_u32 s40, s3, s38
	s_addc_u32 s41, s6, s39
	s_add_u32 s3, s20, s10
	s_addc_u32 s6, s21, s11
	;; [unrolled: 2-line block ×3, first 2 shown]
	s_add_u32 s10, s3, s38
	v_mov_b32_e32 v2, 0
	s_addc_u32 s11, s6, s39
	global_store_dword v2, v6, s[40:41]
	global_store_dword v2, v7, s[10:11]
.LBB6_47:
	s_or_b64 exec, exec, s[4:5]
	v_mov_b32_e32 v20, 0
	v_and_b32_e32 v28, 1, v0
	v_mov_b32_e32 v19, 0
	v_mov_b32_e32 v18, 0
	s_and_saveexec_b64 s[4:5], s[0:1]
	s_cbranch_execz .LBB6_59
; %bb.48:
	s_ashr_i32 s15, s14, 31
	s_sub_i32 s3, s12, s17
	s_lshl_b64 s[0:1], s[14:15], 2
	s_add_u32 s0, s36, s0
	s_addc_u32 s1, s37, s1
	s_abs_i32 s9, s18
	v_cvt_f32_u32_e32 v2, s9
	s_sub_i32 s6, 0, s9
	v_and_b32_e32 v29, 4, v4
	v_lshlrev_b32_e32 v3, 4, v0
	v_rcp_iflag_f32_e32 v2, v2
	v_and_b32_e32 v3, 0x3f0, v3
	s_add_i32 s15, s7, -1
	v_add_co_u32_e32 v31, vcc, s0, v3
	v_mul_f32_e32 v2, 0x4f7ffffe, v2
	v_cvt_u32_f32_e32 v2, v2
	s_mov_b32 s20, 0
	s_mov_b32 s21, s20
	;; [unrolled: 1-line block ×3, first 2 shown]
	v_mul_lo_u32 v4, s6, v2
	v_mul_hi_u32 v4, v2, v4
	v_add_u32_e32 v30, v2, v4
	v_mov_b32_e32 v2, s1
	s_lshl_b64 s[0:1], s[34:35], 2
	v_addc_co_u32_e32 v32, vcc, 0, v2, vcc
	v_lshlrev_b64 v[2:3], 2, v[22:23]
	s_add_u32 s0, s30, s0
	s_addc_u32 s1, s31, s1
	v_add_co_u32_e32 v24, vcc, s0, v2
	v_lshlrev_b32_e32 v2, 4, v28
	v_mov_b32_e32 v4, s1
	v_lshl_or_b32 v2, v5, 5, v2
	v_mov_b32_e32 v18, s20
	s_mov_b32 s14, s13
	v_addc_co_u32_e32 v25, vcc, v4, v3, vcc
	v_add_u32_e32 v23, 0x190, v2
	s_mov_b64 s[6:7], 0
	v_mov_b32_e32 v19, s21
	v_mov_b32_e32 v20, s22
	s_branch .LBB6_51
.LBB6_49:                               ;   in Loop: Header=BB6_51 Depth=1
	s_or_b64 exec, exec, s[0:1]
	s_waitcnt vmcnt(2) lgkmcnt(0)
	v_mul_f32_e32 v7, v3, v7
	v_fmac_f32_e32 v7, v2, v6
	s_waitcnt vmcnt(1)
	v_mul_f32_e32 v6, v3, v11
	s_waitcnt vmcnt(0)
	v_mul_f32_e32 v3, v3, v15
	v_fmac_f32_e32 v6, v2, v10
	v_fmac_f32_e32 v3, v2, v14
	;; [unrolled: 1-line block ×8, first 2 shown]
	v_add_f32_e32 v18, v18, v7
	v_add_f32_e32 v19, v19, v6
	;; [unrolled: 1-line block ×3, first 2 shown]
.LBB6_50:                               ;   in Loop: Header=BB6_51 Depth=1
	s_or_b64 exec, exec, s[10:11]
	v_add_co_u32_e32 v24, vcc, 8, v24
	v_add_u32_e32 v22, 2, v22
	v_addc_co_u32_e32 v25, vcc, 0, v25, vcc
	v_cmp_le_i32_e32 vcc, s47, v22
	v_add_u32_e32 v21, 16, v21
	s_or_b64 s[6:7], vcc, s[6:7]
	v_add_u32_e32 v23, 64, v23
	s_andn2_b64 exec, exec, s[6:7]
	s_cbranch_execz .LBB6_58
.LBB6_51:                               ; =>This Inner Loop Header: Depth=1
	v_sub_u32_e32 v3, 0, v21
	v_max_i32_e32 v3, v21, v3
	v_mul_hi_u32 v4, v3, s33
	v_mul_lo_u32 v5, v4, s25
	v_sub_u32_e32 v3, v3, v5
	v_add_u32_e32 v5, 1, v4
	v_cmp_le_u32_e32 vcc, s25, v3
	v_cndmask_b32_e32 v4, v4, v5, vcc
	v_subrev_u32_e32 v5, s25, v3
	v_cndmask_b32_e32 v3, v3, v5, vcc
	v_ashrrev_i32_e32 v2, 31, v21
	v_add_u32_e32 v5, 1, v4
	v_cmp_le_u32_e32 vcc, s25, v3
	v_xor_b32_e32 v2, s19, v2
	v_cndmask_b32_e32 v3, v4, v5, vcc
	v_xor_b32_e32 v3, v3, v2
	v_sub_u32_e32 v2, v3, v2
	v_add_u32_e32 v3, s46, v2
	v_sub_u32_e32 v5, 0, v3
	v_ashrrev_i32_e32 v4, 31, v3
	v_max_i32_e32 v3, v3, v5
	v_mul_hi_u32 v5, v3, v30
	v_mul_lo_u32 v5, v5, s9
	v_sub_u32_e32 v3, v3, v5
	v_subrev_u32_e32 v5, s9, v3
	v_cmp_le_u32_e32 vcc, s9, v3
	v_cndmask_b32_e32 v3, v3, v5, vcc
	v_subrev_u32_e32 v5, s9, v3
	v_cmp_le_u32_e32 vcc, s9, v3
	v_cndmask_b32_e32 v3, v3, v5, vcc
	v_xor_b32_e32 v3, v3, v4
	v_sub_u32_e32 v3, v3, v4
	v_cmp_eq_u32_e32 vcc, 0, v3
	v_cmp_lt_i32_e64 s[0:1], s3, v2
	s_or_b64 s[0:1], vcc, s[0:1]
	s_and_saveexec_b64 s[10:11], s[0:1]
	s_cbranch_execz .LBB6_50
; %bb.52:                               ;   in Loop: Header=BB6_51 Depth=1
	global_load_dword v2, v[24:25], off
	v_add_u32_e32 v33, v29, v21
	v_add_u32_e32 v36, 1, v33
	;; [unrolled: 1-line block ×4, first 2 shown]
	s_waitcnt vmcnt(0)
	v_mad_i64_i32 v[2:3], s[0:1], v2, s14, 0
	v_lshlrev_b64 v[2:3], 2, v[2:3]
	v_add_co_u32_e32 v14, vcc, v31, v2
	v_addc_co_u32_e32 v15, vcc, v32, v3, vcc
	global_load_dwordx4 v[6:9], v[14:15], off
	ds_read_b128 v[2:5], v23
	v_cmp_eq_u32_e32 vcc, s15, v22
	s_and_saveexec_b64 s[12:13], vcc
	s_cbranch_execnz .LBB6_55
; %bb.53:                               ;   in Loop: Header=BB6_51 Depth=1
	s_or_b64 exec, exec, s[12:13]
	global_load_dwordx4 v[10:13], v[14:15], off offset:1024
	s_and_saveexec_b64 s[12:13], vcc
	s_cbranch_execnz .LBB6_56
.LBB6_54:                               ;   in Loop: Header=BB6_51 Depth=1
	s_or_b64 exec, exec, s[12:13]
	global_load_dwordx4 v[14:17], v[14:15], off offset:2048
	s_and_saveexec_b64 s[0:1], vcc
	s_cbranch_execz .LBB6_49
	s_branch .LBB6_57
.LBB6_55:                               ;   in Loop: Header=BB6_51 Depth=1
	v_cmp_gt_i32_e64 s[0:1], s29, v33
	s_waitcnt vmcnt(0)
	v_cndmask_b32_e64 v6, 0, v6, s[0:1]
	v_cmp_gt_i32_e64 s[0:1], s29, v36
	v_cndmask_b32_e64 v7, 0, v7, s[0:1]
	v_cmp_gt_i32_e64 s[0:1], s29, v35
	;; [unrolled: 2-line block ×3, first 2 shown]
	v_cndmask_b32_e64 v9, 0, v9, s[0:1]
	s_or_b64 exec, exec, s[12:13]
	global_load_dwordx4 v[10:13], v[14:15], off offset:1024
	s_and_saveexec_b64 s[12:13], vcc
	s_cbranch_execz .LBB6_54
.LBB6_56:                               ;   in Loop: Header=BB6_51 Depth=1
	v_cmp_gt_i32_e64 s[0:1], s29, v33
	s_waitcnt vmcnt(0)
	v_cndmask_b32_e64 v10, 0, v10, s[0:1]
	v_cmp_gt_i32_e64 s[0:1], s29, v36
	v_cndmask_b32_e64 v11, 0, v11, s[0:1]
	v_cmp_gt_i32_e64 s[0:1], s29, v35
	;; [unrolled: 2-line block ×3, first 2 shown]
	v_cndmask_b32_e64 v13, 0, v13, s[0:1]
	s_or_b64 exec, exec, s[12:13]
	global_load_dwordx4 v[14:17], v[14:15], off offset:2048
	s_and_saveexec_b64 s[0:1], vcc
	s_cbranch_execz .LBB6_49
.LBB6_57:                               ;   in Loop: Header=BB6_51 Depth=1
	v_cmp_gt_i32_e32 vcc, s29, v33
	s_waitcnt vmcnt(0)
	v_cndmask_b32_e32 v14, 0, v14, vcc
	v_cmp_gt_i32_e32 vcc, s29, v36
	v_cndmask_b32_e32 v15, 0, v15, vcc
	v_cmp_gt_i32_e32 vcc, s29, v35
	v_cndmask_b32_e32 v16, 0, v16, vcc
	v_cmp_gt_i32_e32 vcc, s29, v34
	v_cndmask_b32_e32 v17, 0, v17, vcc
	s_branch .LBB6_49
.LBB6_58:
	s_or_b64 exec, exec, s[6:7]
.LBB6_59:
	s_or_b64 exec, exec, s[4:5]
	ds_bpermute_b32 v2, v27, v18
	ds_bpermute_b32 v3, v27, v19
	;; [unrolled: 1-line block ×3, first 2 shown]
	v_and_b32_e32 v5, 0x3c1, v0
	v_cmp_eq_u32_e32 vcc, 64, v5
	s_waitcnt lgkmcnt(0)
	v_pk_add_f32 v[2:3], v[18:19], v[2:3]
	v_add_f32_e32 v4, v20, v4
	s_barrier
	s_and_saveexec_b64 s[0:1], vcc
	s_cbranch_execz .LBB6_61
; %bb.60:
	v_mov_b32_e32 v6, 0x190
	v_lshl_add_u32 v6, v26, 1, v6
	ds_write2_b32 v6, v2, v3 offset1:32
	ds_write_b32 v6, v4 offset:256
.LBB6_61:
	s_or_b64 exec, exec, s[0:1]
	v_cmp_gt_u32_e32 vcc, 64, v0
	s_waitcnt lgkmcnt(0)
	s_barrier
	s_and_saveexec_b64 s[0:1], vcc
	s_cbranch_execz .LBB6_67
; %bb.62:
	v_cmp_eq_u32_e32 vcc, 0, v28
	s_and_saveexec_b64 s[4:5], vcc
	s_cbranch_execnz .LBB6_70
; %bb.63:
	s_or_b64 exec, exec, s[4:5]
	s_and_saveexec_b64 s[4:5], vcc
	s_cbranch_execnz .LBB6_71
.LBB6_64:
	s_or_b64 exec, exec, s[4:5]
	s_and_saveexec_b64 s[4:5], vcc
	s_cbranch_execz .LBB6_66
.LBB6_65:
	v_mov_b32_e32 v6, 0x190
	v_lshl_add_u32 v1, v1, 2, v6
	ds_read_b32 v1, v1 offset:256
	s_waitcnt lgkmcnt(0)
	v_add_f32_e32 v4, v4, v1
.LBB6_66:
	s_or_b64 exec, exec, s[4:5]
.LBB6_67:
	s_or_b64 exec, exec, s[0:1]
	v_cmp_eq_u32_e32 vcc, 0, v5
	s_barrier
	s_and_saveexec_b64 s[0:1], vcc
	s_cbranch_execz .LBB6_69
; %bb.68:
	s_mul_i32 s0, s2, 0x60
	s_ashr_i32 s1, s0, 31
	s_lshl_b64 s[0:1], s[0:1], 2
	s_add_u32 s2, s26, s0
	s_mul_i32 s0, s16, s24
	s_addc_u32 s3, s27, s1
	s_ashr_i32 s1, s0, 31
	s_lshl_b64 s[0:1], s[0:1], 2
	s_add_u32 s2, s2, s0
	s_mul_i32 s0, s8, 0x60
	s_addc_u32 s3, s3, s1
	s_ashr_i32 s1, s0, 31
	s_lshl_b64 s[0:1], s[0:1], 2
	s_add_u32 s0, s2, s0
	s_addc_u32 s1, s3, s1
	v_lshlrev_b32_e32 v0, 1, v0
	global_store_dword v0, v2, s[0:1]
	global_store_dword v0, v3, s[0:1] offset:128
	global_store_dword v0, v4, s[0:1] offset:256
.LBB6_69:
	s_endpgm
.LBB6_70:
	v_mov_b32_e32 v6, 0x190
	v_lshl_add_u32 v6, v1, 2, v6
	ds_read_b32 v6, v6
	s_waitcnt lgkmcnt(0)
	v_add_f32_e32 v2, v2, v6
	s_or_b64 exec, exec, s[4:5]
	s_and_saveexec_b64 s[4:5], vcc
	s_cbranch_execz .LBB6_64
.LBB6_71:
	v_mov_b32_e32 v6, 0x190
	v_lshl_add_u32 v6, v1, 2, v6
	ds_read_b32 v6, v6 offset:128
	s_waitcnt lgkmcnt(0)
	v_add_f32_e32 v3, v3, v6
	s_or_b64 exec, exec, s[4:5]
	s_and_saveexec_b64 s[4:5], vcc
	s_cbranch_execnz .LBB6_65
	s_branch .LBB6_66
	.section	.rodata,"a",@progbits
	.p2align	6, 0x0
	.amdhsa_kernel _ZN4vllm25paged_attention_v2_kernelIffLi96ELi8ELi128ELNS_18Fp8KVCacheDataTypeE0ELb1ELi512EEEvPfS2_PT_PKS3_PKT0_S9_ifPKiSB_iPKfiiiSD_SD_iiiii
		.amdhsa_group_segment_fixed_size 400
		.amdhsa_private_segment_fixed_size 0
		.amdhsa_kernarg_size 400
		.amdhsa_user_sgpr_count 6
		.amdhsa_user_sgpr_private_segment_buffer 1
		.amdhsa_user_sgpr_dispatch_ptr 0
		.amdhsa_user_sgpr_queue_ptr 0
		.amdhsa_user_sgpr_kernarg_segment_ptr 1
		.amdhsa_user_sgpr_dispatch_id 0
		.amdhsa_user_sgpr_flat_scratch_init 0
		.amdhsa_user_sgpr_kernarg_preload_length 0
		.amdhsa_user_sgpr_kernarg_preload_offset 0
		.amdhsa_user_sgpr_private_segment_size 0
		.amdhsa_uses_dynamic_stack 0
		.amdhsa_system_sgpr_private_segment_wavefront_offset 0
		.amdhsa_system_sgpr_workgroup_id_x 1
		.amdhsa_system_sgpr_workgroup_id_y 1
		.amdhsa_system_sgpr_workgroup_id_z 1
		.amdhsa_system_sgpr_workgroup_info 0
		.amdhsa_system_vgpr_workitem_id 0
		.amdhsa_next_free_vgpr 51
		.amdhsa_next_free_sgpr 52
		.amdhsa_accum_offset 52
		.amdhsa_reserve_vcc 1
		.amdhsa_reserve_flat_scratch 0
		.amdhsa_float_round_mode_32 0
		.amdhsa_float_round_mode_16_64 0
		.amdhsa_float_denorm_mode_32 3
		.amdhsa_float_denorm_mode_16_64 3
		.amdhsa_dx10_clamp 1
		.amdhsa_ieee_mode 1
		.amdhsa_fp16_overflow 0
		.amdhsa_tg_split 0
		.amdhsa_exception_fp_ieee_invalid_op 0
		.amdhsa_exception_fp_denorm_src 0
		.amdhsa_exception_fp_ieee_div_zero 0
		.amdhsa_exception_fp_ieee_overflow 0
		.amdhsa_exception_fp_ieee_underflow 0
		.amdhsa_exception_fp_ieee_inexact 0
		.amdhsa_exception_int_div_zero 0
	.end_amdhsa_kernel
	.section	.text._ZN4vllm25paged_attention_v2_kernelIffLi96ELi8ELi128ELNS_18Fp8KVCacheDataTypeE0ELb1ELi512EEEvPfS2_PT_PKS3_PKT0_S9_ifPKiSB_iPKfiiiSD_SD_iiiii,"axG",@progbits,_ZN4vllm25paged_attention_v2_kernelIffLi96ELi8ELi128ELNS_18Fp8KVCacheDataTypeE0ELb1ELi512EEEvPfS2_PT_PKS3_PKT0_S9_ifPKiSB_iPKfiiiSD_SD_iiiii,comdat
.Lfunc_end6:
	.size	_ZN4vllm25paged_attention_v2_kernelIffLi96ELi8ELi128ELNS_18Fp8KVCacheDataTypeE0ELb1ELi512EEEvPfS2_PT_PKS3_PKT0_S9_ifPKiSB_iPKfiiiSD_SD_iiiii, .Lfunc_end6-_ZN4vllm25paged_attention_v2_kernelIffLi96ELi8ELi128ELNS_18Fp8KVCacheDataTypeE0ELb1ELi512EEEvPfS2_PT_PKS3_PKT0_S9_ifPKiSB_iPKfiiiSD_SD_iiiii
                                        ; -- End function
	.section	.AMDGPU.csdata,"",@progbits
; Kernel info:
; codeLenInByte = 4600
; NumSgprs: 56
; NumVgprs: 51
; NumAgprs: 0
; TotalNumVgprs: 51
; ScratchSize: 0
; MemoryBound: 0
; FloatMode: 240
; IeeeMode: 1
; LDSByteSize: 400 bytes/workgroup (compile time only)
; SGPRBlocks: 6
; VGPRBlocks: 6
; NumSGPRsForWavesPerEU: 56
; NumVGPRsForWavesPerEU: 51
; AccumOffset: 52
; Occupancy: 8
; WaveLimiterHint : 1
; COMPUTE_PGM_RSRC2:SCRATCH_EN: 0
; COMPUTE_PGM_RSRC2:USER_SGPR: 6
; COMPUTE_PGM_RSRC2:TRAP_HANDLER: 0
; COMPUTE_PGM_RSRC2:TGID_X_EN: 1
; COMPUTE_PGM_RSRC2:TGID_Y_EN: 1
; COMPUTE_PGM_RSRC2:TGID_Z_EN: 1
; COMPUTE_PGM_RSRC2:TIDIG_COMP_CNT: 0
; COMPUTE_PGM_RSRC3_GFX90A:ACCUM_OFFSET: 12
; COMPUTE_PGM_RSRC3_GFX90A:TG_SPLIT: 0
	.section	.text._ZN4vllm32paged_attention_v2_reduce_kernelIfLi96ELi128ELi512EEEvPT_PKfS4_PKS1_PKii,"axG",@progbits,_ZN4vllm32paged_attention_v2_reduce_kernelIfLi96ELi128ELi512EEEvPT_PKfS4_PKS1_PKii,comdat
	.protected	_ZN4vllm32paged_attention_v2_reduce_kernelIfLi96ELi128ELi512EEEvPT_PKfS4_PKS1_PKii ; -- Begin function _ZN4vllm32paged_attention_v2_reduce_kernelIfLi96ELi128ELi512EEEvPT_PKfS4_PKS1_PKii
	.globl	_ZN4vllm32paged_attention_v2_reduce_kernelIfLi96ELi128ELi512EEEvPT_PKfS4_PKS1_PKii
	.p2align	8
	.type	_ZN4vllm32paged_attention_v2_reduce_kernelIfLi96ELi128ELi512EEEvPT_PKfS4_PKS1_PKii,@function
_ZN4vllm32paged_attention_v2_reduce_kernelIfLi96ELi128ELi512EEEvPT_PKfS4_PKS1_PKii: ; @_ZN4vllm32paged_attention_v2_reduce_kernelIfLi96ELi128ELi512EEEvPT_PKfS4_PKS1_PKii
; %bb.0:
	s_load_dwordx4 s[8:11], s[4:5], 0x18
	s_add_u32 s12, s4, 48
	s_mov_b32 s14, s7
	s_addc_u32 s13, s5, 0
	s_ashr_i32 s15, s7, 31
	s_lshl_b64 s[0:1], s[14:15], 2
	s_waitcnt lgkmcnt(0)
	s_add_u32 s0, s10, s0
	s_addc_u32 s1, s11, s1
	s_load_dword s24, s[0:1], 0x0
	s_load_dwordx2 s[10:11], s[4:5], 0x0
	s_load_dword s7, s[4:5], 0x28
	s_load_dword s15, s[4:5], 0x30
	s_waitcnt lgkmcnt(0)
	s_add_i32 s0, s24, -1
	s_cmpk_gt_u32 s0, 0x1ff
	s_mov_b64 s[0:1], -1
	s_cbranch_scc0 .LBB7_25
; %bb.1:
	s_add_i32 s0, s24, 0x1ff
	s_load_dwordx2 s[20:21], s[4:5], 0x8
	s_ashr_i32 s1, s0, 31
	s_lshr_b32 s1, s1, 23
	s_add_i32 s0, s0, s1
	s_mul_i32 s22, s15, s14
	s_ashr_i32 s23, s0, 9
	s_mul_i32 s16, s22, s7
	s_mul_i32 s18, s6, s7
	s_ashr_i32 s17, s16, 31
	s_ashr_i32 s19, s18, 31
	v_cmp_gt_i32_e32 vcc, s23, v0
	v_mov_b32_e32 v4, 0xff7fffff
	s_and_saveexec_b64 s[2:3], vcc
	s_cbranch_execz .LBB7_5
; %bb.2:
	s_load_dword s25, s[12:13], 0xc
	s_load_dwordx2 s[0:1], s[4:5], 0x10
	s_lshl_b64 s[4:5], s[16:17], 2
	s_lshl_b64 s[26:27], s[18:19], 2
	v_lshlrev_b32_e32 v1, 2, v0
	s_waitcnt lgkmcnt(0)
	s_and_b32 s25, s25, 0xffff
	s_add_u32 s4, s4, s26
	s_addc_u32 s5, s5, s27
	s_add_u32 s0, s0, s4
	s_addc_u32 s1, s1, s5
	s_mov_b32 s28, 0
	v_mov_b32_e32 v3, s1
	v_add_co_u32_e64 v2, s[0:1], s0, v1
	v_addc_co_u32_e64 v3, s[0:1], 0, v3, s[0:1]
	s_lshl_b32 s26, s25, 2
	v_add_u32_e32 v1, 16, v1
	s_mov_b64 s[4:5], 0
	v_mov_b32_e32 v4, 0xff7fffff
	v_mov_b32_e32 v5, s28
	v_mov_b32_e32 v6, v0
.LBB7_3:                                ; =>This Inner Loop Header: Depth=1
	global_load_dword v7, v[2:3], off
	v_add_co_u32_e64 v2, s[0:1], s26, v2
	v_add_u32_e32 v6, s25, v6
	v_addc_co_u32_e64 v3, s[0:1], v3, v5, s[0:1]
	v_max_f32_e32 v4, v4, v4
	v_cmp_le_i32_e64 s[0:1], s23, v6
	s_or_b64 s[4:5], s[0:1], s[4:5]
	s_waitcnt vmcnt(0)
	ds_write_b32 v1, v7
	v_max_f32_e32 v7, v7, v7
	v_add_u32_e32 v1, s26, v1
	v_max_f32_e32 v4, v4, v7
	s_andn2_b64 exec, exec, s[4:5]
	s_cbranch_execnz .LBB7_3
; %bb.4:
	s_or_b64 exec, exec, s[4:5]
.LBB7_5:
	s_or_b64 exec, exec, s[2:3]
	v_mbcnt_lo_u32_b32 v1, -1, 0
	v_mbcnt_hi_u32_b32 v2, -1, v1
	v_and_b32_e32 v1, 64, v2
	v_add_u32_e32 v5, 64, v1
	v_xor_b32_e32 v1, 32, v2
	v_cmp_lt_i32_e64 s[0:1], v1, v5
	v_cndmask_b32_e64 v1, v2, v1, s[0:1]
	v_lshlrev_b32_e32 v1, 2, v1
	ds_bpermute_b32 v3, v1, v4
	v_xor_b32_e32 v6, 16, v2
	v_max_f32_e32 v4, v4, v4
	v_cmp_lt_i32_e64 s[0:1], v6, v5
	v_xor_b32_e32 v7, 8, v2
	s_waitcnt lgkmcnt(0)
	v_max_f32_e32 v3, v3, v3
	v_max_f32_e32 v3, v4, v3
	v_cndmask_b32_e64 v4, v2, v6, s[0:1]
	v_lshlrev_b32_e32 v4, 2, v4
	ds_bpermute_b32 v6, v4, v3
	v_cmp_lt_i32_e64 s[0:1], v7, v5
	v_xor_b32_e32 v8, 4, v2
	v_xor_b32_e32 v9, 2, v2
	v_lshrrev_b32_e32 v12, 6, v0
	s_waitcnt lgkmcnt(0)
	v_max_f32_e32 v6, v6, v6
	v_max_f32_e32 v3, v3, v6
	v_cndmask_b32_e64 v6, v2, v7, s[0:1]
	v_lshlrev_b32_e32 v6, 2, v6
	ds_bpermute_b32 v7, v6, v3
	v_cmp_lt_i32_e64 s[0:1], v8, v5
	s_waitcnt lgkmcnt(0)
	s_barrier
	v_max_f32_e32 v7, v7, v7
	v_max_f32_e32 v3, v3, v7
	v_cndmask_b32_e64 v7, v2, v8, s[0:1]
	v_lshlrev_b32_e32 v7, 2, v7
	ds_bpermute_b32 v8, v7, v3
	v_cmp_lt_i32_e64 s[0:1], v9, v5
	s_waitcnt lgkmcnt(0)
	v_max_f32_e32 v8, v8, v8
	v_max_f32_e32 v10, v3, v8
	v_cndmask_b32_e64 v3, v2, v9, s[0:1]
	v_lshlrev_b32_e32 v8, 2, v3
	ds_bpermute_b32 v9, v8, v10
	v_and_b32_e32 v3, 63, v0
	s_waitcnt lgkmcnt(0)
	v_max_f32_e32 v9, v9, v9
	v_max_f32_e32 v10, v10, v9
	v_xor_b32_e32 v9, 1, v2
	v_cmp_lt_i32_e64 s[0:1], v9, v5
	v_cndmask_b32_e64 v5, v2, v9, s[0:1]
	v_lshlrev_b32_e32 v5, 2, v5
	ds_bpermute_b32 v11, v5, v10
	v_cmp_eq_u32_e64 s[0:1], 0, v3
	v_lshlrev_b32_e32 v9, 2, v12
	s_and_saveexec_b64 s[2:3], s[0:1]
	s_cbranch_execz .LBB7_7
; %bb.6:
	s_waitcnt lgkmcnt(0)
	v_max_f32_e32 v11, v11, v11
	v_max_f32_e32 v10, v10, v10
	;; [unrolled: 1-line block ×3, first 2 shown]
	ds_write_b32 v9, v10
.LBB7_7:
	s_or_b64 exec, exec, s[2:3]
	v_cmp_gt_u32_e64 s[2:3], 2, v3
	s_waitcnt lgkmcnt(0)
	v_mov_b32_e32 v11, 0xff7fffff
	v_lshlrev_b32_e32 v10, 2, v3
	s_barrier
	s_and_saveexec_b64 s[4:5], s[2:3]
	s_cbranch_execz .LBB7_9
; %bb.8:
	ds_read_b32 v11, v10
.LBB7_9:
	s_or_b64 exec, exec, s[4:5]
	s_waitcnt lgkmcnt(0)
	ds_bpermute_b32 v3, v5, v11
	v_max_f32_e32 v11, v11, v11
	v_lshlrev_b32_e32 v2, 2, v2
	s_lshl_b32 s25, s23, 2
	v_mov_b32_e32 v13, 0
	s_waitcnt lgkmcnt(0)
	v_max_f32_e32 v3, v3, v3
	v_max_f32_e32 v3, v11, v3
	v_and_b32_e32 v11, 0x100, v2
	ds_bpermute_b32 v12, v11, v3
	s_and_saveexec_b64 s[4:5], vcc
	s_cbranch_execz .LBB7_13
; %bb.10:
	s_load_dword s30, s[12:13], 0xc
	s_lshl_b64 s[26:27], s[16:17], 2
	s_lshl_b64 s[28:29], s[18:19], 2
	v_lshlrev_b32_e32 v13, 2, v0
	s_mov_b32 s31, 0
	s_waitcnt lgkmcnt(0)
	s_and_b32 s17, s30, 0xffff
	s_add_u32 s19, s26, s28
	s_addc_u32 s26, s27, s29
	s_add_u32 s19, s20, s19
	s_addc_u32 s20, s21, s26
	v_mov_b32_e32 v3, s20
	v_add_co_u32_e32 v2, vcc, s19, v13
	v_addc_co_u32_e32 v3, vcc, 0, v3, vcc
	s_lshl_b32 s19, s17, 2
	v_add_u32_e32 v14, 16, v13
	s_mov_b64 s[20:21], 0
	v_mov_b32_e32 v13, 0
	s_mov_b32 s26, 0x3fb8aa3b
	s_mov_b32 s27, 0xc2ce8ed0
	s_mov_b32 s28, 0x42b17218
	v_mov_b32_e32 v15, 0x7f800000
	v_mov_b32_e32 v16, s31
	;; [unrolled: 1-line block ×3, first 2 shown]
.LBB7_11:                               ; =>This Inner Loop Header: Depth=1
	global_load_dword v18, v[2:3], off
	ds_read_b32 v19, v14
	v_add_co_u32_e32 v2, vcc, s19, v2
	v_add_u32_e32 v17, s17, v17
	v_addc_co_u32_e32 v3, vcc, v3, v16, vcc
	s_waitcnt lgkmcnt(0)
	v_sub_f32_e32 v19, v19, v12
	v_mul_f32_e32 v21, 0x3fb8aa3b, v19
	v_fma_f32 v22, v19, s26, -v21
	v_rndne_f32_e32 v23, v21
	v_fmac_f32_e32 v22, 0x32a5705f, v19
	v_sub_f32_e32 v21, v21, v23
	v_add_f32_e32 v21, v21, v22
	v_cvt_i32_f32_e32 v23, v23
	v_exp_f32_e32 v21, v21
	v_cmp_le_i32_e32 vcc, s23, v17
	s_or_b64 s[20:21], vcc, s[20:21]
	v_cmp_ngt_f32_e32 vcc, s27, v19
	v_ldexp_f32 v21, v21, v23
	v_cndmask_b32_e32 v21, 0, v21, vcc
	v_cmp_nlt_f32_e32 vcc, s28, v19
	v_cndmask_b32_e32 v19, v15, v21, vcc
	v_add_u32_e32 v20, s25, v14
	v_add_u32_e32 v14, s19, v14
	s_waitcnt vmcnt(0)
	v_mul_f32_e32 v21, v18, v19
	v_fmac_f32_e32 v13, v18, v19
	ds_write_b32 v20, v21
	s_andn2_b64 exec, exec, s[20:21]
	s_cbranch_execnz .LBB7_11
; %bb.12:
	s_or_b64 exec, exec, s[20:21]
.LBB7_13:
	s_or_b64 exec, exec, s[4:5]
	ds_bpermute_b32 v1, v1, v13
	s_waitcnt lgkmcnt(0)
	s_barrier
	v_add_f32_e32 v1, v13, v1
	ds_bpermute_b32 v2, v4, v1
	s_waitcnt lgkmcnt(0)
	v_add_f32_e32 v1, v1, v2
	ds_bpermute_b32 v2, v6, v1
	s_waitcnt lgkmcnt(0)
	;; [unrolled: 3-line block ×5, first 2 shown]
	v_add_f32_e32 v1, v1, v2
	s_and_saveexec_b64 s[4:5], s[0:1]
	s_cbranch_execz .LBB7_15
; %bb.14:
	ds_write_b32 v9, v1 offset:8
.LBB7_15:
	s_or_b64 exec, exec, s[4:5]
	s_waitcnt lgkmcnt(0)
	s_barrier
	s_and_saveexec_b64 s[0:1], s[2:3]
	s_cbranch_execz .LBB7_17
; %bb.16:
	ds_read_b32 v1, v10 offset:8
.LBB7_17:
	s_or_b64 exec, exec, s[0:1]
	s_waitcnt lgkmcnt(0)
	ds_bpermute_b32 v2, v5, v1
	s_movk_i32 s0, 0x60
	v_cmp_gt_u32_e32 vcc, s0, v0
	s_waitcnt lgkmcnt(0)
	v_add_f32_e32 v1, v1, v2
	ds_bpermute_b32 v2, v11, v1
	s_and_saveexec_b64 s[0:1], vcc
	s_cbranch_execz .LBB7_24
; %bb.18:
	s_cmp_gt_i32 s24, 0
	s_mov_b32 s4, 0
	s_cbranch_scc1 .LBB7_20
; %bb.19:
	v_mov_b32_e32 v1, 0
	v_mov_b32_e32 v4, s4
	s_cbranch_execz .LBB7_21
	s_branch .LBB7_23
.LBB7_20:
                                        ; implicit-def: $sgpr4
	v_mov_b32_e32 v4, s4
.LBB7_21:
	s_waitcnt lgkmcnt(0)
	v_add_f32_e32 v1, 0x358637bd, v2
	v_div_scale_f32 v2, s[2:3], v1, v1, 1.0
	v_rcp_f32_e32 v3, v2
	s_mul_i32 s4, s16, 0x60
	s_mul_i32 s16, s18, 0x60
	s_ashr_i32 s5, s4, 31
	v_fma_f32 v4, -v2, v3, 1.0
	v_fmac_f32_e32 v3, v4, v3
	v_div_scale_f32 v4, vcc, 1.0, v1, 1.0
	v_mul_f32_e32 v5, v4, v3
	s_ashr_i32 s17, s16, 31
	s_max_i32 s2, s23, 1
	v_fma_f32 v6, -v2, v5, v4
	s_add_i32 s3, s25, 16
	s_lshl_b64 s[4:5], s[4:5], 2
	s_lshl_b64 s[16:17], s[16:17], 2
	v_fmac_f32_e32 v5, v6, v3
	s_add_u32 s4, s4, s16
	v_fma_f32 v2, -v2, v5, v4
	s_addc_u32 s5, s5, s17
	v_div_fmas_f32 v2, v2, v3, v5
	s_add_u32 s4, s8, s4
	v_div_fixup_f32 v5, v2, v1, 1.0
	v_lshlrev_b32_e32 v2, 2, v0
	s_addc_u32 s5, s9, s5
	v_mov_b32_e32 v1, 0
	v_mov_b32_e32 v3, s5
	v_add_co_u32_e32 v2, vcc, s4, v2
	v_addc_co_u32_e32 v3, vcc, 0, v3, vcc
	v_mov_b32_e32 v4, v1
.LBB7_22:                               ; =>This Inner Loop Header: Depth=1
	global_load_dword v6, v[2:3], off
	v_mov_b32_e32 v7, s3
	ds_read_b32 v7, v7
	s_add_i32 s2, s2, -1
	v_add_co_u32_e32 v2, vcc, 0x180, v2
	s_add_i32 s3, s3, 4
	v_addc_co_u32_e32 v3, vcc, 0, v3, vcc
	s_cmp_eq_u32 s2, 0
	s_waitcnt vmcnt(0) lgkmcnt(0)
	v_mul_f32_e32 v6, v6, v7
	v_fmac_f32_e32 v4, v5, v6
	s_cbranch_scc0 .LBB7_22
.LBB7_23:
	s_mul_i32 s2, s22, 0x60
	s_ashr_i32 s3, s2, 31
	s_lshl_b64 s[2:3], s[2:3], 2
	s_add_u32 s4, s10, s2
	s_mul_i32 s2, s6, 0x60
	s_addc_u32 s5, s11, s3
	s_ashr_i32 s3, s2, 31
	s_lshl_b64 s[2:3], s[2:3], 2
	s_add_u32 s2, s4, s2
	s_addc_u32 s3, s5, s3
	s_waitcnt lgkmcnt(0)
	v_lshlrev_b64 v[2:3], 2, v[0:1]
	v_mov_b32_e32 v1, s3
	v_add_co_u32_e32 v2, vcc, s2, v2
	v_addc_co_u32_e32 v3, vcc, v1, v3, vcc
	global_store_dword v[2:3], v4, off
.LBB7_24:
	s_or_b64 exec, exec, s[0:1]
	s_mov_b64 s[0:1], 0
.LBB7_25:
	s_and_b64 vcc, exec, s[0:1]
	s_cbranch_vccz .LBB7_34
; %bb.26:
	s_movk_i32 s0, 0x60
	v_cmp_gt_u32_e32 vcc, s0, v0
	s_and_saveexec_b64 s[2:3], vcc
	s_cbranch_execz .LBB7_34
; %bb.27:
	s_mul_i32 s1, s15, s14
	s_mul_i32 s2, s1, 0x60
	s_ashr_i32 s3, s2, 31
	s_lshl_b64 s[4:5], s[2:3], 2
	s_add_u32 s1, s10, s4
	s_mul_i32 s14, s6, 0x60
	s_addc_u32 s3, s11, s5
	s_ashr_i32 s15, s14, 31
	s_lshl_b64 s[4:5], s[14:15], 2
	s_add_u32 s4, s1, s4
	s_mul_i32 s2, s2, s7
	s_addc_u32 s10, s3, s5
	s_ashr_i32 s3, s2, 31
	s_lshl_b64 s[2:3], s[2:3], 2
	s_add_u32 s1, s8, s2
	s_load_dword s8, s[12:13], 0xc
	s_mul_i32 s2, s14, s7
	s_addc_u32 s6, s9, s3
	s_ashr_i32 s3, s2, 31
	s_lshl_b64 s[2:3], s[2:3], 2
	s_add_u32 s5, s1, s2
	s_addc_u32 s7, s6, s3
	s_waitcnt lgkmcnt(0)
	s_and_b32 s6, s8, 0xffff
	v_cvt_f32_u32_e32 v1, s6
	v_add_u32_e32 v2, s6, v0
	v_mov_b32_e32 v4, s6
	v_cmp_gt_u32_e32 vcc, s0, v2
	v_rcp_iflag_f32_e32 v1, v1
	s_cmp_eq_u32 s6, 1
	v_max_u32_e32 v3, 0x60, v2
	v_addc_co_u32_e64 v2, s[0:1], v0, v4, vcc
	v_mul_f32_e32 v1, 0x4f7ffffe, v1
	v_cvt_u32_f32_e32 v1, v1
	s_cselect_b64 s[2:3], -1, 0
	s_sub_i32 s0, 0, s6
	v_sub_u32_e32 v2, v3, v2
	v_mul_lo_u32 v3, s0, v1
	v_mul_hi_u32 v3, v1, v3
	v_add_u32_e32 v1, v1, v3
	v_mul_hi_u32 v1, v2, v1
	v_mul_lo_u32 v3, v1, s6
	v_sub_u32_e32 v2, v2, v3
	v_add_u32_e32 v3, 1, v1
	v_cmp_le_u32_e64 s[0:1], s6, v2
	v_cndmask_b32_e64 v1, v1, v3, s[0:1]
	v_subrev_u32_e32 v3, s6, v2
	v_cndmask_b32_e64 v2, v2, v3, s[0:1]
	v_add_u32_e32 v3, 1, v1
	v_cmp_le_u32_e64 s[0:1], s6, v2
	v_cndmask_b32_e64 v1, v1, v3, s[0:1]
	v_addc_co_u32_e32 v1, vcc, 1, v1, vcc
	v_cmp_lt_u32_e32 vcc, 3, v1
	s_and_b64 s[8:9], vcc, s[2:3]
	s_mov_b64 s[2:3], -1
	s_and_saveexec_b64 s[0:1], s[8:9]
	s_cbranch_execz .LBB7_31
; %bb.28:
	v_and_b32_e32 v4, -4, v1
	s_mov_b64 s[2:3], 0
	v_mov_b32_e32 v3, 0
	v_mov_b32_e32 v5, s7
	v_mov_b32_e32 v6, s10
	v_mov_b32_e32 v2, v0
	v_mov_b32_e32 v7, v4
.LBB7_29:                               ; =>This Inner Loop Header: Depth=1
	v_lshlrev_b64 v[12:13], 2, v[2:3]
	v_add_co_u32_e32 v8, vcc, s5, v12
	v_addc_co_u32_e32 v9, vcc, v5, v13, vcc
	global_load_dwordx4 v[8:11], v[8:9], off
	v_add_co_u32_e32 v12, vcc, s4, v12
	v_add_u32_e32 v7, -4, v7
	v_addc_co_u32_e32 v13, vcc, v6, v13, vcc
	v_cmp_eq_u32_e32 vcc, 0, v7
	v_add_u32_e32 v2, 4, v2
	s_or_b64 s[2:3], vcc, s[2:3]
	s_waitcnt vmcnt(0)
	global_store_dwordx4 v[12:13], v[8:11], off
	s_andn2_b64 exec, exec, s[2:3]
	s_cbranch_execnz .LBB7_29
; %bb.30:
	s_or_b64 exec, exec, s[2:3]
	v_cmp_ne_u32_e32 vcc, v1, v4
	v_add_u32_e32 v0, v0, v4
	s_orn2_b64 s[2:3], vcc, exec
.LBB7_31:
	s_or_b64 exec, exec, s[0:1]
	s_and_b64 exec, exec, s[2:3]
	s_cbranch_execz .LBB7_34
; %bb.32:
	s_mov_b32 s3, 0
	v_mov_b32_e32 v1, 0
	v_lshlrev_b64 v[2:3], 2, v[0:1]
	s_lshl_b32 s2, s6, 2
	s_mov_b64 s[0:1], 0
	v_mov_b32_e32 v1, s7
	v_mov_b32_e32 v4, s10
	;; [unrolled: 1-line block ×3, first 2 shown]
	s_movk_i32 s3, 0x5f
.LBB7_33:                               ; =>This Inner Loop Header: Depth=1
	v_add_co_u32_e32 v6, vcc, s5, v2
	v_addc_co_u32_e32 v7, vcc, v1, v3, vcc
	global_load_dword v8, v[6:7], off
	v_add_co_u32_e32 v6, vcc, s4, v2
	v_addc_co_u32_e32 v7, vcc, v4, v3, vcc
	v_add_co_u32_e32 v2, vcc, s2, v2
	v_add_u32_e32 v0, s6, v0
	v_addc_co_u32_e32 v3, vcc, v3, v5, vcc
	v_cmp_lt_u32_e32 vcc, s3, v0
	s_or_b64 s[0:1], vcc, s[0:1]
	s_waitcnt vmcnt(0)
	global_store_dword v[6:7], v8, off
	s_andn2_b64 exec, exec, s[0:1]
	s_cbranch_execnz .LBB7_33
.LBB7_34:
	s_endpgm
	.section	.rodata,"a",@progbits
	.p2align	6, 0x0
	.amdhsa_kernel _ZN4vllm32paged_attention_v2_reduce_kernelIfLi96ELi128ELi512EEEvPT_PKfS4_PKS1_PKii
		.amdhsa_group_segment_fixed_size 16
		.amdhsa_private_segment_fixed_size 0
		.amdhsa_kernarg_size 304
		.amdhsa_user_sgpr_count 6
		.amdhsa_user_sgpr_private_segment_buffer 1
		.amdhsa_user_sgpr_dispatch_ptr 0
		.amdhsa_user_sgpr_queue_ptr 0
		.amdhsa_user_sgpr_kernarg_segment_ptr 1
		.amdhsa_user_sgpr_dispatch_id 0
		.amdhsa_user_sgpr_flat_scratch_init 0
		.amdhsa_user_sgpr_kernarg_preload_length 0
		.amdhsa_user_sgpr_kernarg_preload_offset 0
		.amdhsa_user_sgpr_private_segment_size 0
		.amdhsa_uses_dynamic_stack 0
		.amdhsa_system_sgpr_private_segment_wavefront_offset 0
		.amdhsa_system_sgpr_workgroup_id_x 1
		.amdhsa_system_sgpr_workgroup_id_y 1
		.amdhsa_system_sgpr_workgroup_id_z 0
		.amdhsa_system_sgpr_workgroup_info 0
		.amdhsa_system_vgpr_workitem_id 0
		.amdhsa_next_free_vgpr 24
		.amdhsa_next_free_sgpr 32
		.amdhsa_accum_offset 24
		.amdhsa_reserve_vcc 1
		.amdhsa_reserve_flat_scratch 0
		.amdhsa_float_round_mode_32 0
		.amdhsa_float_round_mode_16_64 0
		.amdhsa_float_denorm_mode_32 3
		.amdhsa_float_denorm_mode_16_64 3
		.amdhsa_dx10_clamp 1
		.amdhsa_ieee_mode 1
		.amdhsa_fp16_overflow 0
		.amdhsa_tg_split 0
		.amdhsa_exception_fp_ieee_invalid_op 0
		.amdhsa_exception_fp_denorm_src 0
		.amdhsa_exception_fp_ieee_div_zero 0
		.amdhsa_exception_fp_ieee_overflow 0
		.amdhsa_exception_fp_ieee_underflow 0
		.amdhsa_exception_fp_ieee_inexact 0
		.amdhsa_exception_int_div_zero 0
	.end_amdhsa_kernel
	.section	.text._ZN4vllm32paged_attention_v2_reduce_kernelIfLi96ELi128ELi512EEEvPT_PKfS4_PKS1_PKii,"axG",@progbits,_ZN4vllm32paged_attention_v2_reduce_kernelIfLi96ELi128ELi512EEEvPT_PKfS4_PKS1_PKii,comdat
.Lfunc_end7:
	.size	_ZN4vllm32paged_attention_v2_reduce_kernelIfLi96ELi128ELi512EEEvPT_PKfS4_PKS1_PKii, .Lfunc_end7-_ZN4vllm32paged_attention_v2_reduce_kernelIfLi96ELi128ELi512EEEvPT_PKfS4_PKS1_PKii
                                        ; -- End function
	.section	.AMDGPU.csdata,"",@progbits
; Kernel info:
; codeLenInByte = 2168
; NumSgprs: 36
; NumVgprs: 24
; NumAgprs: 0
; TotalNumVgprs: 24
; ScratchSize: 0
; MemoryBound: 0
; FloatMode: 240
; IeeeMode: 1
; LDSByteSize: 16 bytes/workgroup (compile time only)
; SGPRBlocks: 4
; VGPRBlocks: 2
; NumSGPRsForWavesPerEU: 36
; NumVGPRsForWavesPerEU: 24
; AccumOffset: 24
; Occupancy: 8
; WaveLimiterHint : 0
; COMPUTE_PGM_RSRC2:SCRATCH_EN: 0
; COMPUTE_PGM_RSRC2:USER_SGPR: 6
; COMPUTE_PGM_RSRC2:TRAP_HANDLER: 0
; COMPUTE_PGM_RSRC2:TGID_X_EN: 1
; COMPUTE_PGM_RSRC2:TGID_Y_EN: 1
; COMPUTE_PGM_RSRC2:TGID_Z_EN: 0
; COMPUTE_PGM_RSRC2:TIDIG_COMP_CNT: 0
; COMPUTE_PGM_RSRC3_GFX90A:ACCUM_OFFSET: 5
; COMPUTE_PGM_RSRC3_GFX90A:TG_SPLIT: 0
	.section	.text._ZN4vllm25paged_attention_v2_kernelIffLi112ELi8ELi128ELNS_18Fp8KVCacheDataTypeE0ELb1ELi512EEEvPfS2_PT_PKS3_PKT0_S9_ifPKiSB_iPKfiiiSD_SD_iiiii,"axG",@progbits,_ZN4vllm25paged_attention_v2_kernelIffLi112ELi8ELi128ELNS_18Fp8KVCacheDataTypeE0ELb1ELi512EEEvPfS2_PT_PKS3_PKT0_S9_ifPKiSB_iPKfiiiSD_SD_iiiii,comdat
	.protected	_ZN4vllm25paged_attention_v2_kernelIffLi112ELi8ELi128ELNS_18Fp8KVCacheDataTypeE0ELb1ELi512EEEvPfS2_PT_PKS3_PKT0_S9_ifPKiSB_iPKfiiiSD_SD_iiiii ; -- Begin function _ZN4vllm25paged_attention_v2_kernelIffLi112ELi8ELi128ELNS_18Fp8KVCacheDataTypeE0ELb1ELi512EEEvPfS2_PT_PKS3_PKT0_S9_ifPKiSB_iPKfiiiSD_SD_iiiii
	.globl	_ZN4vllm25paged_attention_v2_kernelIffLi112ELi8ELi128ELNS_18Fp8KVCacheDataTypeE0ELb1ELi512EEEvPfS2_PT_PKS3_PKT0_S9_ifPKiSB_iPKfiiiSD_SD_iiiii
	.p2align	8
	.type	_ZN4vllm25paged_attention_v2_kernelIffLi112ELi8ELi128ELNS_18Fp8KVCacheDataTypeE0ELb1ELi512EEEvPfS2_PT_PKS3_PKT0_S9_ifPKiSB_iPKfiiiSD_SD_iiiii,@function
_ZN4vllm25paged_attention_v2_kernelIffLi112ELi8ELi128ELNS_18Fp8KVCacheDataTypeE0ELb1ELi512EEEvPfS2_PT_PKS3_PKT0_S9_ifPKiSB_iPKfiiiSD_SD_iiiii: ; @_ZN4vllm25paged_attention_v2_kernelIffLi112ELi8ELi128ELNS_18Fp8KVCacheDataTypeE0ELb1ELi512EEEvPfS2_PT_PKS3_PKT0_S9_ifPKiSB_iPKfiiiSD_SD_iiiii
; %bb.0:
	s_load_dwordx2 s[0:1], s[4:5], 0x40
	s_mov_b32 s28, s7
	s_ashr_i32 s29, s7, 31
	s_lshl_b64 s[2:3], s[28:29], 2
	s_waitcnt lgkmcnt(0)
	s_add_u32 s0, s0, s2
	s_addc_u32 s1, s1, s3
	s_load_dword s29, s[0:1], 0x0
	s_lshl_b32 s48, s8, 9
	s_waitcnt lgkmcnt(0)
	s_cmp_ge_i32 s48, s29
	s_cbranch_scc1 .LBB8_81
; %bb.1:
	s_load_dword s9, s[4:5], 0x90
	s_load_dwordx2 s[38:39], s[4:5], 0x30
	s_mov_b32 s49, 0
	s_waitcnt lgkmcnt(0)
	s_abs_i32 s2, s9
	s_abs_i32 s0, s38
	v_cvt_f32_u32_e32 v1, s0
	s_sub_i32 s3, 0, s0
	s_xor_b32 s1, s9, s38
	s_ashr_i32 s1, s1, 31
	v_rcp_iflag_f32_e32 v1, v1
	v_mul_f32_e32 v1, 0x4f7ffffe, v1
	v_cvt_u32_f32_e32 v1, v1
	v_readfirstlane_b32 s7, v1
	s_mul_i32 s3, s3, s7
	s_mul_hi_u32 s3, s7, s3
	s_add_i32 s7, s7, s3
	s_mul_hi_u32 s3, s2, s7
	s_mul_i32 s7, s3, s0
	s_sub_i32 s2, s2, s7
	s_add_i32 s10, s3, 1
	s_sub_i32 s7, s2, s0
	s_cmp_ge_u32 s2, s0
	s_cselect_b32 s3, s10, s3
	s_cselect_b32 s2, s7, s2
	s_add_i32 s7, s3, 1
	s_cmp_ge_u32 s2, s0
	s_cselect_b32 s0, s7, s3
	s_xor_b32 s0, s0, s1
	s_sub_i32 s11, s0, s1
	s_abs_i32 s2, s11
	v_cvt_f32_u32_e32 v1, s2
	s_load_dwordx2 s[0:1], s[4:5], 0x50
	s_sub_i32 s7, 0, s2
	s_abs_i32 s3, s6
	v_rcp_iflag_f32_e32 v1, v1
	v_mul_f32_e32 v1, 0x4f7ffffe, v1
	v_cvt_u32_f32_e32 v1, v1
	v_readfirstlane_b32 s10, v1
	s_mul_i32 s7, s7, s10
	s_mul_hi_u32 s7, s10, s7
	s_add_i32 s10, s10, s7
	s_waitcnt lgkmcnt(0)
	s_cmp_eq_u64 s[0:1], 0
	s_mul_hi_u32 s10, s3, s10
	s_cbranch_scc1 .LBB8_3
; %bb.2:
	s_ashr_i32 s7, s6, 31
	s_lshl_b64 s[12:13], s[6:7], 2
	s_add_u32 s0, s0, s12
	s_addc_u32 s1, s1, s13
	s_load_dword s49, s[0:1], 0x0
.LBB8_3:
	s_load_dwordx4 s[12:15], s[4:5], 0x58
	s_movk_i32 s0, 0x70
	s_ashr_i32 s7, s6, 31
	s_ashr_i32 s11, s11, 31
	v_and_b32_e32 v2, 7, v0
	s_mul_i32 s24, s6, 0x70
	v_cmp_gt_u32_e32 vcc, s0, v0
	v_lshlrev_b32_e32 v6, 2, v0
	v_lshrrev_b32_e32 v1, 1, v0
	s_and_saveexec_b64 s[0:1], vcc
	s_cbranch_execz .LBB8_5
; %bb.4:
	s_load_dwordx2 s[16:17], s[4:5], 0x18
	s_waitcnt lgkmcnt(0)
	s_mul_i32 s18, s28, s12
	s_ashr_i32 s19, s18, 31
	s_lshl_b64 s[18:19], s[18:19], 2
	v_and_b32_e32 v4, 0x1fc, v1
	s_add_u32 s12, s16, s18
	s_addc_u32 s15, s17, s19
	s_ashr_i32 s25, s24, 31
	s_lshl_b64 s[16:17], s[24:25], 2
	s_add_u32 s16, s12, s16
	s_addc_u32 s17, s15, s17
	global_load_dword v3, v6, s[16:17]
	v_mad_u32_u24 v4, v2, 56, v4
	s_waitcnt vmcnt(0)
	ds_write_b32 v4, v3
.LBB8_5:
	s_or_b64 exec, exec, s[0:1]
	s_mul_i32 s1, s10, s2
	s_sub_i32 s1, s3, s1
	s_xor_b32 s0, s7, s11
	s_add_i32 s3, s10, 1
	s_sub_i32 s7, s1, s2
	s_load_dwordx4 s[16:19], s[4:5], 0x78
	s_cmp_ge_u32 s1, s2
	s_cselect_b32 s3, s3, s10
	s_load_dword s10, s[4:5], 0x88
	s_cselect_b32 s1, s7, s1
	s_add_i32 s7, s3, 1
	s_cmp_ge_u32 s1, s2
	s_cselect_b32 s1, s7, s3
	s_waitcnt lgkmcnt(0)
	s_abs_i32 s25, s19
	v_cvt_f32_u32_e32 v3, s25
	s_xor_b32 s1, s1, s0
	s_sub_i32 s2, s1, s0
	s_sub_i32 s0, 0, s25
	v_rcp_iflag_f32_e32 v3, v3
	s_add_i32 s11, s29, -1
	s_abs_i32 s3, s11
	v_mul_f32_e32 v3, 0x4f7ffffe, v3
	v_cvt_u32_f32_e32 v3, v3
	s_barrier
	v_readfirstlane_b32 s33, v3
	s_mul_i32 s0, s0, s33
	s_mul_hi_u32 s0, s33, s0
	s_add_i32 s33, s33, s0
	s_cmp_lt_i32 s10, 0
	s_mul_hi_u32 s7, s3, s33
	s_cbranch_scc0 .LBB8_7
; %bb.6:
	s_mul_i32 s0, s16, s38
	s_add_i32 s0, s2, s0
	s_mul_i32 s0, s0, s10
	s_sub_i32 s46, 1, s0
	s_mov_b64 s[0:1], 0
	s_branch .LBB8_8
.LBB8_7:
	s_mov_b64 s[0:1], -1
                                        ; implicit-def: $sgpr46
.LBB8_8:
	s_load_dwordx2 s[30:31], s[4:5], 0x38
	s_ashr_i32 s11, s11, 31
	s_andn2_b64 vcc, exec, s[0:1]
	s_ashr_i32 s19, s19, 31
	s_cbranch_vccnz .LBB8_10
; %bb.9:
	s_mul_i32 s0, s9, s16
	s_add_i32 s0, s0, s6
	s_mul_i32 s0, s0, s10
	s_add_i32 s46, s0, 1
.LBB8_10:
	s_load_dword s0, s[4:5], 0x48
	s_load_dwordx2 s[36:37], s[4:5], 0x28
	s_load_dword s16, s[4:5], 0x98
	s_load_dwordx4 s[20:23], s[4:5], 0x0
	s_load_dwordx2 s[26:27], s[4:5], 0x10
	s_mul_i32 s1, s7, s25
	s_waitcnt lgkmcnt(0)
	s_mul_i32 s34, s28, s0
	s_sub_i32 s1, s3, s1
	s_ashr_i32 s35, s34, 31
	s_xor_b32 s0, s11, s19
	s_add_i32 s3, s7, 1
	s_sub_i32 s10, s1, s25
	s_cmp_ge_u32 s1, s25
	s_cselect_b32 s3, s3, s7
	s_cselect_b32 s1, s10, s1
	s_add_i32 s7, s3, 1
	s_cmp_ge_u32 s1, s25
	s_cselect_b32 s1, s7, s3
	s_xor_b32 s1, s1, s0
	s_sub_i32 s12, s1, s0
	s_add_i32 s0, s29, 7
	s_ashr_i32 s1, s0, 31
	s_lshr_b32 s1, s1, 29
	s_add_i32 s0, s0, s1
	s_lshl_b32 s38, s8, 6
	s_ashr_i32 s7, s0, 3
	s_add_i32 s0, s38, 64
	v_lshrrev_b32_e32 v7, 6, v0
	s_min_i32 s47, s0, s7
	v_or_b32_e32 v22, s38, v7
	v_cmp_gt_i32_e64 s[0:1], s47, v22
	v_mov_b32_e32 v11, 0xff7fffff
	s_mul_i32 s14, s2, s14
	v_ashrrev_i32_e32 v23, 31, v22
	v_lshl_add_u32 v26, v7, 3, s48
	v_mbcnt_lo_u32_b32 v4, -1, 0
	s_and_saveexec_b64 s[40:41], s[0:1]
	s_cbranch_execz .LBB8_20
; %bb.11:
	s_load_dwordx2 s[2:3], s[4:5], 0x20
	s_ashr_i32 s15, s14, 31
	s_sub_i32 s50, s12, s17
	s_lshl_b64 s[4:5], s[14:15], 2
	v_bfe_u32 v5, v0, 3, 3
	s_waitcnt lgkmcnt(0)
	s_add_u32 s2, s2, s4
	s_addc_u32 s3, s3, s5
	s_abs_i32 s15, s18
	v_cvt_f32_u32_e32 v9, s15
	v_lshlrev_b32_e32 v3, 4, v5
	v_mov_b32_e32 v8, s3
	v_add_co_u32_e64 v3, s[2:3], s2, v3
	v_rcp_iflag_f32_e32 v9, v9
	v_and_b32_e32 v10, 3, v0
	v_addc_co_u32_e64 v8, s[2:3], 0, v8, s[2:3]
	v_lshlrev_b32_e32 v10, 2, v10
	v_add_co_u32_e64 v3, s[2:3], v3, v10
	v_addc_co_u32_e64 v12, s[2:3], 0, v8, s[2:3]
	v_mul_f32_e32 v8, 0x4f7ffffe, v9
	v_cvt_u32_f32_e32 v9, v8
	s_sub_i32 s4, 0, s15
	v_cmp_eq_u32_e32 vcc, 0, v2
	v_mul_u32_u24_e32 v8, 56, v2
	v_mul_lo_u32 v2, s4, v9
	v_mul_hi_u32 v2, v9, v2
	v_add_u32_e32 v9, v9, v2
	v_lshlrev_b32_e32 v2, 5, v0
	v_and_b32_e32 v2, 0x80, v2
	v_add_co_u32_e64 v10, s[4:5], v3, v2
	v_addc_co_u32_e64 v12, s[4:5], 0, v12, s[4:5]
	v_lshlrev_b32_e32 v11, 2, v5
	s_lshl_b64 s[4:5], s[34:35], 2
	s_add_u32 s4, s30, s4
	v_lshl_or_b32 v11, v7, 5, v11
	v_lshlrev_b64 v[2:3], 2, v[22:23]
	s_addc_u32 s5, s31, s5
	v_add_u32_e32 v14, 0x1d0, v11
	v_subrev_u32_e32 v11, s29, v5
	v_mbcnt_hi_u32_b32 v17, -1, v4
	v_mov_b32_e32 v13, s5
	v_add_co_u32_e64 v2, s[4:5], s4, v2
	v_add_u32_e32 v15, 1, v11
	v_and_b32_e32 v11, 64, v17
	s_mov_b32 s51, s13
	v_cmp_neq_f32_e64 s[2:3], s49, 0
	v_addc_co_u32_e64 v3, s[4:5], v13, v3, s[4:5]
	v_lshl_add_u32 v13, v7, 3, s48
	s_mov_b64 s[42:43], 0
	v_mov_b32_e32 v16, 0xff7fffff
	v_add_u32_e32 v18, 64, v11
	v_xor_b32_e32 v19, 4, v17
	v_xor_b32_e32 v20, 2, v17
	;; [unrolled: 1-line block ×3, first 2 shown]
	v_mov_b32_e32 v11, 0xff7fffff
	v_mov_b32_e32 v24, v22
	s_branch .LBB8_14
.LBB8_12:                               ;   in Loop: Header=BB8_14 Depth=1
	s_or_b64 exec, exec, s[44:45]
.LBB8_13:                               ;   in Loop: Header=BB8_14 Depth=1
	s_or_b64 exec, exec, s[10:11]
	v_add_co_u32_e64 v2, s[4:5], 8, v2
	v_add_u32_e32 v24, 2, v24
	v_addc_co_u32_e64 v3, s[4:5], 0, v3, s[4:5]
	v_cmp_le_i32_e64 s[4:5], s47, v24
	v_add_u32_e32 v13, 16, v13
	s_or_b64 s[42:43], s[4:5], s[42:43]
	v_add_u32_e32 v14, 64, v14
	s_andn2_b64 exec, exec, s[42:43]
	s_cbranch_execz .LBB8_19
.LBB8_14:                               ; =>This Inner Loop Header: Depth=1
	s_waitcnt lgkmcnt(0)
	v_sub_u32_e32 v27, 0, v13
	v_max_i32_e32 v27, v13, v27
	v_mul_hi_u32 v28, v27, s33
	v_mul_lo_u32 v29, v28, s25
	v_sub_u32_e32 v27, v27, v29
	v_add_u32_e32 v29, 1, v28
	v_cmp_le_u32_e64 s[4:5], s25, v27
	v_cndmask_b32_e64 v28, v28, v29, s[4:5]
	v_subrev_u32_e32 v29, s25, v27
	v_cndmask_b32_e64 v27, v27, v29, s[4:5]
	v_ashrrev_i32_e32 v25, 31, v13
	v_add_u32_e32 v29, 1, v28
	v_cmp_le_u32_e64 s[4:5], s25, v27
	v_xor_b32_e32 v25, s19, v25
	v_cndmask_b32_e64 v27, v28, v29, s[4:5]
	v_xor_b32_e32 v27, v27, v25
	v_sub_u32_e32 v25, v27, v25
	v_add_u32_e32 v27, s46, v25
	v_sub_u32_e32 v29, 0, v27
	v_ashrrev_i32_e32 v28, 31, v27
	v_max_i32_e32 v27, v27, v29
	v_mul_hi_u32 v29, v27, v9
	v_mul_lo_u32 v29, v29, s15
	v_sub_u32_e32 v27, v27, v29
	v_subrev_u32_e32 v29, s15, v27
	v_cmp_le_u32_e64 s[4:5], s15, v27
	v_cndmask_b32_e64 v27, v27, v29, s[4:5]
	v_subrev_u32_e32 v29, s15, v27
	v_cmp_le_u32_e64 s[4:5], s15, v27
	v_cndmask_b32_e64 v27, v27, v29, s[4:5]
	v_xor_b32_e32 v27, v27, v28
	v_sub_u32_e32 v27, v27, v28
	v_cmp_ne_u32_e64 s[4:5], 0, v27
	v_cmp_ge_i32_e64 s[10:11], s50, v25
	s_and_b64 s[4:5], s[4:5], s[10:11]
	s_and_b64 s[44:45], vcc, s[4:5]
	s_and_saveexec_b64 s[10:11], s[44:45]
	s_cbranch_execz .LBB8_16
; %bb.15:                               ;   in Loop: Header=BB8_14 Depth=1
	ds_write_b32 v14, v16
.LBB8_16:                               ;   in Loop: Header=BB8_14 Depth=1
	s_or_b64 exec, exec, s[10:11]
	s_xor_b64 s[4:5], s[4:5], -1
	s_and_saveexec_b64 s[10:11], s[4:5]
	s_cbranch_execz .LBB8_13
; %bb.17:                               ;   in Loop: Header=BB8_14 Depth=1
	global_load_dword v25, v[2:3], off
	s_waitcnt vmcnt(0)
	v_mad_i64_i32 v[28:29], s[4:5], v25, s51, 0
	v_lshlrev_b64 v[28:29], 2, v[28:29]
	v_add_co_u32_e64 v28, s[4:5], v10, v28
	v_addc_co_u32_e64 v29, s[4:5], v12, v29, s[4:5]
	global_load_dword v25, v[28:29], off offset:256
	global_load_dword v27, v[28:29], off
	global_load_dword v42, v[28:29], off offset:512
	global_load_dword v43, v[28:29], off offset:768
	;; [unrolled: 1-line block ×12, first 2 shown]
	ds_read2_b64 v[28:31], v8 offset1:1
	ds_read2_b64 v[32:35], v8 offset0:2 offset1:3
	ds_read2_b64 v[36:39], v8 offset0:4 offset1:5
	ds_read_b64 v[40:41], v8 offset:48
	v_cmp_lt_i32_e64 s[4:5], v19, v18
	v_cndmask_b32_e64 v54, v17, v19, s[4:5]
	v_lshlrev_b32_e32 v54, 2, v54
	v_cmp_lt_i32_e64 s[4:5], v20, v18
	s_waitcnt vmcnt(13) lgkmcnt(3)
	v_mul_f32_e32 v25, v29, v25
	s_waitcnt vmcnt(12)
	v_fmac_f32_e32 v25, v28, v27
	s_waitcnt vmcnt(11)
	v_fmac_f32_e32 v25, v30, v42
	s_waitcnt vmcnt(10)
	v_fmac_f32_e32 v25, v31, v43
	s_waitcnt vmcnt(9) lgkmcnt(2)
	v_fmac_f32_e32 v25, v32, v44
	s_waitcnt vmcnt(8)
	v_fmac_f32_e32 v25, v33, v45
	s_waitcnt vmcnt(7)
	v_fmac_f32_e32 v25, v34, v46
	s_waitcnt vmcnt(6)
	v_fmac_f32_e32 v25, v35, v47
	s_waitcnt vmcnt(5) lgkmcnt(1)
	v_fmac_f32_e32 v25, v36, v48
	;; [unrolled: 8-line block ×3, first 2 shown]
	s_waitcnt vmcnt(0)
	v_fmac_f32_e32 v25, v41, v53
	ds_bpermute_b32 v27, v54, v25
	v_cndmask_b32_e64 v28, v17, v20, s[4:5]
	v_lshlrev_b32_e32 v28, 2, v28
	v_cmp_lt_i32_e64 s[4:5], v21, v18
	s_waitcnt lgkmcnt(0)
	v_add_f32_e32 v25, v25, v27
	ds_bpermute_b32 v27, v28, v25
	v_cndmask_b32_e64 v28, v17, v21, s[4:5]
	v_lshlrev_b32_e32 v28, 2, v28
	s_waitcnt lgkmcnt(0)
	v_add_f32_e32 v25, v25, v27
	ds_bpermute_b32 v27, v28, v25
	s_and_saveexec_b64 s[44:45], vcc
	s_cbranch_execz .LBB8_12
; %bb.18:                               ;   in Loop: Header=BB8_14 Depth=1
	v_add_u32_e32 v28, v15, v13
	v_cvt_f32_i32_e32 v28, v28
	s_waitcnt lgkmcnt(0)
	v_add_f32_e32 v25, v25, v27
	v_add_u32_e32 v29, v5, v13
	v_cmp_gt_i32_e64 s[4:5], s29, v29
	v_mul_f32_e32 v27, s49, v28
	v_cndmask_b32_e64 v27, 0, v27, s[2:3]
	v_fmac_f32_e32 v27, s39, v25
	v_cndmask_b32_e64 v25, 0, v27, s[4:5]
	ds_write_b32 v14, v25
	v_max_f32_e32 v25, v11, v11
	v_max_f32_e32 v25, v25, v27
	v_cndmask_b32_e64 v11, v11, v25, s[4:5]
	s_branch .LBB8_12
.LBB8_19:
	s_or_b64 exec, exec, s[42:43]
.LBB8_20:
	s_or_b64 exec, exec, s[40:41]
	v_mbcnt_hi_u32_b32 v2, -1, v4
	v_and_b32_e32 v3, 64, v2
	v_add_u32_e32 v3, 64, v3
	v_xor_b32_e32 v4, 32, v2
	v_cmp_lt_i32_e32 vcc, v4, v3
	v_cndmask_b32_e32 v4, v2, v4, vcc
	v_lshlrev_b32_e32 v9, 2, v4
	ds_bpermute_b32 v4, v9, v11
	v_xor_b32_e32 v8, 16, v2
	v_max_f32_e32 v5, v11, v11
	v_cmp_lt_i32_e32 vcc, v8, v3
	s_waitcnt lgkmcnt(0)
	v_max_f32_e32 v4, v4, v4
	v_max_f32_e32 v4, v5, v4
	v_cndmask_b32_e32 v5, v2, v8, vcc
	v_lshlrev_b32_e32 v11, 2, v5
	ds_bpermute_b32 v5, v11, v4
	v_xor_b32_e32 v8, 8, v2
	v_cmp_lt_i32_e32 vcc, v8, v3
	s_waitcnt lgkmcnt(0)
	v_max_f32_e32 v5, v5, v5
	v_max_f32_e32 v5, v4, v5
	v_cndmask_b32_e32 v4, v2, v8, vcc
	v_lshlrev_b32_e32 v12, 2, v4
	ds_bpermute_b32 v10, v12, v5
	v_and_b32_e32 v4, 63, v0
	v_cmp_eq_u32_e32 vcc, 0, v4
	v_lshlrev_b32_e32 v8, 2, v7
	s_and_saveexec_b64 s[2:3], vcc
	s_cbranch_execz .LBB8_22
; %bb.21:
	s_waitcnt lgkmcnt(0)
	v_max_f32_e32 v10, v10, v10
	v_max_f32_e32 v5, v5, v5
	;; [unrolled: 1-line block ×3, first 2 shown]
	ds_write_b32 v8, v5 offset:448
.LBB8_22:
	s_or_b64 exec, exec, s[2:3]
	v_cmp_gt_u32_e64 s[2:3], 2, v4
	v_mov_b32_e32 v5, 0xff7fffff
	s_waitcnt lgkmcnt(0)
	v_lshlrev_b32_e32 v10, 2, v4
	s_barrier
	s_and_saveexec_b64 s[4:5], s[2:3]
	s_cbranch_execz .LBB8_24
; %bb.23:
	ds_read_b32 v5, v10 offset:448
.LBB8_24:
	s_or_b64 exec, exec, s[4:5]
	v_xor_b32_e32 v13, 1, v2
	v_cmp_lt_i32_e64 s[4:5], v13, v3
	v_cndmask_b32_e64 v13, v2, v13, s[4:5]
	v_lshlrev_b32_e32 v27, 2, v13
	s_waitcnt lgkmcnt(0)
	ds_bpermute_b32 v13, v27, v5
	v_max_f32_e32 v5, v5, v5
	s_sub_i32 s4, s47, s38
	s_lshl_b32 s4, s4, 3
	s_add_i32 s4, s4, s48
	s_waitcnt lgkmcnt(0)
	v_max_f32_e32 v13, v13, v13
	v_max_f32_e32 v5, v5, v13
	v_lshlrev_b32_e32 v13, 2, v2
	v_and_b32_e32 v13, 0x100, v13
	ds_bpermute_b32 v5, v13, v5
	s_min_i32 s42, s4, s29
	s_sub_i32 s15, s42, s48
	v_cmp_gt_i32_e64 s[4:5], s15, v0
	v_mov_b32_e32 v14, 0
	s_and_saveexec_b64 s[38:39], s[4:5]
	s_cbranch_execz .LBB8_28
; %bb.25:
	v_mov_b32_e32 v14, 0x1d0
	v_lshl_add_u32 v15, v0, 2, v14
	s_mov_b64 s[40:41], 0
	v_mov_b32_e32 v14, 0
	v_mov_b32_e32 v16, v0
.LBB8_26:                               ; =>This Inner Loop Header: Depth=1
	ds_read_b32 v17, v15
	v_add_u32_e32 v16, 0x80, v16
	v_cmp_le_i32_e64 s[10:11], s15, v16
	s_or_b64 s[40:41], s[10:11], s[40:41]
	s_waitcnt lgkmcnt(0)
	v_sub_f32_e32 v17, v17, v5
	v_mul_f32_e32 v17, 0x3fb8aa3b, v17
	v_exp_f32_e32 v17, v17
	ds_write_b32 v15, v17
	v_add_f32_e32 v14, v14, v17
	v_add_u32_e32 v15, 0x200, v15
	s_andn2_b64 exec, exec, s[40:41]
	s_cbranch_execnz .LBB8_26
; %bb.27:
	s_or_b64 exec, exec, s[40:41]
.LBB8_28:
	s_or_b64 exec, exec, s[38:39]
	ds_bpermute_b32 v9, v9, v14
	s_waitcnt lgkmcnt(0)
	v_add_f32_e32 v9, v14, v9
	ds_bpermute_b32 v11, v11, v9
	s_waitcnt lgkmcnt(0)
	v_add_f32_e32 v9, v9, v11
	ds_bpermute_b32 v11, v12, v9
	v_xor_b32_e32 v12, 4, v2
	v_cmp_lt_i32_e64 s[10:11], v12, v3
	v_cndmask_b32_e64 v12, v2, v12, s[10:11]
	v_lshlrev_b32_e32 v12, 2, v12
	s_waitcnt lgkmcnt(0)
	v_add_f32_e32 v9, v9, v11
	ds_bpermute_b32 v11, v12, v9
	v_xor_b32_e32 v12, 2, v2
	v_cmp_lt_i32_e64 s[10:11], v12, v3
	v_cndmask_b32_e64 v2, v2, v12, s[10:11]
	v_lshlrev_b32_e32 v2, 2, v2
	s_waitcnt lgkmcnt(0)
	v_add_f32_e32 v3, v9, v11
	ds_bpermute_b32 v2, v2, v3
	s_waitcnt lgkmcnt(0)
	v_add_f32_e32 v2, v3, v2
	ds_bpermute_b32 v3, v27, v2
	s_waitcnt lgkmcnt(0)
	v_add_f32_e32 v2, v2, v3
	s_and_saveexec_b64 s[10:11], vcc
	s_cbranch_execz .LBB8_30
; %bb.29:
	ds_write_b32 v8, v2 offset:456
.LBB8_30:
	s_or_b64 exec, exec, s[10:11]
	s_waitcnt lgkmcnt(0)
	s_barrier
	s_and_saveexec_b64 s[10:11], s[2:3]
	s_cbranch_execz .LBB8_32
; %bb.31:
	ds_read_b32 v2, v10 offset:456
.LBB8_32:
	s_or_b64 exec, exec, s[10:11]
	s_waitcnt lgkmcnt(0)
	ds_bpermute_b32 v3, v27, v2
	s_waitcnt lgkmcnt(0)
	v_add_f32_e32 v2, v2, v3
	ds_bpermute_b32 v8, v13, v2
	s_and_saveexec_b64 s[2:3], s[4:5]
	s_cbranch_execz .LBB8_45
; %bb.33:
	s_waitcnt lgkmcnt(0)
	v_add_f32_e32 v2, 0x358637bd, v8
	v_div_scale_f32 v3, s[4:5], v2, v2, 1.0
	v_rcp_f32_e32 v9, v3
	v_div_scale_f32 v10, vcc, 1.0, v2, 1.0
	s_movk_i32 s4, 0x7f
	v_fma_f32 v11, -v3, v9, 1.0
	v_fmac_f32_e32 v9, v11, v9
	v_mul_f32_e32 v11, v10, v9
	v_fma_f32 v12, -v3, v11, v10
	v_fmac_f32_e32 v11, v12, v9
	v_fma_f32 v3, -v3, v11, v10
	v_div_fmas_f32 v3, v3, v9, v11
	v_div_fixup_f32 v2, v3, v2, 1.0
	v_xad_u32 v3, v0, -1, s42
	v_subrev_u32_e32 v9, s48, v3
	v_cmp_lt_u32_e32 vcc, s4, v9
	s_mov_b64 s[10:11], -1
	v_mov_b32_e32 v3, v0
	s_and_saveexec_b64 s[4:5], vcc
	s_cbranch_execz .LBB8_42
; %bb.34:
	v_lshrrev_b32_e32 v9, 7, v9
	v_add_u32_e32 v11, -1, v9
	v_lshrrev_b32_e32 v10, 1, v11
	v_mov_b32_e32 v3, v2
	v_add_u32_e32 v10, 1, v10
	v_cmp_lt_u32_e32 vcc, 13, v11
	v_mov_b32_e32 v13, 0
	s_and_saveexec_b64 s[10:11], vcc
	s_cbranch_execz .LBB8_38
; %bb.35:
	v_mov_b32_e32 v12, 0x1d0
	v_and_b32_e32 v11, -8, v10
	v_lshl_add_u32 v12, v0, 2, v12
	s_mov_b32 s40, 0
	s_mov_b64 s[38:39], 0
.LBB8_36:                               ; =>This Inner Loop Header: Depth=1
	ds_read2st64_b32 v[14:15], v12 offset1:2
	ds_read2st64_b32 v[16:17], v12 offset0:4 offset1:6
	ds_read2st64_b32 v[18:19], v12 offset0:8 offset1:10
	;; [unrolled: 1-line block ×3, first 2 shown]
	v_add_u32_e32 v11, -8, v11
	s_waitcnt lgkmcnt(3)
	v_pk_mul_f32 v[14:15], v[2:3], v[14:15]
	s_waitcnt lgkmcnt(2)
	v_pk_mul_f32 v[16:17], v[2:3], v[16:17]
	ds_write2st64_b32 v12, v14, v15 offset1:2
	ds_write2st64_b32 v12, v16, v17 offset0:4 offset1:6
	ds_read2st64_b32 v[16:17], v12 offset0:16 offset1:18
	s_waitcnt lgkmcnt(4)
	v_pk_mul_f32 v[14:15], v[2:3], v[18:19]
	ds_write2st64_b32 v12, v14, v15 offset0:8 offset1:10
	s_waitcnt lgkmcnt(4)
	v_pk_mul_f32 v[14:15], v[2:3], v[20:21]
	ds_write2st64_b32 v12, v14, v15 offset0:12 offset1:14
	ds_read2st64_b32 v[14:15], v12 offset0:20 offset1:22
	s_waitcnt lgkmcnt(3)
	v_pk_mul_f32 v[16:17], v[2:3], v[16:17]
	ds_read2st64_b32 v[18:19], v12 offset0:24 offset1:26
	ds_write2st64_b32 v12, v16, v17 offset0:16 offset1:18
	ds_read2st64_b32 v[16:17], v12 offset0:28 offset1:30
	s_waitcnt lgkmcnt(3)
	v_pk_mul_f32 v[14:15], v[2:3], v[14:15]
	ds_write2st64_b32 v12, v14, v15 offset0:20 offset1:22
	s_waitcnt lgkmcnt(3)
	v_pk_mul_f32 v[14:15], v[2:3], v[18:19]
	ds_write2st64_b32 v12, v14, v15 offset0:24 offset1:26
	s_waitcnt lgkmcnt(2)
	v_pk_mul_f32 v[14:15], v[2:3], v[16:17]
	s_add_i32 s40, s40, 16
	v_cmp_eq_u32_e32 vcc, 0, v11
	ds_write2st64_b32 v12, v14, v15 offset0:28 offset1:30
	v_add_u32_e32 v12, 0x2000, v12
	s_or_b64 s[38:39], vcc, s[38:39]
	v_mov_b32_e32 v13, s40
	s_andn2_b64 exec, exec, s[38:39]
	s_cbranch_execnz .LBB8_36
; %bb.37:
	s_or_b64 exec, exec, s[38:39]
.LBB8_38:
	s_or_b64 exec, exec, s[10:11]
	v_and_b32_e32 v10, 7, v10
	v_cmp_ne_u32_e32 vcc, 0, v10
	s_and_saveexec_b64 s[10:11], vcc
	s_cbranch_execz .LBB8_41
; %bb.39:
	v_lshlrev_b32_e32 v11, 9, v13
	s_movk_i32 s38, 0x1d0
	v_add3_u32 v11, v11, v6, s38
	s_mov_b64 s[38:39], 0
.LBB8_40:                               ; =>This Inner Loop Header: Depth=1
	ds_read2st64_b32 v[12:13], v11 offset1:2
	v_add_u32_e32 v10, -1, v10
	v_cmp_eq_u32_e32 vcc, 0, v10
	s_or_b64 s[38:39], vcc, s[38:39]
	s_waitcnt lgkmcnt(0)
	v_pk_mul_f32 v[12:13], v[2:3], v[12:13]
	ds_write2st64_b32 v11, v12, v13 offset1:2
	v_add_u32_e32 v11, 0x400, v11
	s_andn2_b64 exec, exec, s[38:39]
	s_cbranch_execnz .LBB8_40
.LBB8_41:
	s_or_b64 exec, exec, s[10:11]
	v_add_u32_e32 v9, 1, v9
	v_and_b32_e32 v10, 0x3fffffe, v9
	v_cmp_ne_u32_e32 vcc, v9, v10
	v_lshl_add_u32 v3, v10, 7, v0
	s_orn2_b64 s[10:11], vcc, exec
.LBB8_42:
	s_or_b64 exec, exec, s[4:5]
	s_and_b64 exec, exec, s[10:11]
	s_cbranch_execz .LBB8_45
; %bb.43:
	v_mov_b32_e32 v9, 0x1d0
	v_lshl_add_u32 v9, v3, 2, v9
	s_mov_b64 s[4:5], 0
.LBB8_44:                               ; =>This Inner Loop Header: Depth=1
	ds_read_b32 v10, v9
	v_add_u32_e32 v3, 0x80, v3
	v_cmp_le_i32_e32 vcc, s15, v3
	s_or_b64 s[4:5], vcc, s[4:5]
	s_waitcnt lgkmcnt(0)
	v_mul_f32_e32 v10, v2, v10
	ds_write_b32 v9, v10
	v_add_u32_e32 v9, 0x200, v9
	s_andn2_b64 exec, exec, s[4:5]
	s_cbranch_execnz .LBB8_44
.LBB8_45:
	s_or_b64 exec, exec, s[2:3]
	s_mul_i32 s2, s16, s28
	v_cmp_eq_u32_e32 vcc, 0, v0
	s_mul_i32 s10, s2, s9
	s_waitcnt lgkmcnt(0)
	s_barrier
	s_and_saveexec_b64 s[2:3], vcc
	s_cbranch_execz .LBB8_47
; %bb.46:
	s_ashr_i32 s11, s10, 31
	s_lshl_b64 s[4:5], s[10:11], 2
	s_add_u32 s9, s22, s4
	s_mul_i32 s22, s16, s6
	s_addc_u32 s11, s23, s5
	s_ashr_i32 s23, s22, 31
	s_lshl_b64 s[22:23], s[22:23], 2
	s_add_u32 s6, s9, s22
	s_addc_u32 s11, s11, s23
	s_ashr_i32 s9, s8, 31
	s_lshl_b64 s[38:39], s[8:9], 2
	s_add_u32 s40, s6, s38
	s_addc_u32 s41, s11, s39
	s_add_u32 s4, s20, s4
	s_addc_u32 s5, s21, s5
	;; [unrolled: 2-line block ×3, first 2 shown]
	s_add_u32 s4, s4, s38
	v_mov_b32_e32 v2, 0
	s_addc_u32 s5, s5, s39
	global_store_dword v2, v5, s[40:41]
	global_store_dword v2, v8, s[4:5]
.LBB8_47:
	s_or_b64 exec, exec, s[2:3]
	s_mov_b32 s4, 0
	v_mov_b32_e32 v5, 0
	v_lshrrev_b32_e32 v29, 1, v4
	v_and_b32_e32 v28, 1, v0
	v_mov_b32_e32 v4, 0
	v_mov_b32_e32 v3, 0
	;; [unrolled: 1-line block ×3, first 2 shown]
	s_and_saveexec_b64 s[20:21], s[0:1]
	s_cbranch_execz .LBB8_63
; %bb.48:
	s_ashr_i32 s15, s14, 31
	s_sub_i32 s9, s12, s17
	s_lshl_b64 s[0:1], s[14:15], 2
	s_add_u32 s11, s36, s0
	s_addc_u32 s14, s37, s1
	s_abs_i32 s15, s18
	v_cvt_f32_u32_e32 v2, s15
	v_or_b32_e32 v3, 0x60, v29
	s_movk_i32 s0, 0x70
	v_and_b32_e32 v30, 4, v6
	v_rcp_iflag_f32_e32 v2, v2
	v_cmp_gt_u32_e32 vcc, s0, v3
	s_sub_i32 s0, 0, s15
	s_add_i32 s18, s7, -1
	v_mul_f32_e32 v2, 0x4f7ffffe, v2
	v_cvt_u32_f32_e32 v2, v2
	v_lshl_or_b32 v8, v3, 3, v30
	s_mov_b32 s5, s4
	v_lshl_or_b32 v6, v29, 3, v30
	v_mul_lo_u32 v3, s0, v2
	s_lshl_b64 s[0:1], s[34:35], 2
	v_mul_hi_u32 v3, v2, v3
	s_add_u32 s0, s30, s0
	v_add_u32_e32 v31, v2, v3
	v_lshlrev_b64 v[2:3], 2, v[22:23]
	s_addc_u32 s1, s31, s1
	v_mov_b32_e32 v4, s1
	v_add_co_u32_e64 v24, s[0:1], s0, v2
	v_lshlrev_b32_e32 v2, 4, v28
	v_lshl_or_b32 v2, v7, 5, v2
	v_addc_co_u32_e64 v25, s[0:1], v4, v3, s[0:1]
	v_add_u32_e32 v23, 0x1d0, v2
	s_mov_b32 s6, s4
	s_mov_b32 s7, s4
	v_pk_mov_b32 v[2:3], s[4:5], s[4:5] op_sel:[0,1]
	s_mov_b32 s17, s13
	s_mov_b64 s[12:13], 0
	v_pk_mov_b32 v[4:5], s[6:7], s[6:7] op_sel:[0,1]
	v_lshlrev_b32_e32 v32, 2, v6
	v_lshlrev_b32_e32 v33, 2, v8
	s_branch .LBB8_52
.LBB8_49:                               ;   in Loop: Header=BB8_52 Depth=1
	s_or_b64 exec, exec, s[2:3]
	s_waitcnt vmcnt(0)
	v_mul_f32_e32 v7, v7, v11
	v_fmac_f32_e32 v7, v6, v10
	v_fmac_f32_e32 v7, v8, v12
	;; [unrolled: 1-line block ×3, first 2 shown]
	v_add_f32_e32 v5, v5, v7
.LBB8_50:                               ;   in Loop: Header=BB8_52 Depth=1
	s_or_b64 exec, exec, s[6:7]
.LBB8_51:                               ;   in Loop: Header=BB8_52 Depth=1
	s_or_b64 exec, exec, s[4:5]
	v_add_co_u32_e64 v24, s[0:1], 8, v24
	v_add_u32_e32 v22, 2, v22
	v_addc_co_u32_e64 v25, s[0:1], 0, v25, s[0:1]
	v_cmp_le_i32_e64 s[0:1], s47, v22
	v_add_u32_e32 v26, 16, v26
	s_or_b64 s[12:13], s[0:1], s[12:13]
	v_add_u32_e32 v23, 64, v23
	s_andn2_b64 exec, exec, s[12:13]
	s_cbranch_execz .LBB8_62
.LBB8_52:                               ; =>This Inner Loop Header: Depth=1
	v_sub_u32_e32 v7, 0, v26
	v_max_i32_e32 v7, v26, v7
	v_mul_hi_u32 v8, v7, s33
	v_mul_lo_u32 v9, v8, s25
	v_sub_u32_e32 v7, v7, v9
	v_add_u32_e32 v9, 1, v8
	v_cmp_le_u32_e64 s[0:1], s25, v7
	v_cndmask_b32_e64 v8, v8, v9, s[0:1]
	v_subrev_u32_e32 v9, s25, v7
	v_cndmask_b32_e64 v7, v7, v9, s[0:1]
	v_ashrrev_i32_e32 v6, 31, v26
	v_add_u32_e32 v9, 1, v8
	v_cmp_le_u32_e64 s[0:1], s25, v7
	v_xor_b32_e32 v6, s19, v6
	v_cndmask_b32_e64 v7, v8, v9, s[0:1]
	v_xor_b32_e32 v7, v7, v6
	v_sub_u32_e32 v6, v7, v6
	v_add_u32_e32 v7, s46, v6
	v_sub_u32_e32 v9, 0, v7
	v_ashrrev_i32_e32 v8, 31, v7
	v_max_i32_e32 v7, v7, v9
	v_mul_hi_u32 v9, v7, v31
	v_mul_lo_u32 v9, v9, s15
	v_sub_u32_e32 v7, v7, v9
	v_subrev_u32_e32 v9, s15, v7
	v_cmp_le_u32_e64 s[0:1], s15, v7
	v_cndmask_b32_e64 v7, v7, v9, s[0:1]
	v_subrev_u32_e32 v9, s15, v7
	v_cmp_le_u32_e64 s[0:1], s15, v7
	v_cndmask_b32_e64 v7, v7, v9, s[0:1]
	v_xor_b32_e32 v7, v7, v8
	v_sub_u32_e32 v7, v7, v8
	v_cmp_eq_u32_e64 s[0:1], 0, v7
	v_cmp_lt_i32_e64 s[2:3], s9, v6
	s_or_b64 s[0:1], s[0:1], s[2:3]
	s_and_saveexec_b64 s[4:5], s[0:1]
	s_cbranch_execz .LBB8_51
; %bb.53:                               ;   in Loop: Header=BB8_52 Depth=1
	global_load_dword v6, v[24:25], off
	v_mov_b32_e32 v8, s14
	v_add_u32_e32 v34, v30, v26
	s_waitcnt vmcnt(0)
	v_mad_i64_i32 v[6:7], s[0:1], v6, s17, 0
	v_lshlrev_b64 v[6:7], 2, v[6:7]
	v_add_co_u32_e64 v35, s[0:1], s11, v6
	v_addc_co_u32_e64 v36, s[0:1], v8, v7, s[0:1]
	v_add_co_u32_e64 v18, s[0:1], v35, v32
	v_addc_co_u32_e64 v19, s[0:1], 0, v36, s[0:1]
	global_load_dwordx4 v[10:13], v[18:19], off
	ds_read_b128 v[6:9], v23
	v_cmp_eq_u32_e64 s[0:1], s18, v22
	s_and_saveexec_b64 s[6:7], s[0:1]
	s_cbranch_execnz .LBB8_60
; %bb.54:                               ;   in Loop: Header=BB8_52 Depth=1
	s_or_b64 exec, exec, s[6:7]
	global_load_dwordx4 v[14:17], v[18:19], off offset:1024
	s_and_saveexec_b64 s[6:7], s[0:1]
	s_cbranch_execnz .LBB8_61
.LBB8_55:                               ;   in Loop: Header=BB8_52 Depth=1
	s_or_b64 exec, exec, s[6:7]
	global_load_dwordx4 v[18:21], v[18:19], off offset:2048
	s_and_saveexec_b64 s[6:7], s[0:1]
	s_cbranch_execz .LBB8_57
.LBB8_56:                               ;   in Loop: Header=BB8_52 Depth=1
	v_cmp_gt_i32_e64 s[2:3], s29, v34
	v_add_u32_e32 v37, 1, v34
	s_waitcnt vmcnt(0)
	v_cndmask_b32_e64 v18, 0, v18, s[2:3]
	v_cmp_gt_i32_e64 s[2:3], s29, v37
	v_add_u32_e32 v37, 2, v34
	v_cndmask_b32_e64 v19, 0, v19, s[2:3]
	v_cmp_gt_i32_e64 s[2:3], s29, v37
	v_add_u32_e32 v37, 3, v34
	v_cndmask_b32_e64 v20, 0, v20, s[2:3]
	v_cmp_gt_i32_e64 s[2:3], s29, v37
	v_cndmask_b32_e64 v21, 0, v21, s[2:3]
.LBB8_57:                               ;   in Loop: Header=BB8_52 Depth=1
	s_or_b64 exec, exec, s[6:7]
	s_waitcnt vmcnt(2) lgkmcnt(0)
	v_mul_f32_e32 v11, v7, v11
	v_fmac_f32_e32 v11, v6, v10
	s_waitcnt vmcnt(1)
	v_mul_f32_e32 v10, v7, v15
	v_fmac_f32_e32 v10, v6, v14
	v_fmac_f32_e32 v10, v8, v16
	;; [unrolled: 1-line block ×3, first 2 shown]
	v_add_f32_e32 v3, v3, v10
	s_waitcnt vmcnt(0)
	v_mul_f32_e32 v10, v7, v19
	v_fmac_f32_e32 v10, v6, v18
	v_fmac_f32_e32 v11, v8, v12
	;; [unrolled: 1-line block ×5, first 2 shown]
	v_add_f32_e32 v2, v2, v11
	v_add_f32_e32 v4, v4, v10
	s_and_saveexec_b64 s[6:7], vcc
	s_cbranch_execz .LBB8_50
; %bb.58:                               ;   in Loop: Header=BB8_52 Depth=1
	v_add_co_u32_e64 v10, s[2:3], v35, v33
	v_addc_co_u32_e64 v11, s[2:3], 0, v36, s[2:3]
	global_load_dwordx4 v[10:13], v[10:11], off
	s_and_saveexec_b64 s[2:3], s[0:1]
	s_cbranch_execz .LBB8_49
; %bb.59:                               ;   in Loop: Header=BB8_52 Depth=1
	v_cmp_gt_i32_e64 s[0:1], s29, v34
	v_add_u32_e32 v14, 1, v34
	s_waitcnt vmcnt(0)
	v_cndmask_b32_e64 v10, 0, v10, s[0:1]
	v_cmp_gt_i32_e64 s[0:1], s29, v14
	v_add_u32_e32 v14, 2, v34
	v_cndmask_b32_e64 v11, 0, v11, s[0:1]
	v_cmp_gt_i32_e64 s[0:1], s29, v14
	v_add_u32_e32 v14, 3, v34
	v_cndmask_b32_e64 v12, 0, v12, s[0:1]
	v_cmp_gt_i32_e64 s[0:1], s29, v14
	v_cndmask_b32_e64 v13, 0, v13, s[0:1]
	s_branch .LBB8_49
.LBB8_60:                               ;   in Loop: Header=BB8_52 Depth=1
	v_cmp_gt_i32_e64 s[2:3], s29, v34
	v_add_u32_e32 v14, 1, v34
	s_waitcnt vmcnt(0)
	v_cndmask_b32_e64 v10, 0, v10, s[2:3]
	v_cmp_gt_i32_e64 s[2:3], s29, v14
	v_add_u32_e32 v14, 2, v34
	v_cndmask_b32_e64 v11, 0, v11, s[2:3]
	v_cmp_gt_i32_e64 s[2:3], s29, v14
	v_add_u32_e32 v14, 3, v34
	v_cndmask_b32_e64 v12, 0, v12, s[2:3]
	v_cmp_gt_i32_e64 s[2:3], s29, v14
	v_cndmask_b32_e64 v13, 0, v13, s[2:3]
	s_or_b64 exec, exec, s[6:7]
	global_load_dwordx4 v[14:17], v[18:19], off offset:1024
	s_and_saveexec_b64 s[6:7], s[0:1]
	s_cbranch_execz .LBB8_55
.LBB8_61:                               ;   in Loop: Header=BB8_52 Depth=1
	v_cmp_gt_i32_e64 s[2:3], s29, v34
	v_add_u32_e32 v20, 1, v34
	s_waitcnt vmcnt(0)
	v_cndmask_b32_e64 v14, 0, v14, s[2:3]
	v_cmp_gt_i32_e64 s[2:3], s29, v20
	v_add_u32_e32 v20, 2, v34
	v_cndmask_b32_e64 v15, 0, v15, s[2:3]
	v_cmp_gt_i32_e64 s[2:3], s29, v20
	v_add_u32_e32 v20, 3, v34
	v_cndmask_b32_e64 v16, 0, v16, s[2:3]
	v_cmp_gt_i32_e64 s[2:3], s29, v20
	v_cndmask_b32_e64 v17, 0, v17, s[2:3]
	s_or_b64 exec, exec, s[6:7]
	global_load_dwordx4 v[18:21], v[18:19], off offset:2048
	s_and_saveexec_b64 s[6:7], s[0:1]
	s_cbranch_execnz .LBB8_56
	s_branch .LBB8_57
.LBB8_62:
	s_or_b64 exec, exec, s[12:13]
.LBB8_63:
	s_or_b64 exec, exec, s[20:21]
	ds_bpermute_b32 v6, v27, v2
	ds_bpermute_b32 v7, v27, v3
	;; [unrolled: 1-line block ×4, first 2 shown]
	s_waitcnt lgkmcnt(0)
	s_barrier
	v_pk_add_f32 v[6:7], v[2:3], v[6:7]
	v_pk_add_f32 v[2:3], v[4:5], v[8:9]
	v_and_b32_e32 v4, 0x3c0, v0
	v_cmp_eq_u32_e32 vcc, 64, v4
	s_and_saveexec_b64 s[2:3], vcc
	s_cbranch_execz .LBB8_68
; %bb.64:
	v_cmp_eq_u32_e32 vcc, 0, v28
	s_and_saveexec_b64 s[0:1], vcc
	s_cbranch_execz .LBB8_66
; %bb.65:
	v_mov_b32_e32 v4, 0x1d0
	v_lshl_add_u32 v4, v29, 2, v4
	ds_write2_b32 v4, v6, v7 offset1:32
	ds_write_b32 v4, v2 offset:256
.LBB8_66:
	s_or_b64 exec, exec, s[0:1]
	v_or_b32_e32 v4, 0x60, v29
	s_movk_i32 s0, 0x70
	v_cmp_gt_u32_e64 s[0:1], s0, v4
	s_and_b64 s[0:1], vcc, s[0:1]
	s_and_b64 exec, exec, s[0:1]
	s_cbranch_execz .LBB8_68
; %bb.67:
	v_mov_b32_e32 v4, 0x1d0
	v_lshl_add_u32 v4, v29, 2, v4
	ds_write_b32 v4, v3 offset:384
.LBB8_68:
	s_or_b64 exec, exec, s[2:3]
	v_cmp_gt_u32_e32 vcc, 64, v0
	s_waitcnt lgkmcnt(0)
	s_barrier
	s_and_saveexec_b64 s[4:5], vcc
	s_cbranch_execz .LBB8_76
; %bb.69:
	v_cmp_eq_u32_e64 s[0:1], 0, v28
	s_and_saveexec_b64 s[2:3], s[0:1]
	s_cbranch_execnz .LBB8_82
; %bb.70:
	s_or_b64 exec, exec, s[2:3]
	s_and_saveexec_b64 s[2:3], s[0:1]
	s_cbranch_execnz .LBB8_83
.LBB8_71:
	s_or_b64 exec, exec, s[2:3]
	s_and_saveexec_b64 s[2:3], s[0:1]
	s_cbranch_execz .LBB8_73
.LBB8_72:
	v_mov_b32_e32 v0, 0x1d0
	v_lshl_add_u32 v0, v1, 2, v0
	ds_read_b32 v0, v0 offset:256
	s_waitcnt lgkmcnt(0)
	v_add_f32_e32 v2, v2, v0
.LBB8_73:
	s_or_b64 exec, exec, s[2:3]
	v_or_b32_e32 v0, 0x60, v1
	s_movk_i32 s2, 0x70
	v_cmp_gt_u32_e64 s[2:3], s2, v0
	s_and_b64 s[2:3], s[0:1], s[2:3]
	s_and_saveexec_b64 s[0:1], s[2:3]
	s_cbranch_execz .LBB8_75
; %bb.74:
	v_mov_b32_e32 v0, 0x1d0
	v_lshl_add_u32 v0, v1, 2, v0
	ds_read_b32 v0, v0 offset:384
	s_waitcnt lgkmcnt(0)
	v_add_f32_e32 v3, v3, v0
.LBB8_75:
	s_or_b64 exec, exec, s[0:1]
.LBB8_76:
	s_or_b64 exec, exec, s[4:5]
	s_barrier
	s_and_saveexec_b64 s[0:1], vcc
	s_cbranch_execz .LBB8_81
; %bb.77:
	s_mul_i32 s0, s10, 0x70
	s_ashr_i32 s1, s0, 31
	s_lshl_b64 s[0:1], s[0:1], 2
	s_add_u32 s2, s26, s0
	s_mul_i32 s0, s16, s24
	s_addc_u32 s3, s27, s1
	s_ashr_i32 s1, s0, 31
	s_lshl_b64 s[0:1], s[0:1], 2
	s_add_u32 s2, s2, s0
	s_mul_i32 s0, s8, 0x70
	s_addc_u32 s3, s3, s1
	s_ashr_i32 s1, s0, 31
	s_lshl_b64 s[0:1], s[0:1], 2
	s_add_u32 s2, s2, s0
	s_movk_i32 s4, 0x70
	s_addc_u32 s3, s3, s1
	v_cmp_eq_u32_e32 vcc, 0, v28
	v_lshlrev_b32_e32 v0, 2, v1
	s_and_saveexec_b64 s[0:1], vcc
	s_cbranch_execz .LBB8_79
; %bb.78:
	global_store_dword v0, v6, s[2:3]
	global_store_dword v0, v7, s[2:3] offset:128
	global_store_dword v0, v2, s[2:3] offset:256
.LBB8_79:
	s_or_b64 exec, exec, s[0:1]
	v_or_b32_e32 v1, 0x60, v1
	v_cmp_gt_u32_e64 s[0:1], s4, v1
	s_and_b64 s[0:1], vcc, s[0:1]
	s_and_b64 exec, exec, s[0:1]
	s_cbranch_execz .LBB8_81
; %bb.80:
	global_store_dword v0, v3, s[2:3] offset:384
.LBB8_81:
	s_endpgm
.LBB8_82:
	v_mov_b32_e32 v0, 0x1d0
	v_lshl_add_u32 v0, v1, 2, v0
	ds_read_b32 v0, v0
	s_waitcnt lgkmcnt(0)
	v_add_f32_e32 v6, v6, v0
	s_or_b64 exec, exec, s[2:3]
	s_and_saveexec_b64 s[2:3], s[0:1]
	s_cbranch_execz .LBB8_71
.LBB8_83:
	v_mov_b32_e32 v0, 0x1d0
	v_lshl_add_u32 v0, v1, 2, v0
	ds_read_b32 v0, v0 offset:128
	s_waitcnt lgkmcnt(0)
	v_add_f32_e32 v7, v7, v0
	s_or_b64 exec, exec, s[2:3]
	s_and_saveexec_b64 s[2:3], s[0:1]
	s_cbranch_execnz .LBB8_72
	s_branch .LBB8_73
	.section	.rodata,"a",@progbits
	.p2align	6, 0x0
	.amdhsa_kernel _ZN4vllm25paged_attention_v2_kernelIffLi112ELi8ELi128ELNS_18Fp8KVCacheDataTypeE0ELb1ELi512EEEvPfS2_PT_PKS3_PKT0_S9_ifPKiSB_iPKfiiiSD_SD_iiiii
		.amdhsa_group_segment_fixed_size 464
		.amdhsa_private_segment_fixed_size 0
		.amdhsa_kernarg_size 400
		.amdhsa_user_sgpr_count 6
		.amdhsa_user_sgpr_private_segment_buffer 1
		.amdhsa_user_sgpr_dispatch_ptr 0
		.amdhsa_user_sgpr_queue_ptr 0
		.amdhsa_user_sgpr_kernarg_segment_ptr 1
		.amdhsa_user_sgpr_dispatch_id 0
		.amdhsa_user_sgpr_flat_scratch_init 0
		.amdhsa_user_sgpr_kernarg_preload_length 0
		.amdhsa_user_sgpr_kernarg_preload_offset 0
		.amdhsa_user_sgpr_private_segment_size 0
		.amdhsa_uses_dynamic_stack 0
		.amdhsa_system_sgpr_private_segment_wavefront_offset 0
		.amdhsa_system_sgpr_workgroup_id_x 1
		.amdhsa_system_sgpr_workgroup_id_y 1
		.amdhsa_system_sgpr_workgroup_id_z 1
		.amdhsa_system_sgpr_workgroup_info 0
		.amdhsa_system_vgpr_workitem_id 0
		.amdhsa_next_free_vgpr 55
		.amdhsa_next_free_sgpr 52
		.amdhsa_accum_offset 56
		.amdhsa_reserve_vcc 1
		.amdhsa_reserve_flat_scratch 0
		.amdhsa_float_round_mode_32 0
		.amdhsa_float_round_mode_16_64 0
		.amdhsa_float_denorm_mode_32 3
		.amdhsa_float_denorm_mode_16_64 3
		.amdhsa_dx10_clamp 1
		.amdhsa_ieee_mode 1
		.amdhsa_fp16_overflow 0
		.amdhsa_tg_split 0
		.amdhsa_exception_fp_ieee_invalid_op 0
		.amdhsa_exception_fp_denorm_src 0
		.amdhsa_exception_fp_ieee_div_zero 0
		.amdhsa_exception_fp_ieee_overflow 0
		.amdhsa_exception_fp_ieee_underflow 0
		.amdhsa_exception_fp_ieee_inexact 0
		.amdhsa_exception_int_div_zero 0
	.end_amdhsa_kernel
	.section	.text._ZN4vllm25paged_attention_v2_kernelIffLi112ELi8ELi128ELNS_18Fp8KVCacheDataTypeE0ELb1ELi512EEEvPfS2_PT_PKS3_PKT0_S9_ifPKiSB_iPKfiiiSD_SD_iiiii,"axG",@progbits,_ZN4vllm25paged_attention_v2_kernelIffLi112ELi8ELi128ELNS_18Fp8KVCacheDataTypeE0ELb1ELi512EEEvPfS2_PT_PKS3_PKT0_S9_ifPKiSB_iPKfiiiSD_SD_iiiii,comdat
.Lfunc_end8:
	.size	_ZN4vllm25paged_attention_v2_kernelIffLi112ELi8ELi128ELNS_18Fp8KVCacheDataTypeE0ELb1ELi512EEEvPfS2_PT_PKS3_PKT0_S9_ifPKiSB_iPKfiiiSD_SD_iiiii, .Lfunc_end8-_ZN4vllm25paged_attention_v2_kernelIffLi112ELi8ELi128ELNS_18Fp8KVCacheDataTypeE0ELb1ELi512EEEvPfS2_PT_PKS3_PKT0_S9_ifPKiSB_iPKfiiiSD_SD_iiiii
                                        ; -- End function
	.section	.AMDGPU.csdata,"",@progbits
; Kernel info:
; codeLenInByte = 5180
; NumSgprs: 56
; NumVgprs: 55
; NumAgprs: 0
; TotalNumVgprs: 55
; ScratchSize: 0
; MemoryBound: 0
; FloatMode: 240
; IeeeMode: 1
; LDSByteSize: 464 bytes/workgroup (compile time only)
; SGPRBlocks: 6
; VGPRBlocks: 6
; NumSGPRsForWavesPerEU: 56
; NumVGPRsForWavesPerEU: 55
; AccumOffset: 56
; Occupancy: 8
; WaveLimiterHint : 1
; COMPUTE_PGM_RSRC2:SCRATCH_EN: 0
; COMPUTE_PGM_RSRC2:USER_SGPR: 6
; COMPUTE_PGM_RSRC2:TRAP_HANDLER: 0
; COMPUTE_PGM_RSRC2:TGID_X_EN: 1
; COMPUTE_PGM_RSRC2:TGID_Y_EN: 1
; COMPUTE_PGM_RSRC2:TGID_Z_EN: 1
; COMPUTE_PGM_RSRC2:TIDIG_COMP_CNT: 0
; COMPUTE_PGM_RSRC3_GFX90A:ACCUM_OFFSET: 13
; COMPUTE_PGM_RSRC3_GFX90A:TG_SPLIT: 0
	.section	.text._ZN4vllm32paged_attention_v2_reduce_kernelIfLi112ELi128ELi512EEEvPT_PKfS4_PKS1_PKii,"axG",@progbits,_ZN4vllm32paged_attention_v2_reduce_kernelIfLi112ELi128ELi512EEEvPT_PKfS4_PKS1_PKii,comdat
	.protected	_ZN4vllm32paged_attention_v2_reduce_kernelIfLi112ELi128ELi512EEEvPT_PKfS4_PKS1_PKii ; -- Begin function _ZN4vllm32paged_attention_v2_reduce_kernelIfLi112ELi128ELi512EEEvPT_PKfS4_PKS1_PKii
	.globl	_ZN4vllm32paged_attention_v2_reduce_kernelIfLi112ELi128ELi512EEEvPT_PKfS4_PKS1_PKii
	.p2align	8
	.type	_ZN4vllm32paged_attention_v2_reduce_kernelIfLi112ELi128ELi512EEEvPT_PKfS4_PKS1_PKii,@function
_ZN4vllm32paged_attention_v2_reduce_kernelIfLi112ELi128ELi512EEEvPT_PKfS4_PKS1_PKii: ; @_ZN4vllm32paged_attention_v2_reduce_kernelIfLi112ELi128ELi512EEEvPT_PKfS4_PKS1_PKii
; %bb.0:
	s_load_dwordx4 s[8:11], s[4:5], 0x18
	s_add_u32 s12, s4, 48
	s_mov_b32 s14, s7
	s_addc_u32 s13, s5, 0
	s_ashr_i32 s15, s7, 31
	s_lshl_b64 s[0:1], s[14:15], 2
	s_waitcnt lgkmcnt(0)
	s_add_u32 s0, s10, s0
	s_addc_u32 s1, s11, s1
	s_load_dword s24, s[0:1], 0x0
	s_load_dwordx2 s[10:11], s[4:5], 0x0
	s_load_dword s7, s[4:5], 0x28
	s_load_dword s15, s[4:5], 0x30
	s_waitcnt lgkmcnt(0)
	s_add_i32 s0, s24, -1
	s_cmpk_gt_u32 s0, 0x1ff
	s_mov_b64 s[0:1], -1
	s_cbranch_scc0 .LBB9_25
; %bb.1:
	s_add_i32 s0, s24, 0x1ff
	s_load_dwordx2 s[20:21], s[4:5], 0x8
	s_ashr_i32 s1, s0, 31
	s_lshr_b32 s1, s1, 23
	s_add_i32 s0, s0, s1
	s_mul_i32 s22, s15, s14
	s_ashr_i32 s23, s0, 9
	s_mul_i32 s16, s22, s7
	s_mul_i32 s18, s6, s7
	s_ashr_i32 s17, s16, 31
	s_ashr_i32 s19, s18, 31
	v_cmp_gt_i32_e32 vcc, s23, v0
	v_mov_b32_e32 v4, 0xff7fffff
	s_and_saveexec_b64 s[2:3], vcc
	s_cbranch_execz .LBB9_5
; %bb.2:
	s_load_dword s25, s[12:13], 0xc
	s_load_dwordx2 s[0:1], s[4:5], 0x10
	s_lshl_b64 s[4:5], s[16:17], 2
	s_lshl_b64 s[26:27], s[18:19], 2
	v_lshlrev_b32_e32 v1, 2, v0
	s_waitcnt lgkmcnt(0)
	s_and_b32 s25, s25, 0xffff
	s_add_u32 s4, s4, s26
	s_addc_u32 s5, s5, s27
	s_add_u32 s0, s0, s4
	s_addc_u32 s1, s1, s5
	s_mov_b32 s28, 0
	v_mov_b32_e32 v3, s1
	v_add_co_u32_e64 v2, s[0:1], s0, v1
	v_addc_co_u32_e64 v3, s[0:1], 0, v3, s[0:1]
	s_lshl_b32 s26, s25, 2
	v_add_u32_e32 v1, 16, v1
	s_mov_b64 s[4:5], 0
	v_mov_b32_e32 v4, 0xff7fffff
	v_mov_b32_e32 v5, s28
	;; [unrolled: 1-line block ×3, first 2 shown]
.LBB9_3:                                ; =>This Inner Loop Header: Depth=1
	global_load_dword v7, v[2:3], off
	v_add_co_u32_e64 v2, s[0:1], s26, v2
	v_add_u32_e32 v6, s25, v6
	v_addc_co_u32_e64 v3, s[0:1], v3, v5, s[0:1]
	v_max_f32_e32 v4, v4, v4
	v_cmp_le_i32_e64 s[0:1], s23, v6
	s_or_b64 s[4:5], s[0:1], s[4:5]
	s_waitcnt vmcnt(0)
	ds_write_b32 v1, v7
	v_max_f32_e32 v7, v7, v7
	v_add_u32_e32 v1, s26, v1
	v_max_f32_e32 v4, v4, v7
	s_andn2_b64 exec, exec, s[4:5]
	s_cbranch_execnz .LBB9_3
; %bb.4:
	s_or_b64 exec, exec, s[4:5]
.LBB9_5:
	s_or_b64 exec, exec, s[2:3]
	v_mbcnt_lo_u32_b32 v1, -1, 0
	v_mbcnt_hi_u32_b32 v2, -1, v1
	v_and_b32_e32 v1, 64, v2
	v_add_u32_e32 v5, 64, v1
	v_xor_b32_e32 v1, 32, v2
	v_cmp_lt_i32_e64 s[0:1], v1, v5
	v_cndmask_b32_e64 v1, v2, v1, s[0:1]
	v_lshlrev_b32_e32 v1, 2, v1
	ds_bpermute_b32 v3, v1, v4
	v_xor_b32_e32 v6, 16, v2
	v_max_f32_e32 v4, v4, v4
	v_cmp_lt_i32_e64 s[0:1], v6, v5
	v_xor_b32_e32 v7, 8, v2
	s_waitcnt lgkmcnt(0)
	v_max_f32_e32 v3, v3, v3
	v_max_f32_e32 v3, v4, v3
	v_cndmask_b32_e64 v4, v2, v6, s[0:1]
	v_lshlrev_b32_e32 v4, 2, v4
	ds_bpermute_b32 v6, v4, v3
	v_cmp_lt_i32_e64 s[0:1], v7, v5
	v_xor_b32_e32 v8, 4, v2
	v_xor_b32_e32 v9, 2, v2
	v_lshrrev_b32_e32 v12, 6, v0
	s_waitcnt lgkmcnt(0)
	v_max_f32_e32 v6, v6, v6
	v_max_f32_e32 v3, v3, v6
	v_cndmask_b32_e64 v6, v2, v7, s[0:1]
	v_lshlrev_b32_e32 v6, 2, v6
	ds_bpermute_b32 v7, v6, v3
	v_cmp_lt_i32_e64 s[0:1], v8, v5
	s_waitcnt lgkmcnt(0)
	s_barrier
	v_max_f32_e32 v7, v7, v7
	v_max_f32_e32 v3, v3, v7
	v_cndmask_b32_e64 v7, v2, v8, s[0:1]
	v_lshlrev_b32_e32 v7, 2, v7
	ds_bpermute_b32 v8, v7, v3
	v_cmp_lt_i32_e64 s[0:1], v9, v5
	s_waitcnt lgkmcnt(0)
	v_max_f32_e32 v8, v8, v8
	v_max_f32_e32 v10, v3, v8
	v_cndmask_b32_e64 v3, v2, v9, s[0:1]
	v_lshlrev_b32_e32 v8, 2, v3
	ds_bpermute_b32 v9, v8, v10
	v_and_b32_e32 v3, 63, v0
	s_waitcnt lgkmcnt(0)
	v_max_f32_e32 v9, v9, v9
	v_max_f32_e32 v10, v10, v9
	v_xor_b32_e32 v9, 1, v2
	v_cmp_lt_i32_e64 s[0:1], v9, v5
	v_cndmask_b32_e64 v5, v2, v9, s[0:1]
	v_lshlrev_b32_e32 v5, 2, v5
	ds_bpermute_b32 v11, v5, v10
	v_cmp_eq_u32_e64 s[0:1], 0, v3
	v_lshlrev_b32_e32 v9, 2, v12
	s_and_saveexec_b64 s[2:3], s[0:1]
	s_cbranch_execz .LBB9_7
; %bb.6:
	s_waitcnt lgkmcnt(0)
	v_max_f32_e32 v11, v11, v11
	v_max_f32_e32 v10, v10, v10
	;; [unrolled: 1-line block ×3, first 2 shown]
	ds_write_b32 v9, v10
.LBB9_7:
	s_or_b64 exec, exec, s[2:3]
	v_cmp_gt_u32_e64 s[2:3], 2, v3
	s_waitcnt lgkmcnt(0)
	v_mov_b32_e32 v11, 0xff7fffff
	v_lshlrev_b32_e32 v10, 2, v3
	s_barrier
	s_and_saveexec_b64 s[4:5], s[2:3]
	s_cbranch_execz .LBB9_9
; %bb.8:
	ds_read_b32 v11, v10
.LBB9_9:
	s_or_b64 exec, exec, s[4:5]
	s_waitcnt lgkmcnt(0)
	ds_bpermute_b32 v3, v5, v11
	v_max_f32_e32 v11, v11, v11
	v_lshlrev_b32_e32 v2, 2, v2
	s_lshl_b32 s25, s23, 2
	v_mov_b32_e32 v13, 0
	s_waitcnt lgkmcnt(0)
	v_max_f32_e32 v3, v3, v3
	v_max_f32_e32 v3, v11, v3
	v_and_b32_e32 v11, 0x100, v2
	ds_bpermute_b32 v12, v11, v3
	s_and_saveexec_b64 s[4:5], vcc
	s_cbranch_execz .LBB9_13
; %bb.10:
	s_load_dword s30, s[12:13], 0xc
	s_lshl_b64 s[26:27], s[16:17], 2
	s_lshl_b64 s[28:29], s[18:19], 2
	v_lshlrev_b32_e32 v13, 2, v0
	s_mov_b32 s31, 0
	s_waitcnt lgkmcnt(0)
	s_and_b32 s17, s30, 0xffff
	s_add_u32 s19, s26, s28
	s_addc_u32 s26, s27, s29
	s_add_u32 s19, s20, s19
	s_addc_u32 s20, s21, s26
	v_mov_b32_e32 v3, s20
	v_add_co_u32_e32 v2, vcc, s19, v13
	v_addc_co_u32_e32 v3, vcc, 0, v3, vcc
	s_lshl_b32 s19, s17, 2
	v_add_u32_e32 v14, 16, v13
	s_mov_b64 s[20:21], 0
	v_mov_b32_e32 v13, 0
	s_mov_b32 s26, 0x3fb8aa3b
	s_mov_b32 s27, 0xc2ce8ed0
	s_mov_b32 s28, 0x42b17218
	v_mov_b32_e32 v15, 0x7f800000
	v_mov_b32_e32 v16, s31
	v_mov_b32_e32 v17, v0
.LBB9_11:                               ; =>This Inner Loop Header: Depth=1
	global_load_dword v18, v[2:3], off
	ds_read_b32 v19, v14
	v_add_co_u32_e32 v2, vcc, s19, v2
	v_add_u32_e32 v17, s17, v17
	v_addc_co_u32_e32 v3, vcc, v3, v16, vcc
	s_waitcnt lgkmcnt(0)
	v_sub_f32_e32 v19, v19, v12
	v_mul_f32_e32 v21, 0x3fb8aa3b, v19
	v_fma_f32 v22, v19, s26, -v21
	v_rndne_f32_e32 v23, v21
	v_fmac_f32_e32 v22, 0x32a5705f, v19
	v_sub_f32_e32 v21, v21, v23
	v_add_f32_e32 v21, v21, v22
	v_cvt_i32_f32_e32 v23, v23
	v_exp_f32_e32 v21, v21
	v_cmp_le_i32_e32 vcc, s23, v17
	s_or_b64 s[20:21], vcc, s[20:21]
	v_cmp_ngt_f32_e32 vcc, s27, v19
	v_ldexp_f32 v21, v21, v23
	v_cndmask_b32_e32 v21, 0, v21, vcc
	v_cmp_nlt_f32_e32 vcc, s28, v19
	v_cndmask_b32_e32 v19, v15, v21, vcc
	v_add_u32_e32 v20, s25, v14
	v_add_u32_e32 v14, s19, v14
	s_waitcnt vmcnt(0)
	v_mul_f32_e32 v21, v18, v19
	v_fmac_f32_e32 v13, v18, v19
	ds_write_b32 v20, v21
	s_andn2_b64 exec, exec, s[20:21]
	s_cbranch_execnz .LBB9_11
; %bb.12:
	s_or_b64 exec, exec, s[20:21]
.LBB9_13:
	s_or_b64 exec, exec, s[4:5]
	ds_bpermute_b32 v1, v1, v13
	s_waitcnt lgkmcnt(0)
	s_barrier
	v_add_f32_e32 v1, v13, v1
	ds_bpermute_b32 v2, v4, v1
	s_waitcnt lgkmcnt(0)
	v_add_f32_e32 v1, v1, v2
	ds_bpermute_b32 v2, v6, v1
	s_waitcnt lgkmcnt(0)
	;; [unrolled: 3-line block ×5, first 2 shown]
	v_add_f32_e32 v1, v1, v2
	s_and_saveexec_b64 s[4:5], s[0:1]
	s_cbranch_execz .LBB9_15
; %bb.14:
	ds_write_b32 v9, v1 offset:8
.LBB9_15:
	s_or_b64 exec, exec, s[4:5]
	s_waitcnt lgkmcnt(0)
	s_barrier
	s_and_saveexec_b64 s[0:1], s[2:3]
	s_cbranch_execz .LBB9_17
; %bb.16:
	ds_read_b32 v1, v10 offset:8
.LBB9_17:
	s_or_b64 exec, exec, s[0:1]
	s_waitcnt lgkmcnt(0)
	ds_bpermute_b32 v2, v5, v1
	s_movk_i32 s0, 0x70
	v_cmp_gt_u32_e32 vcc, s0, v0
	s_waitcnt lgkmcnt(0)
	v_add_f32_e32 v1, v1, v2
	ds_bpermute_b32 v2, v11, v1
	s_and_saveexec_b64 s[0:1], vcc
	s_cbranch_execz .LBB9_24
; %bb.18:
	s_cmp_gt_i32 s24, 0
	s_mov_b32 s4, 0
	s_cbranch_scc1 .LBB9_20
; %bb.19:
	v_mov_b32_e32 v1, 0
	v_mov_b32_e32 v4, s4
	s_cbranch_execz .LBB9_21
	s_branch .LBB9_23
.LBB9_20:
                                        ; implicit-def: $sgpr4
	v_mov_b32_e32 v4, s4
.LBB9_21:
	s_waitcnt lgkmcnt(0)
	v_add_f32_e32 v1, 0x358637bd, v2
	v_div_scale_f32 v2, s[2:3], v1, v1, 1.0
	v_rcp_f32_e32 v3, v2
	s_mul_i32 s4, s16, 0x70
	s_mul_i32 s16, s18, 0x70
	s_ashr_i32 s5, s4, 31
	v_fma_f32 v4, -v2, v3, 1.0
	v_fmac_f32_e32 v3, v4, v3
	v_div_scale_f32 v4, vcc, 1.0, v1, 1.0
	v_mul_f32_e32 v5, v4, v3
	s_ashr_i32 s17, s16, 31
	s_max_i32 s2, s23, 1
	v_fma_f32 v6, -v2, v5, v4
	s_add_i32 s3, s25, 16
	s_lshl_b64 s[4:5], s[4:5], 2
	s_lshl_b64 s[16:17], s[16:17], 2
	v_fmac_f32_e32 v5, v6, v3
	s_add_u32 s4, s4, s16
	v_fma_f32 v2, -v2, v5, v4
	s_addc_u32 s5, s5, s17
	v_div_fmas_f32 v2, v2, v3, v5
	s_add_u32 s4, s8, s4
	v_div_fixup_f32 v5, v2, v1, 1.0
	v_lshlrev_b32_e32 v2, 2, v0
	s_addc_u32 s5, s9, s5
	v_mov_b32_e32 v1, 0
	v_mov_b32_e32 v3, s5
	v_add_co_u32_e32 v2, vcc, s4, v2
	v_addc_co_u32_e32 v3, vcc, 0, v3, vcc
	v_mov_b32_e32 v4, v1
.LBB9_22:                               ; =>This Inner Loop Header: Depth=1
	global_load_dword v6, v[2:3], off
	v_mov_b32_e32 v7, s3
	ds_read_b32 v7, v7
	s_add_i32 s2, s2, -1
	v_add_co_u32_e32 v2, vcc, 0x1c0, v2
	s_add_i32 s3, s3, 4
	v_addc_co_u32_e32 v3, vcc, 0, v3, vcc
	s_cmp_eq_u32 s2, 0
	s_waitcnt vmcnt(0) lgkmcnt(0)
	v_mul_f32_e32 v6, v6, v7
	v_fmac_f32_e32 v4, v5, v6
	s_cbranch_scc0 .LBB9_22
.LBB9_23:
	s_mul_i32 s2, s22, 0x70
	s_ashr_i32 s3, s2, 31
	s_lshl_b64 s[2:3], s[2:3], 2
	s_add_u32 s4, s10, s2
	s_mul_i32 s2, s6, 0x70
	s_addc_u32 s5, s11, s3
	s_ashr_i32 s3, s2, 31
	s_lshl_b64 s[2:3], s[2:3], 2
	s_add_u32 s2, s4, s2
	s_addc_u32 s3, s5, s3
	s_waitcnt lgkmcnt(0)
	v_lshlrev_b64 v[2:3], 2, v[0:1]
	v_mov_b32_e32 v1, s3
	v_add_co_u32_e32 v2, vcc, s2, v2
	v_addc_co_u32_e32 v3, vcc, v1, v3, vcc
	global_store_dword v[2:3], v4, off
.LBB9_24:
	s_or_b64 exec, exec, s[0:1]
	s_mov_b64 s[0:1], 0
.LBB9_25:
	s_and_b64 vcc, exec, s[0:1]
	s_cbranch_vccz .LBB9_34
; %bb.26:
	s_movk_i32 s0, 0x70
	v_cmp_gt_u32_e32 vcc, s0, v0
	s_and_saveexec_b64 s[2:3], vcc
	s_cbranch_execz .LBB9_34
; %bb.27:
	s_mul_i32 s1, s15, s14
	s_mul_i32 s2, s1, 0x70
	s_ashr_i32 s3, s2, 31
	s_lshl_b64 s[4:5], s[2:3], 2
	s_add_u32 s1, s10, s4
	s_mul_i32 s14, s6, 0x70
	s_addc_u32 s3, s11, s5
	s_ashr_i32 s15, s14, 31
	s_lshl_b64 s[4:5], s[14:15], 2
	s_add_u32 s4, s1, s4
	s_mul_i32 s2, s2, s7
	s_addc_u32 s10, s3, s5
	s_ashr_i32 s3, s2, 31
	s_lshl_b64 s[2:3], s[2:3], 2
	s_add_u32 s1, s8, s2
	s_load_dword s8, s[12:13], 0xc
	s_mul_i32 s2, s14, s7
	s_addc_u32 s6, s9, s3
	s_ashr_i32 s3, s2, 31
	s_lshl_b64 s[2:3], s[2:3], 2
	s_add_u32 s5, s1, s2
	s_addc_u32 s7, s6, s3
	s_waitcnt lgkmcnt(0)
	s_and_b32 s6, s8, 0xffff
	v_cvt_f32_u32_e32 v1, s6
	v_add_u32_e32 v2, s6, v0
	v_mov_b32_e32 v4, s6
	v_cmp_gt_u32_e32 vcc, s0, v2
	v_rcp_iflag_f32_e32 v1, v1
	s_cmp_eq_u32 s6, 1
	v_max_u32_e32 v3, 0x70, v2
	v_addc_co_u32_e64 v2, s[0:1], v0, v4, vcc
	v_mul_f32_e32 v1, 0x4f7ffffe, v1
	v_cvt_u32_f32_e32 v1, v1
	s_cselect_b64 s[2:3], -1, 0
	s_sub_i32 s0, 0, s6
	v_sub_u32_e32 v2, v3, v2
	v_mul_lo_u32 v3, s0, v1
	v_mul_hi_u32 v3, v1, v3
	v_add_u32_e32 v1, v1, v3
	v_mul_hi_u32 v1, v2, v1
	v_mul_lo_u32 v3, v1, s6
	v_sub_u32_e32 v2, v2, v3
	v_add_u32_e32 v3, 1, v1
	v_cmp_le_u32_e64 s[0:1], s6, v2
	v_cndmask_b32_e64 v1, v1, v3, s[0:1]
	v_subrev_u32_e32 v3, s6, v2
	v_cndmask_b32_e64 v2, v2, v3, s[0:1]
	v_add_u32_e32 v3, 1, v1
	v_cmp_le_u32_e64 s[0:1], s6, v2
	v_cndmask_b32_e64 v1, v1, v3, s[0:1]
	v_addc_co_u32_e32 v1, vcc, 1, v1, vcc
	v_cmp_lt_u32_e32 vcc, 3, v1
	s_and_b64 s[8:9], vcc, s[2:3]
	s_mov_b64 s[2:3], -1
	s_and_saveexec_b64 s[0:1], s[8:9]
	s_cbranch_execz .LBB9_31
; %bb.28:
	v_and_b32_e32 v4, -4, v1
	s_mov_b64 s[2:3], 0
	v_mov_b32_e32 v3, 0
	v_mov_b32_e32 v5, s7
	v_mov_b32_e32 v6, s10
	v_mov_b32_e32 v2, v0
	v_mov_b32_e32 v7, v4
.LBB9_29:                               ; =>This Inner Loop Header: Depth=1
	v_lshlrev_b64 v[12:13], 2, v[2:3]
	v_add_co_u32_e32 v8, vcc, s5, v12
	v_addc_co_u32_e32 v9, vcc, v5, v13, vcc
	global_load_dwordx4 v[8:11], v[8:9], off
	v_add_co_u32_e32 v12, vcc, s4, v12
	v_add_u32_e32 v7, -4, v7
	v_addc_co_u32_e32 v13, vcc, v6, v13, vcc
	v_cmp_eq_u32_e32 vcc, 0, v7
	v_add_u32_e32 v2, 4, v2
	s_or_b64 s[2:3], vcc, s[2:3]
	s_waitcnt vmcnt(0)
	global_store_dwordx4 v[12:13], v[8:11], off
	s_andn2_b64 exec, exec, s[2:3]
	s_cbranch_execnz .LBB9_29
; %bb.30:
	s_or_b64 exec, exec, s[2:3]
	v_cmp_ne_u32_e32 vcc, v1, v4
	v_add_u32_e32 v0, v0, v4
	s_orn2_b64 s[2:3], vcc, exec
.LBB9_31:
	s_or_b64 exec, exec, s[0:1]
	s_and_b64 exec, exec, s[2:3]
	s_cbranch_execz .LBB9_34
; %bb.32:
	s_mov_b32 s3, 0
	v_mov_b32_e32 v1, 0
	v_lshlrev_b64 v[2:3], 2, v[0:1]
	s_lshl_b32 s2, s6, 2
	s_mov_b64 s[0:1], 0
	v_mov_b32_e32 v1, s7
	v_mov_b32_e32 v4, s10
	;; [unrolled: 1-line block ×3, first 2 shown]
	s_movk_i32 s3, 0x6f
.LBB9_33:                               ; =>This Inner Loop Header: Depth=1
	v_add_co_u32_e32 v6, vcc, s5, v2
	v_addc_co_u32_e32 v7, vcc, v1, v3, vcc
	global_load_dword v8, v[6:7], off
	v_add_co_u32_e32 v6, vcc, s4, v2
	v_addc_co_u32_e32 v7, vcc, v4, v3, vcc
	v_add_co_u32_e32 v2, vcc, s2, v2
	v_add_u32_e32 v0, s6, v0
	v_addc_co_u32_e32 v3, vcc, v3, v5, vcc
	v_cmp_lt_u32_e32 vcc, s3, v0
	s_or_b64 s[0:1], vcc, s[0:1]
	s_waitcnt vmcnt(0)
	global_store_dword v[6:7], v8, off
	s_andn2_b64 exec, exec, s[0:1]
	s_cbranch_execnz .LBB9_33
.LBB9_34:
	s_endpgm
	.section	.rodata,"a",@progbits
	.p2align	6, 0x0
	.amdhsa_kernel _ZN4vllm32paged_attention_v2_reduce_kernelIfLi112ELi128ELi512EEEvPT_PKfS4_PKS1_PKii
		.amdhsa_group_segment_fixed_size 16
		.amdhsa_private_segment_fixed_size 0
		.amdhsa_kernarg_size 304
		.amdhsa_user_sgpr_count 6
		.amdhsa_user_sgpr_private_segment_buffer 1
		.amdhsa_user_sgpr_dispatch_ptr 0
		.amdhsa_user_sgpr_queue_ptr 0
		.amdhsa_user_sgpr_kernarg_segment_ptr 1
		.amdhsa_user_sgpr_dispatch_id 0
		.amdhsa_user_sgpr_flat_scratch_init 0
		.amdhsa_user_sgpr_kernarg_preload_length 0
		.amdhsa_user_sgpr_kernarg_preload_offset 0
		.amdhsa_user_sgpr_private_segment_size 0
		.amdhsa_uses_dynamic_stack 0
		.amdhsa_system_sgpr_private_segment_wavefront_offset 0
		.amdhsa_system_sgpr_workgroup_id_x 1
		.amdhsa_system_sgpr_workgroup_id_y 1
		.amdhsa_system_sgpr_workgroup_id_z 0
		.amdhsa_system_sgpr_workgroup_info 0
		.amdhsa_system_vgpr_workitem_id 0
		.amdhsa_next_free_vgpr 24
		.amdhsa_next_free_sgpr 32
		.amdhsa_accum_offset 24
		.amdhsa_reserve_vcc 1
		.amdhsa_reserve_flat_scratch 0
		.amdhsa_float_round_mode_32 0
		.amdhsa_float_round_mode_16_64 0
		.amdhsa_float_denorm_mode_32 3
		.amdhsa_float_denorm_mode_16_64 3
		.amdhsa_dx10_clamp 1
		.amdhsa_ieee_mode 1
		.amdhsa_fp16_overflow 0
		.amdhsa_tg_split 0
		.amdhsa_exception_fp_ieee_invalid_op 0
		.amdhsa_exception_fp_denorm_src 0
		.amdhsa_exception_fp_ieee_div_zero 0
		.amdhsa_exception_fp_ieee_overflow 0
		.amdhsa_exception_fp_ieee_underflow 0
		.amdhsa_exception_fp_ieee_inexact 0
		.amdhsa_exception_int_div_zero 0
	.end_amdhsa_kernel
	.section	.text._ZN4vllm32paged_attention_v2_reduce_kernelIfLi112ELi128ELi512EEEvPT_PKfS4_PKS1_PKii,"axG",@progbits,_ZN4vllm32paged_attention_v2_reduce_kernelIfLi112ELi128ELi512EEEvPT_PKfS4_PKS1_PKii,comdat
.Lfunc_end9:
	.size	_ZN4vllm32paged_attention_v2_reduce_kernelIfLi112ELi128ELi512EEEvPT_PKfS4_PKS1_PKii, .Lfunc_end9-_ZN4vllm32paged_attention_v2_reduce_kernelIfLi112ELi128ELi512EEEvPT_PKfS4_PKS1_PKii
                                        ; -- End function
	.section	.AMDGPU.csdata,"",@progbits
; Kernel info:
; codeLenInByte = 2168
; NumSgprs: 36
; NumVgprs: 24
; NumAgprs: 0
; TotalNumVgprs: 24
; ScratchSize: 0
; MemoryBound: 0
; FloatMode: 240
; IeeeMode: 1
; LDSByteSize: 16 bytes/workgroup (compile time only)
; SGPRBlocks: 4
; VGPRBlocks: 2
; NumSGPRsForWavesPerEU: 36
; NumVGPRsForWavesPerEU: 24
; AccumOffset: 24
; Occupancy: 8
; WaveLimiterHint : 0
; COMPUTE_PGM_RSRC2:SCRATCH_EN: 0
; COMPUTE_PGM_RSRC2:USER_SGPR: 6
; COMPUTE_PGM_RSRC2:TRAP_HANDLER: 0
; COMPUTE_PGM_RSRC2:TGID_X_EN: 1
; COMPUTE_PGM_RSRC2:TGID_Y_EN: 1
; COMPUTE_PGM_RSRC2:TGID_Z_EN: 0
; COMPUTE_PGM_RSRC2:TIDIG_COMP_CNT: 0
; COMPUTE_PGM_RSRC3_GFX90A:ACCUM_OFFSET: 5
; COMPUTE_PGM_RSRC3_GFX90A:TG_SPLIT: 0
	.section	.text._ZN4vllm25paged_attention_v2_kernelIffLi120ELi8ELi128ELNS_18Fp8KVCacheDataTypeE0ELb1ELi512EEEvPfS2_PT_PKS3_PKT0_S9_ifPKiSB_iPKfiiiSD_SD_iiiii,"axG",@progbits,_ZN4vllm25paged_attention_v2_kernelIffLi120ELi8ELi128ELNS_18Fp8KVCacheDataTypeE0ELb1ELi512EEEvPfS2_PT_PKS3_PKT0_S9_ifPKiSB_iPKfiiiSD_SD_iiiii,comdat
	.protected	_ZN4vllm25paged_attention_v2_kernelIffLi120ELi8ELi128ELNS_18Fp8KVCacheDataTypeE0ELb1ELi512EEEvPfS2_PT_PKS3_PKT0_S9_ifPKiSB_iPKfiiiSD_SD_iiiii ; -- Begin function _ZN4vllm25paged_attention_v2_kernelIffLi120ELi8ELi128ELNS_18Fp8KVCacheDataTypeE0ELb1ELi512EEEvPfS2_PT_PKS3_PKT0_S9_ifPKiSB_iPKfiiiSD_SD_iiiii
	.globl	_ZN4vllm25paged_attention_v2_kernelIffLi120ELi8ELi128ELNS_18Fp8KVCacheDataTypeE0ELb1ELi512EEEvPfS2_PT_PKS3_PKT0_S9_ifPKiSB_iPKfiiiSD_SD_iiiii
	.p2align	8
	.type	_ZN4vllm25paged_attention_v2_kernelIffLi120ELi8ELi128ELNS_18Fp8KVCacheDataTypeE0ELb1ELi512EEEvPfS2_PT_PKS3_PKT0_S9_ifPKiSB_iPKfiiiSD_SD_iiiii,@function
_ZN4vllm25paged_attention_v2_kernelIffLi120ELi8ELi128ELNS_18Fp8KVCacheDataTypeE0ELb1ELi512EEEvPfS2_PT_PKS3_PKT0_S9_ifPKiSB_iPKfiiiSD_SD_iiiii: ; @_ZN4vllm25paged_attention_v2_kernelIffLi120ELi8ELi128ELNS_18Fp8KVCacheDataTypeE0ELb1ELi512EEEvPfS2_PT_PKS3_PKT0_S9_ifPKiSB_iPKfiiiSD_SD_iiiii
; %bb.0:
	s_load_dwordx2 s[0:1], s[4:5], 0x40
	s_mov_b32 s28, s7
	s_ashr_i32 s29, s7, 31
	s_lshl_b64 s[2:3], s[28:29], 2
	s_waitcnt lgkmcnt(0)
	s_add_u32 s0, s0, s2
	s_addc_u32 s1, s1, s3
	s_load_dword s29, s[0:1], 0x0
	s_lshl_b32 s48, s8, 9
	s_waitcnt lgkmcnt(0)
	s_cmp_ge_i32 s48, s29
	s_cbranch_scc1 .LBB10_81
; %bb.1:
	s_load_dword s9, s[4:5], 0x90
	s_load_dwordx2 s[38:39], s[4:5], 0x30
	s_mov_b32 s49, 0
	s_waitcnt lgkmcnt(0)
	s_abs_i32 s2, s9
	s_abs_i32 s0, s38
	v_cvt_f32_u32_e32 v1, s0
	s_sub_i32 s3, 0, s0
	s_xor_b32 s1, s9, s38
	s_ashr_i32 s1, s1, 31
	v_rcp_iflag_f32_e32 v1, v1
	v_mul_f32_e32 v1, 0x4f7ffffe, v1
	v_cvt_u32_f32_e32 v1, v1
	v_readfirstlane_b32 s7, v1
	s_mul_i32 s3, s3, s7
	s_mul_hi_u32 s3, s7, s3
	s_add_i32 s7, s7, s3
	s_mul_hi_u32 s3, s2, s7
	s_mul_i32 s7, s3, s0
	s_sub_i32 s2, s2, s7
	s_add_i32 s10, s3, 1
	s_sub_i32 s7, s2, s0
	s_cmp_ge_u32 s2, s0
	s_cselect_b32 s3, s10, s3
	s_cselect_b32 s2, s7, s2
	s_add_i32 s7, s3, 1
	s_cmp_ge_u32 s2, s0
	s_cselect_b32 s0, s7, s3
	s_xor_b32 s0, s0, s1
	s_sub_i32 s11, s0, s1
	s_abs_i32 s2, s11
	v_cvt_f32_u32_e32 v1, s2
	s_load_dwordx2 s[0:1], s[4:5], 0x50
	s_sub_i32 s7, 0, s2
	s_abs_i32 s3, s6
	v_rcp_iflag_f32_e32 v1, v1
	v_mul_f32_e32 v1, 0x4f7ffffe, v1
	v_cvt_u32_f32_e32 v1, v1
	v_readfirstlane_b32 s10, v1
	s_mul_i32 s7, s7, s10
	s_mul_hi_u32 s7, s10, s7
	s_add_i32 s10, s10, s7
	s_waitcnt lgkmcnt(0)
	s_cmp_eq_u64 s[0:1], 0
	s_mul_hi_u32 s10, s3, s10
	s_cbranch_scc1 .LBB10_3
; %bb.2:
	s_ashr_i32 s7, s6, 31
	s_lshl_b64 s[12:13], s[6:7], 2
	s_add_u32 s0, s0, s12
	s_addc_u32 s1, s1, s13
	s_load_dword s49, s[0:1], 0x0
.LBB10_3:
	s_load_dwordx4 s[12:15], s[4:5], 0x58
	s_movk_i32 s0, 0x78
	s_ashr_i32 s7, s6, 31
	s_ashr_i32 s11, s11, 31
	v_and_b32_e32 v2, 7, v0
	s_mul_i32 s24, s6, 0x78
	v_cmp_gt_u32_e32 vcc, s0, v0
	v_lshlrev_b32_e32 v6, 2, v0
	v_lshrrev_b32_e32 v1, 1, v0
	s_and_saveexec_b64 s[0:1], vcc
	s_cbranch_execz .LBB10_5
; %bb.4:
	s_load_dwordx2 s[16:17], s[4:5], 0x18
	s_waitcnt lgkmcnt(0)
	s_mul_i32 s18, s28, s12
	s_ashr_i32 s19, s18, 31
	s_lshl_b64 s[18:19], s[18:19], 2
	v_and_b32_e32 v4, 0x1fc, v1
	s_add_u32 s12, s16, s18
	s_addc_u32 s15, s17, s19
	s_ashr_i32 s25, s24, 31
	s_lshl_b64 s[16:17], s[24:25], 2
	s_add_u32 s16, s12, s16
	s_addc_u32 s17, s15, s17
	global_load_dword v3, v6, s[16:17]
	v_mad_u32_u24 v4, v2, 60, v4
	s_waitcnt vmcnt(0)
	ds_write_b32 v4, v3
.LBB10_5:
	s_or_b64 exec, exec, s[0:1]
	s_mul_i32 s1, s10, s2
	s_sub_i32 s1, s3, s1
	s_xor_b32 s0, s7, s11
	s_add_i32 s3, s10, 1
	s_sub_i32 s7, s1, s2
	s_load_dwordx4 s[16:19], s[4:5], 0x78
	s_cmp_ge_u32 s1, s2
	s_cselect_b32 s3, s3, s10
	s_load_dword s10, s[4:5], 0x88
	s_cselect_b32 s1, s7, s1
	s_add_i32 s7, s3, 1
	s_cmp_ge_u32 s1, s2
	s_cselect_b32 s1, s7, s3
	s_waitcnt lgkmcnt(0)
	s_abs_i32 s25, s19
	v_cvt_f32_u32_e32 v3, s25
	s_xor_b32 s1, s1, s0
	s_sub_i32 s2, s1, s0
	s_sub_i32 s0, 0, s25
	v_rcp_iflag_f32_e32 v3, v3
	s_add_i32 s11, s29, -1
	s_abs_i32 s3, s11
	v_mul_f32_e32 v3, 0x4f7ffffe, v3
	v_cvt_u32_f32_e32 v3, v3
	s_barrier
	v_readfirstlane_b32 s33, v3
	s_mul_i32 s0, s0, s33
	s_mul_hi_u32 s0, s33, s0
	s_add_i32 s33, s33, s0
	s_cmp_lt_i32 s10, 0
	s_mul_hi_u32 s7, s3, s33
	s_cbranch_scc0 .LBB10_7
; %bb.6:
	s_mul_i32 s0, s16, s38
	s_add_i32 s0, s2, s0
	s_mul_i32 s0, s0, s10
	s_sub_i32 s46, 1, s0
	s_mov_b64 s[0:1], 0
	s_branch .LBB10_8
.LBB10_7:
	s_mov_b64 s[0:1], -1
                                        ; implicit-def: $sgpr46
.LBB10_8:
	s_load_dwordx2 s[30:31], s[4:5], 0x38
	s_ashr_i32 s11, s11, 31
	s_andn2_b64 vcc, exec, s[0:1]
	s_ashr_i32 s19, s19, 31
	s_cbranch_vccnz .LBB10_10
; %bb.9:
	s_mul_i32 s0, s9, s16
	s_add_i32 s0, s0, s6
	s_mul_i32 s0, s0, s10
	s_add_i32 s46, s0, 1
.LBB10_10:
	s_load_dword s0, s[4:5], 0x48
	s_load_dwordx2 s[36:37], s[4:5], 0x28
	s_load_dword s16, s[4:5], 0x98
	s_load_dwordx4 s[20:23], s[4:5], 0x0
	s_load_dwordx2 s[26:27], s[4:5], 0x10
	s_mul_i32 s1, s7, s25
	s_waitcnt lgkmcnt(0)
	s_mul_i32 s34, s28, s0
	s_sub_i32 s1, s3, s1
	s_ashr_i32 s35, s34, 31
	s_xor_b32 s0, s11, s19
	s_add_i32 s3, s7, 1
	s_sub_i32 s10, s1, s25
	s_cmp_ge_u32 s1, s25
	s_cselect_b32 s3, s3, s7
	s_cselect_b32 s1, s10, s1
	s_add_i32 s7, s3, 1
	s_cmp_ge_u32 s1, s25
	s_cselect_b32 s1, s7, s3
	s_xor_b32 s1, s1, s0
	s_sub_i32 s12, s1, s0
	s_add_i32 s0, s29, 7
	s_ashr_i32 s1, s0, 31
	s_lshr_b32 s1, s1, 29
	s_add_i32 s0, s0, s1
	s_lshl_b32 s38, s8, 6
	s_ashr_i32 s7, s0, 3
	s_add_i32 s0, s38, 64
	v_lshrrev_b32_e32 v7, 6, v0
	s_min_i32 s47, s0, s7
	v_or_b32_e32 v22, s38, v7
	v_cmp_gt_i32_e64 s[0:1], s47, v22
	v_mov_b32_e32 v11, 0xff7fffff
	s_mul_i32 s14, s2, s14
	v_ashrrev_i32_e32 v23, 31, v22
	v_lshl_add_u32 v26, v7, 3, s48
	v_mbcnt_lo_u32_b32 v4, -1, 0
	s_and_saveexec_b64 s[40:41], s[0:1]
	s_cbranch_execz .LBB10_20
; %bb.11:
	s_load_dwordx2 s[2:3], s[4:5], 0x20
	s_ashr_i32 s15, s14, 31
	s_sub_i32 s50, s12, s17
	s_lshl_b64 s[4:5], s[14:15], 2
	v_bfe_u32 v5, v0, 3, 3
	s_waitcnt lgkmcnt(0)
	s_add_u32 s2, s2, s4
	s_addc_u32 s3, s3, s5
	s_abs_i32 s15, s18
	v_cvt_f32_u32_e32 v9, s15
	v_lshlrev_b32_e32 v3, 4, v5
	v_mov_b32_e32 v8, s3
	v_add_co_u32_e64 v3, s[2:3], s2, v3
	v_rcp_iflag_f32_e32 v9, v9
	v_and_b32_e32 v10, 3, v0
	v_addc_co_u32_e64 v8, s[2:3], 0, v8, s[2:3]
	v_lshlrev_b32_e32 v10, 2, v10
	v_add_co_u32_e64 v3, s[2:3], v3, v10
	v_addc_co_u32_e64 v12, s[2:3], 0, v8, s[2:3]
	v_mul_f32_e32 v8, 0x4f7ffffe, v9
	v_cvt_u32_f32_e32 v9, v8
	s_sub_i32 s4, 0, s15
	v_cmp_eq_u32_e32 vcc, 0, v2
	v_mul_u32_u24_e32 v8, 60, v2
	v_mul_lo_u32 v2, s4, v9
	v_mul_hi_u32 v2, v9, v2
	v_add_u32_e32 v9, v9, v2
	v_lshlrev_b32_e32 v2, 5, v0
	v_and_b32_e32 v2, 0x80, v2
	v_add_co_u32_e64 v10, s[4:5], v3, v2
	v_addc_co_u32_e64 v12, s[4:5], 0, v12, s[4:5]
	v_lshlrev_b32_e32 v11, 2, v5
	s_lshl_b64 s[4:5], s[34:35], 2
	s_add_u32 s4, s30, s4
	v_lshl_or_b32 v11, v7, 5, v11
	v_lshlrev_b64 v[2:3], 2, v[22:23]
	s_addc_u32 s5, s31, s5
	v_add_u32_e32 v14, 0x1f0, v11
	v_subrev_u32_e32 v11, s29, v5
	v_mbcnt_hi_u32_b32 v17, -1, v4
	v_mov_b32_e32 v13, s5
	v_add_co_u32_e64 v2, s[4:5], s4, v2
	v_add_u32_e32 v15, 1, v11
	v_and_b32_e32 v11, 64, v17
	s_mov_b32 s51, s13
	v_cmp_neq_f32_e64 s[2:3], s49, 0
	v_addc_co_u32_e64 v3, s[4:5], v13, v3, s[4:5]
	v_lshl_add_u32 v13, v7, 3, s48
	s_mov_b64 s[42:43], 0
	v_mov_b32_e32 v16, 0xff7fffff
	v_add_u32_e32 v18, 64, v11
	v_xor_b32_e32 v19, 4, v17
	v_xor_b32_e32 v20, 2, v17
	;; [unrolled: 1-line block ×3, first 2 shown]
	v_mov_b32_e32 v11, 0xff7fffff
	v_mov_b32_e32 v24, v22
	s_branch .LBB10_14
.LBB10_12:                              ;   in Loop: Header=BB10_14 Depth=1
	s_or_b64 exec, exec, s[44:45]
.LBB10_13:                              ;   in Loop: Header=BB10_14 Depth=1
	s_or_b64 exec, exec, s[10:11]
	v_add_co_u32_e64 v2, s[4:5], 8, v2
	v_add_u32_e32 v24, 2, v24
	v_addc_co_u32_e64 v3, s[4:5], 0, v3, s[4:5]
	v_cmp_le_i32_e64 s[4:5], s47, v24
	v_add_u32_e32 v13, 16, v13
	s_or_b64 s[42:43], s[4:5], s[42:43]
	v_add_u32_e32 v14, 64, v14
	s_andn2_b64 exec, exec, s[42:43]
	s_cbranch_execz .LBB10_19
.LBB10_14:                              ; =>This Inner Loop Header: Depth=1
	s_waitcnt lgkmcnt(0)
	v_sub_u32_e32 v27, 0, v13
	v_max_i32_e32 v27, v13, v27
	v_mul_hi_u32 v28, v27, s33
	v_mul_lo_u32 v29, v28, s25
	v_sub_u32_e32 v27, v27, v29
	v_add_u32_e32 v29, 1, v28
	v_cmp_le_u32_e64 s[4:5], s25, v27
	v_cndmask_b32_e64 v28, v28, v29, s[4:5]
	v_subrev_u32_e32 v29, s25, v27
	v_cndmask_b32_e64 v27, v27, v29, s[4:5]
	v_ashrrev_i32_e32 v25, 31, v13
	v_add_u32_e32 v29, 1, v28
	v_cmp_le_u32_e64 s[4:5], s25, v27
	v_xor_b32_e32 v25, s19, v25
	v_cndmask_b32_e64 v27, v28, v29, s[4:5]
	v_xor_b32_e32 v27, v27, v25
	v_sub_u32_e32 v25, v27, v25
	v_add_u32_e32 v27, s46, v25
	v_sub_u32_e32 v29, 0, v27
	v_ashrrev_i32_e32 v28, 31, v27
	v_max_i32_e32 v27, v27, v29
	v_mul_hi_u32 v29, v27, v9
	v_mul_lo_u32 v29, v29, s15
	v_sub_u32_e32 v27, v27, v29
	v_subrev_u32_e32 v29, s15, v27
	v_cmp_le_u32_e64 s[4:5], s15, v27
	v_cndmask_b32_e64 v27, v27, v29, s[4:5]
	v_subrev_u32_e32 v29, s15, v27
	v_cmp_le_u32_e64 s[4:5], s15, v27
	v_cndmask_b32_e64 v27, v27, v29, s[4:5]
	v_xor_b32_e32 v27, v27, v28
	v_sub_u32_e32 v27, v27, v28
	v_cmp_ne_u32_e64 s[4:5], 0, v27
	v_cmp_ge_i32_e64 s[10:11], s50, v25
	s_and_b64 s[4:5], s[4:5], s[10:11]
	s_and_b64 s[44:45], vcc, s[4:5]
	s_and_saveexec_b64 s[10:11], s[44:45]
	s_cbranch_execz .LBB10_16
; %bb.15:                               ;   in Loop: Header=BB10_14 Depth=1
	ds_write_b32 v14, v16
.LBB10_16:                              ;   in Loop: Header=BB10_14 Depth=1
	s_or_b64 exec, exec, s[10:11]
	s_xor_b64 s[4:5], s[4:5], -1
	s_and_saveexec_b64 s[10:11], s[4:5]
	s_cbranch_execz .LBB10_13
; %bb.17:                               ;   in Loop: Header=BB10_14 Depth=1
	global_load_dword v25, v[2:3], off
	s_waitcnt vmcnt(0)
	v_mad_i64_i32 v[28:29], s[4:5], v25, s51, 0
	v_lshlrev_b64 v[28:29], 2, v[28:29]
	v_add_co_u32_e64 v28, s[4:5], v10, v28
	v_addc_co_u32_e64 v29, s[4:5], v12, v29, s[4:5]
	global_load_dword v25, v[28:29], off offset:256
	global_load_dword v27, v[28:29], off
	global_load_dword v42, v[28:29], off offset:512
	global_load_dword v43, v[28:29], off offset:768
	;; [unrolled: 1-line block ×13, first 2 shown]
	ds_read2_b32 v[28:29], v8 offset1:1
	ds_read2_b32 v[30:31], v8 offset0:2 offset1:3
	ds_read2_b32 v[32:33], v8 offset0:4 offset1:5
	;; [unrolled: 1-line block ×6, first 2 shown]
	ds_read_b32 v55, v8 offset:56
	v_cmp_lt_i32_e64 s[4:5], v19, v18
	v_cndmask_b32_e64 v56, v17, v19, s[4:5]
	v_lshlrev_b32_e32 v56, 2, v56
	v_cmp_lt_i32_e64 s[4:5], v20, v18
	s_waitcnt vmcnt(14) lgkmcnt(7)
	v_mul_f32_e32 v25, v29, v25
	s_waitcnt vmcnt(13)
	v_fmac_f32_e32 v25, v28, v27
	s_waitcnt vmcnt(12) lgkmcnt(6)
	v_fmac_f32_e32 v25, v30, v42
	s_waitcnt vmcnt(11)
	v_fmac_f32_e32 v25, v31, v43
	s_waitcnt vmcnt(10) lgkmcnt(5)
	v_fmac_f32_e32 v25, v32, v44
	s_waitcnt vmcnt(9)
	v_fmac_f32_e32 v25, v33, v45
	s_waitcnt vmcnt(8) lgkmcnt(4)
	v_fmac_f32_e32 v25, v34, v46
	s_waitcnt vmcnt(7)
	v_fmac_f32_e32 v25, v35, v47
	s_waitcnt vmcnt(6) lgkmcnt(3)
	v_fmac_f32_e32 v25, v36, v48
	s_waitcnt vmcnt(5)
	v_fmac_f32_e32 v25, v37, v49
	s_waitcnt vmcnt(4) lgkmcnt(2)
	v_fmac_f32_e32 v25, v38, v50
	s_waitcnt vmcnt(3)
	v_fmac_f32_e32 v25, v39, v51
	s_waitcnt vmcnt(2) lgkmcnt(1)
	v_fmac_f32_e32 v25, v40, v52
	s_waitcnt vmcnt(1)
	v_fmac_f32_e32 v25, v41, v53
	s_waitcnt vmcnt(0) lgkmcnt(0)
	v_fmac_f32_e32 v25, v55, v54
	ds_bpermute_b32 v27, v56, v25
	v_cndmask_b32_e64 v28, v17, v20, s[4:5]
	v_lshlrev_b32_e32 v28, 2, v28
	v_cmp_lt_i32_e64 s[4:5], v21, v18
	s_waitcnt lgkmcnt(0)
	v_add_f32_e32 v25, v25, v27
	ds_bpermute_b32 v27, v28, v25
	v_cndmask_b32_e64 v28, v17, v21, s[4:5]
	v_lshlrev_b32_e32 v28, 2, v28
	s_waitcnt lgkmcnt(0)
	v_add_f32_e32 v25, v25, v27
	ds_bpermute_b32 v27, v28, v25
	s_and_saveexec_b64 s[44:45], vcc
	s_cbranch_execz .LBB10_12
; %bb.18:                               ;   in Loop: Header=BB10_14 Depth=1
	v_add_u32_e32 v28, v15, v13
	v_cvt_f32_i32_e32 v28, v28
	s_waitcnt lgkmcnt(0)
	v_add_f32_e32 v25, v25, v27
	v_add_u32_e32 v29, v5, v13
	v_cmp_gt_i32_e64 s[4:5], s29, v29
	v_mul_f32_e32 v27, s49, v28
	v_cndmask_b32_e64 v27, 0, v27, s[2:3]
	v_fmac_f32_e32 v27, s39, v25
	v_cndmask_b32_e64 v25, 0, v27, s[4:5]
	ds_write_b32 v14, v25
	v_max_f32_e32 v25, v11, v11
	v_max_f32_e32 v25, v25, v27
	v_cndmask_b32_e64 v11, v11, v25, s[4:5]
	s_branch .LBB10_12
.LBB10_19:
	s_or_b64 exec, exec, s[42:43]
.LBB10_20:
	s_or_b64 exec, exec, s[40:41]
	v_mbcnt_hi_u32_b32 v2, -1, v4
	v_and_b32_e32 v3, 64, v2
	v_add_u32_e32 v3, 64, v3
	v_xor_b32_e32 v4, 32, v2
	v_cmp_lt_i32_e32 vcc, v4, v3
	v_cndmask_b32_e32 v4, v2, v4, vcc
	v_lshlrev_b32_e32 v9, 2, v4
	ds_bpermute_b32 v4, v9, v11
	v_xor_b32_e32 v8, 16, v2
	v_max_f32_e32 v5, v11, v11
	v_cmp_lt_i32_e32 vcc, v8, v3
	s_waitcnt lgkmcnt(0)
	v_max_f32_e32 v4, v4, v4
	v_max_f32_e32 v4, v5, v4
	v_cndmask_b32_e32 v5, v2, v8, vcc
	v_lshlrev_b32_e32 v11, 2, v5
	ds_bpermute_b32 v5, v11, v4
	v_xor_b32_e32 v8, 8, v2
	v_cmp_lt_i32_e32 vcc, v8, v3
	s_waitcnt lgkmcnt(0)
	v_max_f32_e32 v5, v5, v5
	v_max_f32_e32 v5, v4, v5
	v_cndmask_b32_e32 v4, v2, v8, vcc
	v_lshlrev_b32_e32 v12, 2, v4
	ds_bpermute_b32 v10, v12, v5
	v_and_b32_e32 v4, 63, v0
	v_cmp_eq_u32_e32 vcc, 0, v4
	v_lshlrev_b32_e32 v8, 2, v7
	s_and_saveexec_b64 s[2:3], vcc
	s_cbranch_execz .LBB10_22
; %bb.21:
	s_waitcnt lgkmcnt(0)
	v_max_f32_e32 v10, v10, v10
	v_max_f32_e32 v5, v5, v5
	;; [unrolled: 1-line block ×3, first 2 shown]
	ds_write_b32 v8, v5 offset:480
.LBB10_22:
	s_or_b64 exec, exec, s[2:3]
	v_cmp_gt_u32_e64 s[2:3], 2, v4
	v_mov_b32_e32 v5, 0xff7fffff
	s_waitcnt lgkmcnt(0)
	v_lshlrev_b32_e32 v10, 2, v4
	s_barrier
	s_and_saveexec_b64 s[4:5], s[2:3]
	s_cbranch_execz .LBB10_24
; %bb.23:
	ds_read_b32 v5, v10 offset:480
.LBB10_24:
	s_or_b64 exec, exec, s[4:5]
	v_xor_b32_e32 v13, 1, v2
	v_cmp_lt_i32_e64 s[4:5], v13, v3
	v_cndmask_b32_e64 v13, v2, v13, s[4:5]
	v_lshlrev_b32_e32 v27, 2, v13
	s_waitcnt lgkmcnt(0)
	ds_bpermute_b32 v13, v27, v5
	v_max_f32_e32 v5, v5, v5
	s_sub_i32 s4, s47, s38
	s_lshl_b32 s4, s4, 3
	s_add_i32 s4, s4, s48
	s_waitcnt lgkmcnt(0)
	v_max_f32_e32 v13, v13, v13
	v_max_f32_e32 v5, v5, v13
	v_lshlrev_b32_e32 v13, 2, v2
	v_and_b32_e32 v13, 0x100, v13
	ds_bpermute_b32 v5, v13, v5
	s_min_i32 s42, s4, s29
	s_sub_i32 s15, s42, s48
	v_cmp_gt_i32_e64 s[4:5], s15, v0
	v_mov_b32_e32 v14, 0
	s_and_saveexec_b64 s[38:39], s[4:5]
	s_cbranch_execz .LBB10_28
; %bb.25:
	v_mov_b32_e32 v14, 0x1f0
	v_lshl_add_u32 v15, v0, 2, v14
	s_mov_b64 s[40:41], 0
	v_mov_b32_e32 v14, 0
	v_mov_b32_e32 v16, v0
.LBB10_26:                              ; =>This Inner Loop Header: Depth=1
	ds_read_b32 v17, v15
	v_add_u32_e32 v16, 0x80, v16
	v_cmp_le_i32_e64 s[10:11], s15, v16
	s_or_b64 s[40:41], s[10:11], s[40:41]
	s_waitcnt lgkmcnt(0)
	v_sub_f32_e32 v17, v17, v5
	v_mul_f32_e32 v17, 0x3fb8aa3b, v17
	v_exp_f32_e32 v17, v17
	ds_write_b32 v15, v17
	v_add_f32_e32 v14, v14, v17
	v_add_u32_e32 v15, 0x200, v15
	s_andn2_b64 exec, exec, s[40:41]
	s_cbranch_execnz .LBB10_26
; %bb.27:
	s_or_b64 exec, exec, s[40:41]
.LBB10_28:
	s_or_b64 exec, exec, s[38:39]
	ds_bpermute_b32 v9, v9, v14
	s_waitcnt lgkmcnt(0)
	v_add_f32_e32 v9, v14, v9
	ds_bpermute_b32 v11, v11, v9
	s_waitcnt lgkmcnt(0)
	v_add_f32_e32 v9, v9, v11
	ds_bpermute_b32 v11, v12, v9
	v_xor_b32_e32 v12, 4, v2
	v_cmp_lt_i32_e64 s[10:11], v12, v3
	v_cndmask_b32_e64 v12, v2, v12, s[10:11]
	v_lshlrev_b32_e32 v12, 2, v12
	s_waitcnt lgkmcnt(0)
	v_add_f32_e32 v9, v9, v11
	ds_bpermute_b32 v11, v12, v9
	v_xor_b32_e32 v12, 2, v2
	v_cmp_lt_i32_e64 s[10:11], v12, v3
	v_cndmask_b32_e64 v2, v2, v12, s[10:11]
	v_lshlrev_b32_e32 v2, 2, v2
	s_waitcnt lgkmcnt(0)
	v_add_f32_e32 v3, v9, v11
	ds_bpermute_b32 v2, v2, v3
	s_waitcnt lgkmcnt(0)
	v_add_f32_e32 v2, v3, v2
	ds_bpermute_b32 v3, v27, v2
	s_waitcnt lgkmcnt(0)
	v_add_f32_e32 v2, v2, v3
	s_and_saveexec_b64 s[10:11], vcc
	s_cbranch_execz .LBB10_30
; %bb.29:
	ds_write_b32 v8, v2 offset:488
.LBB10_30:
	s_or_b64 exec, exec, s[10:11]
	s_waitcnt lgkmcnt(0)
	s_barrier
	s_and_saveexec_b64 s[10:11], s[2:3]
	s_cbranch_execz .LBB10_32
; %bb.31:
	ds_read_b32 v2, v10 offset:488
.LBB10_32:
	s_or_b64 exec, exec, s[10:11]
	s_waitcnt lgkmcnt(0)
	ds_bpermute_b32 v3, v27, v2
	s_waitcnt lgkmcnt(0)
	v_add_f32_e32 v2, v2, v3
	ds_bpermute_b32 v8, v13, v2
	s_and_saveexec_b64 s[2:3], s[4:5]
	s_cbranch_execz .LBB10_45
; %bb.33:
	s_waitcnt lgkmcnt(0)
	v_add_f32_e32 v2, 0x358637bd, v8
	v_div_scale_f32 v3, s[4:5], v2, v2, 1.0
	v_rcp_f32_e32 v9, v3
	v_div_scale_f32 v10, vcc, 1.0, v2, 1.0
	s_movk_i32 s4, 0x7f
	v_fma_f32 v11, -v3, v9, 1.0
	v_fmac_f32_e32 v9, v11, v9
	v_mul_f32_e32 v11, v10, v9
	v_fma_f32 v12, -v3, v11, v10
	v_fmac_f32_e32 v11, v12, v9
	v_fma_f32 v3, -v3, v11, v10
	v_div_fmas_f32 v3, v3, v9, v11
	v_div_fixup_f32 v2, v3, v2, 1.0
	v_xad_u32 v3, v0, -1, s42
	v_subrev_u32_e32 v9, s48, v3
	v_cmp_lt_u32_e32 vcc, s4, v9
	s_mov_b64 s[10:11], -1
	v_mov_b32_e32 v3, v0
	s_and_saveexec_b64 s[4:5], vcc
	s_cbranch_execz .LBB10_42
; %bb.34:
	v_lshrrev_b32_e32 v9, 7, v9
	v_add_u32_e32 v11, -1, v9
	v_lshrrev_b32_e32 v10, 1, v11
	v_mov_b32_e32 v3, v2
	v_add_u32_e32 v10, 1, v10
	v_cmp_lt_u32_e32 vcc, 13, v11
	v_mov_b32_e32 v13, 0
	s_and_saveexec_b64 s[10:11], vcc
	s_cbranch_execz .LBB10_38
; %bb.35:
	v_mov_b32_e32 v12, 0x1f0
	v_and_b32_e32 v11, -8, v10
	v_lshl_add_u32 v12, v0, 2, v12
	s_mov_b32 s40, 0
	s_mov_b64 s[38:39], 0
.LBB10_36:                              ; =>This Inner Loop Header: Depth=1
	ds_read2st64_b32 v[14:15], v12 offset1:2
	ds_read2st64_b32 v[16:17], v12 offset0:4 offset1:6
	ds_read2st64_b32 v[18:19], v12 offset0:8 offset1:10
	;; [unrolled: 1-line block ×3, first 2 shown]
	v_add_u32_e32 v11, -8, v11
	s_waitcnt lgkmcnt(3)
	v_pk_mul_f32 v[14:15], v[2:3], v[14:15]
	s_waitcnt lgkmcnt(2)
	v_pk_mul_f32 v[16:17], v[2:3], v[16:17]
	ds_write2st64_b32 v12, v14, v15 offset1:2
	ds_write2st64_b32 v12, v16, v17 offset0:4 offset1:6
	ds_read2st64_b32 v[16:17], v12 offset0:16 offset1:18
	s_waitcnt lgkmcnt(4)
	v_pk_mul_f32 v[14:15], v[2:3], v[18:19]
	ds_write2st64_b32 v12, v14, v15 offset0:8 offset1:10
	s_waitcnt lgkmcnt(4)
	v_pk_mul_f32 v[14:15], v[2:3], v[20:21]
	ds_write2st64_b32 v12, v14, v15 offset0:12 offset1:14
	ds_read2st64_b32 v[14:15], v12 offset0:20 offset1:22
	s_waitcnt lgkmcnt(3)
	v_pk_mul_f32 v[16:17], v[2:3], v[16:17]
	ds_read2st64_b32 v[18:19], v12 offset0:24 offset1:26
	ds_write2st64_b32 v12, v16, v17 offset0:16 offset1:18
	ds_read2st64_b32 v[16:17], v12 offset0:28 offset1:30
	s_waitcnt lgkmcnt(3)
	v_pk_mul_f32 v[14:15], v[2:3], v[14:15]
	ds_write2st64_b32 v12, v14, v15 offset0:20 offset1:22
	s_waitcnt lgkmcnt(3)
	v_pk_mul_f32 v[14:15], v[2:3], v[18:19]
	ds_write2st64_b32 v12, v14, v15 offset0:24 offset1:26
	s_waitcnt lgkmcnt(2)
	v_pk_mul_f32 v[14:15], v[2:3], v[16:17]
	s_add_i32 s40, s40, 16
	v_cmp_eq_u32_e32 vcc, 0, v11
	ds_write2st64_b32 v12, v14, v15 offset0:28 offset1:30
	v_add_u32_e32 v12, 0x2000, v12
	s_or_b64 s[38:39], vcc, s[38:39]
	v_mov_b32_e32 v13, s40
	s_andn2_b64 exec, exec, s[38:39]
	s_cbranch_execnz .LBB10_36
; %bb.37:
	s_or_b64 exec, exec, s[38:39]
.LBB10_38:
	s_or_b64 exec, exec, s[10:11]
	v_and_b32_e32 v10, 7, v10
	v_cmp_ne_u32_e32 vcc, 0, v10
	s_and_saveexec_b64 s[10:11], vcc
	s_cbranch_execz .LBB10_41
; %bb.39:
	v_lshlrev_b32_e32 v11, 9, v13
	s_movk_i32 s38, 0x1f0
	v_add3_u32 v11, v11, v6, s38
	s_mov_b64 s[38:39], 0
.LBB10_40:                              ; =>This Inner Loop Header: Depth=1
	ds_read2st64_b32 v[12:13], v11 offset1:2
	v_add_u32_e32 v10, -1, v10
	v_cmp_eq_u32_e32 vcc, 0, v10
	s_or_b64 s[38:39], vcc, s[38:39]
	s_waitcnt lgkmcnt(0)
	v_pk_mul_f32 v[12:13], v[2:3], v[12:13]
	ds_write2st64_b32 v11, v12, v13 offset1:2
	v_add_u32_e32 v11, 0x400, v11
	s_andn2_b64 exec, exec, s[38:39]
	s_cbranch_execnz .LBB10_40
.LBB10_41:
	s_or_b64 exec, exec, s[10:11]
	v_add_u32_e32 v9, 1, v9
	v_and_b32_e32 v10, 0x3fffffe, v9
	v_cmp_ne_u32_e32 vcc, v9, v10
	v_lshl_add_u32 v3, v10, 7, v0
	s_orn2_b64 s[10:11], vcc, exec
.LBB10_42:
	s_or_b64 exec, exec, s[4:5]
	s_and_b64 exec, exec, s[10:11]
	s_cbranch_execz .LBB10_45
; %bb.43:
	v_mov_b32_e32 v9, 0x1f0
	v_lshl_add_u32 v9, v3, 2, v9
	s_mov_b64 s[4:5], 0
.LBB10_44:                              ; =>This Inner Loop Header: Depth=1
	ds_read_b32 v10, v9
	v_add_u32_e32 v3, 0x80, v3
	v_cmp_le_i32_e32 vcc, s15, v3
	s_or_b64 s[4:5], vcc, s[4:5]
	s_waitcnt lgkmcnt(0)
	v_mul_f32_e32 v10, v2, v10
	ds_write_b32 v9, v10
	v_add_u32_e32 v9, 0x200, v9
	s_andn2_b64 exec, exec, s[4:5]
	s_cbranch_execnz .LBB10_44
.LBB10_45:
	s_or_b64 exec, exec, s[2:3]
	s_mul_i32 s2, s16, s28
	v_cmp_eq_u32_e32 vcc, 0, v0
	s_mul_i32 s10, s2, s9
	s_waitcnt lgkmcnt(0)
	s_barrier
	s_and_saveexec_b64 s[2:3], vcc
	s_cbranch_execz .LBB10_47
; %bb.46:
	s_ashr_i32 s11, s10, 31
	s_lshl_b64 s[4:5], s[10:11], 2
	s_add_u32 s9, s22, s4
	s_mul_i32 s22, s16, s6
	s_addc_u32 s11, s23, s5
	s_ashr_i32 s23, s22, 31
	s_lshl_b64 s[22:23], s[22:23], 2
	s_add_u32 s6, s9, s22
	s_addc_u32 s11, s11, s23
	s_ashr_i32 s9, s8, 31
	s_lshl_b64 s[38:39], s[8:9], 2
	s_add_u32 s40, s6, s38
	s_addc_u32 s41, s11, s39
	s_add_u32 s4, s20, s4
	s_addc_u32 s5, s21, s5
	;; [unrolled: 2-line block ×3, first 2 shown]
	s_add_u32 s4, s4, s38
	v_mov_b32_e32 v2, 0
	s_addc_u32 s5, s5, s39
	global_store_dword v2, v5, s[40:41]
	global_store_dword v2, v8, s[4:5]
.LBB10_47:
	s_or_b64 exec, exec, s[2:3]
	s_mov_b32 s4, 0
	v_mov_b32_e32 v5, 0
	v_lshrrev_b32_e32 v29, 1, v4
	v_and_b32_e32 v28, 1, v0
	v_mov_b32_e32 v4, 0
	v_mov_b32_e32 v3, 0
	;; [unrolled: 1-line block ×3, first 2 shown]
	s_and_saveexec_b64 s[20:21], s[0:1]
	s_cbranch_execz .LBB10_63
; %bb.48:
	s_ashr_i32 s15, s14, 31
	s_sub_i32 s9, s12, s17
	s_lshl_b64 s[0:1], s[14:15], 2
	s_add_u32 s11, s36, s0
	s_addc_u32 s14, s37, s1
	s_abs_i32 s15, s18
	v_cvt_f32_u32_e32 v2, s15
	v_or_b32_e32 v3, 0x60, v29
	s_movk_i32 s0, 0x78
	v_and_b32_e32 v30, 4, v6
	v_rcp_iflag_f32_e32 v2, v2
	v_cmp_gt_u32_e32 vcc, s0, v3
	s_sub_i32 s0, 0, s15
	s_add_i32 s18, s7, -1
	v_mul_f32_e32 v2, 0x4f7ffffe, v2
	v_cvt_u32_f32_e32 v2, v2
	v_lshl_or_b32 v8, v3, 3, v30
	s_mov_b32 s5, s4
	v_lshl_or_b32 v6, v29, 3, v30
	v_mul_lo_u32 v3, s0, v2
	s_lshl_b64 s[0:1], s[34:35], 2
	v_mul_hi_u32 v3, v2, v3
	s_add_u32 s0, s30, s0
	v_add_u32_e32 v31, v2, v3
	v_lshlrev_b64 v[2:3], 2, v[22:23]
	s_addc_u32 s1, s31, s1
	v_mov_b32_e32 v4, s1
	v_add_co_u32_e64 v24, s[0:1], s0, v2
	v_lshlrev_b32_e32 v2, 4, v28
	v_lshl_or_b32 v2, v7, 5, v2
	v_addc_co_u32_e64 v25, s[0:1], v4, v3, s[0:1]
	v_add_u32_e32 v23, 0x1f0, v2
	s_mov_b32 s6, s4
	s_mov_b32 s7, s4
	v_pk_mov_b32 v[2:3], s[4:5], s[4:5] op_sel:[0,1]
	s_mov_b32 s17, s13
	s_mov_b64 s[12:13], 0
	v_pk_mov_b32 v[4:5], s[6:7], s[6:7] op_sel:[0,1]
	v_lshlrev_b32_e32 v32, 2, v6
	v_lshlrev_b32_e32 v33, 2, v8
	s_branch .LBB10_52
.LBB10_49:                              ;   in Loop: Header=BB10_52 Depth=1
	s_or_b64 exec, exec, s[2:3]
	s_waitcnt vmcnt(0)
	v_mul_f32_e32 v7, v7, v11
	v_fmac_f32_e32 v7, v6, v10
	v_fmac_f32_e32 v7, v8, v12
	;; [unrolled: 1-line block ×3, first 2 shown]
	v_add_f32_e32 v5, v5, v7
.LBB10_50:                              ;   in Loop: Header=BB10_52 Depth=1
	s_or_b64 exec, exec, s[6:7]
.LBB10_51:                              ;   in Loop: Header=BB10_52 Depth=1
	s_or_b64 exec, exec, s[4:5]
	v_add_co_u32_e64 v24, s[0:1], 8, v24
	v_add_u32_e32 v22, 2, v22
	v_addc_co_u32_e64 v25, s[0:1], 0, v25, s[0:1]
	v_cmp_le_i32_e64 s[0:1], s47, v22
	v_add_u32_e32 v26, 16, v26
	s_or_b64 s[12:13], s[0:1], s[12:13]
	v_add_u32_e32 v23, 64, v23
	s_andn2_b64 exec, exec, s[12:13]
	s_cbranch_execz .LBB10_62
.LBB10_52:                              ; =>This Inner Loop Header: Depth=1
	v_sub_u32_e32 v7, 0, v26
	v_max_i32_e32 v7, v26, v7
	v_mul_hi_u32 v8, v7, s33
	v_mul_lo_u32 v9, v8, s25
	v_sub_u32_e32 v7, v7, v9
	v_add_u32_e32 v9, 1, v8
	v_cmp_le_u32_e64 s[0:1], s25, v7
	v_cndmask_b32_e64 v8, v8, v9, s[0:1]
	v_subrev_u32_e32 v9, s25, v7
	v_cndmask_b32_e64 v7, v7, v9, s[0:1]
	v_ashrrev_i32_e32 v6, 31, v26
	v_add_u32_e32 v9, 1, v8
	v_cmp_le_u32_e64 s[0:1], s25, v7
	v_xor_b32_e32 v6, s19, v6
	v_cndmask_b32_e64 v7, v8, v9, s[0:1]
	v_xor_b32_e32 v7, v7, v6
	v_sub_u32_e32 v6, v7, v6
	v_add_u32_e32 v7, s46, v6
	v_sub_u32_e32 v9, 0, v7
	v_ashrrev_i32_e32 v8, 31, v7
	v_max_i32_e32 v7, v7, v9
	v_mul_hi_u32 v9, v7, v31
	v_mul_lo_u32 v9, v9, s15
	v_sub_u32_e32 v7, v7, v9
	v_subrev_u32_e32 v9, s15, v7
	v_cmp_le_u32_e64 s[0:1], s15, v7
	v_cndmask_b32_e64 v7, v7, v9, s[0:1]
	v_subrev_u32_e32 v9, s15, v7
	v_cmp_le_u32_e64 s[0:1], s15, v7
	v_cndmask_b32_e64 v7, v7, v9, s[0:1]
	v_xor_b32_e32 v7, v7, v8
	v_sub_u32_e32 v7, v7, v8
	v_cmp_eq_u32_e64 s[0:1], 0, v7
	v_cmp_lt_i32_e64 s[2:3], s9, v6
	s_or_b64 s[0:1], s[0:1], s[2:3]
	s_and_saveexec_b64 s[4:5], s[0:1]
	s_cbranch_execz .LBB10_51
; %bb.53:                               ;   in Loop: Header=BB10_52 Depth=1
	global_load_dword v6, v[24:25], off
	v_mov_b32_e32 v8, s14
	v_add_u32_e32 v34, v30, v26
	s_waitcnt vmcnt(0)
	v_mad_i64_i32 v[6:7], s[0:1], v6, s17, 0
	v_lshlrev_b64 v[6:7], 2, v[6:7]
	v_add_co_u32_e64 v35, s[0:1], s11, v6
	v_addc_co_u32_e64 v36, s[0:1], v8, v7, s[0:1]
	v_add_co_u32_e64 v18, s[0:1], v35, v32
	v_addc_co_u32_e64 v19, s[0:1], 0, v36, s[0:1]
	global_load_dwordx4 v[10:13], v[18:19], off
	ds_read_b128 v[6:9], v23
	v_cmp_eq_u32_e64 s[0:1], s18, v22
	s_and_saveexec_b64 s[6:7], s[0:1]
	s_cbranch_execnz .LBB10_60
; %bb.54:                               ;   in Loop: Header=BB10_52 Depth=1
	s_or_b64 exec, exec, s[6:7]
	global_load_dwordx4 v[14:17], v[18:19], off offset:1024
	s_and_saveexec_b64 s[6:7], s[0:1]
	s_cbranch_execnz .LBB10_61
.LBB10_55:                              ;   in Loop: Header=BB10_52 Depth=1
	s_or_b64 exec, exec, s[6:7]
	global_load_dwordx4 v[18:21], v[18:19], off offset:2048
	s_and_saveexec_b64 s[6:7], s[0:1]
	s_cbranch_execz .LBB10_57
.LBB10_56:                              ;   in Loop: Header=BB10_52 Depth=1
	v_cmp_gt_i32_e64 s[2:3], s29, v34
	v_add_u32_e32 v37, 1, v34
	s_waitcnt vmcnt(0)
	v_cndmask_b32_e64 v18, 0, v18, s[2:3]
	v_cmp_gt_i32_e64 s[2:3], s29, v37
	v_add_u32_e32 v37, 2, v34
	v_cndmask_b32_e64 v19, 0, v19, s[2:3]
	v_cmp_gt_i32_e64 s[2:3], s29, v37
	v_add_u32_e32 v37, 3, v34
	v_cndmask_b32_e64 v20, 0, v20, s[2:3]
	v_cmp_gt_i32_e64 s[2:3], s29, v37
	v_cndmask_b32_e64 v21, 0, v21, s[2:3]
.LBB10_57:                              ;   in Loop: Header=BB10_52 Depth=1
	s_or_b64 exec, exec, s[6:7]
	s_waitcnt vmcnt(2) lgkmcnt(0)
	v_mul_f32_e32 v11, v7, v11
	v_fmac_f32_e32 v11, v6, v10
	s_waitcnt vmcnt(1)
	v_mul_f32_e32 v10, v7, v15
	v_fmac_f32_e32 v10, v6, v14
	v_fmac_f32_e32 v10, v8, v16
	;; [unrolled: 1-line block ×3, first 2 shown]
	v_add_f32_e32 v3, v3, v10
	s_waitcnt vmcnt(0)
	v_mul_f32_e32 v10, v7, v19
	v_fmac_f32_e32 v10, v6, v18
	v_fmac_f32_e32 v11, v8, v12
	;; [unrolled: 1-line block ×5, first 2 shown]
	v_add_f32_e32 v2, v2, v11
	v_add_f32_e32 v4, v4, v10
	s_and_saveexec_b64 s[6:7], vcc
	s_cbranch_execz .LBB10_50
; %bb.58:                               ;   in Loop: Header=BB10_52 Depth=1
	v_add_co_u32_e64 v10, s[2:3], v35, v33
	v_addc_co_u32_e64 v11, s[2:3], 0, v36, s[2:3]
	global_load_dwordx4 v[10:13], v[10:11], off
	s_and_saveexec_b64 s[2:3], s[0:1]
	s_cbranch_execz .LBB10_49
; %bb.59:                               ;   in Loop: Header=BB10_52 Depth=1
	v_cmp_gt_i32_e64 s[0:1], s29, v34
	v_add_u32_e32 v14, 1, v34
	s_waitcnt vmcnt(0)
	v_cndmask_b32_e64 v10, 0, v10, s[0:1]
	v_cmp_gt_i32_e64 s[0:1], s29, v14
	v_add_u32_e32 v14, 2, v34
	v_cndmask_b32_e64 v11, 0, v11, s[0:1]
	v_cmp_gt_i32_e64 s[0:1], s29, v14
	v_add_u32_e32 v14, 3, v34
	v_cndmask_b32_e64 v12, 0, v12, s[0:1]
	v_cmp_gt_i32_e64 s[0:1], s29, v14
	v_cndmask_b32_e64 v13, 0, v13, s[0:1]
	s_branch .LBB10_49
.LBB10_60:                              ;   in Loop: Header=BB10_52 Depth=1
	v_cmp_gt_i32_e64 s[2:3], s29, v34
	v_add_u32_e32 v14, 1, v34
	s_waitcnt vmcnt(0)
	v_cndmask_b32_e64 v10, 0, v10, s[2:3]
	v_cmp_gt_i32_e64 s[2:3], s29, v14
	v_add_u32_e32 v14, 2, v34
	v_cndmask_b32_e64 v11, 0, v11, s[2:3]
	v_cmp_gt_i32_e64 s[2:3], s29, v14
	v_add_u32_e32 v14, 3, v34
	v_cndmask_b32_e64 v12, 0, v12, s[2:3]
	v_cmp_gt_i32_e64 s[2:3], s29, v14
	v_cndmask_b32_e64 v13, 0, v13, s[2:3]
	s_or_b64 exec, exec, s[6:7]
	global_load_dwordx4 v[14:17], v[18:19], off offset:1024
	s_and_saveexec_b64 s[6:7], s[0:1]
	s_cbranch_execz .LBB10_55
.LBB10_61:                              ;   in Loop: Header=BB10_52 Depth=1
	v_cmp_gt_i32_e64 s[2:3], s29, v34
	v_add_u32_e32 v20, 1, v34
	s_waitcnt vmcnt(0)
	v_cndmask_b32_e64 v14, 0, v14, s[2:3]
	v_cmp_gt_i32_e64 s[2:3], s29, v20
	v_add_u32_e32 v20, 2, v34
	v_cndmask_b32_e64 v15, 0, v15, s[2:3]
	v_cmp_gt_i32_e64 s[2:3], s29, v20
	v_add_u32_e32 v20, 3, v34
	v_cndmask_b32_e64 v16, 0, v16, s[2:3]
	v_cmp_gt_i32_e64 s[2:3], s29, v20
	v_cndmask_b32_e64 v17, 0, v17, s[2:3]
	s_or_b64 exec, exec, s[6:7]
	global_load_dwordx4 v[18:21], v[18:19], off offset:2048
	s_and_saveexec_b64 s[6:7], s[0:1]
	s_cbranch_execnz .LBB10_56
	s_branch .LBB10_57
.LBB10_62:
	s_or_b64 exec, exec, s[12:13]
.LBB10_63:
	s_or_b64 exec, exec, s[20:21]
	ds_bpermute_b32 v6, v27, v2
	ds_bpermute_b32 v7, v27, v3
	;; [unrolled: 1-line block ×4, first 2 shown]
	s_waitcnt lgkmcnt(0)
	s_barrier
	v_pk_add_f32 v[6:7], v[2:3], v[6:7]
	v_pk_add_f32 v[2:3], v[4:5], v[8:9]
	v_and_b32_e32 v4, 0x3c0, v0
	v_cmp_eq_u32_e32 vcc, 64, v4
	s_and_saveexec_b64 s[2:3], vcc
	s_cbranch_execz .LBB10_68
; %bb.64:
	v_cmp_eq_u32_e32 vcc, 0, v28
	s_and_saveexec_b64 s[0:1], vcc
	s_cbranch_execz .LBB10_66
; %bb.65:
	v_mov_b32_e32 v4, 0x1f0
	v_lshl_add_u32 v4, v29, 2, v4
	ds_write2_b32 v4, v6, v7 offset1:32
	ds_write_b32 v4, v2 offset:256
.LBB10_66:
	s_or_b64 exec, exec, s[0:1]
	v_or_b32_e32 v4, 0x60, v29
	s_movk_i32 s0, 0x78
	v_cmp_gt_u32_e64 s[0:1], s0, v4
	s_and_b64 s[0:1], vcc, s[0:1]
	s_and_b64 exec, exec, s[0:1]
	s_cbranch_execz .LBB10_68
; %bb.67:
	v_mov_b32_e32 v4, 0x1f0
	v_lshl_add_u32 v4, v29, 2, v4
	ds_write_b32 v4, v3 offset:384
.LBB10_68:
	s_or_b64 exec, exec, s[2:3]
	v_cmp_gt_u32_e32 vcc, 64, v0
	s_waitcnt lgkmcnt(0)
	s_barrier
	s_and_saveexec_b64 s[4:5], vcc
	s_cbranch_execz .LBB10_76
; %bb.69:
	v_cmp_eq_u32_e64 s[0:1], 0, v28
	s_and_saveexec_b64 s[2:3], s[0:1]
	s_cbranch_execnz .LBB10_82
; %bb.70:
	s_or_b64 exec, exec, s[2:3]
	s_and_saveexec_b64 s[2:3], s[0:1]
	s_cbranch_execnz .LBB10_83
.LBB10_71:
	s_or_b64 exec, exec, s[2:3]
	s_and_saveexec_b64 s[2:3], s[0:1]
	s_cbranch_execz .LBB10_73
.LBB10_72:
	v_mov_b32_e32 v0, 0x1f0
	v_lshl_add_u32 v0, v1, 2, v0
	ds_read_b32 v0, v0 offset:256
	s_waitcnt lgkmcnt(0)
	v_add_f32_e32 v2, v2, v0
.LBB10_73:
	s_or_b64 exec, exec, s[2:3]
	v_or_b32_e32 v0, 0x60, v1
	s_movk_i32 s2, 0x78
	v_cmp_gt_u32_e64 s[2:3], s2, v0
	s_and_b64 s[2:3], s[0:1], s[2:3]
	s_and_saveexec_b64 s[0:1], s[2:3]
	s_cbranch_execz .LBB10_75
; %bb.74:
	v_mov_b32_e32 v0, 0x1f0
	v_lshl_add_u32 v0, v1, 2, v0
	ds_read_b32 v0, v0 offset:384
	s_waitcnt lgkmcnt(0)
	v_add_f32_e32 v3, v3, v0
.LBB10_75:
	s_or_b64 exec, exec, s[0:1]
.LBB10_76:
	s_or_b64 exec, exec, s[4:5]
	s_barrier
	s_and_saveexec_b64 s[0:1], vcc
	s_cbranch_execz .LBB10_81
; %bb.77:
	s_mul_i32 s0, s10, 0x78
	s_ashr_i32 s1, s0, 31
	s_lshl_b64 s[0:1], s[0:1], 2
	s_add_u32 s2, s26, s0
	s_mul_i32 s0, s16, s24
	s_addc_u32 s3, s27, s1
	s_ashr_i32 s1, s0, 31
	s_lshl_b64 s[0:1], s[0:1], 2
	s_add_u32 s2, s2, s0
	s_mul_i32 s0, s8, 0x78
	s_addc_u32 s3, s3, s1
	s_ashr_i32 s1, s0, 31
	s_lshl_b64 s[0:1], s[0:1], 2
	s_add_u32 s2, s2, s0
	s_movk_i32 s4, 0x78
	s_addc_u32 s3, s3, s1
	v_cmp_eq_u32_e32 vcc, 0, v28
	v_lshlrev_b32_e32 v0, 2, v1
	s_and_saveexec_b64 s[0:1], vcc
	s_cbranch_execz .LBB10_79
; %bb.78:
	global_store_dword v0, v6, s[2:3]
	global_store_dword v0, v7, s[2:3] offset:128
	global_store_dword v0, v2, s[2:3] offset:256
.LBB10_79:
	s_or_b64 exec, exec, s[0:1]
	v_or_b32_e32 v1, 0x60, v1
	v_cmp_gt_u32_e64 s[0:1], s4, v1
	s_and_b64 s[0:1], vcc, s[0:1]
	s_and_b64 exec, exec, s[0:1]
	s_cbranch_execz .LBB10_81
; %bb.80:
	global_store_dword v0, v3, s[2:3] offset:384
.LBB10_81:
	s_endpgm
.LBB10_82:
	v_mov_b32_e32 v0, 0x1f0
	v_lshl_add_u32 v0, v1, 2, v0
	ds_read_b32 v0, v0
	s_waitcnt lgkmcnt(0)
	v_add_f32_e32 v6, v6, v0
	s_or_b64 exec, exec, s[2:3]
	s_and_saveexec_b64 s[2:3], s[0:1]
	s_cbranch_execz .LBB10_71
.LBB10_83:
	v_mov_b32_e32 v0, 0x1f0
	v_lshl_add_u32 v0, v1, 2, v0
	ds_read_b32 v0, v0 offset:128
	s_waitcnt lgkmcnt(0)
	v_add_f32_e32 v7, v7, v0
	s_or_b64 exec, exec, s[2:3]
	s_and_saveexec_b64 s[2:3], s[0:1]
	s_cbranch_execnz .LBB10_72
	s_branch .LBB10_73
	.section	.rodata,"a",@progbits
	.p2align	6, 0x0
	.amdhsa_kernel _ZN4vllm25paged_attention_v2_kernelIffLi120ELi8ELi128ELNS_18Fp8KVCacheDataTypeE0ELb1ELi512EEEvPfS2_PT_PKS3_PKT0_S9_ifPKiSB_iPKfiiiSD_SD_iiiii
		.amdhsa_group_segment_fixed_size 496
		.amdhsa_private_segment_fixed_size 0
		.amdhsa_kernarg_size 400
		.amdhsa_user_sgpr_count 6
		.amdhsa_user_sgpr_private_segment_buffer 1
		.amdhsa_user_sgpr_dispatch_ptr 0
		.amdhsa_user_sgpr_queue_ptr 0
		.amdhsa_user_sgpr_kernarg_segment_ptr 1
		.amdhsa_user_sgpr_dispatch_id 0
		.amdhsa_user_sgpr_flat_scratch_init 0
		.amdhsa_user_sgpr_kernarg_preload_length 0
		.amdhsa_user_sgpr_kernarg_preload_offset 0
		.amdhsa_user_sgpr_private_segment_size 0
		.amdhsa_uses_dynamic_stack 0
		.amdhsa_system_sgpr_private_segment_wavefront_offset 0
		.amdhsa_system_sgpr_workgroup_id_x 1
		.amdhsa_system_sgpr_workgroup_id_y 1
		.amdhsa_system_sgpr_workgroup_id_z 1
		.amdhsa_system_sgpr_workgroup_info 0
		.amdhsa_system_vgpr_workitem_id 0
		.amdhsa_next_free_vgpr 57
		.amdhsa_next_free_sgpr 52
		.amdhsa_accum_offset 60
		.amdhsa_reserve_vcc 1
		.amdhsa_reserve_flat_scratch 0
		.amdhsa_float_round_mode_32 0
		.amdhsa_float_round_mode_16_64 0
		.amdhsa_float_denorm_mode_32 3
		.amdhsa_float_denorm_mode_16_64 3
		.amdhsa_dx10_clamp 1
		.amdhsa_ieee_mode 1
		.amdhsa_fp16_overflow 0
		.amdhsa_tg_split 0
		.amdhsa_exception_fp_ieee_invalid_op 0
		.amdhsa_exception_fp_denorm_src 0
		.amdhsa_exception_fp_ieee_div_zero 0
		.amdhsa_exception_fp_ieee_overflow 0
		.amdhsa_exception_fp_ieee_underflow 0
		.amdhsa_exception_fp_ieee_inexact 0
		.amdhsa_exception_int_div_zero 0
	.end_amdhsa_kernel
	.section	.text._ZN4vllm25paged_attention_v2_kernelIffLi120ELi8ELi128ELNS_18Fp8KVCacheDataTypeE0ELb1ELi512EEEvPfS2_PT_PKS3_PKT0_S9_ifPKiSB_iPKfiiiSD_SD_iiiii,"axG",@progbits,_ZN4vllm25paged_attention_v2_kernelIffLi120ELi8ELi128ELNS_18Fp8KVCacheDataTypeE0ELb1ELi512EEEvPfS2_PT_PKS3_PKT0_S9_ifPKiSB_iPKfiiiSD_SD_iiiii,comdat
.Lfunc_end10:
	.size	_ZN4vllm25paged_attention_v2_kernelIffLi120ELi8ELi128ELNS_18Fp8KVCacheDataTypeE0ELb1ELi512EEEvPfS2_PT_PKS3_PKT0_S9_ifPKiSB_iPKfiiiSD_SD_iiiii, .Lfunc_end10-_ZN4vllm25paged_attention_v2_kernelIffLi120ELi8ELi128ELNS_18Fp8KVCacheDataTypeE0ELb1ELi512EEEvPfS2_PT_PKS3_PKT0_S9_ifPKiSB_iPKfiiiSD_SD_iiiii
                                        ; -- End function
	.section	.AMDGPU.csdata,"",@progbits
; Kernel info:
; codeLenInByte = 5228
; NumSgprs: 56
; NumVgprs: 57
; NumAgprs: 0
; TotalNumVgprs: 57
; ScratchSize: 0
; MemoryBound: 0
; FloatMode: 240
; IeeeMode: 1
; LDSByteSize: 496 bytes/workgroup (compile time only)
; SGPRBlocks: 6
; VGPRBlocks: 7
; NumSGPRsForWavesPerEU: 56
; NumVGPRsForWavesPerEU: 57
; AccumOffset: 60
; Occupancy: 8
; WaveLimiterHint : 1
; COMPUTE_PGM_RSRC2:SCRATCH_EN: 0
; COMPUTE_PGM_RSRC2:USER_SGPR: 6
; COMPUTE_PGM_RSRC2:TRAP_HANDLER: 0
; COMPUTE_PGM_RSRC2:TGID_X_EN: 1
; COMPUTE_PGM_RSRC2:TGID_Y_EN: 1
; COMPUTE_PGM_RSRC2:TGID_Z_EN: 1
; COMPUTE_PGM_RSRC2:TIDIG_COMP_CNT: 0
; COMPUTE_PGM_RSRC3_GFX90A:ACCUM_OFFSET: 14
; COMPUTE_PGM_RSRC3_GFX90A:TG_SPLIT: 0
	.section	.text._ZN4vllm32paged_attention_v2_reduce_kernelIfLi120ELi128ELi512EEEvPT_PKfS4_PKS1_PKii,"axG",@progbits,_ZN4vllm32paged_attention_v2_reduce_kernelIfLi120ELi128ELi512EEEvPT_PKfS4_PKS1_PKii,comdat
	.protected	_ZN4vllm32paged_attention_v2_reduce_kernelIfLi120ELi128ELi512EEEvPT_PKfS4_PKS1_PKii ; -- Begin function _ZN4vllm32paged_attention_v2_reduce_kernelIfLi120ELi128ELi512EEEvPT_PKfS4_PKS1_PKii
	.globl	_ZN4vllm32paged_attention_v2_reduce_kernelIfLi120ELi128ELi512EEEvPT_PKfS4_PKS1_PKii
	.p2align	8
	.type	_ZN4vllm32paged_attention_v2_reduce_kernelIfLi120ELi128ELi512EEEvPT_PKfS4_PKS1_PKii,@function
_ZN4vllm32paged_attention_v2_reduce_kernelIfLi120ELi128ELi512EEEvPT_PKfS4_PKS1_PKii: ; @_ZN4vllm32paged_attention_v2_reduce_kernelIfLi120ELi128ELi512EEEvPT_PKfS4_PKS1_PKii
; %bb.0:
	s_load_dwordx4 s[8:11], s[4:5], 0x18
	s_add_u32 s12, s4, 48
	s_mov_b32 s14, s7
	s_addc_u32 s13, s5, 0
	s_ashr_i32 s15, s7, 31
	s_lshl_b64 s[0:1], s[14:15], 2
	s_waitcnt lgkmcnt(0)
	s_add_u32 s0, s10, s0
	s_addc_u32 s1, s11, s1
	s_load_dword s24, s[0:1], 0x0
	s_load_dwordx2 s[10:11], s[4:5], 0x0
	s_load_dword s7, s[4:5], 0x28
	s_load_dword s15, s[4:5], 0x30
	s_waitcnt lgkmcnt(0)
	s_add_i32 s0, s24, -1
	s_cmpk_gt_u32 s0, 0x1ff
	s_mov_b64 s[0:1], -1
	s_cbranch_scc0 .LBB11_25
; %bb.1:
	s_add_i32 s0, s24, 0x1ff
	s_load_dwordx2 s[20:21], s[4:5], 0x8
	s_ashr_i32 s1, s0, 31
	s_lshr_b32 s1, s1, 23
	s_add_i32 s0, s0, s1
	s_mul_i32 s22, s15, s14
	s_ashr_i32 s23, s0, 9
	s_mul_i32 s16, s22, s7
	s_mul_i32 s18, s6, s7
	s_ashr_i32 s17, s16, 31
	s_ashr_i32 s19, s18, 31
	v_cmp_gt_i32_e32 vcc, s23, v0
	v_mov_b32_e32 v4, 0xff7fffff
	s_and_saveexec_b64 s[2:3], vcc
	s_cbranch_execz .LBB11_5
; %bb.2:
	s_load_dword s25, s[12:13], 0xc
	s_load_dwordx2 s[0:1], s[4:5], 0x10
	s_lshl_b64 s[4:5], s[16:17], 2
	s_lshl_b64 s[26:27], s[18:19], 2
	v_lshlrev_b32_e32 v1, 2, v0
	s_waitcnt lgkmcnt(0)
	s_and_b32 s25, s25, 0xffff
	s_add_u32 s4, s4, s26
	s_addc_u32 s5, s5, s27
	s_add_u32 s0, s0, s4
	s_addc_u32 s1, s1, s5
	s_mov_b32 s28, 0
	v_mov_b32_e32 v3, s1
	v_add_co_u32_e64 v2, s[0:1], s0, v1
	v_addc_co_u32_e64 v3, s[0:1], 0, v3, s[0:1]
	s_lshl_b32 s26, s25, 2
	v_add_u32_e32 v1, 16, v1
	s_mov_b64 s[4:5], 0
	v_mov_b32_e32 v4, 0xff7fffff
	v_mov_b32_e32 v5, s28
	;; [unrolled: 1-line block ×3, first 2 shown]
.LBB11_3:                               ; =>This Inner Loop Header: Depth=1
	global_load_dword v7, v[2:3], off
	v_add_co_u32_e64 v2, s[0:1], s26, v2
	v_add_u32_e32 v6, s25, v6
	v_addc_co_u32_e64 v3, s[0:1], v3, v5, s[0:1]
	v_max_f32_e32 v4, v4, v4
	v_cmp_le_i32_e64 s[0:1], s23, v6
	s_or_b64 s[4:5], s[0:1], s[4:5]
	s_waitcnt vmcnt(0)
	ds_write_b32 v1, v7
	v_max_f32_e32 v7, v7, v7
	v_add_u32_e32 v1, s26, v1
	v_max_f32_e32 v4, v4, v7
	s_andn2_b64 exec, exec, s[4:5]
	s_cbranch_execnz .LBB11_3
; %bb.4:
	s_or_b64 exec, exec, s[4:5]
.LBB11_5:
	s_or_b64 exec, exec, s[2:3]
	v_mbcnt_lo_u32_b32 v1, -1, 0
	v_mbcnt_hi_u32_b32 v2, -1, v1
	v_and_b32_e32 v1, 64, v2
	v_add_u32_e32 v5, 64, v1
	v_xor_b32_e32 v1, 32, v2
	v_cmp_lt_i32_e64 s[0:1], v1, v5
	v_cndmask_b32_e64 v1, v2, v1, s[0:1]
	v_lshlrev_b32_e32 v1, 2, v1
	ds_bpermute_b32 v3, v1, v4
	v_xor_b32_e32 v6, 16, v2
	v_max_f32_e32 v4, v4, v4
	v_cmp_lt_i32_e64 s[0:1], v6, v5
	v_xor_b32_e32 v7, 8, v2
	s_waitcnt lgkmcnt(0)
	v_max_f32_e32 v3, v3, v3
	v_max_f32_e32 v3, v4, v3
	v_cndmask_b32_e64 v4, v2, v6, s[0:1]
	v_lshlrev_b32_e32 v4, 2, v4
	ds_bpermute_b32 v6, v4, v3
	v_cmp_lt_i32_e64 s[0:1], v7, v5
	v_xor_b32_e32 v8, 4, v2
	v_xor_b32_e32 v9, 2, v2
	v_lshrrev_b32_e32 v12, 6, v0
	s_waitcnt lgkmcnt(0)
	v_max_f32_e32 v6, v6, v6
	v_max_f32_e32 v3, v3, v6
	v_cndmask_b32_e64 v6, v2, v7, s[0:1]
	v_lshlrev_b32_e32 v6, 2, v6
	ds_bpermute_b32 v7, v6, v3
	v_cmp_lt_i32_e64 s[0:1], v8, v5
	s_waitcnt lgkmcnt(0)
	s_barrier
	v_max_f32_e32 v7, v7, v7
	v_max_f32_e32 v3, v3, v7
	v_cndmask_b32_e64 v7, v2, v8, s[0:1]
	v_lshlrev_b32_e32 v7, 2, v7
	ds_bpermute_b32 v8, v7, v3
	v_cmp_lt_i32_e64 s[0:1], v9, v5
	s_waitcnt lgkmcnt(0)
	v_max_f32_e32 v8, v8, v8
	v_max_f32_e32 v10, v3, v8
	v_cndmask_b32_e64 v3, v2, v9, s[0:1]
	v_lshlrev_b32_e32 v8, 2, v3
	ds_bpermute_b32 v9, v8, v10
	v_and_b32_e32 v3, 63, v0
	s_waitcnt lgkmcnt(0)
	v_max_f32_e32 v9, v9, v9
	v_max_f32_e32 v10, v10, v9
	v_xor_b32_e32 v9, 1, v2
	v_cmp_lt_i32_e64 s[0:1], v9, v5
	v_cndmask_b32_e64 v5, v2, v9, s[0:1]
	v_lshlrev_b32_e32 v5, 2, v5
	ds_bpermute_b32 v11, v5, v10
	v_cmp_eq_u32_e64 s[0:1], 0, v3
	v_lshlrev_b32_e32 v9, 2, v12
	s_and_saveexec_b64 s[2:3], s[0:1]
	s_cbranch_execz .LBB11_7
; %bb.6:
	s_waitcnt lgkmcnt(0)
	v_max_f32_e32 v11, v11, v11
	v_max_f32_e32 v10, v10, v10
	;; [unrolled: 1-line block ×3, first 2 shown]
	ds_write_b32 v9, v10
.LBB11_7:
	s_or_b64 exec, exec, s[2:3]
	v_cmp_gt_u32_e64 s[2:3], 2, v3
	s_waitcnt lgkmcnt(0)
	v_mov_b32_e32 v11, 0xff7fffff
	v_lshlrev_b32_e32 v10, 2, v3
	s_barrier
	s_and_saveexec_b64 s[4:5], s[2:3]
	s_cbranch_execz .LBB11_9
; %bb.8:
	ds_read_b32 v11, v10
.LBB11_9:
	s_or_b64 exec, exec, s[4:5]
	s_waitcnt lgkmcnt(0)
	ds_bpermute_b32 v3, v5, v11
	v_max_f32_e32 v11, v11, v11
	v_lshlrev_b32_e32 v2, 2, v2
	s_lshl_b32 s25, s23, 2
	v_mov_b32_e32 v13, 0
	s_waitcnt lgkmcnt(0)
	v_max_f32_e32 v3, v3, v3
	v_max_f32_e32 v3, v11, v3
	v_and_b32_e32 v11, 0x100, v2
	ds_bpermute_b32 v12, v11, v3
	s_and_saveexec_b64 s[4:5], vcc
	s_cbranch_execz .LBB11_13
; %bb.10:
	s_load_dword s30, s[12:13], 0xc
	s_lshl_b64 s[26:27], s[16:17], 2
	s_lshl_b64 s[28:29], s[18:19], 2
	v_lshlrev_b32_e32 v13, 2, v0
	s_mov_b32 s31, 0
	s_waitcnt lgkmcnt(0)
	s_and_b32 s17, s30, 0xffff
	s_add_u32 s19, s26, s28
	s_addc_u32 s26, s27, s29
	s_add_u32 s19, s20, s19
	s_addc_u32 s20, s21, s26
	v_mov_b32_e32 v3, s20
	v_add_co_u32_e32 v2, vcc, s19, v13
	v_addc_co_u32_e32 v3, vcc, 0, v3, vcc
	s_lshl_b32 s19, s17, 2
	v_add_u32_e32 v14, 16, v13
	s_mov_b64 s[20:21], 0
	v_mov_b32_e32 v13, 0
	s_mov_b32 s26, 0x3fb8aa3b
	s_mov_b32 s27, 0xc2ce8ed0
	;; [unrolled: 1-line block ×3, first 2 shown]
	v_mov_b32_e32 v15, 0x7f800000
	v_mov_b32_e32 v16, s31
	v_mov_b32_e32 v17, v0
.LBB11_11:                              ; =>This Inner Loop Header: Depth=1
	global_load_dword v18, v[2:3], off
	ds_read_b32 v19, v14
	v_add_co_u32_e32 v2, vcc, s19, v2
	v_add_u32_e32 v17, s17, v17
	v_addc_co_u32_e32 v3, vcc, v3, v16, vcc
	s_waitcnt lgkmcnt(0)
	v_sub_f32_e32 v19, v19, v12
	v_mul_f32_e32 v21, 0x3fb8aa3b, v19
	v_fma_f32 v22, v19, s26, -v21
	v_rndne_f32_e32 v23, v21
	v_fmac_f32_e32 v22, 0x32a5705f, v19
	v_sub_f32_e32 v21, v21, v23
	v_add_f32_e32 v21, v21, v22
	v_cvt_i32_f32_e32 v23, v23
	v_exp_f32_e32 v21, v21
	v_cmp_le_i32_e32 vcc, s23, v17
	s_or_b64 s[20:21], vcc, s[20:21]
	v_cmp_ngt_f32_e32 vcc, s27, v19
	v_ldexp_f32 v21, v21, v23
	v_cndmask_b32_e32 v21, 0, v21, vcc
	v_cmp_nlt_f32_e32 vcc, s28, v19
	v_cndmask_b32_e32 v19, v15, v21, vcc
	v_add_u32_e32 v20, s25, v14
	v_add_u32_e32 v14, s19, v14
	s_waitcnt vmcnt(0)
	v_mul_f32_e32 v21, v18, v19
	v_fmac_f32_e32 v13, v18, v19
	ds_write_b32 v20, v21
	s_andn2_b64 exec, exec, s[20:21]
	s_cbranch_execnz .LBB11_11
; %bb.12:
	s_or_b64 exec, exec, s[20:21]
.LBB11_13:
	s_or_b64 exec, exec, s[4:5]
	ds_bpermute_b32 v1, v1, v13
	s_waitcnt lgkmcnt(0)
	s_barrier
	v_add_f32_e32 v1, v13, v1
	ds_bpermute_b32 v2, v4, v1
	s_waitcnt lgkmcnt(0)
	v_add_f32_e32 v1, v1, v2
	ds_bpermute_b32 v2, v6, v1
	s_waitcnt lgkmcnt(0)
	;; [unrolled: 3-line block ×5, first 2 shown]
	v_add_f32_e32 v1, v1, v2
	s_and_saveexec_b64 s[4:5], s[0:1]
	s_cbranch_execz .LBB11_15
; %bb.14:
	ds_write_b32 v9, v1 offset:8
.LBB11_15:
	s_or_b64 exec, exec, s[4:5]
	s_waitcnt lgkmcnt(0)
	s_barrier
	s_and_saveexec_b64 s[0:1], s[2:3]
	s_cbranch_execz .LBB11_17
; %bb.16:
	ds_read_b32 v1, v10 offset:8
.LBB11_17:
	s_or_b64 exec, exec, s[0:1]
	s_waitcnt lgkmcnt(0)
	ds_bpermute_b32 v2, v5, v1
	s_movk_i32 s0, 0x78
	v_cmp_gt_u32_e32 vcc, s0, v0
	s_waitcnt lgkmcnt(0)
	v_add_f32_e32 v1, v1, v2
	ds_bpermute_b32 v2, v11, v1
	s_and_saveexec_b64 s[0:1], vcc
	s_cbranch_execz .LBB11_24
; %bb.18:
	s_cmp_gt_i32 s24, 0
	s_mov_b32 s4, 0
	s_cbranch_scc1 .LBB11_20
; %bb.19:
	v_mov_b32_e32 v1, 0
	v_mov_b32_e32 v4, s4
	s_cbranch_execz .LBB11_21
	s_branch .LBB11_23
.LBB11_20:
                                        ; implicit-def: $sgpr4
	v_mov_b32_e32 v4, s4
.LBB11_21:
	s_waitcnt lgkmcnt(0)
	v_add_f32_e32 v1, 0x358637bd, v2
	v_div_scale_f32 v2, s[2:3], v1, v1, 1.0
	v_rcp_f32_e32 v3, v2
	s_mul_i32 s4, s16, 0x78
	s_mul_i32 s16, s18, 0x78
	s_ashr_i32 s5, s4, 31
	v_fma_f32 v4, -v2, v3, 1.0
	v_fmac_f32_e32 v3, v4, v3
	v_div_scale_f32 v4, vcc, 1.0, v1, 1.0
	v_mul_f32_e32 v5, v4, v3
	s_ashr_i32 s17, s16, 31
	s_max_i32 s2, s23, 1
	v_fma_f32 v6, -v2, v5, v4
	s_add_i32 s3, s25, 16
	s_lshl_b64 s[4:5], s[4:5], 2
	s_lshl_b64 s[16:17], s[16:17], 2
	v_fmac_f32_e32 v5, v6, v3
	s_add_u32 s4, s4, s16
	v_fma_f32 v2, -v2, v5, v4
	s_addc_u32 s5, s5, s17
	v_div_fmas_f32 v2, v2, v3, v5
	s_add_u32 s4, s8, s4
	v_div_fixup_f32 v5, v2, v1, 1.0
	v_lshlrev_b32_e32 v2, 2, v0
	s_addc_u32 s5, s9, s5
	v_mov_b32_e32 v1, 0
	v_mov_b32_e32 v3, s5
	v_add_co_u32_e32 v2, vcc, s4, v2
	v_addc_co_u32_e32 v3, vcc, 0, v3, vcc
	v_mov_b32_e32 v4, v1
.LBB11_22:                              ; =>This Inner Loop Header: Depth=1
	global_load_dword v6, v[2:3], off
	v_mov_b32_e32 v7, s3
	ds_read_b32 v7, v7
	s_add_i32 s2, s2, -1
	v_add_co_u32_e32 v2, vcc, 0x1e0, v2
	s_add_i32 s3, s3, 4
	v_addc_co_u32_e32 v3, vcc, 0, v3, vcc
	s_cmp_eq_u32 s2, 0
	s_waitcnt vmcnt(0) lgkmcnt(0)
	v_mul_f32_e32 v6, v6, v7
	v_fmac_f32_e32 v4, v5, v6
	s_cbranch_scc0 .LBB11_22
.LBB11_23:
	s_mul_i32 s2, s22, 0x78
	s_ashr_i32 s3, s2, 31
	s_lshl_b64 s[2:3], s[2:3], 2
	s_add_u32 s4, s10, s2
	s_mul_i32 s2, s6, 0x78
	s_addc_u32 s5, s11, s3
	s_ashr_i32 s3, s2, 31
	s_lshl_b64 s[2:3], s[2:3], 2
	s_add_u32 s2, s4, s2
	s_addc_u32 s3, s5, s3
	s_waitcnt lgkmcnt(0)
	v_lshlrev_b64 v[2:3], 2, v[0:1]
	v_mov_b32_e32 v1, s3
	v_add_co_u32_e32 v2, vcc, s2, v2
	v_addc_co_u32_e32 v3, vcc, v1, v3, vcc
	global_store_dword v[2:3], v4, off
.LBB11_24:
	s_or_b64 exec, exec, s[0:1]
	s_mov_b64 s[0:1], 0
.LBB11_25:
	s_and_b64 vcc, exec, s[0:1]
	s_cbranch_vccz .LBB11_34
; %bb.26:
	s_movk_i32 s0, 0x78
	v_cmp_gt_u32_e32 vcc, s0, v0
	s_and_saveexec_b64 s[2:3], vcc
	s_cbranch_execz .LBB11_34
; %bb.27:
	s_mul_i32 s1, s15, s14
	s_mul_i32 s2, s1, 0x78
	s_ashr_i32 s3, s2, 31
	s_lshl_b64 s[4:5], s[2:3], 2
	s_add_u32 s1, s10, s4
	s_mul_i32 s14, s6, 0x78
	s_addc_u32 s3, s11, s5
	s_ashr_i32 s15, s14, 31
	s_lshl_b64 s[4:5], s[14:15], 2
	s_add_u32 s4, s1, s4
	s_mul_i32 s2, s2, s7
	s_addc_u32 s10, s3, s5
	s_ashr_i32 s3, s2, 31
	s_lshl_b64 s[2:3], s[2:3], 2
	s_add_u32 s1, s8, s2
	s_load_dword s8, s[12:13], 0xc
	s_mul_i32 s2, s14, s7
	s_addc_u32 s6, s9, s3
	s_ashr_i32 s3, s2, 31
	s_lshl_b64 s[2:3], s[2:3], 2
	s_add_u32 s5, s1, s2
	s_addc_u32 s7, s6, s3
	s_waitcnt lgkmcnt(0)
	s_and_b32 s6, s8, 0xffff
	v_cvt_f32_u32_e32 v1, s6
	v_add_u32_e32 v2, s6, v0
	v_mov_b32_e32 v4, s6
	v_cmp_gt_u32_e32 vcc, s0, v2
	v_rcp_iflag_f32_e32 v1, v1
	s_cmp_eq_u32 s6, 1
	v_max_u32_e32 v3, 0x78, v2
	v_addc_co_u32_e64 v2, s[0:1], v0, v4, vcc
	v_mul_f32_e32 v1, 0x4f7ffffe, v1
	v_cvt_u32_f32_e32 v1, v1
	s_cselect_b64 s[2:3], -1, 0
	s_sub_i32 s0, 0, s6
	v_sub_u32_e32 v2, v3, v2
	v_mul_lo_u32 v3, s0, v1
	v_mul_hi_u32 v3, v1, v3
	v_add_u32_e32 v1, v1, v3
	v_mul_hi_u32 v1, v2, v1
	v_mul_lo_u32 v3, v1, s6
	v_sub_u32_e32 v2, v2, v3
	v_add_u32_e32 v3, 1, v1
	v_cmp_le_u32_e64 s[0:1], s6, v2
	v_cndmask_b32_e64 v1, v1, v3, s[0:1]
	v_subrev_u32_e32 v3, s6, v2
	v_cndmask_b32_e64 v2, v2, v3, s[0:1]
	v_add_u32_e32 v3, 1, v1
	v_cmp_le_u32_e64 s[0:1], s6, v2
	v_cndmask_b32_e64 v1, v1, v3, s[0:1]
	v_addc_co_u32_e32 v1, vcc, 1, v1, vcc
	v_cmp_lt_u32_e32 vcc, 3, v1
	s_and_b64 s[8:9], vcc, s[2:3]
	s_mov_b64 s[2:3], -1
	s_and_saveexec_b64 s[0:1], s[8:9]
	s_cbranch_execz .LBB11_31
; %bb.28:
	v_and_b32_e32 v4, -4, v1
	s_mov_b64 s[2:3], 0
	v_mov_b32_e32 v3, 0
	v_mov_b32_e32 v5, s7
	;; [unrolled: 1-line block ×5, first 2 shown]
.LBB11_29:                              ; =>This Inner Loop Header: Depth=1
	v_lshlrev_b64 v[12:13], 2, v[2:3]
	v_add_co_u32_e32 v8, vcc, s5, v12
	v_addc_co_u32_e32 v9, vcc, v5, v13, vcc
	global_load_dwordx4 v[8:11], v[8:9], off
	v_add_co_u32_e32 v12, vcc, s4, v12
	v_add_u32_e32 v7, -4, v7
	v_addc_co_u32_e32 v13, vcc, v6, v13, vcc
	v_cmp_eq_u32_e32 vcc, 0, v7
	v_add_u32_e32 v2, 4, v2
	s_or_b64 s[2:3], vcc, s[2:3]
	s_waitcnt vmcnt(0)
	global_store_dwordx4 v[12:13], v[8:11], off
	s_andn2_b64 exec, exec, s[2:3]
	s_cbranch_execnz .LBB11_29
; %bb.30:
	s_or_b64 exec, exec, s[2:3]
	v_cmp_ne_u32_e32 vcc, v1, v4
	v_add_u32_e32 v0, v0, v4
	s_orn2_b64 s[2:3], vcc, exec
.LBB11_31:
	s_or_b64 exec, exec, s[0:1]
	s_and_b64 exec, exec, s[2:3]
	s_cbranch_execz .LBB11_34
; %bb.32:
	s_mov_b32 s3, 0
	v_mov_b32_e32 v1, 0
	v_lshlrev_b64 v[2:3], 2, v[0:1]
	s_lshl_b32 s2, s6, 2
	s_mov_b64 s[0:1], 0
	v_mov_b32_e32 v1, s7
	v_mov_b32_e32 v4, s10
	;; [unrolled: 1-line block ×3, first 2 shown]
	s_movk_i32 s3, 0x77
.LBB11_33:                              ; =>This Inner Loop Header: Depth=1
	v_add_co_u32_e32 v6, vcc, s5, v2
	v_addc_co_u32_e32 v7, vcc, v1, v3, vcc
	global_load_dword v8, v[6:7], off
	v_add_co_u32_e32 v6, vcc, s4, v2
	v_addc_co_u32_e32 v7, vcc, v4, v3, vcc
	v_add_co_u32_e32 v2, vcc, s2, v2
	v_add_u32_e32 v0, s6, v0
	v_addc_co_u32_e32 v3, vcc, v3, v5, vcc
	v_cmp_lt_u32_e32 vcc, s3, v0
	s_or_b64 s[0:1], vcc, s[0:1]
	s_waitcnt vmcnt(0)
	global_store_dword v[6:7], v8, off
	s_andn2_b64 exec, exec, s[0:1]
	s_cbranch_execnz .LBB11_33
.LBB11_34:
	s_endpgm
	.section	.rodata,"a",@progbits
	.p2align	6, 0x0
	.amdhsa_kernel _ZN4vllm32paged_attention_v2_reduce_kernelIfLi120ELi128ELi512EEEvPT_PKfS4_PKS1_PKii
		.amdhsa_group_segment_fixed_size 16
		.amdhsa_private_segment_fixed_size 0
		.amdhsa_kernarg_size 304
		.amdhsa_user_sgpr_count 6
		.amdhsa_user_sgpr_private_segment_buffer 1
		.amdhsa_user_sgpr_dispatch_ptr 0
		.amdhsa_user_sgpr_queue_ptr 0
		.amdhsa_user_sgpr_kernarg_segment_ptr 1
		.amdhsa_user_sgpr_dispatch_id 0
		.amdhsa_user_sgpr_flat_scratch_init 0
		.amdhsa_user_sgpr_kernarg_preload_length 0
		.amdhsa_user_sgpr_kernarg_preload_offset 0
		.amdhsa_user_sgpr_private_segment_size 0
		.amdhsa_uses_dynamic_stack 0
		.amdhsa_system_sgpr_private_segment_wavefront_offset 0
		.amdhsa_system_sgpr_workgroup_id_x 1
		.amdhsa_system_sgpr_workgroup_id_y 1
		.amdhsa_system_sgpr_workgroup_id_z 0
		.amdhsa_system_sgpr_workgroup_info 0
		.amdhsa_system_vgpr_workitem_id 0
		.amdhsa_next_free_vgpr 24
		.amdhsa_next_free_sgpr 32
		.amdhsa_accum_offset 24
		.amdhsa_reserve_vcc 1
		.amdhsa_reserve_flat_scratch 0
		.amdhsa_float_round_mode_32 0
		.amdhsa_float_round_mode_16_64 0
		.amdhsa_float_denorm_mode_32 3
		.amdhsa_float_denorm_mode_16_64 3
		.amdhsa_dx10_clamp 1
		.amdhsa_ieee_mode 1
		.amdhsa_fp16_overflow 0
		.amdhsa_tg_split 0
		.amdhsa_exception_fp_ieee_invalid_op 0
		.amdhsa_exception_fp_denorm_src 0
		.amdhsa_exception_fp_ieee_div_zero 0
		.amdhsa_exception_fp_ieee_overflow 0
		.amdhsa_exception_fp_ieee_underflow 0
		.amdhsa_exception_fp_ieee_inexact 0
		.amdhsa_exception_int_div_zero 0
	.end_amdhsa_kernel
	.section	.text._ZN4vllm32paged_attention_v2_reduce_kernelIfLi120ELi128ELi512EEEvPT_PKfS4_PKS1_PKii,"axG",@progbits,_ZN4vllm32paged_attention_v2_reduce_kernelIfLi120ELi128ELi512EEEvPT_PKfS4_PKS1_PKii,comdat
.Lfunc_end11:
	.size	_ZN4vllm32paged_attention_v2_reduce_kernelIfLi120ELi128ELi512EEEvPT_PKfS4_PKS1_PKii, .Lfunc_end11-_ZN4vllm32paged_attention_v2_reduce_kernelIfLi120ELi128ELi512EEEvPT_PKfS4_PKS1_PKii
                                        ; -- End function
	.section	.AMDGPU.csdata,"",@progbits
; Kernel info:
; codeLenInByte = 2168
; NumSgprs: 36
; NumVgprs: 24
; NumAgprs: 0
; TotalNumVgprs: 24
; ScratchSize: 0
; MemoryBound: 0
; FloatMode: 240
; IeeeMode: 1
; LDSByteSize: 16 bytes/workgroup (compile time only)
; SGPRBlocks: 4
; VGPRBlocks: 2
; NumSGPRsForWavesPerEU: 36
; NumVGPRsForWavesPerEU: 24
; AccumOffset: 24
; Occupancy: 8
; WaveLimiterHint : 0
; COMPUTE_PGM_RSRC2:SCRATCH_EN: 0
; COMPUTE_PGM_RSRC2:USER_SGPR: 6
; COMPUTE_PGM_RSRC2:TRAP_HANDLER: 0
; COMPUTE_PGM_RSRC2:TGID_X_EN: 1
; COMPUTE_PGM_RSRC2:TGID_Y_EN: 1
; COMPUTE_PGM_RSRC2:TGID_Z_EN: 0
; COMPUTE_PGM_RSRC2:TIDIG_COMP_CNT: 0
; COMPUTE_PGM_RSRC3_GFX90A:ACCUM_OFFSET: 5
; COMPUTE_PGM_RSRC3_GFX90A:TG_SPLIT: 0
	.section	.text._ZN4vllm25paged_attention_v2_kernelIffLi128ELi8ELi128ELNS_18Fp8KVCacheDataTypeE0ELb1ELi512EEEvPfS2_PT_PKS3_PKT0_S9_ifPKiSB_iPKfiiiSD_SD_iiiii,"axG",@progbits,_ZN4vllm25paged_attention_v2_kernelIffLi128ELi8ELi128ELNS_18Fp8KVCacheDataTypeE0ELb1ELi512EEEvPfS2_PT_PKS3_PKT0_S9_ifPKiSB_iPKfiiiSD_SD_iiiii,comdat
	.protected	_ZN4vllm25paged_attention_v2_kernelIffLi128ELi8ELi128ELNS_18Fp8KVCacheDataTypeE0ELb1ELi512EEEvPfS2_PT_PKS3_PKT0_S9_ifPKiSB_iPKfiiiSD_SD_iiiii ; -- Begin function _ZN4vllm25paged_attention_v2_kernelIffLi128ELi8ELi128ELNS_18Fp8KVCacheDataTypeE0ELb1ELi512EEEvPfS2_PT_PKS3_PKT0_S9_ifPKiSB_iPKfiiiSD_SD_iiiii
	.globl	_ZN4vllm25paged_attention_v2_kernelIffLi128ELi8ELi128ELNS_18Fp8KVCacheDataTypeE0ELb1ELi512EEEvPfS2_PT_PKS3_PKT0_S9_ifPKiSB_iPKfiiiSD_SD_iiiii
	.p2align	8
	.type	_ZN4vllm25paged_attention_v2_kernelIffLi128ELi8ELi128ELNS_18Fp8KVCacheDataTypeE0ELb1ELi512EEEvPfS2_PT_PKS3_PKT0_S9_ifPKiSB_iPKfiiiSD_SD_iiiii,@function
_ZN4vllm25paged_attention_v2_kernelIffLi128ELi8ELi128ELNS_18Fp8KVCacheDataTypeE0ELb1ELi512EEEvPfS2_PT_PKS3_PKT0_S9_ifPKiSB_iPKfiiiSD_SD_iiiii: ; @_ZN4vllm25paged_attention_v2_kernelIffLi128ELi8ELi128ELNS_18Fp8KVCacheDataTypeE0ELb1ELi512EEEvPfS2_PT_PKS3_PKT0_S9_ifPKiSB_iPKfiiiSD_SD_iiiii
; %bb.0:
	s_load_dwordx2 s[0:1], s[4:5], 0x40
	s_mov_b32 s28, s7
	s_ashr_i32 s29, s7, 31
	s_lshl_b64 s[2:3], s[28:29], 2
	s_waitcnt lgkmcnt(0)
	s_add_u32 s0, s0, s2
	s_addc_u32 s1, s1, s3
	s_load_dword s29, s[0:1], 0x0
	s_lshl_b32 s48, s8, 9
	s_waitcnt lgkmcnt(0)
	s_cmp_ge_i32 s48, s29
	s_cbranch_scc1 .LBB12_72
; %bb.1:
	s_load_dword s9, s[4:5], 0x90
	s_load_dwordx2 s[38:39], s[4:5], 0x30
	s_mov_b32 s49, 0
	s_waitcnt lgkmcnt(0)
	s_abs_i32 s2, s9
	s_abs_i32 s0, s38
	v_cvt_f32_u32_e32 v1, s0
	s_sub_i32 s3, 0, s0
	s_xor_b32 s1, s9, s38
	s_ashr_i32 s1, s1, 31
	v_rcp_iflag_f32_e32 v1, v1
	v_mul_f32_e32 v1, 0x4f7ffffe, v1
	v_cvt_u32_f32_e32 v1, v1
	v_readfirstlane_b32 s7, v1
	s_mul_i32 s3, s3, s7
	s_mul_hi_u32 s3, s7, s3
	s_add_i32 s7, s7, s3
	s_mul_hi_u32 s3, s2, s7
	s_mul_i32 s7, s3, s0
	s_sub_i32 s2, s2, s7
	s_add_i32 s10, s3, 1
	s_sub_i32 s7, s2, s0
	s_cmp_ge_u32 s2, s0
	s_cselect_b32 s3, s10, s3
	s_cselect_b32 s2, s7, s2
	s_add_i32 s7, s3, 1
	s_cmp_ge_u32 s2, s0
	s_cselect_b32 s0, s7, s3
	s_xor_b32 s0, s0, s1
	s_sub_i32 s11, s0, s1
	s_abs_i32 s2, s11
	v_cvt_f32_u32_e32 v1, s2
	s_load_dwordx2 s[0:1], s[4:5], 0x50
	s_sub_i32 s7, 0, s2
	s_abs_i32 s3, s6
	v_rcp_iflag_f32_e32 v1, v1
	v_mul_f32_e32 v1, 0x4f7ffffe, v1
	v_cvt_u32_f32_e32 v1, v1
	v_readfirstlane_b32 s10, v1
	s_mul_i32 s7, s7, s10
	s_mul_hi_u32 s7, s10, s7
	s_add_i32 s10, s10, s7
	s_waitcnt lgkmcnt(0)
	s_cmp_eq_u64 s[0:1], 0
	s_mul_hi_u32 s10, s3, s10
	s_cbranch_scc1 .LBB12_3
; %bb.2:
	s_ashr_i32 s7, s6, 31
	s_lshl_b64 s[12:13], s[6:7], 2
	s_add_u32 s0, s0, s12
	s_addc_u32 s1, s1, s13
	s_load_dword s49, s[0:1], 0x0
.LBB12_3:
	s_load_dwordx4 s[12:15], s[4:5], 0x58
	s_movk_i32 s0, 0x80
	s_ashr_i32 s7, s6, 31
	s_ashr_i32 s11, s11, 31
	v_and_b32_e32 v2, 7, v0
	s_lshl_b32 s24, s6, 7
	v_cmp_gt_u32_e32 vcc, s0, v0
	v_lshlrev_b32_e32 v6, 2, v0
	v_lshrrev_b32_e32 v1, 1, v0
	s_and_saveexec_b64 s[0:1], vcc
	s_cbranch_execz .LBB12_5
; %bb.4:
	s_load_dwordx2 s[16:17], s[4:5], 0x18
	s_waitcnt lgkmcnt(0)
	s_mul_i32 s18, s28, s12
	s_ashr_i32 s19, s18, 31
	s_lshl_b64 s[18:19], s[18:19], 2
	v_and_b32_e32 v4, 0x1fc, v1
	s_add_u32 s12, s16, s18
	s_addc_u32 s15, s17, s19
	s_ashr_i32 s25, s24, 31
	s_lshl_b64 s[16:17], s[24:25], 2
	s_add_u32 s16, s12, s16
	s_addc_u32 s17, s15, s17
	global_load_dword v3, v6, s[16:17]
	v_lshl_add_u32 v4, v2, 6, v4
	s_waitcnt vmcnt(0)
	ds_write_b32 v4, v3
.LBB12_5:
	s_or_b64 exec, exec, s[0:1]
	s_mul_i32 s1, s10, s2
	s_sub_i32 s1, s3, s1
	s_xor_b32 s0, s7, s11
	s_add_i32 s3, s10, 1
	s_sub_i32 s7, s1, s2
	s_load_dwordx4 s[16:19], s[4:5], 0x78
	s_cmp_ge_u32 s1, s2
	s_cselect_b32 s3, s3, s10
	s_load_dword s10, s[4:5], 0x88
	s_cselect_b32 s1, s7, s1
	s_add_i32 s7, s3, 1
	s_cmp_ge_u32 s1, s2
	s_cselect_b32 s1, s7, s3
	s_waitcnt lgkmcnt(0)
	s_abs_i32 s25, s19
	v_cvt_f32_u32_e32 v3, s25
	s_xor_b32 s1, s1, s0
	s_sub_i32 s2, s1, s0
	s_sub_i32 s0, 0, s25
	v_rcp_iflag_f32_e32 v3, v3
	s_add_i32 s11, s29, -1
	s_abs_i32 s3, s11
	v_mul_f32_e32 v3, 0x4f7ffffe, v3
	v_cvt_u32_f32_e32 v3, v3
	s_barrier
	v_readfirstlane_b32 s33, v3
	s_mul_i32 s0, s0, s33
	s_mul_hi_u32 s0, s33, s0
	s_add_i32 s33, s33, s0
	s_cmp_lt_i32 s10, 0
	s_mul_hi_u32 s7, s3, s33
	s_cbranch_scc0 .LBB12_7
; %bb.6:
	s_mul_i32 s0, s16, s38
	s_add_i32 s0, s2, s0
	s_mul_i32 s0, s0, s10
	s_sub_i32 s46, 1, s0
	s_mov_b64 s[0:1], 0
	s_branch .LBB12_8
.LBB12_7:
	s_mov_b64 s[0:1], -1
                                        ; implicit-def: $sgpr46
.LBB12_8:
	s_load_dwordx2 s[30:31], s[4:5], 0x38
	s_ashr_i32 s11, s11, 31
	s_andn2_b64 vcc, exec, s[0:1]
	s_ashr_i32 s19, s19, 31
	s_cbranch_vccnz .LBB12_10
; %bb.9:
	s_mul_i32 s0, s9, s16
	s_add_i32 s0, s0, s6
	s_mul_i32 s0, s0, s10
	s_add_i32 s46, s0, 1
.LBB12_10:
	s_load_dword s0, s[4:5], 0x48
	s_load_dwordx2 s[36:37], s[4:5], 0x28
	s_load_dword s16, s[4:5], 0x98
	s_load_dwordx4 s[20:23], s[4:5], 0x0
	s_load_dwordx2 s[26:27], s[4:5], 0x10
	s_mul_i32 s1, s7, s25
	s_waitcnt lgkmcnt(0)
	s_mul_i32 s34, s28, s0
	s_sub_i32 s1, s3, s1
	s_ashr_i32 s35, s34, 31
	s_xor_b32 s0, s11, s19
	s_add_i32 s3, s7, 1
	s_sub_i32 s10, s1, s25
	s_cmp_ge_u32 s1, s25
	s_cselect_b32 s3, s3, s7
	s_cselect_b32 s1, s10, s1
	s_add_i32 s7, s3, 1
	s_cmp_ge_u32 s1, s25
	s_cselect_b32 s1, s7, s3
	s_xor_b32 s1, s1, s0
	s_sub_i32 s12, s1, s0
	s_add_i32 s0, s29, 7
	s_ashr_i32 s1, s0, 31
	s_lshr_b32 s1, s1, 29
	s_add_i32 s0, s0, s1
	s_lshl_b32 s38, s8, 6
	s_ashr_i32 s7, s0, 3
	s_add_i32 s0, s38, 64
	v_lshrrev_b32_e32 v7, 6, v0
	s_min_i32 s47, s0, s7
	v_or_b32_e32 v26, s38, v7
	v_cmp_gt_i32_e64 s[0:1], s47, v26
	v_mov_b32_e32 v11, 0xff7fffff
	s_mul_i32 s14, s2, s14
	v_ashrrev_i32_e32 v27, 31, v26
	v_lshl_add_u32 v30, v7, 3, s48
	v_mbcnt_lo_u32_b32 v4, -1, 0
	s_and_saveexec_b64 s[40:41], s[0:1]
	s_cbranch_execz .LBB12_20
; %bb.11:
	s_load_dwordx2 s[2:3], s[4:5], 0x20
	s_ashr_i32 s15, s14, 31
	s_sub_i32 s50, s12, s17
	s_lshl_b64 s[4:5], s[14:15], 2
	v_bfe_u32 v5, v0, 3, 3
	s_waitcnt lgkmcnt(0)
	s_add_u32 s2, s2, s4
	s_addc_u32 s3, s3, s5
	s_abs_i32 s15, s18
	v_cvt_f32_u32_e32 v9, s15
	v_lshlrev_b32_e32 v3, 4, v5
	v_mov_b32_e32 v8, s3
	v_add_co_u32_e64 v3, s[2:3], s2, v3
	v_rcp_iflag_f32_e32 v9, v9
	v_and_b32_e32 v10, 3, v0
	v_addc_co_u32_e64 v8, s[2:3], 0, v8, s[2:3]
	v_lshlrev_b32_e32 v10, 2, v10
	v_add_co_u32_e64 v3, s[2:3], v3, v10
	v_addc_co_u32_e64 v12, s[2:3], 0, v8, s[2:3]
	v_mul_f32_e32 v8, 0x4f7ffffe, v9
	v_cvt_u32_f32_e32 v9, v8
	s_sub_i32 s4, 0, s15
	v_cmp_eq_u32_e32 vcc, 0, v2
	v_lshlrev_b32_e32 v8, 6, v2
	v_mul_lo_u32 v2, s4, v9
	v_mul_hi_u32 v2, v9, v2
	v_add_u32_e32 v9, v9, v2
	v_lshlrev_b32_e32 v2, 5, v0
	v_and_b32_e32 v2, 0x80, v2
	v_add_co_u32_e64 v10, s[4:5], v3, v2
	v_addc_co_u32_e64 v12, s[4:5], 0, v12, s[4:5]
	v_lshlrev_b32_e32 v11, 2, v5
	s_lshl_b64 s[4:5], s[34:35], 2
	s_add_u32 s4, s30, s4
	v_lshl_or_b32 v11, v7, 5, v11
	v_lshlrev_b64 v[2:3], 2, v[26:27]
	s_addc_u32 s5, s31, s5
	v_add_u32_e32 v14, 0x210, v11
	v_subrev_u32_e32 v11, s29, v5
	v_mbcnt_hi_u32_b32 v17, -1, v4
	v_mov_b32_e32 v13, s5
	v_add_co_u32_e64 v2, s[4:5], s4, v2
	v_add_u32_e32 v15, 1, v11
	v_and_b32_e32 v11, 64, v17
	s_mov_b32 s51, s13
	v_cmp_neq_f32_e64 s[2:3], s49, 0
	v_addc_co_u32_e64 v3, s[4:5], v13, v3, s[4:5]
	v_lshl_add_u32 v13, v7, 3, s48
	s_mov_b64 s[42:43], 0
	v_mov_b32_e32 v16, 0xff7fffff
	v_add_u32_e32 v18, 64, v11
	v_xor_b32_e32 v19, 4, v17
	v_xor_b32_e32 v20, 2, v17
	;; [unrolled: 1-line block ×3, first 2 shown]
	v_mov_b32_e32 v11, 0xff7fffff
	v_mov_b32_e32 v22, v26
	s_branch .LBB12_14
.LBB12_12:                              ;   in Loop: Header=BB12_14 Depth=1
	s_or_b64 exec, exec, s[44:45]
.LBB12_13:                              ;   in Loop: Header=BB12_14 Depth=1
	s_or_b64 exec, exec, s[10:11]
	v_add_co_u32_e64 v2, s[4:5], 8, v2
	v_add_u32_e32 v22, 2, v22
	v_addc_co_u32_e64 v3, s[4:5], 0, v3, s[4:5]
	v_cmp_le_i32_e64 s[4:5], s47, v22
	v_add_u32_e32 v13, 16, v13
	s_or_b64 s[42:43], s[4:5], s[42:43]
	v_add_u32_e32 v14, 64, v14
	s_andn2_b64 exec, exec, s[42:43]
	s_cbranch_execz .LBB12_19
.LBB12_14:                              ; =>This Inner Loop Header: Depth=1
	s_waitcnt lgkmcnt(0)
	v_sub_u32_e32 v24, 0, v13
	v_max_i32_e32 v24, v13, v24
	v_mul_hi_u32 v25, v24, s33
	v_mul_lo_u32 v28, v25, s25
	v_sub_u32_e32 v24, v24, v28
	v_add_u32_e32 v28, 1, v25
	v_cmp_le_u32_e64 s[4:5], s25, v24
	v_cndmask_b32_e64 v25, v25, v28, s[4:5]
	v_subrev_u32_e32 v28, s25, v24
	v_cndmask_b32_e64 v24, v24, v28, s[4:5]
	v_ashrrev_i32_e32 v23, 31, v13
	v_add_u32_e32 v28, 1, v25
	v_cmp_le_u32_e64 s[4:5], s25, v24
	v_xor_b32_e32 v23, s19, v23
	v_cndmask_b32_e64 v24, v25, v28, s[4:5]
	v_xor_b32_e32 v24, v24, v23
	v_sub_u32_e32 v23, v24, v23
	v_add_u32_e32 v24, s46, v23
	v_sub_u32_e32 v28, 0, v24
	v_ashrrev_i32_e32 v25, 31, v24
	v_max_i32_e32 v24, v24, v28
	v_mul_hi_u32 v28, v24, v9
	v_mul_lo_u32 v28, v28, s15
	v_sub_u32_e32 v24, v24, v28
	v_subrev_u32_e32 v28, s15, v24
	v_cmp_le_u32_e64 s[4:5], s15, v24
	v_cndmask_b32_e64 v24, v24, v28, s[4:5]
	v_subrev_u32_e32 v28, s15, v24
	v_cmp_le_u32_e64 s[4:5], s15, v24
	v_cndmask_b32_e64 v24, v24, v28, s[4:5]
	v_xor_b32_e32 v24, v24, v25
	v_sub_u32_e32 v24, v24, v25
	v_cmp_ne_u32_e64 s[4:5], 0, v24
	v_cmp_ge_i32_e64 s[10:11], s50, v23
	s_and_b64 s[4:5], s[4:5], s[10:11]
	s_and_b64 s[44:45], vcc, s[4:5]
	s_and_saveexec_b64 s[10:11], s[44:45]
	s_cbranch_execz .LBB12_16
; %bb.15:                               ;   in Loop: Header=BB12_14 Depth=1
	ds_write_b32 v14, v16
.LBB12_16:                              ;   in Loop: Header=BB12_14 Depth=1
	s_or_b64 exec, exec, s[10:11]
	s_xor_b64 s[4:5], s[4:5], -1
	s_and_saveexec_b64 s[10:11], s[4:5]
	s_cbranch_execz .LBB12_13
; %bb.17:                               ;   in Loop: Header=BB12_14 Depth=1
	global_load_dword v23, v[2:3], off
	s_waitcnt vmcnt(0)
	v_mad_i64_i32 v[24:25], s[4:5], v23, s51, 0
	v_lshlrev_b64 v[24:25], 2, v[24:25]
	v_add_co_u32_e64 v24, s[4:5], v10, v24
	v_addc_co_u32_e64 v25, s[4:5], v12, v25, s[4:5]
	global_load_dword v23, v[24:25], off offset:256
	global_load_dword v28, v[24:25], off
	global_load_dword v29, v[24:25], off offset:512
	global_load_dword v31, v[24:25], off offset:768
	global_load_dword v48, v[24:25], off offset:1024
	global_load_dword v49, v[24:25], off offset:1280
	global_load_dword v50, v[24:25], off offset:1536
	global_load_dword v51, v[24:25], off offset:1792
	global_load_dword v52, v[24:25], off offset:2048
	global_load_dword v53, v[24:25], off offset:2304
	global_load_dword v54, v[24:25], off offset:2560
	global_load_dword v55, v[24:25], off offset:2816
	global_load_dword v56, v[24:25], off offset:3072
	global_load_dword v57, v[24:25], off offset:3328
	global_load_dword v58, v[24:25], off offset:3584
	s_nop 0
	global_load_dword v24, v[24:25], off offset:3840
	ds_read_b128 v[32:35], v8
	ds_read_b128 v[36:39], v8 offset:16
	ds_read_b128 v[40:43], v8 offset:32
	;; [unrolled: 1-line block ×3, first 2 shown]
	v_cmp_lt_i32_e64 s[4:5], v19, v18
	v_cndmask_b32_e64 v25, v17, v19, s[4:5]
	v_lshlrev_b32_e32 v25, 2, v25
	v_cmp_lt_i32_e64 s[4:5], v20, v18
	s_waitcnt vmcnt(15) lgkmcnt(3)
	v_mul_f32_e32 v23, v33, v23
	s_waitcnt vmcnt(14)
	v_fmac_f32_e32 v23, v32, v28
	s_waitcnt vmcnt(13)
	v_fmac_f32_e32 v23, v34, v29
	s_waitcnt vmcnt(12)
	v_fmac_f32_e32 v23, v35, v31
	s_waitcnt vmcnt(11) lgkmcnt(2)
	v_fmac_f32_e32 v23, v36, v48
	s_waitcnt vmcnt(10)
	v_fmac_f32_e32 v23, v37, v49
	s_waitcnt vmcnt(9)
	v_fmac_f32_e32 v23, v38, v50
	s_waitcnt vmcnt(8)
	v_fmac_f32_e32 v23, v39, v51
	s_waitcnt vmcnt(7) lgkmcnt(1)
	v_fmac_f32_e32 v23, v40, v52
	;; [unrolled: 8-line block ×3, first 2 shown]
	s_waitcnt vmcnt(2)
	v_fmac_f32_e32 v23, v45, v57
	s_waitcnt vmcnt(1)
	v_fmac_f32_e32 v23, v46, v58
	;; [unrolled: 2-line block ×3, first 2 shown]
	ds_bpermute_b32 v24, v25, v23
	v_cndmask_b32_e64 v25, v17, v20, s[4:5]
	v_lshlrev_b32_e32 v25, 2, v25
	v_cmp_lt_i32_e64 s[4:5], v21, v18
	s_waitcnt lgkmcnt(0)
	v_add_f32_e32 v23, v23, v24
	ds_bpermute_b32 v24, v25, v23
	v_cndmask_b32_e64 v25, v17, v21, s[4:5]
	v_lshlrev_b32_e32 v25, 2, v25
	s_waitcnt lgkmcnt(0)
	v_add_f32_e32 v23, v23, v24
	ds_bpermute_b32 v24, v25, v23
	s_and_saveexec_b64 s[44:45], vcc
	s_cbranch_execz .LBB12_12
; %bb.18:                               ;   in Loop: Header=BB12_14 Depth=1
	v_add_u32_e32 v25, v15, v13
	v_cvt_f32_i32_e32 v25, v25
	s_waitcnt lgkmcnt(0)
	v_add_f32_e32 v23, v23, v24
	v_add_u32_e32 v28, v5, v13
	v_cmp_gt_i32_e64 s[4:5], s29, v28
	v_mul_f32_e32 v24, s49, v25
	v_cndmask_b32_e64 v24, 0, v24, s[2:3]
	v_fmac_f32_e32 v24, s39, v23
	v_cndmask_b32_e64 v23, 0, v24, s[4:5]
	ds_write_b32 v14, v23
	v_max_f32_e32 v23, v11, v11
	v_max_f32_e32 v23, v23, v24
	v_cndmask_b32_e64 v11, v11, v23, s[4:5]
	s_branch .LBB12_12
.LBB12_19:
	s_or_b64 exec, exec, s[42:43]
.LBB12_20:
	s_or_b64 exec, exec, s[40:41]
	v_mbcnt_hi_u32_b32 v2, -1, v4
	v_and_b32_e32 v3, 64, v2
	v_add_u32_e32 v3, 64, v3
	v_xor_b32_e32 v4, 32, v2
	v_cmp_lt_i32_e32 vcc, v4, v3
	v_cndmask_b32_e32 v4, v2, v4, vcc
	v_lshlrev_b32_e32 v8, 2, v4
	ds_bpermute_b32 v4, v8, v11
	v_xor_b32_e32 v9, 16, v2
	v_max_f32_e32 v5, v11, v11
	v_cmp_lt_i32_e32 vcc, v9, v3
	v_and_b32_e32 v31, 63, v0
	s_waitcnt lgkmcnt(0)
	v_max_f32_e32 v4, v4, v4
	v_max_f32_e32 v4, v5, v4
	v_cndmask_b32_e32 v5, v2, v9, vcc
	v_lshlrev_b32_e32 v10, 2, v5
	ds_bpermute_b32 v5, v10, v4
	v_xor_b32_e32 v9, 8, v2
	v_cmp_lt_i32_e32 vcc, v9, v3
	s_waitcnt lgkmcnt(0)
	v_max_f32_e32 v5, v5, v5
	v_max_f32_e32 v4, v4, v5
	v_cndmask_b32_e32 v5, v2, v9, vcc
	v_lshlrev_b32_e32 v11, 2, v5
	ds_bpermute_b32 v9, v11, v4
	v_cmp_eq_u32_e32 vcc, 0, v31
	v_lshlrev_b32_e32 v5, 2, v7
	s_and_saveexec_b64 s[2:3], vcc
	s_cbranch_execz .LBB12_22
; %bb.21:
	s_waitcnt lgkmcnt(0)
	v_max_f32_e32 v9, v9, v9
	v_max_f32_e32 v4, v4, v4
	;; [unrolled: 1-line block ×3, first 2 shown]
	ds_write_b32 v5, v4 offset:512
.LBB12_22:
	s_or_b64 exec, exec, s[2:3]
	v_cmp_gt_u32_e64 s[2:3], 2, v31
	v_mov_b32_e32 v4, 0xff7fffff
	s_waitcnt lgkmcnt(0)
	v_lshlrev_b32_e32 v9, 2, v31
	s_barrier
	s_and_saveexec_b64 s[4:5], s[2:3]
	s_cbranch_execz .LBB12_24
; %bb.23:
	ds_read_b32 v4, v9 offset:512
.LBB12_24:
	s_or_b64 exec, exec, s[4:5]
	v_xor_b32_e32 v12, 1, v2
	v_cmp_lt_i32_e64 s[4:5], v12, v3
	v_cndmask_b32_e64 v12, v2, v12, s[4:5]
	v_lshlrev_b32_e32 v32, 2, v12
	s_waitcnt lgkmcnt(0)
	ds_bpermute_b32 v12, v32, v4
	v_max_f32_e32 v4, v4, v4
	s_sub_i32 s4, s47, s38
	s_lshl_b32 s4, s4, 3
	s_add_i32 s4, s4, s48
	s_waitcnt lgkmcnt(0)
	v_max_f32_e32 v12, v12, v12
	v_max_f32_e32 v4, v4, v12
	v_lshlrev_b32_e32 v12, 2, v2
	v_and_b32_e32 v12, 0x100, v12
	ds_bpermute_b32 v4, v12, v4
	s_min_i32 s42, s4, s29
	s_sub_i32 s15, s42, s48
	v_cmp_gt_i32_e64 s[4:5], s15, v0
	v_mov_b32_e32 v13, 0
	s_and_saveexec_b64 s[38:39], s[4:5]
	s_cbranch_execz .LBB12_28
; %bb.25:
	v_mov_b32_e32 v13, 0x210
	v_lshl_add_u32 v14, v0, 2, v13
	s_mov_b64 s[40:41], 0
	v_mov_b32_e32 v13, 0
	v_mov_b32_e32 v15, v0
.LBB12_26:                              ; =>This Inner Loop Header: Depth=1
	ds_read_b32 v16, v14
	v_add_u32_e32 v15, 0x80, v15
	v_cmp_le_i32_e64 s[10:11], s15, v15
	s_or_b64 s[40:41], s[10:11], s[40:41]
	s_waitcnt lgkmcnt(0)
	v_sub_f32_e32 v16, v16, v4
	v_mul_f32_e32 v16, 0x3fb8aa3b, v16
	v_exp_f32_e32 v16, v16
	ds_write_b32 v14, v16
	v_add_f32_e32 v13, v13, v16
	v_add_u32_e32 v14, 0x200, v14
	s_andn2_b64 exec, exec, s[40:41]
	s_cbranch_execnz .LBB12_26
; %bb.27:
	s_or_b64 exec, exec, s[40:41]
.LBB12_28:
	s_or_b64 exec, exec, s[38:39]
	ds_bpermute_b32 v8, v8, v13
	s_waitcnt lgkmcnt(0)
	v_add_f32_e32 v8, v13, v8
	ds_bpermute_b32 v10, v10, v8
	s_waitcnt lgkmcnt(0)
	v_add_f32_e32 v8, v8, v10
	ds_bpermute_b32 v10, v11, v8
	v_xor_b32_e32 v11, 4, v2
	v_cmp_lt_i32_e64 s[10:11], v11, v3
	v_cndmask_b32_e64 v11, v2, v11, s[10:11]
	v_lshlrev_b32_e32 v11, 2, v11
	s_waitcnt lgkmcnt(0)
	v_add_f32_e32 v8, v8, v10
	ds_bpermute_b32 v10, v11, v8
	v_xor_b32_e32 v11, 2, v2
	v_cmp_lt_i32_e64 s[10:11], v11, v3
	v_cndmask_b32_e64 v2, v2, v11, s[10:11]
	v_lshlrev_b32_e32 v2, 2, v2
	s_waitcnt lgkmcnt(0)
	v_add_f32_e32 v3, v8, v10
	ds_bpermute_b32 v2, v2, v3
	s_waitcnt lgkmcnt(0)
	v_add_f32_e32 v2, v3, v2
	ds_bpermute_b32 v3, v32, v2
	s_waitcnt lgkmcnt(0)
	v_add_f32_e32 v2, v2, v3
	s_and_saveexec_b64 s[10:11], vcc
	s_cbranch_execz .LBB12_30
; %bb.29:
	ds_write_b32 v5, v2 offset:520
.LBB12_30:
	s_or_b64 exec, exec, s[10:11]
	s_waitcnt lgkmcnt(0)
	s_barrier
	s_and_saveexec_b64 s[10:11], s[2:3]
	s_cbranch_execz .LBB12_32
; %bb.31:
	ds_read_b32 v2, v9 offset:520
.LBB12_32:
	s_or_b64 exec, exec, s[10:11]
	s_waitcnt lgkmcnt(0)
	ds_bpermute_b32 v3, v32, v2
	s_waitcnt lgkmcnt(0)
	v_add_f32_e32 v2, v2, v3
	ds_bpermute_b32 v5, v12, v2
	s_and_saveexec_b64 s[2:3], s[4:5]
	s_cbranch_execz .LBB12_45
; %bb.33:
	s_waitcnt lgkmcnt(0)
	v_add_f32_e32 v2, 0x358637bd, v5
	v_div_scale_f32 v3, s[4:5], v2, v2, 1.0
	v_rcp_f32_e32 v8, v3
	v_div_scale_f32 v9, vcc, 1.0, v2, 1.0
	s_movk_i32 s4, 0x7f
	v_fma_f32 v10, -v3, v8, 1.0
	v_fmac_f32_e32 v8, v10, v8
	v_mul_f32_e32 v10, v9, v8
	v_fma_f32 v11, -v3, v10, v9
	v_fmac_f32_e32 v10, v11, v8
	v_fma_f32 v3, -v3, v10, v9
	v_div_fmas_f32 v3, v3, v8, v10
	v_div_fixup_f32 v2, v3, v2, 1.0
	v_xad_u32 v3, v0, -1, s42
	v_subrev_u32_e32 v8, s48, v3
	v_cmp_lt_u32_e32 vcc, s4, v8
	s_mov_b64 s[10:11], -1
	v_mov_b32_e32 v3, v0
	s_and_saveexec_b64 s[4:5], vcc
	s_cbranch_execz .LBB12_42
; %bb.34:
	v_lshrrev_b32_e32 v8, 7, v8
	v_add_u32_e32 v10, -1, v8
	v_lshrrev_b32_e32 v9, 1, v10
	v_mov_b32_e32 v3, v2
	v_add_u32_e32 v9, 1, v9
	v_cmp_lt_u32_e32 vcc, 13, v10
	v_mov_b32_e32 v12, 0
	s_and_saveexec_b64 s[10:11], vcc
	s_cbranch_execz .LBB12_38
; %bb.35:
	v_mov_b32_e32 v11, 0x210
	v_and_b32_e32 v10, -8, v9
	v_lshl_add_u32 v11, v0, 2, v11
	s_mov_b32 s40, 0
	s_mov_b64 s[38:39], 0
.LBB12_36:                              ; =>This Inner Loop Header: Depth=1
	ds_read2st64_b32 v[12:13], v11 offset1:2
	ds_read2st64_b32 v[14:15], v11 offset0:4 offset1:6
	ds_read2st64_b32 v[16:17], v11 offset0:8 offset1:10
	;; [unrolled: 1-line block ×3, first 2 shown]
	v_add_u32_e32 v10, -8, v10
	s_waitcnt lgkmcnt(3)
	v_pk_mul_f32 v[12:13], v[2:3], v[12:13]
	s_waitcnt lgkmcnt(2)
	v_pk_mul_f32 v[14:15], v[2:3], v[14:15]
	ds_write2st64_b32 v11, v12, v13 offset1:2
	ds_write2st64_b32 v11, v14, v15 offset0:4 offset1:6
	ds_read2st64_b32 v[14:15], v11 offset0:16 offset1:18
	s_waitcnt lgkmcnt(4)
	v_pk_mul_f32 v[12:13], v[2:3], v[16:17]
	ds_write2st64_b32 v11, v12, v13 offset0:8 offset1:10
	s_waitcnt lgkmcnt(4)
	v_pk_mul_f32 v[12:13], v[2:3], v[18:19]
	ds_write2st64_b32 v11, v12, v13 offset0:12 offset1:14
	ds_read2st64_b32 v[12:13], v11 offset0:20 offset1:22
	s_waitcnt lgkmcnt(3)
	v_pk_mul_f32 v[14:15], v[2:3], v[14:15]
	ds_read2st64_b32 v[16:17], v11 offset0:24 offset1:26
	ds_write2st64_b32 v11, v14, v15 offset0:16 offset1:18
	ds_read2st64_b32 v[14:15], v11 offset0:28 offset1:30
	s_waitcnt lgkmcnt(3)
	v_pk_mul_f32 v[12:13], v[2:3], v[12:13]
	ds_write2st64_b32 v11, v12, v13 offset0:20 offset1:22
	s_waitcnt lgkmcnt(3)
	v_pk_mul_f32 v[12:13], v[2:3], v[16:17]
	ds_write2st64_b32 v11, v12, v13 offset0:24 offset1:26
	s_waitcnt lgkmcnt(2)
	v_pk_mul_f32 v[12:13], v[2:3], v[14:15]
	s_add_i32 s40, s40, 16
	v_cmp_eq_u32_e32 vcc, 0, v10
	ds_write2st64_b32 v11, v12, v13 offset0:28 offset1:30
	v_add_u32_e32 v11, 0x2000, v11
	s_or_b64 s[38:39], vcc, s[38:39]
	v_mov_b32_e32 v12, s40
	s_andn2_b64 exec, exec, s[38:39]
	s_cbranch_execnz .LBB12_36
; %bb.37:
	s_or_b64 exec, exec, s[38:39]
.LBB12_38:
	s_or_b64 exec, exec, s[10:11]
	v_and_b32_e32 v9, 7, v9
	v_cmp_ne_u32_e32 vcc, 0, v9
	s_and_saveexec_b64 s[10:11], vcc
	s_cbranch_execz .LBB12_41
; %bb.39:
	v_lshlrev_b32_e32 v10, 9, v12
	s_movk_i32 s38, 0x210
	v_add3_u32 v10, v10, v6, s38
	s_mov_b64 s[38:39], 0
.LBB12_40:                              ; =>This Inner Loop Header: Depth=1
	ds_read2st64_b32 v[12:13], v10 offset1:2
	v_add_u32_e32 v9, -1, v9
	v_cmp_eq_u32_e32 vcc, 0, v9
	s_or_b64 s[38:39], vcc, s[38:39]
	s_waitcnt lgkmcnt(0)
	v_pk_mul_f32 v[12:13], v[2:3], v[12:13]
	ds_write2st64_b32 v10, v12, v13 offset1:2
	v_add_u32_e32 v10, 0x400, v10
	s_andn2_b64 exec, exec, s[38:39]
	s_cbranch_execnz .LBB12_40
.LBB12_41:
	s_or_b64 exec, exec, s[10:11]
	v_add_u32_e32 v8, 1, v8
	v_and_b32_e32 v9, 0x3fffffe, v8
	v_cmp_ne_u32_e32 vcc, v8, v9
	v_lshl_add_u32 v3, v9, 7, v0
	s_orn2_b64 s[10:11], vcc, exec
.LBB12_42:
	s_or_b64 exec, exec, s[4:5]
	s_and_b64 exec, exec, s[10:11]
	s_cbranch_execz .LBB12_45
; %bb.43:
	v_mov_b32_e32 v8, 0x210
	v_lshl_add_u32 v8, v3, 2, v8
	s_mov_b64 s[4:5], 0
.LBB12_44:                              ; =>This Inner Loop Header: Depth=1
	ds_read_b32 v9, v8
	v_add_u32_e32 v3, 0x80, v3
	v_cmp_le_i32_e32 vcc, s15, v3
	s_or_b64 s[4:5], vcc, s[4:5]
	s_waitcnt lgkmcnt(0)
	v_mul_f32_e32 v9, v2, v9
	ds_write_b32 v8, v9
	v_add_u32_e32 v8, 0x200, v8
	s_andn2_b64 exec, exec, s[4:5]
	s_cbranch_execnz .LBB12_44
.LBB12_45:
	s_or_b64 exec, exec, s[2:3]
	s_mul_i32 s2, s16, s28
	v_cmp_eq_u32_e32 vcc, 0, v0
	s_mul_i32 s2, s2, s9
	s_waitcnt lgkmcnt(0)
	s_barrier
	s_and_saveexec_b64 s[4:5], vcc
	s_cbranch_execz .LBB12_47
; %bb.46:
	s_ashr_i32 s3, s2, 31
	s_lshl_b64 s[10:11], s[2:3], 2
	s_add_u32 s3, s22, s10
	s_mul_i32 s22, s16, s6
	s_addc_u32 s9, s23, s11
	s_ashr_i32 s23, s22, 31
	s_lshl_b64 s[22:23], s[22:23], 2
	s_add_u32 s3, s3, s22
	s_addc_u32 s6, s9, s23
	s_ashr_i32 s9, s8, 31
	s_lshl_b64 s[38:39], s[8:9], 2
	s_add_u32 s40, s3, s38
	s_addc_u32 s41, s6, s39
	s_add_u32 s3, s20, s10
	s_addc_u32 s6, s21, s11
	;; [unrolled: 2-line block ×3, first 2 shown]
	s_add_u32 s10, s3, s38
	v_mov_b32_e32 v2, 0
	s_addc_u32 s11, s6, s39
	global_store_dword v2, v4, s[40:41]
	global_store_dword v2, v5, s[10:11]
.LBB12_47:
	s_or_b64 exec, exec, s[4:5]
	v_mov_b32_e32 v5, 0
	v_and_b32_e32 v33, 1, v0
	v_mov_b32_e32 v4, 0
	v_mov_b32_e32 v3, 0
	;; [unrolled: 1-line block ×3, first 2 shown]
	s_and_saveexec_b64 s[4:5], s[0:1]
	s_cbranch_execz .LBB12_61
; %bb.48:
	s_ashr_i32 s15, s14, 31
	s_sub_i32 s3, s12, s17
	s_lshl_b64 s[0:1], s[14:15], 2
	s_add_u32 s0, s36, s0
	s_addc_u32 s1, s37, s1
	s_abs_i32 s9, s18
	v_cvt_f32_u32_e32 v2, s9
	s_sub_i32 s6, 0, s9
	v_lshlrev_b32_e32 v3, 4, v0
	v_and_b32_e32 v3, 0x3f0, v3
	v_rcp_iflag_f32_e32 v2, v2
	s_add_i32 s15, s7, -1
	v_add_co_u32_e32 v36, vcc, s0, v3
	v_mul_f32_e32 v2, 0x4f7ffffe, v2
	v_cvt_u32_f32_e32 v2, v2
	s_mov_b32 s20, 0
	s_mov_b32 s21, s20
	s_mov_b32 s22, s20
	v_mul_lo_u32 v4, s6, v2
	v_mul_hi_u32 v4, v2, v4
	v_add_u32_e32 v35, v2, v4
	v_mov_b32_e32 v2, s1
	s_lshl_b64 s[0:1], s[34:35], 2
	v_addc_co_u32_e32 v37, vcc, 0, v2, vcc
	v_lshlrev_b64 v[2:3], 2, v[26:27]
	s_add_u32 s0, s30, s0
	s_addc_u32 s1, s31, s1
	v_add_co_u32_e32 v28, vcc, s0, v2
	v_lshlrev_b32_e32 v2, 4, v33
	v_mov_b32_e32 v4, s1
	v_lshl_or_b32 v2, v7, 5, v2
	v_addc_co_u32_e32 v29, vcc, v4, v3, vcc
	v_add_u32_e32 v27, 0x210, v2
	s_mov_b32 s23, s20
	v_pk_mov_b32 v[2:3], s[20:21], s[20:21] op_sel:[0,1]
	v_and_b32_e32 v34, 4, v6
	s_mov_b32 s14, s13
	s_mov_b64 s[6:7], 0
	v_pk_mov_b32 v[4:5], s[22:23], s[22:23] op_sel:[0,1]
	s_branch .LBB12_51
.LBB12_49:                              ;   in Loop: Header=BB12_51 Depth=1
	s_or_b64 exec, exec, s[0:1]
	s_waitcnt vmcnt(3) lgkmcnt(0)
	v_mul_f32_e32 v11, v7, v11
	v_fmac_f32_e32 v11, v6, v10
	s_waitcnt vmcnt(2)
	v_mul_f32_e32 v10, v7, v15
	v_fmac_f32_e32 v10, v6, v14
	v_fmac_f32_e32 v10, v8, v16
	;; [unrolled: 1-line block ×3, first 2 shown]
	v_add_f32_e32 v3, v3, v10
	s_waitcnt vmcnt(1)
	v_mul_f32_e32 v10, v7, v19
	s_waitcnt vmcnt(0)
	v_mul_f32_e32 v7, v7, v23
	v_fmac_f32_e32 v10, v6, v18
	v_fmac_f32_e32 v7, v6, v22
	;; [unrolled: 1-line block ×8, first 2 shown]
	v_add_f32_e32 v2, v2, v11
	v_add_f32_e32 v4, v4, v10
	;; [unrolled: 1-line block ×3, first 2 shown]
.LBB12_50:                              ;   in Loop: Header=BB12_51 Depth=1
	s_or_b64 exec, exec, s[10:11]
	v_add_co_u32_e32 v28, vcc, 8, v28
	v_add_u32_e32 v26, 2, v26
	v_addc_co_u32_e32 v29, vcc, 0, v29, vcc
	v_cmp_le_i32_e32 vcc, s47, v26
	v_add_u32_e32 v30, 16, v30
	s_or_b64 s[6:7], vcc, s[6:7]
	v_add_u32_e32 v27, 64, v27
	s_andn2_b64 exec, exec, s[6:7]
	s_cbranch_execz .LBB12_60
.LBB12_51:                              ; =>This Inner Loop Header: Depth=1
	v_sub_u32_e32 v7, 0, v30
	v_max_i32_e32 v7, v30, v7
	v_mul_hi_u32 v8, v7, s33
	v_mul_lo_u32 v9, v8, s25
	v_sub_u32_e32 v7, v7, v9
	v_add_u32_e32 v9, 1, v8
	v_cmp_le_u32_e32 vcc, s25, v7
	v_cndmask_b32_e32 v8, v8, v9, vcc
	v_subrev_u32_e32 v9, s25, v7
	v_cndmask_b32_e32 v7, v7, v9, vcc
	v_ashrrev_i32_e32 v6, 31, v30
	v_add_u32_e32 v9, 1, v8
	v_cmp_le_u32_e32 vcc, s25, v7
	v_xor_b32_e32 v6, s19, v6
	v_cndmask_b32_e32 v7, v8, v9, vcc
	v_xor_b32_e32 v7, v7, v6
	v_sub_u32_e32 v6, v7, v6
	v_add_u32_e32 v7, s46, v6
	v_sub_u32_e32 v9, 0, v7
	v_ashrrev_i32_e32 v8, 31, v7
	v_max_i32_e32 v7, v7, v9
	v_mul_hi_u32 v9, v7, v35
	v_mul_lo_u32 v9, v9, s9
	v_sub_u32_e32 v7, v7, v9
	v_subrev_u32_e32 v9, s9, v7
	v_cmp_le_u32_e32 vcc, s9, v7
	v_cndmask_b32_e32 v7, v7, v9, vcc
	v_subrev_u32_e32 v9, s9, v7
	v_cmp_le_u32_e32 vcc, s9, v7
	v_cndmask_b32_e32 v7, v7, v9, vcc
	v_xor_b32_e32 v7, v7, v8
	v_sub_u32_e32 v7, v7, v8
	v_cmp_eq_u32_e32 vcc, 0, v7
	v_cmp_lt_i32_e64 s[0:1], s3, v6
	s_or_b64 s[0:1], vcc, s[0:1]
	s_and_saveexec_b64 s[10:11], s[0:1]
	s_cbranch_execz .LBB12_50
; %bb.52:                               ;   in Loop: Header=BB12_51 Depth=1
	global_load_dword v6, v[28:29], off
	v_add_u32_e32 v38, v34, v30
	v_add_u32_e32 v41, 1, v38
	;; [unrolled: 1-line block ×4, first 2 shown]
	s_waitcnt vmcnt(0)
	v_mad_i64_i32 v[6:7], s[0:1], v6, s14, 0
	v_lshlrev_b64 v[6:7], 2, v[6:7]
	v_add_co_u32_e32 v22, vcc, v36, v6
	v_addc_co_u32_e32 v23, vcc, v37, v7, vcc
	global_load_dwordx4 v[10:13], v[22:23], off
	ds_read_b128 v[6:9], v27
	v_cmp_eq_u32_e32 vcc, s15, v26
	s_and_saveexec_b64 s[12:13], vcc
	s_cbranch_execnz .LBB12_56
; %bb.53:                               ;   in Loop: Header=BB12_51 Depth=1
	s_or_b64 exec, exec, s[12:13]
	global_load_dwordx4 v[14:17], v[22:23], off offset:1024
	s_and_saveexec_b64 s[12:13], vcc
	s_cbranch_execnz .LBB12_57
.LBB12_54:                              ;   in Loop: Header=BB12_51 Depth=1
	s_or_b64 exec, exec, s[12:13]
	global_load_dwordx4 v[18:21], v[22:23], off offset:2048
	s_and_saveexec_b64 s[12:13], vcc
	s_cbranch_execnz .LBB12_58
.LBB12_55:                              ;   in Loop: Header=BB12_51 Depth=1
	s_or_b64 exec, exec, s[12:13]
	global_load_dwordx4 v[22:25], v[22:23], off offset:3072
	s_and_saveexec_b64 s[0:1], vcc
	s_cbranch_execz .LBB12_49
	s_branch .LBB12_59
.LBB12_56:                              ;   in Loop: Header=BB12_51 Depth=1
	v_cmp_gt_i32_e64 s[0:1], s29, v38
	s_waitcnt vmcnt(0)
	v_cndmask_b32_e64 v10, 0, v10, s[0:1]
	v_cmp_gt_i32_e64 s[0:1], s29, v41
	v_cndmask_b32_e64 v11, 0, v11, s[0:1]
	v_cmp_gt_i32_e64 s[0:1], s29, v40
	v_cndmask_b32_e64 v12, 0, v12, s[0:1]
	v_cmp_gt_i32_e64 s[0:1], s29, v39
	v_cndmask_b32_e64 v13, 0, v13, s[0:1]
	s_or_b64 exec, exec, s[12:13]
	global_load_dwordx4 v[14:17], v[22:23], off offset:1024
	s_and_saveexec_b64 s[12:13], vcc
	s_cbranch_execz .LBB12_54
.LBB12_57:                              ;   in Loop: Header=BB12_51 Depth=1
	v_cmp_gt_i32_e64 s[0:1], s29, v38
	s_waitcnt vmcnt(0)
	v_cndmask_b32_e64 v14, 0, v14, s[0:1]
	v_cmp_gt_i32_e64 s[0:1], s29, v41
	v_cndmask_b32_e64 v15, 0, v15, s[0:1]
	v_cmp_gt_i32_e64 s[0:1], s29, v40
	v_cndmask_b32_e64 v16, 0, v16, s[0:1]
	v_cmp_gt_i32_e64 s[0:1], s29, v39
	v_cndmask_b32_e64 v17, 0, v17, s[0:1]
	s_or_b64 exec, exec, s[12:13]
	global_load_dwordx4 v[18:21], v[22:23], off offset:2048
	s_and_saveexec_b64 s[12:13], vcc
	s_cbranch_execz .LBB12_55
.LBB12_58:                              ;   in Loop: Header=BB12_51 Depth=1
	v_cmp_gt_i32_e64 s[0:1], s29, v38
	s_waitcnt vmcnt(0)
	v_cndmask_b32_e64 v18, 0, v18, s[0:1]
	v_cmp_gt_i32_e64 s[0:1], s29, v41
	v_cndmask_b32_e64 v19, 0, v19, s[0:1]
	v_cmp_gt_i32_e64 s[0:1], s29, v40
	;; [unrolled: 2-line block ×3, first 2 shown]
	v_cndmask_b32_e64 v21, 0, v21, s[0:1]
	s_or_b64 exec, exec, s[12:13]
	global_load_dwordx4 v[22:25], v[22:23], off offset:3072
	s_and_saveexec_b64 s[0:1], vcc
	s_cbranch_execz .LBB12_49
.LBB12_59:                              ;   in Loop: Header=BB12_51 Depth=1
	v_cmp_gt_i32_e32 vcc, s29, v38
	s_waitcnt vmcnt(0)
	v_cndmask_b32_e32 v22, 0, v22, vcc
	v_cmp_gt_i32_e32 vcc, s29, v41
	v_cndmask_b32_e32 v23, 0, v23, vcc
	v_cmp_gt_i32_e32 vcc, s29, v40
	;; [unrolled: 2-line block ×3, first 2 shown]
	v_cndmask_b32_e32 v25, 0, v25, vcc
	s_branch .LBB12_49
.LBB12_60:
	s_or_b64 exec, exec, s[6:7]
.LBB12_61:
	s_or_b64 exec, exec, s[4:5]
	ds_bpermute_b32 v6, v32, v2
	ds_bpermute_b32 v7, v32, v3
	;; [unrolled: 1-line block ×4, first 2 shown]
	s_waitcnt lgkmcnt(0)
	s_barrier
	v_pk_add_f32 v[2:3], v[2:3], v[6:7]
	v_and_b32_e32 v6, 0x3c1, v0
	v_pk_add_f32 v[4:5], v[4:5], v[8:9]
	v_cmp_eq_u32_e32 vcc, 64, v6
	s_and_saveexec_b64 s[0:1], vcc
	s_cbranch_execz .LBB12_63
; %bb.62:
	v_mov_b32_e32 v7, 0x210
	v_lshl_add_u32 v7, v31, 1, v7
	ds_write2_b32 v7, v2, v3 offset1:32
	ds_write2_b32 v7, v4, v5 offset0:64 offset1:96
.LBB12_63:
	s_or_b64 exec, exec, s[0:1]
	v_cmp_gt_u32_e32 vcc, 64, v0
	s_waitcnt lgkmcnt(0)
	s_barrier
	s_and_saveexec_b64 s[0:1], vcc
	s_cbranch_execz .LBB12_70
; %bb.64:
	v_cmp_eq_u32_e32 vcc, 0, v33
	s_and_saveexec_b64 s[4:5], vcc
	s_cbranch_execnz .LBB12_73
; %bb.65:
	s_or_b64 exec, exec, s[4:5]
	s_and_saveexec_b64 s[4:5], vcc
	s_cbranch_execnz .LBB12_74
.LBB12_66:
	s_or_b64 exec, exec, s[4:5]
	s_and_saveexec_b64 s[4:5], vcc
	s_cbranch_execnz .LBB12_75
.LBB12_67:
	s_or_b64 exec, exec, s[4:5]
	s_and_saveexec_b64 s[4:5], vcc
	s_cbranch_execz .LBB12_69
.LBB12_68:
	v_mov_b32_e32 v7, 0x210
	v_lshl_add_u32 v1, v1, 2, v7
	ds_read_b32 v1, v1 offset:384
	s_waitcnt lgkmcnt(0)
	v_add_f32_e32 v5, v5, v1
.LBB12_69:
	s_or_b64 exec, exec, s[4:5]
.LBB12_70:
	s_or_b64 exec, exec, s[0:1]
	v_cmp_eq_u32_e32 vcc, 0, v6
	s_barrier
	s_and_saveexec_b64 s[0:1], vcc
	s_cbranch_execz .LBB12_72
; %bb.71:
	s_lshl_b32 s0, s2, 7
	s_ashr_i32 s1, s0, 31
	s_lshl_b64 s[0:1], s[0:1], 2
	s_add_u32 s2, s26, s0
	s_mul_i32 s0, s16, s24
	s_addc_u32 s3, s27, s1
	s_ashr_i32 s1, s0, 31
	s_lshl_b64 s[0:1], s[0:1], 2
	s_add_u32 s2, s2, s0
	s_addc_u32 s3, s3, s1
	s_lshl_b32 s0, s8, 7
	s_ashr_i32 s1, s0, 31
	s_lshl_b64 s[0:1], s[0:1], 2
	s_add_u32 s0, s2, s0
	s_addc_u32 s1, s3, s1
	v_lshlrev_b32_e32 v0, 1, v0
	global_store_dword v0, v2, s[0:1]
	global_store_dword v0, v3, s[0:1] offset:128
	global_store_dword v0, v4, s[0:1] offset:256
	;; [unrolled: 1-line block ×3, first 2 shown]
.LBB12_72:
	s_endpgm
.LBB12_73:
	v_mov_b32_e32 v7, 0x210
	v_lshl_add_u32 v7, v1, 2, v7
	ds_read_b32 v7, v7
	s_waitcnt lgkmcnt(0)
	v_add_f32_e32 v2, v2, v7
	s_or_b64 exec, exec, s[4:5]
	s_and_saveexec_b64 s[4:5], vcc
	s_cbranch_execz .LBB12_66
.LBB12_74:
	v_mov_b32_e32 v7, 0x210
	v_lshl_add_u32 v7, v1, 2, v7
	ds_read_b32 v7, v7 offset:128
	s_waitcnt lgkmcnt(0)
	v_add_f32_e32 v3, v3, v7
	s_or_b64 exec, exec, s[4:5]
	s_and_saveexec_b64 s[4:5], vcc
	s_cbranch_execz .LBB12_67
.LBB12_75:
	v_mov_b32_e32 v7, 0x210
	v_lshl_add_u32 v7, v1, 2, v7
	ds_read_b32 v7, v7 offset:256
	s_waitcnt lgkmcnt(0)
	v_add_f32_e32 v4, v4, v7
	s_or_b64 exec, exec, s[4:5]
	s_and_saveexec_b64 s[4:5], vcc
	s_cbranch_execnz .LBB12_68
	s_branch .LBB12_69
	.section	.rodata,"a",@progbits
	.p2align	6, 0x0
	.amdhsa_kernel _ZN4vllm25paged_attention_v2_kernelIffLi128ELi8ELi128ELNS_18Fp8KVCacheDataTypeE0ELb1ELi512EEEvPfS2_PT_PKS3_PKT0_S9_ifPKiSB_iPKfiiiSD_SD_iiiii
		.amdhsa_group_segment_fixed_size 528
		.amdhsa_private_segment_fixed_size 0
		.amdhsa_kernarg_size 400
		.amdhsa_user_sgpr_count 6
		.amdhsa_user_sgpr_private_segment_buffer 1
		.amdhsa_user_sgpr_dispatch_ptr 0
		.amdhsa_user_sgpr_queue_ptr 0
		.amdhsa_user_sgpr_kernarg_segment_ptr 1
		.amdhsa_user_sgpr_dispatch_id 0
		.amdhsa_user_sgpr_flat_scratch_init 0
		.amdhsa_user_sgpr_kernarg_preload_length 0
		.amdhsa_user_sgpr_kernarg_preload_offset 0
		.amdhsa_user_sgpr_private_segment_size 0
		.amdhsa_uses_dynamic_stack 0
		.amdhsa_system_sgpr_private_segment_wavefront_offset 0
		.amdhsa_system_sgpr_workgroup_id_x 1
		.amdhsa_system_sgpr_workgroup_id_y 1
		.amdhsa_system_sgpr_workgroup_id_z 1
		.amdhsa_system_sgpr_workgroup_info 0
		.amdhsa_system_vgpr_workitem_id 0
		.amdhsa_next_free_vgpr 59
		.amdhsa_next_free_sgpr 52
		.amdhsa_accum_offset 60
		.amdhsa_reserve_vcc 1
		.amdhsa_reserve_flat_scratch 0
		.amdhsa_float_round_mode_32 0
		.amdhsa_float_round_mode_16_64 0
		.amdhsa_float_denorm_mode_32 3
		.amdhsa_float_denorm_mode_16_64 3
		.amdhsa_dx10_clamp 1
		.amdhsa_ieee_mode 1
		.amdhsa_fp16_overflow 0
		.amdhsa_tg_split 0
		.amdhsa_exception_fp_ieee_invalid_op 0
		.amdhsa_exception_fp_denorm_src 0
		.amdhsa_exception_fp_ieee_div_zero 0
		.amdhsa_exception_fp_ieee_overflow 0
		.amdhsa_exception_fp_ieee_underflow 0
		.amdhsa_exception_fp_ieee_inexact 0
		.amdhsa_exception_int_div_zero 0
	.end_amdhsa_kernel
	.section	.text._ZN4vllm25paged_attention_v2_kernelIffLi128ELi8ELi128ELNS_18Fp8KVCacheDataTypeE0ELb1ELi512EEEvPfS2_PT_PKS3_PKT0_S9_ifPKiSB_iPKfiiiSD_SD_iiiii,"axG",@progbits,_ZN4vllm25paged_attention_v2_kernelIffLi128ELi8ELi128ELNS_18Fp8KVCacheDataTypeE0ELb1ELi512EEEvPfS2_PT_PKS3_PKT0_S9_ifPKiSB_iPKfiiiSD_SD_iiiii,comdat
.Lfunc_end12:
	.size	_ZN4vllm25paged_attention_v2_kernelIffLi128ELi8ELi128ELNS_18Fp8KVCacheDataTypeE0ELb1ELi512EEEvPfS2_PT_PKS3_PKT0_S9_ifPKiSB_iPKfiiiSD_SD_iiiii, .Lfunc_end12-_ZN4vllm25paged_attention_v2_kernelIffLi128ELi8ELi128ELNS_18Fp8KVCacheDataTypeE0ELb1ELi512EEEvPfS2_PT_PKS3_PKT0_S9_ifPKiSB_iPKfiiiSD_SD_iiiii
                                        ; -- End function
	.section	.AMDGPU.csdata,"",@progbits
; Kernel info:
; codeLenInByte = 4884
; NumSgprs: 56
; NumVgprs: 59
; NumAgprs: 0
; TotalNumVgprs: 59
; ScratchSize: 0
; MemoryBound: 0
; FloatMode: 240
; IeeeMode: 1
; LDSByteSize: 528 bytes/workgroup (compile time only)
; SGPRBlocks: 6
; VGPRBlocks: 7
; NumSGPRsForWavesPerEU: 56
; NumVGPRsForWavesPerEU: 59
; AccumOffset: 60
; Occupancy: 8
; WaveLimiterHint : 1
; COMPUTE_PGM_RSRC2:SCRATCH_EN: 0
; COMPUTE_PGM_RSRC2:USER_SGPR: 6
; COMPUTE_PGM_RSRC2:TRAP_HANDLER: 0
; COMPUTE_PGM_RSRC2:TGID_X_EN: 1
; COMPUTE_PGM_RSRC2:TGID_Y_EN: 1
; COMPUTE_PGM_RSRC2:TGID_Z_EN: 1
; COMPUTE_PGM_RSRC2:TIDIG_COMP_CNT: 0
; COMPUTE_PGM_RSRC3_GFX90A:ACCUM_OFFSET: 14
; COMPUTE_PGM_RSRC3_GFX90A:TG_SPLIT: 0
	.section	.text._ZN4vllm32paged_attention_v2_reduce_kernelIfLi128ELi128ELi512EEEvPT_PKfS4_PKS1_PKii,"axG",@progbits,_ZN4vllm32paged_attention_v2_reduce_kernelIfLi128ELi128ELi512EEEvPT_PKfS4_PKS1_PKii,comdat
	.protected	_ZN4vllm32paged_attention_v2_reduce_kernelIfLi128ELi128ELi512EEEvPT_PKfS4_PKS1_PKii ; -- Begin function _ZN4vllm32paged_attention_v2_reduce_kernelIfLi128ELi128ELi512EEEvPT_PKfS4_PKS1_PKii
	.globl	_ZN4vllm32paged_attention_v2_reduce_kernelIfLi128ELi128ELi512EEEvPT_PKfS4_PKS1_PKii
	.p2align	8
	.type	_ZN4vllm32paged_attention_v2_reduce_kernelIfLi128ELi128ELi512EEEvPT_PKfS4_PKS1_PKii,@function
_ZN4vllm32paged_attention_v2_reduce_kernelIfLi128ELi128ELi512EEEvPT_PKfS4_PKS1_PKii: ; @_ZN4vllm32paged_attention_v2_reduce_kernelIfLi128ELi128ELi512EEEvPT_PKfS4_PKS1_PKii
; %bb.0:
	s_load_dwordx4 s[8:11], s[4:5], 0x18
	s_add_u32 s12, s4, 48
	s_mov_b32 s14, s7
	s_addc_u32 s13, s5, 0
	s_ashr_i32 s15, s7, 31
	s_lshl_b64 s[0:1], s[14:15], 2
	s_waitcnt lgkmcnt(0)
	s_add_u32 s0, s10, s0
	s_addc_u32 s1, s11, s1
	s_load_dword s24, s[0:1], 0x0
	s_load_dwordx2 s[10:11], s[4:5], 0x0
	s_load_dword s7, s[4:5], 0x28
	s_load_dword s15, s[4:5], 0x30
	s_waitcnt lgkmcnt(0)
	s_add_i32 s0, s24, -1
	s_cmpk_gt_u32 s0, 0x1ff
	s_mov_b64 s[0:1], -1
	s_cbranch_scc0 .LBB13_25
; %bb.1:
	s_add_i32 s0, s24, 0x1ff
	s_load_dwordx2 s[20:21], s[4:5], 0x8
	s_ashr_i32 s1, s0, 31
	s_lshr_b32 s1, s1, 23
	s_add_i32 s0, s0, s1
	s_mul_i32 s22, s15, s14
	s_ashr_i32 s23, s0, 9
	s_mul_i32 s16, s22, s7
	s_mul_i32 s18, s6, s7
	s_ashr_i32 s17, s16, 31
	s_ashr_i32 s19, s18, 31
	v_cmp_gt_i32_e32 vcc, s23, v0
	v_mov_b32_e32 v4, 0xff7fffff
	s_and_saveexec_b64 s[2:3], vcc
	s_cbranch_execz .LBB13_5
; %bb.2:
	s_load_dword s25, s[12:13], 0xc
	s_load_dwordx2 s[0:1], s[4:5], 0x10
	s_lshl_b64 s[4:5], s[16:17], 2
	s_lshl_b64 s[26:27], s[18:19], 2
	v_lshlrev_b32_e32 v1, 2, v0
	s_waitcnt lgkmcnt(0)
	s_and_b32 s25, s25, 0xffff
	s_add_u32 s4, s4, s26
	s_addc_u32 s5, s5, s27
	s_add_u32 s0, s0, s4
	s_addc_u32 s1, s1, s5
	s_mov_b32 s28, 0
	v_mov_b32_e32 v3, s1
	v_add_co_u32_e64 v2, s[0:1], s0, v1
	v_addc_co_u32_e64 v3, s[0:1], 0, v3, s[0:1]
	s_lshl_b32 s26, s25, 2
	v_add_u32_e32 v1, 16, v1
	s_mov_b64 s[4:5], 0
	v_mov_b32_e32 v4, 0xff7fffff
	v_mov_b32_e32 v5, s28
	;; [unrolled: 1-line block ×3, first 2 shown]
.LBB13_3:                               ; =>This Inner Loop Header: Depth=1
	global_load_dword v7, v[2:3], off
	v_add_co_u32_e64 v2, s[0:1], s26, v2
	v_add_u32_e32 v6, s25, v6
	v_addc_co_u32_e64 v3, s[0:1], v3, v5, s[0:1]
	v_max_f32_e32 v4, v4, v4
	v_cmp_le_i32_e64 s[0:1], s23, v6
	s_or_b64 s[4:5], s[0:1], s[4:5]
	s_waitcnt vmcnt(0)
	ds_write_b32 v1, v7
	v_max_f32_e32 v7, v7, v7
	v_add_u32_e32 v1, s26, v1
	v_max_f32_e32 v4, v4, v7
	s_andn2_b64 exec, exec, s[4:5]
	s_cbranch_execnz .LBB13_3
; %bb.4:
	s_or_b64 exec, exec, s[4:5]
.LBB13_5:
	s_or_b64 exec, exec, s[2:3]
	v_mbcnt_lo_u32_b32 v1, -1, 0
	v_mbcnt_hi_u32_b32 v2, -1, v1
	v_and_b32_e32 v1, 64, v2
	v_add_u32_e32 v5, 64, v1
	v_xor_b32_e32 v1, 32, v2
	v_cmp_lt_i32_e64 s[0:1], v1, v5
	v_cndmask_b32_e64 v1, v2, v1, s[0:1]
	v_lshlrev_b32_e32 v1, 2, v1
	ds_bpermute_b32 v3, v1, v4
	v_xor_b32_e32 v6, 16, v2
	v_max_f32_e32 v4, v4, v4
	v_cmp_lt_i32_e64 s[0:1], v6, v5
	v_xor_b32_e32 v7, 8, v2
	s_waitcnt lgkmcnt(0)
	v_max_f32_e32 v3, v3, v3
	v_max_f32_e32 v3, v4, v3
	v_cndmask_b32_e64 v4, v2, v6, s[0:1]
	v_lshlrev_b32_e32 v4, 2, v4
	ds_bpermute_b32 v6, v4, v3
	v_cmp_lt_i32_e64 s[0:1], v7, v5
	v_xor_b32_e32 v8, 4, v2
	v_xor_b32_e32 v9, 2, v2
	v_lshrrev_b32_e32 v12, 6, v0
	s_waitcnt lgkmcnt(0)
	v_max_f32_e32 v6, v6, v6
	v_max_f32_e32 v3, v3, v6
	v_cndmask_b32_e64 v6, v2, v7, s[0:1]
	v_lshlrev_b32_e32 v6, 2, v6
	ds_bpermute_b32 v7, v6, v3
	v_cmp_lt_i32_e64 s[0:1], v8, v5
	s_waitcnt lgkmcnt(0)
	s_barrier
	v_max_f32_e32 v7, v7, v7
	v_max_f32_e32 v3, v3, v7
	v_cndmask_b32_e64 v7, v2, v8, s[0:1]
	v_lshlrev_b32_e32 v7, 2, v7
	ds_bpermute_b32 v8, v7, v3
	v_cmp_lt_i32_e64 s[0:1], v9, v5
	s_waitcnt lgkmcnt(0)
	v_max_f32_e32 v8, v8, v8
	v_max_f32_e32 v10, v3, v8
	v_cndmask_b32_e64 v3, v2, v9, s[0:1]
	v_lshlrev_b32_e32 v8, 2, v3
	ds_bpermute_b32 v9, v8, v10
	v_and_b32_e32 v3, 63, v0
	s_waitcnt lgkmcnt(0)
	v_max_f32_e32 v9, v9, v9
	v_max_f32_e32 v10, v10, v9
	v_xor_b32_e32 v9, 1, v2
	v_cmp_lt_i32_e64 s[0:1], v9, v5
	v_cndmask_b32_e64 v5, v2, v9, s[0:1]
	v_lshlrev_b32_e32 v5, 2, v5
	ds_bpermute_b32 v11, v5, v10
	v_cmp_eq_u32_e64 s[0:1], 0, v3
	v_lshlrev_b32_e32 v9, 2, v12
	s_and_saveexec_b64 s[2:3], s[0:1]
	s_cbranch_execz .LBB13_7
; %bb.6:
	s_waitcnt lgkmcnt(0)
	v_max_f32_e32 v11, v11, v11
	v_max_f32_e32 v10, v10, v10
	v_max_f32_e32 v10, v10, v11
	ds_write_b32 v9, v10
.LBB13_7:
	s_or_b64 exec, exec, s[2:3]
	v_cmp_gt_u32_e64 s[2:3], 2, v3
	s_waitcnt lgkmcnt(0)
	v_mov_b32_e32 v11, 0xff7fffff
	v_lshlrev_b32_e32 v10, 2, v3
	s_barrier
	s_and_saveexec_b64 s[4:5], s[2:3]
	s_cbranch_execz .LBB13_9
; %bb.8:
	ds_read_b32 v11, v10
.LBB13_9:
	s_or_b64 exec, exec, s[4:5]
	s_waitcnt lgkmcnt(0)
	ds_bpermute_b32 v3, v5, v11
	v_max_f32_e32 v11, v11, v11
	v_lshlrev_b32_e32 v2, 2, v2
	s_lshl_b32 s25, s23, 2
	v_mov_b32_e32 v13, 0
	s_waitcnt lgkmcnt(0)
	v_max_f32_e32 v3, v3, v3
	v_max_f32_e32 v3, v11, v3
	v_and_b32_e32 v11, 0x100, v2
	ds_bpermute_b32 v12, v11, v3
	s_and_saveexec_b64 s[4:5], vcc
	s_cbranch_execz .LBB13_13
; %bb.10:
	s_load_dword s30, s[12:13], 0xc
	s_lshl_b64 s[26:27], s[16:17], 2
	s_lshl_b64 s[28:29], s[18:19], 2
	v_lshlrev_b32_e32 v13, 2, v0
	s_mov_b32 s31, 0
	s_waitcnt lgkmcnt(0)
	s_and_b32 s17, s30, 0xffff
	s_add_u32 s19, s26, s28
	s_addc_u32 s26, s27, s29
	s_add_u32 s19, s20, s19
	s_addc_u32 s20, s21, s26
	v_mov_b32_e32 v3, s20
	v_add_co_u32_e32 v2, vcc, s19, v13
	v_addc_co_u32_e32 v3, vcc, 0, v3, vcc
	s_lshl_b32 s19, s17, 2
	v_add_u32_e32 v14, 16, v13
	s_mov_b64 s[20:21], 0
	v_mov_b32_e32 v13, 0
	s_mov_b32 s26, 0x3fb8aa3b
	s_mov_b32 s27, 0xc2ce8ed0
	;; [unrolled: 1-line block ×3, first 2 shown]
	v_mov_b32_e32 v15, 0x7f800000
	v_mov_b32_e32 v16, s31
	v_mov_b32_e32 v17, v0
.LBB13_11:                              ; =>This Inner Loop Header: Depth=1
	global_load_dword v18, v[2:3], off
	ds_read_b32 v19, v14
	v_add_co_u32_e32 v2, vcc, s19, v2
	v_add_u32_e32 v17, s17, v17
	v_addc_co_u32_e32 v3, vcc, v3, v16, vcc
	s_waitcnt lgkmcnt(0)
	v_sub_f32_e32 v19, v19, v12
	v_mul_f32_e32 v21, 0x3fb8aa3b, v19
	v_fma_f32 v22, v19, s26, -v21
	v_rndne_f32_e32 v23, v21
	v_fmac_f32_e32 v22, 0x32a5705f, v19
	v_sub_f32_e32 v21, v21, v23
	v_add_f32_e32 v21, v21, v22
	v_cvt_i32_f32_e32 v23, v23
	v_exp_f32_e32 v21, v21
	v_cmp_le_i32_e32 vcc, s23, v17
	s_or_b64 s[20:21], vcc, s[20:21]
	v_cmp_ngt_f32_e32 vcc, s27, v19
	v_ldexp_f32 v21, v21, v23
	v_cndmask_b32_e32 v21, 0, v21, vcc
	v_cmp_nlt_f32_e32 vcc, s28, v19
	v_cndmask_b32_e32 v19, v15, v21, vcc
	v_add_u32_e32 v20, s25, v14
	v_add_u32_e32 v14, s19, v14
	s_waitcnt vmcnt(0)
	v_mul_f32_e32 v21, v18, v19
	v_fmac_f32_e32 v13, v18, v19
	ds_write_b32 v20, v21
	s_andn2_b64 exec, exec, s[20:21]
	s_cbranch_execnz .LBB13_11
; %bb.12:
	s_or_b64 exec, exec, s[20:21]
.LBB13_13:
	s_or_b64 exec, exec, s[4:5]
	ds_bpermute_b32 v1, v1, v13
	s_waitcnt lgkmcnt(0)
	s_barrier
	v_add_f32_e32 v1, v13, v1
	ds_bpermute_b32 v2, v4, v1
	s_waitcnt lgkmcnt(0)
	v_add_f32_e32 v1, v1, v2
	ds_bpermute_b32 v2, v6, v1
	s_waitcnt lgkmcnt(0)
	;; [unrolled: 3-line block ×5, first 2 shown]
	v_add_f32_e32 v1, v1, v2
	s_and_saveexec_b64 s[4:5], s[0:1]
	s_cbranch_execz .LBB13_15
; %bb.14:
	ds_write_b32 v9, v1 offset:8
.LBB13_15:
	s_or_b64 exec, exec, s[4:5]
	s_waitcnt lgkmcnt(0)
	s_barrier
	s_and_saveexec_b64 s[0:1], s[2:3]
	s_cbranch_execz .LBB13_17
; %bb.16:
	ds_read_b32 v1, v10 offset:8
.LBB13_17:
	s_or_b64 exec, exec, s[0:1]
	s_waitcnt lgkmcnt(0)
	ds_bpermute_b32 v2, v5, v1
	s_movk_i32 s0, 0x80
	v_cmp_gt_u32_e32 vcc, s0, v0
	s_waitcnt lgkmcnt(0)
	v_add_f32_e32 v1, v1, v2
	ds_bpermute_b32 v2, v11, v1
	s_and_saveexec_b64 s[0:1], vcc
	s_cbranch_execz .LBB13_24
; %bb.18:
	s_cmp_gt_i32 s24, 0
	s_mov_b32 s4, 0
	s_cbranch_scc1 .LBB13_20
; %bb.19:
	v_mov_b32_e32 v1, 0
	v_mov_b32_e32 v4, s4
	s_cbranch_execz .LBB13_21
	s_branch .LBB13_23
.LBB13_20:
                                        ; implicit-def: $sgpr4
	v_mov_b32_e32 v4, s4
.LBB13_21:
	s_waitcnt lgkmcnt(0)
	v_add_f32_e32 v1, 0x358637bd, v2
	v_div_scale_f32 v2, s[2:3], v1, v1, 1.0
	v_rcp_f32_e32 v3, v2
	s_lshl_b32 s4, s16, 7
	s_lshl_b32 s16, s18, 7
	s_ashr_i32 s5, s4, 31
	v_fma_f32 v4, -v2, v3, 1.0
	v_fmac_f32_e32 v3, v4, v3
	v_div_scale_f32 v4, vcc, 1.0, v1, 1.0
	v_mul_f32_e32 v5, v4, v3
	s_ashr_i32 s17, s16, 31
	s_max_i32 s2, s23, 1
	v_fma_f32 v6, -v2, v5, v4
	s_add_i32 s3, s25, 16
	s_lshl_b64 s[4:5], s[4:5], 2
	s_lshl_b64 s[16:17], s[16:17], 2
	v_fmac_f32_e32 v5, v6, v3
	s_add_u32 s4, s4, s16
	v_fma_f32 v2, -v2, v5, v4
	s_addc_u32 s5, s5, s17
	v_div_fmas_f32 v2, v2, v3, v5
	s_add_u32 s4, s8, s4
	v_div_fixup_f32 v5, v2, v1, 1.0
	v_lshlrev_b32_e32 v2, 2, v0
	s_addc_u32 s5, s9, s5
	v_mov_b32_e32 v1, 0
	v_mov_b32_e32 v3, s5
	v_add_co_u32_e32 v2, vcc, s4, v2
	v_addc_co_u32_e32 v3, vcc, 0, v3, vcc
	v_mov_b32_e32 v4, v1
.LBB13_22:                              ; =>This Inner Loop Header: Depth=1
	global_load_dword v6, v[2:3], off
	v_mov_b32_e32 v7, s3
	ds_read_b32 v7, v7
	s_add_i32 s2, s2, -1
	v_add_co_u32_e32 v2, vcc, 0x200, v2
	s_add_i32 s3, s3, 4
	v_addc_co_u32_e32 v3, vcc, 0, v3, vcc
	s_cmp_eq_u32 s2, 0
	s_waitcnt vmcnt(0) lgkmcnt(0)
	v_mul_f32_e32 v6, v6, v7
	v_fmac_f32_e32 v4, v5, v6
	s_cbranch_scc0 .LBB13_22
.LBB13_23:
	s_lshl_b32 s2, s22, 7
	s_ashr_i32 s3, s2, 31
	s_lshl_b64 s[2:3], s[2:3], 2
	s_add_u32 s4, s10, s2
	s_addc_u32 s5, s11, s3
	s_lshl_b32 s2, s6, 7
	s_ashr_i32 s3, s2, 31
	s_lshl_b64 s[2:3], s[2:3], 2
	s_add_u32 s2, s4, s2
	s_addc_u32 s3, s5, s3
	s_waitcnt lgkmcnt(0)
	v_lshlrev_b64 v[2:3], 2, v[0:1]
	v_mov_b32_e32 v1, s3
	v_add_co_u32_e32 v2, vcc, s2, v2
	v_addc_co_u32_e32 v3, vcc, v1, v3, vcc
	global_store_dword v[2:3], v4, off
.LBB13_24:
	s_or_b64 exec, exec, s[0:1]
	s_mov_b64 s[0:1], 0
.LBB13_25:
	s_and_b64 vcc, exec, s[0:1]
	s_cbranch_vccz .LBB13_34
; %bb.26:
	s_movk_i32 s0, 0x80
	v_cmp_gt_u32_e32 vcc, s0, v0
	s_and_saveexec_b64 s[2:3], vcc
	s_cbranch_execz .LBB13_34
; %bb.27:
	s_mul_i32 s15, s15, s14
	s_lshl_b32 s2, s15, 7
	s_ashr_i32 s3, s2, 31
	s_lshl_b64 s[2:3], s[2:3], 2
	s_add_u32 s1, s10, s2
	s_addc_u32 s5, s11, s3
	s_lshl_b32 s2, s6, 7
	s_ashr_i32 s3, s2, 31
	s_lshl_b64 s[2:3], s[2:3], 2
	s_add_u32 s4, s1, s2
	s_mul_i32 s1, s7, s15
	s_addc_u32 s10, s5, s3
	s_lshl_b32 s2, s1, 7
	s_ashr_i32 s3, s2, 31
	s_lshl_b64 s[2:3], s[2:3], 2
	s_add_u32 s1, s8, s2
	s_mul_i32 s6, s6, s7
	s_addc_u32 s8, s9, s3
	s_lshl_b32 s2, s6, 7
	s_load_dword s6, s[12:13], 0xc
	s_ashr_i32 s3, s2, 31
	s_lshl_b64 s[2:3], s[2:3], 2
	s_add_u32 s5, s1, s2
	s_addc_u32 s7, s8, s3
	s_waitcnt lgkmcnt(0)
	s_and_b32 s6, s6, 0xffff
	v_cvt_f32_u32_e32 v1, s6
	v_add_u32_e32 v2, s6, v0
	v_mov_b32_e32 v4, s6
	v_cmp_gt_u32_e32 vcc, s0, v2
	v_rcp_iflag_f32_e32 v1, v1
	s_cmp_eq_u32 s6, 1
	v_max_u32_e32 v3, 0x80, v2
	v_addc_co_u32_e64 v2, s[0:1], v0, v4, vcc
	v_mul_f32_e32 v1, 0x4f7ffffe, v1
	v_cvt_u32_f32_e32 v1, v1
	s_cselect_b64 s[2:3], -1, 0
	s_sub_i32 s0, 0, s6
	v_sub_u32_e32 v2, v3, v2
	v_mul_lo_u32 v3, s0, v1
	v_mul_hi_u32 v3, v1, v3
	v_add_u32_e32 v1, v1, v3
	v_mul_hi_u32 v1, v2, v1
	v_mul_lo_u32 v3, v1, s6
	v_sub_u32_e32 v2, v2, v3
	v_add_u32_e32 v3, 1, v1
	v_cmp_le_u32_e64 s[0:1], s6, v2
	v_cndmask_b32_e64 v1, v1, v3, s[0:1]
	v_subrev_u32_e32 v3, s6, v2
	v_cndmask_b32_e64 v2, v2, v3, s[0:1]
	v_add_u32_e32 v3, 1, v1
	v_cmp_le_u32_e64 s[0:1], s6, v2
	v_cndmask_b32_e64 v1, v1, v3, s[0:1]
	v_addc_co_u32_e32 v1, vcc, 1, v1, vcc
	v_cmp_lt_u32_e32 vcc, 3, v1
	s_and_b64 s[8:9], vcc, s[2:3]
	s_mov_b64 s[2:3], -1
	s_and_saveexec_b64 s[0:1], s[8:9]
	s_cbranch_execz .LBB13_31
; %bb.28:
	v_and_b32_e32 v4, -4, v1
	s_mov_b64 s[2:3], 0
	v_mov_b32_e32 v3, 0
	v_mov_b32_e32 v5, s7
	;; [unrolled: 1-line block ×5, first 2 shown]
.LBB13_29:                              ; =>This Inner Loop Header: Depth=1
	v_lshlrev_b64 v[12:13], 2, v[2:3]
	v_add_co_u32_e32 v8, vcc, s5, v12
	v_addc_co_u32_e32 v9, vcc, v5, v13, vcc
	global_load_dwordx4 v[8:11], v[8:9], off
	v_add_co_u32_e32 v12, vcc, s4, v12
	v_add_u32_e32 v7, -4, v7
	v_addc_co_u32_e32 v13, vcc, v6, v13, vcc
	v_cmp_eq_u32_e32 vcc, 0, v7
	v_add_u32_e32 v2, 4, v2
	s_or_b64 s[2:3], vcc, s[2:3]
	s_waitcnt vmcnt(0)
	global_store_dwordx4 v[12:13], v[8:11], off
	s_andn2_b64 exec, exec, s[2:3]
	s_cbranch_execnz .LBB13_29
; %bb.30:
	s_or_b64 exec, exec, s[2:3]
	v_cmp_ne_u32_e32 vcc, v1, v4
	v_add_u32_e32 v0, v0, v4
	s_orn2_b64 s[2:3], vcc, exec
.LBB13_31:
	s_or_b64 exec, exec, s[0:1]
	s_and_b64 exec, exec, s[2:3]
	s_cbranch_execz .LBB13_34
; %bb.32:
	s_mov_b32 s3, 0
	v_mov_b32_e32 v1, 0
	v_lshlrev_b64 v[2:3], 2, v[0:1]
	s_lshl_b32 s2, s6, 2
	s_mov_b64 s[0:1], 0
	v_mov_b32_e32 v1, s7
	v_mov_b32_e32 v4, s10
	;; [unrolled: 1-line block ×3, first 2 shown]
	s_movk_i32 s3, 0x7f
.LBB13_33:                              ; =>This Inner Loop Header: Depth=1
	v_add_co_u32_e32 v6, vcc, s5, v2
	v_addc_co_u32_e32 v7, vcc, v1, v3, vcc
	global_load_dword v8, v[6:7], off
	v_add_co_u32_e32 v6, vcc, s4, v2
	v_addc_co_u32_e32 v7, vcc, v4, v3, vcc
	v_add_co_u32_e32 v2, vcc, s2, v2
	v_add_u32_e32 v0, s6, v0
	v_addc_co_u32_e32 v3, vcc, v3, v5, vcc
	v_cmp_lt_u32_e32 vcc, s3, v0
	s_or_b64 s[0:1], vcc, s[0:1]
	s_waitcnt vmcnt(0)
	global_store_dword v[6:7], v8, off
	s_andn2_b64 exec, exec, s[0:1]
	s_cbranch_execnz .LBB13_33
.LBB13_34:
	s_endpgm
	.section	.rodata,"a",@progbits
	.p2align	6, 0x0
	.amdhsa_kernel _ZN4vllm32paged_attention_v2_reduce_kernelIfLi128ELi128ELi512EEEvPT_PKfS4_PKS1_PKii
		.amdhsa_group_segment_fixed_size 16
		.amdhsa_private_segment_fixed_size 0
		.amdhsa_kernarg_size 304
		.amdhsa_user_sgpr_count 6
		.amdhsa_user_sgpr_private_segment_buffer 1
		.amdhsa_user_sgpr_dispatch_ptr 0
		.amdhsa_user_sgpr_queue_ptr 0
		.amdhsa_user_sgpr_kernarg_segment_ptr 1
		.amdhsa_user_sgpr_dispatch_id 0
		.amdhsa_user_sgpr_flat_scratch_init 0
		.amdhsa_user_sgpr_kernarg_preload_length 0
		.amdhsa_user_sgpr_kernarg_preload_offset 0
		.amdhsa_user_sgpr_private_segment_size 0
		.amdhsa_uses_dynamic_stack 0
		.amdhsa_system_sgpr_private_segment_wavefront_offset 0
		.amdhsa_system_sgpr_workgroup_id_x 1
		.amdhsa_system_sgpr_workgroup_id_y 1
		.amdhsa_system_sgpr_workgroup_id_z 0
		.amdhsa_system_sgpr_workgroup_info 0
		.amdhsa_system_vgpr_workitem_id 0
		.amdhsa_next_free_vgpr 24
		.amdhsa_next_free_sgpr 32
		.amdhsa_accum_offset 24
		.amdhsa_reserve_vcc 1
		.amdhsa_reserve_flat_scratch 0
		.amdhsa_float_round_mode_32 0
		.amdhsa_float_round_mode_16_64 0
		.amdhsa_float_denorm_mode_32 3
		.amdhsa_float_denorm_mode_16_64 3
		.amdhsa_dx10_clamp 1
		.amdhsa_ieee_mode 1
		.amdhsa_fp16_overflow 0
		.amdhsa_tg_split 0
		.amdhsa_exception_fp_ieee_invalid_op 0
		.amdhsa_exception_fp_denorm_src 0
		.amdhsa_exception_fp_ieee_div_zero 0
		.amdhsa_exception_fp_ieee_overflow 0
		.amdhsa_exception_fp_ieee_underflow 0
		.amdhsa_exception_fp_ieee_inexact 0
		.amdhsa_exception_int_div_zero 0
	.end_amdhsa_kernel
	.section	.text._ZN4vllm32paged_attention_v2_reduce_kernelIfLi128ELi128ELi512EEEvPT_PKfS4_PKS1_PKii,"axG",@progbits,_ZN4vllm32paged_attention_v2_reduce_kernelIfLi128ELi128ELi512EEEvPT_PKfS4_PKS1_PKii,comdat
.Lfunc_end13:
	.size	_ZN4vllm32paged_attention_v2_reduce_kernelIfLi128ELi128ELi512EEEvPT_PKfS4_PKS1_PKii, .Lfunc_end13-_ZN4vllm32paged_attention_v2_reduce_kernelIfLi128ELi128ELi512EEEvPT_PKfS4_PKS1_PKii
                                        ; -- End function
	.section	.AMDGPU.csdata,"",@progbits
; Kernel info:
; codeLenInByte = 2152
; NumSgprs: 36
; NumVgprs: 24
; NumAgprs: 0
; TotalNumVgprs: 24
; ScratchSize: 0
; MemoryBound: 0
; FloatMode: 240
; IeeeMode: 1
; LDSByteSize: 16 bytes/workgroup (compile time only)
; SGPRBlocks: 4
; VGPRBlocks: 2
; NumSGPRsForWavesPerEU: 36
; NumVGPRsForWavesPerEU: 24
; AccumOffset: 24
; Occupancy: 8
; WaveLimiterHint : 0
; COMPUTE_PGM_RSRC2:SCRATCH_EN: 0
; COMPUTE_PGM_RSRC2:USER_SGPR: 6
; COMPUTE_PGM_RSRC2:TRAP_HANDLER: 0
; COMPUTE_PGM_RSRC2:TGID_X_EN: 1
; COMPUTE_PGM_RSRC2:TGID_Y_EN: 1
; COMPUTE_PGM_RSRC2:TGID_Z_EN: 0
; COMPUTE_PGM_RSRC2:TIDIG_COMP_CNT: 0
; COMPUTE_PGM_RSRC3_GFX90A:ACCUM_OFFSET: 5
; COMPUTE_PGM_RSRC3_GFX90A:TG_SPLIT: 0
	.section	.text._ZN4vllm25paged_attention_v2_kernelIffLi192ELi8ELi128ELNS_18Fp8KVCacheDataTypeE0ELb1ELi512EEEvPfS2_PT_PKS3_PKT0_S9_ifPKiSB_iPKfiiiSD_SD_iiiii,"axG",@progbits,_ZN4vllm25paged_attention_v2_kernelIffLi192ELi8ELi128ELNS_18Fp8KVCacheDataTypeE0ELb1ELi512EEEvPfS2_PT_PKS3_PKT0_S9_ifPKiSB_iPKfiiiSD_SD_iiiii,comdat
	.protected	_ZN4vllm25paged_attention_v2_kernelIffLi192ELi8ELi128ELNS_18Fp8KVCacheDataTypeE0ELb1ELi512EEEvPfS2_PT_PKS3_PKT0_S9_ifPKiSB_iPKfiiiSD_SD_iiiii ; -- Begin function _ZN4vllm25paged_attention_v2_kernelIffLi192ELi8ELi128ELNS_18Fp8KVCacheDataTypeE0ELb1ELi512EEEvPfS2_PT_PKS3_PKT0_S9_ifPKiSB_iPKfiiiSD_SD_iiiii
	.globl	_ZN4vllm25paged_attention_v2_kernelIffLi192ELi8ELi128ELNS_18Fp8KVCacheDataTypeE0ELb1ELi512EEEvPfS2_PT_PKS3_PKT0_S9_ifPKiSB_iPKfiiiSD_SD_iiiii
	.p2align	8
	.type	_ZN4vllm25paged_attention_v2_kernelIffLi192ELi8ELi128ELNS_18Fp8KVCacheDataTypeE0ELb1ELi512EEEvPfS2_PT_PKS3_PKT0_S9_ifPKiSB_iPKfiiiSD_SD_iiiii,@function
_ZN4vllm25paged_attention_v2_kernelIffLi192ELi8ELi128ELNS_18Fp8KVCacheDataTypeE0ELb1ELi512EEEvPfS2_PT_PKS3_PKT0_S9_ifPKiSB_iPKfiiiSD_SD_iiiii: ; @_ZN4vllm25paged_attention_v2_kernelIffLi192ELi8ELi128ELNS_18Fp8KVCacheDataTypeE0ELb1ELi512EEEvPfS2_PT_PKS3_PKT0_S9_ifPKiSB_iPKfiiiSD_SD_iiiii
; %bb.0:
	s_load_dwordx2 s[0:1], s[4:5], 0x40
	s_mov_b32 s36, s7
	s_ashr_i32 s37, s7, 31
	s_lshl_b64 s[2:3], s[36:37], 2
	s_waitcnt lgkmcnt(0)
	s_add_u32 s0, s0, s2
	s_addc_u32 s1, s1, s3
	s_load_dword s37, s[0:1], 0x0
	s_lshl_b32 s49, s8, 9
	s_waitcnt lgkmcnt(0)
	s_cmp_ge_i32 s49, s37
	s_cbranch_scc1 .LBB14_78
; %bb.1:
	s_load_dword s9, s[4:5], 0x90
	s_load_dwordx2 s[40:41], s[4:5], 0x30
	s_mov_b32 s50, 0
	s_waitcnt lgkmcnt(0)
	s_abs_i32 s2, s9
	s_abs_i32 s0, s40
	v_cvt_f32_u32_e32 v1, s0
	s_sub_i32 s3, 0, s0
	s_xor_b32 s1, s9, s40
	s_ashr_i32 s1, s1, 31
	v_rcp_iflag_f32_e32 v1, v1
	v_mul_f32_e32 v1, 0x4f7ffffe, v1
	v_cvt_u32_f32_e32 v1, v1
	v_readfirstlane_b32 s7, v1
	s_mul_i32 s3, s3, s7
	s_mul_hi_u32 s3, s7, s3
	s_add_i32 s7, s7, s3
	s_mul_hi_u32 s3, s2, s7
	s_mul_i32 s7, s3, s0
	s_sub_i32 s2, s2, s7
	s_add_i32 s10, s3, 1
	s_sub_i32 s7, s2, s0
	s_cmp_ge_u32 s2, s0
	s_cselect_b32 s3, s10, s3
	s_cselect_b32 s2, s7, s2
	s_add_i32 s7, s3, 1
	s_cmp_ge_u32 s2, s0
	s_cselect_b32 s0, s7, s3
	s_xor_b32 s0, s0, s1
	s_sub_i32 s11, s0, s1
	s_abs_i32 s10, s11
	v_cvt_f32_u32_e32 v1, s10
	s_load_dwordx2 s[0:1], s[4:5], 0x50
	s_sub_i32 s2, 0, s10
	s_abs_i32 s24, s6
	v_rcp_iflag_f32_e32 v1, v1
	v_mul_f32_e32 v1, 0x4f7ffffe, v1
	v_cvt_u32_f32_e32 v1, v1
	v_readfirstlane_b32 s3, v1
	s_mul_i32 s2, s2, s3
	s_mul_hi_u32 s2, s3, s2
	s_add_i32 s2, s3, s2
	s_waitcnt lgkmcnt(0)
	s_cmp_eq_u64 s[0:1], 0
	s_cbranch_scc1 .LBB14_3
; %bb.2:
	s_ashr_i32 s7, s6, 31
	s_lshl_b64 s[12:13], s[6:7], 2
	s_add_u32 s0, s0, s12
	s_addc_u32 s1, s1, s13
	s_load_dword s50, s[0:1], 0x0
.LBB14_3:
	s_load_dwordx4 s[20:23], s[4:5], 0x0
	s_load_dwordx2 s[28:29], s[4:5], 0x10
	s_load_dwordx4 s[16:19], s[4:5], 0x20
	s_load_dwordx2 s[34:35], s[4:5], 0x38
	s_load_dword s33, s[4:5], 0x98
	s_load_dwordx4 s[12:15], s[4:5], 0x58
	s_movk_i32 s0, 0xc0
	s_mul_i32 s30, s6, 0xc0
	s_mul_hi_u32 s7, s24, s2
	v_and_b32_e32 v9, 7, v0
	s_ashr_i32 s31, s30, 31
	v_cmp_gt_u32_e32 vcc, s0, v0
	s_and_saveexec_b64 s[0:1], vcc
	s_cbranch_execz .LBB14_6
; %bb.4:
	s_load_dwordx2 s[2:3], s[4:5], 0x18
	s_waitcnt lgkmcnt(0)
	s_mul_i32 s26, s36, s12
	v_lshrrev_b32_e32 v2, 3, v0
	s_ashr_i32 s27, s26, 31
	v_lshlrev_b32_e32 v3, 2, v2
	s_movk_i32 s12, 0x60
	s_lshl_b64 s[26:27], s[26:27], 2
	s_lshl_b64 s[38:39], s[30:31], 2
	v_mad_u32_u24 v4, v9, s12, v3
	s_add_u32 s12, s26, s38
	s_addc_u32 s15, s27, s39
	v_lshlrev_b32_e32 v3, 2, v9
	s_add_u32 s2, s2, s12
	v_add_u32_e32 v1, -16, v2
	v_lshl_or_b32 v2, v2, 5, v3
	s_addc_u32 s3, s3, s15
	v_mov_b32_e32 v3, s3
	v_add_co_u32_e32 v2, vcc, s2, v2
	v_addc_co_u32_e32 v3, vcc, 0, v3, vcc
	s_mov_b64 s[2:3], 0
.LBB14_5:                               ; =>This Inner Loop Header: Depth=1
	global_load_dword v5, v[2:3], off
	v_add_co_u32_e32 v2, vcc, 0x200, v2
	v_add_u32_e32 v1, 16, v1
	v_addc_co_u32_e32 v3, vcc, 0, v3, vcc
	v_cmp_lt_u32_e32 vcc, 7, v1
	s_or_b64 s[2:3], vcc, s[2:3]
	s_waitcnt vmcnt(0)
	ds_write_b32 v4, v5
	v_add_u32_e32 v4, 64, v4
	s_andn2_b64 exec, exec, s[2:3]
	s_cbranch_execnz .LBB14_5
.LBB14_6:
	s_or_b64 exec, exec, s[0:1]
	s_ashr_i32 s0, s6, 31
	s_ashr_i32 s1, s11, 31
	s_xor_b32 s0, s0, s1
	s_mul_i32 s1, s7, s10
	s_sub_i32 s1, s24, s1
	s_add_i32 s2, s7, 1
	s_sub_i32 s3, s1, s10
	s_load_dwordx4 s[24:27], s[4:5], 0x78
	s_cmp_ge_u32 s1, s10
	s_cselect_b32 s2, s2, s7
	s_cselect_b32 s1, s3, s1
	s_add_i32 s3, s2, 1
	s_cmp_ge_u32 s1, s10
	s_cselect_b32 s1, s3, s2
	s_load_dword s3, s[4:5], 0x88
	s_waitcnt lgkmcnt(0)
	s_abs_i32 s31, s27
	v_cvt_f32_u32_e32 v1, s31
	s_xor_b32 s1, s1, s0
	s_sub_i32 s2, s1, s0
	s_sub_i32 s0, 0, s31
	v_rcp_iflag_f32_e32 v1, v1
	s_add_i32 s11, s37, -1
	s_abs_i32 s7, s11
	v_mul_f32_e32 v1, 0x4f7ffffe, v1
	v_cvt_u32_f32_e32 v1, v1
	s_barrier
	v_readfirstlane_b32 s46, v1
	s_mul_i32 s0, s0, s46
	s_mul_hi_u32 s0, s46, s0
	s_add_i32 s46, s46, s0
	s_cmp_lt_i32 s3, 0
	s_mul_hi_u32 s10, s7, s46
	s_cbranch_scc0 .LBB14_8
; %bb.7:
	s_mul_i32 s0, s24, s40
	s_add_i32 s0, s2, s0
	s_mul_i32 s0, s0, s3
	s_sub_i32 s47, 1, s0
	s_ashr_i32 s11, s11, 31
	s_ashr_i32 s27, s27, 31
	s_cbranch_execz .LBB14_9
	s_branch .LBB14_10
.LBB14_8:
                                        ; implicit-def: $sgpr47
	s_ashr_i32 s11, s11, 31
	s_ashr_i32 s27, s27, 31
.LBB14_9:
	s_mul_i32 s0, s9, s24
	s_add_i32 s0, s0, s6
	s_mul_i32 s0, s0, s3
	s_add_i32 s47, s0, 1
.LBB14_10:
	s_load_dword s0, s[4:5], 0x48
	s_mul_i32 s3, s10, s31
	s_sub_i32 s3, s7, s3
	s_xor_b32 s1, s11, s27
	s_add_i32 s4, s10, 1
	s_waitcnt lgkmcnt(0)
	s_mul_i32 s38, s36, s0
	s_ashr_i32 s39, s38, 31
	s_sub_i32 s0, s3, s31
	s_cmp_ge_u32 s3, s31
	s_cselect_b32 s4, s4, s10
	s_cselect_b32 s0, s0, s3
	s_add_i32 s3, s4, 1
	s_cmp_ge_u32 s0, s31
	s_cselect_b32 s0, s3, s4
	s_xor_b32 s0, s0, s1
	s_sub_i32 s48, s0, s1
	s_add_i32 s0, s37, 7
	s_ashr_i32 s1, s0, 31
	s_lshr_b32 s1, s1, 29
	s_add_i32 s0, s0, s1
	s_lshl_b32 s12, s8, 6
	s_ashr_i32 s7, s0, 3
	s_add_i32 s0, s12, 64
	v_lshrrev_b32_e32 v8, 6, v0
	s_min_i32 s24, s0, s7
	v_or_b32_e32 v36, s12, v8
	v_cmp_gt_i32_e64 s[0:1], s24, v36
	v_mov_b32_e32 v11, 0xff7fffff
	s_mul_i32 s14, s2, s14
	v_ashrrev_i32_e32 v37, 31, v36
	v_lshl_add_u32 v1, v8, 3, s49
	v_mbcnt_lo_u32_b32 v4, -1, 0
	s_and_saveexec_b64 s[42:43], s[0:1]
	s_cbranch_execz .LBB14_20
; %bb.11:
	s_ashr_i32 s15, s14, 31
	s_sub_i32 s40, s48, s25
	s_lshl_b64 s[2:3], s[14:15], 2
	v_bfe_u32 v5, v0, 3, 3
	s_add_u32 s2, s16, s2
	s_addc_u32 s3, s17, s3
	v_lshlrev_b32_e32 v2, 4, v5
	v_mov_b32_e32 v3, s3
	v_add_co_u32_e64 v2, s[2:3], s2, v2
	v_and_b32_e32 v6, 3, v0
	v_addc_co_u32_e64 v3, s[2:3], 0, v3, s[2:3]
	v_lshlrev_b32_e32 v6, 2, v6
	s_abs_i32 s15, s26
	v_add_co_u32_e64 v6, s[2:3], v2, v6
	v_cvt_f32_u32_e32 v2, s15
	v_lshlrev_b32_e32 v7, 3, v0
	s_sub_i32 s4, 0, s15
	v_lshlrev_b32_e32 v11, 2, v5
	v_rcp_iflag_f32_e32 v2, v2
	v_and_b32_e32 v16, 32, v7
	v_addc_co_u32_e64 v7, s[2:3], 0, v3, s[2:3]
	v_mul_f32_e32 v2, 0x4f7ffffe, v2
	v_cvt_u32_f32_e32 v2, v2
	v_lshl_or_b32 v11, v8, 5, v11
	v_add_u32_e32 v13, 0x310, v11
	v_subrev_u32_e32 v11, s37, v5
	v_mul_lo_u32 v3, s4, v2
	s_lshl_b64 s[4:5], s[38:39], 2
	v_mul_hi_u32 v3, v2, v3
	s_add_u32 s4, s34, s4
	v_add_u32_e32 v10, v2, v3
	v_lshlrev_b64 v[2:3], 2, v[36:37]
	s_addc_u32 s5, s35, s5
	v_mbcnt_hi_u32_b32 v25, -1, v4
	v_or_b32_e32 v18, 0x400, v16
	v_or_b32_e32 v20, 0x440, v16
	;; [unrolled: 1-line block ×8, first 2 shown]
	v_mov_b32_e32 v12, s5
	v_add_co_u32_e64 v2, s[4:5], s4, v2
	v_add_u32_e32 v14, 1, v11
	v_and_b32_e32 v11, 64, v25
	v_cmp_eq_u32_e32 vcc, 0, v9
	s_mov_b32 s51, s13
	v_mul_u32_u24_e32 v9, 0x60, v9
	v_cmp_neq_f32_e64 s[2:3], s50, 0
	v_addc_co_u32_e64 v3, s[4:5], v12, v3, s[4:5]
	v_lshl_add_u32 v12, v8, 3, s49
	s_mov_b64 s[16:17], 0
	v_mov_b32_e32 v15, 0xff7fffff
	v_lshlrev_b32_e32 v16, 2, v16
	v_lshlrev_b32_e32 v17, 2, v18
	;; [unrolled: 1-line block ×9, first 2 shown]
	v_add_u32_e32 v26, 64, v11
	v_xor_b32_e32 v27, 4, v25
	v_xor_b32_e32 v28, 2, v25
	;; [unrolled: 1-line block ×3, first 2 shown]
	v_mov_b32_e32 v11, 0xff7fffff
	v_mov_b32_e32 v30, v36
	s_branch .LBB14_14
.LBB14_12:                              ;   in Loop: Header=BB14_14 Depth=1
	s_or_b64 exec, exec, s[44:45]
.LBB14_13:                              ;   in Loop: Header=BB14_14 Depth=1
	s_or_b64 exec, exec, s[10:11]
	v_add_co_u32_e64 v2, s[4:5], 8, v2
	v_add_u32_e32 v30, 2, v30
	v_addc_co_u32_e64 v3, s[4:5], 0, v3, s[4:5]
	v_cmp_le_i32_e64 s[4:5], s24, v30
	v_add_u32_e32 v12, 16, v12
	s_or_b64 s[16:17], s[4:5], s[16:17]
	v_add_u32_e32 v13, 64, v13
	s_andn2_b64 exec, exec, s[16:17]
	s_cbranch_execz .LBB14_19
.LBB14_14:                              ; =>This Inner Loop Header: Depth=1
	s_waitcnt lgkmcnt(0)
	v_sub_u32_e32 v32, 0, v12
	v_max_i32_e32 v32, v12, v32
	v_mul_hi_u32 v33, v32, s46
	v_mul_lo_u32 v34, v33, s31
	v_sub_u32_e32 v32, v32, v34
	v_add_u32_e32 v34, 1, v33
	v_cmp_le_u32_e64 s[4:5], s31, v32
	v_cndmask_b32_e64 v33, v33, v34, s[4:5]
	v_subrev_u32_e32 v34, s31, v32
	v_cndmask_b32_e64 v32, v32, v34, s[4:5]
	v_ashrrev_i32_e32 v31, 31, v12
	v_add_u32_e32 v34, 1, v33
	v_cmp_le_u32_e64 s[4:5], s31, v32
	v_xor_b32_e32 v31, s27, v31
	v_cndmask_b32_e64 v32, v33, v34, s[4:5]
	v_xor_b32_e32 v32, v32, v31
	v_sub_u32_e32 v31, v32, v31
	v_add_u32_e32 v32, s47, v31
	v_sub_u32_e32 v34, 0, v32
	v_ashrrev_i32_e32 v33, 31, v32
	v_max_i32_e32 v32, v32, v34
	v_mul_hi_u32 v34, v32, v10
	v_mul_lo_u32 v34, v34, s15
	v_sub_u32_e32 v32, v32, v34
	v_subrev_u32_e32 v34, s15, v32
	v_cmp_le_u32_e64 s[4:5], s15, v32
	v_cndmask_b32_e64 v32, v32, v34, s[4:5]
	v_subrev_u32_e32 v34, s15, v32
	v_cmp_le_u32_e64 s[4:5], s15, v32
	v_cndmask_b32_e64 v32, v32, v34, s[4:5]
	v_xor_b32_e32 v32, v32, v33
	v_sub_u32_e32 v32, v32, v33
	v_cmp_ne_u32_e64 s[4:5], 0, v32
	v_cmp_ge_i32_e64 s[10:11], s40, v31
	s_and_b64 s[4:5], s[4:5], s[10:11]
	s_and_b64 s[44:45], vcc, s[4:5]
	s_and_saveexec_b64 s[10:11], s[44:45]
	s_cbranch_execz .LBB14_16
; %bb.15:                               ;   in Loop: Header=BB14_14 Depth=1
	ds_write_b32 v13, v15
.LBB14_16:                              ;   in Loop: Header=BB14_14 Depth=1
	s_or_b64 exec, exec, s[10:11]
	s_xor_b64 s[4:5], s[4:5], -1
	s_and_saveexec_b64 s[10:11], s[4:5]
	s_cbranch_execz .LBB14_13
; %bb.17:                               ;   in Loop: Header=BB14_14 Depth=1
	global_load_dword v31, v[2:3], off
	s_waitcnt vmcnt(0)
	v_mad_i64_i32 v[32:33], s[4:5], v31, s51, 0
	v_lshlrev_b64 v[32:33], 2, v[32:33]
	v_add_co_u32_e64 v31, s[4:5], v6, v32
	v_addc_co_u32_e64 v51, s[4:5], v7, v33, s[4:5]
	v_add_co_u32_e64 v32, s[4:5], v31, v16
	v_addc_co_u32_e64 v33, s[4:5], 0, v51, s[4:5]
	global_load_dword v58, v[32:33], off
	global_load_dword v59, v[32:33], off offset:256
	global_load_dword v60, v[32:33], off offset:512
	;; [unrolled: 1-line block ×4, first 2 shown]
	v_add_co_u32_e64 v34, s[4:5], v31, v17
	v_addc_co_u32_e64 v35, s[4:5], 0, v51, s[4:5]
	v_add_co_u32_e64 v38, s[4:5], v31, v18
	v_addc_co_u32_e64 v39, s[4:5], 0, v51, s[4:5]
	;; [unrolled: 2-line block ×8, first 2 shown]
	global_load_dword v31, v[32:33], off offset:1280
	global_load_dword v63, v[32:33], off offset:1536
	global_load_dword v64, v[32:33], off offset:1792
	global_load_dword v65, v[32:33], off offset:2048
	global_load_dword v66, v[32:33], off offset:2304
	global_load_dword v67, v[32:33], off offset:2560
	global_load_dword v68, v[32:33], off offset:2816
	global_load_dword v69, v[32:33], off offset:3072
	global_load_dword v70, v[32:33], off offset:3328
	global_load_dword v71, v[32:33], off offset:3584
	global_load_dword v72, v[32:33], off offset:3840
	global_load_dword v73, v[34:35], off
	global_load_dword v74, v[38:39], off
	;; [unrolled: 1-line block ×8, first 2 shown]
	ds_read_b128 v[32:35], v9
	ds_read_b128 v[38:41], v9 offset:16
	ds_read_b128 v[42:45], v9 offset:32
	;; [unrolled: 1-line block ×5, first 2 shown]
	v_cmp_lt_i32_e64 s[4:5], v27, v26
	v_cndmask_b32_e64 v81, v25, v27, s[4:5]
	v_cmp_lt_i32_e64 s[4:5], v28, v26
	s_waitcnt vmcnt(22) lgkmcnt(5)
	v_mul_f32_e32 v33, v33, v59
	v_fmac_f32_e32 v33, v32, v58
	s_waitcnt vmcnt(21)
	v_fmac_f32_e32 v33, v34, v60
	s_waitcnt vmcnt(20)
	v_fmac_f32_e32 v33, v35, v61
	s_waitcnt vmcnt(19) lgkmcnt(4)
	v_fmac_f32_e32 v33, v38, v62
	v_lshlrev_b32_e32 v32, 2, v81
	s_waitcnt vmcnt(18)
	v_fmac_f32_e32 v33, v39, v31
	s_waitcnt vmcnt(17)
	v_fmac_f32_e32 v33, v40, v63
	s_waitcnt vmcnt(16)
	v_fmac_f32_e32 v33, v41, v64
	s_waitcnt vmcnt(15) lgkmcnt(3)
	v_fmac_f32_e32 v33, v42, v65
	s_waitcnt vmcnt(14)
	v_fmac_f32_e32 v33, v43, v66
	s_waitcnt vmcnt(13)
	v_fmac_f32_e32 v33, v44, v67
	s_waitcnt vmcnt(12)
	v_fmac_f32_e32 v33, v45, v68
	s_waitcnt vmcnt(11) lgkmcnt(2)
	v_fmac_f32_e32 v33, v46, v69
	;; [unrolled: 8-line block ×4, first 2 shown]
	s_waitcnt vmcnt(2)
	v_fmac_f32_e32 v33, v55, v78
	s_waitcnt vmcnt(1)
	v_fmac_f32_e32 v33, v56, v79
	;; [unrolled: 2-line block ×3, first 2 shown]
	ds_bpermute_b32 v31, v32, v33
	v_cndmask_b32_e64 v32, v25, v28, s[4:5]
	v_lshlrev_b32_e32 v32, 2, v32
	v_cmp_lt_i32_e64 s[4:5], v29, v26
	s_waitcnt lgkmcnt(0)
	v_add_f32_e32 v31, v33, v31
	ds_bpermute_b32 v32, v32, v31
	v_cndmask_b32_e64 v33, v25, v29, s[4:5]
	v_lshlrev_b32_e32 v33, 2, v33
	s_waitcnt lgkmcnt(0)
	v_add_f32_e32 v31, v31, v32
	ds_bpermute_b32 v32, v33, v31
	s_and_saveexec_b64 s[44:45], vcc
	s_cbranch_execz .LBB14_12
; %bb.18:                               ;   in Loop: Header=BB14_14 Depth=1
	v_add_u32_e32 v33, v14, v12
	v_cvt_f32_i32_e32 v33, v33
	s_waitcnt lgkmcnt(0)
	v_add_f32_e32 v31, v31, v32
	v_add_u32_e32 v34, v5, v12
	v_cmp_gt_i32_e64 s[4:5], s37, v34
	v_mul_f32_e32 v32, s50, v33
	v_cndmask_b32_e64 v32, 0, v32, s[2:3]
	v_fmac_f32_e32 v32, s41, v31
	v_cndmask_b32_e64 v31, 0, v32, s[4:5]
	ds_write_b32 v13, v31
	v_max_f32_e32 v31, v11, v11
	v_max_f32_e32 v31, v31, v32
	v_cndmask_b32_e64 v11, v11, v31, s[4:5]
	s_branch .LBB14_12
.LBB14_19:
	s_or_b64 exec, exec, s[16:17]
.LBB14_20:
	s_or_b64 exec, exec, s[42:43]
	v_mbcnt_hi_u32_b32 v2, -1, v4
	v_and_b32_e32 v3, 64, v2
	v_add_u32_e32 v3, 64, v3
	v_xor_b32_e32 v4, 32, v2
	v_cmp_lt_i32_e32 vcc, v4, v3
	v_cndmask_b32_e32 v4, v2, v4, vcc
	v_lshlrev_b32_e32 v6, 2, v4
	ds_bpermute_b32 v4, v6, v11
	v_xor_b32_e32 v7, 16, v2
	v_max_f32_e32 v5, v11, v11
	v_cmp_lt_i32_e32 vcc, v7, v3
	v_and_b32_e32 v40, 63, v0
	s_waitcnt lgkmcnt(0)
	v_max_f32_e32 v4, v4, v4
	v_max_f32_e32 v4, v5, v4
	v_cndmask_b32_e32 v5, v2, v7, vcc
	v_lshlrev_b32_e32 v9, 2, v5
	ds_bpermute_b32 v5, v9, v4
	v_xor_b32_e32 v7, 8, v2
	v_cmp_lt_i32_e32 vcc, v7, v3
	s_waitcnt lgkmcnt(0)
	v_max_f32_e32 v5, v5, v5
	v_max_f32_e32 v4, v4, v5
	v_cndmask_b32_e32 v5, v2, v7, vcc
	v_lshlrev_b32_e32 v10, 2, v5
	ds_bpermute_b32 v7, v10, v4
	v_cmp_eq_u32_e32 vcc, 0, v40
	v_lshlrev_b32_e32 v5, 2, v8
	s_and_saveexec_b64 s[2:3], vcc
	s_cbranch_execz .LBB14_22
; %bb.21:
	s_waitcnt lgkmcnt(0)
	v_max_f32_e32 v7, v7, v7
	v_max_f32_e32 v4, v4, v4
	v_max_f32_e32 v4, v4, v7
	ds_write_b32 v5, v4 offset:768
.LBB14_22:
	s_or_b64 exec, exec, s[2:3]
	v_cmp_gt_u32_e64 s[2:3], 2, v40
	v_mov_b32_e32 v4, 0xff7fffff
	s_waitcnt lgkmcnt(0)
	v_lshlrev_b32_e32 v7, 2, v40
	s_barrier
	s_and_saveexec_b64 s[4:5], s[2:3]
	s_cbranch_execz .LBB14_24
; %bb.23:
	ds_read_b32 v4, v7 offset:768
.LBB14_24:
	s_or_b64 exec, exec, s[4:5]
	v_xor_b32_e32 v11, 1, v2
	v_cmp_lt_i32_e64 s[4:5], v11, v3
	v_cndmask_b32_e64 v11, v2, v11, s[4:5]
	v_lshlrev_b32_e32 v41, 2, v11
	s_waitcnt lgkmcnt(0)
	ds_bpermute_b32 v11, v41, v4
	v_max_f32_e32 v4, v4, v4
	s_sub_i32 s4, s24, s12
	s_lshl_b32 s4, s4, 3
	s_add_i32 s4, s4, s49
	s_waitcnt lgkmcnt(0)
	v_max_f32_e32 v11, v11, v11
	v_max_f32_e32 v4, v4, v11
	v_lshlrev_b32_e32 v11, 2, v2
	v_and_b32_e32 v11, 0x100, v11
	ds_bpermute_b32 v4, v11, v4
	s_min_i32 s15, s4, s37
	s_sub_i32 s12, s15, s49
	v_cmp_gt_i32_e64 s[4:5], s12, v0
	v_mov_b32_e32 v12, 0
	s_and_saveexec_b64 s[16:17], s[4:5]
	s_cbranch_execz .LBB14_28
; %bb.25:
	v_mov_b32_e32 v12, 0x310
	v_lshl_add_u32 v13, v0, 2, v12
	s_mov_b64 s[40:41], 0
	v_mov_b32_e32 v12, 0
	v_mov_b32_e32 v14, v0
.LBB14_26:                              ; =>This Inner Loop Header: Depth=1
	ds_read_b32 v15, v13
	v_add_u32_e32 v14, 0x80, v14
	v_cmp_le_i32_e64 s[10:11], s12, v14
	s_or_b64 s[40:41], s[10:11], s[40:41]
	s_waitcnt lgkmcnt(0)
	v_sub_f32_e32 v15, v15, v4
	v_mul_f32_e32 v15, 0x3fb8aa3b, v15
	v_exp_f32_e32 v15, v15
	ds_write_b32 v13, v15
	v_add_f32_e32 v12, v12, v15
	v_add_u32_e32 v13, 0x200, v13
	s_andn2_b64 exec, exec, s[40:41]
	s_cbranch_execnz .LBB14_26
; %bb.27:
	s_or_b64 exec, exec, s[40:41]
.LBB14_28:
	s_or_b64 exec, exec, s[16:17]
	ds_bpermute_b32 v6, v6, v12
	s_waitcnt lgkmcnt(0)
	v_add_f32_e32 v6, v12, v6
	ds_bpermute_b32 v9, v9, v6
	s_waitcnt lgkmcnt(0)
	v_add_f32_e32 v6, v6, v9
	ds_bpermute_b32 v9, v10, v6
	v_xor_b32_e32 v10, 4, v2
	v_cmp_lt_i32_e64 s[10:11], v10, v3
	v_cndmask_b32_e64 v10, v2, v10, s[10:11]
	v_lshlrev_b32_e32 v10, 2, v10
	s_waitcnt lgkmcnt(0)
	v_add_f32_e32 v6, v6, v9
	ds_bpermute_b32 v9, v10, v6
	v_xor_b32_e32 v10, 2, v2
	v_cmp_lt_i32_e64 s[10:11], v10, v3
	v_cndmask_b32_e64 v2, v2, v10, s[10:11]
	v_lshlrev_b32_e32 v2, 2, v2
	s_waitcnt lgkmcnt(0)
	v_add_f32_e32 v3, v6, v9
	ds_bpermute_b32 v2, v2, v3
	s_waitcnt lgkmcnt(0)
	v_add_f32_e32 v2, v3, v2
	ds_bpermute_b32 v3, v41, v2
	s_waitcnt lgkmcnt(0)
	v_add_f32_e32 v2, v2, v3
	s_and_saveexec_b64 s[10:11], vcc
	s_cbranch_execz .LBB14_30
; %bb.29:
	ds_write_b32 v5, v2 offset:776
.LBB14_30:
	s_or_b64 exec, exec, s[10:11]
	s_waitcnt lgkmcnt(0)
	s_barrier
	s_and_saveexec_b64 s[10:11], s[2:3]
	s_cbranch_execz .LBB14_32
; %bb.31:
	ds_read_b32 v2, v7 offset:776
.LBB14_32:
	s_or_b64 exec, exec, s[10:11]
	s_waitcnt lgkmcnt(0)
	ds_bpermute_b32 v3, v41, v2
	s_waitcnt lgkmcnt(0)
	v_add_f32_e32 v2, v2, v3
	ds_bpermute_b32 v5, v11, v2
	s_and_saveexec_b64 s[2:3], s[4:5]
	s_cbranch_execz .LBB14_45
; %bb.33:
	s_waitcnt lgkmcnt(0)
	v_add_f32_e32 v2, 0x358637bd, v5
	v_div_scale_f32 v3, s[4:5], v2, v2, 1.0
	v_rcp_f32_e32 v6, v3
	v_div_scale_f32 v7, vcc, 1.0, v2, 1.0
	s_movk_i32 s4, 0x7f
	v_fma_f32 v9, -v3, v6, 1.0
	v_fmac_f32_e32 v6, v9, v6
	v_mul_f32_e32 v9, v7, v6
	v_fma_f32 v10, -v3, v9, v7
	v_fmac_f32_e32 v9, v10, v6
	v_fma_f32 v3, -v3, v9, v7
	v_div_fmas_f32 v3, v3, v6, v9
	v_div_fixup_f32 v2, v3, v2, 1.0
	v_xad_u32 v3, v0, -1, s15
	v_subrev_u32_e32 v6, s49, v3
	v_cmp_lt_u32_e32 vcc, s4, v6
	s_mov_b64 s[10:11], -1
	v_mov_b32_e32 v3, v0
	s_and_saveexec_b64 s[4:5], vcc
	s_cbranch_execz .LBB14_42
; %bb.34:
	v_lshrrev_b32_e32 v6, 7, v6
	v_add_u32_e32 v9, -1, v6
	v_lshrrev_b32_e32 v7, 1, v9
	v_mov_b32_e32 v3, v2
	v_add_u32_e32 v7, 1, v7
	v_cmp_lt_u32_e32 vcc, 13, v9
	v_mov_b32_e32 v11, 0
	s_and_saveexec_b64 s[10:11], vcc
	s_cbranch_execz .LBB14_38
; %bb.35:
	v_mov_b32_e32 v10, 0x310
	v_and_b32_e32 v9, -8, v7
	v_lshl_add_u32 v10, v0, 2, v10
	s_mov_b32 s15, 0
	s_mov_b64 s[16:17], 0
.LBB14_36:                              ; =>This Inner Loop Header: Depth=1
	ds_read2st64_b32 v[12:13], v10 offset1:2
	ds_read2st64_b32 v[14:15], v10 offset0:4 offset1:6
	ds_read2st64_b32 v[16:17], v10 offset0:8 offset1:10
	;; [unrolled: 1-line block ×3, first 2 shown]
	v_add_u32_e32 v9, -8, v9
	s_waitcnt lgkmcnt(3)
	v_pk_mul_f32 v[12:13], v[2:3], v[12:13]
	s_waitcnt lgkmcnt(2)
	v_pk_mul_f32 v[14:15], v[2:3], v[14:15]
	ds_write2st64_b32 v10, v12, v13 offset1:2
	ds_write2st64_b32 v10, v14, v15 offset0:4 offset1:6
	ds_read2st64_b32 v[14:15], v10 offset0:16 offset1:18
	s_waitcnt lgkmcnt(4)
	v_pk_mul_f32 v[12:13], v[2:3], v[16:17]
	ds_write2st64_b32 v10, v12, v13 offset0:8 offset1:10
	s_waitcnt lgkmcnt(4)
	v_pk_mul_f32 v[12:13], v[2:3], v[18:19]
	ds_write2st64_b32 v10, v12, v13 offset0:12 offset1:14
	ds_read2st64_b32 v[12:13], v10 offset0:20 offset1:22
	s_waitcnt lgkmcnt(3)
	v_pk_mul_f32 v[14:15], v[2:3], v[14:15]
	ds_read2st64_b32 v[16:17], v10 offset0:24 offset1:26
	ds_write2st64_b32 v10, v14, v15 offset0:16 offset1:18
	ds_read2st64_b32 v[14:15], v10 offset0:28 offset1:30
	s_waitcnt lgkmcnt(3)
	v_pk_mul_f32 v[12:13], v[2:3], v[12:13]
	ds_write2st64_b32 v10, v12, v13 offset0:20 offset1:22
	s_waitcnt lgkmcnt(3)
	v_pk_mul_f32 v[12:13], v[2:3], v[16:17]
	ds_write2st64_b32 v10, v12, v13 offset0:24 offset1:26
	s_waitcnt lgkmcnt(2)
	v_pk_mul_f32 v[12:13], v[2:3], v[14:15]
	s_add_i32 s15, s15, 16
	v_cmp_eq_u32_e32 vcc, 0, v9
	ds_write2st64_b32 v10, v12, v13 offset0:28 offset1:30
	v_add_u32_e32 v10, 0x2000, v10
	s_or_b64 s[16:17], vcc, s[16:17]
	v_mov_b32_e32 v11, s15
	s_andn2_b64 exec, exec, s[16:17]
	s_cbranch_execnz .LBB14_36
; %bb.37:
	s_or_b64 exec, exec, s[16:17]
.LBB14_38:
	s_or_b64 exec, exec, s[10:11]
	v_and_b32_e32 v7, 7, v7
	v_cmp_ne_u32_e32 vcc, 0, v7
	s_and_saveexec_b64 s[10:11], vcc
	s_cbranch_execz .LBB14_41
; %bb.39:
	v_lshlrev_b32_e32 v9, 9, v11
	v_lshlrev_b32_e32 v10, 2, v0
	s_movk_i32 s15, 0x310
	v_add3_u32 v9, v9, v10, s15
	s_mov_b64 s[16:17], 0
.LBB14_40:                              ; =>This Inner Loop Header: Depth=1
	ds_read2st64_b32 v[10:11], v9 offset1:2
	v_add_u32_e32 v7, -1, v7
	v_cmp_eq_u32_e32 vcc, 0, v7
	s_or_b64 s[16:17], vcc, s[16:17]
	s_waitcnt lgkmcnt(0)
	v_pk_mul_f32 v[10:11], v[2:3], v[10:11]
	ds_write2st64_b32 v9, v10, v11 offset1:2
	v_add_u32_e32 v9, 0x400, v9
	s_andn2_b64 exec, exec, s[16:17]
	s_cbranch_execnz .LBB14_40
.LBB14_41:
	s_or_b64 exec, exec, s[10:11]
	v_add_u32_e32 v6, 1, v6
	v_and_b32_e32 v7, 0x3fffffe, v6
	v_cmp_ne_u32_e32 vcc, v6, v7
	v_lshl_add_u32 v3, v7, 7, v0
	s_orn2_b64 s[10:11], vcc, exec
.LBB14_42:
	s_or_b64 exec, exec, s[4:5]
	s_and_b64 exec, exec, s[10:11]
	s_cbranch_execz .LBB14_45
; %bb.43:
	v_mov_b32_e32 v6, 0x310
	v_lshl_add_u32 v6, v3, 2, v6
	s_mov_b64 s[4:5], 0
.LBB14_44:                              ; =>This Inner Loop Header: Depth=1
	ds_read_b32 v7, v6
	v_add_u32_e32 v3, 0x80, v3
	v_cmp_le_i32_e32 vcc, s12, v3
	s_or_b64 s[4:5], vcc, s[4:5]
	s_waitcnt lgkmcnt(0)
	v_mul_f32_e32 v7, v2, v7
	ds_write_b32 v6, v7
	v_add_u32_e32 v6, 0x200, v6
	s_andn2_b64 exec, exec, s[4:5]
	s_cbranch_execnz .LBB14_44
.LBB14_45:
	s_or_b64 exec, exec, s[2:3]
	s_mul_i32 s2, s33, s36
	v_cmp_eq_u32_e32 vcc, 0, v0
	s_mul_i32 s2, s2, s9
	s_waitcnt lgkmcnt(0)
	s_barrier
	s_and_saveexec_b64 s[4:5], vcc
	s_cbranch_execz .LBB14_47
; %bb.46:
	s_ashr_i32 s3, s2, 31
	s_lshl_b64 s[10:11], s[2:3], 2
	s_add_u32 s3, s22, s10
	s_mul_i32 s16, s33, s6
	s_addc_u32 s9, s23, s11
	s_ashr_i32 s17, s16, 31
	s_lshl_b64 s[16:17], s[16:17], 2
	s_add_u32 s3, s3, s16
	s_addc_u32 s6, s9, s17
	s_ashr_i32 s9, s8, 31
	s_lshl_b64 s[22:23], s[8:9], 2
	s_add_u32 s40, s3, s22
	s_addc_u32 s41, s6, s23
	s_add_u32 s3, s20, s10
	s_addc_u32 s6, s21, s11
	;; [unrolled: 2-line block ×3, first 2 shown]
	s_add_u32 s10, s3, s22
	v_mov_b32_e32 v2, 0
	s_addc_u32 s11, s6, s23
	global_store_dword v2, v4, s[40:41]
	global_store_dword v2, v5, s[10:11]
.LBB14_47:
	s_or_b64 exec, exec, s[4:5]
	s_mov_b32 s12, 0
	v_mov_b32_e32 v7, 0
	v_and_b32_e32 v42, 1, v0
	v_mov_b32_e32 v6, 0
	v_mov_b32_e32 v5, 0
	v_mov_b32_e32 v4, 0
	v_mov_b32_e32 v3, 0
	v_mov_b32_e32 v2, 0
	s_and_saveexec_b64 s[4:5], s[0:1]
	s_cbranch_execz .LBB14_65
; %bb.48:
	s_ashr_i32 s15, s14, 31
	s_sub_i32 s3, s48, s25
	s_lshl_b64 s[0:1], s[14:15], 2
	s_add_u32 s9, s18, s0
	s_addc_u32 s18, s19, s1
	s_abs_i32 s19, s26
	v_cvt_f32_u32_e32 v2, s19
	v_lshlrev_b32_e32 v3, 2, v0
	s_sub_i32 s0, 0, s19
	v_and_b32_e32 v43, 4, v3
	v_rcp_iflag_f32_e32 v2, v2
	v_and_b32_e32 v10, 0xfc, v3
	s_add_i32 s21, s7, -1
	s_mov_b32 s20, s13
	v_mul_f32_e32 v2, 0x4f7ffffe, v2
	v_cvt_u32_f32_e32 v2, v2
	s_mov_b32 s13, s12
	v_or_b32_e32 v12, 0x400, v10
	v_or_b32_e32 v14, 0x500, v10
	v_mul_lo_u32 v3, s0, v2
	v_mul_hi_u32 v3, v2, v3
	s_lshl_b64 s[0:1], s[38:39], 2
	v_add_u32_e32 v44, v2, v3
	v_lshlrev_b64 v[2:3], 2, v[36:37]
	s_add_u32 s0, s34, s0
	s_addc_u32 s1, s35, s1
	v_add_co_u32_e32 v38, vcc, s0, v2
	v_lshlrev_b32_e32 v2, 4, v42
	v_mov_b32_e32 v4, s1
	v_lshl_or_b32 v2, v8, 5, v2
	v_addc_co_u32_e32 v39, vcc, v4, v3, vcc
	v_add_u32_e32 v37, 0x310, v2
	s_mov_b32 s14, s12
	s_mov_b32 s15, s12
	;; [unrolled: 1-line block ×4, first 2 shown]
	v_pk_mov_b32 v[2:3], s[12:13], s[12:13] op_sel:[0,1]
	s_mov_b64 s[6:7], 0
	v_pk_mov_b32 v[4:5], s[14:15], s[14:15] op_sel:[0,1]
	v_pk_mov_b32 v[6:7], s[16:17], s[16:17] op_sel:[0,1]
	v_lshlrev_b32_e32 v45, 2, v10
	v_lshlrev_b32_e32 v46, 2, v12
	;; [unrolled: 1-line block ×3, first 2 shown]
	s_branch .LBB14_51
.LBB14_49:                              ;   in Loop: Header=BB14_51 Depth=1
	s_or_b64 exec, exec, s[0:1]
	s_waitcnt vmcnt(5) lgkmcnt(0)
	v_mul_f32_e32 v13, v9, v13
	v_fmac_f32_e32 v13, v8, v12
	s_waitcnt vmcnt(4)
	v_mul_f32_e32 v12, v9, v17
	v_fmac_f32_e32 v12, v8, v16
	v_fmac_f32_e32 v12, v10, v18
	v_fmac_f32_e32 v12, v11, v19
	v_add_f32_e32 v3, v3, v12
	s_waitcnt vmcnt(3)
	v_mul_f32_e32 v12, v9, v21
	v_fmac_f32_e32 v12, v8, v20
	v_fmac_f32_e32 v12, v10, v22
	v_fmac_f32_e32 v12, v11, v23
	v_add_f32_e32 v4, v4, v12
	;; [unrolled: 6-line block ×3, first 2 shown]
	s_waitcnt vmcnt(1)
	v_mul_f32_e32 v12, v9, v29
	s_waitcnt vmcnt(0)
	v_mul_f32_e32 v9, v9, v33
	v_fmac_f32_e32 v12, v8, v28
	v_fmac_f32_e32 v9, v8, v32
	;; [unrolled: 1-line block ×8, first 2 shown]
	v_add_f32_e32 v2, v2, v13
	v_add_f32_e32 v6, v6, v12
	;; [unrolled: 1-line block ×3, first 2 shown]
.LBB14_50:                              ;   in Loop: Header=BB14_51 Depth=1
	s_or_b64 exec, exec, s[10:11]
	v_add_co_u32_e32 v38, vcc, 8, v38
	v_add_u32_e32 v36, 2, v36
	v_addc_co_u32_e32 v39, vcc, 0, v39, vcc
	v_cmp_le_i32_e32 vcc, s24, v36
	v_add_u32_e32 v1, 16, v1
	s_or_b64 s[6:7], vcc, s[6:7]
	v_add_u32_e32 v37, 64, v37
	s_andn2_b64 exec, exec, s[6:7]
	s_cbranch_execz .LBB14_64
.LBB14_51:                              ; =>This Inner Loop Header: Depth=1
	v_sub_u32_e32 v9, 0, v1
	v_max_i32_e32 v9, v1, v9
	v_mul_hi_u32 v10, v9, s46
	v_mul_lo_u32 v11, v10, s31
	v_sub_u32_e32 v9, v9, v11
	v_add_u32_e32 v11, 1, v10
	v_cmp_le_u32_e32 vcc, s31, v9
	v_cndmask_b32_e32 v10, v10, v11, vcc
	v_subrev_u32_e32 v11, s31, v9
	v_cndmask_b32_e32 v9, v9, v11, vcc
	v_ashrrev_i32_e32 v8, 31, v1
	v_add_u32_e32 v11, 1, v10
	v_cmp_le_u32_e32 vcc, s31, v9
	v_xor_b32_e32 v8, s27, v8
	v_cndmask_b32_e32 v9, v10, v11, vcc
	v_xor_b32_e32 v9, v9, v8
	v_sub_u32_e32 v8, v9, v8
	v_add_u32_e32 v9, s47, v8
	v_sub_u32_e32 v11, 0, v9
	v_ashrrev_i32_e32 v10, 31, v9
	v_max_i32_e32 v9, v9, v11
	v_mul_hi_u32 v11, v9, v44
	v_mul_lo_u32 v11, v11, s19
	v_sub_u32_e32 v9, v9, v11
	v_subrev_u32_e32 v11, s19, v9
	v_cmp_le_u32_e32 vcc, s19, v9
	v_cndmask_b32_e32 v9, v9, v11, vcc
	v_subrev_u32_e32 v11, s19, v9
	v_cmp_le_u32_e32 vcc, s19, v9
	v_cndmask_b32_e32 v9, v9, v11, vcc
	v_xor_b32_e32 v9, v9, v10
	v_sub_u32_e32 v9, v9, v10
	v_cmp_eq_u32_e32 vcc, 0, v9
	v_cmp_lt_i32_e64 s[0:1], s3, v8
	s_or_b64 s[0:1], vcc, s[0:1]
	s_and_saveexec_b64 s[10:11], s[0:1]
	s_cbranch_execz .LBB14_50
; %bb.52:                               ;   in Loop: Header=BB14_51 Depth=1
	global_load_dword v8, v[38:39], off
	v_mov_b32_e32 v10, s18
	v_add_u32_e32 v48, v43, v1
	v_add_u32_e32 v51, 1, v48
	;; [unrolled: 1-line block ×4, first 2 shown]
	s_waitcnt vmcnt(0)
	v_mad_i64_i32 v[8:9], s[0:1], v8, s20, 0
	v_lshlrev_b64 v[8:9], 2, v[8:9]
	v_add_co_u32_e32 v32, vcc, s9, v8
	v_addc_co_u32_e32 v33, vcc, v10, v9, vcc
	v_add_co_u32_e32 v24, vcc, v32, v45
	v_addc_co_u32_e32 v25, vcc, 0, v33, vcc
	global_load_dwordx4 v[12:15], v[24:25], off
	ds_read_b128 v[8:11], v37
	v_cmp_eq_u32_e32 vcc, s21, v36
	s_and_saveexec_b64 s[12:13], vcc
	s_cbranch_execnz .LBB14_61
; %bb.53:                               ;   in Loop: Header=BB14_51 Depth=1
	s_or_b64 exec, exec, s[12:13]
	global_load_dwordx4 v[16:19], v[24:25], off offset:1024
	s_and_saveexec_b64 s[12:13], vcc
	s_cbranch_execnz .LBB14_62
.LBB14_54:                              ;   in Loop: Header=BB14_51 Depth=1
	s_or_b64 exec, exec, s[12:13]
	global_load_dwordx4 v[20:23], v[24:25], off offset:2048
	s_and_saveexec_b64 s[12:13], vcc
	s_cbranch_execnz .LBB14_63
.LBB14_55:                              ;   in Loop: Header=BB14_51 Depth=1
	s_or_b64 exec, exec, s[12:13]
	global_load_dwordx4 v[24:27], v[24:25], off offset:3072
	s_and_saveexec_b64 s[12:13], vcc
	s_cbranch_execz .LBB14_57
.LBB14_56:                              ;   in Loop: Header=BB14_51 Depth=1
	v_cmp_gt_i32_e64 s[0:1], s37, v48
	s_waitcnt vmcnt(0)
	v_cndmask_b32_e64 v24, 0, v24, s[0:1]
	v_cmp_gt_i32_e64 s[0:1], s37, v51
	v_cndmask_b32_e64 v25, 0, v25, s[0:1]
	v_cmp_gt_i32_e64 s[0:1], s37, v50
	;; [unrolled: 2-line block ×3, first 2 shown]
	v_cndmask_b32_e64 v27, 0, v27, s[0:1]
.LBB14_57:                              ;   in Loop: Header=BB14_51 Depth=1
	s_or_b64 exec, exec, s[12:13]
	v_add_co_u32_e64 v28, s[0:1], v32, v46
	v_addc_co_u32_e64 v29, s[0:1], 0, v33, s[0:1]
	global_load_dwordx4 v[28:31], v[28:29], off
	s_and_saveexec_b64 s[12:13], vcc
	s_cbranch_execz .LBB14_59
; %bb.58:                               ;   in Loop: Header=BB14_51 Depth=1
	v_cmp_gt_i32_e64 s[0:1], s37, v48
	s_waitcnt vmcnt(0)
	v_cndmask_b32_e64 v28, 0, v28, s[0:1]
	v_cmp_gt_i32_e64 s[0:1], s37, v51
	v_cndmask_b32_e64 v29, 0, v29, s[0:1]
	v_cmp_gt_i32_e64 s[0:1], s37, v50
	v_cndmask_b32_e64 v30, 0, v30, s[0:1]
	v_cmp_gt_i32_e64 s[0:1], s37, v49
	v_cndmask_b32_e64 v31, 0, v31, s[0:1]
.LBB14_59:                              ;   in Loop: Header=BB14_51 Depth=1
	s_or_b64 exec, exec, s[12:13]
	v_add_co_u32_e64 v32, s[0:1], v32, v47
	v_addc_co_u32_e64 v33, s[0:1], 0, v33, s[0:1]
	global_load_dwordx4 v[32:35], v[32:33], off
	s_and_saveexec_b64 s[0:1], vcc
	s_cbranch_execz .LBB14_49
; %bb.60:                               ;   in Loop: Header=BB14_51 Depth=1
	v_cmp_gt_i32_e32 vcc, s37, v48
	s_waitcnt vmcnt(0)
	v_cndmask_b32_e32 v32, 0, v32, vcc
	v_cmp_gt_i32_e32 vcc, s37, v51
	v_cndmask_b32_e32 v33, 0, v33, vcc
	v_cmp_gt_i32_e32 vcc, s37, v50
	;; [unrolled: 2-line block ×3, first 2 shown]
	v_cndmask_b32_e32 v35, 0, v35, vcc
	s_branch .LBB14_49
.LBB14_61:                              ;   in Loop: Header=BB14_51 Depth=1
	v_cmp_gt_i32_e64 s[0:1], s37, v48
	s_waitcnt vmcnt(0)
	v_cndmask_b32_e64 v12, 0, v12, s[0:1]
	v_cmp_gt_i32_e64 s[0:1], s37, v51
	v_cndmask_b32_e64 v13, 0, v13, s[0:1]
	v_cmp_gt_i32_e64 s[0:1], s37, v50
	;; [unrolled: 2-line block ×3, first 2 shown]
	v_cndmask_b32_e64 v15, 0, v15, s[0:1]
	s_or_b64 exec, exec, s[12:13]
	global_load_dwordx4 v[16:19], v[24:25], off offset:1024
	s_and_saveexec_b64 s[12:13], vcc
	s_cbranch_execz .LBB14_54
.LBB14_62:                              ;   in Loop: Header=BB14_51 Depth=1
	v_cmp_gt_i32_e64 s[0:1], s37, v48
	s_waitcnt vmcnt(0)
	v_cndmask_b32_e64 v16, 0, v16, s[0:1]
	v_cmp_gt_i32_e64 s[0:1], s37, v51
	v_cndmask_b32_e64 v17, 0, v17, s[0:1]
	v_cmp_gt_i32_e64 s[0:1], s37, v50
	v_cndmask_b32_e64 v18, 0, v18, s[0:1]
	v_cmp_gt_i32_e64 s[0:1], s37, v49
	v_cndmask_b32_e64 v19, 0, v19, s[0:1]
	s_or_b64 exec, exec, s[12:13]
	global_load_dwordx4 v[20:23], v[24:25], off offset:2048
	s_and_saveexec_b64 s[12:13], vcc
	s_cbranch_execz .LBB14_55
.LBB14_63:                              ;   in Loop: Header=BB14_51 Depth=1
	v_cmp_gt_i32_e64 s[0:1], s37, v48
	s_waitcnt vmcnt(0)
	v_cndmask_b32_e64 v20, 0, v20, s[0:1]
	v_cmp_gt_i32_e64 s[0:1], s37, v51
	v_cndmask_b32_e64 v21, 0, v21, s[0:1]
	v_cmp_gt_i32_e64 s[0:1], s37, v50
	;; [unrolled: 2-line block ×3, first 2 shown]
	v_cndmask_b32_e64 v23, 0, v23, s[0:1]
	s_or_b64 exec, exec, s[12:13]
	global_load_dwordx4 v[24:27], v[24:25], off offset:3072
	s_and_saveexec_b64 s[12:13], vcc
	s_cbranch_execnz .LBB14_56
	s_branch .LBB14_57
.LBB14_64:
	s_or_b64 exec, exec, s[6:7]
.LBB14_65:
	s_or_b64 exec, exec, s[4:5]
	ds_bpermute_b32 v8, v41, v2
	ds_bpermute_b32 v9, v41, v3
	;; [unrolled: 1-line block ×6, first 2 shown]
	v_and_b32_e32 v1, 0x3c1, v0
	s_waitcnt lgkmcnt(4)
	v_pk_add_f32 v[8:9], v[2:3], v[8:9]
	s_waitcnt lgkmcnt(2)
	v_pk_add_f32 v[2:3], v[4:5], v[10:11]
	v_cmp_eq_u32_e32 vcc, 64, v1
	s_waitcnt lgkmcnt(0)
	v_pk_add_f32 v[4:5], v[6:7], v[12:13]
	s_barrier
	s_and_saveexec_b64 s[0:1], vcc
	s_cbranch_execz .LBB14_67
; %bb.66:
	v_mov_b32_e32 v6, 0x310
	v_lshl_add_u32 v6, v40, 1, v6
	ds_write2_b32 v6, v8, v9 offset1:32
	ds_write2_b32 v6, v2, v3 offset0:64 offset1:96
	ds_write2_b32 v6, v4, v5 offset0:128 offset1:160
.LBB14_67:
	s_or_b64 exec, exec, s[0:1]
	v_cmp_gt_u32_e32 vcc, 64, v0
	s_waitcnt lgkmcnt(0)
	s_barrier
	s_and_saveexec_b64 s[0:1], vcc
	s_cbranch_execz .LBB14_76
; %bb.68:
	v_cmp_eq_u32_e32 vcc, 0, v42
	v_lshrrev_b32_e32 v6, 1, v0
	s_and_saveexec_b64 s[4:5], vcc
	s_cbranch_execnz .LBB14_79
; %bb.69:
	s_or_b64 exec, exec, s[4:5]
	s_and_saveexec_b64 s[4:5], vcc
	s_cbranch_execnz .LBB14_80
.LBB14_70:
	s_or_b64 exec, exec, s[4:5]
	s_and_saveexec_b64 s[4:5], vcc
	s_cbranch_execnz .LBB14_81
.LBB14_71:
	s_or_b64 exec, exec, s[4:5]
	s_and_saveexec_b64 s[4:5], vcc
	s_cbranch_execnz .LBB14_82
.LBB14_72:
	s_or_b64 exec, exec, s[4:5]
	s_and_saveexec_b64 s[4:5], vcc
	s_cbranch_execnz .LBB14_83
.LBB14_73:
	s_or_b64 exec, exec, s[4:5]
	s_and_saveexec_b64 s[4:5], vcc
	s_cbranch_execz .LBB14_75
.LBB14_74:
	v_mov_b32_e32 v7, 0x310
	v_lshl_add_u32 v6, v6, 2, v7
	ds_read_b32 v6, v6 offset:640
	s_waitcnt lgkmcnt(0)
	v_add_f32_e32 v5, v5, v6
.LBB14_75:
	s_or_b64 exec, exec, s[4:5]
.LBB14_76:
	s_or_b64 exec, exec, s[0:1]
	v_cmp_eq_u32_e32 vcc, 0, v1
	s_barrier
	s_and_saveexec_b64 s[0:1], vcc
	s_cbranch_execz .LBB14_78
; %bb.77:
	s_mul_i32 s0, s2, 0xc0
	s_ashr_i32 s1, s0, 31
	s_lshl_b64 s[0:1], s[0:1], 2
	s_add_u32 s2, s28, s0
	s_mul_i32 s0, s33, s30
	s_addc_u32 s3, s29, s1
	s_ashr_i32 s1, s0, 31
	s_lshl_b64 s[0:1], s[0:1], 2
	s_add_u32 s2, s2, s0
	s_mul_i32 s0, s8, 0xc0
	s_addc_u32 s3, s3, s1
	s_ashr_i32 s1, s0, 31
	s_lshl_b64 s[0:1], s[0:1], 2
	s_add_u32 s0, s2, s0
	s_addc_u32 s1, s3, s1
	v_lshlrev_b32_e32 v0, 1, v0
	global_store_dword v0, v8, s[0:1]
	global_store_dword v0, v9, s[0:1] offset:128
	global_store_dword v0, v2, s[0:1] offset:256
	;; [unrolled: 1-line block ×5, first 2 shown]
.LBB14_78:
	s_endpgm
.LBB14_79:
	v_mov_b32_e32 v7, 0x310
	v_lshl_add_u32 v7, v6, 2, v7
	ds_read_b32 v7, v7
	s_waitcnt lgkmcnt(0)
	v_add_f32_e32 v8, v8, v7
	s_or_b64 exec, exec, s[4:5]
	s_and_saveexec_b64 s[4:5], vcc
	s_cbranch_execz .LBB14_70
.LBB14_80:
	v_mov_b32_e32 v7, 0x310
	v_lshl_add_u32 v7, v6, 2, v7
	ds_read_b32 v7, v7 offset:128
	s_waitcnt lgkmcnt(0)
	v_add_f32_e32 v9, v9, v7
	s_or_b64 exec, exec, s[4:5]
	s_and_saveexec_b64 s[4:5], vcc
	s_cbranch_execz .LBB14_71
.LBB14_81:
	v_mov_b32_e32 v7, 0x310
	v_lshl_add_u32 v7, v6, 2, v7
	ds_read_b32 v7, v7 offset:256
	s_waitcnt lgkmcnt(0)
	v_add_f32_e32 v2, v2, v7
	s_or_b64 exec, exec, s[4:5]
	s_and_saveexec_b64 s[4:5], vcc
	s_cbranch_execz .LBB14_72
.LBB14_82:
	v_mov_b32_e32 v7, 0x310
	v_lshl_add_u32 v7, v6, 2, v7
	ds_read_b32 v7, v7 offset:384
	s_waitcnt lgkmcnt(0)
	v_add_f32_e32 v3, v3, v7
	s_or_b64 exec, exec, s[4:5]
	s_and_saveexec_b64 s[4:5], vcc
	s_cbranch_execz .LBB14_73
.LBB14_83:
	v_mov_b32_e32 v7, 0x310
	v_lshl_add_u32 v7, v6, 2, v7
	ds_read_b32 v7, v7 offset:512
	s_waitcnt lgkmcnt(0)
	v_add_f32_e32 v4, v4, v7
	s_or_b64 exec, exec, s[4:5]
	s_and_saveexec_b64 s[4:5], vcc
	s_cbranch_execnz .LBB14_74
	s_branch .LBB14_75
	.section	.rodata,"a",@progbits
	.p2align	6, 0x0
	.amdhsa_kernel _ZN4vllm25paged_attention_v2_kernelIffLi192ELi8ELi128ELNS_18Fp8KVCacheDataTypeE0ELb1ELi512EEEvPfS2_PT_PKS3_PKT0_S9_ifPKiSB_iPKfiiiSD_SD_iiiii
		.amdhsa_group_segment_fixed_size 784
		.amdhsa_private_segment_fixed_size 0
		.amdhsa_kernarg_size 400
		.amdhsa_user_sgpr_count 6
		.amdhsa_user_sgpr_private_segment_buffer 1
		.amdhsa_user_sgpr_dispatch_ptr 0
		.amdhsa_user_sgpr_queue_ptr 0
		.amdhsa_user_sgpr_kernarg_segment_ptr 1
		.amdhsa_user_sgpr_dispatch_id 0
		.amdhsa_user_sgpr_flat_scratch_init 0
		.amdhsa_user_sgpr_kernarg_preload_length 0
		.amdhsa_user_sgpr_kernarg_preload_offset 0
		.amdhsa_user_sgpr_private_segment_size 0
		.amdhsa_uses_dynamic_stack 0
		.amdhsa_system_sgpr_private_segment_wavefront_offset 0
		.amdhsa_system_sgpr_workgroup_id_x 1
		.amdhsa_system_sgpr_workgroup_id_y 1
		.amdhsa_system_sgpr_workgroup_id_z 1
		.amdhsa_system_sgpr_workgroup_info 0
		.amdhsa_system_vgpr_workitem_id 0
		.amdhsa_next_free_vgpr 82
		.amdhsa_next_free_sgpr 52
		.amdhsa_accum_offset 84
		.amdhsa_reserve_vcc 1
		.amdhsa_reserve_flat_scratch 0
		.amdhsa_float_round_mode_32 0
		.amdhsa_float_round_mode_16_64 0
		.amdhsa_float_denorm_mode_32 3
		.amdhsa_float_denorm_mode_16_64 3
		.amdhsa_dx10_clamp 1
		.amdhsa_ieee_mode 1
		.amdhsa_fp16_overflow 0
		.amdhsa_tg_split 0
		.amdhsa_exception_fp_ieee_invalid_op 0
		.amdhsa_exception_fp_denorm_src 0
		.amdhsa_exception_fp_ieee_div_zero 0
		.amdhsa_exception_fp_ieee_overflow 0
		.amdhsa_exception_fp_ieee_underflow 0
		.amdhsa_exception_fp_ieee_inexact 0
		.amdhsa_exception_int_div_zero 0
	.end_amdhsa_kernel
	.section	.text._ZN4vllm25paged_attention_v2_kernelIffLi192ELi8ELi128ELNS_18Fp8KVCacheDataTypeE0ELb1ELi512EEEvPfS2_PT_PKS3_PKT0_S9_ifPKiSB_iPKfiiiSD_SD_iiiii,"axG",@progbits,_ZN4vllm25paged_attention_v2_kernelIffLi192ELi8ELi128ELNS_18Fp8KVCacheDataTypeE0ELb1ELi512EEEvPfS2_PT_PKS3_PKT0_S9_ifPKiSB_iPKfiiiSD_SD_iiiii,comdat
.Lfunc_end14:
	.size	_ZN4vllm25paged_attention_v2_kernelIffLi192ELi8ELi128ELNS_18Fp8KVCacheDataTypeE0ELb1ELi512EEEvPfS2_PT_PKS3_PKT0_S9_ifPKiSB_iPKfiiiSD_SD_iiiii, .Lfunc_end14-_ZN4vllm25paged_attention_v2_kernelIffLi192ELi8ELi128ELNS_18Fp8KVCacheDataTypeE0ELb1ELi512EEEvPfS2_PT_PKS3_PKT0_S9_ifPKiSB_iPKfiiiSD_SD_iiiii
                                        ; -- End function
	.section	.AMDGPU.csdata,"",@progbits
; Kernel info:
; codeLenInByte = 5792
; NumSgprs: 56
; NumVgprs: 82
; NumAgprs: 0
; TotalNumVgprs: 82
; ScratchSize: 0
; MemoryBound: 0
; FloatMode: 240
; IeeeMode: 1
; LDSByteSize: 784 bytes/workgroup (compile time only)
; SGPRBlocks: 6
; VGPRBlocks: 10
; NumSGPRsForWavesPerEU: 56
; NumVGPRsForWavesPerEU: 82
; AccumOffset: 84
; Occupancy: 5
; WaveLimiterHint : 1
; COMPUTE_PGM_RSRC2:SCRATCH_EN: 0
; COMPUTE_PGM_RSRC2:USER_SGPR: 6
; COMPUTE_PGM_RSRC2:TRAP_HANDLER: 0
; COMPUTE_PGM_RSRC2:TGID_X_EN: 1
; COMPUTE_PGM_RSRC2:TGID_Y_EN: 1
; COMPUTE_PGM_RSRC2:TGID_Z_EN: 1
; COMPUTE_PGM_RSRC2:TIDIG_COMP_CNT: 0
; COMPUTE_PGM_RSRC3_GFX90A:ACCUM_OFFSET: 20
; COMPUTE_PGM_RSRC3_GFX90A:TG_SPLIT: 0
	.section	.text._ZN4vllm32paged_attention_v2_reduce_kernelIfLi192ELi128ELi512EEEvPT_PKfS4_PKS1_PKii,"axG",@progbits,_ZN4vllm32paged_attention_v2_reduce_kernelIfLi192ELi128ELi512EEEvPT_PKfS4_PKS1_PKii,comdat
	.protected	_ZN4vllm32paged_attention_v2_reduce_kernelIfLi192ELi128ELi512EEEvPT_PKfS4_PKS1_PKii ; -- Begin function _ZN4vllm32paged_attention_v2_reduce_kernelIfLi192ELi128ELi512EEEvPT_PKfS4_PKS1_PKii
	.globl	_ZN4vllm32paged_attention_v2_reduce_kernelIfLi192ELi128ELi512EEEvPT_PKfS4_PKS1_PKii
	.p2align	8
	.type	_ZN4vllm32paged_attention_v2_reduce_kernelIfLi192ELi128ELi512EEEvPT_PKfS4_PKS1_PKii,@function
_ZN4vllm32paged_attention_v2_reduce_kernelIfLi192ELi128ELi512EEEvPT_PKfS4_PKS1_PKii: ; @_ZN4vllm32paged_attention_v2_reduce_kernelIfLi192ELi128ELi512EEEvPT_PKfS4_PKS1_PKii
; %bb.0:
	s_load_dwordx4 s[8:11], s[4:5], 0x18
	s_add_u32 s12, s4, 48
	s_mov_b32 s14, s7
	s_addc_u32 s13, s5, 0
	s_ashr_i32 s15, s7, 31
	s_lshl_b64 s[0:1], s[14:15], 2
	s_waitcnt lgkmcnt(0)
	s_add_u32 s0, s10, s0
	s_addc_u32 s1, s11, s1
	s_load_dword s22, s[0:1], 0x0
	s_load_dwordx2 s[10:11], s[4:5], 0x0
	s_load_dword s7, s[4:5], 0x28
	s_load_dword s15, s[4:5], 0x30
	s_waitcnt lgkmcnt(0)
	s_add_i32 s0, s22, -1
	s_cmpk_gt_u32 s0, 0x1ff
	s_mov_b64 s[0:1], -1
	s_cbranch_scc0 .LBB15_24
; %bb.1:
	s_add_i32 s0, s22, 0x1ff
	s_load_dwordx2 s[20:21], s[4:5], 0x8
	s_ashr_i32 s1, s0, 31
	s_lshr_b32 s1, s1, 23
	s_add_i32 s0, s0, s1
	s_mul_i32 s24, s15, s14
	s_ashr_i32 s23, s0, 9
	s_mul_i32 s16, s24, s7
	s_mul_i32 s18, s6, s7
	s_ashr_i32 s17, s16, 31
	s_ashr_i32 s19, s18, 31
	v_cmp_gt_i32_e32 vcc, s23, v0
	v_mov_b32_e32 v4, 0xff7fffff
	s_and_saveexec_b64 s[2:3], vcc
	s_cbranch_execz .LBB15_5
; %bb.2:
	s_load_dword s25, s[12:13], 0xc
	s_load_dwordx2 s[0:1], s[4:5], 0x10
	s_lshl_b64 s[4:5], s[16:17], 2
	s_lshl_b64 s[26:27], s[18:19], 2
	v_lshlrev_b32_e32 v1, 2, v0
	s_waitcnt lgkmcnt(0)
	s_and_b32 s25, s25, 0xffff
	s_add_u32 s4, s4, s26
	s_addc_u32 s5, s5, s27
	s_add_u32 s0, s0, s4
	s_addc_u32 s1, s1, s5
	s_mov_b32 s28, 0
	v_mov_b32_e32 v3, s1
	v_add_co_u32_e64 v2, s[0:1], s0, v1
	v_addc_co_u32_e64 v3, s[0:1], 0, v3, s[0:1]
	s_lshl_b32 s26, s25, 2
	v_add_u32_e32 v1, 16, v1
	s_mov_b64 s[4:5], 0
	v_mov_b32_e32 v4, 0xff7fffff
	v_mov_b32_e32 v5, s28
	;; [unrolled: 1-line block ×3, first 2 shown]
.LBB15_3:                               ; =>This Inner Loop Header: Depth=1
	global_load_dword v7, v[2:3], off
	v_add_co_u32_e64 v2, s[0:1], s26, v2
	v_add_u32_e32 v6, s25, v6
	v_addc_co_u32_e64 v3, s[0:1], v3, v5, s[0:1]
	v_max_f32_e32 v4, v4, v4
	v_cmp_le_i32_e64 s[0:1], s23, v6
	s_or_b64 s[4:5], s[0:1], s[4:5]
	s_waitcnt vmcnt(0)
	ds_write_b32 v1, v7
	v_max_f32_e32 v7, v7, v7
	v_add_u32_e32 v1, s26, v1
	v_max_f32_e32 v4, v4, v7
	s_andn2_b64 exec, exec, s[4:5]
	s_cbranch_execnz .LBB15_3
; %bb.4:
	s_or_b64 exec, exec, s[4:5]
.LBB15_5:
	s_or_b64 exec, exec, s[2:3]
	v_mbcnt_lo_u32_b32 v1, -1, 0
	v_mbcnt_hi_u32_b32 v2, -1, v1
	v_and_b32_e32 v1, 64, v2
	v_add_u32_e32 v5, 64, v1
	v_xor_b32_e32 v1, 32, v2
	v_cmp_lt_i32_e64 s[0:1], v1, v5
	v_cndmask_b32_e64 v1, v2, v1, s[0:1]
	v_lshlrev_b32_e32 v1, 2, v1
	ds_bpermute_b32 v3, v1, v4
	v_xor_b32_e32 v6, 16, v2
	v_max_f32_e32 v4, v4, v4
	v_cmp_lt_i32_e64 s[0:1], v6, v5
	v_xor_b32_e32 v7, 8, v2
	s_waitcnt lgkmcnt(0)
	v_max_f32_e32 v3, v3, v3
	v_max_f32_e32 v3, v4, v3
	v_cndmask_b32_e64 v4, v2, v6, s[0:1]
	v_lshlrev_b32_e32 v6, 2, v4
	ds_bpermute_b32 v4, v6, v3
	v_cmp_lt_i32_e64 s[0:1], v7, v5
	v_xor_b32_e32 v8, 4, v2
	s_waitcnt lgkmcnt(0)
	s_barrier
	v_max_f32_e32 v4, v4, v4
	v_max_f32_e32 v3, v3, v4
	v_cndmask_b32_e64 v4, v2, v7, s[0:1]
	v_lshlrev_b32_e32 v7, 2, v4
	ds_bpermute_b32 v4, v7, v3
	v_cmp_lt_i32_e64 s[0:1], v8, v5
	s_waitcnt lgkmcnt(0)
	v_max_f32_e32 v4, v4, v4
	v_max_f32_e32 v3, v3, v4
	v_cndmask_b32_e64 v4, v2, v8, s[0:1]
	v_lshlrev_b32_e32 v9, 2, v4
	ds_bpermute_b32 v4, v9, v3
	v_xor_b32_e32 v8, 2, v2
	v_cmp_lt_i32_e64 s[0:1], v8, v5
	s_waitcnt lgkmcnt(0)
	v_max_f32_e32 v4, v4, v4
	v_max_f32_e32 v3, v3, v4
	v_cndmask_b32_e64 v4, v2, v8, s[0:1]
	v_lshlrev_b32_e32 v10, 2, v4
	ds_bpermute_b32 v11, v10, v3
	v_and_b32_e32 v4, 63, v0
	v_lshrrev_b32_e32 v8, 6, v0
	s_waitcnt lgkmcnt(0)
	v_max_f32_e32 v11, v11, v11
	v_max_f32_e32 v3, v3, v11
	v_xor_b32_e32 v11, 1, v2
	v_cmp_lt_i32_e64 s[0:1], v11, v5
	v_cndmask_b32_e64 v5, v2, v11, s[0:1]
	v_lshlrev_b32_e32 v5, 2, v5
	ds_bpermute_b32 v11, v5, v3
	v_cmp_eq_u32_e64 s[0:1], 0, v4
	s_and_saveexec_b64 s[2:3], s[0:1]
	s_cbranch_execz .LBB15_7
; %bb.6:
	s_waitcnt lgkmcnt(0)
	v_max_f32_e32 v11, v11, v11
	v_max_f32_e32 v3, v3, v3
	v_max_f32_e32 v3, v3, v11
	v_lshlrev_b32_e32 v11, 2, v8
	ds_write_b32 v11, v3
.LBB15_7:
	s_or_b64 exec, exec, s[2:3]
	v_cmp_gt_u32_e64 s[2:3], 2, v4
	v_mov_b32_e32 v3, 0xff7fffff
	s_waitcnt lgkmcnt(0)
	s_barrier
	s_and_saveexec_b64 s[4:5], s[2:3]
	s_cbranch_execz .LBB15_9
; %bb.8:
	v_lshlrev_b32_e32 v3, 2, v4
	ds_read_b32 v3, v3
.LBB15_9:
	s_or_b64 exec, exec, s[4:5]
	s_waitcnt lgkmcnt(0)
	ds_bpermute_b32 v11, v5, v3
	v_max_f32_e32 v3, v3, v3
	v_lshlrev_b32_e32 v2, 2, v2
	s_lshl_b32 s25, s23, 2
	v_mov_b32_e32 v13, 0
	s_waitcnt lgkmcnt(0)
	v_max_f32_e32 v11, v11, v11
	v_max_f32_e32 v3, v3, v11
	v_and_b32_e32 v11, 0x100, v2
	ds_bpermute_b32 v12, v11, v3
	s_and_saveexec_b64 s[4:5], vcc
	s_cbranch_execz .LBB15_13
; %bb.10:
	s_load_dword s30, s[12:13], 0xc
	s_lshl_b64 s[26:27], s[16:17], 2
	s_lshl_b64 s[28:29], s[18:19], 2
	v_lshlrev_b32_e32 v13, 2, v0
	s_mov_b32 s31, 0
	s_waitcnt lgkmcnt(0)
	s_and_b32 s17, s30, 0xffff
	s_add_u32 s19, s26, s28
	s_addc_u32 s26, s27, s29
	s_add_u32 s19, s20, s19
	s_addc_u32 s20, s21, s26
	v_mov_b32_e32 v3, s20
	v_add_co_u32_e32 v2, vcc, s19, v13
	v_addc_co_u32_e32 v3, vcc, 0, v3, vcc
	s_lshl_b32 s19, s17, 2
	v_add_u32_e32 v14, 16, v13
	s_mov_b64 s[20:21], 0
	v_mov_b32_e32 v13, 0
	s_mov_b32 s26, 0x3fb8aa3b
	s_mov_b32 s27, 0xc2ce8ed0
	;; [unrolled: 1-line block ×3, first 2 shown]
	v_mov_b32_e32 v15, 0x7f800000
	v_mov_b32_e32 v16, s31
	;; [unrolled: 1-line block ×3, first 2 shown]
.LBB15_11:                              ; =>This Inner Loop Header: Depth=1
	global_load_dword v18, v[2:3], off
	ds_read_b32 v19, v14
	v_add_co_u32_e32 v2, vcc, s19, v2
	v_add_u32_e32 v17, s17, v17
	v_addc_co_u32_e32 v3, vcc, v3, v16, vcc
	s_waitcnt lgkmcnt(0)
	v_sub_f32_e32 v19, v19, v12
	v_mul_f32_e32 v21, 0x3fb8aa3b, v19
	v_fma_f32 v22, v19, s26, -v21
	v_rndne_f32_e32 v23, v21
	v_fmac_f32_e32 v22, 0x32a5705f, v19
	v_sub_f32_e32 v21, v21, v23
	v_add_f32_e32 v21, v21, v22
	v_cvt_i32_f32_e32 v23, v23
	v_exp_f32_e32 v21, v21
	v_cmp_le_i32_e32 vcc, s23, v17
	s_or_b64 s[20:21], vcc, s[20:21]
	v_cmp_ngt_f32_e32 vcc, s27, v19
	v_ldexp_f32 v21, v21, v23
	v_cndmask_b32_e32 v21, 0, v21, vcc
	v_cmp_nlt_f32_e32 vcc, s28, v19
	v_cndmask_b32_e32 v19, v15, v21, vcc
	v_add_u32_e32 v20, s25, v14
	v_add_u32_e32 v14, s19, v14
	s_waitcnt vmcnt(0)
	v_mul_f32_e32 v21, v18, v19
	v_fmac_f32_e32 v13, v18, v19
	ds_write_b32 v20, v21
	s_andn2_b64 exec, exec, s[20:21]
	s_cbranch_execnz .LBB15_11
; %bb.12:
	s_or_b64 exec, exec, s[20:21]
.LBB15_13:
	s_or_b64 exec, exec, s[4:5]
	ds_bpermute_b32 v1, v1, v13
	s_waitcnt lgkmcnt(0)
	s_barrier
	v_add_f32_e32 v1, v13, v1
	ds_bpermute_b32 v2, v6, v1
	s_waitcnt lgkmcnt(0)
	v_add_f32_e32 v1, v1, v2
	ds_bpermute_b32 v2, v7, v1
	s_waitcnt lgkmcnt(0)
	;; [unrolled: 3-line block ×5, first 2 shown]
	v_add_f32_e32 v1, v1, v2
	s_and_saveexec_b64 s[4:5], s[0:1]
	s_cbranch_execz .LBB15_15
; %bb.14:
	v_lshlrev_b32_e32 v2, 2, v8
	ds_write_b32 v2, v1 offset:8
.LBB15_15:
	s_or_b64 exec, exec, s[4:5]
	s_waitcnt lgkmcnt(0)
	s_barrier
	s_and_saveexec_b64 s[0:1], s[2:3]
	s_cbranch_execz .LBB15_17
; %bb.16:
	v_lshlrev_b32_e32 v1, 2, v4
	ds_read_b32 v1, v1 offset:8
.LBB15_17:
	s_or_b64 exec, exec, s[0:1]
	s_waitcnt lgkmcnt(0)
	ds_bpermute_b32 v2, v5, v1
	s_movk_i32 s0, 0xc0
	v_cmp_gt_u32_e32 vcc, s0, v0
	s_waitcnt lgkmcnt(0)
	v_add_f32_e32 v1, v1, v2
	ds_bpermute_b32 v1, v11, v1
	s_and_saveexec_b64 s[2:3], vcc
	s_cbranch_execz .LBB15_23
; %bb.18:
	s_waitcnt lgkmcnt(0)
	v_add_f32_e32 v1, 0x358637bd, v1
	v_div_scale_f32 v2, s[0:1], v1, v1, 1.0
	s_mul_i32 s0, s16, 0xc0
	s_mul_i32 s16, s24, 0xc0
	;; [unrolled: 1-line block ×3, first 2 shown]
	s_ashr_i32 s17, s16, 31
	v_rcp_f32_e32 v3, v2
	s_ashr_i32 s1, s0, 31
	s_ashr_i32 s5, s4, 31
	s_lshl_b64 s[16:17], s[16:17], 2
	s_add_u32 s18, s10, s16
	s_mul_i32 s16, s6, 0xc0
	s_addc_u32 s19, s11, s17
	s_ashr_i32 s17, s16, 31
	s_lshl_b64 s[16:17], s[16:17], 2
	v_fma_f32 v5, -v2, v3, 1.0
	s_add_u32 s16, s18, s16
	v_div_scale_f32 v4, vcc, 1.0, v1, 1.0
	v_fmac_f32_e32 v3, v5, v3
	s_addc_u32 s19, s19, s17
	s_add_i32 s17, s25, 16
	v_mul_f32_e32 v5, v4, v3
	s_cmp_gt_i32 s22, 0
	v_fma_f32 v6, -v2, v5, v4
	s_cselect_b64 s[20:21], -1, 0
	s_max_i32 s18, s23, 1
	s_lshl_b64 s[0:1], s[0:1], 2
	s_lshl_b64 s[4:5], s[4:5], 2
	v_fmac_f32_e32 v5, v6, v3
	s_add_u32 s0, s0, s4
	v_fma_f32 v2, -v2, v5, v4
	s_addc_u32 s1, s1, s5
	v_div_fmas_f32 v2, v2, v3, v5
	s_add_u32 s0, s8, s0
	v_div_fixup_f32 v1, v2, v1, 1.0
	v_lshlrev_b32_e32 v2, 2, v0
	s_addc_u32 s1, s9, s1
	v_mov_b32_e32 v5, s1
	v_add_co_u32_e32 v4, vcc, s0, v2
	v_cndmask_b32_e64 v2, 0, 1, s[20:21]
	v_mov_b32_e32 v3, 0
	v_addc_co_u32_e32 v5, vcc, 0, v5, vcc
	s_mov_b64 s[4:5], 0
	v_cmp_ne_u32_e64 s[0:1], 1, v2
	v_mov_b32_e32 v8, s19
	v_mov_b32_e32 v2, v0
	s_branch .LBB15_20
.LBB15_19:                              ;   in Loop: Header=BB15_20 Depth=1
	v_lshlrev_b64 v[6:7], 2, v[2:3]
	v_add_co_u32_e32 v6, vcc, s16, v6
	v_addc_co_u32_e32 v7, vcc, v8, v7, vcc
	v_add_co_u32_e32 v4, vcc, 0x200, v4
	v_addc_co_u32_e32 v5, vcc, 0, v5, vcc
	global_store_dword v[6:7], v9, off
	v_add_u32_e32 v6, 0x80, v2
	v_cmp_lt_u32_e32 vcc, 63, v2
	s_or_b64 s[4:5], vcc, s[4:5]
	v_mov_b32_e32 v2, v6
	s_andn2_b64 exec, exec, s[4:5]
	s_cbranch_execz .LBB15_23
.LBB15_20:                              ; =>This Loop Header: Depth=1
                                        ;     Child Loop BB15_22 Depth 2
	s_and_b64 vcc, exec, s[0:1]
	v_mov_b32_e32 v9, 0
	s_cbranch_vccnz .LBB15_19
; %bb.21:                               ;   in Loop: Header=BB15_20 Depth=1
	v_mov_b32_e32 v9, 0
	s_mov_b32 s19, s17
	v_pk_mov_b32 v[6:7], v[4:5], v[4:5] op_sel:[0,1]
	s_mov_b32 s20, s18
.LBB15_22:                              ;   Parent Loop BB15_20 Depth=1
                                        ; =>  This Inner Loop Header: Depth=2
	global_load_dword v10, v[6:7], off
	v_mov_b32_e32 v11, s19
	ds_read_b32 v11, v11
	s_add_i32 s20, s20, -1
	v_add_co_u32_e32 v6, vcc, 0x300, v6
	s_add_i32 s19, s19, 4
	v_addc_co_u32_e32 v7, vcc, 0, v7, vcc
	s_cmp_eq_u32 s20, 0
	s_waitcnt vmcnt(0) lgkmcnt(0)
	v_mul_f32_e32 v10, v10, v11
	v_fmac_f32_e32 v9, v1, v10
	s_cbranch_scc0 .LBB15_22
	s_branch .LBB15_19
.LBB15_23:
	s_or_b64 exec, exec, s[2:3]
	s_mov_b64 s[0:1], 0
.LBB15_24:
	s_and_b64 vcc, exec, s[0:1]
	s_cbranch_vccz .LBB15_33
; %bb.25:
	s_movk_i32 s0, 0xc0
	v_cmp_gt_u32_e32 vcc, s0, v0
	s_and_saveexec_b64 s[2:3], vcc
	s_cbranch_execz .LBB15_33
; %bb.26:
	s_mul_i32 s1, s15, s14
	s_mul_i32 s2, s1, 0xc0
	s_ashr_i32 s3, s2, 31
	s_lshl_b64 s[4:5], s[2:3], 2
	s_add_u32 s1, s10, s4
	s_mul_i32 s14, s6, 0xc0
	s_addc_u32 s3, s11, s5
	s_ashr_i32 s15, s14, 31
	s_lshl_b64 s[4:5], s[14:15], 2
	s_add_u32 s4, s1, s4
	s_mul_i32 s2, s2, s7
	s_addc_u32 s10, s3, s5
	s_ashr_i32 s3, s2, 31
	s_lshl_b64 s[2:3], s[2:3], 2
	s_add_u32 s1, s8, s2
	s_load_dword s8, s[12:13], 0xc
	s_mul_i32 s2, s14, s7
	s_addc_u32 s6, s9, s3
	s_ashr_i32 s3, s2, 31
	s_lshl_b64 s[2:3], s[2:3], 2
	s_add_u32 s5, s1, s2
	s_addc_u32 s7, s6, s3
	s_waitcnt lgkmcnt(0)
	s_and_b32 s6, s8, 0xffff
	v_cvt_f32_u32_e32 v1, s6
	v_add_u32_e32 v2, s6, v0
	v_mov_b32_e32 v4, s6
	v_cmp_gt_u32_e32 vcc, s0, v2
	v_rcp_iflag_f32_e32 v1, v1
	s_cmp_eq_u32 s6, 1
	v_max_u32_e32 v3, 0xc0, v2
	v_addc_co_u32_e64 v2, s[0:1], v0, v4, vcc
	v_mul_f32_e32 v1, 0x4f7ffffe, v1
	v_cvt_u32_f32_e32 v1, v1
	s_cselect_b64 s[2:3], -1, 0
	s_sub_i32 s0, 0, s6
	v_sub_u32_e32 v2, v3, v2
	v_mul_lo_u32 v3, s0, v1
	v_mul_hi_u32 v3, v1, v3
	v_add_u32_e32 v1, v1, v3
	v_mul_hi_u32 v1, v2, v1
	v_mul_lo_u32 v3, v1, s6
	v_sub_u32_e32 v2, v2, v3
	v_add_u32_e32 v3, 1, v1
	v_cmp_le_u32_e64 s[0:1], s6, v2
	v_cndmask_b32_e64 v1, v1, v3, s[0:1]
	v_subrev_u32_e32 v3, s6, v2
	v_cndmask_b32_e64 v2, v2, v3, s[0:1]
	v_add_u32_e32 v3, 1, v1
	v_cmp_le_u32_e64 s[0:1], s6, v2
	v_cndmask_b32_e64 v1, v1, v3, s[0:1]
	v_addc_co_u32_e32 v1, vcc, 1, v1, vcc
	v_cmp_lt_u32_e32 vcc, 3, v1
	s_and_b64 s[8:9], vcc, s[2:3]
	s_mov_b64 s[2:3], -1
	s_and_saveexec_b64 s[0:1], s[8:9]
	s_cbranch_execz .LBB15_30
; %bb.27:
	v_and_b32_e32 v4, -4, v1
	s_mov_b64 s[2:3], 0
	v_mov_b32_e32 v3, 0
	v_mov_b32_e32 v5, s7
	;; [unrolled: 1-line block ×5, first 2 shown]
.LBB15_28:                              ; =>This Inner Loop Header: Depth=1
	v_lshlrev_b64 v[12:13], 2, v[2:3]
	v_add_co_u32_e32 v8, vcc, s5, v12
	v_addc_co_u32_e32 v9, vcc, v5, v13, vcc
	global_load_dwordx4 v[8:11], v[8:9], off
	v_add_co_u32_e32 v12, vcc, s4, v12
	v_add_u32_e32 v7, -4, v7
	v_addc_co_u32_e32 v13, vcc, v6, v13, vcc
	v_cmp_eq_u32_e32 vcc, 0, v7
	v_add_u32_e32 v2, 4, v2
	s_or_b64 s[2:3], vcc, s[2:3]
	s_waitcnt vmcnt(0)
	global_store_dwordx4 v[12:13], v[8:11], off
	s_andn2_b64 exec, exec, s[2:3]
	s_cbranch_execnz .LBB15_28
; %bb.29:
	s_or_b64 exec, exec, s[2:3]
	v_cmp_ne_u32_e32 vcc, v1, v4
	v_add_u32_e32 v0, v0, v4
	s_orn2_b64 s[2:3], vcc, exec
.LBB15_30:
	s_or_b64 exec, exec, s[0:1]
	s_and_b64 exec, exec, s[2:3]
	s_cbranch_execz .LBB15_33
; %bb.31:
	s_mov_b32 s3, 0
	v_mov_b32_e32 v1, 0
	v_lshlrev_b64 v[2:3], 2, v[0:1]
	s_lshl_b32 s2, s6, 2
	s_mov_b64 s[0:1], 0
	v_mov_b32_e32 v1, s7
	v_mov_b32_e32 v4, s10
	;; [unrolled: 1-line block ×3, first 2 shown]
	s_movk_i32 s3, 0xbf
.LBB15_32:                              ; =>This Inner Loop Header: Depth=1
	v_add_co_u32_e32 v6, vcc, s5, v2
	v_addc_co_u32_e32 v7, vcc, v1, v3, vcc
	global_load_dword v8, v[6:7], off
	v_add_co_u32_e32 v6, vcc, s4, v2
	v_addc_co_u32_e32 v7, vcc, v4, v3, vcc
	v_add_co_u32_e32 v2, vcc, s2, v2
	v_add_u32_e32 v0, s6, v0
	v_addc_co_u32_e32 v3, vcc, v3, v5, vcc
	v_cmp_lt_u32_e32 vcc, s3, v0
	s_or_b64 s[0:1], vcc, s[0:1]
	s_waitcnt vmcnt(0)
	global_store_dword v[6:7], v8, off
	s_andn2_b64 exec, exec, s[0:1]
	s_cbranch_execnz .LBB15_32
.LBB15_33:
	s_endpgm
	.section	.rodata,"a",@progbits
	.p2align	6, 0x0
	.amdhsa_kernel _ZN4vllm32paged_attention_v2_reduce_kernelIfLi192ELi128ELi512EEEvPT_PKfS4_PKS1_PKii
		.amdhsa_group_segment_fixed_size 16
		.amdhsa_private_segment_fixed_size 0
		.amdhsa_kernarg_size 304
		.amdhsa_user_sgpr_count 6
		.amdhsa_user_sgpr_private_segment_buffer 1
		.amdhsa_user_sgpr_dispatch_ptr 0
		.amdhsa_user_sgpr_queue_ptr 0
		.amdhsa_user_sgpr_kernarg_segment_ptr 1
		.amdhsa_user_sgpr_dispatch_id 0
		.amdhsa_user_sgpr_flat_scratch_init 0
		.amdhsa_user_sgpr_kernarg_preload_length 0
		.amdhsa_user_sgpr_kernarg_preload_offset 0
		.amdhsa_user_sgpr_private_segment_size 0
		.amdhsa_uses_dynamic_stack 0
		.amdhsa_system_sgpr_private_segment_wavefront_offset 0
		.amdhsa_system_sgpr_workgroup_id_x 1
		.amdhsa_system_sgpr_workgroup_id_y 1
		.amdhsa_system_sgpr_workgroup_id_z 0
		.amdhsa_system_sgpr_workgroup_info 0
		.amdhsa_system_vgpr_workitem_id 0
		.amdhsa_next_free_vgpr 24
		.amdhsa_next_free_sgpr 32
		.amdhsa_accum_offset 24
		.amdhsa_reserve_vcc 1
		.amdhsa_reserve_flat_scratch 0
		.amdhsa_float_round_mode_32 0
		.amdhsa_float_round_mode_16_64 0
		.amdhsa_float_denorm_mode_32 3
		.amdhsa_float_denorm_mode_16_64 3
		.amdhsa_dx10_clamp 1
		.amdhsa_ieee_mode 1
		.amdhsa_fp16_overflow 0
		.amdhsa_tg_split 0
		.amdhsa_exception_fp_ieee_invalid_op 0
		.amdhsa_exception_fp_denorm_src 0
		.amdhsa_exception_fp_ieee_div_zero 0
		.amdhsa_exception_fp_ieee_overflow 0
		.amdhsa_exception_fp_ieee_underflow 0
		.amdhsa_exception_fp_ieee_inexact 0
		.amdhsa_exception_int_div_zero 0
	.end_amdhsa_kernel
	.section	.text._ZN4vllm32paged_attention_v2_reduce_kernelIfLi192ELi128ELi512EEEvPT_PKfS4_PKS1_PKii,"axG",@progbits,_ZN4vllm32paged_attention_v2_reduce_kernelIfLi192ELi128ELi512EEEvPT_PKfS4_PKS1_PKii,comdat
.Lfunc_end15:
	.size	_ZN4vllm32paged_attention_v2_reduce_kernelIfLi192ELi128ELi512EEEvPT_PKfS4_PKS1_PKii, .Lfunc_end15-_ZN4vllm32paged_attention_v2_reduce_kernelIfLi192ELi128ELi512EEEvPT_PKfS4_PKS1_PKii
                                        ; -- End function
	.section	.AMDGPU.csdata,"",@progbits
; Kernel info:
; codeLenInByte = 2248
; NumSgprs: 36
; NumVgprs: 24
; NumAgprs: 0
; TotalNumVgprs: 24
; ScratchSize: 0
; MemoryBound: 0
; FloatMode: 240
; IeeeMode: 1
; LDSByteSize: 16 bytes/workgroup (compile time only)
; SGPRBlocks: 4
; VGPRBlocks: 2
; NumSGPRsForWavesPerEU: 36
; NumVGPRsForWavesPerEU: 24
; AccumOffset: 24
; Occupancy: 8
; WaveLimiterHint : 0
; COMPUTE_PGM_RSRC2:SCRATCH_EN: 0
; COMPUTE_PGM_RSRC2:USER_SGPR: 6
; COMPUTE_PGM_RSRC2:TRAP_HANDLER: 0
; COMPUTE_PGM_RSRC2:TGID_X_EN: 1
; COMPUTE_PGM_RSRC2:TGID_Y_EN: 1
; COMPUTE_PGM_RSRC2:TGID_Z_EN: 0
; COMPUTE_PGM_RSRC2:TIDIG_COMP_CNT: 0
; COMPUTE_PGM_RSRC3_GFX90A:ACCUM_OFFSET: 5
; COMPUTE_PGM_RSRC3_GFX90A:TG_SPLIT: 0
	.section	.text._ZN4vllm25paged_attention_v2_kernelIffLi256ELi8ELi128ELNS_18Fp8KVCacheDataTypeE0ELb1ELi512EEEvPfS2_PT_PKS3_PKT0_S9_ifPKiSB_iPKfiiiSD_SD_iiiii,"axG",@progbits,_ZN4vllm25paged_attention_v2_kernelIffLi256ELi8ELi128ELNS_18Fp8KVCacheDataTypeE0ELb1ELi512EEEvPfS2_PT_PKS3_PKT0_S9_ifPKiSB_iPKfiiiSD_SD_iiiii,comdat
	.protected	_ZN4vllm25paged_attention_v2_kernelIffLi256ELi8ELi128ELNS_18Fp8KVCacheDataTypeE0ELb1ELi512EEEvPfS2_PT_PKS3_PKT0_S9_ifPKiSB_iPKfiiiSD_SD_iiiii ; -- Begin function _ZN4vllm25paged_attention_v2_kernelIffLi256ELi8ELi128ELNS_18Fp8KVCacheDataTypeE0ELb1ELi512EEEvPfS2_PT_PKS3_PKT0_S9_ifPKiSB_iPKfiiiSD_SD_iiiii
	.globl	_ZN4vllm25paged_attention_v2_kernelIffLi256ELi8ELi128ELNS_18Fp8KVCacheDataTypeE0ELb1ELi512EEEvPfS2_PT_PKS3_PKT0_S9_ifPKiSB_iPKfiiiSD_SD_iiiii
	.p2align	8
	.type	_ZN4vllm25paged_attention_v2_kernelIffLi256ELi8ELi128ELNS_18Fp8KVCacheDataTypeE0ELb1ELi512EEEvPfS2_PT_PKS3_PKT0_S9_ifPKiSB_iPKfiiiSD_SD_iiiii,@function
_ZN4vllm25paged_attention_v2_kernelIffLi256ELi8ELi128ELNS_18Fp8KVCacheDataTypeE0ELb1ELi512EEEvPfS2_PT_PKS3_PKT0_S9_ifPKiSB_iPKfiiiSD_SD_iiiii: ; @_ZN4vllm25paged_attention_v2_kernelIffLi256ELi8ELi128ELNS_18Fp8KVCacheDataTypeE0ELb1ELi512EEEvPfS2_PT_PKS3_PKT0_S9_ifPKiSB_iPKfiiiSD_SD_iiiii
; %bb.0:
	s_load_dwordx2 s[0:1], s[4:5], 0x40
	s_mov_b32 s36, s7
	s_ashr_i32 s37, s7, 31
	s_lshl_b64 s[2:3], s[36:37], 2
	s_waitcnt lgkmcnt(0)
	s_add_u32 s0, s0, s2
	s_addc_u32 s1, s1, s3
	s_load_dword s37, s[0:1], 0x0
	s_lshl_b32 s49, s8, 9
	s_waitcnt lgkmcnt(0)
	s_cmp_ge_i32 s49, s37
	s_cbranch_scc1 .LBB16_84
; %bb.1:
	s_load_dword s9, s[4:5], 0x90
	s_load_dwordx2 s[40:41], s[4:5], 0x30
	s_mov_b32 s50, 0
	s_waitcnt lgkmcnt(0)
	s_abs_i32 s2, s9
	s_abs_i32 s0, s40
	v_cvt_f32_u32_e32 v1, s0
	s_sub_i32 s3, 0, s0
	s_xor_b32 s1, s9, s40
	s_ashr_i32 s1, s1, 31
	v_rcp_iflag_f32_e32 v1, v1
	v_mul_f32_e32 v1, 0x4f7ffffe, v1
	v_cvt_u32_f32_e32 v1, v1
	v_readfirstlane_b32 s7, v1
	s_mul_i32 s3, s3, s7
	s_mul_hi_u32 s3, s7, s3
	s_add_i32 s7, s7, s3
	s_mul_hi_u32 s3, s2, s7
	s_mul_i32 s7, s3, s0
	s_sub_i32 s2, s2, s7
	s_add_i32 s10, s3, 1
	s_sub_i32 s7, s2, s0
	s_cmp_ge_u32 s2, s0
	s_cselect_b32 s3, s10, s3
	s_cselect_b32 s2, s7, s2
	s_add_i32 s7, s3, 1
	s_cmp_ge_u32 s2, s0
	s_cselect_b32 s0, s7, s3
	s_xor_b32 s0, s0, s1
	s_sub_i32 s24, s0, s1
	s_abs_i32 s38, s24
	v_cvt_f32_u32_e32 v1, s38
	s_load_dwordx2 s[0:1], s[4:5], 0x50
	s_sub_i32 s2, 0, s38
	s_abs_i32 s25, s6
	v_rcp_iflag_f32_e32 v1, v1
	v_mul_f32_e32 v1, 0x4f7ffffe, v1
	v_cvt_u32_f32_e32 v1, v1
	v_readfirstlane_b32 s3, v1
	s_mul_i32 s2, s2, s3
	s_mul_hi_u32 s2, s3, s2
	s_add_i32 s2, s3, s2
	s_waitcnt lgkmcnt(0)
	s_cmp_eq_u64 s[0:1], 0
	s_cbranch_scc1 .LBB16_3
; %bb.2:
	s_ashr_i32 s7, s6, 31
	s_lshl_b64 s[10:11], s[6:7], 2
	s_add_u32 s0, s0, s10
	s_addc_u32 s1, s1, s11
	s_load_dword s50, s[0:1], 0x0
.LBB16_3:
	s_load_dwordx4 s[20:23], s[4:5], 0x0
	s_load_dwordx2 s[28:29], s[4:5], 0x10
	s_load_dwordx4 s[16:19], s[4:5], 0x20
	s_load_dwordx2 s[34:35], s[4:5], 0x38
	s_load_dword s33, s[4:5], 0x98
	s_load_dwordx4 s[12:15], s[4:5], 0x58
	s_lshl_b32 s30, s6, 8
	s_movk_i32 s0, 0x100
	s_mul_hi_u32 s7, s25, s2
	v_and_b32_e32 v4, 7, v0
	s_ashr_i32 s31, s30, 31
	v_cmp_gt_u32_e32 vcc, s0, v0
	s_and_saveexec_b64 s[2:3], vcc
	s_cbranch_execz .LBB16_6
; %bb.4:
	s_load_dwordx2 s[0:1], s[4:5], 0x18
	s_waitcnt lgkmcnt(0)
	s_mul_i32 s10, s36, s12
	s_ashr_i32 s11, s10, 31
	s_lshl_b64 s[10:11], s[10:11], 2
	s_lshl_b64 s[26:27], s[30:31], 2
	v_lshrrev_b32_e32 v2, 3, v0
	s_add_u32 s10, s10, s26
	v_lshlrev_b32_e32 v3, 2, v2
	s_addc_u32 s11, s11, s27
	v_lshl_add_u32 v5, v4, 7, v3
	v_lshlrev_b32_e32 v3, 2, v4
	s_add_u32 s0, s0, s10
	v_add_u32_e32 v1, -16, v2
	v_lshl_or_b32 v2, v2, 5, v3
	s_addc_u32 s1, s1, s11
	v_mov_b32_e32 v3, s1
	v_add_co_u32_e32 v2, vcc, s0, v2
	v_addc_co_u32_e32 v3, vcc, 0, v3, vcc
	s_mov_b64 s[10:11], 0
.LBB16_5:                               ; =>This Inner Loop Header: Depth=1
	global_load_dword v6, v[2:3], off
	v_add_co_u32_e64 v1, s[0:1], 16, v1
	s_xor_b64 s[0:1], s[0:1], -1
	v_add_co_u32_e32 v2, vcc, 0x200, v2
	s_and_b64 s[0:1], exec, s[0:1]
	v_addc_co_u32_e32 v3, vcc, 0, v3, vcc
	s_or_b64 s[10:11], s[0:1], s[10:11]
	s_waitcnt vmcnt(0)
	ds_write_b32 v5, v6
	v_add_u32_e32 v5, 64, v5
	s_andn2_b64 exec, exec, s[10:11]
	s_cbranch_execnz .LBB16_5
.LBB16_6:
	s_or_b64 exec, exec, s[2:3]
	s_ashr_i32 s0, s6, 31
	s_ashr_i32 s1, s24, 31
	s_xor_b32 s0, s0, s1
	s_mul_i32 s1, s7, s38
	s_sub_i32 s1, s25, s1
	s_add_i32 s2, s7, 1
	s_sub_i32 s3, s1, s38
	s_load_dwordx4 s[24:27], s[4:5], 0x78
	s_cmp_ge_u32 s1, s38
	s_cselect_b32 s2, s2, s7
	s_cselect_b32 s1, s3, s1
	s_add_i32 s3, s2, 1
	s_cmp_ge_u32 s1, s38
	s_cselect_b32 s1, s3, s2
	s_load_dword s3, s[4:5], 0x88
	s_waitcnt lgkmcnt(0)
	s_abs_i32 s31, s27
	v_cvt_f32_u32_e32 v1, s31
	s_xor_b32 s1, s1, s0
	s_sub_i32 s2, s1, s0
	s_sub_i32 s0, 0, s31
	v_rcp_iflag_f32_e32 v1, v1
	s_add_i32 s11, s37, -1
	s_abs_i32 s7, s11
	v_mul_f32_e32 v1, 0x4f7ffffe, v1
	v_cvt_u32_f32_e32 v1, v1
	s_barrier
	v_readfirstlane_b32 s46, v1
	s_mul_i32 s0, s0, s46
	s_mul_hi_u32 s0, s46, s0
	s_add_i32 s46, s46, s0
	s_cmp_lt_i32 s3, 0
	s_mul_hi_u32 s10, s7, s46
	s_cbranch_scc0 .LBB16_8
; %bb.7:
	s_mul_i32 s0, s24, s40
	s_add_i32 s0, s2, s0
	s_mul_i32 s0, s0, s3
	s_sub_i32 s47, 1, s0
	s_ashr_i32 s11, s11, 31
	s_ashr_i32 s27, s27, 31
	s_cbranch_execz .LBB16_9
	s_branch .LBB16_10
.LBB16_8:
                                        ; implicit-def: $sgpr47
	s_ashr_i32 s11, s11, 31
	s_ashr_i32 s27, s27, 31
.LBB16_9:
	s_mul_i32 s0, s9, s24
	s_add_i32 s0, s0, s6
	s_mul_i32 s0, s0, s3
	s_add_i32 s47, s0, 1
.LBB16_10:
	s_load_dword s0, s[4:5], 0x48
	s_mul_i32 s3, s10, s31
	s_sub_i32 s3, s7, s3
	s_xor_b32 s1, s11, s27
	s_add_i32 s4, s10, 1
	s_waitcnt lgkmcnt(0)
	s_mul_i32 s38, s36, s0
	s_ashr_i32 s39, s38, 31
	s_sub_i32 s0, s3, s31
	s_cmp_ge_u32 s3, s31
	s_cselect_b32 s4, s4, s10
	s_cselect_b32 s0, s0, s3
	s_add_i32 s3, s4, 1
	s_cmp_ge_u32 s0, s31
	s_cselect_b32 s0, s3, s4
	s_xor_b32 s0, s0, s1
	s_sub_i32 s48, s0, s1
	s_add_i32 s0, s37, 7
	s_ashr_i32 s1, s0, 31
	s_lshr_b32 s1, s1, 29
	s_add_i32 s0, s0, s1
	s_lshl_b32 s12, s8, 6
	s_ashr_i32 s7, s0, 3
	s_add_i32 s0, s12, 64
	v_lshrrev_b32_e32 v10, 6, v0
	s_min_i32 s24, s0, s7
	v_or_b32_e32 v46, s12, v10
	v_cmp_gt_i32_e64 s[0:1], s24, v46
	v_mov_b32_e32 v16, 0xff7fffff
	s_mul_i32 s14, s2, s14
	v_ashrrev_i32_e32 v47, 31, v46
	v_lshl_add_u32 v1, v10, 3, s49
	v_mbcnt_lo_u32_b32 v6, -1, 0
	s_and_saveexec_b64 s[42:43], s[0:1]
	s_cbranch_execz .LBB16_20
; %bb.11:
	s_ashr_i32 s15, s14, 31
	s_sub_i32 s40, s48, s25
	s_lshl_b64 s[2:3], s[14:15], 2
	v_bfe_u32 v7, v0, 3, 3
	s_add_u32 s2, s16, s2
	s_addc_u32 s3, s17, s3
	v_lshlrev_b32_e32 v2, 4, v7
	v_mov_b32_e32 v3, s3
	v_add_co_u32_e64 v2, s[2:3], s2, v2
	v_and_b32_e32 v8, 3, v0
	v_addc_co_u32_e64 v3, s[2:3], 0, v3, s[2:3]
	v_lshlrev_b32_e32 v8, 2, v8
	s_abs_i32 s15, s26
	v_add_co_u32_e64 v8, s[2:3], v2, v8
	v_cvt_f32_u32_e32 v2, s15
	v_lshlrev_b32_e32 v9, 3, v0
	s_sub_i32 s4, 0, s15
	v_and_b32_e32 v16, 32, v9
	v_rcp_iflag_f32_e32 v2, v2
	v_addc_co_u32_e64 v9, s[2:3], 0, v3, s[2:3]
	v_lshlrev_b32_e32 v5, 2, v7
	v_mul_f32_e32 v2, 0x4f7ffffe, v2
	v_cvt_u32_f32_e32 v2, v2
	v_cmp_eq_u32_e32 vcc, 0, v4
	v_lshlrev_b32_e32 v11, 7, v4
	v_or_b32_e32 v4, 0x400, v16
	v_mul_lo_u32 v3, s4, v2
	s_lshl_b64 s[4:5], s[38:39], 2
	v_mul_hi_u32 v3, v2, v3
	s_add_u32 s4, s34, s4
	v_add_u32_e32 v12, v2, v3
	v_lshlrev_b64 v[2:3], 2, v[46:47]
	s_addc_u32 s5, s35, s5
	v_lshl_or_b32 v5, v10, 5, v5
	v_mbcnt_hi_u32_b32 v35, -1, v6
	v_or_b32_e32 v20, 0x440, v16
	v_or_b32_e32 v22, 0x480, v16
	v_or_b32_e32 v24, 0x4c0, v16
	v_or_b32_e32 v26, 0x500, v16
	v_or_b32_e32 v28, 0x540, v16
	v_or_b32_e32 v30, 0x580, v16
	v_or_b32_e32 v32, 0x5c0, v16
	v_or_b32_e32 v34, 0x600, v16
	v_or_b32_e32 v36, 0x640, v16
	v_or_b32_e32 v38, 0x680, v16
	v_or_b32_e32 v40, 0x6c0, v16
	v_or_b32_e32 v42, 0x700, v16
	v_or_b32_e32 v44, 0x740, v16
	v_or_b32_e32 v48, 0x780, v16
	v_or_b32_e32 v50, 0x7c0, v16
	v_mov_b32_e32 v13, s5
	v_add_co_u32_e64 v2, s[4:5], s4, v2
	v_add_u32_e32 v14, 0x410, v5
	v_subrev_u32_e32 v5, s37, v7
	v_lshlrev_b32_e32 v19, 2, v4
	v_and_b32_e32 v4, 64, v35
	s_mov_b32 s51, s13
	v_cmp_neq_f32_e64 s[2:3], s50, 0
	v_addc_co_u32_e64 v3, s[4:5], v13, v3, s[4:5]
	v_lshl_add_u32 v13, v10, 3, s49
	v_add_u32_e32 v15, 1, v5
	s_mov_b64 s[16:17], 0
	v_mov_b32_e32 v17, 0xff7fffff
	v_lshlrev_b32_e32 v18, 2, v16
	v_lshlrev_b32_e32 v20, 2, v20
	;; [unrolled: 1-line block ×16, first 2 shown]
	v_add_u32_e32 v36, 64, v4
	v_xor_b32_e32 v37, 4, v35
	v_xor_b32_e32 v38, 2, v35
	v_xor_b32_e32 v39, 1, v35
	v_mov_b32_e32 v16, 0xff7fffff
	v_mov_b32_e32 v40, v46
	s_branch .LBB16_14
.LBB16_12:                              ;   in Loop: Header=BB16_14 Depth=1
	s_or_b64 exec, exec, s[44:45]
.LBB16_13:                              ;   in Loop: Header=BB16_14 Depth=1
	s_or_b64 exec, exec, s[10:11]
	v_add_co_u32_e64 v2, s[4:5], 8, v2
	v_add_u32_e32 v40, 2, v40
	v_addc_co_u32_e64 v3, s[4:5], 0, v3, s[4:5]
	v_cmp_le_i32_e64 s[4:5], s24, v40
	v_add_u32_e32 v13, 16, v13
	s_or_b64 s[16:17], s[4:5], s[16:17]
	v_add_u32_e32 v14, 64, v14
	s_andn2_b64 exec, exec, s[16:17]
	s_cbranch_execz .LBB16_19
.LBB16_14:                              ; =>This Inner Loop Header: Depth=1
	s_waitcnt lgkmcnt(0)
	v_sub_u32_e32 v5, 0, v13
	v_max_i32_e32 v5, v13, v5
	v_mul_hi_u32 v41, v5, s46
	v_mul_lo_u32 v42, v41, s31
	v_sub_u32_e32 v5, v5, v42
	v_add_u32_e32 v42, 1, v41
	v_cmp_le_u32_e64 s[4:5], s31, v5
	v_cndmask_b32_e64 v41, v41, v42, s[4:5]
	v_subrev_u32_e32 v42, s31, v5
	v_cndmask_b32_e64 v5, v5, v42, s[4:5]
	v_ashrrev_i32_e32 v4, 31, v13
	v_add_u32_e32 v42, 1, v41
	v_cmp_le_u32_e64 s[4:5], s31, v5
	v_xor_b32_e32 v4, s27, v4
	v_cndmask_b32_e64 v5, v41, v42, s[4:5]
	v_xor_b32_e32 v5, v5, v4
	v_sub_u32_e32 v4, v5, v4
	v_add_u32_e32 v5, s47, v4
	v_sub_u32_e32 v42, 0, v5
	v_ashrrev_i32_e32 v41, 31, v5
	v_max_i32_e32 v5, v5, v42
	v_mul_hi_u32 v42, v5, v12
	v_mul_lo_u32 v42, v42, s15
	v_sub_u32_e32 v5, v5, v42
	v_subrev_u32_e32 v42, s15, v5
	v_cmp_le_u32_e64 s[4:5], s15, v5
	v_cndmask_b32_e64 v5, v5, v42, s[4:5]
	v_subrev_u32_e32 v42, s15, v5
	v_cmp_le_u32_e64 s[4:5], s15, v5
	v_cndmask_b32_e64 v5, v5, v42, s[4:5]
	v_xor_b32_e32 v5, v5, v41
	v_sub_u32_e32 v5, v5, v41
	v_cmp_ne_u32_e64 s[4:5], 0, v5
	v_cmp_ge_i32_e64 s[10:11], s40, v4
	s_and_b64 s[4:5], s[4:5], s[10:11]
	s_and_b64 s[44:45], vcc, s[4:5]
	s_and_saveexec_b64 s[10:11], s[44:45]
	s_cbranch_execz .LBB16_16
; %bb.15:                               ;   in Loop: Header=BB16_14 Depth=1
	ds_write_b32 v14, v17
.LBB16_16:                              ;   in Loop: Header=BB16_14 Depth=1
	s_or_b64 exec, exec, s[10:11]
	s_xor_b64 s[4:5], s[4:5], -1
	s_and_saveexec_b64 s[10:11], s[4:5]
	s_cbranch_execz .LBB16_13
; %bb.17:                               ;   in Loop: Header=BB16_14 Depth=1
	global_load_dword v4, v[2:3], off
	s_waitcnt vmcnt(0)
	v_mad_i64_i32 v[4:5], s[4:5], v4, s51, 0
	v_lshlrev_b64 v[4:5], 2, v[4:5]
	v_add_co_u32_e64 v41, s[4:5], v8, v4
	v_addc_co_u32_e64 v74, s[4:5], v9, v5, s[4:5]
	v_add_co_u32_e64 v4, s[4:5], v41, v18
	v_addc_co_u32_e64 v5, s[4:5], 0, v74, s[4:5]
	;; [unrolled: 2-line block ×3, first 2 shown]
	global_load_dword v76, v[4:5], off offset:512
	global_load_dword v77, v[4:5], off offset:768
	;; [unrolled: 1-line block ×7, first 2 shown]
	global_load_dword v83, v[4:5], off
	v_add_co_u32_e64 v44, s[4:5], v41, v20
	v_addc_co_u32_e64 v45, s[4:5], 0, v74, s[4:5]
	v_add_co_u32_e64 v48, s[4:5], v41, v21
	v_addc_co_u32_e64 v49, s[4:5], 0, v74, s[4:5]
	;; [unrolled: 2-line block ×7, first 2 shown]
	v_add_co_u32_e64 v60, s[4:5], v41, v27
	global_load_dword v84, v[4:5], off offset:2048
	global_load_dword v85, v[4:5], off offset:2304
	;; [unrolled: 1-line block ×8, first 2 shown]
	global_load_dword v92, v[42:43], off
	v_addc_co_u32_e64 v61, s[4:5], 0, v74, s[4:5]
	v_add_co_u32_e64 v62, s[4:5], v41, v28
	v_addc_co_u32_e64 v63, s[4:5], 0, v74, s[4:5]
	v_add_co_u32_e64 v64, s[4:5], v41, v29
	v_addc_co_u32_e64 v65, s[4:5], 0, v74, s[4:5]
	v_add_co_u32_e64 v66, s[4:5], v41, v30
	v_addc_co_u32_e64 v67, s[4:5], 0, v74, s[4:5]
	v_add_co_u32_e64 v68, s[4:5], v41, v31
	v_addc_co_u32_e64 v69, s[4:5], 0, v74, s[4:5]
	v_add_co_u32_e64 v70, s[4:5], v41, v32
	v_addc_co_u32_e64 v71, s[4:5], 0, v74, s[4:5]
	v_add_co_u32_e64 v72, s[4:5], v41, v33
	v_addc_co_u32_e64 v73, s[4:5], 0, v74, s[4:5]
	v_add_co_u32_e64 v4, s[4:5], v41, v34
	v_addc_co_u32_e64 v5, s[4:5], 0, v74, s[4:5]
	global_load_dword v41, v[44:45], off
	global_load_dword v93, v[48:49], off
	;; [unrolled: 1-line block ×14, first 2 shown]
	s_nop 0
	global_load_dword v4, v[4:5], off
	ds_read_b128 v[42:45], v11
	ds_read_b128 v[48:51], v11 offset:16
	ds_read_b128 v[52:55], v11 offset:32
	;; [unrolled: 1-line block ×7, first 2 shown]
	v_cmp_lt_i32_e64 s[4:5], v37, v36
	v_cndmask_b32_e64 v5, v35, v37, s[4:5]
	v_lshlrev_b32_e32 v5, 2, v5
	v_cmp_lt_i32_e64 s[4:5], v38, v36
	s_waitcnt vmcnt(25) lgkmcnt(7)
	v_mul_f32_e32 v43, v43, v82
	s_waitcnt vmcnt(24)
	v_fmac_f32_e32 v43, v42, v83
	v_fmac_f32_e32 v43, v44, v76
	;; [unrolled: 1-line block ×3, first 2 shown]
	s_waitcnt lgkmcnt(6)
	v_fmac_f32_e32 v43, v48, v78
	v_fmac_f32_e32 v43, v49, v79
	;; [unrolled: 1-line block ×4, first 2 shown]
	s_waitcnt vmcnt(23) lgkmcnt(5)
	v_fmac_f32_e32 v43, v52, v84
	s_waitcnt vmcnt(22)
	v_fmac_f32_e32 v43, v53, v85
	s_waitcnt vmcnt(21)
	v_fmac_f32_e32 v43, v54, v86
	s_waitcnt vmcnt(20)
	v_fmac_f32_e32 v43, v55, v87
	s_waitcnt vmcnt(19) lgkmcnt(4)
	v_fmac_f32_e32 v43, v56, v88
	s_waitcnt vmcnt(18)
	v_fmac_f32_e32 v43, v57, v89
	s_waitcnt vmcnt(17)
	v_fmac_f32_e32 v43, v58, v90
	s_waitcnt vmcnt(16)
	v_fmac_f32_e32 v43, v59, v91
	;; [unrolled: 8-line block ×6, first 2 shown]
	ds_bpermute_b32 v4, v5, v43
	v_cndmask_b32_e64 v5, v35, v38, s[4:5]
	v_lshlrev_b32_e32 v5, 2, v5
	v_cmp_lt_i32_e64 s[4:5], v39, v36
	v_cndmask_b32_e64 v41, v35, v39, s[4:5]
	s_waitcnt lgkmcnt(0)
	v_add_f32_e32 v4, v43, v4
	ds_bpermute_b32 v5, v5, v4
	v_lshlrev_b32_e32 v41, 2, v41
	s_waitcnt lgkmcnt(0)
	v_add_f32_e32 v4, v4, v5
	ds_bpermute_b32 v5, v41, v4
	s_and_saveexec_b64 s[44:45], vcc
	s_cbranch_execz .LBB16_12
; %bb.18:                               ;   in Loop: Header=BB16_14 Depth=1
	v_add_u32_e32 v41, v15, v13
	v_cvt_f32_i32_e32 v41, v41
	s_waitcnt lgkmcnt(0)
	v_add_f32_e32 v4, v4, v5
	v_add_u32_e32 v42, v7, v13
	v_cmp_gt_i32_e64 s[4:5], s37, v42
	v_mul_f32_e32 v5, s50, v41
	v_cndmask_b32_e64 v5, 0, v5, s[2:3]
	v_fmac_f32_e32 v5, s41, v4
	v_cndmask_b32_e64 v4, 0, v5, s[4:5]
	ds_write_b32 v14, v4
	v_max_f32_e32 v4, v16, v16
	v_max_f32_e32 v4, v4, v5
	v_cndmask_b32_e64 v16, v16, v4, s[4:5]
	s_branch .LBB16_12
.LBB16_19:
	s_or_b64 exec, exec, s[16:17]
.LBB16_20:
	s_or_b64 exec, exec, s[42:43]
	v_mbcnt_hi_u32_b32 v2, -1, v6
	v_and_b32_e32 v3, 64, v2
	v_add_u32_e32 v3, 64, v3
	v_xor_b32_e32 v4, 32, v2
	v_cmp_lt_i32_e32 vcc, v4, v3
	v_cndmask_b32_e32 v4, v2, v4, vcc
	v_lshlrev_b32_e32 v6, 2, v4
	ds_bpermute_b32 v4, v6, v16
	v_xor_b32_e32 v7, 16, v2
	s_waitcnt lgkmcnt(1)
	v_max_f32_e32 v5, v16, v16
	v_cmp_lt_i32_e32 vcc, v7, v3
	v_and_b32_e32 v50, 63, v0
	s_waitcnt lgkmcnt(0)
	v_max_f32_e32 v4, v4, v4
	v_max_f32_e32 v4, v5, v4
	v_cndmask_b32_e32 v5, v2, v7, vcc
	v_lshlrev_b32_e32 v8, 2, v5
	ds_bpermute_b32 v5, v8, v4
	v_xor_b32_e32 v7, 8, v2
	v_cmp_lt_i32_e32 vcc, v7, v3
	s_waitcnt lgkmcnt(0)
	v_max_f32_e32 v5, v5, v5
	v_max_f32_e32 v4, v4, v5
	v_cndmask_b32_e32 v5, v2, v7, vcc
	v_lshlrev_b32_e32 v9, 2, v5
	ds_bpermute_b32 v7, v9, v4
	v_cmp_eq_u32_e32 vcc, 0, v50
	v_lshlrev_b32_e32 v5, 2, v10
	s_and_saveexec_b64 s[2:3], vcc
	s_cbranch_execz .LBB16_22
; %bb.21:
	s_waitcnt lgkmcnt(0)
	v_max_f32_e32 v7, v7, v7
	v_max_f32_e32 v4, v4, v4
	;; [unrolled: 1-line block ×3, first 2 shown]
	ds_write_b32 v5, v4 offset:1024
.LBB16_22:
	s_or_b64 exec, exec, s[2:3]
	v_cmp_gt_u32_e64 s[2:3], 2, v50
	v_mov_b32_e32 v4, 0xff7fffff
	s_waitcnt lgkmcnt(0)
	v_lshlrev_b32_e32 v7, 2, v50
	s_barrier
	s_and_saveexec_b64 s[4:5], s[2:3]
	s_cbranch_execz .LBB16_24
; %bb.23:
	ds_read_b32 v4, v7 offset:1024
.LBB16_24:
	s_or_b64 exec, exec, s[4:5]
	v_xor_b32_e32 v11, 1, v2
	v_cmp_lt_i32_e64 s[4:5], v11, v3
	v_cndmask_b32_e64 v11, v2, v11, s[4:5]
	v_lshlrev_b32_e32 v51, 2, v11
	s_waitcnt lgkmcnt(0)
	ds_bpermute_b32 v11, v51, v4
	v_max_f32_e32 v4, v4, v4
	s_sub_i32 s4, s24, s12
	s_lshl_b32 s4, s4, 3
	s_add_i32 s4, s4, s49
	s_waitcnt lgkmcnt(0)
	v_max_f32_e32 v11, v11, v11
	v_max_f32_e32 v4, v4, v11
	v_lshlrev_b32_e32 v11, 2, v2
	v_and_b32_e32 v11, 0x100, v11
	ds_bpermute_b32 v4, v11, v4
	s_min_i32 s15, s4, s37
	s_sub_i32 s12, s15, s49
	v_cmp_gt_i32_e64 s[4:5], s12, v0
	v_mov_b32_e32 v12, 0
	s_and_saveexec_b64 s[16:17], s[4:5]
	s_cbranch_execz .LBB16_28
; %bb.25:
	v_mov_b32_e32 v12, 0x410
	v_lshl_add_u32 v13, v0, 2, v12
	s_mov_b64 s[40:41], 0
	v_mov_b32_e32 v12, 0
	v_mov_b32_e32 v14, v0
.LBB16_26:                              ; =>This Inner Loop Header: Depth=1
	ds_read_b32 v15, v13
	v_add_u32_e32 v14, 0x80, v14
	v_cmp_le_i32_e64 s[10:11], s12, v14
	s_or_b64 s[40:41], s[10:11], s[40:41]
	s_waitcnt lgkmcnt(0)
	v_sub_f32_e32 v15, v15, v4
	v_mul_f32_e32 v15, 0x3fb8aa3b, v15
	v_exp_f32_e32 v15, v15
	ds_write_b32 v13, v15
	v_add_f32_e32 v12, v12, v15
	v_add_u32_e32 v13, 0x200, v13
	s_andn2_b64 exec, exec, s[40:41]
	s_cbranch_execnz .LBB16_26
; %bb.27:
	s_or_b64 exec, exec, s[40:41]
.LBB16_28:
	s_or_b64 exec, exec, s[16:17]
	ds_bpermute_b32 v6, v6, v12
	s_waitcnt lgkmcnt(0)
	v_add_f32_e32 v6, v12, v6
	ds_bpermute_b32 v8, v8, v6
	s_waitcnt lgkmcnt(0)
	v_add_f32_e32 v6, v6, v8
	ds_bpermute_b32 v8, v9, v6
	v_xor_b32_e32 v9, 4, v2
	v_cmp_lt_i32_e64 s[10:11], v9, v3
	v_cndmask_b32_e64 v9, v2, v9, s[10:11]
	v_lshlrev_b32_e32 v9, 2, v9
	s_waitcnt lgkmcnt(0)
	v_add_f32_e32 v6, v6, v8
	ds_bpermute_b32 v8, v9, v6
	v_xor_b32_e32 v9, 2, v2
	v_cmp_lt_i32_e64 s[10:11], v9, v3
	v_cndmask_b32_e64 v2, v2, v9, s[10:11]
	v_lshlrev_b32_e32 v2, 2, v2
	s_waitcnt lgkmcnt(0)
	v_add_f32_e32 v3, v6, v8
	ds_bpermute_b32 v2, v2, v3
	s_waitcnt lgkmcnt(0)
	v_add_f32_e32 v2, v3, v2
	ds_bpermute_b32 v3, v51, v2
	s_waitcnt lgkmcnt(0)
	v_add_f32_e32 v2, v2, v3
	s_and_saveexec_b64 s[10:11], vcc
	s_cbranch_execz .LBB16_30
; %bb.29:
	ds_write_b32 v5, v2 offset:1032
.LBB16_30:
	s_or_b64 exec, exec, s[10:11]
	s_waitcnt lgkmcnt(0)
	s_barrier
	s_and_saveexec_b64 s[10:11], s[2:3]
	s_cbranch_execz .LBB16_32
; %bb.31:
	ds_read_b32 v2, v7 offset:1032
.LBB16_32:
	s_or_b64 exec, exec, s[10:11]
	s_waitcnt lgkmcnt(0)
	ds_bpermute_b32 v3, v51, v2
	s_waitcnt lgkmcnt(0)
	v_add_f32_e32 v2, v2, v3
	ds_bpermute_b32 v5, v11, v2
	s_and_saveexec_b64 s[2:3], s[4:5]
	s_cbranch_execz .LBB16_45
; %bb.33:
	s_waitcnt lgkmcnt(0)
	v_add_f32_e32 v2, 0x358637bd, v5
	v_div_scale_f32 v3, s[4:5], v2, v2, 1.0
	v_rcp_f32_e32 v6, v3
	v_div_scale_f32 v7, vcc, 1.0, v2, 1.0
	s_movk_i32 s4, 0x7f
	v_fma_f32 v8, -v3, v6, 1.0
	v_fmac_f32_e32 v6, v8, v6
	v_mul_f32_e32 v8, v7, v6
	v_fma_f32 v9, -v3, v8, v7
	v_fmac_f32_e32 v8, v9, v6
	v_fma_f32 v3, -v3, v8, v7
	v_div_fmas_f32 v3, v3, v6, v8
	v_div_fixup_f32 v2, v3, v2, 1.0
	v_xad_u32 v3, v0, -1, s15
	v_subrev_u32_e32 v6, s49, v3
	v_cmp_lt_u32_e32 vcc, s4, v6
	s_mov_b64 s[10:11], -1
	v_mov_b32_e32 v3, v0
	s_and_saveexec_b64 s[4:5], vcc
	s_cbranch_execz .LBB16_42
; %bb.34:
	v_lshrrev_b32_e32 v6, 7, v6
	v_add_u32_e32 v8, -1, v6
	v_lshrrev_b32_e32 v7, 1, v8
	v_mov_b32_e32 v3, v2
	v_add_u32_e32 v7, 1, v7
	v_cmp_lt_u32_e32 vcc, 13, v8
	v_mov_b32_e32 v11, 0
	s_and_saveexec_b64 s[10:11], vcc
	s_cbranch_execz .LBB16_38
; %bb.35:
	v_mov_b32_e32 v9, 0x410
	v_and_b32_e32 v8, -8, v7
	v_lshl_add_u32 v9, v0, 2, v9
	s_mov_b32 s15, 0
	s_mov_b64 s[16:17], 0
.LBB16_36:                              ; =>This Inner Loop Header: Depth=1
	ds_read2st64_b32 v[12:13], v9 offset1:2
	ds_read2st64_b32 v[14:15], v9 offset0:4 offset1:6
	ds_read2st64_b32 v[16:17], v9 offset0:8 offset1:10
	;; [unrolled: 1-line block ×3, first 2 shown]
	v_add_u32_e32 v8, -8, v8
	s_waitcnt lgkmcnt(3)
	v_pk_mul_f32 v[12:13], v[2:3], v[12:13]
	s_waitcnt lgkmcnt(2)
	v_pk_mul_f32 v[14:15], v[2:3], v[14:15]
	ds_write2st64_b32 v9, v12, v13 offset1:2
	ds_write2st64_b32 v9, v14, v15 offset0:4 offset1:6
	ds_read2st64_b32 v[14:15], v9 offset0:16 offset1:18
	s_waitcnt lgkmcnt(4)
	v_pk_mul_f32 v[12:13], v[2:3], v[16:17]
	ds_write2st64_b32 v9, v12, v13 offset0:8 offset1:10
	s_waitcnt lgkmcnt(4)
	v_pk_mul_f32 v[12:13], v[2:3], v[18:19]
	ds_write2st64_b32 v9, v12, v13 offset0:12 offset1:14
	ds_read2st64_b32 v[12:13], v9 offset0:20 offset1:22
	s_waitcnt lgkmcnt(3)
	v_pk_mul_f32 v[14:15], v[2:3], v[14:15]
	ds_read2st64_b32 v[16:17], v9 offset0:24 offset1:26
	ds_write2st64_b32 v9, v14, v15 offset0:16 offset1:18
	ds_read2st64_b32 v[14:15], v9 offset0:28 offset1:30
	s_waitcnt lgkmcnt(3)
	v_pk_mul_f32 v[12:13], v[2:3], v[12:13]
	ds_write2st64_b32 v9, v12, v13 offset0:20 offset1:22
	s_waitcnt lgkmcnt(3)
	v_pk_mul_f32 v[12:13], v[2:3], v[16:17]
	ds_write2st64_b32 v9, v12, v13 offset0:24 offset1:26
	s_waitcnt lgkmcnt(2)
	v_pk_mul_f32 v[12:13], v[2:3], v[14:15]
	s_add_i32 s15, s15, 16
	v_cmp_eq_u32_e32 vcc, 0, v8
	ds_write2st64_b32 v9, v12, v13 offset0:28 offset1:30
	v_add_u32_e32 v9, 0x2000, v9
	s_or_b64 s[16:17], vcc, s[16:17]
	v_mov_b32_e32 v11, s15
	s_andn2_b64 exec, exec, s[16:17]
	s_cbranch_execnz .LBB16_36
; %bb.37:
	s_or_b64 exec, exec, s[16:17]
.LBB16_38:
	s_or_b64 exec, exec, s[10:11]
	v_and_b32_e32 v7, 7, v7
	v_cmp_ne_u32_e32 vcc, 0, v7
	s_and_saveexec_b64 s[10:11], vcc
	s_cbranch_execz .LBB16_41
; %bb.39:
	v_lshlrev_b32_e32 v8, 9, v11
	v_lshlrev_b32_e32 v9, 2, v0
	s_movk_i32 s15, 0x410
	v_add3_u32 v8, v8, v9, s15
	s_mov_b64 s[16:17], 0
.LBB16_40:                              ; =>This Inner Loop Header: Depth=1
	ds_read2st64_b32 v[12:13], v8 offset1:2
	v_add_u32_e32 v7, -1, v7
	v_cmp_eq_u32_e32 vcc, 0, v7
	s_or_b64 s[16:17], vcc, s[16:17]
	s_waitcnt lgkmcnt(0)
	v_pk_mul_f32 v[12:13], v[2:3], v[12:13]
	ds_write2st64_b32 v8, v12, v13 offset1:2
	v_add_u32_e32 v8, 0x400, v8
	s_andn2_b64 exec, exec, s[16:17]
	s_cbranch_execnz .LBB16_40
.LBB16_41:
	s_or_b64 exec, exec, s[10:11]
	v_add_u32_e32 v6, 1, v6
	v_and_b32_e32 v7, 0x3fffffe, v6
	v_cmp_ne_u32_e32 vcc, v6, v7
	v_lshl_add_u32 v3, v7, 7, v0
	s_orn2_b64 s[10:11], vcc, exec
.LBB16_42:
	s_or_b64 exec, exec, s[4:5]
	s_and_b64 exec, exec, s[10:11]
	s_cbranch_execz .LBB16_45
; %bb.43:
	v_mov_b32_e32 v6, 0x410
	v_lshl_add_u32 v6, v3, 2, v6
	s_mov_b64 s[4:5], 0
.LBB16_44:                              ; =>This Inner Loop Header: Depth=1
	ds_read_b32 v7, v6
	v_add_u32_e32 v3, 0x80, v3
	v_cmp_le_i32_e32 vcc, s12, v3
	s_or_b64 s[4:5], vcc, s[4:5]
	s_waitcnt lgkmcnt(0)
	v_mul_f32_e32 v7, v2, v7
	ds_write_b32 v6, v7
	v_add_u32_e32 v6, 0x200, v6
	s_andn2_b64 exec, exec, s[4:5]
	s_cbranch_execnz .LBB16_44
.LBB16_45:
	s_or_b64 exec, exec, s[2:3]
	s_mul_i32 s2, s33, s36
	v_cmp_eq_u32_e32 vcc, 0, v0
	s_mul_i32 s2, s2, s9
	s_waitcnt lgkmcnt(0)
	s_barrier
	s_and_saveexec_b64 s[4:5], vcc
	s_cbranch_execz .LBB16_47
; %bb.46:
	s_ashr_i32 s3, s2, 31
	s_lshl_b64 s[10:11], s[2:3], 2
	s_add_u32 s3, s22, s10
	s_mul_i32 s16, s33, s6
	s_addc_u32 s9, s23, s11
	s_ashr_i32 s17, s16, 31
	s_lshl_b64 s[16:17], s[16:17], 2
	s_add_u32 s3, s3, s16
	s_addc_u32 s6, s9, s17
	s_ashr_i32 s9, s8, 31
	s_lshl_b64 s[22:23], s[8:9], 2
	s_add_u32 s40, s3, s22
	s_addc_u32 s41, s6, s23
	s_add_u32 s3, s20, s10
	s_addc_u32 s6, s21, s11
	;; [unrolled: 2-line block ×3, first 2 shown]
	s_add_u32 s10, s3, s22
	v_mov_b32_e32 v2, 0
	s_addc_u32 s11, s6, s23
	global_store_dword v2, v4, s[40:41]
	global_store_dword v2, v5, s[10:11]
.LBB16_47:
	s_or_b64 exec, exec, s[4:5]
	s_mov_b32 s12, 0
	v_mov_b32_e32 v9, 0
	v_and_b32_e32 v52, 1, v0
	v_mov_b32_e32 v8, 0
	v_mov_b32_e32 v7, 0
	;; [unrolled: 1-line block ×7, first 2 shown]
	s_and_saveexec_b64 s[4:5], s[0:1]
	s_cbranch_execz .LBB16_69
; %bb.48:
	s_ashr_i32 s15, s14, 31
	s_sub_i32 s3, s48, s25
	s_lshl_b64 s[0:1], s[14:15], 2
	s_add_u32 s9, s18, s0
	s_addc_u32 s20, s19, s1
	s_abs_i32 s21, s26
	v_cvt_f32_u32_e32 v3, s21
	v_lshlrev_b32_e32 v2, 2, v0
	v_and_b32_e32 v53, 4, v2
	v_and_b32_e32 v12, 0xfc, v2
	v_rcp_iflag_f32_e32 v3, v3
	s_sub_i32 s0, 0, s21
	s_add_i32 s23, s7, -1
	s_mov_b32 s22, s13
	v_mul_f32_e32 v2, 0x4f7ffffe, v3
	v_cvt_u32_f32_e32 v2, v2
	s_mov_b32 s13, s12
	v_or_b32_e32 v14, 0x400, v12
	v_or_b32_e32 v16, 0x500, v12
	v_mul_lo_u32 v3, s0, v2
	v_mul_hi_u32 v3, v2, v3
	s_lshl_b64 s[0:1], s[38:39], 2
	v_add_u32_e32 v54, v2, v3
	v_lshlrev_b64 v[2:3], 2, v[46:47]
	s_add_u32 s0, s34, s0
	s_addc_u32 s1, s35, s1
	v_add_co_u32_e32 v48, vcc, s0, v2
	v_lshlrev_b32_e32 v2, 4, v52
	v_mov_b32_e32 v4, s1
	v_lshl_or_b32 v2, v10, 5, v2
	v_or_b32_e32 v18, 0x600, v12
	v_or_b32_e32 v20, 0x700, v12
	v_addc_co_u32_e32 v49, vcc, v4, v3, vcc
	v_add_u32_e32 v47, 0x410, v2
	s_mov_b32 s14, s12
	s_mov_b32 s15, s12
	;; [unrolled: 1-line block ×6, first 2 shown]
	v_pk_mov_b32 v[2:3], s[12:13], s[12:13] op_sel:[0,1]
	s_mov_b64 s[6:7], 0
	v_pk_mov_b32 v[4:5], s[14:15], s[14:15] op_sel:[0,1]
	v_pk_mov_b32 v[6:7], s[16:17], s[16:17] op_sel:[0,1]
	;; [unrolled: 1-line block ×3, first 2 shown]
	v_lshlrev_b32_e32 v55, 2, v12
	v_lshlrev_b32_e32 v56, 2, v14
	;; [unrolled: 1-line block ×5, first 2 shown]
	s_branch .LBB16_51
.LBB16_49:                              ;   in Loop: Header=BB16_51 Depth=1
	s_or_b64 exec, exec, s[0:1]
	s_waitcnt vmcnt(7) lgkmcnt(0)
	v_mul_f32_e32 v15, v11, v15
	v_fmac_f32_e32 v15, v10, v14
	s_waitcnt vmcnt(6)
	v_mul_f32_e32 v14, v11, v19
	v_fmac_f32_e32 v14, v10, v18
	v_fmac_f32_e32 v14, v12, v20
	v_fmac_f32_e32 v14, v13, v21
	v_add_f32_e32 v3, v3, v14
	s_waitcnt vmcnt(5)
	v_mul_f32_e32 v14, v11, v23
	v_fmac_f32_e32 v14, v10, v22
	v_fmac_f32_e32 v14, v12, v24
	v_fmac_f32_e32 v14, v13, v25
	v_add_f32_e32 v4, v4, v14
	;; [unrolled: 6-line block ×5, first 2 shown]
	s_waitcnt vmcnt(1)
	v_mul_f32_e32 v14, v11, v39
	s_waitcnt vmcnt(0)
	v_mul_f32_e32 v11, v11, v43
	v_fmac_f32_e32 v14, v10, v38
	v_fmac_f32_e32 v11, v10, v42
	;; [unrolled: 1-line block ×8, first 2 shown]
	v_add_f32_e32 v2, v2, v15
	v_add_f32_e32 v8, v8, v14
	;; [unrolled: 1-line block ×3, first 2 shown]
.LBB16_50:                              ;   in Loop: Header=BB16_51 Depth=1
	s_or_b64 exec, exec, s[10:11]
	v_add_co_u32_e32 v48, vcc, 8, v48
	v_add_u32_e32 v46, 2, v46
	v_addc_co_u32_e32 v49, vcc, 0, v49, vcc
	v_cmp_le_i32_e32 vcc, s24, v46
	v_add_u32_e32 v1, 16, v1
	s_or_b64 s[6:7], vcc, s[6:7]
	v_add_u32_e32 v47, 64, v47
	s_andn2_b64 exec, exec, s[6:7]
	s_cbranch_execz .LBB16_68
.LBB16_51:                              ; =>This Inner Loop Header: Depth=1
	v_sub_u32_e32 v11, 0, v1
	v_max_i32_e32 v11, v1, v11
	v_mul_hi_u32 v12, v11, s46
	v_mul_lo_u32 v13, v12, s31
	v_sub_u32_e32 v11, v11, v13
	v_add_u32_e32 v13, 1, v12
	v_cmp_le_u32_e32 vcc, s31, v11
	v_cndmask_b32_e32 v12, v12, v13, vcc
	v_subrev_u32_e32 v13, s31, v11
	v_cndmask_b32_e32 v11, v11, v13, vcc
	v_ashrrev_i32_e32 v10, 31, v1
	v_add_u32_e32 v13, 1, v12
	v_cmp_le_u32_e32 vcc, s31, v11
	v_xor_b32_e32 v10, s27, v10
	v_cndmask_b32_e32 v11, v12, v13, vcc
	v_xor_b32_e32 v11, v11, v10
	v_sub_u32_e32 v10, v11, v10
	v_add_u32_e32 v11, s47, v10
	v_sub_u32_e32 v13, 0, v11
	v_ashrrev_i32_e32 v12, 31, v11
	v_max_i32_e32 v11, v11, v13
	v_mul_hi_u32 v13, v11, v54
	v_mul_lo_u32 v13, v13, s21
	v_sub_u32_e32 v11, v11, v13
	v_subrev_u32_e32 v13, s21, v11
	v_cmp_le_u32_e32 vcc, s21, v11
	v_cndmask_b32_e32 v11, v11, v13, vcc
	v_subrev_u32_e32 v13, s21, v11
	v_cmp_le_u32_e32 vcc, s21, v11
	v_cndmask_b32_e32 v11, v11, v13, vcc
	v_xor_b32_e32 v11, v11, v12
	v_sub_u32_e32 v11, v11, v12
	v_cmp_eq_u32_e32 vcc, 0, v11
	v_cmp_lt_i32_e64 s[0:1], s3, v10
	s_or_b64 s[0:1], vcc, s[0:1]
	s_and_saveexec_b64 s[10:11], s[0:1]
	s_cbranch_execz .LBB16_50
; %bb.52:                               ;   in Loop: Header=BB16_51 Depth=1
	global_load_dword v10, v[48:49], off
	v_mov_b32_e32 v12, s20
	v_add_u32_e32 v60, v53, v1
	v_add_u32_e32 v63, 1, v60
	;; [unrolled: 1-line block ×4, first 2 shown]
	s_waitcnt vmcnt(0)
	v_mad_i64_i32 v[10:11], s[0:1], v10, s22, 0
	v_lshlrev_b64 v[10:11], 2, v[10:11]
	v_add_co_u32_e32 v42, vcc, s9, v10
	v_addc_co_u32_e32 v43, vcc, v12, v11, vcc
	v_add_co_u32_e32 v26, vcc, v42, v55
	v_addc_co_u32_e32 v27, vcc, 0, v43, vcc
	global_load_dwordx4 v[14:17], v[26:27], off
	ds_read_b128 v[10:13], v47
	v_cmp_eq_u32_e32 vcc, s23, v46
	s_and_saveexec_b64 s[12:13], vcc
	s_cbranch_execnz .LBB16_65
; %bb.53:                               ;   in Loop: Header=BB16_51 Depth=1
	s_or_b64 exec, exec, s[12:13]
	global_load_dwordx4 v[18:21], v[26:27], off offset:1024
	s_and_saveexec_b64 s[12:13], vcc
	s_cbranch_execnz .LBB16_66
.LBB16_54:                              ;   in Loop: Header=BB16_51 Depth=1
	s_or_b64 exec, exec, s[12:13]
	global_load_dwordx4 v[22:25], v[26:27], off offset:2048
	s_and_saveexec_b64 s[12:13], vcc
	s_cbranch_execnz .LBB16_67
.LBB16_55:                              ;   in Loop: Header=BB16_51 Depth=1
	s_or_b64 exec, exec, s[12:13]
	global_load_dwordx4 v[26:29], v[26:27], off offset:3072
	s_and_saveexec_b64 s[12:13], vcc
	s_cbranch_execz .LBB16_57
.LBB16_56:                              ;   in Loop: Header=BB16_51 Depth=1
	v_cmp_gt_i32_e64 s[0:1], s37, v60
	s_waitcnt vmcnt(0)
	v_cndmask_b32_e64 v26, 0, v26, s[0:1]
	v_cmp_gt_i32_e64 s[0:1], s37, v63
	v_cndmask_b32_e64 v27, 0, v27, s[0:1]
	v_cmp_gt_i32_e64 s[0:1], s37, v62
	;; [unrolled: 2-line block ×3, first 2 shown]
	v_cndmask_b32_e64 v29, 0, v29, s[0:1]
.LBB16_57:                              ;   in Loop: Header=BB16_51 Depth=1
	s_or_b64 exec, exec, s[12:13]
	v_add_co_u32_e64 v30, s[0:1], v42, v56
	v_addc_co_u32_e64 v31, s[0:1], 0, v43, s[0:1]
	global_load_dwordx4 v[30:33], v[30:31], off
	s_and_saveexec_b64 s[12:13], vcc
	s_cbranch_execz .LBB16_59
; %bb.58:                               ;   in Loop: Header=BB16_51 Depth=1
	v_cmp_gt_i32_e64 s[0:1], s37, v60
	s_waitcnt vmcnt(0)
	v_cndmask_b32_e64 v30, 0, v30, s[0:1]
	v_cmp_gt_i32_e64 s[0:1], s37, v63
	v_cndmask_b32_e64 v31, 0, v31, s[0:1]
	v_cmp_gt_i32_e64 s[0:1], s37, v62
	v_cndmask_b32_e64 v32, 0, v32, s[0:1]
	v_cmp_gt_i32_e64 s[0:1], s37, v61
	v_cndmask_b32_e64 v33, 0, v33, s[0:1]
.LBB16_59:                              ;   in Loop: Header=BB16_51 Depth=1
	s_or_b64 exec, exec, s[12:13]
	v_add_co_u32_e64 v34, s[0:1], v42, v57
	v_addc_co_u32_e64 v35, s[0:1], 0, v43, s[0:1]
	global_load_dwordx4 v[34:37], v[34:35], off
	s_and_saveexec_b64 s[12:13], vcc
	s_cbranch_execz .LBB16_61
; %bb.60:                               ;   in Loop: Header=BB16_51 Depth=1
	v_cmp_gt_i32_e64 s[0:1], s37, v60
	s_waitcnt vmcnt(0)
	v_cndmask_b32_e64 v34, 0, v34, s[0:1]
	v_cmp_gt_i32_e64 s[0:1], s37, v63
	v_cndmask_b32_e64 v35, 0, v35, s[0:1]
	v_cmp_gt_i32_e64 s[0:1], s37, v62
	v_cndmask_b32_e64 v36, 0, v36, s[0:1]
	v_cmp_gt_i32_e64 s[0:1], s37, v61
	v_cndmask_b32_e64 v37, 0, v37, s[0:1]
.LBB16_61:                              ;   in Loop: Header=BB16_51 Depth=1
	;; [unrolled: 17-line block ×3, first 2 shown]
	s_or_b64 exec, exec, s[12:13]
	v_add_co_u32_e64 v42, s[0:1], v42, v59
	v_addc_co_u32_e64 v43, s[0:1], 0, v43, s[0:1]
	global_load_dwordx4 v[42:45], v[42:43], off
	s_and_saveexec_b64 s[0:1], vcc
	s_cbranch_execz .LBB16_49
; %bb.64:                               ;   in Loop: Header=BB16_51 Depth=1
	v_cmp_gt_i32_e32 vcc, s37, v60
	s_waitcnt vmcnt(0)
	v_cndmask_b32_e32 v42, 0, v42, vcc
	v_cmp_gt_i32_e32 vcc, s37, v63
	v_cndmask_b32_e32 v43, 0, v43, vcc
	v_cmp_gt_i32_e32 vcc, s37, v62
	;; [unrolled: 2-line block ×3, first 2 shown]
	v_cndmask_b32_e32 v45, 0, v45, vcc
	s_branch .LBB16_49
.LBB16_65:                              ;   in Loop: Header=BB16_51 Depth=1
	v_cmp_gt_i32_e64 s[0:1], s37, v60
	s_waitcnt vmcnt(0)
	v_cndmask_b32_e64 v14, 0, v14, s[0:1]
	v_cmp_gt_i32_e64 s[0:1], s37, v63
	v_cndmask_b32_e64 v15, 0, v15, s[0:1]
	v_cmp_gt_i32_e64 s[0:1], s37, v62
	;; [unrolled: 2-line block ×3, first 2 shown]
	v_cndmask_b32_e64 v17, 0, v17, s[0:1]
	s_or_b64 exec, exec, s[12:13]
	global_load_dwordx4 v[18:21], v[26:27], off offset:1024
	s_and_saveexec_b64 s[12:13], vcc
	s_cbranch_execz .LBB16_54
.LBB16_66:                              ;   in Loop: Header=BB16_51 Depth=1
	v_cmp_gt_i32_e64 s[0:1], s37, v60
	s_waitcnt vmcnt(0)
	v_cndmask_b32_e64 v18, 0, v18, s[0:1]
	v_cmp_gt_i32_e64 s[0:1], s37, v63
	v_cndmask_b32_e64 v19, 0, v19, s[0:1]
	v_cmp_gt_i32_e64 s[0:1], s37, v62
	;; [unrolled: 2-line block ×3, first 2 shown]
	v_cndmask_b32_e64 v21, 0, v21, s[0:1]
	s_or_b64 exec, exec, s[12:13]
	global_load_dwordx4 v[22:25], v[26:27], off offset:2048
	s_and_saveexec_b64 s[12:13], vcc
	s_cbranch_execz .LBB16_55
.LBB16_67:                              ;   in Loop: Header=BB16_51 Depth=1
	v_cmp_gt_i32_e64 s[0:1], s37, v60
	s_waitcnt vmcnt(0)
	v_cndmask_b32_e64 v22, 0, v22, s[0:1]
	v_cmp_gt_i32_e64 s[0:1], s37, v63
	v_cndmask_b32_e64 v23, 0, v23, s[0:1]
	v_cmp_gt_i32_e64 s[0:1], s37, v62
	;; [unrolled: 2-line block ×3, first 2 shown]
	v_cndmask_b32_e64 v25, 0, v25, s[0:1]
	s_or_b64 exec, exec, s[12:13]
	global_load_dwordx4 v[26:29], v[26:27], off offset:3072
	s_and_saveexec_b64 s[12:13], vcc
	s_cbranch_execnz .LBB16_56
	s_branch .LBB16_57
.LBB16_68:
	s_or_b64 exec, exec, s[6:7]
.LBB16_69:
	s_or_b64 exec, exec, s[4:5]
	ds_bpermute_b32 v10, v51, v2
	ds_bpermute_b32 v11, v51, v3
	ds_bpermute_b32 v12, v51, v4
	ds_bpermute_b32 v13, v51, v5
	ds_bpermute_b32 v14, v51, v6
	ds_bpermute_b32 v15, v51, v7
	ds_bpermute_b32 v16, v51, v8
	ds_bpermute_b32 v17, v51, v9
	v_and_b32_e32 v1, 0x3c1, v0
	s_waitcnt lgkmcnt(6)
	v_pk_add_f32 v[10:11], v[2:3], v[10:11]
	s_waitcnt lgkmcnt(4)
	v_pk_add_f32 v[4:5], v[4:5], v[12:13]
	;; [unrolled: 2-line block ×4, first 2 shown]
	v_cmp_eq_u32_e32 vcc, 64, v1
	s_barrier
	s_and_saveexec_b64 s[0:1], vcc
	s_cbranch_execz .LBB16_71
; %bb.70:
	v_mov_b32_e32 v8, 0x410
	v_lshl_add_u32 v8, v50, 1, v8
	ds_write2_b32 v8, v10, v11 offset1:32
	ds_write2_b32 v8, v4, v5 offset0:64 offset1:96
	ds_write2_b32 v8, v2, v3 offset0:128 offset1:160
	;; [unrolled: 1-line block ×3, first 2 shown]
.LBB16_71:
	s_or_b64 exec, exec, s[0:1]
	v_cmp_gt_u32_e32 vcc, 64, v0
	s_waitcnt lgkmcnt(0)
	s_barrier
	s_and_saveexec_b64 s[0:1], vcc
	s_cbranch_execz .LBB16_82
; %bb.72:
	v_cmp_eq_u32_e32 vcc, 0, v52
	v_lshrrev_b32_e32 v8, 1, v0
	s_and_saveexec_b64 s[4:5], vcc
	s_cbranch_execnz .LBB16_85
; %bb.73:
	s_or_b64 exec, exec, s[4:5]
	s_and_saveexec_b64 s[4:5], vcc
	s_cbranch_execnz .LBB16_86
.LBB16_74:
	s_or_b64 exec, exec, s[4:5]
	s_and_saveexec_b64 s[4:5], vcc
	s_cbranch_execnz .LBB16_87
.LBB16_75:
	s_or_b64 exec, exec, s[4:5]
	s_and_saveexec_b64 s[4:5], vcc
	s_cbranch_execnz .LBB16_88
.LBB16_76:
	s_or_b64 exec, exec, s[4:5]
	s_and_saveexec_b64 s[4:5], vcc
	s_cbranch_execnz .LBB16_89
.LBB16_77:
	s_or_b64 exec, exec, s[4:5]
	s_and_saveexec_b64 s[4:5], vcc
	s_cbranch_execnz .LBB16_90
.LBB16_78:
	s_or_b64 exec, exec, s[4:5]
	s_and_saveexec_b64 s[4:5], vcc
	s_cbranch_execnz .LBB16_91
.LBB16_79:
	s_or_b64 exec, exec, s[4:5]
	s_and_saveexec_b64 s[4:5], vcc
	s_cbranch_execz .LBB16_81
.LBB16_80:
	v_mov_b32_e32 v9, 0x410
	v_lshl_add_u32 v8, v8, 2, v9
	ds_read_b32 v8, v8 offset:896
	s_waitcnt lgkmcnt(0)
	v_add_f32_e32 v7, v7, v8
.LBB16_81:
	s_or_b64 exec, exec, s[4:5]
.LBB16_82:
	s_or_b64 exec, exec, s[0:1]
	v_cmp_eq_u32_e32 vcc, 0, v1
	s_barrier
	s_and_saveexec_b64 s[0:1], vcc
	s_cbranch_execz .LBB16_84
; %bb.83:
	s_lshl_b32 s0, s2, 8
	s_ashr_i32 s1, s0, 31
	s_lshl_b64 s[0:1], s[0:1], 2
	s_add_u32 s2, s28, s0
	s_mul_i32 s0, s33, s30
	s_addc_u32 s3, s29, s1
	s_ashr_i32 s1, s0, 31
	s_lshl_b64 s[0:1], s[0:1], 2
	s_add_u32 s2, s2, s0
	s_addc_u32 s3, s3, s1
	s_lshl_b32 s0, s8, 8
	s_ashr_i32 s1, s0, 31
	s_lshl_b64 s[0:1], s[0:1], 2
	s_add_u32 s0, s2, s0
	s_addc_u32 s1, s3, s1
	v_lshlrev_b32_e32 v0, 1, v0
	global_store_dword v0, v10, s[0:1]
	global_store_dword v0, v11, s[0:1] offset:128
	global_store_dword v0, v4, s[0:1] offset:256
	;; [unrolled: 1-line block ×7, first 2 shown]
.LBB16_84:
	s_endpgm
.LBB16_85:
	v_mov_b32_e32 v9, 0x410
	v_lshl_add_u32 v9, v8, 2, v9
	ds_read_b32 v9, v9
	s_waitcnt lgkmcnt(0)
	v_add_f32_e32 v10, v10, v9
	s_or_b64 exec, exec, s[4:5]
	s_and_saveexec_b64 s[4:5], vcc
	s_cbranch_execz .LBB16_74
.LBB16_86:
	v_mov_b32_e32 v9, 0x410
	v_lshl_add_u32 v9, v8, 2, v9
	ds_read_b32 v9, v9 offset:128
	s_waitcnt lgkmcnt(0)
	v_add_f32_e32 v11, v11, v9
	s_or_b64 exec, exec, s[4:5]
	s_and_saveexec_b64 s[4:5], vcc
	s_cbranch_execz .LBB16_75
.LBB16_87:
	v_mov_b32_e32 v9, 0x410
	v_lshl_add_u32 v9, v8, 2, v9
	ds_read_b32 v9, v9 offset:256
	s_waitcnt lgkmcnt(0)
	v_add_f32_e32 v4, v4, v9
	s_or_b64 exec, exec, s[4:5]
	s_and_saveexec_b64 s[4:5], vcc
	s_cbranch_execz .LBB16_76
.LBB16_88:
	v_mov_b32_e32 v9, 0x410
	v_lshl_add_u32 v9, v8, 2, v9
	ds_read_b32 v9, v9 offset:384
	s_waitcnt lgkmcnt(0)
	v_add_f32_e32 v5, v5, v9
	s_or_b64 exec, exec, s[4:5]
	s_and_saveexec_b64 s[4:5], vcc
	s_cbranch_execz .LBB16_77
.LBB16_89:
	v_mov_b32_e32 v9, 0x410
	v_lshl_add_u32 v9, v8, 2, v9
	ds_read_b32 v9, v9 offset:512
	s_waitcnt lgkmcnt(0)
	v_add_f32_e32 v2, v2, v9
	s_or_b64 exec, exec, s[4:5]
	s_and_saveexec_b64 s[4:5], vcc
	s_cbranch_execz .LBB16_78
.LBB16_90:
	v_mov_b32_e32 v9, 0x410
	v_lshl_add_u32 v9, v8, 2, v9
	ds_read_b32 v9, v9 offset:640
	s_waitcnt lgkmcnt(0)
	v_add_f32_e32 v3, v3, v9
	s_or_b64 exec, exec, s[4:5]
	s_and_saveexec_b64 s[4:5], vcc
	s_cbranch_execz .LBB16_79
.LBB16_91:
	v_mov_b32_e32 v9, 0x410
	v_lshl_add_u32 v9, v8, 2, v9
	ds_read_b32 v9, v9 offset:768
	s_waitcnt lgkmcnt(0)
	v_add_f32_e32 v6, v6, v9
	s_or_b64 exec, exec, s[4:5]
	s_and_saveexec_b64 s[4:5], vcc
	s_cbranch_execnz .LBB16_80
	s_branch .LBB16_81
	.section	.rodata,"a",@progbits
	.p2align	6, 0x0
	.amdhsa_kernel _ZN4vllm25paged_attention_v2_kernelIffLi256ELi8ELi128ELNS_18Fp8KVCacheDataTypeE0ELb1ELi512EEEvPfS2_PT_PKS3_PKT0_S9_ifPKiSB_iPKfiiiSD_SD_iiiii
		.amdhsa_group_segment_fixed_size 1040
		.amdhsa_private_segment_fixed_size 0
		.amdhsa_kernarg_size 400
		.amdhsa_user_sgpr_count 6
		.amdhsa_user_sgpr_private_segment_buffer 1
		.amdhsa_user_sgpr_dispatch_ptr 0
		.amdhsa_user_sgpr_queue_ptr 0
		.amdhsa_user_sgpr_kernarg_segment_ptr 1
		.amdhsa_user_sgpr_dispatch_id 0
		.amdhsa_user_sgpr_flat_scratch_init 0
		.amdhsa_user_sgpr_kernarg_preload_length 0
		.amdhsa_user_sgpr_kernarg_preload_offset 0
		.amdhsa_user_sgpr_private_segment_size 0
		.amdhsa_uses_dynamic_stack 0
		.amdhsa_system_sgpr_private_segment_wavefront_offset 0
		.amdhsa_system_sgpr_workgroup_id_x 1
		.amdhsa_system_sgpr_workgroup_id_y 1
		.amdhsa_system_sgpr_workgroup_id_z 1
		.amdhsa_system_sgpr_workgroup_info 0
		.amdhsa_system_vgpr_workitem_id 0
		.amdhsa_next_free_vgpr 106
		.amdhsa_next_free_sgpr 52
		.amdhsa_accum_offset 108
		.amdhsa_reserve_vcc 1
		.amdhsa_reserve_flat_scratch 0
		.amdhsa_float_round_mode_32 0
		.amdhsa_float_round_mode_16_64 0
		.amdhsa_float_denorm_mode_32 3
		.amdhsa_float_denorm_mode_16_64 3
		.amdhsa_dx10_clamp 1
		.amdhsa_ieee_mode 1
		.amdhsa_fp16_overflow 0
		.amdhsa_tg_split 0
		.amdhsa_exception_fp_ieee_invalid_op 0
		.amdhsa_exception_fp_denorm_src 0
		.amdhsa_exception_fp_ieee_div_zero 0
		.amdhsa_exception_fp_ieee_overflow 0
		.amdhsa_exception_fp_ieee_underflow 0
		.amdhsa_exception_fp_ieee_inexact 0
		.amdhsa_exception_int_div_zero 0
	.end_amdhsa_kernel
	.section	.text._ZN4vllm25paged_attention_v2_kernelIffLi256ELi8ELi128ELNS_18Fp8KVCacheDataTypeE0ELb1ELi512EEEvPfS2_PT_PKS3_PKT0_S9_ifPKiSB_iPKfiiiSD_SD_iiiii,"axG",@progbits,_ZN4vllm25paged_attention_v2_kernelIffLi256ELi8ELi128ELNS_18Fp8KVCacheDataTypeE0ELb1ELi512EEEvPfS2_PT_PKS3_PKT0_S9_ifPKiSB_iPKfiiiSD_SD_iiiii,comdat
.Lfunc_end16:
	.size	_ZN4vllm25paged_attention_v2_kernelIffLi256ELi8ELi128ELNS_18Fp8KVCacheDataTypeE0ELb1ELi512EEEvPfS2_PT_PKS3_PKT0_S9_ifPKiSB_iPKfiiiSD_SD_iiiii, .Lfunc_end16-_ZN4vllm25paged_attention_v2_kernelIffLi256ELi8ELi128ELNS_18Fp8KVCacheDataTypeE0ELb1ELi512EEEvPfS2_PT_PKS3_PKT0_S9_ifPKiSB_iPKfiiiSD_SD_iiiii
                                        ; -- End function
	.section	.AMDGPU.csdata,"",@progbits
; Kernel info:
; codeLenInByte = 6608
; NumSgprs: 56
; NumVgprs: 106
; NumAgprs: 0
; TotalNumVgprs: 106
; ScratchSize: 0
; MemoryBound: 0
; FloatMode: 240
; IeeeMode: 1
; LDSByteSize: 1040 bytes/workgroup (compile time only)
; SGPRBlocks: 6
; VGPRBlocks: 13
; NumSGPRsForWavesPerEU: 56
; NumVGPRsForWavesPerEU: 106
; AccumOffset: 108
; Occupancy: 4
; WaveLimiterHint : 1
; COMPUTE_PGM_RSRC2:SCRATCH_EN: 0
; COMPUTE_PGM_RSRC2:USER_SGPR: 6
; COMPUTE_PGM_RSRC2:TRAP_HANDLER: 0
; COMPUTE_PGM_RSRC2:TGID_X_EN: 1
; COMPUTE_PGM_RSRC2:TGID_Y_EN: 1
; COMPUTE_PGM_RSRC2:TGID_Z_EN: 1
; COMPUTE_PGM_RSRC2:TIDIG_COMP_CNT: 0
; COMPUTE_PGM_RSRC3_GFX90A:ACCUM_OFFSET: 26
; COMPUTE_PGM_RSRC3_GFX90A:TG_SPLIT: 0
	.section	.text._ZN4vllm32paged_attention_v2_reduce_kernelIfLi256ELi128ELi512EEEvPT_PKfS4_PKS1_PKii,"axG",@progbits,_ZN4vllm32paged_attention_v2_reduce_kernelIfLi256ELi128ELi512EEEvPT_PKfS4_PKS1_PKii,comdat
	.protected	_ZN4vllm32paged_attention_v2_reduce_kernelIfLi256ELi128ELi512EEEvPT_PKfS4_PKS1_PKii ; -- Begin function _ZN4vllm32paged_attention_v2_reduce_kernelIfLi256ELi128ELi512EEEvPT_PKfS4_PKS1_PKii
	.globl	_ZN4vllm32paged_attention_v2_reduce_kernelIfLi256ELi128ELi512EEEvPT_PKfS4_PKS1_PKii
	.p2align	8
	.type	_ZN4vllm32paged_attention_v2_reduce_kernelIfLi256ELi128ELi512EEEvPT_PKfS4_PKS1_PKii,@function
_ZN4vllm32paged_attention_v2_reduce_kernelIfLi256ELi128ELi512EEEvPT_PKfS4_PKS1_PKii: ; @_ZN4vllm32paged_attention_v2_reduce_kernelIfLi256ELi128ELi512EEEvPT_PKfS4_PKS1_PKii
; %bb.0:
	s_load_dwordx4 s[8:11], s[4:5], 0x18
	s_add_u32 s12, s4, 48
	s_mov_b32 s14, s7
	s_addc_u32 s13, s5, 0
	s_ashr_i32 s15, s7, 31
	s_lshl_b64 s[0:1], s[14:15], 2
	s_waitcnt lgkmcnt(0)
	s_add_u32 s0, s10, s0
	s_addc_u32 s1, s11, s1
	s_load_dword s22, s[0:1], 0x0
	s_load_dwordx2 s[10:11], s[4:5], 0x0
	s_load_dword s7, s[4:5], 0x28
	s_load_dword s15, s[4:5], 0x30
	s_waitcnt lgkmcnt(0)
	s_add_i32 s0, s22, -1
	s_cmpk_gt_u32 s0, 0x1ff
	s_mov_b64 s[0:1], -1
	s_cbranch_scc0 .LBB17_24
; %bb.1:
	s_add_i32 s0, s22, 0x1ff
	s_load_dwordx2 s[20:21], s[4:5], 0x8
	s_ashr_i32 s1, s0, 31
	s_lshr_b32 s1, s1, 23
	s_add_i32 s0, s0, s1
	s_mul_i32 s24, s15, s14
	s_ashr_i32 s23, s0, 9
	s_mul_i32 s16, s24, s7
	s_mul_i32 s18, s6, s7
	s_ashr_i32 s17, s16, 31
	s_ashr_i32 s19, s18, 31
	v_cmp_gt_i32_e32 vcc, s23, v0
	v_mov_b32_e32 v4, 0xff7fffff
	s_and_saveexec_b64 s[2:3], vcc
	s_cbranch_execz .LBB17_5
; %bb.2:
	s_load_dword s25, s[12:13], 0xc
	s_load_dwordx2 s[0:1], s[4:5], 0x10
	s_lshl_b64 s[4:5], s[16:17], 2
	s_lshl_b64 s[26:27], s[18:19], 2
	v_lshlrev_b32_e32 v1, 2, v0
	s_waitcnt lgkmcnt(0)
	s_and_b32 s25, s25, 0xffff
	s_add_u32 s4, s4, s26
	s_addc_u32 s5, s5, s27
	s_add_u32 s0, s0, s4
	s_addc_u32 s1, s1, s5
	s_mov_b32 s28, 0
	v_mov_b32_e32 v3, s1
	v_add_co_u32_e64 v2, s[0:1], s0, v1
	v_addc_co_u32_e64 v3, s[0:1], 0, v3, s[0:1]
	s_lshl_b32 s26, s25, 2
	v_add_u32_e32 v1, 16, v1
	s_mov_b64 s[4:5], 0
	v_mov_b32_e32 v4, 0xff7fffff
	v_mov_b32_e32 v5, s28
	;; [unrolled: 1-line block ×3, first 2 shown]
.LBB17_3:                               ; =>This Inner Loop Header: Depth=1
	global_load_dword v7, v[2:3], off
	v_add_co_u32_e64 v2, s[0:1], s26, v2
	v_add_u32_e32 v6, s25, v6
	v_addc_co_u32_e64 v3, s[0:1], v3, v5, s[0:1]
	v_max_f32_e32 v4, v4, v4
	v_cmp_le_i32_e64 s[0:1], s23, v6
	s_or_b64 s[4:5], s[0:1], s[4:5]
	s_waitcnt vmcnt(0)
	ds_write_b32 v1, v7
	v_max_f32_e32 v7, v7, v7
	v_add_u32_e32 v1, s26, v1
	v_max_f32_e32 v4, v4, v7
	s_andn2_b64 exec, exec, s[4:5]
	s_cbranch_execnz .LBB17_3
; %bb.4:
	s_or_b64 exec, exec, s[4:5]
.LBB17_5:
	s_or_b64 exec, exec, s[2:3]
	v_mbcnt_lo_u32_b32 v1, -1, 0
	v_mbcnt_hi_u32_b32 v2, -1, v1
	v_and_b32_e32 v1, 64, v2
	v_add_u32_e32 v5, 64, v1
	v_xor_b32_e32 v1, 32, v2
	v_cmp_lt_i32_e64 s[0:1], v1, v5
	v_cndmask_b32_e64 v1, v2, v1, s[0:1]
	v_lshlrev_b32_e32 v1, 2, v1
	ds_bpermute_b32 v3, v1, v4
	v_xor_b32_e32 v6, 16, v2
	v_max_f32_e32 v4, v4, v4
	v_cmp_lt_i32_e64 s[0:1], v6, v5
	v_xor_b32_e32 v7, 8, v2
	s_waitcnt lgkmcnt(0)
	v_max_f32_e32 v3, v3, v3
	v_max_f32_e32 v3, v4, v3
	v_cndmask_b32_e64 v4, v2, v6, s[0:1]
	v_lshlrev_b32_e32 v6, 2, v4
	ds_bpermute_b32 v4, v6, v3
	v_cmp_lt_i32_e64 s[0:1], v7, v5
	v_xor_b32_e32 v8, 4, v2
	s_waitcnt lgkmcnt(0)
	s_barrier
	v_max_f32_e32 v4, v4, v4
	v_max_f32_e32 v3, v3, v4
	v_cndmask_b32_e64 v4, v2, v7, s[0:1]
	v_lshlrev_b32_e32 v7, 2, v4
	ds_bpermute_b32 v4, v7, v3
	v_cmp_lt_i32_e64 s[0:1], v8, v5
	s_waitcnt lgkmcnt(0)
	v_max_f32_e32 v4, v4, v4
	v_max_f32_e32 v3, v3, v4
	v_cndmask_b32_e64 v4, v2, v8, s[0:1]
	v_lshlrev_b32_e32 v9, 2, v4
	ds_bpermute_b32 v4, v9, v3
	v_xor_b32_e32 v8, 2, v2
	v_cmp_lt_i32_e64 s[0:1], v8, v5
	s_waitcnt lgkmcnt(0)
	v_max_f32_e32 v4, v4, v4
	v_max_f32_e32 v3, v3, v4
	v_cndmask_b32_e64 v4, v2, v8, s[0:1]
	v_lshlrev_b32_e32 v10, 2, v4
	ds_bpermute_b32 v11, v10, v3
	v_and_b32_e32 v4, 63, v0
	v_lshrrev_b32_e32 v8, 6, v0
	s_waitcnt lgkmcnt(0)
	v_max_f32_e32 v11, v11, v11
	v_max_f32_e32 v3, v3, v11
	v_xor_b32_e32 v11, 1, v2
	v_cmp_lt_i32_e64 s[0:1], v11, v5
	v_cndmask_b32_e64 v5, v2, v11, s[0:1]
	v_lshlrev_b32_e32 v5, 2, v5
	ds_bpermute_b32 v11, v5, v3
	v_cmp_eq_u32_e64 s[0:1], 0, v4
	s_and_saveexec_b64 s[2:3], s[0:1]
	s_cbranch_execz .LBB17_7
; %bb.6:
	s_waitcnt lgkmcnt(0)
	v_max_f32_e32 v11, v11, v11
	v_max_f32_e32 v3, v3, v3
	;; [unrolled: 1-line block ×3, first 2 shown]
	v_lshlrev_b32_e32 v11, 2, v8
	ds_write_b32 v11, v3
.LBB17_7:
	s_or_b64 exec, exec, s[2:3]
	v_cmp_gt_u32_e64 s[2:3], 2, v4
	v_mov_b32_e32 v3, 0xff7fffff
	s_waitcnt lgkmcnt(0)
	s_barrier
	s_and_saveexec_b64 s[4:5], s[2:3]
	s_cbranch_execz .LBB17_9
; %bb.8:
	v_lshlrev_b32_e32 v3, 2, v4
	ds_read_b32 v3, v3
.LBB17_9:
	s_or_b64 exec, exec, s[4:5]
	s_waitcnt lgkmcnt(0)
	ds_bpermute_b32 v11, v5, v3
	v_max_f32_e32 v3, v3, v3
	v_lshlrev_b32_e32 v2, 2, v2
	s_lshl_b32 s25, s23, 2
	v_mov_b32_e32 v13, 0
	s_waitcnt lgkmcnt(0)
	v_max_f32_e32 v11, v11, v11
	v_max_f32_e32 v3, v3, v11
	v_and_b32_e32 v11, 0x100, v2
	ds_bpermute_b32 v12, v11, v3
	s_and_saveexec_b64 s[4:5], vcc
	s_cbranch_execz .LBB17_13
; %bb.10:
	s_load_dword s30, s[12:13], 0xc
	s_lshl_b64 s[26:27], s[16:17], 2
	s_lshl_b64 s[28:29], s[18:19], 2
	v_lshlrev_b32_e32 v13, 2, v0
	s_mov_b32 s31, 0
	s_waitcnt lgkmcnt(0)
	s_and_b32 s17, s30, 0xffff
	s_add_u32 s19, s26, s28
	s_addc_u32 s26, s27, s29
	s_add_u32 s19, s20, s19
	s_addc_u32 s20, s21, s26
	v_mov_b32_e32 v3, s20
	v_add_co_u32_e32 v2, vcc, s19, v13
	v_addc_co_u32_e32 v3, vcc, 0, v3, vcc
	s_lshl_b32 s19, s17, 2
	v_add_u32_e32 v14, 16, v13
	s_mov_b64 s[20:21], 0
	v_mov_b32_e32 v13, 0
	s_mov_b32 s26, 0x3fb8aa3b
	s_mov_b32 s27, 0xc2ce8ed0
	;; [unrolled: 1-line block ×3, first 2 shown]
	v_mov_b32_e32 v15, 0x7f800000
	v_mov_b32_e32 v16, s31
	;; [unrolled: 1-line block ×3, first 2 shown]
.LBB17_11:                              ; =>This Inner Loop Header: Depth=1
	global_load_dword v18, v[2:3], off
	ds_read_b32 v19, v14
	v_add_co_u32_e32 v2, vcc, s19, v2
	v_add_u32_e32 v17, s17, v17
	v_addc_co_u32_e32 v3, vcc, v3, v16, vcc
	s_waitcnt lgkmcnt(0)
	v_sub_f32_e32 v19, v19, v12
	v_mul_f32_e32 v21, 0x3fb8aa3b, v19
	v_fma_f32 v22, v19, s26, -v21
	v_rndne_f32_e32 v23, v21
	v_fmac_f32_e32 v22, 0x32a5705f, v19
	v_sub_f32_e32 v21, v21, v23
	v_add_f32_e32 v21, v21, v22
	v_cvt_i32_f32_e32 v23, v23
	v_exp_f32_e32 v21, v21
	v_cmp_le_i32_e32 vcc, s23, v17
	s_or_b64 s[20:21], vcc, s[20:21]
	v_cmp_ngt_f32_e32 vcc, s27, v19
	v_ldexp_f32 v21, v21, v23
	v_cndmask_b32_e32 v21, 0, v21, vcc
	v_cmp_nlt_f32_e32 vcc, s28, v19
	v_cndmask_b32_e32 v19, v15, v21, vcc
	v_add_u32_e32 v20, s25, v14
	v_add_u32_e32 v14, s19, v14
	s_waitcnt vmcnt(0)
	v_mul_f32_e32 v21, v18, v19
	v_fmac_f32_e32 v13, v18, v19
	ds_write_b32 v20, v21
	s_andn2_b64 exec, exec, s[20:21]
	s_cbranch_execnz .LBB17_11
; %bb.12:
	s_or_b64 exec, exec, s[20:21]
.LBB17_13:
	s_or_b64 exec, exec, s[4:5]
	ds_bpermute_b32 v1, v1, v13
	s_waitcnt lgkmcnt(0)
	s_barrier
	v_add_f32_e32 v1, v13, v1
	ds_bpermute_b32 v2, v6, v1
	s_waitcnt lgkmcnt(0)
	v_add_f32_e32 v1, v1, v2
	ds_bpermute_b32 v2, v7, v1
	s_waitcnt lgkmcnt(0)
	;; [unrolled: 3-line block ×5, first 2 shown]
	v_add_f32_e32 v1, v1, v2
	s_and_saveexec_b64 s[4:5], s[0:1]
	s_cbranch_execz .LBB17_15
; %bb.14:
	v_lshlrev_b32_e32 v2, 2, v8
	ds_write_b32 v2, v1 offset:8
.LBB17_15:
	s_or_b64 exec, exec, s[4:5]
	s_waitcnt lgkmcnt(0)
	s_barrier
	s_and_saveexec_b64 s[0:1], s[2:3]
	s_cbranch_execz .LBB17_17
; %bb.16:
	v_lshlrev_b32_e32 v1, 2, v4
	ds_read_b32 v1, v1 offset:8
.LBB17_17:
	s_or_b64 exec, exec, s[0:1]
	s_waitcnt lgkmcnt(0)
	ds_bpermute_b32 v2, v5, v1
	s_movk_i32 s0, 0x100
	v_cmp_gt_u32_e32 vcc, s0, v0
	s_waitcnt lgkmcnt(0)
	v_add_f32_e32 v1, v1, v2
	ds_bpermute_b32 v1, v11, v1
	s_and_saveexec_b64 s[2:3], vcc
	s_cbranch_execz .LBB17_23
; %bb.18:
	s_waitcnt lgkmcnt(0)
	v_add_f32_e32 v1, 0x358637bd, v1
	v_div_scale_f32 v2, s[0:1], v1, v1, 1.0
	s_lshl_b32 s0, s16, 8
	s_lshl_b32 s16, s24, 8
	;; [unrolled: 1-line block ×3, first 2 shown]
	s_ashr_i32 s17, s16, 31
	s_ashr_i32 s1, s0, 31
	;; [unrolled: 1-line block ×3, first 2 shown]
	s_lshl_b64 s[16:17], s[16:17], 2
	v_rcp_f32_e32 v3, v2
	s_add_u32 s18, s10, s16
	s_addc_u32 s19, s11, s17
	s_lshl_b32 s16, s6, 8
	s_ashr_i32 s17, s16, 31
	s_lshl_b64 s[16:17], s[16:17], 2
	v_fma_f32 v5, -v2, v3, 1.0
	s_add_u32 s16, s18, s16
	v_div_scale_f32 v4, vcc, 1.0, v1, 1.0
	v_fmac_f32_e32 v3, v5, v3
	s_addc_u32 s19, s19, s17
	s_add_i32 s17, s25, 16
	v_mul_f32_e32 v5, v4, v3
	s_cmp_gt_i32 s22, 0
	v_fma_f32 v6, -v2, v5, v4
	s_cselect_b64 s[20:21], -1, 0
	s_max_i32 s18, s23, 1
	s_lshl_b64 s[0:1], s[0:1], 2
	s_lshl_b64 s[4:5], s[4:5], 2
	v_fmac_f32_e32 v5, v6, v3
	s_add_u32 s0, s0, s4
	v_fma_f32 v2, -v2, v5, v4
	s_addc_u32 s1, s1, s5
	v_div_fmas_f32 v2, v2, v3, v5
	s_add_u32 s0, s8, s0
	v_div_fixup_f32 v1, v2, v1, 1.0
	v_lshlrev_b32_e32 v2, 2, v0
	s_addc_u32 s1, s9, s1
	v_mov_b32_e32 v5, s1
	v_add_co_u32_e32 v4, vcc, s0, v2
	v_cndmask_b32_e64 v2, 0, 1, s[20:21]
	v_mov_b32_e32 v3, 0
	v_addc_co_u32_e32 v5, vcc, 0, v5, vcc
	s_mov_b64 s[4:5], 0
	v_cmp_ne_u32_e64 s[0:1], 1, v2
	v_mov_b32_e32 v8, s19
	s_movk_i32 s19, 0x7f
	v_mov_b32_e32 v2, v0
	s_branch .LBB17_20
.LBB17_19:                              ;   in Loop: Header=BB17_20 Depth=1
	v_lshlrev_b64 v[6:7], 2, v[2:3]
	v_add_co_u32_e32 v6, vcc, s16, v6
	v_addc_co_u32_e32 v7, vcc, v8, v7, vcc
	v_add_co_u32_e32 v4, vcc, 0x200, v4
	v_addc_co_u32_e32 v5, vcc, 0, v5, vcc
	global_store_dword v[6:7], v9, off
	v_add_u32_e32 v6, 0x80, v2
	v_cmp_lt_u32_e32 vcc, s19, v2
	s_or_b64 s[4:5], vcc, s[4:5]
	v_mov_b32_e32 v2, v6
	s_andn2_b64 exec, exec, s[4:5]
	s_cbranch_execz .LBB17_23
.LBB17_20:                              ; =>This Loop Header: Depth=1
                                        ;     Child Loop BB17_22 Depth 2
	s_and_b64 vcc, exec, s[0:1]
	v_mov_b32_e32 v9, 0
	s_cbranch_vccnz .LBB17_19
; %bb.21:                               ;   in Loop: Header=BB17_20 Depth=1
	v_mov_b32_e32 v9, 0
	s_mov_b32 s20, s17
	v_pk_mov_b32 v[6:7], v[4:5], v[4:5] op_sel:[0,1]
	s_mov_b32 s21, s18
.LBB17_22:                              ;   Parent Loop BB17_20 Depth=1
                                        ; =>  This Inner Loop Header: Depth=2
	global_load_dword v10, v[6:7], off
	v_mov_b32_e32 v11, s20
	ds_read_b32 v11, v11
	s_add_i32 s21, s21, -1
	v_add_co_u32_e32 v6, vcc, 0x400, v6
	s_add_i32 s20, s20, 4
	v_addc_co_u32_e32 v7, vcc, 0, v7, vcc
	s_cmp_eq_u32 s21, 0
	s_waitcnt vmcnt(0) lgkmcnt(0)
	v_mul_f32_e32 v10, v10, v11
	v_fmac_f32_e32 v9, v1, v10
	s_cbranch_scc0 .LBB17_22
	s_branch .LBB17_19
.LBB17_23:
	s_or_b64 exec, exec, s[2:3]
	s_mov_b64 s[0:1], 0
.LBB17_24:
	s_and_b64 vcc, exec, s[0:1]
	s_cbranch_vccz .LBB17_33
; %bb.25:
	s_movk_i32 s0, 0x100
	v_cmp_gt_u32_e32 vcc, s0, v0
	s_and_saveexec_b64 s[2:3], vcc
	s_cbranch_execz .LBB17_33
; %bb.26:
	s_mul_i32 s15, s15, s14
	s_lshl_b32 s2, s15, 8
	s_ashr_i32 s3, s2, 31
	s_lshl_b64 s[2:3], s[2:3], 2
	s_add_u32 s1, s10, s2
	s_addc_u32 s5, s11, s3
	s_lshl_b32 s2, s6, 8
	s_ashr_i32 s3, s2, 31
	s_lshl_b64 s[2:3], s[2:3], 2
	s_add_u32 s4, s1, s2
	s_mul_i32 s1, s7, s15
	s_addc_u32 s10, s5, s3
	s_lshl_b32 s2, s1, 8
	s_ashr_i32 s3, s2, 31
	s_lshl_b64 s[2:3], s[2:3], 2
	s_add_u32 s1, s8, s2
	s_mul_i32 s6, s6, s7
	s_addc_u32 s8, s9, s3
	s_lshl_b32 s2, s6, 8
	s_load_dword s6, s[12:13], 0xc
	s_ashr_i32 s3, s2, 31
	s_lshl_b64 s[2:3], s[2:3], 2
	s_add_u32 s5, s1, s2
	s_addc_u32 s7, s8, s3
	s_waitcnt lgkmcnt(0)
	s_and_b32 s6, s6, 0xffff
	v_cvt_f32_u32_e32 v1, s6
	v_add_u32_e32 v2, s6, v0
	v_mov_b32_e32 v4, s6
	v_cmp_gt_u32_e32 vcc, s0, v2
	v_rcp_iflag_f32_e32 v1, v1
	s_cmp_eq_u32 s6, 1
	v_max_u32_e32 v3, 0x100, v2
	v_addc_co_u32_e64 v2, s[0:1], v0, v4, vcc
	v_mul_f32_e32 v1, 0x4f7ffffe, v1
	v_cvt_u32_f32_e32 v1, v1
	s_cselect_b64 s[2:3], -1, 0
	s_sub_i32 s0, 0, s6
	v_sub_u32_e32 v2, v3, v2
	v_mul_lo_u32 v3, s0, v1
	v_mul_hi_u32 v3, v1, v3
	v_add_u32_e32 v1, v1, v3
	v_mul_hi_u32 v1, v2, v1
	v_mul_lo_u32 v3, v1, s6
	v_sub_u32_e32 v2, v2, v3
	v_add_u32_e32 v3, 1, v1
	v_cmp_le_u32_e64 s[0:1], s6, v2
	v_cndmask_b32_e64 v1, v1, v3, s[0:1]
	v_subrev_u32_e32 v3, s6, v2
	v_cndmask_b32_e64 v2, v2, v3, s[0:1]
	v_add_u32_e32 v3, 1, v1
	v_cmp_le_u32_e64 s[0:1], s6, v2
	v_cndmask_b32_e64 v1, v1, v3, s[0:1]
	v_addc_co_u32_e32 v1, vcc, 1, v1, vcc
	v_cmp_lt_u32_e32 vcc, 3, v1
	s_and_b64 s[8:9], vcc, s[2:3]
	s_mov_b64 s[2:3], -1
	s_and_saveexec_b64 s[0:1], s[8:9]
	s_cbranch_execz .LBB17_30
; %bb.27:
	v_and_b32_e32 v4, -4, v1
	s_mov_b64 s[2:3], 0
	v_mov_b32_e32 v3, 0
	v_mov_b32_e32 v5, s7
	;; [unrolled: 1-line block ×5, first 2 shown]
.LBB17_28:                              ; =>This Inner Loop Header: Depth=1
	v_lshlrev_b64 v[12:13], 2, v[2:3]
	v_add_co_u32_e32 v8, vcc, s5, v12
	v_addc_co_u32_e32 v9, vcc, v5, v13, vcc
	global_load_dwordx4 v[8:11], v[8:9], off
	v_add_co_u32_e32 v12, vcc, s4, v12
	v_add_u32_e32 v7, -4, v7
	v_addc_co_u32_e32 v13, vcc, v6, v13, vcc
	v_cmp_eq_u32_e32 vcc, 0, v7
	v_add_u32_e32 v2, 4, v2
	s_or_b64 s[2:3], vcc, s[2:3]
	s_waitcnt vmcnt(0)
	global_store_dwordx4 v[12:13], v[8:11], off
	s_andn2_b64 exec, exec, s[2:3]
	s_cbranch_execnz .LBB17_28
; %bb.29:
	s_or_b64 exec, exec, s[2:3]
	v_cmp_ne_u32_e32 vcc, v1, v4
	v_add_u32_e32 v0, v0, v4
	s_orn2_b64 s[2:3], vcc, exec
.LBB17_30:
	s_or_b64 exec, exec, s[0:1]
	s_and_b64 exec, exec, s[2:3]
	s_cbranch_execz .LBB17_33
; %bb.31:
	s_mov_b32 s3, 0
	v_mov_b32_e32 v1, 0
	v_lshlrev_b64 v[2:3], 2, v[0:1]
	s_lshl_b32 s2, s6, 2
	s_mov_b64 s[0:1], 0
	v_mov_b32_e32 v1, s7
	v_mov_b32_e32 v4, s10
	;; [unrolled: 1-line block ×3, first 2 shown]
	s_movk_i32 s3, 0xff
.LBB17_32:                              ; =>This Inner Loop Header: Depth=1
	v_add_co_u32_e32 v6, vcc, s5, v2
	v_addc_co_u32_e32 v7, vcc, v1, v3, vcc
	global_load_dword v8, v[6:7], off
	v_add_co_u32_e32 v6, vcc, s4, v2
	v_addc_co_u32_e32 v7, vcc, v4, v3, vcc
	v_add_co_u32_e32 v2, vcc, s2, v2
	v_add_u32_e32 v0, s6, v0
	v_addc_co_u32_e32 v3, vcc, v3, v5, vcc
	v_cmp_lt_u32_e32 vcc, s3, v0
	s_or_b64 s[0:1], vcc, s[0:1]
	s_waitcnt vmcnt(0)
	global_store_dword v[6:7], v8, off
	s_andn2_b64 exec, exec, s[0:1]
	s_cbranch_execnz .LBB17_32
.LBB17_33:
	s_endpgm
	.section	.rodata,"a",@progbits
	.p2align	6, 0x0
	.amdhsa_kernel _ZN4vllm32paged_attention_v2_reduce_kernelIfLi256ELi128ELi512EEEvPT_PKfS4_PKS1_PKii
		.amdhsa_group_segment_fixed_size 16
		.amdhsa_private_segment_fixed_size 0
		.amdhsa_kernarg_size 304
		.amdhsa_user_sgpr_count 6
		.amdhsa_user_sgpr_private_segment_buffer 1
		.amdhsa_user_sgpr_dispatch_ptr 0
		.amdhsa_user_sgpr_queue_ptr 0
		.amdhsa_user_sgpr_kernarg_segment_ptr 1
		.amdhsa_user_sgpr_dispatch_id 0
		.amdhsa_user_sgpr_flat_scratch_init 0
		.amdhsa_user_sgpr_kernarg_preload_length 0
		.amdhsa_user_sgpr_kernarg_preload_offset 0
		.amdhsa_user_sgpr_private_segment_size 0
		.amdhsa_uses_dynamic_stack 0
		.amdhsa_system_sgpr_private_segment_wavefront_offset 0
		.amdhsa_system_sgpr_workgroup_id_x 1
		.amdhsa_system_sgpr_workgroup_id_y 1
		.amdhsa_system_sgpr_workgroup_id_z 0
		.amdhsa_system_sgpr_workgroup_info 0
		.amdhsa_system_vgpr_workitem_id 0
		.amdhsa_next_free_vgpr 24
		.amdhsa_next_free_sgpr 32
		.amdhsa_accum_offset 24
		.amdhsa_reserve_vcc 1
		.amdhsa_reserve_flat_scratch 0
		.amdhsa_float_round_mode_32 0
		.amdhsa_float_round_mode_16_64 0
		.amdhsa_float_denorm_mode_32 3
		.amdhsa_float_denorm_mode_16_64 3
		.amdhsa_dx10_clamp 1
		.amdhsa_ieee_mode 1
		.amdhsa_fp16_overflow 0
		.amdhsa_tg_split 0
		.amdhsa_exception_fp_ieee_invalid_op 0
		.amdhsa_exception_fp_denorm_src 0
		.amdhsa_exception_fp_ieee_div_zero 0
		.amdhsa_exception_fp_ieee_overflow 0
		.amdhsa_exception_fp_ieee_underflow 0
		.amdhsa_exception_fp_ieee_inexact 0
		.amdhsa_exception_int_div_zero 0
	.end_amdhsa_kernel
	.section	.text._ZN4vllm32paged_attention_v2_reduce_kernelIfLi256ELi128ELi512EEEvPT_PKfS4_PKS1_PKii,"axG",@progbits,_ZN4vllm32paged_attention_v2_reduce_kernelIfLi256ELi128ELi512EEEvPT_PKfS4_PKS1_PKii,comdat
.Lfunc_end17:
	.size	_ZN4vllm32paged_attention_v2_reduce_kernelIfLi256ELi128ELi512EEEvPT_PKfS4_PKS1_PKii, .Lfunc_end17-_ZN4vllm32paged_attention_v2_reduce_kernelIfLi256ELi128ELi512EEEvPT_PKfS4_PKS1_PKii
                                        ; -- End function
	.section	.AMDGPU.csdata,"",@progbits
; Kernel info:
; codeLenInByte = 2236
; NumSgprs: 36
; NumVgprs: 24
; NumAgprs: 0
; TotalNumVgprs: 24
; ScratchSize: 0
; MemoryBound: 0
; FloatMode: 240
; IeeeMode: 1
; LDSByteSize: 16 bytes/workgroup (compile time only)
; SGPRBlocks: 4
; VGPRBlocks: 2
; NumSGPRsForWavesPerEU: 36
; NumVGPRsForWavesPerEU: 24
; AccumOffset: 24
; Occupancy: 8
; WaveLimiterHint : 0
; COMPUTE_PGM_RSRC2:SCRATCH_EN: 0
; COMPUTE_PGM_RSRC2:USER_SGPR: 6
; COMPUTE_PGM_RSRC2:TRAP_HANDLER: 0
; COMPUTE_PGM_RSRC2:TGID_X_EN: 1
; COMPUTE_PGM_RSRC2:TGID_Y_EN: 1
; COMPUTE_PGM_RSRC2:TGID_Z_EN: 0
; COMPUTE_PGM_RSRC2:TIDIG_COMP_CNT: 0
; COMPUTE_PGM_RSRC3_GFX90A:ACCUM_OFFSET: 5
; COMPUTE_PGM_RSRC3_GFX90A:TG_SPLIT: 0
	.section	.text._ZN4vllm25paged_attention_v2_kernelIffLi32ELi8ELi128ELNS_18Fp8KVCacheDataTypeE0ELb0ELi512EEEvPfS2_PT_PKS3_PKT0_S9_ifPKiSB_iPKfiiiSD_SD_iiiii,"axG",@progbits,_ZN4vllm25paged_attention_v2_kernelIffLi32ELi8ELi128ELNS_18Fp8KVCacheDataTypeE0ELb0ELi512EEEvPfS2_PT_PKS3_PKT0_S9_ifPKiSB_iPKfiiiSD_SD_iiiii,comdat
	.protected	_ZN4vllm25paged_attention_v2_kernelIffLi32ELi8ELi128ELNS_18Fp8KVCacheDataTypeE0ELb0ELi512EEEvPfS2_PT_PKS3_PKT0_S9_ifPKiSB_iPKfiiiSD_SD_iiiii ; -- Begin function _ZN4vllm25paged_attention_v2_kernelIffLi32ELi8ELi128ELNS_18Fp8KVCacheDataTypeE0ELb0ELi512EEEvPfS2_PT_PKS3_PKT0_S9_ifPKiSB_iPKfiiiSD_SD_iiiii
	.globl	_ZN4vllm25paged_attention_v2_kernelIffLi32ELi8ELi128ELNS_18Fp8KVCacheDataTypeE0ELb0ELi512EEEvPfS2_PT_PKS3_PKT0_S9_ifPKiSB_iPKfiiiSD_SD_iiiii
	.p2align	8
	.type	_ZN4vllm25paged_attention_v2_kernelIffLi32ELi8ELi128ELNS_18Fp8KVCacheDataTypeE0ELb0ELi512EEEvPfS2_PT_PKS3_PKT0_S9_ifPKiSB_iPKfiiiSD_SD_iiiii,@function
_ZN4vllm25paged_attention_v2_kernelIffLi32ELi8ELi128ELNS_18Fp8KVCacheDataTypeE0ELb0ELi512EEEvPfS2_PT_PKS3_PKT0_S9_ifPKiSB_iPKfiiiSD_SD_iiiii: ; @_ZN4vllm25paged_attention_v2_kernelIffLi32ELi8ELi128ELNS_18Fp8KVCacheDataTypeE0ELb0ELi512EEEvPfS2_PT_PKS3_PKT0_S9_ifPKiSB_iPKfiiiSD_SD_iiiii
; %bb.0:
	s_load_dwordx2 s[0:1], s[4:5], 0x40
	s_mov_b32 s24, s7
	s_ashr_i32 s25, s7, 31
	s_lshl_b64 s[2:3], s[24:25], 2
	s_waitcnt lgkmcnt(0)
	s_add_u32 s0, s0, s2
	s_addc_u32 s1, s1, s3
	s_load_dword s25, s[0:1], 0x0
	s_lshl_b32 s33, s8, 9
	s_waitcnt lgkmcnt(0)
	s_cmp_ge_i32 s33, s25
	s_cbranch_scc1 .LBB18_52
; %bb.1:
	s_load_dword s9, s[4:5], 0x90
	s_load_dwordx2 s[10:11], s[4:5], 0x30
	s_mov_b32 s40, 0
	s_waitcnt lgkmcnt(0)
	s_abs_i32 s2, s9
	s_abs_i32 s0, s10
	v_cvt_f32_u32_e32 v1, s0
	s_sub_i32 s3, 0, s0
	s_xor_b32 s1, s9, s10
	s_ashr_i32 s1, s1, 31
	v_rcp_iflag_f32_e32 v1, v1
	v_mul_f32_e32 v1, 0x4f7ffffe, v1
	v_cvt_u32_f32_e32 v1, v1
	v_readfirstlane_b32 s7, v1
	s_mul_i32 s3, s3, s7
	s_mul_hi_u32 s3, s7, s3
	s_add_i32 s7, s7, s3
	s_mul_hi_u32 s3, s2, s7
	s_mul_i32 s7, s3, s0
	s_sub_i32 s2, s2, s7
	s_add_i32 s10, s3, 1
	s_sub_i32 s7, s2, s0
	s_cmp_ge_u32 s2, s0
	s_cselect_b32 s3, s10, s3
	s_cselect_b32 s2, s7, s2
	s_add_i32 s7, s3, 1
	s_cmp_ge_u32 s2, s0
	s_cselect_b32 s0, s7, s3
	s_xor_b32 s0, s0, s1
	s_sub_i32 s10, s0, s1
	s_abs_i32 s2, s10
	v_cvt_f32_u32_e32 v1, s2
	s_load_dwordx2 s[0:1], s[4:5], 0x50
	s_sub_i32 s7, 0, s2
	s_abs_i32 s3, s6
	v_rcp_iflag_f32_e32 v1, v1
	v_mul_f32_e32 v1, 0x4f7ffffe, v1
	v_cvt_u32_f32_e32 v1, v1
	v_readfirstlane_b32 s12, v1
	s_mul_i32 s7, s7, s12
	s_mul_hi_u32 s7, s12, s7
	s_add_i32 s12, s12, s7
	s_waitcnt lgkmcnt(0)
	s_cmp_eq_u64 s[0:1], 0
	s_mul_hi_u32 s16, s3, s12
	s_cbranch_scc1 .LBB18_3
; %bb.2:
	s_ashr_i32 s7, s6, 31
	s_lshl_b64 s[12:13], s[6:7], 2
	s_add_u32 s0, s0, s12
	s_addc_u32 s1, s1, s13
	s_load_dword s40, s[0:1], 0x0
.LBB18_3:
	s_load_dwordx4 s[12:15], s[4:5], 0x58
	s_ashr_i32 s17, s6, 31
	s_ashr_i32 s18, s10, 31
	v_and_b32_e32 v6, 7, v0
	s_lshl_b32 s20, s6, 5
	v_cmp_gt_u32_e32 vcc, 32, v0
	v_lshlrev_b32_e32 v1, 2, v0
	s_and_saveexec_b64 s[0:1], vcc
	s_cbranch_execz .LBB18_5
; %bb.4:
	s_load_dwordx2 s[22:23], s[4:5], 0x18
	s_waitcnt lgkmcnt(0)
	s_mul_i32 s26, s24, s12
	s_ashr_i32 s27, s26, 31
	s_lshl_b64 s[26:27], s[26:27], 2
	v_lshrrev_b32_e32 v3, 1, v0
	s_add_u32 s7, s22, s26
	s_addc_u32 s10, s23, s27
	s_ashr_i32 s21, s20, 31
	s_lshl_b64 s[22:23], s[20:21], 2
	s_add_u32 s22, s7, s22
	s_addc_u32 s23, s10, s23
	global_load_dword v2, v1, s[22:23]
	v_and_b32_e32 v3, 0x1fc, v3
	v_lshl_add_u32 v3, v6, 4, v3
	s_waitcnt vmcnt(0)
	ds_write_b32 v3, v2
.LBB18_5:
	s_or_b64 exec, exec, s[0:1]
	s_add_i32 s0, s25, 7
	s_ashr_i32 s1, s0, 31
	s_lshr_b32 s1, s1, 29
	s_add_i32 s0, s0, s1
	s_lshl_b32 s10, s8, 6
	s_mul_i32 s1, s16, s2
	s_ashr_i32 s7, s0, 3
	s_add_i32 s0, s10, 64
	s_sub_i32 s1, s3, s1
	s_min_i32 s21, s0, s7
	s_xor_b32 s0, s17, s18
	s_add_i32 s3, s16, 1
	s_waitcnt lgkmcnt(0)
	s_sub_i32 s12, s1, s2
	s_cmp_ge_u32 s1, s2
	s_cselect_b32 s3, s3, s16
	s_cselect_b32 s1, s12, s1
	s_add_i32 s12, s3, 1
	s_cmp_ge_u32 s1, s2
	s_load_dwordx2 s[26:27], s[4:5], 0x38
	s_load_dword s2, s[4:5], 0x48
	v_lshrrev_b32_e32 v8, 6, v0
	s_cselect_b32 s1, s12, s3
	s_xor_b32 s1, s1, s0
	v_or_b32_e32 v10, s10, v8
	s_waitcnt lgkmcnt(0)
	s_mul_i32 s28, s24, s2
	s_sub_i32 s15, s1, s0
	s_ashr_i32 s29, s28, 31
	v_cmp_gt_i32_e64 s[0:1], s21, v10
	v_cmp_le_i32_e32 vcc, s21, v10
	v_mbcnt_lo_u32_b32 v7, -1, 0
	s_barrier
	s_waitcnt lgkmcnt(0)
                                        ; implicit-def: $sgpr36
                                        ; implicit-def: $vgpr9
                                        ; implicit-def: $vgpr12
	s_and_saveexec_b64 s[2:3], vcc
	s_xor_b64 s[2:3], exec, s[2:3]
; %bb.6:
	v_mbcnt_hi_u32_b32 v9, -1, v7
	v_and_b32_e32 v2, 64, v9
	v_add_u32_e32 v12, 64, v2
	s_mov_b32 s36, 0xff7fffff
                                        ; implicit-def: $vgpr6
                                        ; implicit-def: $vgpr7
; %bb.7:
	s_or_saveexec_b64 s[34:35], s[2:3]
	s_load_dwordx4 s[16:19], s[4:5], 0x0
	s_load_dwordx2 s[22:23], s[4:5], 0x10
	s_load_dwordx2 s[30:31], s[4:5], 0x28
	s_load_dword s12, s[4:5], 0x98
	v_mov_b32_e32 v14, s36
	s_mul_i32 s14, s15, s14
	v_ashrrev_i32_e32 v11, 31, v10
	s_xor_b64 exec, exec, s[34:35]
	s_cbranch_execz .LBB18_13
; %bb.8:
	s_load_dwordx2 s[2:3], s[4:5], 0x20
	s_ashr_i32 s15, s14, 31
	s_lshl_b64 s[4:5], s[14:15], 2
	v_bfe_u32 v14, v0, 3, 3
	v_lshlrev_b32_e32 v2, 4, v14
	s_waitcnt lgkmcnt(0)
	s_add_u32 s2, s2, s4
	s_addc_u32 s3, s3, s5
	v_mov_b32_e32 v3, s3
	v_add_co_u32_e32 v2, vcc, s2, v2
	v_and_b32_e32 v4, 3, v0
	v_addc_co_u32_e32 v3, vcc, 0, v3, vcc
	v_lshlrev_b32_e32 v4, 2, v4
	v_mbcnt_hi_u32_b32 v9, -1, v7
	v_add_co_u32_e32 v17, vcc, v2, v4
	v_and_b32_e32 v7, 64, v9
	v_addc_co_u32_e32 v18, vcc, 0, v3, vcc
	v_add_u32_e32 v12, 64, v7
	v_xor_b32_e32 v7, 4, v9
	v_cmp_lt_i32_e32 vcc, v7, v12
	v_cndmask_b32_e32 v7, v9, v7, vcc
	v_lshlrev_b32_e32 v13, 2, v7
	v_xor_b32_e32 v7, 2, v9
	v_cmp_lt_i32_e32 vcc, v7, v12
	v_cndmask_b32_e32 v7, v9, v7, vcc
	v_lshlrev_b32_e32 v15, 2, v7
	v_xor_b32_e32 v7, 1, v9
	v_cmp_lt_i32_e32 vcc, v7, v12
	v_lshlrev_b32_e32 v2, 4, v6
	v_cndmask_b32_e32 v7, v9, v7, vcc
	v_cmp_eq_u32_e32 vcc, 0, v6
	v_lshlrev_b32_e32 v6, 5, v0
	v_and_b32_e32 v6, 0x80, v6
	v_add_co_u32_e64 v17, s[4:5], v17, v6
	v_addc_co_u32_e64 v18, s[4:5], 0, v18, s[4:5]
	v_lshlrev_b32_e32 v20, 2, v14
	ds_read_b128 v[2:5], v2
	s_sub_i32 s15, 1, s25
	v_lshlrev_b32_e32 v6, 3, v8
	s_lshl_b64 s[4:5], s[28:29], 2
	v_add3_u32 v19, s33, v6, v14
	v_lshl_or_b32 v6, v8, 5, v20
	s_add_u32 s4, s26, s4
	v_lshlrev_b32_e32 v16, 2, v7
	v_add_u32_e32 v20, 0x90, v6
	v_lshlrev_b64 v[6:7], 2, v[10:11]
	s_addc_u32 s5, s27, s5
	v_mov_b32_e32 v14, s5
	v_add_co_u32_e64 v6, s[4:5], s4, v6
	s_mov_b32 s41, s13
	v_cmp_neq_f32_e64 s[2:3], s40, 0
	v_addc_co_u32_e64 v7, s[4:5], v14, v7, s[4:5]
	s_mov_b64 s[36:37], 0
	v_mov_b32_e32 v14, 0xff7fffff
	v_mov_b32_e32 v21, v10
	s_branch .LBB18_10
.LBB18_9:                               ;   in Loop: Header=BB18_10 Depth=1
	s_or_b64 exec, exec, s[38:39]
	v_add_u32_e32 v21, 2, v21
	v_cmp_le_i32_e64 s[4:5], s21, v21
	s_or_b64 s[36:37], s[4:5], s[36:37]
	v_add_co_u32_e64 v6, s[4:5], 8, v6
	v_add_u32_e32 v19, 16, v19
	v_add_u32_e32 v20, 64, v20
	v_addc_co_u32_e64 v7, s[4:5], 0, v7, s[4:5]
	s_andn2_b64 exec, exec, s[36:37]
	s_cbranch_execz .LBB18_12
.LBB18_10:                              ; =>This Inner Loop Header: Depth=1
	global_load_dword v22, v[6:7], off
	s_waitcnt vmcnt(0) lgkmcnt(0)
	v_mad_i64_i32 v[22:23], s[4:5], v22, s41, 0
	v_lshlrev_b64 v[22:23], 2, v[22:23]
	v_add_co_u32_e64 v22, s[4:5], v17, v22
	v_addc_co_u32_e64 v23, s[4:5], v18, v23, s[4:5]
	global_load_dword v24, v[22:23], off offset:256
	global_load_dword v25, v[22:23], off
	global_load_dword v26, v[22:23], off offset:512
	global_load_dword v27, v[22:23], off offset:768
	s_waitcnt vmcnt(3) lgkmcnt(0)
	v_mul_f32_e32 v22, v3, v24
	s_waitcnt vmcnt(2)
	v_fmac_f32_e32 v22, v2, v25
	s_waitcnt vmcnt(1)
	v_fmac_f32_e32 v22, v4, v26
	;; [unrolled: 2-line block ×3, first 2 shown]
	ds_bpermute_b32 v23, v13, v22
	s_waitcnt lgkmcnt(0)
	v_add_f32_e32 v22, v22, v23
	ds_bpermute_b32 v23, v15, v22
	s_waitcnt lgkmcnt(0)
	v_add_f32_e32 v22, v22, v23
	ds_bpermute_b32 v23, v16, v22
	s_and_saveexec_b64 s[38:39], vcc
	s_cbranch_execz .LBB18_9
; %bb.11:                               ;   in Loop: Header=BB18_10 Depth=1
	v_add_u32_e32 v24, s15, v19
	v_cvt_f32_i32_e32 v24, v24
	s_waitcnt lgkmcnt(0)
	v_add_f32_e32 v22, v22, v23
	v_cmp_gt_i32_e64 s[4:5], s25, v19
	v_max_f32_e32 v23, v14, v14
	v_mul_f32_e32 v24, s40, v24
	v_cndmask_b32_e64 v24, 0, v24, s[2:3]
	v_fmac_f32_e32 v24, s11, v22
	v_cndmask_b32_e64 v22, 0, v24, s[4:5]
	ds_write_b32 v20, v22
	v_max_f32_e32 v22, v23, v24
	v_cndmask_b32_e64 v14, v14, v22, s[4:5]
	s_branch .LBB18_9
.LBB18_12:
	s_or_b64 exec, exec, s[36:37]
.LBB18_13:
	s_or_b64 exec, exec, s[34:35]
	v_xor_b32_e32 v2, 32, v9
	v_cmp_lt_i32_e32 vcc, v2, v12
	v_cndmask_b32_e32 v2, v9, v2, vcc
	v_lshlrev_b32_e32 v3, 2, v2
	ds_bpermute_b32 v2, v3, v14
	v_xor_b32_e32 v5, 16, v9
	v_max_f32_e32 v4, v14, v14
	v_cmp_lt_i32_e32 vcc, v5, v12
	v_and_b32_e32 v14, 63, v0
	s_waitcnt lgkmcnt(0)
	v_max_f32_e32 v2, v2, v2
	v_max_f32_e32 v2, v4, v2
	v_cndmask_b32_e32 v4, v9, v5, vcc
	v_lshlrev_b32_e32 v6, 2, v4
	ds_bpermute_b32 v4, v6, v2
	v_xor_b32_e32 v5, 8, v9
	v_cmp_lt_i32_e32 vcc, v5, v12
	s_waitcnt lgkmcnt(0)
	v_max_f32_e32 v4, v4, v4
	v_max_f32_e32 v4, v2, v4
	v_cndmask_b32_e32 v2, v9, v5, vcc
	v_lshlrev_b32_e32 v7, 2, v2
	ds_bpermute_b32 v5, v7, v4
	v_cmp_eq_u32_e32 vcc, 0, v14
	v_lshlrev_b32_e32 v2, 2, v8
	s_and_saveexec_b64 s[2:3], vcc
	s_cbranch_execz .LBB18_15
; %bb.14:
	s_waitcnt lgkmcnt(0)
	v_max_f32_e32 v5, v5, v5
	v_max_f32_e32 v4, v4, v4
	v_max_f32_e32 v4, v4, v5
	ds_write_b32 v2, v4 offset:128
.LBB18_15:
	s_or_b64 exec, exec, s[2:3]
	v_cmp_gt_u32_e64 s[2:3], 2, v14
	v_mov_b32_e32 v4, 0xff7fffff
	s_waitcnt lgkmcnt(0)
	v_lshlrev_b32_e32 v5, 2, v14
	s_barrier
	s_and_saveexec_b64 s[4:5], s[2:3]
	s_cbranch_execz .LBB18_17
; %bb.16:
	ds_read_b32 v4, v5 offset:128
.LBB18_17:
	s_or_b64 exec, exec, s[4:5]
	v_xor_b32_e32 v13, 1, v9
	v_cmp_lt_i32_e64 s[4:5], v13, v12
	v_cndmask_b32_e64 v13, v9, v13, s[4:5]
	v_lshlrev_b32_e32 v15, 2, v13
	s_waitcnt lgkmcnt(0)
	ds_bpermute_b32 v13, v15, v4
	v_max_f32_e32 v4, v4, v4
	s_sub_i32 s4, s21, s10
	s_lshl_b32 s4, s4, 3
	s_add_i32 s4, s4, s33
	s_waitcnt lgkmcnt(0)
	v_max_f32_e32 v13, v13, v13
	v_max_f32_e32 v4, v4, v13
	v_lshlrev_b32_e32 v13, 2, v9
	v_and_b32_e32 v13, 0xffffff00, v13
	ds_bpermute_b32 v4, v13, v4
	s_min_i32 s38, s4, s25
	s_sub_i32 s15, s38, s33
	v_cmp_gt_i32_e64 s[4:5], s15, v0
	v_mov_b32_e32 v16, 0
	s_and_saveexec_b64 s[34:35], s[4:5]
	s_cbranch_execz .LBB18_21
; %bb.18:
	v_mov_b32_e32 v16, 0x90
	v_lshl_add_u32 v17, v0, 2, v16
	s_mov_b64 s[36:37], 0
	v_mov_b32_e32 v16, 0
	v_mov_b32_e32 v18, v0
.LBB18_19:                              ; =>This Inner Loop Header: Depth=1
	ds_read_b32 v19, v17
	v_add_u32_e32 v18, 0x80, v18
	v_cmp_le_i32_e64 s[10:11], s15, v18
	s_or_b64 s[36:37], s[10:11], s[36:37]
	s_waitcnt lgkmcnt(0)
	v_sub_f32_e32 v19, v19, v4
	v_mul_f32_e32 v19, 0x3fb8aa3b, v19
	v_exp_f32_e32 v19, v19
	ds_write_b32 v17, v19
	v_add_f32_e32 v16, v16, v19
	v_add_u32_e32 v17, 0x200, v17
	s_andn2_b64 exec, exec, s[36:37]
	s_cbranch_execnz .LBB18_19
; %bb.20:
	s_or_b64 exec, exec, s[36:37]
.LBB18_21:
	s_or_b64 exec, exec, s[34:35]
	ds_bpermute_b32 v3, v3, v16
	s_waitcnt lgkmcnt(0)
	v_add_f32_e32 v3, v16, v3
	ds_bpermute_b32 v6, v6, v3
	s_waitcnt lgkmcnt(0)
	v_add_f32_e32 v3, v3, v6
	ds_bpermute_b32 v6, v7, v3
	v_xor_b32_e32 v7, 4, v9
	v_cmp_lt_i32_e64 s[10:11], v7, v12
	v_cndmask_b32_e64 v7, v9, v7, s[10:11]
	v_lshlrev_b32_e32 v7, 2, v7
	s_waitcnt lgkmcnt(0)
	v_add_f32_e32 v3, v3, v6
	ds_bpermute_b32 v6, v7, v3
	v_xor_b32_e32 v7, 2, v9
	v_cmp_lt_i32_e64 s[10:11], v7, v12
	v_cndmask_b32_e64 v7, v9, v7, s[10:11]
	s_waitcnt lgkmcnt(0)
	v_add_f32_e32 v3, v3, v6
	v_lshlrev_b32_e32 v6, 2, v7
	ds_bpermute_b32 v6, v6, v3
	s_waitcnt lgkmcnt(0)
	v_add_f32_e32 v3, v3, v6
	ds_bpermute_b32 v6, v15, v3
	s_waitcnt lgkmcnt(0)
	v_add_f32_e32 v3, v3, v6
	s_and_saveexec_b64 s[10:11], vcc
	s_cbranch_execz .LBB18_23
; %bb.22:
	ds_write_b32 v2, v3 offset:136
.LBB18_23:
	s_or_b64 exec, exec, s[10:11]
	s_waitcnt lgkmcnt(0)
	s_barrier
	s_and_saveexec_b64 s[10:11], s[2:3]
	s_cbranch_execz .LBB18_25
; %bb.24:
	ds_read_b32 v3, v5 offset:136
.LBB18_25:
	s_or_b64 exec, exec, s[10:11]
	s_waitcnt lgkmcnt(0)
	ds_bpermute_b32 v2, v15, v3
	s_waitcnt lgkmcnt(0)
	v_add_f32_e32 v2, v3, v2
	ds_bpermute_b32 v5, v13, v2
	s_and_saveexec_b64 s[2:3], s[4:5]
	s_cbranch_execz .LBB18_38
; %bb.26:
	s_waitcnt lgkmcnt(0)
	v_add_f32_e32 v2, 0x358637bd, v5
	v_div_scale_f32 v3, s[4:5], v2, v2, 1.0
	v_rcp_f32_e32 v6, v3
	v_div_scale_f32 v7, vcc, 1.0, v2, 1.0
	s_movk_i32 s4, 0x7f
	v_fma_f32 v9, -v3, v6, 1.0
	v_fmac_f32_e32 v6, v9, v6
	v_mul_f32_e32 v9, v7, v6
	v_fma_f32 v12, -v3, v9, v7
	v_fmac_f32_e32 v9, v12, v6
	v_fma_f32 v3, -v3, v9, v7
	v_div_fmas_f32 v3, v3, v6, v9
	v_div_fixup_f32 v2, v3, v2, 1.0
	v_xad_u32 v3, v0, -1, s38
	v_subrev_u32_e32 v6, s33, v3
	v_cmp_lt_u32_e32 vcc, s4, v6
	s_mov_b64 s[10:11], -1
	v_mov_b32_e32 v3, v0
	s_and_saveexec_b64 s[4:5], vcc
	s_cbranch_execz .LBB18_35
; %bb.27:
	v_lshrrev_b32_e32 v6, 7, v6
	v_add_u32_e32 v9, -1, v6
	v_lshrrev_b32_e32 v7, 1, v9
	v_mov_b32_e32 v3, v2
	v_add_u32_e32 v7, 1, v7
	v_cmp_lt_u32_e32 vcc, 13, v9
	v_mov_b32_e32 v13, 0
	s_and_saveexec_b64 s[10:11], vcc
	s_cbranch_execz .LBB18_31
; %bb.28:
	v_mov_b32_e32 v12, 0x90
	v_and_b32_e32 v9, -8, v7
	v_lshl_add_u32 v12, v0, 2, v12
	s_mov_b32 s36, 0
	s_mov_b64 s[34:35], 0
.LBB18_29:                              ; =>This Inner Loop Header: Depth=1
	ds_read2st64_b32 v[16:17], v12 offset1:2
	ds_read2st64_b32 v[18:19], v12 offset0:4 offset1:6
	ds_read2st64_b32 v[20:21], v12 offset0:8 offset1:10
	;; [unrolled: 1-line block ×3, first 2 shown]
	v_add_u32_e32 v9, -8, v9
	s_waitcnt lgkmcnt(3)
	v_pk_mul_f32 v[16:17], v[2:3], v[16:17]
	s_waitcnt lgkmcnt(2)
	v_pk_mul_f32 v[18:19], v[2:3], v[18:19]
	ds_write2st64_b32 v12, v16, v17 offset1:2
	ds_write2st64_b32 v12, v18, v19 offset0:4 offset1:6
	ds_read2st64_b32 v[18:19], v12 offset0:16 offset1:18
	s_waitcnt lgkmcnt(4)
	v_pk_mul_f32 v[16:17], v[2:3], v[20:21]
	ds_write2st64_b32 v12, v16, v17 offset0:8 offset1:10
	s_waitcnt lgkmcnt(4)
	v_pk_mul_f32 v[16:17], v[2:3], v[22:23]
	ds_write2st64_b32 v12, v16, v17 offset0:12 offset1:14
	ds_read2st64_b32 v[16:17], v12 offset0:20 offset1:22
	s_waitcnt lgkmcnt(3)
	v_pk_mul_f32 v[18:19], v[2:3], v[18:19]
	ds_read2st64_b32 v[20:21], v12 offset0:24 offset1:26
	ds_write2st64_b32 v12, v18, v19 offset0:16 offset1:18
	ds_read2st64_b32 v[18:19], v12 offset0:28 offset1:30
	s_waitcnt lgkmcnt(3)
	v_pk_mul_f32 v[16:17], v[2:3], v[16:17]
	ds_write2st64_b32 v12, v16, v17 offset0:20 offset1:22
	s_waitcnt lgkmcnt(3)
	v_pk_mul_f32 v[16:17], v[2:3], v[20:21]
	ds_write2st64_b32 v12, v16, v17 offset0:24 offset1:26
	s_waitcnt lgkmcnt(2)
	v_pk_mul_f32 v[16:17], v[2:3], v[18:19]
	s_add_i32 s36, s36, 16
	v_cmp_eq_u32_e32 vcc, 0, v9
	ds_write2st64_b32 v12, v16, v17 offset0:28 offset1:30
	v_add_u32_e32 v12, 0x2000, v12
	s_or_b64 s[34:35], vcc, s[34:35]
	v_mov_b32_e32 v13, s36
	s_andn2_b64 exec, exec, s[34:35]
	s_cbranch_execnz .LBB18_29
; %bb.30:
	s_or_b64 exec, exec, s[34:35]
.LBB18_31:
	s_or_b64 exec, exec, s[10:11]
	v_and_b32_e32 v7, 7, v7
	v_cmp_ne_u32_e32 vcc, 0, v7
	s_and_saveexec_b64 s[10:11], vcc
	s_cbranch_execz .LBB18_34
; %bb.32:
	v_lshlrev_b32_e32 v9, 9, v13
	s_movk_i32 s34, 0x90
	v_add3_u32 v9, v9, v1, s34
	s_mov_b64 s[34:35], 0
.LBB18_33:                              ; =>This Inner Loop Header: Depth=1
	ds_read2st64_b32 v[12:13], v9 offset1:2
	v_add_u32_e32 v7, -1, v7
	v_cmp_eq_u32_e32 vcc, 0, v7
	s_or_b64 s[34:35], vcc, s[34:35]
	s_waitcnt lgkmcnt(0)
	v_pk_mul_f32 v[12:13], v[2:3], v[12:13]
	ds_write2st64_b32 v9, v12, v13 offset1:2
	v_add_u32_e32 v9, 0x400, v9
	s_andn2_b64 exec, exec, s[34:35]
	s_cbranch_execnz .LBB18_33
.LBB18_34:
	s_or_b64 exec, exec, s[10:11]
	v_add_u32_e32 v6, 1, v6
	v_and_b32_e32 v7, 0x3fffffe, v6
	v_cmp_ne_u32_e32 vcc, v6, v7
	v_lshl_add_u32 v3, v7, 7, v0
	s_orn2_b64 s[10:11], vcc, exec
.LBB18_35:
	s_or_b64 exec, exec, s[4:5]
	s_and_b64 exec, exec, s[10:11]
	s_cbranch_execz .LBB18_38
; %bb.36:
	v_mov_b32_e32 v6, 0x90
	v_lshl_add_u32 v6, v3, 2, v6
	s_mov_b64 s[4:5], 0
.LBB18_37:                              ; =>This Inner Loop Header: Depth=1
	ds_read_b32 v7, v6
	v_add_u32_e32 v3, 0x80, v3
	v_cmp_le_i32_e32 vcc, s15, v3
	s_or_b64 s[4:5], vcc, s[4:5]
	s_waitcnt lgkmcnt(0)
	v_mul_f32_e32 v7, v2, v7
	ds_write_b32 v6, v7
	v_add_u32_e32 v6, 0x200, v6
	s_andn2_b64 exec, exec, s[4:5]
	s_cbranch_execnz .LBB18_37
.LBB18_38:
	s_or_b64 exec, exec, s[2:3]
	s_mul_i32 s2, s12, s24
	v_cmp_eq_u32_e32 vcc, 0, v0
	s_mul_i32 s2, s2, s9
	s_waitcnt lgkmcnt(0)
	s_barrier
	s_and_saveexec_b64 s[4:5], vcc
	s_cbranch_execz .LBB18_40
; %bb.39:
	s_ashr_i32 s3, s2, 31
	s_lshl_b64 s[10:11], s[2:3], 2
	s_add_u32 s3, s18, s10
	s_mul_i32 s18, s12, s6
	s_addc_u32 s9, s19, s11
	s_ashr_i32 s19, s18, 31
	s_lshl_b64 s[18:19], s[18:19], 2
	s_add_u32 s3, s3, s18
	s_addc_u32 s6, s9, s19
	s_ashr_i32 s9, s8, 31
	s_lshl_b64 s[34:35], s[8:9], 2
	s_add_u32 s36, s3, s34
	s_addc_u32 s37, s6, s35
	s_add_u32 s3, s16, s10
	s_addc_u32 s6, s17, s11
	;; [unrolled: 2-line block ×3, first 2 shown]
	s_add_u32 s10, s3, s34
	v_mov_b32_e32 v2, 0
	s_addc_u32 s11, s6, s35
	global_store_dword v2, v4, s[36:37]
	global_store_dword v2, v5, s[10:11]
.LBB18_40:
	s_or_b64 exec, exec, s[4:5]
	v_mov_b32_e32 v16, 0
	s_and_saveexec_b64 s[4:5], s[0:1]
	s_cbranch_execz .LBB18_46
; %bb.41:
	s_ashr_i32 s15, s14, 31
	s_lshl_b64 s[0:1], s[14:15], 2
	v_and_b32_e32 v2, 4, v1
	s_add_u32 s0, s30, s0
	v_lshlrev_b32_e32 v1, 4, v0
	s_addc_u32 s1, s31, s1
	v_and_b32_e32 v1, 0x3f0, v1
	v_mov_b32_e32 v3, s1
	v_add_co_u32_e32 v1, vcc, s0, v1
	v_addc_co_u32_e32 v17, vcc, 0, v3, vcc
	v_lshl_add_u32 v3, v8, 3, s33
	v_add3_u32 v18, v3, v2, 3
	v_and_b32_e32 v2, 1, v0
	s_add_i32 s9, s7, -1
	v_lshlrev_b32_e32 v2, 4, v2
	s_lshl_b64 s[0:1], s[28:29], 2
	v_lshl_or_b32 v2, v8, 5, v2
	s_add_u32 s0, s26, s0
	v_add_u32_e32 v19, 0x90, v2
	v_lshlrev_b64 v[2:3], 2, v[10:11]
	s_addc_u32 s1, s27, s1
	v_mov_b32_e32 v4, s1
	v_add_co_u32_e32 v12, vcc, s0, v2
	s_mov_b32 s3, s13
	v_mov_b32_e32 v16, 0
	v_addc_co_u32_e32 v13, vcc, v4, v3, vcc
	s_mov_b64 s[0:1], 0
	s_branch .LBB18_43
.LBB18_42:                              ;   in Loop: Header=BB18_43 Depth=1
	s_or_b64 exec, exec, s[6:7]
	s_waitcnt vmcnt(0) lgkmcnt(0)
	v_mul_f32_e32 v3, v7, v3
	v_fmac_f32_e32 v3, v6, v2
	v_add_u32_e32 v10, 2, v10
	v_fmac_f32_e32 v3, v8, v4
	v_cmp_le_i32_e32 vcc, s21, v10
	v_fmac_f32_e32 v3, v9, v5
	s_or_b64 s[0:1], vcc, s[0:1]
	v_add_co_u32_e32 v12, vcc, 8, v12
	v_add_f32_e32 v16, v16, v3
	v_add_u32_e32 v18, 16, v18
	v_add_u32_e32 v19, 64, v19
	v_addc_co_u32_e32 v13, vcc, 0, v13, vcc
	s_andn2_b64 exec, exec, s[0:1]
	s_cbranch_execz .LBB18_45
.LBB18_43:                              ; =>This Inner Loop Header: Depth=1
	global_load_dword v2, v[12:13], off
	ds_read_b128 v[6:9], v19
	s_waitcnt vmcnt(0)
	v_mad_i64_i32 v[2:3], s[6:7], v2, s3, 0
	v_lshlrev_b64 v[2:3], 2, v[2:3]
	v_add_co_u32_e32 v2, vcc, v1, v2
	v_addc_co_u32_e32 v3, vcc, v17, v3, vcc
	global_load_dwordx4 v[2:5], v[2:3], off
	v_cmp_eq_u32_e32 vcc, s9, v10
	s_and_saveexec_b64 s[6:7], vcc
	s_cbranch_execz .LBB18_42
; %bb.44:                               ;   in Loop: Header=BB18_43 Depth=1
	v_add_u32_e32 v11, -3, v18
	v_cmp_gt_i32_e32 vcc, s25, v11
	v_add_u32_e32 v11, -2, v18
	s_waitcnt vmcnt(0)
	v_cndmask_b32_e32 v2, 0, v2, vcc
	v_cmp_gt_i32_e32 vcc, s25, v11
	v_add_u32_e32 v11, -1, v18
	v_cndmask_b32_e32 v3, 0, v3, vcc
	v_cmp_gt_i32_e32 vcc, s25, v11
	v_cndmask_b32_e32 v4, 0, v4, vcc
	v_cmp_gt_i32_e32 vcc, s25, v18
	v_cndmask_b32_e32 v5, 0, v5, vcc
	s_branch .LBB18_42
.LBB18_45:
	s_or_b64 exec, exec, s[0:1]
.LBB18_46:
	s_or_b64 exec, exec, s[4:5]
	ds_bpermute_b32 v1, v15, v16
	v_and_b32_e32 v2, 0x3c1, v0
	v_cmp_eq_u32_e32 vcc, 64, v2
	s_waitcnt lgkmcnt(0)
	s_barrier
	v_add_f32_e32 v1, v16, v1
	s_and_saveexec_b64 s[0:1], vcc
	s_cbranch_execz .LBB18_48
; %bb.47:
	v_mov_b32_e32 v3, 0x90
	v_lshl_add_u32 v3, v14, 1, v3
	ds_write_b32 v3, v1
.LBB18_48:
	s_or_b64 exec, exec, s[0:1]
	v_cmp_eq_u32_e32 vcc, 0, v2
	s_waitcnt lgkmcnt(0)
	s_barrier
	s_and_saveexec_b64 s[0:1], vcc
	s_cbranch_execz .LBB18_50
; %bb.49:
	v_mov_b32_e32 v2, 0x90
	v_lshl_add_u32 v2, v0, 1, v2
	ds_read_b32 v2, v2
	s_waitcnt lgkmcnt(0)
	v_add_f32_e32 v1, v1, v2
.LBB18_50:
	s_or_b64 exec, exec, s[0:1]
	s_barrier
	s_and_saveexec_b64 s[0:1], vcc
	s_cbranch_execz .LBB18_52
; %bb.51:
	s_lshl_b32 s0, s2, 5
	s_ashr_i32 s1, s0, 31
	s_lshl_b64 s[0:1], s[0:1], 2
	s_add_u32 s2, s22, s0
	s_mul_i32 s0, s12, s20
	s_addc_u32 s3, s23, s1
	s_ashr_i32 s1, s0, 31
	s_lshl_b64 s[0:1], s[0:1], 2
	s_add_u32 s2, s2, s0
	s_addc_u32 s3, s3, s1
	s_lshl_b32 s0, s8, 5
	s_ashr_i32 s1, s0, 31
	s_lshl_b64 s[0:1], s[0:1], 2
	s_add_u32 s0, s2, s0
	s_addc_u32 s1, s3, s1
	v_lshlrev_b32_e32 v0, 1, v0
	global_store_dword v0, v1, s[0:1]
.LBB18_52:
	s_endpgm
	.section	.rodata,"a",@progbits
	.p2align	6, 0x0
	.amdhsa_kernel _ZN4vllm25paged_attention_v2_kernelIffLi32ELi8ELi128ELNS_18Fp8KVCacheDataTypeE0ELb0ELi512EEEvPfS2_PT_PKS3_PKT0_S9_ifPKiSB_iPKfiiiSD_SD_iiiii
		.amdhsa_group_segment_fixed_size 144
		.amdhsa_private_segment_fixed_size 0
		.amdhsa_kernarg_size 400
		.amdhsa_user_sgpr_count 6
		.amdhsa_user_sgpr_private_segment_buffer 1
		.amdhsa_user_sgpr_dispatch_ptr 0
		.amdhsa_user_sgpr_queue_ptr 0
		.amdhsa_user_sgpr_kernarg_segment_ptr 1
		.amdhsa_user_sgpr_dispatch_id 0
		.amdhsa_user_sgpr_flat_scratch_init 0
		.amdhsa_user_sgpr_kernarg_preload_length 0
		.amdhsa_user_sgpr_kernarg_preload_offset 0
		.amdhsa_user_sgpr_private_segment_size 0
		.amdhsa_uses_dynamic_stack 0
		.amdhsa_system_sgpr_private_segment_wavefront_offset 0
		.amdhsa_system_sgpr_workgroup_id_x 1
		.amdhsa_system_sgpr_workgroup_id_y 1
		.amdhsa_system_sgpr_workgroup_id_z 1
		.amdhsa_system_sgpr_workgroup_info 0
		.amdhsa_system_vgpr_workitem_id 0
		.amdhsa_next_free_vgpr 28
		.amdhsa_next_free_sgpr 42
		.amdhsa_accum_offset 28
		.amdhsa_reserve_vcc 1
		.amdhsa_reserve_flat_scratch 0
		.amdhsa_float_round_mode_32 0
		.amdhsa_float_round_mode_16_64 0
		.amdhsa_float_denorm_mode_32 3
		.amdhsa_float_denorm_mode_16_64 3
		.amdhsa_dx10_clamp 1
		.amdhsa_ieee_mode 1
		.amdhsa_fp16_overflow 0
		.amdhsa_tg_split 0
		.amdhsa_exception_fp_ieee_invalid_op 0
		.amdhsa_exception_fp_denorm_src 0
		.amdhsa_exception_fp_ieee_div_zero 0
		.amdhsa_exception_fp_ieee_overflow 0
		.amdhsa_exception_fp_ieee_underflow 0
		.amdhsa_exception_fp_ieee_inexact 0
		.amdhsa_exception_int_div_zero 0
	.end_amdhsa_kernel
	.section	.text._ZN4vllm25paged_attention_v2_kernelIffLi32ELi8ELi128ELNS_18Fp8KVCacheDataTypeE0ELb0ELi512EEEvPfS2_PT_PKS3_PKT0_S9_ifPKiSB_iPKfiiiSD_SD_iiiii,"axG",@progbits,_ZN4vllm25paged_attention_v2_kernelIffLi32ELi8ELi128ELNS_18Fp8KVCacheDataTypeE0ELb0ELi512EEEvPfS2_PT_PKS3_PKT0_S9_ifPKiSB_iPKfiiiSD_SD_iiiii,comdat
.Lfunc_end18:
	.size	_ZN4vllm25paged_attention_v2_kernelIffLi32ELi8ELi128ELNS_18Fp8KVCacheDataTypeE0ELb0ELi512EEEvPfS2_PT_PKS3_PKT0_S9_ifPKiSB_iPKfiiiSD_SD_iiiii, .Lfunc_end18-_ZN4vllm25paged_attention_v2_kernelIffLi32ELi8ELi128ELNS_18Fp8KVCacheDataTypeE0ELb0ELi512EEEvPfS2_PT_PKS3_PKT0_S9_ifPKiSB_iPKfiiiSD_SD_iiiii
                                        ; -- End function
	.section	.AMDGPU.csdata,"",@progbits
; Kernel info:
; codeLenInByte = 3224
; NumSgprs: 46
; NumVgprs: 28
; NumAgprs: 0
; TotalNumVgprs: 28
; ScratchSize: 0
; MemoryBound: 0
; FloatMode: 240
; IeeeMode: 1
; LDSByteSize: 144 bytes/workgroup (compile time only)
; SGPRBlocks: 5
; VGPRBlocks: 3
; NumSGPRsForWavesPerEU: 46
; NumVGPRsForWavesPerEU: 28
; AccumOffset: 28
; Occupancy: 8
; WaveLimiterHint : 1
; COMPUTE_PGM_RSRC2:SCRATCH_EN: 0
; COMPUTE_PGM_RSRC2:USER_SGPR: 6
; COMPUTE_PGM_RSRC2:TRAP_HANDLER: 0
; COMPUTE_PGM_RSRC2:TGID_X_EN: 1
; COMPUTE_PGM_RSRC2:TGID_Y_EN: 1
; COMPUTE_PGM_RSRC2:TGID_Z_EN: 1
; COMPUTE_PGM_RSRC2:TIDIG_COMP_CNT: 0
; COMPUTE_PGM_RSRC3_GFX90A:ACCUM_OFFSET: 6
; COMPUTE_PGM_RSRC3_GFX90A:TG_SPLIT: 0
	.section	.text._ZN4vllm25paged_attention_v2_kernelIffLi64ELi8ELi128ELNS_18Fp8KVCacheDataTypeE0ELb0ELi512EEEvPfS2_PT_PKS3_PKT0_S9_ifPKiSB_iPKfiiiSD_SD_iiiii,"axG",@progbits,_ZN4vllm25paged_attention_v2_kernelIffLi64ELi8ELi128ELNS_18Fp8KVCacheDataTypeE0ELb0ELi512EEEvPfS2_PT_PKS3_PKT0_S9_ifPKiSB_iPKfiiiSD_SD_iiiii,comdat
	.protected	_ZN4vllm25paged_attention_v2_kernelIffLi64ELi8ELi128ELNS_18Fp8KVCacheDataTypeE0ELb0ELi512EEEvPfS2_PT_PKS3_PKT0_S9_ifPKiSB_iPKfiiiSD_SD_iiiii ; -- Begin function _ZN4vllm25paged_attention_v2_kernelIffLi64ELi8ELi128ELNS_18Fp8KVCacheDataTypeE0ELb0ELi512EEEvPfS2_PT_PKS3_PKT0_S9_ifPKiSB_iPKfiiiSD_SD_iiiii
	.globl	_ZN4vllm25paged_attention_v2_kernelIffLi64ELi8ELi128ELNS_18Fp8KVCacheDataTypeE0ELb0ELi512EEEvPfS2_PT_PKS3_PKT0_S9_ifPKiSB_iPKfiiiSD_SD_iiiii
	.p2align	8
	.type	_ZN4vllm25paged_attention_v2_kernelIffLi64ELi8ELi128ELNS_18Fp8KVCacheDataTypeE0ELb0ELi512EEEvPfS2_PT_PKS3_PKT0_S9_ifPKiSB_iPKfiiiSD_SD_iiiii,@function
_ZN4vllm25paged_attention_v2_kernelIffLi64ELi8ELi128ELNS_18Fp8KVCacheDataTypeE0ELb0ELi512EEEvPfS2_PT_PKS3_PKT0_S9_ifPKiSB_iPKfiiiSD_SD_iiiii: ; @_ZN4vllm25paged_attention_v2_kernelIffLi64ELi8ELi128ELNS_18Fp8KVCacheDataTypeE0ELb0ELi512EEEvPfS2_PT_PKS3_PKT0_S9_ifPKiSB_iPKfiiiSD_SD_iiiii
; %bb.0:
	s_load_dwordx2 s[0:1], s[4:5], 0x40
	s_mov_b32 s26, s7
	s_ashr_i32 s27, s7, 31
	s_lshl_b64 s[2:3], s[26:27], 2
	s_waitcnt lgkmcnt(0)
	s_add_u32 s0, s0, s2
	s_addc_u32 s1, s1, s3
	s_load_dword s27, s[0:1], 0x0
	s_lshl_b32 s42, s8, 9
	s_waitcnt lgkmcnt(0)
	s_cmp_ge_i32 s42, s27
	s_cbranch_scc1 .LBB19_58
; %bb.1:
	s_load_dword s9, s[4:5], 0x90
	s_load_dwordx2 s[12:13], s[4:5], 0x30
	s_waitcnt lgkmcnt(0)
	s_abs_i32 s2, s9
	s_abs_i32 s0, s12
	v_cvt_f32_u32_e32 v1, s0
	s_sub_i32 s3, 0, s0
	s_xor_b32 s1, s9, s12
	s_ashr_i32 s1, s1, 31
	v_rcp_iflag_f32_e32 v1, v1
	v_mul_f32_e32 v1, 0x4f7ffffe, v1
	v_cvt_u32_f32_e32 v1, v1
	v_readfirstlane_b32 s7, v1
	s_mul_i32 s3, s3, s7
	s_mul_hi_u32 s3, s7, s3
	s_add_i32 s7, s7, s3
	s_mul_hi_u32 s3, s2, s7
	s_mul_i32 s7, s3, s0
	s_sub_i32 s2, s2, s7
	s_add_i32 s10, s3, 1
	s_sub_i32 s7, s2, s0
	s_cmp_ge_u32 s2, s0
	s_cselect_b32 s3, s10, s3
	s_cselect_b32 s2, s7, s2
	s_add_i32 s7, s3, 1
	s_cmp_ge_u32 s2, s0
	s_cselect_b32 s0, s7, s3
	s_xor_b32 s0, s0, s1
	s_sub_i32 s2, s0, s1
	s_abs_i32 s10, s2
	v_cvt_f32_u32_e32 v1, s10
	s_load_dwordx2 s[0:1], s[4:5], 0x50
	s_sub_i32 s3, 0, s10
	s_abs_i32 s11, s6
	v_rcp_iflag_f32_e32 v1, v1
	s_mov_b32 s7, 0
	v_mul_f32_e32 v1, 0x4f7ffffe, v1
	v_cvt_u32_f32_e32 v1, v1
	v_readfirstlane_b32 s12, v1
	s_mul_i32 s3, s3, s12
	s_mul_hi_u32 s3, s12, s3
	s_add_i32 s12, s12, s3
	s_waitcnt lgkmcnt(0)
	s_cmp_eq_u64 s[0:1], 0
	s_mul_hi_u32 s12, s11, s12
	s_cbranch_scc1 .LBB19_3
; %bb.2:
	s_ashr_i32 s7, s6, 31
	s_lshl_b64 s[14:15], s[6:7], 2
	s_add_u32 s0, s0, s14
	s_addc_u32 s1, s1, s15
	s_load_dword s7, s[0:1], 0x0
.LBB19_3:
	s_load_dwordx4 s[16:19], s[4:5], 0x58
	s_ashr_i32 s20, s6, 31
	s_ashr_i32 s21, s2, 31
	v_and_b32_e32 v10, 7, v0
	s_lshl_b32 s14, s6, 6
	v_cmp_gt_u32_e64 s[0:1], 64, v0
	v_lshlrev_b32_e32 v12, 2, v0
	v_lshrrev_b32_e32 v1, 1, v0
	s_and_saveexec_b64 s[2:3], s[0:1]
	s_cbranch_execz .LBB19_5
; %bb.4:
	s_load_dwordx2 s[22:23], s[4:5], 0x18
	s_waitcnt lgkmcnt(0)
	s_mul_i32 s24, s26, s16
	s_ashr_i32 s25, s24, 31
	s_lshl_b64 s[24:25], s[24:25], 2
	v_and_b32_e32 v3, 0x1fc, v1
	s_add_u32 s16, s22, s24
	s_addc_u32 s19, s23, s25
	s_ashr_i32 s15, s14, 31
	s_lshl_b64 s[22:23], s[14:15], 2
	s_add_u32 s22, s16, s22
	s_addc_u32 s23, s19, s23
	global_load_dword v2, v12, s[22:23]
	v_lshl_add_u32 v3, v10, 5, v3
	s_waitcnt vmcnt(0)
	ds_write_b32 v3, v2
.LBB19_5:
	s_or_b64 exec, exec, s[2:3]
	s_add_i32 s2, s27, 7
	s_ashr_i32 s3, s2, 31
	s_lshr_b32 s3, s3, 29
	s_add_i32 s2, s2, s3
	s_waitcnt lgkmcnt(0)
	s_lshl_b32 s16, s8, 6
	s_mul_i32 s3, s12, s10
	s_ashr_i32 s43, s2, 3
	s_add_i32 s2, s16, 64
	s_sub_i32 s3, s11, s3
	s_min_i32 s33, s2, s43
	s_xor_b32 s2, s20, s21
	s_add_i32 s11, s12, 1
	s_sub_i32 s15, s3, s10
	s_cmp_ge_u32 s3, s10
	s_cselect_b32 s11, s11, s12
	s_cselect_b32 s3, s15, s3
	s_add_i32 s12, s11, 1
	s_cmp_ge_u32 s3, s10
	s_load_dwordx2 s[28:29], s[4:5], 0x38
	s_load_dword s10, s[4:5], 0x48
	v_lshrrev_b32_e32 v13, 6, v0
	s_cselect_b32 s3, s12, s11
	s_xor_b32 s3, s3, s2
	v_or_b32_e32 v14, s16, v13
	s_waitcnt lgkmcnt(0)
	s_mul_i32 s30, s26, s10
	s_sub_i32 s12, s3, s2
	s_ashr_i32 s31, s30, 31
	v_cmp_gt_i32_e64 s[2:3], s33, v14
	v_cmp_le_i32_e32 vcc, s33, v14
	v_mbcnt_lo_u32_b32 v11, -1, 0
	s_barrier
	s_waitcnt lgkmcnt(0)
                                        ; implicit-def: $sgpr19
                                        ; implicit-def: $vgpr16
                                        ; implicit-def: $vgpr17
	s_and_saveexec_b64 s[10:11], vcc
	s_xor_b64 s[10:11], exec, s[10:11]
; %bb.6:
	v_mbcnt_hi_u32_b32 v16, -1, v11
	v_and_b32_e32 v2, 64, v16
	v_add_u32_e32 v17, 64, v2
	s_mov_b32 s19, 0xff7fffff
                                        ; implicit-def: $vgpr10
                                        ; implicit-def: $vgpr11
; %bb.7:
	s_or_saveexec_b64 s[36:37], s[10:11]
	s_load_dwordx4 s[20:23], s[4:5], 0x0
	s_load_dwordx2 s[24:25], s[4:5], 0x10
	s_load_dwordx2 s[34:35], s[4:5], 0x28
	s_load_dword s15, s[4:5], 0x98
	v_mov_b32_e32 v19, s19
	s_mul_i32 s18, s12, s18
	v_ashrrev_i32_e32 v15, 31, v14
	s_xor_b64 exec, exec, s[36:37]
	s_cbranch_execz .LBB19_13
; %bb.8:
	s_load_dwordx2 s[4:5], s[4:5], 0x20
	s_ashr_i32 s19, s18, 31
	s_lshl_b64 s[10:11], s[18:19], 2
	v_bfe_u32 v19, v0, 3, 3
	v_lshlrev_b32_e32 v2, 4, v19
	s_waitcnt lgkmcnt(0)
	s_add_u32 s4, s4, s10
	s_addc_u32 s5, s5, s11
	v_mov_b32_e32 v3, s5
	v_add_co_u32_e32 v2, vcc, s4, v2
	v_and_b32_e32 v4, 3, v0
	v_addc_co_u32_e32 v3, vcc, 0, v3, vcc
	v_lshlrev_b32_e32 v4, 2, v4
	v_mbcnt_hi_u32_b32 v16, -1, v11
	v_add_co_u32_e32 v22, vcc, v2, v4
	v_and_b32_e32 v11, 64, v16
	v_addc_co_u32_e32 v23, vcc, 0, v3, vcc
	v_add_u32_e32 v17, 64, v11
	v_xor_b32_e32 v11, 4, v16
	v_cmp_lt_i32_e32 vcc, v11, v17
	v_cndmask_b32_e32 v11, v16, v11, vcc
	v_lshlrev_b32_e32 v18, 2, v11
	v_xor_b32_e32 v11, 2, v16
	v_cmp_lt_i32_e32 vcc, v11, v17
	v_cndmask_b32_e32 v11, v16, v11, vcc
	v_lshlrev_b32_e32 v20, 2, v11
	v_xor_b32_e32 v11, 1, v16
	v_cmp_lt_i32_e32 vcc, v11, v17
	v_lshlrev_b32_e32 v6, 5, v10
	v_cndmask_b32_e32 v11, v16, v11, vcc
	v_cmp_eq_u32_e32 vcc, 0, v10
	v_lshlrev_b32_e32 v10, 5, v0
	v_and_b32_e32 v10, 0x80, v10
	v_add_co_u32_e64 v22, s[10:11], v22, v10
	v_addc_co_u32_e64 v23, s[10:11], 0, v23, s[10:11]
	v_lshlrev_b32_e32 v25, 2, v19
	ds_read_b128 v[2:5], v6
	ds_read_b128 v[6:9], v6 offset:16
	s_sub_i32 s19, 1, s27
	v_lshlrev_b32_e32 v10, 3, v13
	s_lshl_b64 s[10:11], s[30:31], 2
	v_add3_u32 v24, s42, v10, v19
	v_lshl_or_b32 v10, v13, 5, v25
	s_add_u32 s10, s28, s10
	v_lshlrev_b32_e32 v21, 2, v11
	v_add_u32_e32 v25, 0x110, v10
	v_lshlrev_b64 v[10:11], 2, v[14:15]
	s_addc_u32 s11, s29, s11
	v_mov_b32_e32 v19, s11
	v_add_co_u32_e64 v10, s[10:11], s10, v10
	s_mov_b32 s12, s17
	v_cmp_neq_f32_e64 s[4:5], s7, 0
	v_addc_co_u32_e64 v11, s[10:11], v19, v11, s[10:11]
	s_mov_b64 s[38:39], 0
	v_mov_b32_e32 v19, 0xff7fffff
	v_mov_b32_e32 v26, v14
	s_branch .LBB19_10
.LBB19_9:                               ;   in Loop: Header=BB19_10 Depth=1
	s_or_b64 exec, exec, s[40:41]
	v_add_u32_e32 v26, 2, v26
	v_cmp_le_i32_e64 s[10:11], s33, v26
	s_or_b64 s[38:39], s[10:11], s[38:39]
	v_add_co_u32_e64 v10, s[10:11], 8, v10
	v_add_u32_e32 v24, 16, v24
	v_add_u32_e32 v25, 64, v25
	v_addc_co_u32_e64 v11, s[10:11], 0, v11, s[10:11]
	s_andn2_b64 exec, exec, s[38:39]
	s_cbranch_execz .LBB19_12
.LBB19_10:                              ; =>This Inner Loop Header: Depth=1
	global_load_dword v27, v[10:11], off
	s_waitcnt vmcnt(0) lgkmcnt(0)
	v_mad_i64_i32 v[28:29], s[10:11], v27, s12, 0
	v_lshlrev_b64 v[28:29], 2, v[28:29]
	v_add_co_u32_e64 v28, s[10:11], v22, v28
	v_addc_co_u32_e64 v29, s[10:11], v23, v29, s[10:11]
	global_load_dword v27, v[28:29], off offset:256
	global_load_dword v30, v[28:29], off
	global_load_dword v31, v[28:29], off offset:512
	global_load_dword v32, v[28:29], off offset:768
	;; [unrolled: 1-line block ×6, first 2 shown]
	s_waitcnt vmcnt(7) lgkmcnt(1)
	v_mul_f32_e32 v27, v3, v27
	s_waitcnt vmcnt(6)
	v_fmac_f32_e32 v27, v2, v30
	s_waitcnt vmcnt(5)
	v_fmac_f32_e32 v27, v4, v31
	;; [unrolled: 2-line block ×3, first 2 shown]
	s_waitcnt vmcnt(3) lgkmcnt(0)
	v_fmac_f32_e32 v27, v6, v33
	s_waitcnt vmcnt(2)
	v_fmac_f32_e32 v27, v7, v34
	s_waitcnt vmcnt(1)
	;; [unrolled: 2-line block ×3, first 2 shown]
	v_fmac_f32_e32 v27, v9, v36
	ds_bpermute_b32 v28, v18, v27
	s_waitcnt lgkmcnt(0)
	v_add_f32_e32 v27, v27, v28
	ds_bpermute_b32 v28, v20, v27
	s_waitcnt lgkmcnt(0)
	v_add_f32_e32 v27, v27, v28
	ds_bpermute_b32 v28, v21, v27
	s_and_saveexec_b64 s[40:41], vcc
	s_cbranch_execz .LBB19_9
; %bb.11:                               ;   in Loop: Header=BB19_10 Depth=1
	v_add_u32_e32 v29, s19, v24
	v_cvt_f32_i32_e32 v29, v29
	s_waitcnt lgkmcnt(0)
	v_add_f32_e32 v27, v27, v28
	v_cmp_gt_i32_e64 s[10:11], s27, v24
	v_max_f32_e32 v28, v19, v19
	v_mul_f32_e32 v29, s7, v29
	v_cndmask_b32_e64 v29, 0, v29, s[4:5]
	v_fmac_f32_e32 v29, s13, v27
	v_cndmask_b32_e64 v27, 0, v29, s[10:11]
	ds_write_b32 v25, v27
	v_max_f32_e32 v27, v28, v29
	v_cndmask_b32_e64 v19, v19, v27, s[10:11]
	s_branch .LBB19_9
.LBB19_12:
	s_or_b64 exec, exec, s[38:39]
.LBB19_13:
	s_or_b64 exec, exec, s[36:37]
	v_xor_b32_e32 v2, 32, v16
	v_cmp_lt_i32_e32 vcc, v2, v17
	v_cndmask_b32_e32 v2, v16, v2, vcc
	v_lshlrev_b32_e32 v3, 2, v2
	ds_bpermute_b32 v2, v3, v19
	v_xor_b32_e32 v5, 16, v16
	v_max_f32_e32 v4, v19, v19
	v_cmp_lt_i32_e32 vcc, v5, v17
	v_and_b32_e32 v20, 63, v0
	s_waitcnt lgkmcnt(0)
	v_max_f32_e32 v2, v2, v2
	v_max_f32_e32 v2, v4, v2
	v_cndmask_b32_e32 v4, v16, v5, vcc
	v_lshlrev_b32_e32 v6, 2, v4
	ds_bpermute_b32 v4, v6, v2
	v_xor_b32_e32 v5, 8, v16
	v_cmp_lt_i32_e32 vcc, v5, v17
	s_waitcnt lgkmcnt(0)
	v_max_f32_e32 v4, v4, v4
	v_max_f32_e32 v4, v2, v4
	v_cndmask_b32_e32 v2, v16, v5, vcc
	v_lshlrev_b32_e32 v7, 2, v2
	ds_bpermute_b32 v5, v7, v4
	v_cmp_eq_u32_e32 vcc, 0, v20
	v_lshlrev_b32_e32 v2, 2, v13
	s_and_saveexec_b64 s[4:5], vcc
	s_cbranch_execz .LBB19_15
; %bb.14:
	s_waitcnt lgkmcnt(0)
	v_max_f32_e32 v5, v5, v5
	v_max_f32_e32 v4, v4, v4
	v_max_f32_e32 v4, v4, v5
	ds_write_b32 v2, v4 offset:256
.LBB19_15:
	s_or_b64 exec, exec, s[4:5]
	v_cmp_gt_u32_e64 s[4:5], 2, v20
	v_mov_b32_e32 v4, 0xff7fffff
	s_waitcnt lgkmcnt(0)
	v_lshlrev_b32_e32 v5, 2, v20
	s_barrier
	s_and_saveexec_b64 s[10:11], s[4:5]
	s_cbranch_execz .LBB19_17
; %bb.16:
	ds_read_b32 v4, v5 offset:256
.LBB19_17:
	s_or_b64 exec, exec, s[10:11]
	v_xor_b32_e32 v8, 1, v16
	v_cmp_lt_i32_e64 s[10:11], v8, v17
	v_cndmask_b32_e64 v8, v16, v8, s[10:11]
	v_lshlrev_b32_e32 v21, 2, v8
	s_waitcnt lgkmcnt(0)
	ds_bpermute_b32 v8, v21, v4
	v_max_f32_e32 v4, v4, v4
	s_sub_i32 s7, s33, s16
	s_lshl_b32 s7, s7, 3
	s_add_i32 s7, s7, s42
	s_waitcnt lgkmcnt(0)
	v_max_f32_e32 v8, v8, v8
	v_max_f32_e32 v4, v4, v8
	v_lshlrev_b32_e32 v8, 2, v16
	v_and_b32_e32 v8, 0xffffff00, v8
	ds_bpermute_b32 v4, v8, v4
	s_min_i32 s19, s7, s27
	s_sub_i32 s7, s19, s42
	v_cmp_gt_i32_e64 s[10:11], s7, v0
	v_mov_b32_e32 v9, 0
	s_and_saveexec_b64 s[36:37], s[10:11]
	s_cbranch_execz .LBB19_21
; %bb.18:
	v_mov_b32_e32 v9, 0x110
	v_lshl_add_u32 v10, v0, 2, v9
	s_mov_b64 s[38:39], 0
	v_mov_b32_e32 v9, 0
	v_mov_b32_e32 v11, v0
.LBB19_19:                              ; =>This Inner Loop Header: Depth=1
	ds_read_b32 v18, v10
	v_add_u32_e32 v11, 0x80, v11
	v_cmp_le_i32_e64 s[12:13], s7, v11
	s_or_b64 s[38:39], s[12:13], s[38:39]
	s_waitcnt lgkmcnt(0)
	v_sub_f32_e32 v18, v18, v4
	v_mul_f32_e32 v18, 0x3fb8aa3b, v18
	v_exp_f32_e32 v18, v18
	ds_write_b32 v10, v18
	v_add_f32_e32 v9, v9, v18
	v_add_u32_e32 v10, 0x200, v10
	s_andn2_b64 exec, exec, s[38:39]
	s_cbranch_execnz .LBB19_19
; %bb.20:
	s_or_b64 exec, exec, s[38:39]
.LBB19_21:
	s_or_b64 exec, exec, s[36:37]
	ds_bpermute_b32 v3, v3, v9
	s_waitcnt lgkmcnt(0)
	v_add_f32_e32 v3, v9, v3
	ds_bpermute_b32 v6, v6, v3
	s_waitcnt lgkmcnt(0)
	v_add_f32_e32 v3, v3, v6
	ds_bpermute_b32 v6, v7, v3
	v_xor_b32_e32 v7, 4, v16
	v_cmp_lt_i32_e64 s[12:13], v7, v17
	v_cndmask_b32_e64 v7, v16, v7, s[12:13]
	v_lshlrev_b32_e32 v7, 2, v7
	s_waitcnt lgkmcnt(0)
	v_add_f32_e32 v3, v3, v6
	ds_bpermute_b32 v6, v7, v3
	v_xor_b32_e32 v7, 2, v16
	v_cmp_lt_i32_e64 s[12:13], v7, v17
	v_cndmask_b32_e64 v7, v16, v7, s[12:13]
	s_waitcnt lgkmcnt(0)
	v_add_f32_e32 v3, v3, v6
	v_lshlrev_b32_e32 v6, 2, v7
	ds_bpermute_b32 v6, v6, v3
	s_waitcnt lgkmcnt(0)
	v_add_f32_e32 v3, v3, v6
	ds_bpermute_b32 v6, v21, v3
	s_waitcnt lgkmcnt(0)
	v_add_f32_e32 v3, v3, v6
	s_and_saveexec_b64 s[12:13], vcc
	s_cbranch_execz .LBB19_23
; %bb.22:
	ds_write_b32 v2, v3 offset:264
.LBB19_23:
	s_or_b64 exec, exec, s[12:13]
	s_waitcnt lgkmcnt(0)
	s_barrier
	s_and_saveexec_b64 s[12:13], s[4:5]
	s_cbranch_execz .LBB19_25
; %bb.24:
	ds_read_b32 v3, v5 offset:264
.LBB19_25:
	s_or_b64 exec, exec, s[12:13]
	s_waitcnt lgkmcnt(0)
	ds_bpermute_b32 v2, v21, v3
	s_waitcnt lgkmcnt(0)
	v_add_f32_e32 v2, v3, v2
	ds_bpermute_b32 v5, v8, v2
	s_and_saveexec_b64 s[4:5], s[10:11]
	s_cbranch_execz .LBB19_38
; %bb.26:
	s_waitcnt lgkmcnt(0)
	v_add_f32_e32 v2, 0x358637bd, v5
	v_div_scale_f32 v3, s[10:11], v2, v2, 1.0
	v_rcp_f32_e32 v6, v3
	v_div_scale_f32 v7, vcc, 1.0, v2, 1.0
	s_movk_i32 s10, 0x7f
	v_fma_f32 v8, -v3, v6, 1.0
	v_fmac_f32_e32 v6, v8, v6
	v_mul_f32_e32 v8, v7, v6
	v_fma_f32 v9, -v3, v8, v7
	v_fmac_f32_e32 v8, v9, v6
	v_fma_f32 v3, -v3, v8, v7
	v_div_fmas_f32 v3, v3, v6, v8
	v_div_fixup_f32 v2, v3, v2, 1.0
	v_xad_u32 v3, v0, -1, s19
	v_subrev_u32_e32 v6, s42, v3
	v_cmp_lt_u32_e32 vcc, s10, v6
	s_mov_b64 s[12:13], -1
	v_mov_b32_e32 v3, v0
	s_and_saveexec_b64 s[10:11], vcc
	s_cbranch_execz .LBB19_35
; %bb.27:
	v_lshrrev_b32_e32 v6, 7, v6
	v_add_u32_e32 v8, -1, v6
	v_lshrrev_b32_e32 v7, 1, v8
	v_mov_b32_e32 v3, v2
	v_add_u32_e32 v7, 1, v7
	v_cmp_lt_u32_e32 vcc, 13, v8
	v_mov_b32_e32 v10, 0
	s_and_saveexec_b64 s[12:13], vcc
	s_cbranch_execz .LBB19_31
; %bb.28:
	v_mov_b32_e32 v9, 0x110
	v_and_b32_e32 v8, -8, v7
	v_lshl_add_u32 v9, v0, 2, v9
	s_mov_b32 s19, 0
	s_mov_b64 s[36:37], 0
.LBB19_29:                              ; =>This Inner Loop Header: Depth=1
	ds_read2st64_b32 v[10:11], v9 offset1:2
	ds_read2st64_b32 v[16:17], v9 offset0:4 offset1:6
	ds_read2st64_b32 v[18:19], v9 offset0:8 offset1:10
	;; [unrolled: 1-line block ×3, first 2 shown]
	v_add_u32_e32 v8, -8, v8
	s_waitcnt lgkmcnt(3)
	v_pk_mul_f32 v[10:11], v[2:3], v[10:11]
	s_waitcnt lgkmcnt(2)
	v_pk_mul_f32 v[16:17], v[2:3], v[16:17]
	ds_write2st64_b32 v9, v10, v11 offset1:2
	ds_write2st64_b32 v9, v16, v17 offset0:4 offset1:6
	ds_read2st64_b32 v[16:17], v9 offset0:16 offset1:18
	s_waitcnt lgkmcnt(4)
	v_pk_mul_f32 v[10:11], v[2:3], v[18:19]
	ds_write2st64_b32 v9, v10, v11 offset0:8 offset1:10
	s_waitcnt lgkmcnt(4)
	v_pk_mul_f32 v[10:11], v[2:3], v[22:23]
	ds_write2st64_b32 v9, v10, v11 offset0:12 offset1:14
	ds_read2st64_b32 v[10:11], v9 offset0:20 offset1:22
	s_waitcnt lgkmcnt(3)
	v_pk_mul_f32 v[16:17], v[2:3], v[16:17]
	ds_read2st64_b32 v[18:19], v9 offset0:24 offset1:26
	ds_write2st64_b32 v9, v16, v17 offset0:16 offset1:18
	ds_read2st64_b32 v[16:17], v9 offset0:28 offset1:30
	s_waitcnt lgkmcnt(3)
	v_pk_mul_f32 v[10:11], v[2:3], v[10:11]
	ds_write2st64_b32 v9, v10, v11 offset0:20 offset1:22
	s_waitcnt lgkmcnt(3)
	v_pk_mul_f32 v[10:11], v[2:3], v[18:19]
	ds_write2st64_b32 v9, v10, v11 offset0:24 offset1:26
	s_waitcnt lgkmcnt(2)
	v_pk_mul_f32 v[10:11], v[2:3], v[16:17]
	s_add_i32 s19, s19, 16
	v_cmp_eq_u32_e32 vcc, 0, v8
	ds_write2st64_b32 v9, v10, v11 offset0:28 offset1:30
	v_add_u32_e32 v9, 0x2000, v9
	s_or_b64 s[36:37], vcc, s[36:37]
	v_mov_b32_e32 v10, s19
	s_andn2_b64 exec, exec, s[36:37]
	s_cbranch_execnz .LBB19_29
; %bb.30:
	s_or_b64 exec, exec, s[36:37]
.LBB19_31:
	s_or_b64 exec, exec, s[12:13]
	v_and_b32_e32 v7, 7, v7
	v_cmp_ne_u32_e32 vcc, 0, v7
	s_and_saveexec_b64 s[12:13], vcc
	s_cbranch_execz .LBB19_34
; %bb.32:
	v_lshlrev_b32_e32 v8, 9, v10
	s_movk_i32 s19, 0x110
	v_add3_u32 v8, v8, v12, s19
	s_mov_b64 s[36:37], 0
.LBB19_33:                              ; =>This Inner Loop Header: Depth=1
	ds_read2st64_b32 v[10:11], v8 offset1:2
	v_add_u32_e32 v7, -1, v7
	v_cmp_eq_u32_e32 vcc, 0, v7
	s_or_b64 s[36:37], vcc, s[36:37]
	s_waitcnt lgkmcnt(0)
	v_pk_mul_f32 v[10:11], v[2:3], v[10:11]
	ds_write2st64_b32 v8, v10, v11 offset1:2
	v_add_u32_e32 v8, 0x400, v8
	s_andn2_b64 exec, exec, s[36:37]
	s_cbranch_execnz .LBB19_33
.LBB19_34:
	s_or_b64 exec, exec, s[12:13]
	v_add_u32_e32 v6, 1, v6
	v_and_b32_e32 v7, 0x3fffffe, v6
	v_cmp_ne_u32_e32 vcc, v6, v7
	v_lshl_add_u32 v3, v7, 7, v0
	s_orn2_b64 s[12:13], vcc, exec
.LBB19_35:
	s_or_b64 exec, exec, s[10:11]
	s_and_b64 exec, exec, s[12:13]
	s_cbranch_execz .LBB19_38
; %bb.36:
	v_mov_b32_e32 v6, 0x110
	v_lshl_add_u32 v6, v3, 2, v6
	s_mov_b64 s[10:11], 0
.LBB19_37:                              ; =>This Inner Loop Header: Depth=1
	ds_read_b32 v7, v6
	v_add_u32_e32 v3, 0x80, v3
	v_cmp_le_i32_e32 vcc, s7, v3
	s_or_b64 s[10:11], vcc, s[10:11]
	s_waitcnt lgkmcnt(0)
	v_mul_f32_e32 v7, v2, v7
	ds_write_b32 v6, v7
	v_add_u32_e32 v6, 0x200, v6
	s_andn2_b64 exec, exec, s[10:11]
	s_cbranch_execnz .LBB19_37
.LBB19_38:
	s_or_b64 exec, exec, s[4:5]
	s_mul_i32 s4, s15, s26
	v_cmp_eq_u32_e32 vcc, 0, v0
	s_mul_i32 s4, s4, s9
	s_waitcnt lgkmcnt(0)
	s_barrier
	s_and_saveexec_b64 s[10:11], vcc
	s_cbranch_execz .LBB19_40
; %bb.39:
	s_ashr_i32 s5, s4, 31
	s_lshl_b64 s[12:13], s[4:5], 2
	s_add_u32 s5, s22, s12
	s_mul_i32 s6, s15, s6
	s_addc_u32 s9, s23, s13
	s_ashr_i32 s7, s6, 31
	s_lshl_b64 s[6:7], s[6:7], 2
	s_add_u32 s5, s5, s6
	s_addc_u32 s19, s9, s7
	s_ashr_i32 s9, s8, 31
	s_lshl_b64 s[8:9], s[8:9], 2
	s_add_u32 s22, s5, s8
	s_addc_u32 s23, s19, s9
	s_add_u32 s5, s20, s12
	s_addc_u32 s12, s21, s13
	;; [unrolled: 2-line block ×3, first 2 shown]
	s_add_u32 s6, s5, s8
	v_mov_b32_e32 v2, 0
	s_addc_u32 s7, s7, s9
	global_store_dword v2, v4, s[22:23]
	global_store_dword v2, v5, s[6:7]
.LBB19_40:
	s_or_b64 exec, exec, s[10:11]
	v_mov_b32_e32 v17, 0
	v_and_b32_e32 v22, 1, v0
	v_mov_b32_e32 v16, 0
	s_and_saveexec_b64 s[6:7], s[2:3]
	s_cbranch_execz .LBB19_48
; %bb.41:
	s_ashr_i32 s19, s18, 31
	s_lshl_b64 s[2:3], s[18:19], 2
	v_lshlrev_b32_e32 v3, 4, v0
	s_add_u32 s2, s34, s2
	v_and_b32_e32 v3, 0x3f0, v3
	v_and_b32_e32 v2, 4, v12
	s_addc_u32 s3, s35, s3
	v_add_co_u32_e32 v23, vcc, s2, v3
	v_lshl_add_u32 v3, v13, 3, s42
	s_add_i32 s43, s43, -1
	v_mov_b32_e32 v4, s3
	v_add3_u32 v25, v3, v2, 3
	v_lshlrev_b32_e32 v2, 4, v22
	s_lshl_b64 s[2:3], s[30:31], 2
	v_lshl_or_b32 v2, v13, 5, v2
	s_add_u32 s2, s28, s2
	v_addc_co_u32_e32 v24, vcc, 0, v4, vcc
	v_add_u32_e32 v26, 0x110, v2
	v_lshlrev_b64 v[2:3], 2, v[14:15]
	s_addc_u32 s3, s29, s3
	v_mov_b32_e32 v4, s3
	v_add_co_u32_e32 v18, vcc, s2, v2
	v_mov_b32_e32 v17, 0
	s_mov_b32 s5, s17
	v_addc_co_u32_e32 v19, vcc, v4, v3, vcc
	s_mov_b64 s[8:9], 0
	v_mov_b32_e32 v16, v17
	s_branch .LBB19_43
.LBB19_42:                              ;   in Loop: Header=BB19_43 Depth=1
	s_or_b64 exec, exec, s[2:3]
	s_waitcnt vmcnt(1) lgkmcnt(0)
	v_mul_f32_e32 v7, v3, v7
	s_waitcnt vmcnt(0)
	v_mul_f32_e32 v3, v3, v11
	v_fmac_f32_e32 v7, v2, v6
	v_fmac_f32_e32 v3, v2, v10
	v_add_u32_e32 v14, 2, v14
	v_fmac_f32_e32 v7, v4, v8
	v_fmac_f32_e32 v3, v4, v12
	v_cmp_le_i32_e32 vcc, s33, v14
	v_fmac_f32_e32 v7, v5, v9
	v_fmac_f32_e32 v3, v5, v13
	s_or_b64 s[8:9], vcc, s[8:9]
	v_add_co_u32_e32 v18, vcc, 8, v18
	v_add_f32_e32 v16, v16, v7
	v_add_f32_e32 v17, v17, v3
	v_add_u32_e32 v25, 16, v25
	v_add_u32_e32 v26, 64, v26
	v_addc_co_u32_e32 v19, vcc, 0, v19, vcc
	s_andn2_b64 exec, exec, s[8:9]
	s_cbranch_execz .LBB19_47
.LBB19_43:                              ; =>This Inner Loop Header: Depth=1
	global_load_dword v2, v[18:19], off
	v_add_u32_e32 v15, -3, v25
	v_add_u32_e32 v28, -2, v25
	;; [unrolled: 1-line block ×3, first 2 shown]
	s_waitcnt vmcnt(0)
	v_mad_i64_i32 v[2:3], s[2:3], v2, s5, 0
	v_lshlrev_b64 v[2:3], 2, v[2:3]
	v_add_co_u32_e32 v10, vcc, v23, v2
	v_addc_co_u32_e32 v11, vcc, v24, v3, vcc
	global_load_dwordx4 v[6:9], v[10:11], off
	ds_read_b128 v[2:5], v26
	v_cmp_eq_u32_e32 vcc, s43, v14
	s_and_saveexec_b64 s[10:11], vcc
	s_cbranch_execz .LBB19_45
; %bb.44:                               ;   in Loop: Header=BB19_43 Depth=1
	v_cmp_gt_i32_e64 s[2:3], s27, v15
	s_waitcnt vmcnt(0)
	v_cndmask_b32_e64 v6, 0, v6, s[2:3]
	v_cmp_gt_i32_e64 s[2:3], s27, v28
	v_cndmask_b32_e64 v7, 0, v7, s[2:3]
	v_cmp_gt_i32_e64 s[2:3], s27, v27
	;; [unrolled: 2-line block ×3, first 2 shown]
	v_cndmask_b32_e64 v9, 0, v9, s[2:3]
.LBB19_45:                              ;   in Loop: Header=BB19_43 Depth=1
	s_or_b64 exec, exec, s[10:11]
	global_load_dwordx4 v[10:13], v[10:11], off offset:1024
	s_and_saveexec_b64 s[2:3], vcc
	s_cbranch_execz .LBB19_42
; %bb.46:                               ;   in Loop: Header=BB19_43 Depth=1
	v_cmp_gt_i32_e32 vcc, s27, v15
	s_waitcnt vmcnt(0)
	v_cndmask_b32_e32 v10, 0, v10, vcc
	v_cmp_gt_i32_e32 vcc, s27, v28
	v_cndmask_b32_e32 v11, 0, v11, vcc
	v_cmp_gt_i32_e32 vcc, s27, v27
	;; [unrolled: 2-line block ×3, first 2 shown]
	v_cndmask_b32_e32 v13, 0, v13, vcc
	s_branch .LBB19_42
.LBB19_47:
	s_or_b64 exec, exec, s[8:9]
.LBB19_48:
	s_or_b64 exec, exec, s[6:7]
	ds_bpermute_b32 v2, v21, v16
	ds_bpermute_b32 v3, v21, v17
	v_and_b32_e32 v4, 0x3c1, v0
	v_cmp_eq_u32_e32 vcc, 64, v4
	s_waitcnt lgkmcnt(0)
	s_barrier
	v_pk_add_f32 v[2:3], v[16:17], v[2:3]
	s_and_saveexec_b64 s[2:3], vcc
	s_cbranch_execz .LBB19_50
; %bb.49:
	v_mov_b32_e32 v5, 0x110
	v_lshl_add_u32 v5, v20, 1, v5
	ds_write2_b32 v5, v2, v3 offset1:32
.LBB19_50:
	s_or_b64 exec, exec, s[2:3]
	s_waitcnt lgkmcnt(0)
	s_barrier
	s_and_saveexec_b64 s[2:3], s[0:1]
	s_cbranch_execz .LBB19_56
; %bb.51:
	v_cmp_eq_u32_e32 vcc, 0, v22
	s_and_saveexec_b64 s[0:1], vcc
	s_cbranch_execz .LBB19_53
; %bb.52:
	v_mov_b32_e32 v5, 0x110
	v_lshl_add_u32 v5, v1, 2, v5
	ds_read_b32 v5, v5
	s_waitcnt lgkmcnt(0)
	v_add_f32_e32 v2, v2, v5
.LBB19_53:
	s_or_b64 exec, exec, s[0:1]
	s_and_saveexec_b64 s[0:1], vcc
	s_cbranch_execz .LBB19_55
; %bb.54:
	v_mov_b32_e32 v5, 0x110
	v_lshl_add_u32 v1, v1, 2, v5
	ds_read_b32 v1, v1 offset:128
	s_waitcnt lgkmcnt(0)
	v_add_f32_e32 v3, v3, v1
.LBB19_55:
	s_or_b64 exec, exec, s[0:1]
.LBB19_56:
	s_or_b64 exec, exec, s[2:3]
	v_cmp_eq_u32_e32 vcc, 0, v4
	s_barrier
	s_and_saveexec_b64 s[0:1], vcc
	s_cbranch_execz .LBB19_58
; %bb.57:
	s_lshl_b32 s0, s4, 6
	s_ashr_i32 s1, s0, 31
	s_lshl_b64 s[0:1], s[0:1], 2
	s_add_u32 s2, s24, s0
	s_mul_i32 s0, s15, s14
	s_addc_u32 s3, s25, s1
	s_ashr_i32 s1, s0, 31
	s_lshl_b64 s[0:1], s[0:1], 2
	s_add_u32 s2, s2, s0
	s_addc_u32 s3, s3, s1
	s_ashr_i32 s17, s16, 31
	s_lshl_b64 s[0:1], s[16:17], 2
	s_add_u32 s0, s2, s0
	s_addc_u32 s1, s3, s1
	v_lshlrev_b32_e32 v0, 1, v0
	global_store_dword v0, v2, s[0:1]
	global_store_dword v0, v3, s[0:1] offset:128
.LBB19_58:
	s_endpgm
	.section	.rodata,"a",@progbits
	.p2align	6, 0x0
	.amdhsa_kernel _ZN4vllm25paged_attention_v2_kernelIffLi64ELi8ELi128ELNS_18Fp8KVCacheDataTypeE0ELb0ELi512EEEvPfS2_PT_PKS3_PKT0_S9_ifPKiSB_iPKfiiiSD_SD_iiiii
		.amdhsa_group_segment_fixed_size 272
		.amdhsa_private_segment_fixed_size 0
		.amdhsa_kernarg_size 400
		.amdhsa_user_sgpr_count 6
		.amdhsa_user_sgpr_private_segment_buffer 1
		.amdhsa_user_sgpr_dispatch_ptr 0
		.amdhsa_user_sgpr_queue_ptr 0
		.amdhsa_user_sgpr_kernarg_segment_ptr 1
		.amdhsa_user_sgpr_dispatch_id 0
		.amdhsa_user_sgpr_flat_scratch_init 0
		.amdhsa_user_sgpr_kernarg_preload_length 0
		.amdhsa_user_sgpr_kernarg_preload_offset 0
		.amdhsa_user_sgpr_private_segment_size 0
		.amdhsa_uses_dynamic_stack 0
		.amdhsa_system_sgpr_private_segment_wavefront_offset 0
		.amdhsa_system_sgpr_workgroup_id_x 1
		.amdhsa_system_sgpr_workgroup_id_y 1
		.amdhsa_system_sgpr_workgroup_id_z 1
		.amdhsa_system_sgpr_workgroup_info 0
		.amdhsa_system_vgpr_workitem_id 0
		.amdhsa_next_free_vgpr 37
		.amdhsa_next_free_sgpr 44
		.amdhsa_accum_offset 40
		.amdhsa_reserve_vcc 1
		.amdhsa_reserve_flat_scratch 0
		.amdhsa_float_round_mode_32 0
		.amdhsa_float_round_mode_16_64 0
		.amdhsa_float_denorm_mode_32 3
		.amdhsa_float_denorm_mode_16_64 3
		.amdhsa_dx10_clamp 1
		.amdhsa_ieee_mode 1
		.amdhsa_fp16_overflow 0
		.amdhsa_tg_split 0
		.amdhsa_exception_fp_ieee_invalid_op 0
		.amdhsa_exception_fp_denorm_src 0
		.amdhsa_exception_fp_ieee_div_zero 0
		.amdhsa_exception_fp_ieee_overflow 0
		.amdhsa_exception_fp_ieee_underflow 0
		.amdhsa_exception_fp_ieee_inexact 0
		.amdhsa_exception_int_div_zero 0
	.end_amdhsa_kernel
	.section	.text._ZN4vllm25paged_attention_v2_kernelIffLi64ELi8ELi128ELNS_18Fp8KVCacheDataTypeE0ELb0ELi512EEEvPfS2_PT_PKS3_PKT0_S9_ifPKiSB_iPKfiiiSD_SD_iiiii,"axG",@progbits,_ZN4vllm25paged_attention_v2_kernelIffLi64ELi8ELi128ELNS_18Fp8KVCacheDataTypeE0ELb0ELi512EEEvPfS2_PT_PKS3_PKT0_S9_ifPKiSB_iPKfiiiSD_SD_iiiii,comdat
.Lfunc_end19:
	.size	_ZN4vllm25paged_attention_v2_kernelIffLi64ELi8ELi128ELNS_18Fp8KVCacheDataTypeE0ELb0ELi512EEEvPfS2_PT_PKS3_PKT0_S9_ifPKiSB_iPKfiiiSD_SD_iiiii, .Lfunc_end19-_ZN4vllm25paged_attention_v2_kernelIffLi64ELi8ELi128ELNS_18Fp8KVCacheDataTypeE0ELb0ELi512EEEvPfS2_PT_PKS3_PKT0_S9_ifPKiSB_iPKfiiiSD_SD_iiiii
                                        ; -- End function
	.section	.AMDGPU.csdata,"",@progbits
; Kernel info:
; codeLenInByte = 3496
; NumSgprs: 48
; NumVgprs: 37
; NumAgprs: 0
; TotalNumVgprs: 37
; ScratchSize: 0
; MemoryBound: 0
; FloatMode: 240
; IeeeMode: 1
; LDSByteSize: 272 bytes/workgroup (compile time only)
; SGPRBlocks: 5
; VGPRBlocks: 4
; NumSGPRsForWavesPerEU: 48
; NumVGPRsForWavesPerEU: 37
; AccumOffset: 40
; Occupancy: 8
; WaveLimiterHint : 1
; COMPUTE_PGM_RSRC2:SCRATCH_EN: 0
; COMPUTE_PGM_RSRC2:USER_SGPR: 6
; COMPUTE_PGM_RSRC2:TRAP_HANDLER: 0
; COMPUTE_PGM_RSRC2:TGID_X_EN: 1
; COMPUTE_PGM_RSRC2:TGID_Y_EN: 1
; COMPUTE_PGM_RSRC2:TGID_Z_EN: 1
; COMPUTE_PGM_RSRC2:TIDIG_COMP_CNT: 0
; COMPUTE_PGM_RSRC3_GFX90A:ACCUM_OFFSET: 9
; COMPUTE_PGM_RSRC3_GFX90A:TG_SPLIT: 0
	.section	.text._ZN4vllm25paged_attention_v2_kernelIffLi80ELi8ELi128ELNS_18Fp8KVCacheDataTypeE0ELb0ELi512EEEvPfS2_PT_PKS3_PKT0_S9_ifPKiSB_iPKfiiiSD_SD_iiiii,"axG",@progbits,_ZN4vllm25paged_attention_v2_kernelIffLi80ELi8ELi128ELNS_18Fp8KVCacheDataTypeE0ELb0ELi512EEEvPfS2_PT_PKS3_PKT0_S9_ifPKiSB_iPKfiiiSD_SD_iiiii,comdat
	.protected	_ZN4vllm25paged_attention_v2_kernelIffLi80ELi8ELi128ELNS_18Fp8KVCacheDataTypeE0ELb0ELi512EEEvPfS2_PT_PKS3_PKT0_S9_ifPKiSB_iPKfiiiSD_SD_iiiii ; -- Begin function _ZN4vllm25paged_attention_v2_kernelIffLi80ELi8ELi128ELNS_18Fp8KVCacheDataTypeE0ELb0ELi512EEEvPfS2_PT_PKS3_PKT0_S9_ifPKiSB_iPKfiiiSD_SD_iiiii
	.globl	_ZN4vllm25paged_attention_v2_kernelIffLi80ELi8ELi128ELNS_18Fp8KVCacheDataTypeE0ELb0ELi512EEEvPfS2_PT_PKS3_PKT0_S9_ifPKiSB_iPKfiiiSD_SD_iiiii
	.p2align	8
	.type	_ZN4vllm25paged_attention_v2_kernelIffLi80ELi8ELi128ELNS_18Fp8KVCacheDataTypeE0ELb0ELi512EEEvPfS2_PT_PKS3_PKT0_S9_ifPKiSB_iPKfiiiSD_SD_iiiii,@function
_ZN4vllm25paged_attention_v2_kernelIffLi80ELi8ELi128ELNS_18Fp8KVCacheDataTypeE0ELb0ELi512EEEvPfS2_PT_PKS3_PKT0_S9_ifPKiSB_iPKfiiiSD_SD_iiiii: ; @_ZN4vllm25paged_attention_v2_kernelIffLi80ELi8ELi128ELNS_18Fp8KVCacheDataTypeE0ELb0ELi512EEEvPfS2_PT_PKS3_PKT0_S9_ifPKiSB_iPKfiiiSD_SD_iiiii
; %bb.0:
	s_load_dwordx2 s[0:1], s[4:5], 0x40
	s_mov_b32 s24, s7
	s_ashr_i32 s25, s7, 31
	s_lshl_b64 s[2:3], s[24:25], 2
	s_waitcnt lgkmcnt(0)
	s_add_u32 s0, s0, s2
	s_addc_u32 s1, s1, s3
	s_load_dword s25, s[0:1], 0x0
	s_lshl_b32 s40, s8, 9
	s_waitcnt lgkmcnt(0)
	s_cmp_ge_i32 s40, s25
	s_cbranch_scc1 .LBB20_70
; %bb.1:
	s_load_dword s9, s[4:5], 0x90
	s_load_dwordx2 s[10:11], s[4:5], 0x30
	s_waitcnt lgkmcnt(0)
	s_abs_i32 s2, s9
	s_abs_i32 s0, s10
	v_cvt_f32_u32_e32 v1, s0
	s_sub_i32 s3, 0, s0
	s_xor_b32 s1, s9, s10
	s_ashr_i32 s1, s1, 31
	v_rcp_iflag_f32_e32 v1, v1
	v_mul_f32_e32 v1, 0x4f7ffffe, v1
	v_cvt_u32_f32_e32 v1, v1
	v_readfirstlane_b32 s7, v1
	s_mul_i32 s3, s3, s7
	s_mul_hi_u32 s3, s7, s3
	s_add_i32 s7, s7, s3
	s_mul_hi_u32 s3, s2, s7
	s_mul_i32 s7, s3, s0
	s_sub_i32 s2, s2, s7
	s_add_i32 s10, s3, 1
	s_sub_i32 s7, s2, s0
	s_cmp_ge_u32 s2, s0
	s_cselect_b32 s3, s10, s3
	s_cselect_b32 s2, s7, s2
	s_add_i32 s7, s3, 1
	s_cmp_ge_u32 s2, s0
	s_cselect_b32 s0, s7, s3
	s_xor_b32 s0, s0, s1
	s_sub_i32 s12, s0, s1
	s_abs_i32 s2, s12
	v_cvt_f32_u32_e32 v1, s2
	s_load_dwordx2 s[0:1], s[4:5], 0x50
	s_sub_i32 s7, 0, s2
	s_abs_i32 s3, s6
	v_rcp_iflag_f32_e32 v1, v1
	s_mov_b32 s10, 0
	v_mul_f32_e32 v1, 0x4f7ffffe, v1
	v_cvt_u32_f32_e32 v1, v1
	v_readfirstlane_b32 s13, v1
	s_mul_i32 s7, s7, s13
	s_mul_hi_u32 s7, s13, s7
	s_add_i32 s13, s13, s7
	s_waitcnt lgkmcnt(0)
	s_cmp_eq_u64 s[0:1], 0
	s_mul_hi_u32 s16, s3, s13
	s_cbranch_scc1 .LBB20_3
; %bb.2:
	s_ashr_i32 s7, s6, 31
	s_lshl_b64 s[14:15], s[6:7], 2
	s_add_u32 s0, s0, s14
	s_addc_u32 s1, s1, s15
	s_load_dword s10, s[0:1], 0x0
.LBB20_3:
	s_ashr_i32 s18, s12, 31
	s_load_dwordx4 s[12:15], s[4:5], 0x58
	s_movk_i32 s0, 0x50
	s_ashr_i32 s17, s6, 31
	v_and_b32_e32 v12, 7, v0
	s_mul_i32 s20, s6, 0x50
	v_cmp_gt_u32_e32 vcc, s0, v0
	v_lshlrev_b32_e32 v15, 2, v0
	v_lshrrev_b32_e32 v1, 1, v0
	s_and_saveexec_b64 s[0:1], vcc
	s_cbranch_execz .LBB20_5
; %bb.4:
	s_load_dwordx2 s[22:23], s[4:5], 0x18
	s_waitcnt lgkmcnt(0)
	s_mul_i32 s26, s24, s12
	s_ashr_i32 s27, s26, 31
	s_lshl_b64 s[26:27], s[26:27], 2
	v_and_b32_e32 v3, 0x1fc, v1
	s_add_u32 s7, s22, s26
	s_addc_u32 s12, s23, s27
	s_ashr_i32 s21, s20, 31
	s_lshl_b64 s[22:23], s[20:21], 2
	s_add_u32 s22, s7, s22
	s_addc_u32 s23, s12, s23
	global_load_dword v2, v15, s[22:23]
	v_mad_u32_u24 v3, v12, 40, v3
	s_waitcnt vmcnt(0)
	ds_write_b32 v3, v2
.LBB20_5:
	s_or_b64 exec, exec, s[0:1]
	s_add_i32 s0, s25, 7
	s_ashr_i32 s1, s0, 31
	s_lshr_b32 s1, s1, 29
	s_add_i32 s0, s0, s1
	s_lshl_b32 s7, s8, 6
	s_mul_i32 s1, s16, s2
	s_waitcnt lgkmcnt(0)
	s_ashr_i32 s12, s0, 3
	s_add_i32 s0, s7, 64
	s_sub_i32 s1, s3, s1
	s_min_i32 s33, s0, s12
	s_xor_b32 s0, s17, s18
	s_add_i32 s3, s16, 1
	s_sub_i32 s15, s1, s2
	s_cmp_ge_u32 s1, s2
	s_cselect_b32 s3, s3, s16
	s_cselect_b32 s1, s15, s1
	s_add_i32 s15, s3, 1
	s_cmp_ge_u32 s1, s2
	s_load_dwordx2 s[26:27], s[4:5], 0x38
	s_load_dword s2, s[4:5], 0x48
	v_lshrrev_b32_e32 v20, 6, v0
	s_cselect_b32 s1, s15, s3
	s_xor_b32 s1, s1, s0
	v_or_b32_e32 v16, s7, v20
	s_waitcnt lgkmcnt(0)
	s_mul_i32 s28, s24, s2
	s_sub_i32 s15, s1, s0
	s_ashr_i32 s29, s28, 31
	v_cmp_gt_i32_e64 s[0:1], s33, v16
	v_cmp_le_i32_e32 vcc, s33, v16
	v_mbcnt_lo_u32_b32 v13, -1, 0
	s_barrier
	s_waitcnt lgkmcnt(0)
                                        ; implicit-def: $sgpr36
                                        ; implicit-def: $vgpr14
                                        ; implicit-def: $vgpr18
	s_and_saveexec_b64 s[2:3], vcc
	s_xor_b64 s[2:3], exec, s[2:3]
; %bb.6:
	v_mbcnt_hi_u32_b32 v14, -1, v13
	v_and_b32_e32 v2, 64, v14
	v_add_u32_e32 v18, 64, v2
	s_mov_b32 s36, 0xff7fffff
                                        ; implicit-def: $vgpr12
                                        ; implicit-def: $vgpr13
; %bb.7:
	s_or_saveexec_b64 s[34:35], s[2:3]
	s_load_dwordx4 s[16:19], s[4:5], 0x0
	s_load_dwordx2 s[22:23], s[4:5], 0x10
	s_load_dwordx2 s[30:31], s[4:5], 0x28
	s_load_dword s21, s[4:5], 0x98
	v_mov_b32_e32 v21, s36
	s_mul_i32 s14, s15, s14
	v_ashrrev_i32_e32 v17, 31, v16
	s_xor_b64 exec, exec, s[34:35]
	s_cbranch_execz .LBB20_13
; %bb.8:
	s_load_dwordx2 s[2:3], s[4:5], 0x20
	s_ashr_i32 s15, s14, 31
	s_lshl_b64 s[4:5], s[14:15], 2
	v_bfe_u32 v21, v0, 3, 3
	v_lshlrev_b32_e32 v2, 4, v21
	s_waitcnt lgkmcnt(0)
	s_add_u32 s2, s2, s4
	s_addc_u32 s3, s3, s5
	v_mov_b32_e32 v3, s3
	v_add_co_u32_e32 v2, vcc, s2, v2
	v_and_b32_e32 v4, 3, v0
	v_addc_co_u32_e32 v3, vcc, 0, v3, vcc
	v_lshlrev_b32_e32 v4, 2, v4
	v_mbcnt_hi_u32_b32 v14, -1, v13
	v_add_co_u32_e32 v24, vcc, v2, v4
	v_and_b32_e32 v13, 64, v14
	v_addc_co_u32_e32 v25, vcc, 0, v3, vcc
	v_add_u32_e32 v18, 64, v13
	v_xor_b32_e32 v13, 4, v14
	v_cmp_lt_i32_e32 vcc, v13, v18
	v_cndmask_b32_e32 v13, v14, v13, vcc
	v_lshlrev_b32_e32 v19, 2, v13
	v_xor_b32_e32 v13, 2, v14
	v_cmp_lt_i32_e32 vcc, v13, v18
	v_cndmask_b32_e32 v13, v14, v13, vcc
	v_lshlrev_b32_e32 v22, 2, v13
	v_xor_b32_e32 v13, 1, v14
	v_cmp_lt_i32_e32 vcc, v13, v18
	v_mul_u32_u24_e32 v10, 40, v12
	v_cndmask_b32_e32 v13, v14, v13, vcc
	v_cmp_eq_u32_e32 vcc, 0, v12
	v_lshlrev_b32_e32 v12, 5, v0
	v_and_b32_e32 v12, 0x80, v12
	v_add_co_u32_e64 v24, s[4:5], v24, v12
	ds_read2_b64 v[2:5], v10 offset1:1
	ds_read2_b64 v[6:9], v10 offset0:2 offset1:3
	ds_read_b64 v[10:11], v10 offset:32
	v_addc_co_u32_e64 v25, s[4:5], 0, v25, s[4:5]
	v_lshlrev_b32_e32 v27, 2, v21
	s_sub_i32 s15, 1, s25
	v_lshlrev_b32_e32 v12, 3, v20
	s_lshl_b64 s[4:5], s[28:29], 2
	v_add3_u32 v26, s40, v12, v21
	v_lshl_or_b32 v12, v20, 5, v27
	s_add_u32 s4, s26, s4
	v_lshlrev_b32_e32 v23, 2, v13
	v_add_u32_e32 v27, 0x150, v12
	v_lshlrev_b64 v[12:13], 2, v[16:17]
	s_addc_u32 s5, s27, s5
	v_mov_b32_e32 v21, s5
	v_add_co_u32_e64 v12, s[4:5], s4, v12
	s_mov_b32 s41, s13
	v_cmp_neq_f32_e64 s[2:3], s10, 0
	v_addc_co_u32_e64 v13, s[4:5], v21, v13, s[4:5]
	s_mov_b64 s[36:37], 0
	v_mov_b32_e32 v21, 0xff7fffff
	v_mov_b32_e32 v28, v16
	s_branch .LBB20_10
.LBB20_9:                               ;   in Loop: Header=BB20_10 Depth=1
	s_or_b64 exec, exec, s[38:39]
	v_add_u32_e32 v28, 2, v28
	v_cmp_le_i32_e64 s[4:5], s33, v28
	s_or_b64 s[36:37], s[4:5], s[36:37]
	v_add_co_u32_e64 v12, s[4:5], 8, v12
	v_add_u32_e32 v26, 16, v26
	v_add_u32_e32 v27, 64, v27
	v_addc_co_u32_e64 v13, s[4:5], 0, v13, s[4:5]
	s_andn2_b64 exec, exec, s[36:37]
	s_cbranch_execz .LBB20_12
.LBB20_10:                              ; =>This Inner Loop Header: Depth=1
	global_load_dword v29, v[12:13], off
	s_waitcnt vmcnt(0) lgkmcnt(0)
	v_mad_i64_i32 v[30:31], s[4:5], v29, s41, 0
	v_lshlrev_b64 v[30:31], 2, v[30:31]
	v_add_co_u32_e64 v30, s[4:5], v24, v30
	v_addc_co_u32_e64 v31, s[4:5], v25, v31, s[4:5]
	global_load_dword v29, v[30:31], off offset:256
	global_load_dword v32, v[30:31], off
	global_load_dword v33, v[30:31], off offset:512
	global_load_dword v34, v[30:31], off offset:768
	;; [unrolled: 1-line block ×8, first 2 shown]
	s_waitcnt vmcnt(9) lgkmcnt(2)
	v_mul_f32_e32 v29, v3, v29
	s_waitcnt vmcnt(8)
	v_fmac_f32_e32 v29, v2, v32
	s_waitcnt vmcnt(7)
	v_fmac_f32_e32 v29, v4, v33
	;; [unrolled: 2-line block ×3, first 2 shown]
	s_waitcnt vmcnt(5) lgkmcnt(1)
	v_fmac_f32_e32 v29, v6, v35
	s_waitcnt vmcnt(4)
	v_fmac_f32_e32 v29, v7, v36
	s_waitcnt vmcnt(3)
	;; [unrolled: 2-line block ×3, first 2 shown]
	v_fmac_f32_e32 v29, v9, v38
	s_waitcnt vmcnt(1) lgkmcnt(0)
	v_fmac_f32_e32 v29, v10, v39
	s_waitcnt vmcnt(0)
	v_fmac_f32_e32 v29, v11, v40
	ds_bpermute_b32 v30, v19, v29
	s_waitcnt lgkmcnt(0)
	v_add_f32_e32 v29, v29, v30
	ds_bpermute_b32 v30, v22, v29
	s_waitcnt lgkmcnt(0)
	v_add_f32_e32 v29, v29, v30
	ds_bpermute_b32 v30, v23, v29
	s_and_saveexec_b64 s[38:39], vcc
	s_cbranch_execz .LBB20_9
; %bb.11:                               ;   in Loop: Header=BB20_10 Depth=1
	v_add_u32_e32 v31, s15, v26
	v_cvt_f32_i32_e32 v31, v31
	s_waitcnt lgkmcnt(0)
	v_add_f32_e32 v29, v29, v30
	v_cmp_gt_i32_e64 s[4:5], s25, v26
	v_max_f32_e32 v30, v21, v21
	v_mul_f32_e32 v31, s10, v31
	v_cndmask_b32_e64 v31, 0, v31, s[2:3]
	v_fmac_f32_e32 v31, s11, v29
	v_cndmask_b32_e64 v29, 0, v31, s[4:5]
	ds_write_b32 v27, v29
	v_max_f32_e32 v29, v30, v31
	v_cndmask_b32_e64 v21, v21, v29, s[4:5]
	s_branch .LBB20_9
.LBB20_12:
	s_or_b64 exec, exec, s[36:37]
.LBB20_13:
	s_or_b64 exec, exec, s[34:35]
	v_xor_b32_e32 v2, 32, v14
	v_cmp_lt_i32_e32 vcc, v2, v18
	v_cndmask_b32_e32 v2, v14, v2, vcc
	v_lshlrev_b32_e32 v3, 2, v2
	ds_bpermute_b32 v2, v3, v21
	v_xor_b32_e32 v5, 16, v14
	v_max_f32_e32 v4, v21, v21
	v_cmp_lt_i32_e32 vcc, v5, v18
	v_xor_b32_e32 v6, 8, v14
	s_waitcnt lgkmcnt(0)
	v_max_f32_e32 v2, v2, v2
	v_max_f32_e32 v2, v4, v2
	v_cndmask_b32_e32 v4, v14, v5, vcc
	v_lshlrev_b32_e32 v7, 2, v4
	ds_bpermute_b32 v4, v7, v2
	v_cmp_lt_i32_e32 vcc, v6, v18
	s_waitcnt lgkmcnt(0)
	v_max_f32_e32 v4, v4, v4
	v_max_f32_e32 v5, v2, v4
	v_cndmask_b32_e32 v2, v14, v6, vcc
	v_lshlrev_b32_e32 v8, 2, v2
	ds_bpermute_b32 v6, v8, v5
	v_and_b32_e32 v4, 63, v0
	v_cmp_eq_u32_e32 vcc, 0, v4
	v_lshlrev_b32_e32 v2, 2, v20
	s_and_saveexec_b64 s[2:3], vcc
	s_cbranch_execz .LBB20_15
; %bb.14:
	s_waitcnt lgkmcnt(0)
	v_max_f32_e32 v6, v6, v6
	v_max_f32_e32 v5, v5, v5
	;; [unrolled: 1-line block ×3, first 2 shown]
	ds_write_b32 v2, v5 offset:320
.LBB20_15:
	s_or_b64 exec, exec, s[2:3]
	v_cmp_gt_u32_e64 s[2:3], 2, v4
	v_mov_b32_e32 v5, 0xff7fffff
	s_waitcnt lgkmcnt(0)
	v_lshlrev_b32_e32 v6, 2, v4
	s_barrier
	s_and_saveexec_b64 s[4:5], s[2:3]
	s_cbranch_execz .LBB20_17
; %bb.16:
	ds_read_b32 v5, v6 offset:320
.LBB20_17:
	s_or_b64 exec, exec, s[4:5]
	v_xor_b32_e32 v9, 1, v14
	v_cmp_lt_i32_e64 s[4:5], v9, v18
	v_cndmask_b32_e64 v9, v14, v9, s[4:5]
	v_lshlrev_b32_e32 v22, 2, v9
	s_waitcnt lgkmcnt(0)
	ds_bpermute_b32 v9, v22, v5
	v_max_f32_e32 v5, v5, v5
	s_sub_i32 s4, s33, s7
	s_lshl_b32 s4, s4, 3
	s_add_i32 s4, s4, s40
	s_waitcnt lgkmcnt(0)
	v_max_f32_e32 v9, v9, v9
	v_max_f32_e32 v5, v5, v9
	v_lshlrev_b32_e32 v9, 2, v14
	v_and_b32_e32 v9, 0xffffff00, v9
	ds_bpermute_b32 v5, v9, v5
	s_min_i32 s15, s4, s25
	s_sub_i32 s7, s15, s40
	v_cmp_gt_i32_e64 s[4:5], s7, v0
	v_mov_b32_e32 v10, 0
	s_and_saveexec_b64 s[34:35], s[4:5]
	s_cbranch_execz .LBB20_21
; %bb.18:
	v_mov_b32_e32 v10, 0x150
	v_lshl_add_u32 v11, v0, 2, v10
	s_mov_b64 s[36:37], 0
	v_mov_b32_e32 v10, 0
	v_mov_b32_e32 v12, v0
.LBB20_19:                              ; =>This Inner Loop Header: Depth=1
	ds_read_b32 v13, v11
	v_add_u32_e32 v12, 0x80, v12
	v_cmp_le_i32_e64 s[10:11], s7, v12
	s_or_b64 s[36:37], s[10:11], s[36:37]
	s_waitcnt lgkmcnt(0)
	v_sub_f32_e32 v13, v13, v5
	v_mul_f32_e32 v13, 0x3fb8aa3b, v13
	v_exp_f32_e32 v13, v13
	ds_write_b32 v11, v13
	v_add_f32_e32 v10, v10, v13
	v_add_u32_e32 v11, 0x200, v11
	s_andn2_b64 exec, exec, s[36:37]
	s_cbranch_execnz .LBB20_19
; %bb.20:
	s_or_b64 exec, exec, s[36:37]
.LBB20_21:
	s_or_b64 exec, exec, s[34:35]
	ds_bpermute_b32 v3, v3, v10
	s_waitcnt lgkmcnt(0)
	v_add_f32_e32 v3, v10, v3
	ds_bpermute_b32 v7, v7, v3
	s_waitcnt lgkmcnt(0)
	v_add_f32_e32 v3, v3, v7
	ds_bpermute_b32 v7, v8, v3
	v_xor_b32_e32 v8, 4, v14
	v_cmp_lt_i32_e64 s[10:11], v8, v18
	v_cndmask_b32_e64 v8, v14, v8, s[10:11]
	v_lshlrev_b32_e32 v8, 2, v8
	s_waitcnt lgkmcnt(0)
	v_add_f32_e32 v3, v3, v7
	ds_bpermute_b32 v7, v8, v3
	v_xor_b32_e32 v8, 2, v14
	v_cmp_lt_i32_e64 s[10:11], v8, v18
	v_cndmask_b32_e64 v8, v14, v8, s[10:11]
	s_waitcnt lgkmcnt(0)
	v_add_f32_e32 v3, v3, v7
	v_lshlrev_b32_e32 v7, 2, v8
	ds_bpermute_b32 v7, v7, v3
	s_waitcnt lgkmcnt(0)
	v_add_f32_e32 v3, v3, v7
	ds_bpermute_b32 v7, v22, v3
	s_waitcnt lgkmcnt(0)
	v_add_f32_e32 v3, v3, v7
	s_and_saveexec_b64 s[10:11], vcc
	s_cbranch_execz .LBB20_23
; %bb.22:
	ds_write_b32 v2, v3 offset:328
.LBB20_23:
	s_or_b64 exec, exec, s[10:11]
	s_waitcnt lgkmcnt(0)
	s_barrier
	s_and_saveexec_b64 s[10:11], s[2:3]
	s_cbranch_execz .LBB20_25
; %bb.24:
	ds_read_b32 v3, v6 offset:328
.LBB20_25:
	s_or_b64 exec, exec, s[10:11]
	s_waitcnt lgkmcnt(0)
	ds_bpermute_b32 v2, v22, v3
	s_waitcnt lgkmcnt(0)
	v_add_f32_e32 v2, v3, v2
	ds_bpermute_b32 v6, v9, v2
	s_and_saveexec_b64 s[2:3], s[4:5]
	s_cbranch_execz .LBB20_38
; %bb.26:
	s_waitcnt lgkmcnt(0)
	v_add_f32_e32 v2, 0x358637bd, v6
	v_div_scale_f32 v3, s[4:5], v2, v2, 1.0
	v_rcp_f32_e32 v7, v3
	v_div_scale_f32 v8, vcc, 1.0, v2, 1.0
	s_movk_i32 s4, 0x7f
	v_fma_f32 v9, -v3, v7, 1.0
	v_fmac_f32_e32 v7, v9, v7
	v_mul_f32_e32 v9, v8, v7
	v_fma_f32 v10, -v3, v9, v8
	v_fmac_f32_e32 v9, v10, v7
	v_fma_f32 v3, -v3, v9, v8
	v_div_fmas_f32 v3, v3, v7, v9
	v_div_fixup_f32 v2, v3, v2, 1.0
	v_xad_u32 v3, v0, -1, s15
	v_subrev_u32_e32 v7, s40, v3
	v_cmp_lt_u32_e32 vcc, s4, v7
	s_mov_b64 s[10:11], -1
	v_mov_b32_e32 v3, v0
	s_and_saveexec_b64 s[4:5], vcc
	s_cbranch_execz .LBB20_35
; %bb.27:
	v_lshrrev_b32_e32 v7, 7, v7
	v_add_u32_e32 v9, -1, v7
	v_lshrrev_b32_e32 v8, 1, v9
	v_mov_b32_e32 v3, v2
	v_add_u32_e32 v8, 1, v8
	v_cmp_lt_u32_e32 vcc, 13, v9
	v_mov_b32_e32 v11, 0
	s_and_saveexec_b64 s[10:11], vcc
	s_cbranch_execz .LBB20_31
; %bb.28:
	v_mov_b32_e32 v10, 0x150
	v_and_b32_e32 v9, -8, v8
	v_lshl_add_u32 v10, v0, 2, v10
	s_mov_b32 s15, 0
	s_mov_b64 s[34:35], 0
.LBB20_29:                              ; =>This Inner Loop Header: Depth=1
	ds_read2st64_b32 v[12:13], v10 offset1:2
	ds_read2st64_b32 v[18:19], v10 offset0:4 offset1:6
	ds_read2st64_b32 v[24:25], v10 offset0:8 offset1:10
	;; [unrolled: 1-line block ×3, first 2 shown]
	v_add_u32_e32 v9, -8, v9
	s_waitcnt lgkmcnt(3)
	v_pk_mul_f32 v[12:13], v[2:3], v[12:13]
	s_waitcnt lgkmcnt(2)
	v_pk_mul_f32 v[18:19], v[2:3], v[18:19]
	ds_write2st64_b32 v10, v12, v13 offset1:2
	ds_write2st64_b32 v10, v18, v19 offset0:4 offset1:6
	ds_read2st64_b32 v[18:19], v10 offset0:16 offset1:18
	s_waitcnt lgkmcnt(4)
	v_pk_mul_f32 v[12:13], v[2:3], v[24:25]
	ds_write2st64_b32 v10, v12, v13 offset0:8 offset1:10
	s_waitcnt lgkmcnt(4)
	v_pk_mul_f32 v[12:13], v[2:3], v[26:27]
	ds_write2st64_b32 v10, v12, v13 offset0:12 offset1:14
	ds_read2st64_b32 v[12:13], v10 offset0:20 offset1:22
	s_waitcnt lgkmcnt(3)
	v_pk_mul_f32 v[18:19], v[2:3], v[18:19]
	ds_read2st64_b32 v[24:25], v10 offset0:24 offset1:26
	ds_write2st64_b32 v10, v18, v19 offset0:16 offset1:18
	ds_read2st64_b32 v[18:19], v10 offset0:28 offset1:30
	s_waitcnt lgkmcnt(3)
	v_pk_mul_f32 v[12:13], v[2:3], v[12:13]
	ds_write2st64_b32 v10, v12, v13 offset0:20 offset1:22
	s_waitcnt lgkmcnt(3)
	v_pk_mul_f32 v[12:13], v[2:3], v[24:25]
	ds_write2st64_b32 v10, v12, v13 offset0:24 offset1:26
	s_waitcnt lgkmcnt(2)
	v_pk_mul_f32 v[12:13], v[2:3], v[18:19]
	s_add_i32 s15, s15, 16
	v_cmp_eq_u32_e32 vcc, 0, v9
	ds_write2st64_b32 v10, v12, v13 offset0:28 offset1:30
	v_add_u32_e32 v10, 0x2000, v10
	s_or_b64 s[34:35], vcc, s[34:35]
	v_mov_b32_e32 v11, s15
	s_andn2_b64 exec, exec, s[34:35]
	s_cbranch_execnz .LBB20_29
; %bb.30:
	s_or_b64 exec, exec, s[34:35]
.LBB20_31:
	s_or_b64 exec, exec, s[10:11]
	v_and_b32_e32 v8, 7, v8
	v_cmp_ne_u32_e32 vcc, 0, v8
	s_and_saveexec_b64 s[10:11], vcc
	s_cbranch_execz .LBB20_34
; %bb.32:
	v_lshlrev_b32_e32 v9, 9, v11
	s_movk_i32 s15, 0x150
	v_add3_u32 v9, v9, v15, s15
	s_mov_b64 s[34:35], 0
.LBB20_33:                              ; =>This Inner Loop Header: Depth=1
	ds_read2st64_b32 v[10:11], v9 offset1:2
	v_add_u32_e32 v8, -1, v8
	v_cmp_eq_u32_e32 vcc, 0, v8
	s_or_b64 s[34:35], vcc, s[34:35]
	s_waitcnt lgkmcnt(0)
	v_pk_mul_f32 v[10:11], v[2:3], v[10:11]
	ds_write2st64_b32 v9, v10, v11 offset1:2
	v_add_u32_e32 v9, 0x400, v9
	s_andn2_b64 exec, exec, s[34:35]
	s_cbranch_execnz .LBB20_33
.LBB20_34:
	s_or_b64 exec, exec, s[10:11]
	v_add_u32_e32 v7, 1, v7
	v_and_b32_e32 v8, 0x3fffffe, v7
	v_cmp_ne_u32_e32 vcc, v7, v8
	v_lshl_add_u32 v3, v8, 7, v0
	s_orn2_b64 s[10:11], vcc, exec
.LBB20_35:
	s_or_b64 exec, exec, s[4:5]
	s_and_b64 exec, exec, s[10:11]
	s_cbranch_execz .LBB20_38
; %bb.36:
	v_mov_b32_e32 v7, 0x150
	v_lshl_add_u32 v7, v3, 2, v7
	s_mov_b64 s[4:5], 0
.LBB20_37:                              ; =>This Inner Loop Header: Depth=1
	ds_read_b32 v8, v7
	v_add_u32_e32 v3, 0x80, v3
	v_cmp_le_i32_e32 vcc, s7, v3
	s_or_b64 s[4:5], vcc, s[4:5]
	s_waitcnt lgkmcnt(0)
	v_mul_f32_e32 v8, v2, v8
	ds_write_b32 v7, v8
	v_add_u32_e32 v7, 0x200, v7
	s_andn2_b64 exec, exec, s[4:5]
	s_cbranch_execnz .LBB20_37
.LBB20_38:
	s_or_b64 exec, exec, s[2:3]
	s_mul_i32 s2, s21, s24
	v_cmp_eq_u32_e32 vcc, 0, v0
	s_mul_i32 s4, s2, s9
	s_waitcnt lgkmcnt(0)
	s_barrier
	s_and_saveexec_b64 s[2:3], vcc
	s_cbranch_execz .LBB20_40
; %bb.39:
	s_ashr_i32 s5, s4, 31
	s_lshl_b64 s[10:11], s[4:5], 2
	s_add_u32 s5, s18, s10
	s_mul_i32 s6, s21, s6
	s_addc_u32 s9, s19, s11
	s_ashr_i32 s7, s6, 31
	s_lshl_b64 s[6:7], s[6:7], 2
	s_add_u32 s5, s5, s6
	s_addc_u32 s15, s9, s7
	s_ashr_i32 s9, s8, 31
	s_lshl_b64 s[18:19], s[8:9], 2
	s_add_u32 s34, s5, s18
	s_addc_u32 s35, s15, s19
	s_add_u32 s5, s16, s10
	s_addc_u32 s9, s17, s11
	;; [unrolled: 2-line block ×3, first 2 shown]
	s_add_u32 s6, s5, s18
	v_mov_b32_e32 v2, 0
	s_addc_u32 s7, s7, s19
	global_store_dword v2, v5, s[34:35]
	global_store_dword v2, v6, s[6:7]
.LBB20_40:
	s_or_b64 exec, exec, s[2:3]
	v_mov_b32_e32 v14, 0
	v_lshrrev_b32_e32 v24, 1, v4
	v_and_b32_e32 v23, 1, v0
	v_mov_b32_e32 v19, v14
	v_mov_b32_e32 v18, v14
	s_and_saveexec_b64 s[6:7], s[0:1]
	s_cbranch_execz .LBB20_52
; %bb.41:
	s_ashr_i32 s15, s14, 31
	s_lshl_b64 s[0:1], s[14:15], 2
	s_add_u32 s9, s30, s0
	v_or_b32_e32 v4, 64, v24
	s_movk_i32 s0, 0x50
	v_and_b32_e32 v3, 4, v15
	s_addc_u32 s2, s31, s1
	s_add_i32 s14, s12, -1
	v_cmp_gt_u32_e32 vcc, s0, v4
	v_lshl_add_u32 v5, v20, 3, s40
	s_lshl_b64 s[0:1], s[28:29], 2
	v_lshl_or_b32 v2, v24, 3, v3
	v_lshl_or_b32 v4, v4, 3, v3
	v_add3_u32 v15, v5, v3, 3
	v_lshlrev_b32_e32 v3, 4, v23
	s_add_u32 s0, s26, s0
	v_lshl_or_b32 v3, v20, 5, v3
	v_lshlrev_b64 v[6:7], 2, v[16:17]
	s_addc_u32 s1, s27, s1
	v_mov_b32_e32 v18, 0
	v_add_u32_e32 v25, 0x150, v3
	v_mov_b32_e32 v3, s1
	v_add_co_u32_e64 v20, s[0:1], s0, v6
	s_mov_b32 s5, s13
	v_addc_co_u32_e64 v21, s[0:1], v3, v7, s[0:1]
	s_mov_b64 s[10:11], 0
	v_mov_b32_e32 v17, s2
	v_lshlrev_b32_e32 v26, 2, v2
	v_lshlrev_b32_e32 v27, 2, v4
	v_mov_b32_e32 v19, v18
	v_mov_b32_e32 v14, v18
	s_branch .LBB20_44
.LBB20_42:                              ;   in Loop: Header=BB20_44 Depth=1
	s_or_b64 exec, exec, s[2:3]
	s_waitcnt vmcnt(0)
	v_mul_f32_e32 v3, v3, v7
	v_fmac_f32_e32 v3, v2, v6
	v_fmac_f32_e32 v3, v4, v8
	;; [unrolled: 1-line block ×3, first 2 shown]
	v_add_f32_e32 v14, v14, v3
.LBB20_43:                              ;   in Loop: Header=BB20_44 Depth=1
	s_or_b64 exec, exec, s[12:13]
	v_add_u32_e32 v16, 2, v16
	v_cmp_le_i32_e64 s[0:1], s33, v16
	s_or_b64 s[10:11], s[0:1], s[10:11]
	v_add_co_u32_e64 v20, s[0:1], 8, v20
	v_add_u32_e32 v15, 16, v15
	v_add_u32_e32 v25, 64, v25
	v_addc_co_u32_e64 v21, s[0:1], 0, v21, s[0:1]
	s_andn2_b64 exec, exec, s[10:11]
	s_cbranch_execz .LBB20_51
.LBB20_44:                              ; =>This Inner Loop Header: Depth=1
	global_load_dword v2, v[20:21], off
	v_add_u32_e32 v28, -3, v15
	s_waitcnt vmcnt(0)
	v_mad_i64_i32 v[2:3], s[0:1], v2, s5, 0
	v_lshlrev_b64 v[2:3], 2, v[2:3]
	v_add_co_u32_e64 v29, s[0:1], s9, v2
	v_addc_co_u32_e64 v30, s[0:1], v17, v3, s[0:1]
	v_add_co_u32_e64 v10, s[0:1], v29, v26
	v_addc_co_u32_e64 v11, s[0:1], 0, v30, s[0:1]
	global_load_dwordx4 v[6:9], v[10:11], off
	ds_read_b128 v[2:5], v25
	v_cmp_eq_u32_e64 s[0:1], s14, v16
	s_and_saveexec_b64 s[12:13], s[0:1]
	s_cbranch_execz .LBB20_46
; %bb.45:                               ;   in Loop: Header=BB20_44 Depth=1
	v_cmp_gt_i32_e64 s[2:3], s25, v28
	v_add_u32_e32 v12, -2, v15
	s_waitcnt vmcnt(0)
	v_cndmask_b32_e64 v6, 0, v6, s[2:3]
	v_cmp_gt_i32_e64 s[2:3], s25, v12
	v_add_u32_e32 v12, -1, v15
	v_cndmask_b32_e64 v7, 0, v7, s[2:3]
	v_cmp_gt_i32_e64 s[2:3], s25, v12
	v_cndmask_b32_e64 v8, 0, v8, s[2:3]
	v_cmp_gt_i32_e64 s[2:3], s25, v15
	v_cndmask_b32_e64 v9, 0, v9, s[2:3]
.LBB20_46:                              ;   in Loop: Header=BB20_44 Depth=1
	s_or_b64 exec, exec, s[12:13]
	global_load_dwordx4 v[10:13], v[10:11], off offset:1024
	s_and_saveexec_b64 s[12:13], s[0:1]
	s_cbranch_execz .LBB20_48
; %bb.47:                               ;   in Loop: Header=BB20_44 Depth=1
	v_cmp_gt_i32_e64 s[2:3], s25, v28
	v_add_u32_e32 v31, -2, v15
	s_waitcnt vmcnt(0)
	v_cndmask_b32_e64 v10, 0, v10, s[2:3]
	v_cmp_gt_i32_e64 s[2:3], s25, v31
	v_add_u32_e32 v31, -1, v15
	v_cndmask_b32_e64 v11, 0, v11, s[2:3]
	v_cmp_gt_i32_e64 s[2:3], s25, v31
	v_cndmask_b32_e64 v12, 0, v12, s[2:3]
	v_cmp_gt_i32_e64 s[2:3], s25, v15
	v_cndmask_b32_e64 v13, 0, v13, s[2:3]
.LBB20_48:                              ;   in Loop: Header=BB20_44 Depth=1
	s_or_b64 exec, exec, s[12:13]
	s_waitcnt vmcnt(1) lgkmcnt(0)
	v_mul_f32_e32 v7, v3, v7
	v_fmac_f32_e32 v7, v2, v6
	s_waitcnt vmcnt(0)
	v_mul_f32_e32 v6, v3, v11
	v_fmac_f32_e32 v6, v2, v10
	v_fmac_f32_e32 v7, v4, v8
	;; [unrolled: 1-line block ×5, first 2 shown]
	v_add_f32_e32 v18, v18, v7
	v_add_f32_e32 v19, v19, v6
	s_and_saveexec_b64 s[12:13], vcc
	s_cbranch_execz .LBB20_43
; %bb.49:                               ;   in Loop: Header=BB20_44 Depth=1
	v_add_co_u32_e64 v6, s[2:3], v29, v27
	v_addc_co_u32_e64 v7, s[2:3], 0, v30, s[2:3]
	global_load_dwordx4 v[6:9], v[6:7], off
	s_and_saveexec_b64 s[2:3], s[0:1]
	s_cbranch_execz .LBB20_42
; %bb.50:                               ;   in Loop: Header=BB20_44 Depth=1
	v_cmp_gt_i32_e64 s[0:1], s25, v28
	v_add_u32_e32 v10, -2, v15
	s_waitcnt vmcnt(0)
	v_cndmask_b32_e64 v6, 0, v6, s[0:1]
	v_cmp_gt_i32_e64 s[0:1], s25, v10
	v_add_u32_e32 v10, -1, v15
	v_cndmask_b32_e64 v7, 0, v7, s[0:1]
	v_cmp_gt_i32_e64 s[0:1], s25, v10
	v_cndmask_b32_e64 v8, 0, v8, s[0:1]
	v_cmp_gt_i32_e64 s[0:1], s25, v15
	v_cndmask_b32_e64 v9, 0, v9, s[0:1]
	s_branch .LBB20_42
.LBB20_51:
	s_or_b64 exec, exec, s[10:11]
.LBB20_52:
	s_or_b64 exec, exec, s[6:7]
	ds_bpermute_b32 v2, v22, v18
	ds_bpermute_b32 v3, v22, v19
	;; [unrolled: 1-line block ×3, first 2 shown]
	v_and_b32_e32 v5, 0x3c0, v0
	v_cmp_eq_u32_e32 vcc, 64, v5
	s_waitcnt lgkmcnt(0)
	v_pk_add_f32 v[2:3], v[18:19], v[2:3]
	v_add_f32_e32 v4, v14, v4
	s_barrier
	s_and_saveexec_b64 s[2:3], vcc
	s_cbranch_execz .LBB20_57
; %bb.53:
	v_cmp_eq_u32_e32 vcc, 0, v23
	s_and_saveexec_b64 s[0:1], vcc
	s_cbranch_execz .LBB20_55
; %bb.54:
	v_mov_b32_e32 v5, 0x150
	v_lshl_add_u32 v5, v24, 2, v5
	ds_write2_b32 v5, v2, v3 offset1:32
.LBB20_55:
	s_or_b64 exec, exec, s[0:1]
	v_or_b32_e32 v5, 64, v24
	s_movk_i32 s0, 0x50
	v_cmp_gt_u32_e64 s[0:1], s0, v5
	s_and_b64 s[0:1], vcc, s[0:1]
	s_and_b64 exec, exec, s[0:1]
	s_cbranch_execz .LBB20_57
; %bb.56:
	v_mov_b32_e32 v5, 0x150
	v_lshl_add_u32 v5, v24, 2, v5
	ds_write_b32 v5, v4 offset:256
.LBB20_57:
	s_or_b64 exec, exec, s[2:3]
	v_cmp_gt_u32_e32 vcc, 64, v0
	s_waitcnt lgkmcnt(0)
	s_barrier
	s_and_saveexec_b64 s[6:7], vcc
	s_cbranch_execz .LBB20_65
; %bb.58:
	v_cmp_eq_u32_e64 s[0:1], 0, v23
	s_and_saveexec_b64 s[2:3], s[0:1]
	s_cbranch_execz .LBB20_60
; %bb.59:
	v_mov_b32_e32 v0, 0x150
	v_lshl_add_u32 v0, v1, 2, v0
	ds_read_b32 v0, v0
	s_waitcnt lgkmcnt(0)
	v_add_f32_e32 v2, v2, v0
.LBB20_60:
	s_or_b64 exec, exec, s[2:3]
	s_and_saveexec_b64 s[2:3], s[0:1]
	s_cbranch_execz .LBB20_62
; %bb.61:
	v_mov_b32_e32 v0, 0x150
	v_lshl_add_u32 v0, v1, 2, v0
	ds_read_b32 v0, v0 offset:128
	s_waitcnt lgkmcnt(0)
	v_add_f32_e32 v3, v3, v0
.LBB20_62:
	s_or_b64 exec, exec, s[2:3]
	v_or_b32_e32 v0, 64, v1
	s_movk_i32 s2, 0x50
	v_cmp_gt_u32_e64 s[2:3], s2, v0
	s_and_b64 s[2:3], s[0:1], s[2:3]
	s_and_saveexec_b64 s[0:1], s[2:3]
	s_cbranch_execz .LBB20_64
; %bb.63:
	v_mov_b32_e32 v0, 0x150
	v_lshl_add_u32 v0, v1, 2, v0
	ds_read_b32 v0, v0 offset:256
	s_waitcnt lgkmcnt(0)
	v_add_f32_e32 v4, v4, v0
.LBB20_64:
	s_or_b64 exec, exec, s[0:1]
.LBB20_65:
	s_or_b64 exec, exec, s[6:7]
	s_barrier
	s_and_saveexec_b64 s[0:1], vcc
	s_cbranch_execz .LBB20_70
; %bb.66:
	s_mul_i32 s0, s4, 0x50
	s_ashr_i32 s1, s0, 31
	s_lshl_b64 s[0:1], s[0:1], 2
	s_add_u32 s2, s22, s0
	s_mul_i32 s0, s21, s20
	s_addc_u32 s3, s23, s1
	s_ashr_i32 s1, s0, 31
	s_lshl_b64 s[0:1], s[0:1], 2
	s_add_u32 s2, s2, s0
	s_mul_i32 s0, s8, 0x50
	s_addc_u32 s3, s3, s1
	s_ashr_i32 s1, s0, 31
	s_lshl_b64 s[0:1], s[0:1], 2
	s_add_u32 s2, s2, s0
	s_movk_i32 s5, 0x50
	s_addc_u32 s3, s3, s1
	v_cmp_eq_u32_e32 vcc, 0, v23
	v_lshlrev_b32_e32 v0, 2, v1
	s_and_saveexec_b64 s[0:1], vcc
	s_cbranch_execz .LBB20_68
; %bb.67:
	global_store_dword v0, v2, s[2:3]
	global_store_dword v0, v3, s[2:3] offset:128
.LBB20_68:
	s_or_b64 exec, exec, s[0:1]
	v_or_b32_e32 v1, 64, v1
	v_cmp_gt_u32_e64 s[0:1], s5, v1
	s_and_b64 s[0:1], vcc, s[0:1]
	s_and_b64 exec, exec, s[0:1]
	s_cbranch_execz .LBB20_70
; %bb.69:
	global_store_dword v0, v4, s[2:3] offset:256
.LBB20_70:
	s_endpgm
	.section	.rodata,"a",@progbits
	.p2align	6, 0x0
	.amdhsa_kernel _ZN4vllm25paged_attention_v2_kernelIffLi80ELi8ELi128ELNS_18Fp8KVCacheDataTypeE0ELb0ELi512EEEvPfS2_PT_PKS3_PKT0_S9_ifPKiSB_iPKfiiiSD_SD_iiiii
		.amdhsa_group_segment_fixed_size 336
		.amdhsa_private_segment_fixed_size 0
		.amdhsa_kernarg_size 400
		.amdhsa_user_sgpr_count 6
		.amdhsa_user_sgpr_private_segment_buffer 1
		.amdhsa_user_sgpr_dispatch_ptr 0
		.amdhsa_user_sgpr_queue_ptr 0
		.amdhsa_user_sgpr_kernarg_segment_ptr 1
		.amdhsa_user_sgpr_dispatch_id 0
		.amdhsa_user_sgpr_flat_scratch_init 0
		.amdhsa_user_sgpr_kernarg_preload_length 0
		.amdhsa_user_sgpr_kernarg_preload_offset 0
		.amdhsa_user_sgpr_private_segment_size 0
		.amdhsa_uses_dynamic_stack 0
		.amdhsa_system_sgpr_private_segment_wavefront_offset 0
		.amdhsa_system_sgpr_workgroup_id_x 1
		.amdhsa_system_sgpr_workgroup_id_y 1
		.amdhsa_system_sgpr_workgroup_id_z 1
		.amdhsa_system_sgpr_workgroup_info 0
		.amdhsa_system_vgpr_workitem_id 0
		.amdhsa_next_free_vgpr 41
		.amdhsa_next_free_sgpr 42
		.amdhsa_accum_offset 44
		.amdhsa_reserve_vcc 1
		.amdhsa_reserve_flat_scratch 0
		.amdhsa_float_round_mode_32 0
		.amdhsa_float_round_mode_16_64 0
		.amdhsa_float_denorm_mode_32 3
		.amdhsa_float_denorm_mode_16_64 3
		.amdhsa_dx10_clamp 1
		.amdhsa_ieee_mode 1
		.amdhsa_fp16_overflow 0
		.amdhsa_tg_split 0
		.amdhsa_exception_fp_ieee_invalid_op 0
		.amdhsa_exception_fp_denorm_src 0
		.amdhsa_exception_fp_ieee_div_zero 0
		.amdhsa_exception_fp_ieee_overflow 0
		.amdhsa_exception_fp_ieee_underflow 0
		.amdhsa_exception_fp_ieee_inexact 0
		.amdhsa_exception_int_div_zero 0
	.end_amdhsa_kernel
	.section	.text._ZN4vllm25paged_attention_v2_kernelIffLi80ELi8ELi128ELNS_18Fp8KVCacheDataTypeE0ELb0ELi512EEEvPfS2_PT_PKS3_PKT0_S9_ifPKiSB_iPKfiiiSD_SD_iiiii,"axG",@progbits,_ZN4vllm25paged_attention_v2_kernelIffLi80ELi8ELi128ELNS_18Fp8KVCacheDataTypeE0ELb0ELi512EEEvPfS2_PT_PKS3_PKT0_S9_ifPKiSB_iPKfiiiSD_SD_iiiii,comdat
.Lfunc_end20:
	.size	_ZN4vllm25paged_attention_v2_kernelIffLi80ELi8ELi128ELNS_18Fp8KVCacheDataTypeE0ELb0ELi512EEEvPfS2_PT_PKS3_PKT0_S9_ifPKiSB_iPKfiiiSD_SD_iiiii, .Lfunc_end20-_ZN4vllm25paged_attention_v2_kernelIffLi80ELi8ELi128ELNS_18Fp8KVCacheDataTypeE0ELb0ELi512EEEvPfS2_PT_PKS3_PKT0_S9_ifPKiSB_iPKfiiiSD_SD_iiiii
                                        ; -- End function
	.section	.AMDGPU.csdata,"",@progbits
; Kernel info:
; codeLenInByte = 4016
; NumSgprs: 46
; NumVgprs: 41
; NumAgprs: 0
; TotalNumVgprs: 41
; ScratchSize: 0
; MemoryBound: 0
; FloatMode: 240
; IeeeMode: 1
; LDSByteSize: 336 bytes/workgroup (compile time only)
; SGPRBlocks: 5
; VGPRBlocks: 5
; NumSGPRsForWavesPerEU: 46
; NumVGPRsForWavesPerEU: 41
; AccumOffset: 44
; Occupancy: 8
; WaveLimiterHint : 1
; COMPUTE_PGM_RSRC2:SCRATCH_EN: 0
; COMPUTE_PGM_RSRC2:USER_SGPR: 6
; COMPUTE_PGM_RSRC2:TRAP_HANDLER: 0
; COMPUTE_PGM_RSRC2:TGID_X_EN: 1
; COMPUTE_PGM_RSRC2:TGID_Y_EN: 1
; COMPUTE_PGM_RSRC2:TGID_Z_EN: 1
; COMPUTE_PGM_RSRC2:TIDIG_COMP_CNT: 0
; COMPUTE_PGM_RSRC3_GFX90A:ACCUM_OFFSET: 10
; COMPUTE_PGM_RSRC3_GFX90A:TG_SPLIT: 0
	.section	.text._ZN4vllm25paged_attention_v2_kernelIffLi96ELi8ELi128ELNS_18Fp8KVCacheDataTypeE0ELb0ELi512EEEvPfS2_PT_PKS3_PKT0_S9_ifPKiSB_iPKfiiiSD_SD_iiiii,"axG",@progbits,_ZN4vllm25paged_attention_v2_kernelIffLi96ELi8ELi128ELNS_18Fp8KVCacheDataTypeE0ELb0ELi512EEEvPfS2_PT_PKS3_PKT0_S9_ifPKiSB_iPKfiiiSD_SD_iiiii,comdat
	.protected	_ZN4vllm25paged_attention_v2_kernelIffLi96ELi8ELi128ELNS_18Fp8KVCacheDataTypeE0ELb0ELi512EEEvPfS2_PT_PKS3_PKT0_S9_ifPKiSB_iPKfiiiSD_SD_iiiii ; -- Begin function _ZN4vllm25paged_attention_v2_kernelIffLi96ELi8ELi128ELNS_18Fp8KVCacheDataTypeE0ELb0ELi512EEEvPfS2_PT_PKS3_PKT0_S9_ifPKiSB_iPKfiiiSD_SD_iiiii
	.globl	_ZN4vllm25paged_attention_v2_kernelIffLi96ELi8ELi128ELNS_18Fp8KVCacheDataTypeE0ELb0ELi512EEEvPfS2_PT_PKS3_PKT0_S9_ifPKiSB_iPKfiiiSD_SD_iiiii
	.p2align	8
	.type	_ZN4vllm25paged_attention_v2_kernelIffLi96ELi8ELi128ELNS_18Fp8KVCacheDataTypeE0ELb0ELi512EEEvPfS2_PT_PKS3_PKT0_S9_ifPKiSB_iPKfiiiSD_SD_iiiii,@function
_ZN4vllm25paged_attention_v2_kernelIffLi96ELi8ELi128ELNS_18Fp8KVCacheDataTypeE0ELb0ELi512EEEvPfS2_PT_PKS3_PKT0_S9_ifPKiSB_iPKfiiiSD_SD_iiiii: ; @_ZN4vllm25paged_attention_v2_kernelIffLi96ELi8ELi128ELNS_18Fp8KVCacheDataTypeE0ELb0ELi512EEEvPfS2_PT_PKS3_PKT0_S9_ifPKiSB_iPKfiiiSD_SD_iiiii
; %bb.0:
	s_load_dwordx2 s[0:1], s[4:5], 0x40
	s_mov_b32 s24, s7
	s_ashr_i32 s25, s7, 31
	s_lshl_b64 s[2:3], s[24:25], 2
	s_waitcnt lgkmcnt(0)
	s_add_u32 s0, s0, s2
	s_addc_u32 s1, s1, s3
	s_load_dword s25, s[0:1], 0x0
	s_lshl_b32 s33, s8, 9
	s_waitcnt lgkmcnt(0)
	s_cmp_ge_i32 s33, s25
	s_cbranch_scc1 .LBB21_60
; %bb.1:
	s_load_dword s9, s[4:5], 0x90
	s_load_dwordx2 s[10:11], s[4:5], 0x30
	s_mov_b32 s40, 0
	s_waitcnt lgkmcnt(0)
	s_abs_i32 s2, s9
	s_abs_i32 s0, s10
	v_cvt_f32_u32_e32 v1, s0
	s_sub_i32 s3, 0, s0
	s_xor_b32 s1, s9, s10
	s_ashr_i32 s1, s1, 31
	v_rcp_iflag_f32_e32 v1, v1
	v_mul_f32_e32 v1, 0x4f7ffffe, v1
	v_cvt_u32_f32_e32 v1, v1
	v_readfirstlane_b32 s7, v1
	s_mul_i32 s3, s3, s7
	s_mul_hi_u32 s3, s7, s3
	s_add_i32 s7, s7, s3
	s_mul_hi_u32 s3, s2, s7
	s_mul_i32 s7, s3, s0
	s_sub_i32 s2, s2, s7
	s_add_i32 s10, s3, 1
	s_sub_i32 s7, s2, s0
	s_cmp_ge_u32 s2, s0
	s_cselect_b32 s3, s10, s3
	s_cselect_b32 s2, s7, s2
	s_add_i32 s7, s3, 1
	s_cmp_ge_u32 s2, s0
	s_cselect_b32 s0, s7, s3
	s_xor_b32 s0, s0, s1
	s_sub_i32 s10, s0, s1
	s_abs_i32 s2, s10
	v_cvt_f32_u32_e32 v1, s2
	s_load_dwordx2 s[0:1], s[4:5], 0x50
	s_sub_i32 s7, 0, s2
	s_abs_i32 s3, s6
	v_rcp_iflag_f32_e32 v1, v1
	v_mul_f32_e32 v1, 0x4f7ffffe, v1
	v_cvt_u32_f32_e32 v1, v1
	v_readfirstlane_b32 s12, v1
	s_mul_i32 s7, s7, s12
	s_mul_hi_u32 s7, s12, s7
	s_add_i32 s12, s12, s7
	s_waitcnt lgkmcnt(0)
	s_cmp_eq_u64 s[0:1], 0
	s_mul_hi_u32 s16, s3, s12
	s_cbranch_scc1 .LBB21_3
; %bb.2:
	s_ashr_i32 s7, s6, 31
	s_lshl_b64 s[12:13], s[6:7], 2
	s_add_u32 s0, s0, s12
	s_addc_u32 s1, s1, s13
	s_load_dword s40, s[0:1], 0x0
.LBB21_3:
	s_load_dwordx4 s[12:15], s[4:5], 0x58
	s_movk_i32 s0, 0x60
	s_ashr_i32 s17, s6, 31
	s_ashr_i32 s18, s10, 31
	v_and_b32_e32 v14, 7, v0
	s_mul_i32 s20, s6, 0x60
	v_cmp_gt_u32_e32 vcc, s0, v0
	v_lshlrev_b32_e32 v16, 2, v0
	v_lshrrev_b32_e32 v1, 1, v0
	s_and_saveexec_b64 s[0:1], vcc
	s_cbranch_execz .LBB21_5
; %bb.4:
	s_load_dwordx2 s[22:23], s[4:5], 0x18
	s_waitcnt lgkmcnt(0)
	s_mul_i32 s26, s24, s12
	s_ashr_i32 s27, s26, 31
	s_lshl_b64 s[26:27], s[26:27], 2
	v_and_b32_e32 v3, 0x1fc, v1
	s_add_u32 s7, s22, s26
	s_addc_u32 s10, s23, s27
	s_ashr_i32 s21, s20, 31
	s_lshl_b64 s[22:23], s[20:21], 2
	s_add_u32 s22, s7, s22
	s_addc_u32 s23, s10, s23
	global_load_dword v2, v16, s[22:23]
	v_mad_u32_u24 v3, v14, 48, v3
	s_waitcnt vmcnt(0)
	ds_write_b32 v3, v2
.LBB21_5:
	s_or_b64 exec, exec, s[0:1]
	s_add_i32 s0, s25, 7
	s_ashr_i32 s1, s0, 31
	s_lshr_b32 s1, s1, 29
	s_add_i32 s0, s0, s1
	s_lshl_b32 s10, s8, 6
	s_mul_i32 s1, s16, s2
	s_ashr_i32 s7, s0, 3
	s_add_i32 s0, s10, 64
	s_sub_i32 s1, s3, s1
	s_min_i32 s21, s0, s7
	s_xor_b32 s0, s17, s18
	s_add_i32 s3, s16, 1
	s_waitcnt lgkmcnt(0)
	s_sub_i32 s12, s1, s2
	s_cmp_ge_u32 s1, s2
	s_cselect_b32 s3, s3, s16
	s_cselect_b32 s1, s12, s1
	s_add_i32 s12, s3, 1
	s_cmp_ge_u32 s1, s2
	s_load_dwordx2 s[26:27], s[4:5], 0x38
	s_load_dword s2, s[4:5], 0x48
	v_lshrrev_b32_e32 v17, 6, v0
	s_cselect_b32 s1, s12, s3
	s_xor_b32 s1, s1, s0
	v_or_b32_e32 v18, s10, v17
	s_waitcnt lgkmcnt(0)
	s_mul_i32 s28, s24, s2
	s_sub_i32 s15, s1, s0
	s_ashr_i32 s29, s28, 31
	v_cmp_gt_i32_e64 s[0:1], s21, v18
	v_cmp_le_i32_e32 vcc, s21, v18
	v_mbcnt_lo_u32_b32 v15, -1, 0
	s_barrier
	s_waitcnt lgkmcnt(0)
                                        ; implicit-def: $sgpr36
                                        ; implicit-def: $vgpr20
                                        ; implicit-def: $vgpr21
	s_and_saveexec_b64 s[2:3], vcc
	s_xor_b64 s[2:3], exec, s[2:3]
; %bb.6:
	v_mbcnt_hi_u32_b32 v20, -1, v15
	v_and_b32_e32 v2, 64, v20
	v_add_u32_e32 v21, 64, v2
	s_mov_b32 s36, 0xff7fffff
                                        ; implicit-def: $vgpr14
                                        ; implicit-def: $vgpr15
; %bb.7:
	s_or_saveexec_b64 s[34:35], s[2:3]
	s_load_dwordx4 s[16:19], s[4:5], 0x0
	s_load_dwordx2 s[22:23], s[4:5], 0x10
	s_load_dwordx2 s[30:31], s[4:5], 0x28
	s_load_dword s12, s[4:5], 0x98
	v_mov_b32_e32 v23, s36
	s_mul_i32 s14, s15, s14
	v_ashrrev_i32_e32 v19, 31, v18
	s_xor_b64 exec, exec, s[34:35]
	s_cbranch_execz .LBB21_13
; %bb.8:
	s_load_dwordx2 s[2:3], s[4:5], 0x20
	s_ashr_i32 s15, s14, 31
	s_lshl_b64 s[4:5], s[14:15], 2
	v_bfe_u32 v23, v0, 3, 3
	v_lshlrev_b32_e32 v2, 4, v23
	s_waitcnt lgkmcnt(0)
	s_add_u32 s2, s2, s4
	s_addc_u32 s3, s3, s5
	v_mov_b32_e32 v3, s3
	v_add_co_u32_e32 v2, vcc, s2, v2
	v_and_b32_e32 v4, 3, v0
	v_addc_co_u32_e32 v3, vcc, 0, v3, vcc
	v_lshlrev_b32_e32 v4, 2, v4
	v_mbcnt_hi_u32_b32 v20, -1, v15
	v_add_co_u32_e32 v26, vcc, v2, v4
	v_and_b32_e32 v15, 64, v20
	v_addc_co_u32_e32 v27, vcc, 0, v3, vcc
	v_add_u32_e32 v21, 64, v15
	v_xor_b32_e32 v15, 4, v20
	v_cmp_lt_i32_e32 vcc, v15, v21
	v_cndmask_b32_e32 v15, v20, v15, vcc
	v_lshlrev_b32_e32 v22, 2, v15
	v_xor_b32_e32 v15, 2, v20
	v_cmp_lt_i32_e32 vcc, v15, v21
	v_cndmask_b32_e32 v15, v20, v15, vcc
	v_lshlrev_b32_e32 v24, 2, v15
	v_xor_b32_e32 v15, 1, v20
	v_cmp_lt_i32_e32 vcc, v15, v21
	v_mul_u32_u24_e32 v10, 48, v14
	v_cndmask_b32_e32 v15, v20, v15, vcc
	v_cmp_eq_u32_e32 vcc, 0, v14
	v_lshlrev_b32_e32 v14, 5, v0
	v_and_b32_e32 v14, 0x80, v14
	v_add_co_u32_e64 v26, s[4:5], v26, v14
	ds_read_b128 v[2:5], v10
	ds_read_b128 v[6:9], v10 offset:16
	ds_read_b128 v[10:13], v10 offset:32
	v_addc_co_u32_e64 v27, s[4:5], 0, v27, s[4:5]
	v_lshlrev_b32_e32 v29, 2, v23
	s_sub_i32 s15, 1, s25
	v_lshlrev_b32_e32 v14, 3, v17
	s_lshl_b64 s[4:5], s[28:29], 2
	v_add3_u32 v28, s33, v14, v23
	v_lshl_or_b32 v14, v17, 5, v29
	s_add_u32 s4, s26, s4
	v_lshlrev_b32_e32 v25, 2, v15
	v_add_u32_e32 v29, 0x190, v14
	v_lshlrev_b64 v[14:15], 2, v[18:19]
	s_addc_u32 s5, s27, s5
	v_mov_b32_e32 v23, s5
	v_add_co_u32_e64 v14, s[4:5], s4, v14
	s_mov_b32 s41, s13
	v_cmp_neq_f32_e64 s[2:3], s40, 0
	v_addc_co_u32_e64 v15, s[4:5], v23, v15, s[4:5]
	s_mov_b64 s[36:37], 0
	v_mov_b32_e32 v23, 0xff7fffff
	v_mov_b32_e32 v30, v18
	s_branch .LBB21_10
.LBB21_9:                               ;   in Loop: Header=BB21_10 Depth=1
	s_or_b64 exec, exec, s[38:39]
	v_add_u32_e32 v30, 2, v30
	v_cmp_le_i32_e64 s[4:5], s21, v30
	s_or_b64 s[36:37], s[4:5], s[36:37]
	v_add_co_u32_e64 v14, s[4:5], 8, v14
	v_add_u32_e32 v28, 16, v28
	v_add_u32_e32 v29, 64, v29
	v_addc_co_u32_e64 v15, s[4:5], 0, v15, s[4:5]
	s_andn2_b64 exec, exec, s[36:37]
	s_cbranch_execz .LBB21_12
.LBB21_10:                              ; =>This Inner Loop Header: Depth=1
	global_load_dword v31, v[14:15], off
	s_waitcnt vmcnt(0) lgkmcnt(0)
	v_mad_i64_i32 v[32:33], s[4:5], v31, s41, 0
	v_lshlrev_b64 v[32:33], 2, v[32:33]
	v_add_co_u32_e64 v32, s[4:5], v26, v32
	v_addc_co_u32_e64 v33, s[4:5], v27, v33, s[4:5]
	global_load_dword v31, v[32:33], off offset:256
	global_load_dword v34, v[32:33], off
	global_load_dword v35, v[32:33], off offset:512
	global_load_dword v36, v[32:33], off offset:768
	;; [unrolled: 1-line block ×10, first 2 shown]
	s_waitcnt vmcnt(11) lgkmcnt(2)
	v_mul_f32_e32 v31, v3, v31
	s_waitcnt vmcnt(10)
	v_fmac_f32_e32 v31, v2, v34
	s_waitcnt vmcnt(9)
	v_fmac_f32_e32 v31, v4, v35
	;; [unrolled: 2-line block ×3, first 2 shown]
	s_waitcnt vmcnt(7) lgkmcnt(1)
	v_fmac_f32_e32 v31, v6, v37
	s_waitcnt vmcnt(6)
	v_fmac_f32_e32 v31, v7, v38
	s_waitcnt vmcnt(5)
	;; [unrolled: 2-line block ×3, first 2 shown]
	v_fmac_f32_e32 v31, v9, v40
	s_waitcnt vmcnt(3) lgkmcnt(0)
	v_fmac_f32_e32 v31, v10, v41
	s_waitcnt vmcnt(2)
	v_fmac_f32_e32 v31, v11, v42
	s_waitcnt vmcnt(1)
	;; [unrolled: 2-line block ×3, first 2 shown]
	v_fmac_f32_e32 v31, v13, v44
	ds_bpermute_b32 v32, v22, v31
	s_waitcnt lgkmcnt(0)
	v_add_f32_e32 v31, v31, v32
	ds_bpermute_b32 v32, v24, v31
	s_waitcnt lgkmcnt(0)
	v_add_f32_e32 v31, v31, v32
	ds_bpermute_b32 v32, v25, v31
	s_and_saveexec_b64 s[38:39], vcc
	s_cbranch_execz .LBB21_9
; %bb.11:                               ;   in Loop: Header=BB21_10 Depth=1
	v_add_u32_e32 v33, s15, v28
	v_cvt_f32_i32_e32 v33, v33
	s_waitcnt lgkmcnt(0)
	v_add_f32_e32 v31, v31, v32
	v_cmp_gt_i32_e64 s[4:5], s25, v28
	v_max_f32_e32 v32, v23, v23
	v_mul_f32_e32 v33, s40, v33
	v_cndmask_b32_e64 v33, 0, v33, s[2:3]
	v_fmac_f32_e32 v33, s11, v31
	v_cndmask_b32_e64 v31, 0, v33, s[4:5]
	ds_write_b32 v29, v31
	v_max_f32_e32 v31, v32, v33
	v_cndmask_b32_e64 v23, v23, v31, s[4:5]
	s_branch .LBB21_9
.LBB21_12:
	s_or_b64 exec, exec, s[36:37]
.LBB21_13:
	s_or_b64 exec, exec, s[34:35]
	v_xor_b32_e32 v2, 32, v20
	v_cmp_lt_i32_e32 vcc, v2, v21
	v_cndmask_b32_e32 v2, v20, v2, vcc
	v_lshlrev_b32_e32 v3, 2, v2
	ds_bpermute_b32 v2, v3, v23
	v_xor_b32_e32 v5, 16, v20
	v_max_f32_e32 v4, v23, v23
	v_cmp_lt_i32_e32 vcc, v5, v21
	v_and_b32_e32 v24, 63, v0
	s_waitcnt lgkmcnt(0)
	v_max_f32_e32 v2, v2, v2
	v_max_f32_e32 v2, v4, v2
	v_cndmask_b32_e32 v4, v20, v5, vcc
	v_lshlrev_b32_e32 v6, 2, v4
	ds_bpermute_b32 v4, v6, v2
	v_xor_b32_e32 v5, 8, v20
	v_cmp_lt_i32_e32 vcc, v5, v21
	s_waitcnt lgkmcnt(0)
	v_max_f32_e32 v4, v4, v4
	v_max_f32_e32 v4, v2, v4
	v_cndmask_b32_e32 v2, v20, v5, vcc
	v_lshlrev_b32_e32 v7, 2, v2
	ds_bpermute_b32 v5, v7, v4
	v_cmp_eq_u32_e32 vcc, 0, v24
	v_lshlrev_b32_e32 v2, 2, v17
	s_and_saveexec_b64 s[2:3], vcc
	s_cbranch_execz .LBB21_15
; %bb.14:
	s_waitcnt lgkmcnt(0)
	v_max_f32_e32 v5, v5, v5
	v_max_f32_e32 v4, v4, v4
	;; [unrolled: 1-line block ×3, first 2 shown]
	ds_write_b32 v2, v4 offset:384
.LBB21_15:
	s_or_b64 exec, exec, s[2:3]
	v_cmp_gt_u32_e64 s[2:3], 2, v24
	v_mov_b32_e32 v4, 0xff7fffff
	s_waitcnt lgkmcnt(0)
	v_lshlrev_b32_e32 v5, 2, v24
	s_barrier
	s_and_saveexec_b64 s[4:5], s[2:3]
	s_cbranch_execz .LBB21_17
; %bb.16:
	ds_read_b32 v4, v5 offset:384
.LBB21_17:
	s_or_b64 exec, exec, s[4:5]
	v_xor_b32_e32 v8, 1, v20
	v_cmp_lt_i32_e64 s[4:5], v8, v21
	v_cndmask_b32_e64 v8, v20, v8, s[4:5]
	v_lshlrev_b32_e32 v25, 2, v8
	s_waitcnt lgkmcnt(0)
	ds_bpermute_b32 v8, v25, v4
	v_max_f32_e32 v4, v4, v4
	s_sub_i32 s4, s21, s10
	s_lshl_b32 s4, s4, 3
	s_add_i32 s4, s4, s33
	s_waitcnt lgkmcnt(0)
	v_max_f32_e32 v8, v8, v8
	v_max_f32_e32 v4, v4, v8
	v_lshlrev_b32_e32 v8, 2, v20
	v_and_b32_e32 v8, 0xffffff00, v8
	ds_bpermute_b32 v4, v8, v4
	s_min_i32 s38, s4, s25
	s_sub_i32 s15, s38, s33
	v_cmp_gt_i32_e64 s[4:5], s15, v0
	v_mov_b32_e32 v9, 0
	s_and_saveexec_b64 s[34:35], s[4:5]
	s_cbranch_execz .LBB21_21
; %bb.18:
	v_mov_b32_e32 v9, 0x190
	v_lshl_add_u32 v10, v0, 2, v9
	s_mov_b64 s[36:37], 0
	v_mov_b32_e32 v9, 0
	v_mov_b32_e32 v11, v0
.LBB21_19:                              ; =>This Inner Loop Header: Depth=1
	ds_read_b32 v12, v10
	v_add_u32_e32 v11, 0x80, v11
	v_cmp_le_i32_e64 s[10:11], s15, v11
	s_or_b64 s[36:37], s[10:11], s[36:37]
	s_waitcnt lgkmcnt(0)
	v_sub_f32_e32 v12, v12, v4
	v_mul_f32_e32 v12, 0x3fb8aa3b, v12
	v_exp_f32_e32 v12, v12
	ds_write_b32 v10, v12
	v_add_f32_e32 v9, v9, v12
	v_add_u32_e32 v10, 0x200, v10
	s_andn2_b64 exec, exec, s[36:37]
	s_cbranch_execnz .LBB21_19
; %bb.20:
	s_or_b64 exec, exec, s[36:37]
.LBB21_21:
	s_or_b64 exec, exec, s[34:35]
	ds_bpermute_b32 v3, v3, v9
	s_waitcnt lgkmcnt(0)
	v_add_f32_e32 v3, v9, v3
	ds_bpermute_b32 v6, v6, v3
	s_waitcnt lgkmcnt(0)
	v_add_f32_e32 v3, v3, v6
	ds_bpermute_b32 v6, v7, v3
	v_xor_b32_e32 v7, 4, v20
	v_cmp_lt_i32_e64 s[10:11], v7, v21
	v_cndmask_b32_e64 v7, v20, v7, s[10:11]
	v_lshlrev_b32_e32 v7, 2, v7
	s_waitcnt lgkmcnt(0)
	v_add_f32_e32 v3, v3, v6
	ds_bpermute_b32 v6, v7, v3
	v_xor_b32_e32 v7, 2, v20
	v_cmp_lt_i32_e64 s[10:11], v7, v21
	v_cndmask_b32_e64 v7, v20, v7, s[10:11]
	s_waitcnt lgkmcnt(0)
	v_add_f32_e32 v3, v3, v6
	v_lshlrev_b32_e32 v6, 2, v7
	ds_bpermute_b32 v6, v6, v3
	s_waitcnt lgkmcnt(0)
	v_add_f32_e32 v3, v3, v6
	ds_bpermute_b32 v6, v25, v3
	s_waitcnt lgkmcnt(0)
	v_add_f32_e32 v3, v3, v6
	s_and_saveexec_b64 s[10:11], vcc
	s_cbranch_execz .LBB21_23
; %bb.22:
	ds_write_b32 v2, v3 offset:392
.LBB21_23:
	s_or_b64 exec, exec, s[10:11]
	s_waitcnt lgkmcnt(0)
	s_barrier
	s_and_saveexec_b64 s[10:11], s[2:3]
	s_cbranch_execz .LBB21_25
; %bb.24:
	ds_read_b32 v3, v5 offset:392
.LBB21_25:
	s_or_b64 exec, exec, s[10:11]
	s_waitcnt lgkmcnt(0)
	ds_bpermute_b32 v2, v25, v3
	s_waitcnt lgkmcnt(0)
	v_add_f32_e32 v2, v3, v2
	ds_bpermute_b32 v5, v8, v2
	s_and_saveexec_b64 s[2:3], s[4:5]
	s_cbranch_execz .LBB21_38
; %bb.26:
	s_waitcnt lgkmcnt(0)
	v_add_f32_e32 v2, 0x358637bd, v5
	v_div_scale_f32 v3, s[4:5], v2, v2, 1.0
	v_rcp_f32_e32 v6, v3
	v_div_scale_f32 v7, vcc, 1.0, v2, 1.0
	s_movk_i32 s4, 0x7f
	v_fma_f32 v8, -v3, v6, 1.0
	v_fmac_f32_e32 v6, v8, v6
	v_mul_f32_e32 v8, v7, v6
	v_fma_f32 v9, -v3, v8, v7
	v_fmac_f32_e32 v8, v9, v6
	v_fma_f32 v3, -v3, v8, v7
	v_div_fmas_f32 v3, v3, v6, v8
	v_div_fixup_f32 v2, v3, v2, 1.0
	v_xad_u32 v3, v0, -1, s38
	v_subrev_u32_e32 v6, s33, v3
	v_cmp_lt_u32_e32 vcc, s4, v6
	s_mov_b64 s[10:11], -1
	v_mov_b32_e32 v3, v0
	s_and_saveexec_b64 s[4:5], vcc
	s_cbranch_execz .LBB21_35
; %bb.27:
	v_lshrrev_b32_e32 v6, 7, v6
	v_add_u32_e32 v8, -1, v6
	v_lshrrev_b32_e32 v7, 1, v8
	v_mov_b32_e32 v3, v2
	v_add_u32_e32 v7, 1, v7
	v_cmp_lt_u32_e32 vcc, 13, v8
	v_mov_b32_e32 v10, 0
	s_and_saveexec_b64 s[10:11], vcc
	s_cbranch_execz .LBB21_31
; %bb.28:
	v_mov_b32_e32 v9, 0x190
	v_and_b32_e32 v8, -8, v7
	v_lshl_add_u32 v9, v0, 2, v9
	s_mov_b32 s36, 0
	s_mov_b64 s[34:35], 0
.LBB21_29:                              ; =>This Inner Loop Header: Depth=1
	ds_read2st64_b32 v[10:11], v9 offset1:2
	ds_read2st64_b32 v[12:13], v9 offset0:4 offset1:6
	ds_read2st64_b32 v[14:15], v9 offset0:8 offset1:10
	;; [unrolled: 1-line block ×3, first 2 shown]
	v_add_u32_e32 v8, -8, v8
	s_waitcnt lgkmcnt(3)
	v_pk_mul_f32 v[10:11], v[2:3], v[10:11]
	s_waitcnt lgkmcnt(2)
	v_pk_mul_f32 v[12:13], v[2:3], v[12:13]
	ds_write2st64_b32 v9, v10, v11 offset1:2
	ds_write2st64_b32 v9, v12, v13 offset0:4 offset1:6
	ds_read2st64_b32 v[12:13], v9 offset0:16 offset1:18
	s_waitcnt lgkmcnt(4)
	v_pk_mul_f32 v[10:11], v[2:3], v[14:15]
	ds_write2st64_b32 v9, v10, v11 offset0:8 offset1:10
	s_waitcnt lgkmcnt(4)
	v_pk_mul_f32 v[10:11], v[2:3], v[20:21]
	ds_write2st64_b32 v9, v10, v11 offset0:12 offset1:14
	ds_read2st64_b32 v[10:11], v9 offset0:20 offset1:22
	s_waitcnt lgkmcnt(3)
	v_pk_mul_f32 v[12:13], v[2:3], v[12:13]
	ds_read2st64_b32 v[14:15], v9 offset0:24 offset1:26
	ds_write2st64_b32 v9, v12, v13 offset0:16 offset1:18
	ds_read2st64_b32 v[12:13], v9 offset0:28 offset1:30
	s_waitcnt lgkmcnt(3)
	v_pk_mul_f32 v[10:11], v[2:3], v[10:11]
	ds_write2st64_b32 v9, v10, v11 offset0:20 offset1:22
	s_waitcnt lgkmcnt(3)
	v_pk_mul_f32 v[10:11], v[2:3], v[14:15]
	ds_write2st64_b32 v9, v10, v11 offset0:24 offset1:26
	s_waitcnt lgkmcnt(2)
	v_pk_mul_f32 v[10:11], v[2:3], v[12:13]
	s_add_i32 s36, s36, 16
	v_cmp_eq_u32_e32 vcc, 0, v8
	ds_write2st64_b32 v9, v10, v11 offset0:28 offset1:30
	v_add_u32_e32 v9, 0x2000, v9
	s_or_b64 s[34:35], vcc, s[34:35]
	v_mov_b32_e32 v10, s36
	s_andn2_b64 exec, exec, s[34:35]
	s_cbranch_execnz .LBB21_29
; %bb.30:
	s_or_b64 exec, exec, s[34:35]
.LBB21_31:
	s_or_b64 exec, exec, s[10:11]
	v_and_b32_e32 v7, 7, v7
	v_cmp_ne_u32_e32 vcc, 0, v7
	s_and_saveexec_b64 s[10:11], vcc
	s_cbranch_execz .LBB21_34
; %bb.32:
	v_lshlrev_b32_e32 v8, 9, v10
	s_movk_i32 s34, 0x190
	v_add3_u32 v8, v8, v16, s34
	s_mov_b64 s[34:35], 0
.LBB21_33:                              ; =>This Inner Loop Header: Depth=1
	ds_read2st64_b32 v[10:11], v8 offset1:2
	v_add_u32_e32 v7, -1, v7
	v_cmp_eq_u32_e32 vcc, 0, v7
	s_or_b64 s[34:35], vcc, s[34:35]
	s_waitcnt lgkmcnt(0)
	v_pk_mul_f32 v[10:11], v[2:3], v[10:11]
	ds_write2st64_b32 v8, v10, v11 offset1:2
	v_add_u32_e32 v8, 0x400, v8
	s_andn2_b64 exec, exec, s[34:35]
	s_cbranch_execnz .LBB21_33
.LBB21_34:
	s_or_b64 exec, exec, s[10:11]
	v_add_u32_e32 v6, 1, v6
	v_and_b32_e32 v7, 0x3fffffe, v6
	v_cmp_ne_u32_e32 vcc, v6, v7
	v_lshl_add_u32 v3, v7, 7, v0
	s_orn2_b64 s[10:11], vcc, exec
.LBB21_35:
	s_or_b64 exec, exec, s[4:5]
	s_and_b64 exec, exec, s[10:11]
	s_cbranch_execz .LBB21_38
; %bb.36:
	v_mov_b32_e32 v6, 0x190
	v_lshl_add_u32 v6, v3, 2, v6
	s_mov_b64 s[4:5], 0
.LBB21_37:                              ; =>This Inner Loop Header: Depth=1
	ds_read_b32 v7, v6
	v_add_u32_e32 v3, 0x80, v3
	v_cmp_le_i32_e32 vcc, s15, v3
	s_or_b64 s[4:5], vcc, s[4:5]
	s_waitcnt lgkmcnt(0)
	v_mul_f32_e32 v7, v2, v7
	ds_write_b32 v6, v7
	v_add_u32_e32 v6, 0x200, v6
	s_andn2_b64 exec, exec, s[4:5]
	s_cbranch_execnz .LBB21_37
.LBB21_38:
	s_or_b64 exec, exec, s[2:3]
	s_mul_i32 s2, s12, s24
	v_cmp_eq_u32_e32 vcc, 0, v0
	s_mul_i32 s2, s2, s9
	s_waitcnt lgkmcnt(0)
	s_barrier
	s_and_saveexec_b64 s[4:5], vcc
	s_cbranch_execz .LBB21_40
; %bb.39:
	s_ashr_i32 s3, s2, 31
	s_lshl_b64 s[10:11], s[2:3], 2
	s_add_u32 s3, s18, s10
	s_mul_i32 s18, s12, s6
	s_addc_u32 s9, s19, s11
	s_ashr_i32 s19, s18, 31
	s_lshl_b64 s[18:19], s[18:19], 2
	s_add_u32 s3, s3, s18
	s_addc_u32 s6, s9, s19
	s_ashr_i32 s9, s8, 31
	s_lshl_b64 s[34:35], s[8:9], 2
	s_add_u32 s36, s3, s34
	s_addc_u32 s37, s6, s35
	s_add_u32 s3, s16, s10
	s_addc_u32 s6, s17, s11
	;; [unrolled: 2-line block ×3, first 2 shown]
	s_add_u32 s10, s3, s34
	v_mov_b32_e32 v2, 0
	s_addc_u32 s11, s6, s35
	global_store_dword v2, v4, s[36:37]
	global_store_dword v2, v5, s[10:11]
.LBB21_40:
	s_or_b64 exec, exec, s[4:5]
	v_mov_b32_e32 v27, 0
	v_and_b32_e32 v26, 1, v0
	v_mov_b32_e32 v21, 0
	v_mov_b32_e32 v20, 0
	s_and_saveexec_b64 s[4:5], s[0:1]
	s_cbranch_execz .LBB21_50
; %bb.41:
	s_ashr_i32 s15, s14, 31
	s_lshl_b64 s[0:1], s[14:15], 2
	v_lshlrev_b32_e32 v3, 4, v0
	s_add_u32 s0, s30, s0
	v_and_b32_e32 v3, 0x3f0, v3
	v_and_b32_e32 v2, 4, v16
	s_addc_u32 s1, s31, s1
	v_add_co_u32_e32 v28, vcc, s0, v3
	v_lshl_add_u32 v3, v17, 3, s33
	s_add_i32 s9, s7, -1
	v_mov_b32_e32 v4, s1
	v_add3_u32 v30, v3, v2, 3
	v_lshlrev_b32_e32 v2, 4, v26
	s_lshl_b64 s[0:1], s[28:29], 2
	v_lshl_or_b32 v2, v17, 5, v2
	s_add_u32 s0, s26, s0
	v_addc_co_u32_e32 v29, vcc, 0, v4, vcc
	v_add_u32_e32 v31, 0x190, v2
	v_lshlrev_b64 v[2:3], 2, v[18:19]
	s_addc_u32 s1, s27, s1
	v_mov_b32_e32 v4, s1
	v_add_co_u32_e32 v22, vcc, s0, v2
	v_mov_b32_e32 v20, 0
	s_mov_b32 s3, s13
	v_addc_co_u32_e32 v23, vcc, v4, v3, vcc
	s_mov_b64 s[6:7], 0
	v_mov_b32_e32 v21, v20
	v_mov_b32_e32 v27, v20
	s_branch .LBB21_43
.LBB21_42:                              ;   in Loop: Header=BB21_43 Depth=1
	s_or_b64 exec, exec, s[0:1]
	s_waitcnt vmcnt(2) lgkmcnt(0)
	v_mul_f32_e32 v7, v3, v7
	v_fmac_f32_e32 v7, v2, v6
	s_waitcnt vmcnt(1)
	v_mul_f32_e32 v6, v3, v11
	s_waitcnt vmcnt(0)
	v_mul_f32_e32 v3, v3, v15
	v_fmac_f32_e32 v6, v2, v10
	v_fmac_f32_e32 v3, v2, v14
	v_add_u32_e32 v18, 2, v18
	v_fmac_f32_e32 v7, v4, v8
	v_fmac_f32_e32 v6, v4, v12
	;; [unrolled: 1-line block ×3, first 2 shown]
	v_cmp_le_i32_e32 vcc, s21, v18
	v_fmac_f32_e32 v7, v5, v9
	v_fmac_f32_e32 v6, v5, v13
	;; [unrolled: 1-line block ×3, first 2 shown]
	s_or_b64 s[6:7], vcc, s[6:7]
	v_add_co_u32_e32 v22, vcc, 8, v22
	v_add_f32_e32 v20, v20, v7
	v_add_f32_e32 v21, v21, v6
	;; [unrolled: 1-line block ×3, first 2 shown]
	v_add_u32_e32 v30, 16, v30
	v_add_u32_e32 v31, 64, v31
	v_addc_co_u32_e32 v23, vcc, 0, v23, vcc
	s_andn2_b64 exec, exec, s[6:7]
	s_cbranch_execz .LBB21_49
.LBB21_43:                              ; =>This Inner Loop Header: Depth=1
	global_load_dword v2, v[22:23], off
	v_add_u32_e32 v19, -3, v30
	v_add_u32_e32 v33, -2, v30
	;; [unrolled: 1-line block ×3, first 2 shown]
	s_waitcnt vmcnt(0)
	v_mad_i64_i32 v[2:3], s[0:1], v2, s3, 0
	v_lshlrev_b64 v[2:3], 2, v[2:3]
	v_add_co_u32_e32 v14, vcc, v28, v2
	v_addc_co_u32_e32 v15, vcc, v29, v3, vcc
	global_load_dwordx4 v[6:9], v[14:15], off
	ds_read_b128 v[2:5], v31
	v_cmp_eq_u32_e32 vcc, s9, v18
	s_and_saveexec_b64 s[10:11], vcc
	s_cbranch_execnz .LBB21_46
; %bb.44:                               ;   in Loop: Header=BB21_43 Depth=1
	s_or_b64 exec, exec, s[10:11]
	global_load_dwordx4 v[10:13], v[14:15], off offset:1024
	s_and_saveexec_b64 s[10:11], vcc
	s_cbranch_execnz .LBB21_47
.LBB21_45:                              ;   in Loop: Header=BB21_43 Depth=1
	s_or_b64 exec, exec, s[10:11]
	global_load_dwordx4 v[14:17], v[14:15], off offset:2048
	s_and_saveexec_b64 s[0:1], vcc
	s_cbranch_execz .LBB21_42
	s_branch .LBB21_48
.LBB21_46:                              ;   in Loop: Header=BB21_43 Depth=1
	v_cmp_gt_i32_e64 s[0:1], s25, v19
	s_waitcnt vmcnt(0)
	v_cndmask_b32_e64 v6, 0, v6, s[0:1]
	v_cmp_gt_i32_e64 s[0:1], s25, v33
	v_cndmask_b32_e64 v7, 0, v7, s[0:1]
	v_cmp_gt_i32_e64 s[0:1], s25, v32
	;; [unrolled: 2-line block ×3, first 2 shown]
	v_cndmask_b32_e64 v9, 0, v9, s[0:1]
	s_or_b64 exec, exec, s[10:11]
	global_load_dwordx4 v[10:13], v[14:15], off offset:1024
	s_and_saveexec_b64 s[10:11], vcc
	s_cbranch_execz .LBB21_45
.LBB21_47:                              ;   in Loop: Header=BB21_43 Depth=1
	v_cmp_gt_i32_e64 s[0:1], s25, v19
	s_waitcnt vmcnt(0)
	v_cndmask_b32_e64 v10, 0, v10, s[0:1]
	v_cmp_gt_i32_e64 s[0:1], s25, v33
	v_cndmask_b32_e64 v11, 0, v11, s[0:1]
	v_cmp_gt_i32_e64 s[0:1], s25, v32
	;; [unrolled: 2-line block ×3, first 2 shown]
	v_cndmask_b32_e64 v13, 0, v13, s[0:1]
	s_or_b64 exec, exec, s[10:11]
	global_load_dwordx4 v[14:17], v[14:15], off offset:2048
	s_and_saveexec_b64 s[0:1], vcc
	s_cbranch_execz .LBB21_42
.LBB21_48:                              ;   in Loop: Header=BB21_43 Depth=1
	v_cmp_gt_i32_e32 vcc, s25, v19
	s_waitcnt vmcnt(0)
	v_cndmask_b32_e32 v14, 0, v14, vcc
	v_cmp_gt_i32_e32 vcc, s25, v33
	v_cndmask_b32_e32 v15, 0, v15, vcc
	v_cmp_gt_i32_e32 vcc, s25, v32
	;; [unrolled: 2-line block ×3, first 2 shown]
	v_cndmask_b32_e32 v17, 0, v17, vcc
	s_branch .LBB21_42
.LBB21_49:
	s_or_b64 exec, exec, s[6:7]
.LBB21_50:
	s_or_b64 exec, exec, s[4:5]
	ds_bpermute_b32 v2, v25, v20
	ds_bpermute_b32 v3, v25, v21
	;; [unrolled: 1-line block ×3, first 2 shown]
	v_and_b32_e32 v5, 0x3c1, v0
	v_cmp_eq_u32_e32 vcc, 64, v5
	s_waitcnt lgkmcnt(0)
	v_pk_add_f32 v[2:3], v[20:21], v[2:3]
	v_add_f32_e32 v4, v27, v4
	s_barrier
	s_and_saveexec_b64 s[0:1], vcc
	s_cbranch_execz .LBB21_52
; %bb.51:
	v_mov_b32_e32 v6, 0x190
	v_lshl_add_u32 v6, v24, 1, v6
	ds_write2_b32 v6, v2, v3 offset1:32
	ds_write_b32 v6, v4 offset:256
.LBB21_52:
	s_or_b64 exec, exec, s[0:1]
	v_cmp_gt_u32_e32 vcc, 64, v0
	s_waitcnt lgkmcnt(0)
	s_barrier
	s_and_saveexec_b64 s[0:1], vcc
	s_cbranch_execz .LBB21_58
; %bb.53:
	v_cmp_eq_u32_e32 vcc, 0, v26
	s_and_saveexec_b64 s[4:5], vcc
	s_cbranch_execnz .LBB21_61
; %bb.54:
	s_or_b64 exec, exec, s[4:5]
	s_and_saveexec_b64 s[4:5], vcc
	s_cbranch_execnz .LBB21_62
.LBB21_55:
	s_or_b64 exec, exec, s[4:5]
	s_and_saveexec_b64 s[4:5], vcc
	s_cbranch_execz .LBB21_57
.LBB21_56:
	v_mov_b32_e32 v6, 0x190
	v_lshl_add_u32 v1, v1, 2, v6
	ds_read_b32 v1, v1 offset:256
	s_waitcnt lgkmcnt(0)
	v_add_f32_e32 v4, v4, v1
.LBB21_57:
	s_or_b64 exec, exec, s[4:5]
.LBB21_58:
	s_or_b64 exec, exec, s[0:1]
	v_cmp_eq_u32_e32 vcc, 0, v5
	s_barrier
	s_and_saveexec_b64 s[0:1], vcc
	s_cbranch_execz .LBB21_60
; %bb.59:
	s_mul_i32 s0, s2, 0x60
	s_ashr_i32 s1, s0, 31
	s_lshl_b64 s[0:1], s[0:1], 2
	s_add_u32 s2, s22, s0
	s_mul_i32 s0, s12, s20
	s_addc_u32 s3, s23, s1
	s_ashr_i32 s1, s0, 31
	s_lshl_b64 s[0:1], s[0:1], 2
	s_add_u32 s2, s2, s0
	s_mul_i32 s0, s8, 0x60
	s_addc_u32 s3, s3, s1
	s_ashr_i32 s1, s0, 31
	s_lshl_b64 s[0:1], s[0:1], 2
	s_add_u32 s0, s2, s0
	s_addc_u32 s1, s3, s1
	v_lshlrev_b32_e32 v0, 1, v0
	global_store_dword v0, v2, s[0:1]
	global_store_dword v0, v3, s[0:1] offset:128
	global_store_dword v0, v4, s[0:1] offset:256
.LBB21_60:
	s_endpgm
.LBB21_61:
	v_mov_b32_e32 v6, 0x190
	v_lshl_add_u32 v6, v1, 2, v6
	ds_read_b32 v6, v6
	s_waitcnt lgkmcnt(0)
	v_add_f32_e32 v2, v2, v6
	s_or_b64 exec, exec, s[4:5]
	s_and_saveexec_b64 s[4:5], vcc
	s_cbranch_execz .LBB21_55
.LBB21_62:
	v_mov_b32_e32 v6, 0x190
	v_lshl_add_u32 v6, v1, 2, v6
	ds_read_b32 v6, v6 offset:128
	s_waitcnt lgkmcnt(0)
	v_add_f32_e32 v3, v3, v6
	s_or_b64 exec, exec, s[4:5]
	s_and_saveexec_b64 s[4:5], vcc
	s_cbranch_execnz .LBB21_56
	s_branch .LBB21_57
	.section	.rodata,"a",@progbits
	.p2align	6, 0x0
	.amdhsa_kernel _ZN4vllm25paged_attention_v2_kernelIffLi96ELi8ELi128ELNS_18Fp8KVCacheDataTypeE0ELb0ELi512EEEvPfS2_PT_PKS3_PKT0_S9_ifPKiSB_iPKfiiiSD_SD_iiiii
		.amdhsa_group_segment_fixed_size 400
		.amdhsa_private_segment_fixed_size 0
		.amdhsa_kernarg_size 400
		.amdhsa_user_sgpr_count 6
		.amdhsa_user_sgpr_private_segment_buffer 1
		.amdhsa_user_sgpr_dispatch_ptr 0
		.amdhsa_user_sgpr_queue_ptr 0
		.amdhsa_user_sgpr_kernarg_segment_ptr 1
		.amdhsa_user_sgpr_dispatch_id 0
		.amdhsa_user_sgpr_flat_scratch_init 0
		.amdhsa_user_sgpr_kernarg_preload_length 0
		.amdhsa_user_sgpr_kernarg_preload_offset 0
		.amdhsa_user_sgpr_private_segment_size 0
		.amdhsa_uses_dynamic_stack 0
		.amdhsa_system_sgpr_private_segment_wavefront_offset 0
		.amdhsa_system_sgpr_workgroup_id_x 1
		.amdhsa_system_sgpr_workgroup_id_y 1
		.amdhsa_system_sgpr_workgroup_id_z 1
		.amdhsa_system_sgpr_workgroup_info 0
		.amdhsa_system_vgpr_workitem_id 0
		.amdhsa_next_free_vgpr 45
		.amdhsa_next_free_sgpr 42
		.amdhsa_accum_offset 48
		.amdhsa_reserve_vcc 1
		.amdhsa_reserve_flat_scratch 0
		.amdhsa_float_round_mode_32 0
		.amdhsa_float_round_mode_16_64 0
		.amdhsa_float_denorm_mode_32 3
		.amdhsa_float_denorm_mode_16_64 3
		.amdhsa_dx10_clamp 1
		.amdhsa_ieee_mode 1
		.amdhsa_fp16_overflow 0
		.amdhsa_tg_split 0
		.amdhsa_exception_fp_ieee_invalid_op 0
		.amdhsa_exception_fp_denorm_src 0
		.amdhsa_exception_fp_ieee_div_zero 0
		.amdhsa_exception_fp_ieee_overflow 0
		.amdhsa_exception_fp_ieee_underflow 0
		.amdhsa_exception_fp_ieee_inexact 0
		.amdhsa_exception_int_div_zero 0
	.end_amdhsa_kernel
	.section	.text._ZN4vllm25paged_attention_v2_kernelIffLi96ELi8ELi128ELNS_18Fp8KVCacheDataTypeE0ELb0ELi512EEEvPfS2_PT_PKS3_PKT0_S9_ifPKiSB_iPKfiiiSD_SD_iiiii,"axG",@progbits,_ZN4vllm25paged_attention_v2_kernelIffLi96ELi8ELi128ELNS_18Fp8KVCacheDataTypeE0ELb0ELi512EEEvPfS2_PT_PKS3_PKT0_S9_ifPKiSB_iPKfiiiSD_SD_iiiii,comdat
.Lfunc_end21:
	.size	_ZN4vllm25paged_attention_v2_kernelIffLi96ELi8ELi128ELNS_18Fp8KVCacheDataTypeE0ELb0ELi512EEEvPfS2_PT_PKS3_PKT0_S9_ifPKiSB_iPKfiiiSD_SD_iiiii, .Lfunc_end21-_ZN4vllm25paged_attention_v2_kernelIffLi96ELi8ELi128ELNS_18Fp8KVCacheDataTypeE0ELb0ELi512EEEvPfS2_PT_PKS3_PKT0_S9_ifPKiSB_iPKfiiiSD_SD_iiiii
                                        ; -- End function
	.section	.AMDGPU.csdata,"",@progbits
; Kernel info:
; codeLenInByte = 3852
; NumSgprs: 46
; NumVgprs: 45
; NumAgprs: 0
; TotalNumVgprs: 45
; ScratchSize: 0
; MemoryBound: 0
; FloatMode: 240
; IeeeMode: 1
; LDSByteSize: 400 bytes/workgroup (compile time only)
; SGPRBlocks: 5
; VGPRBlocks: 5
; NumSGPRsForWavesPerEU: 46
; NumVGPRsForWavesPerEU: 45
; AccumOffset: 48
; Occupancy: 8
; WaveLimiterHint : 1
; COMPUTE_PGM_RSRC2:SCRATCH_EN: 0
; COMPUTE_PGM_RSRC2:USER_SGPR: 6
; COMPUTE_PGM_RSRC2:TRAP_HANDLER: 0
; COMPUTE_PGM_RSRC2:TGID_X_EN: 1
; COMPUTE_PGM_RSRC2:TGID_Y_EN: 1
; COMPUTE_PGM_RSRC2:TGID_Z_EN: 1
; COMPUTE_PGM_RSRC2:TIDIG_COMP_CNT: 0
; COMPUTE_PGM_RSRC3_GFX90A:ACCUM_OFFSET: 11
; COMPUTE_PGM_RSRC3_GFX90A:TG_SPLIT: 0
	.section	.text._ZN4vllm25paged_attention_v2_kernelIffLi112ELi8ELi128ELNS_18Fp8KVCacheDataTypeE0ELb0ELi512EEEvPfS2_PT_PKS3_PKT0_S9_ifPKiSB_iPKfiiiSD_SD_iiiii,"axG",@progbits,_ZN4vllm25paged_attention_v2_kernelIffLi112ELi8ELi128ELNS_18Fp8KVCacheDataTypeE0ELb0ELi512EEEvPfS2_PT_PKS3_PKT0_S9_ifPKiSB_iPKfiiiSD_SD_iiiii,comdat
	.protected	_ZN4vllm25paged_attention_v2_kernelIffLi112ELi8ELi128ELNS_18Fp8KVCacheDataTypeE0ELb0ELi512EEEvPfS2_PT_PKS3_PKT0_S9_ifPKiSB_iPKfiiiSD_SD_iiiii ; -- Begin function _ZN4vllm25paged_attention_v2_kernelIffLi112ELi8ELi128ELNS_18Fp8KVCacheDataTypeE0ELb0ELi512EEEvPfS2_PT_PKS3_PKT0_S9_ifPKiSB_iPKfiiiSD_SD_iiiii
	.globl	_ZN4vllm25paged_attention_v2_kernelIffLi112ELi8ELi128ELNS_18Fp8KVCacheDataTypeE0ELb0ELi512EEEvPfS2_PT_PKS3_PKT0_S9_ifPKiSB_iPKfiiiSD_SD_iiiii
	.p2align	8
	.type	_ZN4vllm25paged_attention_v2_kernelIffLi112ELi8ELi128ELNS_18Fp8KVCacheDataTypeE0ELb0ELi512EEEvPfS2_PT_PKS3_PKT0_S9_ifPKiSB_iPKfiiiSD_SD_iiiii,@function
_ZN4vllm25paged_attention_v2_kernelIffLi112ELi8ELi128ELNS_18Fp8KVCacheDataTypeE0ELb0ELi512EEEvPfS2_PT_PKS3_PKT0_S9_ifPKiSB_iPKfiiiSD_SD_iiiii: ; @_ZN4vllm25paged_attention_v2_kernelIffLi112ELi8ELi128ELNS_18Fp8KVCacheDataTypeE0ELb0ELi512EEEvPfS2_PT_PKS3_PKT0_S9_ifPKiSB_iPKfiiiSD_SD_iiiii
; %bb.0:
	s_load_dwordx2 s[0:1], s[4:5], 0x40
	s_mov_b32 s24, s7
	s_ashr_i32 s25, s7, 31
	s_lshl_b64 s[2:3], s[24:25], 2
	s_waitcnt lgkmcnt(0)
	s_add_u32 s0, s0, s2
	s_addc_u32 s1, s1, s3
	s_load_dword s25, s[0:1], 0x0
	s_lshl_b32 s40, s8, 9
	s_waitcnt lgkmcnt(0)
	s_cmp_ge_i32 s40, s25
	s_cbranch_scc1 .LBB22_72
; %bb.1:
	s_load_dword s9, s[4:5], 0x90
	s_load_dwordx2 s[10:11], s[4:5], 0x30
	s_waitcnt lgkmcnt(0)
	s_abs_i32 s2, s9
	s_abs_i32 s0, s10
	v_cvt_f32_u32_e32 v1, s0
	s_sub_i32 s3, 0, s0
	s_xor_b32 s1, s9, s10
	s_ashr_i32 s1, s1, 31
	v_rcp_iflag_f32_e32 v1, v1
	v_mul_f32_e32 v1, 0x4f7ffffe, v1
	v_cvt_u32_f32_e32 v1, v1
	v_readfirstlane_b32 s7, v1
	s_mul_i32 s3, s3, s7
	s_mul_hi_u32 s3, s7, s3
	s_add_i32 s7, s7, s3
	s_mul_hi_u32 s3, s2, s7
	s_mul_i32 s7, s3, s0
	s_sub_i32 s2, s2, s7
	s_add_i32 s10, s3, 1
	s_sub_i32 s7, s2, s0
	s_cmp_ge_u32 s2, s0
	s_cselect_b32 s3, s10, s3
	s_cselect_b32 s2, s7, s2
	s_add_i32 s7, s3, 1
	s_cmp_ge_u32 s2, s0
	s_cselect_b32 s0, s7, s3
	s_xor_b32 s0, s0, s1
	s_sub_i32 s12, s0, s1
	s_abs_i32 s2, s12
	v_cvt_f32_u32_e32 v1, s2
	s_load_dwordx2 s[0:1], s[4:5], 0x50
	s_sub_i32 s7, 0, s2
	s_abs_i32 s3, s6
	v_rcp_iflag_f32_e32 v1, v1
	s_mov_b32 s10, 0
	v_mul_f32_e32 v1, 0x4f7ffffe, v1
	v_cvt_u32_f32_e32 v1, v1
	v_readfirstlane_b32 s13, v1
	s_mul_i32 s7, s7, s13
	s_mul_hi_u32 s7, s13, s7
	s_add_i32 s13, s13, s7
	s_waitcnt lgkmcnt(0)
	s_cmp_eq_u64 s[0:1], 0
	s_mul_hi_u32 s16, s3, s13
	s_cbranch_scc1 .LBB22_3
; %bb.2:
	s_ashr_i32 s7, s6, 31
	s_lshl_b64 s[14:15], s[6:7], 2
	s_add_u32 s0, s0, s14
	s_addc_u32 s1, s1, s15
	s_load_dword s10, s[0:1], 0x0
.LBB22_3:
	s_ashr_i32 s18, s12, 31
	s_load_dwordx4 s[12:15], s[4:5], 0x58
	s_movk_i32 s0, 0x70
	s_ashr_i32 s17, s6, 31
	v_and_b32_e32 v16, 7, v0
	s_mul_i32 s20, s6, 0x70
	v_cmp_gt_u32_e32 vcc, s0, v0
	v_lshlrev_b32_e32 v24, 2, v0
	v_lshrrev_b32_e32 v1, 1, v0
	s_and_saveexec_b64 s[0:1], vcc
	s_cbranch_execz .LBB22_5
; %bb.4:
	s_load_dwordx2 s[22:23], s[4:5], 0x18
	s_waitcnt lgkmcnt(0)
	s_mul_i32 s26, s24, s12
	s_ashr_i32 s27, s26, 31
	s_lshl_b64 s[26:27], s[26:27], 2
	v_and_b32_e32 v3, 0x1fc, v1
	s_add_u32 s7, s22, s26
	s_addc_u32 s12, s23, s27
	s_ashr_i32 s21, s20, 31
	s_lshl_b64 s[22:23], s[20:21], 2
	s_add_u32 s22, s7, s22
	s_addc_u32 s23, s12, s23
	global_load_dword v2, v24, s[22:23]
	v_mad_u32_u24 v3, v16, 56, v3
	s_waitcnt vmcnt(0)
	ds_write_b32 v3, v2
.LBB22_5:
	s_or_b64 exec, exec, s[0:1]
	s_add_i32 s0, s25, 7
	s_ashr_i32 s1, s0, 31
	s_lshr_b32 s1, s1, 29
	s_add_i32 s0, s0, s1
	s_lshl_b32 s7, s8, 6
	s_mul_i32 s1, s16, s2
	s_waitcnt lgkmcnt(0)
	s_ashr_i32 s12, s0, 3
	s_add_i32 s0, s7, 64
	s_sub_i32 s1, s3, s1
	s_min_i32 s33, s0, s12
	s_xor_b32 s0, s17, s18
	s_add_i32 s3, s16, 1
	s_sub_i32 s15, s1, s2
	s_cmp_ge_u32 s1, s2
	s_cselect_b32 s3, s3, s16
	s_cselect_b32 s1, s15, s1
	s_add_i32 s15, s3, 1
	s_cmp_ge_u32 s1, s2
	s_load_dwordx2 s[26:27], s[4:5], 0x38
	s_load_dword s2, s[4:5], 0x48
	v_lshrrev_b32_e32 v25, 6, v0
	s_cselect_b32 s1, s15, s3
	s_xor_b32 s1, s1, s0
	v_or_b32_e32 v18, s7, v25
	s_waitcnt lgkmcnt(0)
	s_mul_i32 s28, s24, s2
	s_sub_i32 s15, s1, s0
	s_ashr_i32 s29, s28, 31
	v_cmp_gt_i32_e64 s[0:1], s33, v18
	v_cmp_le_i32_e32 vcc, s33, v18
	v_mbcnt_lo_u32_b32 v17, -1, 0
	s_barrier
	s_waitcnt lgkmcnt(0)
                                        ; implicit-def: $sgpr36
                                        ; implicit-def: $vgpr20
                                        ; implicit-def: $vgpr21
	s_and_saveexec_b64 s[2:3], vcc
	s_xor_b64 s[2:3], exec, s[2:3]
; %bb.6:
	v_mbcnt_hi_u32_b32 v20, -1, v17
	v_and_b32_e32 v2, 64, v20
	v_add_u32_e32 v21, 64, v2
	s_mov_b32 s36, 0xff7fffff
                                        ; implicit-def: $vgpr16
                                        ; implicit-def: $vgpr17
; %bb.7:
	s_or_saveexec_b64 s[34:35], s[2:3]
	s_load_dwordx4 s[16:19], s[4:5], 0x0
	s_load_dwordx2 s[22:23], s[4:5], 0x10
	s_load_dwordx2 s[30:31], s[4:5], 0x28
	s_load_dword s21, s[4:5], 0x98
	v_mov_b32_e32 v23, s36
	s_mul_i32 s14, s15, s14
	v_ashrrev_i32_e32 v19, 31, v18
	s_xor_b64 exec, exec, s[34:35]
	s_cbranch_execz .LBB22_13
; %bb.8:
	s_load_dwordx2 s[2:3], s[4:5], 0x20
	s_ashr_i32 s15, s14, 31
	s_lshl_b64 s[4:5], s[14:15], 2
	v_bfe_u32 v23, v0, 3, 3
	v_lshlrev_b32_e32 v2, 4, v23
	s_waitcnt lgkmcnt(0)
	s_add_u32 s2, s2, s4
	s_addc_u32 s3, s3, s5
	v_mov_b32_e32 v3, s3
	v_add_co_u32_e32 v2, vcc, s2, v2
	v_and_b32_e32 v4, 3, v0
	v_addc_co_u32_e32 v3, vcc, 0, v3, vcc
	v_lshlrev_b32_e32 v4, 2, v4
	v_mbcnt_hi_u32_b32 v20, -1, v17
	v_add_co_u32_e32 v28, vcc, v2, v4
	v_and_b32_e32 v17, 64, v20
	v_addc_co_u32_e32 v29, vcc, 0, v3, vcc
	v_add_u32_e32 v21, 64, v17
	v_xor_b32_e32 v17, 4, v20
	v_cmp_lt_i32_e32 vcc, v17, v21
	v_cndmask_b32_e32 v17, v20, v17, vcc
	v_lshlrev_b32_e32 v22, 2, v17
	v_xor_b32_e32 v17, 2, v20
	v_cmp_lt_i32_e32 vcc, v17, v21
	v_cndmask_b32_e32 v17, v20, v17, vcc
	v_lshlrev_b32_e32 v26, 2, v17
	v_xor_b32_e32 v17, 1, v20
	v_cmp_lt_i32_e32 vcc, v17, v21
	v_mul_u32_u24_e32 v14, 56, v16
	v_cndmask_b32_e32 v17, v20, v17, vcc
	v_cmp_eq_u32_e32 vcc, 0, v16
	v_lshlrev_b32_e32 v16, 5, v0
	v_and_b32_e32 v16, 0x80, v16
	ds_read2_b64 v[2:5], v14 offset1:1
	ds_read2_b64 v[6:9], v14 offset0:2 offset1:3
	ds_read2_b64 v[10:13], v14 offset0:4 offset1:5
	ds_read_b64 v[14:15], v14 offset:48
	v_add_co_u32_e64 v28, s[4:5], v28, v16
	v_addc_co_u32_e64 v29, s[4:5], 0, v29, s[4:5]
	v_lshlrev_b32_e32 v31, 2, v23
	s_sub_i32 s15, 1, s25
	v_lshlrev_b32_e32 v16, 3, v25
	s_lshl_b64 s[4:5], s[28:29], 2
	v_add3_u32 v30, s40, v16, v23
	v_lshl_or_b32 v16, v25, 5, v31
	s_add_u32 s4, s26, s4
	v_lshlrev_b32_e32 v27, 2, v17
	v_add_u32_e32 v31, 0x1d0, v16
	v_lshlrev_b64 v[16:17], 2, v[18:19]
	s_addc_u32 s5, s27, s5
	v_mov_b32_e32 v23, s5
	v_add_co_u32_e64 v16, s[4:5], s4, v16
	s_mov_b32 s41, s13
	v_cmp_neq_f32_e64 s[2:3], s10, 0
	v_addc_co_u32_e64 v17, s[4:5], v23, v17, s[4:5]
	s_mov_b64 s[36:37], 0
	v_mov_b32_e32 v23, 0xff7fffff
	v_mov_b32_e32 v32, v18
	s_branch .LBB22_10
.LBB22_9:                               ;   in Loop: Header=BB22_10 Depth=1
	s_or_b64 exec, exec, s[38:39]
	v_add_u32_e32 v32, 2, v32
	v_cmp_le_i32_e64 s[4:5], s33, v32
	s_or_b64 s[36:37], s[4:5], s[36:37]
	v_add_co_u32_e64 v16, s[4:5], 8, v16
	v_add_u32_e32 v30, 16, v30
	v_add_u32_e32 v31, 64, v31
	v_addc_co_u32_e64 v17, s[4:5], 0, v17, s[4:5]
	s_andn2_b64 exec, exec, s[36:37]
	s_cbranch_execz .LBB22_12
.LBB22_10:                              ; =>This Inner Loop Header: Depth=1
	global_load_dword v33, v[16:17], off
	s_waitcnt vmcnt(0) lgkmcnt(0)
	v_mad_i64_i32 v[34:35], s[4:5], v33, s41, 0
	v_lshlrev_b64 v[34:35], 2, v[34:35]
	v_add_co_u32_e64 v34, s[4:5], v28, v34
	v_addc_co_u32_e64 v35, s[4:5], v29, v35, s[4:5]
	global_load_dword v33, v[34:35], off offset:256
	global_load_dword v36, v[34:35], off
	global_load_dword v37, v[34:35], off offset:512
	global_load_dword v38, v[34:35], off offset:768
	;; [unrolled: 1-line block ×12, first 2 shown]
	s_waitcnt vmcnt(13) lgkmcnt(3)
	v_mul_f32_e32 v33, v3, v33
	s_waitcnt vmcnt(12)
	v_fmac_f32_e32 v33, v2, v36
	s_waitcnt vmcnt(11)
	v_fmac_f32_e32 v33, v4, v37
	s_waitcnt vmcnt(10)
	v_fmac_f32_e32 v33, v5, v38
	s_waitcnt vmcnt(9) lgkmcnt(2)
	v_fmac_f32_e32 v33, v6, v39
	s_waitcnt vmcnt(8)
	v_fmac_f32_e32 v33, v7, v40
	s_waitcnt vmcnt(7)
	v_fmac_f32_e32 v33, v8, v41
	s_waitcnt vmcnt(6)
	v_fmac_f32_e32 v33, v9, v42
	s_waitcnt vmcnt(5) lgkmcnt(1)
	v_fmac_f32_e32 v33, v10, v43
	;; [unrolled: 8-line block ×3, first 2 shown]
	s_waitcnt vmcnt(0)
	v_fmac_f32_e32 v33, v15, v48
	ds_bpermute_b32 v34, v22, v33
	s_waitcnt lgkmcnt(0)
	v_add_f32_e32 v33, v33, v34
	ds_bpermute_b32 v34, v26, v33
	s_waitcnt lgkmcnt(0)
	v_add_f32_e32 v33, v33, v34
	ds_bpermute_b32 v34, v27, v33
	s_and_saveexec_b64 s[38:39], vcc
	s_cbranch_execz .LBB22_9
; %bb.11:                               ;   in Loop: Header=BB22_10 Depth=1
	v_add_u32_e32 v35, s15, v30
	v_cvt_f32_i32_e32 v35, v35
	s_waitcnt lgkmcnt(0)
	v_add_f32_e32 v33, v33, v34
	v_cmp_gt_i32_e64 s[4:5], s25, v30
	v_max_f32_e32 v34, v23, v23
	v_mul_f32_e32 v35, s10, v35
	v_cndmask_b32_e64 v35, 0, v35, s[2:3]
	v_fmac_f32_e32 v35, s11, v33
	v_cndmask_b32_e64 v33, 0, v35, s[4:5]
	ds_write_b32 v31, v33
	v_max_f32_e32 v33, v34, v35
	v_cndmask_b32_e64 v23, v23, v33, s[4:5]
	s_branch .LBB22_9
.LBB22_12:
	s_or_b64 exec, exec, s[36:37]
.LBB22_13:
	s_or_b64 exec, exec, s[34:35]
	v_xor_b32_e32 v2, 32, v20
	v_cmp_lt_i32_e32 vcc, v2, v21
	v_cndmask_b32_e32 v2, v20, v2, vcc
	v_lshlrev_b32_e32 v3, 2, v2
	ds_bpermute_b32 v2, v3, v23
	v_xor_b32_e32 v5, 16, v20
	v_max_f32_e32 v4, v23, v23
	v_cmp_lt_i32_e32 vcc, v5, v21
	v_xor_b32_e32 v6, 8, v20
	s_waitcnt lgkmcnt(0)
	v_max_f32_e32 v2, v2, v2
	v_max_f32_e32 v2, v4, v2
	v_cndmask_b32_e32 v4, v20, v5, vcc
	v_lshlrev_b32_e32 v7, 2, v4
	ds_bpermute_b32 v4, v7, v2
	v_cmp_lt_i32_e32 vcc, v6, v21
	s_waitcnt lgkmcnt(0)
	v_max_f32_e32 v4, v4, v4
	v_max_f32_e32 v5, v2, v4
	v_cndmask_b32_e32 v2, v20, v6, vcc
	v_lshlrev_b32_e32 v8, 2, v2
	ds_bpermute_b32 v6, v8, v5
	v_and_b32_e32 v4, 63, v0
	v_cmp_eq_u32_e32 vcc, 0, v4
	v_lshlrev_b32_e32 v2, 2, v25
	s_and_saveexec_b64 s[2:3], vcc
	s_cbranch_execz .LBB22_15
; %bb.14:
	s_waitcnt lgkmcnt(0)
	v_max_f32_e32 v6, v6, v6
	v_max_f32_e32 v5, v5, v5
	;; [unrolled: 1-line block ×3, first 2 shown]
	ds_write_b32 v2, v5 offset:448
.LBB22_15:
	s_or_b64 exec, exec, s[2:3]
	v_cmp_gt_u32_e64 s[2:3], 2, v4
	v_mov_b32_e32 v5, 0xff7fffff
	s_waitcnt lgkmcnt(0)
	v_lshlrev_b32_e32 v6, 2, v4
	s_barrier
	s_and_saveexec_b64 s[4:5], s[2:3]
	s_cbranch_execz .LBB22_17
; %bb.16:
	ds_read_b32 v5, v6 offset:448
.LBB22_17:
	s_or_b64 exec, exec, s[4:5]
	v_xor_b32_e32 v9, 1, v20
	v_cmp_lt_i32_e64 s[4:5], v9, v21
	v_cndmask_b32_e64 v9, v20, v9, s[4:5]
	v_lshlrev_b32_e32 v26, 2, v9
	s_waitcnt lgkmcnt(0)
	ds_bpermute_b32 v9, v26, v5
	v_max_f32_e32 v5, v5, v5
	s_sub_i32 s4, s33, s7
	s_lshl_b32 s4, s4, 3
	s_add_i32 s4, s4, s40
	s_waitcnt lgkmcnt(0)
	v_max_f32_e32 v9, v9, v9
	v_max_f32_e32 v5, v5, v9
	v_lshlrev_b32_e32 v9, 2, v20
	v_and_b32_e32 v9, 0xffffff00, v9
	ds_bpermute_b32 v5, v9, v5
	s_min_i32 s15, s4, s25
	s_sub_i32 s7, s15, s40
	v_cmp_gt_i32_e64 s[4:5], s7, v0
	v_mov_b32_e32 v10, 0
	s_and_saveexec_b64 s[34:35], s[4:5]
	s_cbranch_execz .LBB22_21
; %bb.18:
	v_mov_b32_e32 v10, 0x1d0
	v_lshl_add_u32 v11, v0, 2, v10
	s_mov_b64 s[36:37], 0
	v_mov_b32_e32 v10, 0
	v_mov_b32_e32 v12, v0
.LBB22_19:                              ; =>This Inner Loop Header: Depth=1
	ds_read_b32 v13, v11
	v_add_u32_e32 v12, 0x80, v12
	v_cmp_le_i32_e64 s[10:11], s7, v12
	s_or_b64 s[36:37], s[10:11], s[36:37]
	s_waitcnt lgkmcnt(0)
	v_sub_f32_e32 v13, v13, v5
	v_mul_f32_e32 v13, 0x3fb8aa3b, v13
	v_exp_f32_e32 v13, v13
	ds_write_b32 v11, v13
	v_add_f32_e32 v10, v10, v13
	v_add_u32_e32 v11, 0x200, v11
	s_andn2_b64 exec, exec, s[36:37]
	s_cbranch_execnz .LBB22_19
; %bb.20:
	s_or_b64 exec, exec, s[36:37]
.LBB22_21:
	s_or_b64 exec, exec, s[34:35]
	ds_bpermute_b32 v3, v3, v10
	s_waitcnt lgkmcnt(0)
	v_add_f32_e32 v3, v10, v3
	ds_bpermute_b32 v7, v7, v3
	s_waitcnt lgkmcnt(0)
	v_add_f32_e32 v3, v3, v7
	ds_bpermute_b32 v7, v8, v3
	v_xor_b32_e32 v8, 4, v20
	v_cmp_lt_i32_e64 s[10:11], v8, v21
	v_cndmask_b32_e64 v8, v20, v8, s[10:11]
	v_lshlrev_b32_e32 v8, 2, v8
	s_waitcnt lgkmcnt(0)
	v_add_f32_e32 v3, v3, v7
	ds_bpermute_b32 v7, v8, v3
	v_xor_b32_e32 v8, 2, v20
	v_cmp_lt_i32_e64 s[10:11], v8, v21
	v_cndmask_b32_e64 v8, v20, v8, s[10:11]
	s_waitcnt lgkmcnt(0)
	v_add_f32_e32 v3, v3, v7
	v_lshlrev_b32_e32 v7, 2, v8
	ds_bpermute_b32 v7, v7, v3
	s_waitcnt lgkmcnt(0)
	v_add_f32_e32 v3, v3, v7
	ds_bpermute_b32 v7, v26, v3
	s_waitcnt lgkmcnt(0)
	v_add_f32_e32 v3, v3, v7
	s_and_saveexec_b64 s[10:11], vcc
	s_cbranch_execz .LBB22_23
; %bb.22:
	ds_write_b32 v2, v3 offset:456
.LBB22_23:
	s_or_b64 exec, exec, s[10:11]
	s_waitcnt lgkmcnt(0)
	s_barrier
	s_and_saveexec_b64 s[10:11], s[2:3]
	s_cbranch_execz .LBB22_25
; %bb.24:
	ds_read_b32 v3, v6 offset:456
.LBB22_25:
	s_or_b64 exec, exec, s[10:11]
	s_waitcnt lgkmcnt(0)
	ds_bpermute_b32 v2, v26, v3
	s_waitcnt lgkmcnt(0)
	v_add_f32_e32 v2, v3, v2
	ds_bpermute_b32 v6, v9, v2
	s_and_saveexec_b64 s[2:3], s[4:5]
	s_cbranch_execz .LBB22_38
; %bb.26:
	s_waitcnt lgkmcnt(0)
	v_add_f32_e32 v2, 0x358637bd, v6
	v_div_scale_f32 v3, s[4:5], v2, v2, 1.0
	v_rcp_f32_e32 v7, v3
	v_div_scale_f32 v8, vcc, 1.0, v2, 1.0
	s_movk_i32 s4, 0x7f
	v_fma_f32 v9, -v3, v7, 1.0
	v_fmac_f32_e32 v7, v9, v7
	v_mul_f32_e32 v9, v8, v7
	v_fma_f32 v10, -v3, v9, v8
	v_fmac_f32_e32 v9, v10, v7
	v_fma_f32 v3, -v3, v9, v8
	v_div_fmas_f32 v3, v3, v7, v9
	v_div_fixup_f32 v2, v3, v2, 1.0
	v_xad_u32 v3, v0, -1, s15
	v_subrev_u32_e32 v7, s40, v3
	v_cmp_lt_u32_e32 vcc, s4, v7
	s_mov_b64 s[10:11], -1
	v_mov_b32_e32 v3, v0
	s_and_saveexec_b64 s[4:5], vcc
	s_cbranch_execz .LBB22_35
; %bb.27:
	v_lshrrev_b32_e32 v7, 7, v7
	v_add_u32_e32 v9, -1, v7
	v_lshrrev_b32_e32 v8, 1, v9
	v_mov_b32_e32 v3, v2
	v_add_u32_e32 v8, 1, v8
	v_cmp_lt_u32_e32 vcc, 13, v9
	v_mov_b32_e32 v11, 0
	s_and_saveexec_b64 s[10:11], vcc
	s_cbranch_execz .LBB22_31
; %bb.28:
	v_mov_b32_e32 v10, 0x1d0
	v_and_b32_e32 v9, -8, v8
	v_lshl_add_u32 v10, v0, 2, v10
	s_mov_b32 s15, 0
	s_mov_b64 s[34:35], 0
.LBB22_29:                              ; =>This Inner Loop Header: Depth=1
	ds_read2st64_b32 v[12:13], v10 offset1:2
	ds_read2st64_b32 v[14:15], v10 offset0:4 offset1:6
	ds_read2st64_b32 v[16:17], v10 offset0:8 offset1:10
	;; [unrolled: 1-line block ×3, first 2 shown]
	v_add_u32_e32 v9, -8, v9
	s_waitcnt lgkmcnt(3)
	v_pk_mul_f32 v[12:13], v[2:3], v[12:13]
	s_waitcnt lgkmcnt(2)
	v_pk_mul_f32 v[14:15], v[2:3], v[14:15]
	ds_write2st64_b32 v10, v12, v13 offset1:2
	ds_write2st64_b32 v10, v14, v15 offset0:4 offset1:6
	ds_read2st64_b32 v[14:15], v10 offset0:16 offset1:18
	s_waitcnt lgkmcnt(4)
	v_pk_mul_f32 v[12:13], v[2:3], v[16:17]
	ds_write2st64_b32 v10, v12, v13 offset0:8 offset1:10
	s_waitcnt lgkmcnt(4)
	v_pk_mul_f32 v[12:13], v[2:3], v[20:21]
	ds_write2st64_b32 v10, v12, v13 offset0:12 offset1:14
	ds_read2st64_b32 v[12:13], v10 offset0:20 offset1:22
	s_waitcnt lgkmcnt(3)
	v_pk_mul_f32 v[14:15], v[2:3], v[14:15]
	ds_read2st64_b32 v[16:17], v10 offset0:24 offset1:26
	ds_write2st64_b32 v10, v14, v15 offset0:16 offset1:18
	ds_read2st64_b32 v[14:15], v10 offset0:28 offset1:30
	s_waitcnt lgkmcnt(3)
	v_pk_mul_f32 v[12:13], v[2:3], v[12:13]
	ds_write2st64_b32 v10, v12, v13 offset0:20 offset1:22
	s_waitcnt lgkmcnt(3)
	v_pk_mul_f32 v[12:13], v[2:3], v[16:17]
	ds_write2st64_b32 v10, v12, v13 offset0:24 offset1:26
	s_waitcnt lgkmcnt(2)
	v_pk_mul_f32 v[12:13], v[2:3], v[14:15]
	s_add_i32 s15, s15, 16
	v_cmp_eq_u32_e32 vcc, 0, v9
	ds_write2st64_b32 v10, v12, v13 offset0:28 offset1:30
	v_add_u32_e32 v10, 0x2000, v10
	s_or_b64 s[34:35], vcc, s[34:35]
	v_mov_b32_e32 v11, s15
	s_andn2_b64 exec, exec, s[34:35]
	s_cbranch_execnz .LBB22_29
; %bb.30:
	s_or_b64 exec, exec, s[34:35]
.LBB22_31:
	s_or_b64 exec, exec, s[10:11]
	v_and_b32_e32 v8, 7, v8
	v_cmp_ne_u32_e32 vcc, 0, v8
	s_and_saveexec_b64 s[10:11], vcc
	s_cbranch_execz .LBB22_34
; %bb.32:
	v_lshlrev_b32_e32 v9, 9, v11
	s_movk_i32 s15, 0x1d0
	v_add3_u32 v9, v9, v24, s15
	s_mov_b64 s[34:35], 0
.LBB22_33:                              ; =>This Inner Loop Header: Depth=1
	ds_read2st64_b32 v[10:11], v9 offset1:2
	v_add_u32_e32 v8, -1, v8
	v_cmp_eq_u32_e32 vcc, 0, v8
	s_or_b64 s[34:35], vcc, s[34:35]
	s_waitcnt lgkmcnt(0)
	v_pk_mul_f32 v[10:11], v[2:3], v[10:11]
	ds_write2st64_b32 v9, v10, v11 offset1:2
	v_add_u32_e32 v9, 0x400, v9
	s_andn2_b64 exec, exec, s[34:35]
	s_cbranch_execnz .LBB22_33
.LBB22_34:
	s_or_b64 exec, exec, s[10:11]
	v_add_u32_e32 v7, 1, v7
	v_and_b32_e32 v8, 0x3fffffe, v7
	v_cmp_ne_u32_e32 vcc, v7, v8
	v_lshl_add_u32 v3, v8, 7, v0
	s_orn2_b64 s[10:11], vcc, exec
.LBB22_35:
	s_or_b64 exec, exec, s[4:5]
	s_and_b64 exec, exec, s[10:11]
	s_cbranch_execz .LBB22_38
; %bb.36:
	v_mov_b32_e32 v7, 0x1d0
	v_lshl_add_u32 v7, v3, 2, v7
	s_mov_b64 s[4:5], 0
.LBB22_37:                              ; =>This Inner Loop Header: Depth=1
	ds_read_b32 v8, v7
	v_add_u32_e32 v3, 0x80, v3
	v_cmp_le_i32_e32 vcc, s7, v3
	s_or_b64 s[4:5], vcc, s[4:5]
	s_waitcnt lgkmcnt(0)
	v_mul_f32_e32 v8, v2, v8
	ds_write_b32 v7, v8
	v_add_u32_e32 v7, 0x200, v7
	s_andn2_b64 exec, exec, s[4:5]
	s_cbranch_execnz .LBB22_37
.LBB22_38:
	s_or_b64 exec, exec, s[2:3]
	s_mul_i32 s2, s21, s24
	v_cmp_eq_u32_e32 vcc, 0, v0
	s_mul_i32 s4, s2, s9
	s_waitcnt lgkmcnt(0)
	s_barrier
	s_and_saveexec_b64 s[2:3], vcc
	s_cbranch_execz .LBB22_40
; %bb.39:
	s_ashr_i32 s5, s4, 31
	s_lshl_b64 s[10:11], s[4:5], 2
	s_add_u32 s5, s18, s10
	s_mul_i32 s6, s21, s6
	s_addc_u32 s9, s19, s11
	s_ashr_i32 s7, s6, 31
	s_lshl_b64 s[6:7], s[6:7], 2
	s_add_u32 s5, s5, s6
	s_addc_u32 s15, s9, s7
	s_ashr_i32 s9, s8, 31
	s_lshl_b64 s[18:19], s[8:9], 2
	s_add_u32 s34, s5, s18
	s_addc_u32 s35, s15, s19
	s_add_u32 s5, s16, s10
	s_addc_u32 s9, s17, s11
	;; [unrolled: 2-line block ×3, first 2 shown]
	s_add_u32 s6, s5, s18
	v_mov_b32_e32 v2, 0
	s_addc_u32 s7, s7, s19
	global_store_dword v2, v5, s[34:35]
	global_store_dword v2, v6, s[6:7]
.LBB22_40:
	s_or_b64 exec, exec, s[2:3]
	v_mov_b32_e32 v23, 0
	v_lshrrev_b32_e32 v28, 1, v4
	v_and_b32_e32 v27, 1, v0
	v_mov_b32_e32 v22, v23
	v_mov_b32_e32 v21, v23
	;; [unrolled: 1-line block ×3, first 2 shown]
	s_and_saveexec_b64 s[6:7], s[0:1]
	s_cbranch_execz .LBB22_54
; %bb.41:
	s_ashr_i32 s15, s14, 31
	s_lshl_b64 s[0:1], s[14:15], 2
	s_add_u32 s9, s30, s0
	v_or_b32_e32 v4, 0x60, v28
	s_movk_i32 s0, 0x70
	v_and_b32_e32 v3, 4, v24
	s_addc_u32 s2, s31, s1
	s_add_i32 s14, s12, -1
	v_cmp_gt_u32_e32 vcc, s0, v4
	v_lshl_add_u32 v5, v25, 3, s40
	s_lshl_b64 s[0:1], s[28:29], 2
	v_lshl_or_b32 v2, v28, 3, v3
	v_lshl_or_b32 v4, v4, 3, v3
	v_add3_u32 v29, v5, v3, 3
	v_lshlrev_b32_e32 v3, 4, v27
	s_add_u32 s0, s26, s0
	v_lshl_or_b32 v3, v25, 5, v3
	v_lshlrev_b64 v[6:7], 2, v[18:19]
	s_addc_u32 s1, s27, s1
	v_mov_b32_e32 v20, 0
	v_add_u32_e32 v30, 0x1d0, v3
	v_mov_b32_e32 v3, s1
	v_add_co_u32_e64 v24, s[0:1], s0, v6
	s_mov_b32 s5, s13
	v_addc_co_u32_e64 v25, s[0:1], v3, v7, s[0:1]
	s_mov_b64 s[10:11], 0
	v_mov_b32_e32 v19, s2
	v_lshlrev_b32_e32 v31, 2, v2
	v_lshlrev_b32_e32 v32, 2, v4
	v_mov_b32_e32 v21, v20
	v_mov_b32_e32 v22, v20
	;; [unrolled: 1-line block ×3, first 2 shown]
	s_branch .LBB22_44
.LBB22_42:                              ;   in Loop: Header=BB22_44 Depth=1
	s_or_b64 exec, exec, s[2:3]
	s_waitcnt vmcnt(0)
	v_mul_f32_e32 v3, v3, v7
	v_fmac_f32_e32 v3, v2, v6
	v_fmac_f32_e32 v3, v4, v8
	v_fmac_f32_e32 v3, v5, v9
	v_add_f32_e32 v23, v23, v3
.LBB22_43:                              ;   in Loop: Header=BB22_44 Depth=1
	s_or_b64 exec, exec, s[12:13]
	v_add_u32_e32 v18, 2, v18
	v_cmp_le_i32_e64 s[0:1], s33, v18
	s_or_b64 s[10:11], s[0:1], s[10:11]
	v_add_co_u32_e64 v24, s[0:1], 8, v24
	v_add_u32_e32 v29, 16, v29
	v_add_u32_e32 v30, 64, v30
	v_addc_co_u32_e64 v25, s[0:1], 0, v25, s[0:1]
	s_andn2_b64 exec, exec, s[10:11]
	s_cbranch_execz .LBB22_53
.LBB22_44:                              ; =>This Inner Loop Header: Depth=1
	global_load_dword v2, v[24:25], off
	v_add_u32_e32 v33, -3, v29
	s_waitcnt vmcnt(0)
	v_mad_i64_i32 v[2:3], s[0:1], v2, s5, 0
	v_lshlrev_b64 v[2:3], 2, v[2:3]
	v_add_co_u32_e64 v34, s[0:1], s9, v2
	v_addc_co_u32_e64 v35, s[0:1], v19, v3, s[0:1]
	v_add_co_u32_e64 v14, s[0:1], v34, v31
	v_addc_co_u32_e64 v15, s[0:1], 0, v35, s[0:1]
	global_load_dwordx4 v[6:9], v[14:15], off
	ds_read_b128 v[2:5], v30
	v_cmp_eq_u32_e64 s[0:1], s14, v18
	s_and_saveexec_b64 s[12:13], s[0:1]
	s_cbranch_execnz .LBB22_51
; %bb.45:                               ;   in Loop: Header=BB22_44 Depth=1
	s_or_b64 exec, exec, s[12:13]
	global_load_dwordx4 v[10:13], v[14:15], off offset:1024
	s_and_saveexec_b64 s[12:13], s[0:1]
	s_cbranch_execnz .LBB22_52
.LBB22_46:                              ;   in Loop: Header=BB22_44 Depth=1
	s_or_b64 exec, exec, s[12:13]
	global_load_dwordx4 v[14:17], v[14:15], off offset:2048
	s_and_saveexec_b64 s[12:13], s[0:1]
	s_cbranch_execz .LBB22_48
.LBB22_47:                              ;   in Loop: Header=BB22_44 Depth=1
	v_cmp_gt_i32_e64 s[2:3], s25, v33
	v_add_u32_e32 v36, -2, v29
	s_waitcnt vmcnt(0)
	v_cndmask_b32_e64 v14, 0, v14, s[2:3]
	v_cmp_gt_i32_e64 s[2:3], s25, v36
	v_add_u32_e32 v36, -1, v29
	v_cndmask_b32_e64 v15, 0, v15, s[2:3]
	v_cmp_gt_i32_e64 s[2:3], s25, v36
	v_cndmask_b32_e64 v16, 0, v16, s[2:3]
	v_cmp_gt_i32_e64 s[2:3], s25, v29
	v_cndmask_b32_e64 v17, 0, v17, s[2:3]
.LBB22_48:                              ;   in Loop: Header=BB22_44 Depth=1
	s_or_b64 exec, exec, s[12:13]
	s_waitcnt vmcnt(2) lgkmcnt(0)
	v_mul_f32_e32 v7, v3, v7
	v_fmac_f32_e32 v7, v2, v6
	s_waitcnt vmcnt(1)
	v_mul_f32_e32 v6, v3, v11
	v_fmac_f32_e32 v6, v2, v10
	v_fmac_f32_e32 v6, v4, v12
	;; [unrolled: 1-line block ×3, first 2 shown]
	v_add_f32_e32 v21, v21, v6
	s_waitcnt vmcnt(0)
	v_mul_f32_e32 v6, v3, v15
	v_fmac_f32_e32 v6, v2, v14
	v_fmac_f32_e32 v7, v4, v8
	v_fmac_f32_e32 v6, v4, v16
	v_fmac_f32_e32 v7, v5, v9
	v_fmac_f32_e32 v6, v5, v17
	v_add_f32_e32 v20, v20, v7
	v_add_f32_e32 v22, v22, v6
	s_and_saveexec_b64 s[12:13], vcc
	s_cbranch_execz .LBB22_43
; %bb.49:                               ;   in Loop: Header=BB22_44 Depth=1
	v_add_co_u32_e64 v6, s[2:3], v34, v32
	v_addc_co_u32_e64 v7, s[2:3], 0, v35, s[2:3]
	global_load_dwordx4 v[6:9], v[6:7], off
	s_and_saveexec_b64 s[2:3], s[0:1]
	s_cbranch_execz .LBB22_42
; %bb.50:                               ;   in Loop: Header=BB22_44 Depth=1
	v_cmp_gt_i32_e64 s[0:1], s25, v33
	v_add_u32_e32 v10, -2, v29
	s_waitcnt vmcnt(0)
	v_cndmask_b32_e64 v6, 0, v6, s[0:1]
	v_cmp_gt_i32_e64 s[0:1], s25, v10
	v_add_u32_e32 v10, -1, v29
	v_cndmask_b32_e64 v7, 0, v7, s[0:1]
	v_cmp_gt_i32_e64 s[0:1], s25, v10
	v_cndmask_b32_e64 v8, 0, v8, s[0:1]
	v_cmp_gt_i32_e64 s[0:1], s25, v29
	v_cndmask_b32_e64 v9, 0, v9, s[0:1]
	s_branch .LBB22_42
.LBB22_51:                              ;   in Loop: Header=BB22_44 Depth=1
	v_cmp_gt_i32_e64 s[2:3], s25, v33
	v_add_u32_e32 v10, -2, v29
	s_waitcnt vmcnt(0)
	v_cndmask_b32_e64 v6, 0, v6, s[2:3]
	v_cmp_gt_i32_e64 s[2:3], s25, v10
	v_add_u32_e32 v10, -1, v29
	v_cndmask_b32_e64 v7, 0, v7, s[2:3]
	v_cmp_gt_i32_e64 s[2:3], s25, v10
	v_cndmask_b32_e64 v8, 0, v8, s[2:3]
	v_cmp_gt_i32_e64 s[2:3], s25, v29
	v_cndmask_b32_e64 v9, 0, v9, s[2:3]
	s_or_b64 exec, exec, s[12:13]
	global_load_dwordx4 v[10:13], v[14:15], off offset:1024
	s_and_saveexec_b64 s[12:13], s[0:1]
	s_cbranch_execz .LBB22_46
.LBB22_52:                              ;   in Loop: Header=BB22_44 Depth=1
	v_cmp_gt_i32_e64 s[2:3], s25, v33
	v_add_u32_e32 v16, -2, v29
	s_waitcnt vmcnt(0)
	v_cndmask_b32_e64 v10, 0, v10, s[2:3]
	v_cmp_gt_i32_e64 s[2:3], s25, v16
	v_add_u32_e32 v16, -1, v29
	v_cndmask_b32_e64 v11, 0, v11, s[2:3]
	v_cmp_gt_i32_e64 s[2:3], s25, v16
	v_cndmask_b32_e64 v12, 0, v12, s[2:3]
	v_cmp_gt_i32_e64 s[2:3], s25, v29
	v_cndmask_b32_e64 v13, 0, v13, s[2:3]
	s_or_b64 exec, exec, s[12:13]
	global_load_dwordx4 v[14:17], v[14:15], off offset:2048
	s_and_saveexec_b64 s[12:13], s[0:1]
	s_cbranch_execnz .LBB22_47
	s_branch .LBB22_48
.LBB22_53:
	s_or_b64 exec, exec, s[10:11]
.LBB22_54:
	s_or_b64 exec, exec, s[6:7]
	ds_bpermute_b32 v2, v26, v20
	ds_bpermute_b32 v3, v26, v21
	;; [unrolled: 1-line block ×4, first 2 shown]
	s_waitcnt lgkmcnt(0)
	s_barrier
	v_pk_add_f32 v[4:5], v[20:21], v[2:3]
	v_pk_add_f32 v[2:3], v[22:23], v[6:7]
	v_and_b32_e32 v6, 0x3c0, v0
	v_cmp_eq_u32_e32 vcc, 64, v6
	s_and_saveexec_b64 s[2:3], vcc
	s_cbranch_execz .LBB22_59
; %bb.55:
	v_cmp_eq_u32_e32 vcc, 0, v27
	s_and_saveexec_b64 s[0:1], vcc
	s_cbranch_execz .LBB22_57
; %bb.56:
	v_mov_b32_e32 v6, 0x1d0
	v_lshl_add_u32 v6, v28, 2, v6
	ds_write2_b32 v6, v4, v5 offset1:32
	ds_write_b32 v6, v2 offset:256
.LBB22_57:
	s_or_b64 exec, exec, s[0:1]
	v_or_b32_e32 v6, 0x60, v28
	s_movk_i32 s0, 0x70
	v_cmp_gt_u32_e64 s[0:1], s0, v6
	s_and_b64 s[0:1], vcc, s[0:1]
	s_and_b64 exec, exec, s[0:1]
	s_cbranch_execz .LBB22_59
; %bb.58:
	v_mov_b32_e32 v6, 0x1d0
	v_lshl_add_u32 v6, v28, 2, v6
	ds_write_b32 v6, v3 offset:384
.LBB22_59:
	s_or_b64 exec, exec, s[2:3]
	v_cmp_gt_u32_e32 vcc, 64, v0
	s_waitcnt lgkmcnt(0)
	s_barrier
	s_and_saveexec_b64 s[6:7], vcc
	s_cbranch_execz .LBB22_67
; %bb.60:
	v_cmp_eq_u32_e64 s[0:1], 0, v27
	s_and_saveexec_b64 s[2:3], s[0:1]
	s_cbranch_execnz .LBB22_73
; %bb.61:
	s_or_b64 exec, exec, s[2:3]
	s_and_saveexec_b64 s[2:3], s[0:1]
	s_cbranch_execnz .LBB22_74
.LBB22_62:
	s_or_b64 exec, exec, s[2:3]
	s_and_saveexec_b64 s[2:3], s[0:1]
	s_cbranch_execz .LBB22_64
.LBB22_63:
	v_mov_b32_e32 v0, 0x1d0
	v_lshl_add_u32 v0, v1, 2, v0
	ds_read_b32 v0, v0 offset:256
	s_waitcnt lgkmcnt(0)
	v_add_f32_e32 v2, v2, v0
.LBB22_64:
	s_or_b64 exec, exec, s[2:3]
	v_or_b32_e32 v0, 0x60, v1
	s_movk_i32 s2, 0x70
	v_cmp_gt_u32_e64 s[2:3], s2, v0
	s_and_b64 s[2:3], s[0:1], s[2:3]
	s_and_saveexec_b64 s[0:1], s[2:3]
	s_cbranch_execz .LBB22_66
; %bb.65:
	v_mov_b32_e32 v0, 0x1d0
	v_lshl_add_u32 v0, v1, 2, v0
	ds_read_b32 v0, v0 offset:384
	s_waitcnt lgkmcnt(0)
	v_add_f32_e32 v3, v3, v0
.LBB22_66:
	s_or_b64 exec, exec, s[0:1]
.LBB22_67:
	s_or_b64 exec, exec, s[6:7]
	s_barrier
	s_and_saveexec_b64 s[0:1], vcc
	s_cbranch_execz .LBB22_72
; %bb.68:
	s_mul_i32 s0, s4, 0x70
	s_ashr_i32 s1, s0, 31
	s_lshl_b64 s[0:1], s[0:1], 2
	s_add_u32 s2, s22, s0
	s_mul_i32 s0, s21, s20
	s_addc_u32 s3, s23, s1
	s_ashr_i32 s1, s0, 31
	s_lshl_b64 s[0:1], s[0:1], 2
	s_add_u32 s2, s2, s0
	s_mul_i32 s0, s8, 0x70
	s_addc_u32 s3, s3, s1
	s_ashr_i32 s1, s0, 31
	s_lshl_b64 s[0:1], s[0:1], 2
	s_add_u32 s2, s2, s0
	s_movk_i32 s5, 0x70
	s_addc_u32 s3, s3, s1
	v_cmp_eq_u32_e32 vcc, 0, v27
	v_lshlrev_b32_e32 v0, 2, v1
	s_and_saveexec_b64 s[0:1], vcc
	s_cbranch_execz .LBB22_70
; %bb.69:
	global_store_dword v0, v4, s[2:3]
	global_store_dword v0, v5, s[2:3] offset:128
	global_store_dword v0, v2, s[2:3] offset:256
.LBB22_70:
	s_or_b64 exec, exec, s[0:1]
	v_or_b32_e32 v1, 0x60, v1
	v_cmp_gt_u32_e64 s[0:1], s5, v1
	s_and_b64 s[0:1], vcc, s[0:1]
	s_and_b64 exec, exec, s[0:1]
	s_cbranch_execz .LBB22_72
; %bb.71:
	global_store_dword v0, v3, s[2:3] offset:384
.LBB22_72:
	s_endpgm
.LBB22_73:
	v_mov_b32_e32 v0, 0x1d0
	v_lshl_add_u32 v0, v1, 2, v0
	ds_read_b32 v0, v0
	s_waitcnt lgkmcnt(0)
	v_add_f32_e32 v4, v4, v0
	s_or_b64 exec, exec, s[2:3]
	s_and_saveexec_b64 s[2:3], s[0:1]
	s_cbranch_execz .LBB22_62
.LBB22_74:
	v_mov_b32_e32 v0, 0x1d0
	v_lshl_add_u32 v0, v1, 2, v0
	ds_read_b32 v0, v0 offset:128
	s_waitcnt lgkmcnt(0)
	v_add_f32_e32 v5, v5, v0
	s_or_b64 exec, exec, s[2:3]
	s_and_saveexec_b64 s[2:3], s[0:1]
	s_cbranch_execnz .LBB22_63
	s_branch .LBB22_64
	.section	.rodata,"a",@progbits
	.p2align	6, 0x0
	.amdhsa_kernel _ZN4vllm25paged_attention_v2_kernelIffLi112ELi8ELi128ELNS_18Fp8KVCacheDataTypeE0ELb0ELi512EEEvPfS2_PT_PKS3_PKT0_S9_ifPKiSB_iPKfiiiSD_SD_iiiii
		.amdhsa_group_segment_fixed_size 464
		.amdhsa_private_segment_fixed_size 0
		.amdhsa_kernarg_size 400
		.amdhsa_user_sgpr_count 6
		.amdhsa_user_sgpr_private_segment_buffer 1
		.amdhsa_user_sgpr_dispatch_ptr 0
		.amdhsa_user_sgpr_queue_ptr 0
		.amdhsa_user_sgpr_kernarg_segment_ptr 1
		.amdhsa_user_sgpr_dispatch_id 0
		.amdhsa_user_sgpr_flat_scratch_init 0
		.amdhsa_user_sgpr_kernarg_preload_length 0
		.amdhsa_user_sgpr_kernarg_preload_offset 0
		.amdhsa_user_sgpr_private_segment_size 0
		.amdhsa_uses_dynamic_stack 0
		.amdhsa_system_sgpr_private_segment_wavefront_offset 0
		.amdhsa_system_sgpr_workgroup_id_x 1
		.amdhsa_system_sgpr_workgroup_id_y 1
		.amdhsa_system_sgpr_workgroup_id_z 1
		.amdhsa_system_sgpr_workgroup_info 0
		.amdhsa_system_vgpr_workitem_id 0
		.amdhsa_next_free_vgpr 49
		.amdhsa_next_free_sgpr 42
		.amdhsa_accum_offset 52
		.amdhsa_reserve_vcc 1
		.amdhsa_reserve_flat_scratch 0
		.amdhsa_float_round_mode_32 0
		.amdhsa_float_round_mode_16_64 0
		.amdhsa_float_denorm_mode_32 3
		.amdhsa_float_denorm_mode_16_64 3
		.amdhsa_dx10_clamp 1
		.amdhsa_ieee_mode 1
		.amdhsa_fp16_overflow 0
		.amdhsa_tg_split 0
		.amdhsa_exception_fp_ieee_invalid_op 0
		.amdhsa_exception_fp_denorm_src 0
		.amdhsa_exception_fp_ieee_div_zero 0
		.amdhsa_exception_fp_ieee_overflow 0
		.amdhsa_exception_fp_ieee_underflow 0
		.amdhsa_exception_fp_ieee_inexact 0
		.amdhsa_exception_int_div_zero 0
	.end_amdhsa_kernel
	.section	.text._ZN4vllm25paged_attention_v2_kernelIffLi112ELi8ELi128ELNS_18Fp8KVCacheDataTypeE0ELb0ELi512EEEvPfS2_PT_PKS3_PKT0_S9_ifPKiSB_iPKfiiiSD_SD_iiiii,"axG",@progbits,_ZN4vllm25paged_attention_v2_kernelIffLi112ELi8ELi128ELNS_18Fp8KVCacheDataTypeE0ELb0ELi512EEEvPfS2_PT_PKS3_PKT0_S9_ifPKiSB_iPKfiiiSD_SD_iiiii,comdat
.Lfunc_end22:
	.size	_ZN4vllm25paged_attention_v2_kernelIffLi112ELi8ELi128ELNS_18Fp8KVCacheDataTypeE0ELb0ELi512EEEvPfS2_PT_PKS3_PKT0_S9_ifPKiSB_iPKfiiiSD_SD_iiiii, .Lfunc_end22-_ZN4vllm25paged_attention_v2_kernelIffLi112ELi8ELi128ELNS_18Fp8KVCacheDataTypeE0ELb0ELi512EEEvPfS2_PT_PKS3_PKT0_S9_ifPKiSB_iPKfiiiSD_SD_iiiii
                                        ; -- End function
	.section	.AMDGPU.csdata,"",@progbits
; Kernel info:
; codeLenInByte = 4376
; NumSgprs: 46
; NumVgprs: 49
; NumAgprs: 0
; TotalNumVgprs: 49
; ScratchSize: 0
; MemoryBound: 0
; FloatMode: 240
; IeeeMode: 1
; LDSByteSize: 464 bytes/workgroup (compile time only)
; SGPRBlocks: 5
; VGPRBlocks: 6
; NumSGPRsForWavesPerEU: 46
; NumVGPRsForWavesPerEU: 49
; AccumOffset: 52
; Occupancy: 8
; WaveLimiterHint : 1
; COMPUTE_PGM_RSRC2:SCRATCH_EN: 0
; COMPUTE_PGM_RSRC2:USER_SGPR: 6
; COMPUTE_PGM_RSRC2:TRAP_HANDLER: 0
; COMPUTE_PGM_RSRC2:TGID_X_EN: 1
; COMPUTE_PGM_RSRC2:TGID_Y_EN: 1
; COMPUTE_PGM_RSRC2:TGID_Z_EN: 1
; COMPUTE_PGM_RSRC2:TIDIG_COMP_CNT: 0
; COMPUTE_PGM_RSRC3_GFX90A:ACCUM_OFFSET: 12
; COMPUTE_PGM_RSRC3_GFX90A:TG_SPLIT: 0
	.section	.text._ZN4vllm25paged_attention_v2_kernelIffLi120ELi8ELi128ELNS_18Fp8KVCacheDataTypeE0ELb0ELi512EEEvPfS2_PT_PKS3_PKT0_S9_ifPKiSB_iPKfiiiSD_SD_iiiii,"axG",@progbits,_ZN4vllm25paged_attention_v2_kernelIffLi120ELi8ELi128ELNS_18Fp8KVCacheDataTypeE0ELb0ELi512EEEvPfS2_PT_PKS3_PKT0_S9_ifPKiSB_iPKfiiiSD_SD_iiiii,comdat
	.protected	_ZN4vllm25paged_attention_v2_kernelIffLi120ELi8ELi128ELNS_18Fp8KVCacheDataTypeE0ELb0ELi512EEEvPfS2_PT_PKS3_PKT0_S9_ifPKiSB_iPKfiiiSD_SD_iiiii ; -- Begin function _ZN4vllm25paged_attention_v2_kernelIffLi120ELi8ELi128ELNS_18Fp8KVCacheDataTypeE0ELb0ELi512EEEvPfS2_PT_PKS3_PKT0_S9_ifPKiSB_iPKfiiiSD_SD_iiiii
	.globl	_ZN4vllm25paged_attention_v2_kernelIffLi120ELi8ELi128ELNS_18Fp8KVCacheDataTypeE0ELb0ELi512EEEvPfS2_PT_PKS3_PKT0_S9_ifPKiSB_iPKfiiiSD_SD_iiiii
	.p2align	8
	.type	_ZN4vllm25paged_attention_v2_kernelIffLi120ELi8ELi128ELNS_18Fp8KVCacheDataTypeE0ELb0ELi512EEEvPfS2_PT_PKS3_PKT0_S9_ifPKiSB_iPKfiiiSD_SD_iiiii,@function
_ZN4vllm25paged_attention_v2_kernelIffLi120ELi8ELi128ELNS_18Fp8KVCacheDataTypeE0ELb0ELi512EEEvPfS2_PT_PKS3_PKT0_S9_ifPKiSB_iPKfiiiSD_SD_iiiii: ; @_ZN4vllm25paged_attention_v2_kernelIffLi120ELi8ELi128ELNS_18Fp8KVCacheDataTypeE0ELb0ELi512EEEvPfS2_PT_PKS3_PKT0_S9_ifPKiSB_iPKfiiiSD_SD_iiiii
; %bb.0:
	s_load_dwordx2 s[0:1], s[4:5], 0x40
	s_mov_b32 s24, s7
	s_ashr_i32 s25, s7, 31
	s_lshl_b64 s[2:3], s[24:25], 2
	s_waitcnt lgkmcnt(0)
	s_add_u32 s0, s0, s2
	s_addc_u32 s1, s1, s3
	s_load_dword s25, s[0:1], 0x0
	s_lshl_b32 s40, s8, 9
	s_waitcnt lgkmcnt(0)
	s_cmp_ge_i32 s40, s25
	s_cbranch_scc1 .LBB23_72
; %bb.1:
	s_load_dword s9, s[4:5], 0x90
	s_load_dwordx2 s[10:11], s[4:5], 0x30
	s_waitcnt lgkmcnt(0)
	s_abs_i32 s2, s9
	s_abs_i32 s0, s10
	v_cvt_f32_u32_e32 v1, s0
	s_sub_i32 s3, 0, s0
	s_xor_b32 s1, s9, s10
	s_ashr_i32 s1, s1, 31
	v_rcp_iflag_f32_e32 v1, v1
	v_mul_f32_e32 v1, 0x4f7ffffe, v1
	v_cvt_u32_f32_e32 v1, v1
	v_readfirstlane_b32 s7, v1
	s_mul_i32 s3, s3, s7
	s_mul_hi_u32 s3, s7, s3
	s_add_i32 s7, s7, s3
	s_mul_hi_u32 s3, s2, s7
	s_mul_i32 s7, s3, s0
	s_sub_i32 s2, s2, s7
	s_add_i32 s10, s3, 1
	s_sub_i32 s7, s2, s0
	s_cmp_ge_u32 s2, s0
	s_cselect_b32 s3, s10, s3
	s_cselect_b32 s2, s7, s2
	s_add_i32 s7, s3, 1
	s_cmp_ge_u32 s2, s0
	s_cselect_b32 s0, s7, s3
	s_xor_b32 s0, s0, s1
	s_sub_i32 s12, s0, s1
	s_abs_i32 s2, s12
	v_cvt_f32_u32_e32 v1, s2
	s_load_dwordx2 s[0:1], s[4:5], 0x50
	s_sub_i32 s7, 0, s2
	s_abs_i32 s3, s6
	v_rcp_iflag_f32_e32 v1, v1
	s_mov_b32 s10, 0
	v_mul_f32_e32 v1, 0x4f7ffffe, v1
	v_cvt_u32_f32_e32 v1, v1
	v_readfirstlane_b32 s13, v1
	s_mul_i32 s7, s7, s13
	s_mul_hi_u32 s7, s13, s7
	s_add_i32 s13, s13, s7
	s_waitcnt lgkmcnt(0)
	s_cmp_eq_u64 s[0:1], 0
	s_mul_hi_u32 s16, s3, s13
	s_cbranch_scc1 .LBB23_3
; %bb.2:
	s_ashr_i32 s7, s6, 31
	s_lshl_b64 s[14:15], s[6:7], 2
	s_add_u32 s0, s0, s14
	s_addc_u32 s1, s1, s15
	s_load_dword s10, s[0:1], 0x0
.LBB23_3:
	s_ashr_i32 s18, s12, 31
	s_load_dwordx4 s[12:15], s[4:5], 0x58
	s_movk_i32 s0, 0x78
	s_ashr_i32 s17, s6, 31
	v_and_b32_e32 v16, 7, v0
	s_mul_i32 s20, s6, 0x78
	v_cmp_gt_u32_e32 vcc, s0, v0
	v_lshlrev_b32_e32 v24, 2, v0
	v_lshrrev_b32_e32 v1, 1, v0
	s_and_saveexec_b64 s[0:1], vcc
	s_cbranch_execz .LBB23_5
; %bb.4:
	s_load_dwordx2 s[22:23], s[4:5], 0x18
	s_waitcnt lgkmcnt(0)
	s_mul_i32 s26, s24, s12
	s_ashr_i32 s27, s26, 31
	s_lshl_b64 s[26:27], s[26:27], 2
	v_and_b32_e32 v3, 0x1fc, v1
	s_add_u32 s7, s22, s26
	s_addc_u32 s12, s23, s27
	s_ashr_i32 s21, s20, 31
	s_lshl_b64 s[22:23], s[20:21], 2
	s_add_u32 s22, s7, s22
	s_addc_u32 s23, s12, s23
	global_load_dword v2, v24, s[22:23]
	v_mad_u32_u24 v3, v16, 60, v3
	s_waitcnt vmcnt(0)
	ds_write_b32 v3, v2
.LBB23_5:
	s_or_b64 exec, exec, s[0:1]
	s_add_i32 s0, s25, 7
	s_ashr_i32 s1, s0, 31
	s_lshr_b32 s1, s1, 29
	s_add_i32 s0, s0, s1
	s_lshl_b32 s7, s8, 6
	s_mul_i32 s1, s16, s2
	s_waitcnt lgkmcnt(0)
	s_ashr_i32 s12, s0, 3
	s_add_i32 s0, s7, 64
	s_sub_i32 s1, s3, s1
	s_min_i32 s33, s0, s12
	s_xor_b32 s0, s17, s18
	s_add_i32 s3, s16, 1
	s_sub_i32 s15, s1, s2
	s_cmp_ge_u32 s1, s2
	s_cselect_b32 s3, s3, s16
	s_cselect_b32 s1, s15, s1
	s_add_i32 s15, s3, 1
	s_cmp_ge_u32 s1, s2
	s_load_dwordx2 s[26:27], s[4:5], 0x38
	s_load_dword s2, s[4:5], 0x48
	v_lshrrev_b32_e32 v25, 6, v0
	s_cselect_b32 s1, s15, s3
	s_xor_b32 s1, s1, s0
	v_or_b32_e32 v18, s7, v25
	s_waitcnt lgkmcnt(0)
	s_mul_i32 s28, s24, s2
	s_sub_i32 s15, s1, s0
	s_ashr_i32 s29, s28, 31
	v_cmp_gt_i32_e64 s[0:1], s33, v18
	v_cmp_le_i32_e32 vcc, s33, v18
	v_mbcnt_lo_u32_b32 v17, -1, 0
	s_barrier
	s_waitcnt lgkmcnt(0)
                                        ; implicit-def: $sgpr36
                                        ; implicit-def: $vgpr20
                                        ; implicit-def: $vgpr21
	s_and_saveexec_b64 s[2:3], vcc
	s_xor_b64 s[2:3], exec, s[2:3]
; %bb.6:
	v_mbcnt_hi_u32_b32 v20, -1, v17
	v_and_b32_e32 v2, 64, v20
	v_add_u32_e32 v21, 64, v2
	s_mov_b32 s36, 0xff7fffff
                                        ; implicit-def: $vgpr16
                                        ; implicit-def: $vgpr17
; %bb.7:
	s_or_saveexec_b64 s[34:35], s[2:3]
	s_load_dwordx4 s[16:19], s[4:5], 0x0
	s_load_dwordx2 s[22:23], s[4:5], 0x10
	s_load_dwordx2 s[30:31], s[4:5], 0x28
	s_load_dword s21, s[4:5], 0x98
	v_mov_b32_e32 v26, s36
	s_mul_i32 s14, s15, s14
	v_ashrrev_i32_e32 v19, 31, v18
	s_xor_b64 exec, exec, s[34:35]
	s_cbranch_execz .LBB23_13
; %bb.8:
	s_load_dwordx2 s[2:3], s[4:5], 0x20
	s_ashr_i32 s15, s14, 31
	s_lshl_b64 s[4:5], s[14:15], 2
	v_bfe_u32 v26, v0, 3, 3
	v_lshlrev_b32_e32 v2, 4, v26
	s_waitcnt lgkmcnt(0)
	s_add_u32 s2, s2, s4
	s_addc_u32 s3, s3, s5
	v_mov_b32_e32 v3, s3
	v_add_co_u32_e32 v2, vcc, s2, v2
	v_and_b32_e32 v4, 3, v0
	v_addc_co_u32_e32 v3, vcc, 0, v3, vcc
	v_lshlrev_b32_e32 v4, 2, v4
	v_add_co_u32_e32 v29, vcc, v2, v4
	v_mul_u32_u24_e32 v20, 60, v16
	v_addc_co_u32_e32 v30, vcc, 0, v3, vcc
	ds_read2_b32 v[2:3], v20 offset1:1
	ds_read2_b32 v[4:5], v20 offset0:2 offset1:3
	ds_read2_b32 v[6:7], v20 offset0:4 offset1:5
	;; [unrolled: 1-line block ×6, first 2 shown]
	ds_read_b32 v22, v20 offset:56
	v_mbcnt_hi_u32_b32 v20, -1, v17
	v_and_b32_e32 v17, 64, v20
	v_add_u32_e32 v21, 64, v17
	v_xor_b32_e32 v17, 4, v20
	v_cmp_lt_i32_e32 vcc, v17, v21
	v_cndmask_b32_e32 v17, v20, v17, vcc
	v_lshlrev_b32_e32 v23, 2, v17
	v_xor_b32_e32 v17, 2, v20
	v_cmp_lt_i32_e32 vcc, v17, v21
	v_cndmask_b32_e32 v17, v20, v17, vcc
	v_lshlrev_b32_e32 v27, 2, v17
	v_xor_b32_e32 v17, 1, v20
	v_cmp_lt_i32_e32 vcc, v17, v21
	v_cndmask_b32_e32 v17, v20, v17, vcc
	v_cmp_eq_u32_e32 vcc, 0, v16
	v_lshlrev_b32_e32 v16, 5, v0
	v_and_b32_e32 v16, 0x80, v16
	v_add_co_u32_e64 v29, s[4:5], v29, v16
	v_addc_co_u32_e64 v30, s[4:5], 0, v30, s[4:5]
	v_lshlrev_b32_e32 v32, 2, v26
	s_sub_i32 s15, 1, s25
	v_lshlrev_b32_e32 v16, 3, v25
	s_lshl_b64 s[4:5], s[28:29], 2
	v_add3_u32 v31, s40, v16, v26
	v_lshl_or_b32 v16, v25, 5, v32
	s_add_u32 s4, s26, s4
	v_lshlrev_b32_e32 v28, 2, v17
	v_add_u32_e32 v32, 0x1f0, v16
	v_lshlrev_b64 v[16:17], 2, v[18:19]
	s_addc_u32 s5, s27, s5
	v_mov_b32_e32 v26, s5
	v_add_co_u32_e64 v16, s[4:5], s4, v16
	s_mov_b32 s41, s13
	v_cmp_neq_f32_e64 s[2:3], s10, 0
	v_addc_co_u32_e64 v17, s[4:5], v26, v17, s[4:5]
	s_mov_b64 s[36:37], 0
	v_mov_b32_e32 v26, 0xff7fffff
	v_mov_b32_e32 v33, v18
	s_branch .LBB23_10
.LBB23_9:                               ;   in Loop: Header=BB23_10 Depth=1
	s_or_b64 exec, exec, s[38:39]
	v_add_u32_e32 v33, 2, v33
	v_cmp_le_i32_e64 s[4:5], s33, v33
	s_or_b64 s[36:37], s[4:5], s[36:37]
	v_add_co_u32_e64 v16, s[4:5], 8, v16
	v_add_u32_e32 v31, 16, v31
	v_add_u32_e32 v32, 64, v32
	v_addc_co_u32_e64 v17, s[4:5], 0, v17, s[4:5]
	s_andn2_b64 exec, exec, s[36:37]
	s_cbranch_execz .LBB23_12
.LBB23_10:                              ; =>This Inner Loop Header: Depth=1
	global_load_dword v34, v[16:17], off
	s_waitcnt vmcnt(0) lgkmcnt(0)
	v_mad_i64_i32 v[34:35], s[4:5], v34, s41, 0
	v_lshlrev_b64 v[34:35], 2, v[34:35]
	v_add_co_u32_e64 v34, s[4:5], v29, v34
	v_addc_co_u32_e64 v35, s[4:5], v30, v35, s[4:5]
	global_load_dword v36, v[34:35], off offset:256
	global_load_dword v37, v[34:35], off
	global_load_dword v38, v[34:35], off offset:512
	global_load_dword v39, v[34:35], off offset:768
	;; [unrolled: 1-line block ×13, first 2 shown]
	s_waitcnt vmcnt(14) lgkmcnt(7)
	v_mul_f32_e32 v34, v3, v36
	s_waitcnt vmcnt(13)
	v_fmac_f32_e32 v34, v2, v37
	s_waitcnt vmcnt(12) lgkmcnt(6)
	v_fmac_f32_e32 v34, v4, v38
	s_waitcnt vmcnt(11)
	v_fmac_f32_e32 v34, v5, v39
	s_waitcnt vmcnt(10) lgkmcnt(5)
	v_fmac_f32_e32 v34, v6, v40
	;; [unrolled: 4-line block ×7, first 2 shown]
	ds_bpermute_b32 v35, v23, v34
	s_waitcnt lgkmcnt(0)
	v_add_f32_e32 v34, v34, v35
	ds_bpermute_b32 v35, v27, v34
	s_waitcnt lgkmcnt(0)
	v_add_f32_e32 v34, v34, v35
	ds_bpermute_b32 v35, v28, v34
	s_and_saveexec_b64 s[38:39], vcc
	s_cbranch_execz .LBB23_9
; %bb.11:                               ;   in Loop: Header=BB23_10 Depth=1
	v_add_u32_e32 v36, s15, v31
	v_cvt_f32_i32_e32 v36, v36
	s_waitcnt lgkmcnt(0)
	v_add_f32_e32 v34, v34, v35
	v_cmp_gt_i32_e64 s[4:5], s25, v31
	v_max_f32_e32 v35, v26, v26
	v_mul_f32_e32 v36, s10, v36
	v_cndmask_b32_e64 v36, 0, v36, s[2:3]
	v_fmac_f32_e32 v36, s11, v34
	v_cndmask_b32_e64 v34, 0, v36, s[4:5]
	ds_write_b32 v32, v34
	v_max_f32_e32 v34, v35, v36
	v_cndmask_b32_e64 v26, v26, v34, s[4:5]
	s_branch .LBB23_9
.LBB23_12:
	s_or_b64 exec, exec, s[36:37]
.LBB23_13:
	s_or_b64 exec, exec, s[34:35]
	v_xor_b32_e32 v2, 32, v20
	v_cmp_lt_i32_e32 vcc, v2, v21
	v_cndmask_b32_e32 v2, v20, v2, vcc
	v_lshlrev_b32_e32 v3, 2, v2
	ds_bpermute_b32 v2, v3, v26
	v_xor_b32_e32 v5, 16, v20
	v_max_f32_e32 v4, v26, v26
	v_cmp_lt_i32_e32 vcc, v5, v21
	v_xor_b32_e32 v6, 8, v20
	s_waitcnt lgkmcnt(0)
	v_max_f32_e32 v2, v2, v2
	v_max_f32_e32 v2, v4, v2
	v_cndmask_b32_e32 v4, v20, v5, vcc
	v_lshlrev_b32_e32 v7, 2, v4
	ds_bpermute_b32 v4, v7, v2
	v_cmp_lt_i32_e32 vcc, v6, v21
	s_waitcnt lgkmcnt(0)
	v_max_f32_e32 v4, v4, v4
	v_max_f32_e32 v5, v2, v4
	v_cndmask_b32_e32 v2, v20, v6, vcc
	v_lshlrev_b32_e32 v8, 2, v2
	ds_bpermute_b32 v6, v8, v5
	v_and_b32_e32 v4, 63, v0
	v_cmp_eq_u32_e32 vcc, 0, v4
	v_lshlrev_b32_e32 v2, 2, v25
	s_and_saveexec_b64 s[2:3], vcc
	s_cbranch_execz .LBB23_15
; %bb.14:
	s_waitcnt lgkmcnt(0)
	v_max_f32_e32 v6, v6, v6
	v_max_f32_e32 v5, v5, v5
	;; [unrolled: 1-line block ×3, first 2 shown]
	ds_write_b32 v2, v5 offset:480
.LBB23_15:
	s_or_b64 exec, exec, s[2:3]
	v_cmp_gt_u32_e64 s[2:3], 2, v4
	v_mov_b32_e32 v5, 0xff7fffff
	s_waitcnt lgkmcnt(0)
	v_lshlrev_b32_e32 v6, 2, v4
	s_barrier
	s_and_saveexec_b64 s[4:5], s[2:3]
	s_cbranch_execz .LBB23_17
; %bb.16:
	ds_read_b32 v5, v6 offset:480
.LBB23_17:
	s_or_b64 exec, exec, s[4:5]
	v_xor_b32_e32 v9, 1, v20
	v_cmp_lt_i32_e64 s[4:5], v9, v21
	v_cndmask_b32_e64 v9, v20, v9, s[4:5]
	v_lshlrev_b32_e32 v26, 2, v9
	s_waitcnt lgkmcnt(0)
	ds_bpermute_b32 v9, v26, v5
	v_max_f32_e32 v5, v5, v5
	s_sub_i32 s4, s33, s7
	s_lshl_b32 s4, s4, 3
	s_add_i32 s4, s4, s40
	s_waitcnt lgkmcnt(0)
	v_max_f32_e32 v9, v9, v9
	v_max_f32_e32 v5, v5, v9
	v_lshlrev_b32_e32 v9, 2, v20
	v_and_b32_e32 v9, 0xffffff00, v9
	ds_bpermute_b32 v5, v9, v5
	s_min_i32 s15, s4, s25
	s_sub_i32 s7, s15, s40
	v_cmp_gt_i32_e64 s[4:5], s7, v0
	v_mov_b32_e32 v10, 0
	s_and_saveexec_b64 s[34:35], s[4:5]
	s_cbranch_execz .LBB23_21
; %bb.18:
	v_mov_b32_e32 v10, 0x1f0
	v_lshl_add_u32 v11, v0, 2, v10
	s_mov_b64 s[36:37], 0
	v_mov_b32_e32 v10, 0
	v_mov_b32_e32 v12, v0
.LBB23_19:                              ; =>This Inner Loop Header: Depth=1
	ds_read_b32 v13, v11
	v_add_u32_e32 v12, 0x80, v12
	v_cmp_le_i32_e64 s[10:11], s7, v12
	s_or_b64 s[36:37], s[10:11], s[36:37]
	s_waitcnt lgkmcnt(0)
	v_sub_f32_e32 v13, v13, v5
	v_mul_f32_e32 v13, 0x3fb8aa3b, v13
	v_exp_f32_e32 v13, v13
	ds_write_b32 v11, v13
	v_add_f32_e32 v10, v10, v13
	v_add_u32_e32 v11, 0x200, v11
	s_andn2_b64 exec, exec, s[36:37]
	s_cbranch_execnz .LBB23_19
; %bb.20:
	s_or_b64 exec, exec, s[36:37]
.LBB23_21:
	s_or_b64 exec, exec, s[34:35]
	ds_bpermute_b32 v3, v3, v10
	s_waitcnt lgkmcnt(0)
	v_add_f32_e32 v3, v10, v3
	ds_bpermute_b32 v7, v7, v3
	s_waitcnt lgkmcnt(0)
	v_add_f32_e32 v3, v3, v7
	ds_bpermute_b32 v7, v8, v3
	v_xor_b32_e32 v8, 4, v20
	v_cmp_lt_i32_e64 s[10:11], v8, v21
	v_cndmask_b32_e64 v8, v20, v8, s[10:11]
	v_lshlrev_b32_e32 v8, 2, v8
	s_waitcnt lgkmcnt(0)
	v_add_f32_e32 v3, v3, v7
	ds_bpermute_b32 v7, v8, v3
	v_xor_b32_e32 v8, 2, v20
	v_cmp_lt_i32_e64 s[10:11], v8, v21
	v_cndmask_b32_e64 v8, v20, v8, s[10:11]
	s_waitcnt lgkmcnt(0)
	v_add_f32_e32 v3, v3, v7
	v_lshlrev_b32_e32 v7, 2, v8
	ds_bpermute_b32 v7, v7, v3
	s_waitcnt lgkmcnt(0)
	v_add_f32_e32 v3, v3, v7
	ds_bpermute_b32 v7, v26, v3
	s_waitcnt lgkmcnt(0)
	v_add_f32_e32 v3, v3, v7
	s_and_saveexec_b64 s[10:11], vcc
	s_cbranch_execz .LBB23_23
; %bb.22:
	ds_write_b32 v2, v3 offset:488
.LBB23_23:
	s_or_b64 exec, exec, s[10:11]
	s_waitcnt lgkmcnt(0)
	s_barrier
	s_and_saveexec_b64 s[10:11], s[2:3]
	s_cbranch_execz .LBB23_25
; %bb.24:
	ds_read_b32 v3, v6 offset:488
.LBB23_25:
	s_or_b64 exec, exec, s[10:11]
	s_waitcnt lgkmcnt(0)
	ds_bpermute_b32 v2, v26, v3
	s_waitcnt lgkmcnt(0)
	v_add_f32_e32 v2, v3, v2
	ds_bpermute_b32 v6, v9, v2
	s_and_saveexec_b64 s[2:3], s[4:5]
	s_cbranch_execz .LBB23_38
; %bb.26:
	s_waitcnt lgkmcnt(0)
	v_add_f32_e32 v2, 0x358637bd, v6
	v_div_scale_f32 v3, s[4:5], v2, v2, 1.0
	v_rcp_f32_e32 v7, v3
	v_div_scale_f32 v8, vcc, 1.0, v2, 1.0
	s_movk_i32 s4, 0x7f
	v_fma_f32 v9, -v3, v7, 1.0
	v_fmac_f32_e32 v7, v9, v7
	v_mul_f32_e32 v9, v8, v7
	v_fma_f32 v10, -v3, v9, v8
	v_fmac_f32_e32 v9, v10, v7
	v_fma_f32 v3, -v3, v9, v8
	v_div_fmas_f32 v3, v3, v7, v9
	v_div_fixup_f32 v2, v3, v2, 1.0
	v_xad_u32 v3, v0, -1, s15
	v_subrev_u32_e32 v7, s40, v3
	v_cmp_lt_u32_e32 vcc, s4, v7
	s_mov_b64 s[10:11], -1
	v_mov_b32_e32 v3, v0
	s_and_saveexec_b64 s[4:5], vcc
	s_cbranch_execz .LBB23_35
; %bb.27:
	v_lshrrev_b32_e32 v7, 7, v7
	v_add_u32_e32 v9, -1, v7
	v_lshrrev_b32_e32 v8, 1, v9
	v_mov_b32_e32 v3, v2
	v_add_u32_e32 v8, 1, v8
	v_cmp_lt_u32_e32 vcc, 13, v9
	v_mov_b32_e32 v11, 0
	s_and_saveexec_b64 s[10:11], vcc
	s_cbranch_execz .LBB23_31
; %bb.28:
	v_mov_b32_e32 v10, 0x1f0
	v_and_b32_e32 v9, -8, v8
	v_lshl_add_u32 v10, v0, 2, v10
	s_mov_b32 s15, 0
	s_mov_b64 s[34:35], 0
.LBB23_29:                              ; =>This Inner Loop Header: Depth=1
	ds_read2st64_b32 v[12:13], v10 offset1:2
	ds_read2st64_b32 v[14:15], v10 offset0:4 offset1:6
	ds_read2st64_b32 v[16:17], v10 offset0:8 offset1:10
	;; [unrolled: 1-line block ×3, first 2 shown]
	v_add_u32_e32 v9, -8, v9
	s_waitcnt lgkmcnt(3)
	v_pk_mul_f32 v[12:13], v[2:3], v[12:13]
	s_waitcnt lgkmcnt(2)
	v_pk_mul_f32 v[14:15], v[2:3], v[14:15]
	ds_write2st64_b32 v10, v12, v13 offset1:2
	ds_write2st64_b32 v10, v14, v15 offset0:4 offset1:6
	ds_read2st64_b32 v[14:15], v10 offset0:16 offset1:18
	s_waitcnt lgkmcnt(4)
	v_pk_mul_f32 v[12:13], v[2:3], v[16:17]
	ds_write2st64_b32 v10, v12, v13 offset0:8 offset1:10
	s_waitcnt lgkmcnt(4)
	v_pk_mul_f32 v[12:13], v[2:3], v[20:21]
	ds_write2st64_b32 v10, v12, v13 offset0:12 offset1:14
	ds_read2st64_b32 v[12:13], v10 offset0:20 offset1:22
	s_waitcnt lgkmcnt(3)
	v_pk_mul_f32 v[14:15], v[2:3], v[14:15]
	ds_read2st64_b32 v[16:17], v10 offset0:24 offset1:26
	ds_write2st64_b32 v10, v14, v15 offset0:16 offset1:18
	ds_read2st64_b32 v[14:15], v10 offset0:28 offset1:30
	s_waitcnt lgkmcnt(3)
	v_pk_mul_f32 v[12:13], v[2:3], v[12:13]
	ds_write2st64_b32 v10, v12, v13 offset0:20 offset1:22
	s_waitcnt lgkmcnt(3)
	v_pk_mul_f32 v[12:13], v[2:3], v[16:17]
	ds_write2st64_b32 v10, v12, v13 offset0:24 offset1:26
	s_waitcnt lgkmcnt(2)
	v_pk_mul_f32 v[12:13], v[2:3], v[14:15]
	s_add_i32 s15, s15, 16
	v_cmp_eq_u32_e32 vcc, 0, v9
	ds_write2st64_b32 v10, v12, v13 offset0:28 offset1:30
	v_add_u32_e32 v10, 0x2000, v10
	s_or_b64 s[34:35], vcc, s[34:35]
	v_mov_b32_e32 v11, s15
	s_andn2_b64 exec, exec, s[34:35]
	s_cbranch_execnz .LBB23_29
; %bb.30:
	s_or_b64 exec, exec, s[34:35]
.LBB23_31:
	s_or_b64 exec, exec, s[10:11]
	v_and_b32_e32 v8, 7, v8
	v_cmp_ne_u32_e32 vcc, 0, v8
	s_and_saveexec_b64 s[10:11], vcc
	s_cbranch_execz .LBB23_34
; %bb.32:
	v_lshlrev_b32_e32 v9, 9, v11
	s_movk_i32 s15, 0x1f0
	v_add3_u32 v9, v9, v24, s15
	s_mov_b64 s[34:35], 0
.LBB23_33:                              ; =>This Inner Loop Header: Depth=1
	ds_read2st64_b32 v[10:11], v9 offset1:2
	v_add_u32_e32 v8, -1, v8
	v_cmp_eq_u32_e32 vcc, 0, v8
	s_or_b64 s[34:35], vcc, s[34:35]
	s_waitcnt lgkmcnt(0)
	v_pk_mul_f32 v[10:11], v[2:3], v[10:11]
	ds_write2st64_b32 v9, v10, v11 offset1:2
	v_add_u32_e32 v9, 0x400, v9
	s_andn2_b64 exec, exec, s[34:35]
	s_cbranch_execnz .LBB23_33
.LBB23_34:
	s_or_b64 exec, exec, s[10:11]
	v_add_u32_e32 v7, 1, v7
	v_and_b32_e32 v8, 0x3fffffe, v7
	v_cmp_ne_u32_e32 vcc, v7, v8
	v_lshl_add_u32 v3, v8, 7, v0
	s_orn2_b64 s[10:11], vcc, exec
.LBB23_35:
	s_or_b64 exec, exec, s[4:5]
	s_and_b64 exec, exec, s[10:11]
	s_cbranch_execz .LBB23_38
; %bb.36:
	v_mov_b32_e32 v7, 0x1f0
	v_lshl_add_u32 v7, v3, 2, v7
	s_mov_b64 s[4:5], 0
.LBB23_37:                              ; =>This Inner Loop Header: Depth=1
	ds_read_b32 v8, v7
	v_add_u32_e32 v3, 0x80, v3
	v_cmp_le_i32_e32 vcc, s7, v3
	s_or_b64 s[4:5], vcc, s[4:5]
	s_waitcnt lgkmcnt(0)
	v_mul_f32_e32 v8, v2, v8
	ds_write_b32 v7, v8
	v_add_u32_e32 v7, 0x200, v7
	s_andn2_b64 exec, exec, s[4:5]
	s_cbranch_execnz .LBB23_37
.LBB23_38:
	s_or_b64 exec, exec, s[2:3]
	s_mul_i32 s2, s21, s24
	v_cmp_eq_u32_e32 vcc, 0, v0
	s_mul_i32 s4, s2, s9
	s_waitcnt lgkmcnt(0)
	s_barrier
	s_and_saveexec_b64 s[2:3], vcc
	s_cbranch_execz .LBB23_40
; %bb.39:
	s_ashr_i32 s5, s4, 31
	s_lshl_b64 s[10:11], s[4:5], 2
	s_add_u32 s5, s18, s10
	s_mul_i32 s6, s21, s6
	s_addc_u32 s9, s19, s11
	s_ashr_i32 s7, s6, 31
	s_lshl_b64 s[6:7], s[6:7], 2
	s_add_u32 s5, s5, s6
	s_addc_u32 s15, s9, s7
	s_ashr_i32 s9, s8, 31
	s_lshl_b64 s[18:19], s[8:9], 2
	s_add_u32 s34, s5, s18
	s_addc_u32 s35, s15, s19
	s_add_u32 s5, s16, s10
	s_addc_u32 s9, s17, s11
	;; [unrolled: 2-line block ×3, first 2 shown]
	s_add_u32 s6, s5, s18
	v_mov_b32_e32 v2, 0
	s_addc_u32 s7, s7, s19
	global_store_dword v2, v5, s[34:35]
	global_store_dword v2, v6, s[6:7]
.LBB23_40:
	s_or_b64 exec, exec, s[2:3]
	v_mov_b32_e32 v23, 0
	v_lshrrev_b32_e32 v28, 1, v4
	v_and_b32_e32 v27, 1, v0
	v_mov_b32_e32 v22, v23
	v_mov_b32_e32 v21, v23
	;; [unrolled: 1-line block ×3, first 2 shown]
	s_and_saveexec_b64 s[6:7], s[0:1]
	s_cbranch_execz .LBB23_54
; %bb.41:
	s_ashr_i32 s15, s14, 31
	s_lshl_b64 s[0:1], s[14:15], 2
	s_add_u32 s9, s30, s0
	v_or_b32_e32 v4, 0x60, v28
	s_movk_i32 s0, 0x78
	v_and_b32_e32 v3, 4, v24
	s_addc_u32 s2, s31, s1
	s_add_i32 s14, s12, -1
	v_cmp_gt_u32_e32 vcc, s0, v4
	v_lshl_add_u32 v5, v25, 3, s40
	s_lshl_b64 s[0:1], s[28:29], 2
	v_lshl_or_b32 v2, v28, 3, v3
	v_lshl_or_b32 v4, v4, 3, v3
	v_add3_u32 v29, v5, v3, 3
	v_lshlrev_b32_e32 v3, 4, v27
	s_add_u32 s0, s26, s0
	v_lshl_or_b32 v3, v25, 5, v3
	v_lshlrev_b64 v[6:7], 2, v[18:19]
	s_addc_u32 s1, s27, s1
	v_mov_b32_e32 v20, 0
	v_add_u32_e32 v30, 0x1f0, v3
	v_mov_b32_e32 v3, s1
	v_add_co_u32_e64 v24, s[0:1], s0, v6
	s_mov_b32 s5, s13
	v_addc_co_u32_e64 v25, s[0:1], v3, v7, s[0:1]
	s_mov_b64 s[10:11], 0
	v_mov_b32_e32 v19, s2
	v_lshlrev_b32_e32 v31, 2, v2
	v_lshlrev_b32_e32 v32, 2, v4
	v_mov_b32_e32 v21, v20
	v_mov_b32_e32 v22, v20
	;; [unrolled: 1-line block ×3, first 2 shown]
	s_branch .LBB23_44
.LBB23_42:                              ;   in Loop: Header=BB23_44 Depth=1
	s_or_b64 exec, exec, s[2:3]
	s_waitcnt vmcnt(0)
	v_mul_f32_e32 v3, v3, v7
	v_fmac_f32_e32 v3, v2, v6
	v_fmac_f32_e32 v3, v4, v8
	;; [unrolled: 1-line block ×3, first 2 shown]
	v_add_f32_e32 v23, v23, v3
.LBB23_43:                              ;   in Loop: Header=BB23_44 Depth=1
	s_or_b64 exec, exec, s[12:13]
	v_add_u32_e32 v18, 2, v18
	v_cmp_le_i32_e64 s[0:1], s33, v18
	s_or_b64 s[10:11], s[0:1], s[10:11]
	v_add_co_u32_e64 v24, s[0:1], 8, v24
	v_add_u32_e32 v29, 16, v29
	v_add_u32_e32 v30, 64, v30
	v_addc_co_u32_e64 v25, s[0:1], 0, v25, s[0:1]
	s_andn2_b64 exec, exec, s[10:11]
	s_cbranch_execz .LBB23_53
.LBB23_44:                              ; =>This Inner Loop Header: Depth=1
	global_load_dword v2, v[24:25], off
	v_add_u32_e32 v33, -3, v29
	s_waitcnt vmcnt(0)
	v_mad_i64_i32 v[2:3], s[0:1], v2, s5, 0
	v_lshlrev_b64 v[2:3], 2, v[2:3]
	v_add_co_u32_e64 v34, s[0:1], s9, v2
	v_addc_co_u32_e64 v35, s[0:1], v19, v3, s[0:1]
	v_add_co_u32_e64 v14, s[0:1], v34, v31
	v_addc_co_u32_e64 v15, s[0:1], 0, v35, s[0:1]
	global_load_dwordx4 v[6:9], v[14:15], off
	ds_read_b128 v[2:5], v30
	v_cmp_eq_u32_e64 s[0:1], s14, v18
	s_and_saveexec_b64 s[12:13], s[0:1]
	s_cbranch_execnz .LBB23_51
; %bb.45:                               ;   in Loop: Header=BB23_44 Depth=1
	s_or_b64 exec, exec, s[12:13]
	global_load_dwordx4 v[10:13], v[14:15], off offset:1024
	s_and_saveexec_b64 s[12:13], s[0:1]
	s_cbranch_execnz .LBB23_52
.LBB23_46:                              ;   in Loop: Header=BB23_44 Depth=1
	s_or_b64 exec, exec, s[12:13]
	global_load_dwordx4 v[14:17], v[14:15], off offset:2048
	s_and_saveexec_b64 s[12:13], s[0:1]
	s_cbranch_execz .LBB23_48
.LBB23_47:                              ;   in Loop: Header=BB23_44 Depth=1
	v_cmp_gt_i32_e64 s[2:3], s25, v33
	v_add_u32_e32 v36, -2, v29
	s_waitcnt vmcnt(0)
	v_cndmask_b32_e64 v14, 0, v14, s[2:3]
	v_cmp_gt_i32_e64 s[2:3], s25, v36
	v_add_u32_e32 v36, -1, v29
	v_cndmask_b32_e64 v15, 0, v15, s[2:3]
	v_cmp_gt_i32_e64 s[2:3], s25, v36
	v_cndmask_b32_e64 v16, 0, v16, s[2:3]
	v_cmp_gt_i32_e64 s[2:3], s25, v29
	v_cndmask_b32_e64 v17, 0, v17, s[2:3]
.LBB23_48:                              ;   in Loop: Header=BB23_44 Depth=1
	s_or_b64 exec, exec, s[12:13]
	s_waitcnt vmcnt(2) lgkmcnt(0)
	v_mul_f32_e32 v7, v3, v7
	v_fmac_f32_e32 v7, v2, v6
	s_waitcnt vmcnt(1)
	v_mul_f32_e32 v6, v3, v11
	v_fmac_f32_e32 v6, v2, v10
	v_fmac_f32_e32 v6, v4, v12
	;; [unrolled: 1-line block ×3, first 2 shown]
	v_add_f32_e32 v21, v21, v6
	s_waitcnt vmcnt(0)
	v_mul_f32_e32 v6, v3, v15
	v_fmac_f32_e32 v6, v2, v14
	v_fmac_f32_e32 v7, v4, v8
	;; [unrolled: 1-line block ×5, first 2 shown]
	v_add_f32_e32 v20, v20, v7
	v_add_f32_e32 v22, v22, v6
	s_and_saveexec_b64 s[12:13], vcc
	s_cbranch_execz .LBB23_43
; %bb.49:                               ;   in Loop: Header=BB23_44 Depth=1
	v_add_co_u32_e64 v6, s[2:3], v34, v32
	v_addc_co_u32_e64 v7, s[2:3], 0, v35, s[2:3]
	global_load_dwordx4 v[6:9], v[6:7], off
	s_and_saveexec_b64 s[2:3], s[0:1]
	s_cbranch_execz .LBB23_42
; %bb.50:                               ;   in Loop: Header=BB23_44 Depth=1
	v_cmp_gt_i32_e64 s[0:1], s25, v33
	v_add_u32_e32 v10, -2, v29
	s_waitcnt vmcnt(0)
	v_cndmask_b32_e64 v6, 0, v6, s[0:1]
	v_cmp_gt_i32_e64 s[0:1], s25, v10
	v_add_u32_e32 v10, -1, v29
	v_cndmask_b32_e64 v7, 0, v7, s[0:1]
	v_cmp_gt_i32_e64 s[0:1], s25, v10
	v_cndmask_b32_e64 v8, 0, v8, s[0:1]
	v_cmp_gt_i32_e64 s[0:1], s25, v29
	v_cndmask_b32_e64 v9, 0, v9, s[0:1]
	s_branch .LBB23_42
.LBB23_51:                              ;   in Loop: Header=BB23_44 Depth=1
	v_cmp_gt_i32_e64 s[2:3], s25, v33
	v_add_u32_e32 v10, -2, v29
	s_waitcnt vmcnt(0)
	v_cndmask_b32_e64 v6, 0, v6, s[2:3]
	v_cmp_gt_i32_e64 s[2:3], s25, v10
	v_add_u32_e32 v10, -1, v29
	v_cndmask_b32_e64 v7, 0, v7, s[2:3]
	v_cmp_gt_i32_e64 s[2:3], s25, v10
	v_cndmask_b32_e64 v8, 0, v8, s[2:3]
	v_cmp_gt_i32_e64 s[2:3], s25, v29
	v_cndmask_b32_e64 v9, 0, v9, s[2:3]
	s_or_b64 exec, exec, s[12:13]
	global_load_dwordx4 v[10:13], v[14:15], off offset:1024
	s_and_saveexec_b64 s[12:13], s[0:1]
	s_cbranch_execz .LBB23_46
.LBB23_52:                              ;   in Loop: Header=BB23_44 Depth=1
	v_cmp_gt_i32_e64 s[2:3], s25, v33
	v_add_u32_e32 v16, -2, v29
	s_waitcnt vmcnt(0)
	v_cndmask_b32_e64 v10, 0, v10, s[2:3]
	v_cmp_gt_i32_e64 s[2:3], s25, v16
	v_add_u32_e32 v16, -1, v29
	v_cndmask_b32_e64 v11, 0, v11, s[2:3]
	v_cmp_gt_i32_e64 s[2:3], s25, v16
	v_cndmask_b32_e64 v12, 0, v12, s[2:3]
	v_cmp_gt_i32_e64 s[2:3], s25, v29
	v_cndmask_b32_e64 v13, 0, v13, s[2:3]
	s_or_b64 exec, exec, s[12:13]
	global_load_dwordx4 v[14:17], v[14:15], off offset:2048
	s_and_saveexec_b64 s[12:13], s[0:1]
	s_cbranch_execnz .LBB23_47
	s_branch .LBB23_48
.LBB23_53:
	s_or_b64 exec, exec, s[10:11]
.LBB23_54:
	s_or_b64 exec, exec, s[6:7]
	ds_bpermute_b32 v2, v26, v20
	ds_bpermute_b32 v3, v26, v21
	;; [unrolled: 1-line block ×4, first 2 shown]
	s_waitcnt lgkmcnt(0)
	s_barrier
	v_pk_add_f32 v[4:5], v[20:21], v[2:3]
	v_pk_add_f32 v[2:3], v[22:23], v[6:7]
	v_and_b32_e32 v6, 0x3c0, v0
	v_cmp_eq_u32_e32 vcc, 64, v6
	s_and_saveexec_b64 s[2:3], vcc
	s_cbranch_execz .LBB23_59
; %bb.55:
	v_cmp_eq_u32_e32 vcc, 0, v27
	s_and_saveexec_b64 s[0:1], vcc
	s_cbranch_execz .LBB23_57
; %bb.56:
	v_mov_b32_e32 v6, 0x1f0
	v_lshl_add_u32 v6, v28, 2, v6
	ds_write2_b32 v6, v4, v5 offset1:32
	ds_write_b32 v6, v2 offset:256
.LBB23_57:
	s_or_b64 exec, exec, s[0:1]
	v_or_b32_e32 v6, 0x60, v28
	s_movk_i32 s0, 0x78
	v_cmp_gt_u32_e64 s[0:1], s0, v6
	s_and_b64 s[0:1], vcc, s[0:1]
	s_and_b64 exec, exec, s[0:1]
	s_cbranch_execz .LBB23_59
; %bb.58:
	v_mov_b32_e32 v6, 0x1f0
	v_lshl_add_u32 v6, v28, 2, v6
	ds_write_b32 v6, v3 offset:384
.LBB23_59:
	s_or_b64 exec, exec, s[2:3]
	v_cmp_gt_u32_e32 vcc, 64, v0
	s_waitcnt lgkmcnt(0)
	s_barrier
	s_and_saveexec_b64 s[6:7], vcc
	s_cbranch_execz .LBB23_67
; %bb.60:
	v_cmp_eq_u32_e64 s[0:1], 0, v27
	s_and_saveexec_b64 s[2:3], s[0:1]
	s_cbranch_execnz .LBB23_73
; %bb.61:
	s_or_b64 exec, exec, s[2:3]
	s_and_saveexec_b64 s[2:3], s[0:1]
	s_cbranch_execnz .LBB23_74
.LBB23_62:
	s_or_b64 exec, exec, s[2:3]
	s_and_saveexec_b64 s[2:3], s[0:1]
	s_cbranch_execz .LBB23_64
.LBB23_63:
	v_mov_b32_e32 v0, 0x1f0
	v_lshl_add_u32 v0, v1, 2, v0
	ds_read_b32 v0, v0 offset:256
	s_waitcnt lgkmcnt(0)
	v_add_f32_e32 v2, v2, v0
.LBB23_64:
	s_or_b64 exec, exec, s[2:3]
	v_or_b32_e32 v0, 0x60, v1
	s_movk_i32 s2, 0x78
	v_cmp_gt_u32_e64 s[2:3], s2, v0
	s_and_b64 s[2:3], s[0:1], s[2:3]
	s_and_saveexec_b64 s[0:1], s[2:3]
	s_cbranch_execz .LBB23_66
; %bb.65:
	v_mov_b32_e32 v0, 0x1f0
	v_lshl_add_u32 v0, v1, 2, v0
	ds_read_b32 v0, v0 offset:384
	s_waitcnt lgkmcnt(0)
	v_add_f32_e32 v3, v3, v0
.LBB23_66:
	s_or_b64 exec, exec, s[0:1]
.LBB23_67:
	s_or_b64 exec, exec, s[6:7]
	s_barrier
	s_and_saveexec_b64 s[0:1], vcc
	s_cbranch_execz .LBB23_72
; %bb.68:
	s_mul_i32 s0, s4, 0x78
	s_ashr_i32 s1, s0, 31
	s_lshl_b64 s[0:1], s[0:1], 2
	s_add_u32 s2, s22, s0
	s_mul_i32 s0, s21, s20
	s_addc_u32 s3, s23, s1
	s_ashr_i32 s1, s0, 31
	s_lshl_b64 s[0:1], s[0:1], 2
	s_add_u32 s2, s2, s0
	s_mul_i32 s0, s8, 0x78
	s_addc_u32 s3, s3, s1
	s_ashr_i32 s1, s0, 31
	s_lshl_b64 s[0:1], s[0:1], 2
	s_add_u32 s2, s2, s0
	s_movk_i32 s5, 0x78
	s_addc_u32 s3, s3, s1
	v_cmp_eq_u32_e32 vcc, 0, v27
	v_lshlrev_b32_e32 v0, 2, v1
	s_and_saveexec_b64 s[0:1], vcc
	s_cbranch_execz .LBB23_70
; %bb.69:
	global_store_dword v0, v4, s[2:3]
	global_store_dword v0, v5, s[2:3] offset:128
	global_store_dword v0, v2, s[2:3] offset:256
.LBB23_70:
	s_or_b64 exec, exec, s[0:1]
	v_or_b32_e32 v1, 0x60, v1
	v_cmp_gt_u32_e64 s[0:1], s5, v1
	s_and_b64 s[0:1], vcc, s[0:1]
	s_and_b64 exec, exec, s[0:1]
	s_cbranch_execz .LBB23_72
; %bb.71:
	global_store_dword v0, v3, s[2:3] offset:384
.LBB23_72:
	s_endpgm
.LBB23_73:
	v_mov_b32_e32 v0, 0x1f0
	v_lshl_add_u32 v0, v1, 2, v0
	ds_read_b32 v0, v0
	s_waitcnt lgkmcnt(0)
	v_add_f32_e32 v4, v4, v0
	s_or_b64 exec, exec, s[2:3]
	s_and_saveexec_b64 s[2:3], s[0:1]
	s_cbranch_execz .LBB23_62
.LBB23_74:
	v_mov_b32_e32 v0, 0x1f0
	v_lshl_add_u32 v0, v1, 2, v0
	ds_read_b32 v0, v0 offset:128
	s_waitcnt lgkmcnt(0)
	v_add_f32_e32 v5, v5, v0
	s_or_b64 exec, exec, s[2:3]
	s_and_saveexec_b64 s[2:3], s[0:1]
	s_cbranch_execnz .LBB23_63
	s_branch .LBB23_64
	.section	.rodata,"a",@progbits
	.p2align	6, 0x0
	.amdhsa_kernel _ZN4vllm25paged_attention_v2_kernelIffLi120ELi8ELi128ELNS_18Fp8KVCacheDataTypeE0ELb0ELi512EEEvPfS2_PT_PKS3_PKT0_S9_ifPKiSB_iPKfiiiSD_SD_iiiii
		.amdhsa_group_segment_fixed_size 496
		.amdhsa_private_segment_fixed_size 0
		.amdhsa_kernarg_size 400
		.amdhsa_user_sgpr_count 6
		.amdhsa_user_sgpr_private_segment_buffer 1
		.amdhsa_user_sgpr_dispatch_ptr 0
		.amdhsa_user_sgpr_queue_ptr 0
		.amdhsa_user_sgpr_kernarg_segment_ptr 1
		.amdhsa_user_sgpr_dispatch_id 0
		.amdhsa_user_sgpr_flat_scratch_init 0
		.amdhsa_user_sgpr_kernarg_preload_length 0
		.amdhsa_user_sgpr_kernarg_preload_offset 0
		.amdhsa_user_sgpr_private_segment_size 0
		.amdhsa_uses_dynamic_stack 0
		.amdhsa_system_sgpr_private_segment_wavefront_offset 0
		.amdhsa_system_sgpr_workgroup_id_x 1
		.amdhsa_system_sgpr_workgroup_id_y 1
		.amdhsa_system_sgpr_workgroup_id_z 1
		.amdhsa_system_sgpr_workgroup_info 0
		.amdhsa_system_vgpr_workitem_id 0
		.amdhsa_next_free_vgpr 51
		.amdhsa_next_free_sgpr 42
		.amdhsa_accum_offset 52
		.amdhsa_reserve_vcc 1
		.amdhsa_reserve_flat_scratch 0
		.amdhsa_float_round_mode_32 0
		.amdhsa_float_round_mode_16_64 0
		.amdhsa_float_denorm_mode_32 3
		.amdhsa_float_denorm_mode_16_64 3
		.amdhsa_dx10_clamp 1
		.amdhsa_ieee_mode 1
		.amdhsa_fp16_overflow 0
		.amdhsa_tg_split 0
		.amdhsa_exception_fp_ieee_invalid_op 0
		.amdhsa_exception_fp_denorm_src 0
		.amdhsa_exception_fp_ieee_div_zero 0
		.amdhsa_exception_fp_ieee_overflow 0
		.amdhsa_exception_fp_ieee_underflow 0
		.amdhsa_exception_fp_ieee_inexact 0
		.amdhsa_exception_int_div_zero 0
	.end_amdhsa_kernel
	.section	.text._ZN4vllm25paged_attention_v2_kernelIffLi120ELi8ELi128ELNS_18Fp8KVCacheDataTypeE0ELb0ELi512EEEvPfS2_PT_PKS3_PKT0_S9_ifPKiSB_iPKfiiiSD_SD_iiiii,"axG",@progbits,_ZN4vllm25paged_attention_v2_kernelIffLi120ELi8ELi128ELNS_18Fp8KVCacheDataTypeE0ELb0ELi512EEEvPfS2_PT_PKS3_PKT0_S9_ifPKiSB_iPKfiiiSD_SD_iiiii,comdat
.Lfunc_end23:
	.size	_ZN4vllm25paged_attention_v2_kernelIffLi120ELi8ELi128ELNS_18Fp8KVCacheDataTypeE0ELb0ELi512EEEvPfS2_PT_PKS3_PKT0_S9_ifPKiSB_iPKfiiiSD_SD_iiiii, .Lfunc_end23-_ZN4vllm25paged_attention_v2_kernelIffLi120ELi8ELi128ELNS_18Fp8KVCacheDataTypeE0ELb0ELi512EEEvPfS2_PT_PKS3_PKT0_S9_ifPKiSB_iPKfiiiSD_SD_iiiii
                                        ; -- End function
	.section	.AMDGPU.csdata,"",@progbits
; Kernel info:
; codeLenInByte = 4424
; NumSgprs: 46
; NumVgprs: 51
; NumAgprs: 0
; TotalNumVgprs: 51
; ScratchSize: 0
; MemoryBound: 0
; FloatMode: 240
; IeeeMode: 1
; LDSByteSize: 496 bytes/workgroup (compile time only)
; SGPRBlocks: 5
; VGPRBlocks: 6
; NumSGPRsForWavesPerEU: 46
; NumVGPRsForWavesPerEU: 51
; AccumOffset: 52
; Occupancy: 8
; WaveLimiterHint : 1
; COMPUTE_PGM_RSRC2:SCRATCH_EN: 0
; COMPUTE_PGM_RSRC2:USER_SGPR: 6
; COMPUTE_PGM_RSRC2:TRAP_HANDLER: 0
; COMPUTE_PGM_RSRC2:TGID_X_EN: 1
; COMPUTE_PGM_RSRC2:TGID_Y_EN: 1
; COMPUTE_PGM_RSRC2:TGID_Z_EN: 1
; COMPUTE_PGM_RSRC2:TIDIG_COMP_CNT: 0
; COMPUTE_PGM_RSRC3_GFX90A:ACCUM_OFFSET: 12
; COMPUTE_PGM_RSRC3_GFX90A:TG_SPLIT: 0
	.section	.text._ZN4vllm25paged_attention_v2_kernelIffLi128ELi8ELi128ELNS_18Fp8KVCacheDataTypeE0ELb0ELi512EEEvPfS2_PT_PKS3_PKT0_S9_ifPKiSB_iPKfiiiSD_SD_iiiii,"axG",@progbits,_ZN4vllm25paged_attention_v2_kernelIffLi128ELi8ELi128ELNS_18Fp8KVCacheDataTypeE0ELb0ELi512EEEvPfS2_PT_PKS3_PKT0_S9_ifPKiSB_iPKfiiiSD_SD_iiiii,comdat
	.protected	_ZN4vllm25paged_attention_v2_kernelIffLi128ELi8ELi128ELNS_18Fp8KVCacheDataTypeE0ELb0ELi512EEEvPfS2_PT_PKS3_PKT0_S9_ifPKiSB_iPKfiiiSD_SD_iiiii ; -- Begin function _ZN4vllm25paged_attention_v2_kernelIffLi128ELi8ELi128ELNS_18Fp8KVCacheDataTypeE0ELb0ELi512EEEvPfS2_PT_PKS3_PKT0_S9_ifPKiSB_iPKfiiiSD_SD_iiiii
	.globl	_ZN4vllm25paged_attention_v2_kernelIffLi128ELi8ELi128ELNS_18Fp8KVCacheDataTypeE0ELb0ELi512EEEvPfS2_PT_PKS3_PKT0_S9_ifPKiSB_iPKfiiiSD_SD_iiiii
	.p2align	8
	.type	_ZN4vllm25paged_attention_v2_kernelIffLi128ELi8ELi128ELNS_18Fp8KVCacheDataTypeE0ELb0ELi512EEEvPfS2_PT_PKS3_PKT0_S9_ifPKiSB_iPKfiiiSD_SD_iiiii,@function
_ZN4vllm25paged_attention_v2_kernelIffLi128ELi8ELi128ELNS_18Fp8KVCacheDataTypeE0ELb0ELi512EEEvPfS2_PT_PKS3_PKT0_S9_ifPKiSB_iPKfiiiSD_SD_iiiii: ; @_ZN4vllm25paged_attention_v2_kernelIffLi128ELi8ELi128ELNS_18Fp8KVCacheDataTypeE0ELb0ELi512EEEvPfS2_PT_PKS3_PKT0_S9_ifPKiSB_iPKfiiiSD_SD_iiiii
; %bb.0:
	s_load_dwordx2 s[0:1], s[4:5], 0x40
	s_mov_b32 s24, s7
	s_ashr_i32 s25, s7, 31
	s_lshl_b64 s[2:3], s[24:25], 2
	s_waitcnt lgkmcnt(0)
	s_add_u32 s0, s0, s2
	s_addc_u32 s1, s1, s3
	s_load_dword s25, s[0:1], 0x0
	s_lshl_b32 s33, s8, 9
	s_waitcnt lgkmcnt(0)
	s_cmp_ge_i32 s33, s25
	s_cbranch_scc1 .LBB24_63
; %bb.1:
	s_load_dword s9, s[4:5], 0x90
	s_load_dwordx2 s[10:11], s[4:5], 0x30
	s_mov_b32 s40, 0
	s_waitcnt lgkmcnt(0)
	s_abs_i32 s2, s9
	s_abs_i32 s0, s10
	v_cvt_f32_u32_e32 v1, s0
	s_sub_i32 s3, 0, s0
	s_xor_b32 s1, s9, s10
	s_ashr_i32 s1, s1, 31
	v_rcp_iflag_f32_e32 v1, v1
	v_mul_f32_e32 v1, 0x4f7ffffe, v1
	v_cvt_u32_f32_e32 v1, v1
	v_readfirstlane_b32 s7, v1
	s_mul_i32 s3, s3, s7
	s_mul_hi_u32 s3, s7, s3
	s_add_i32 s7, s7, s3
	s_mul_hi_u32 s3, s2, s7
	s_mul_i32 s7, s3, s0
	s_sub_i32 s2, s2, s7
	s_add_i32 s10, s3, 1
	s_sub_i32 s7, s2, s0
	s_cmp_ge_u32 s2, s0
	s_cselect_b32 s3, s10, s3
	s_cselect_b32 s2, s7, s2
	s_add_i32 s7, s3, 1
	s_cmp_ge_u32 s2, s0
	s_cselect_b32 s0, s7, s3
	s_xor_b32 s0, s0, s1
	s_sub_i32 s10, s0, s1
	s_abs_i32 s2, s10
	v_cvt_f32_u32_e32 v1, s2
	s_load_dwordx2 s[0:1], s[4:5], 0x50
	s_sub_i32 s7, 0, s2
	s_abs_i32 s3, s6
	v_rcp_iflag_f32_e32 v1, v1
	v_mul_f32_e32 v1, 0x4f7ffffe, v1
	v_cvt_u32_f32_e32 v1, v1
	v_readfirstlane_b32 s12, v1
	s_mul_i32 s7, s7, s12
	s_mul_hi_u32 s7, s12, s7
	s_add_i32 s12, s12, s7
	s_waitcnt lgkmcnt(0)
	s_cmp_eq_u64 s[0:1], 0
	s_mul_hi_u32 s16, s3, s12
	s_cbranch_scc1 .LBB24_3
; %bb.2:
	s_ashr_i32 s7, s6, 31
	s_lshl_b64 s[12:13], s[6:7], 2
	s_add_u32 s0, s0, s12
	s_addc_u32 s1, s1, s13
	s_load_dword s40, s[0:1], 0x0
.LBB24_3:
	s_load_dwordx4 s[12:15], s[4:5], 0x58
	s_movk_i32 s0, 0x80
	s_ashr_i32 s17, s6, 31
	s_ashr_i32 s18, s10, 31
	v_and_b32_e32 v18, 7, v0
	s_lshl_b32 s20, s6, 7
	v_cmp_gt_u32_e32 vcc, s0, v0
	v_lshlrev_b32_e32 v20, 2, v0
	v_lshrrev_b32_e32 v1, 1, v0
	s_and_saveexec_b64 s[0:1], vcc
	s_cbranch_execz .LBB24_5
; %bb.4:
	s_load_dwordx2 s[22:23], s[4:5], 0x18
	s_waitcnt lgkmcnt(0)
	s_mul_i32 s26, s24, s12
	s_ashr_i32 s27, s26, 31
	s_lshl_b64 s[26:27], s[26:27], 2
	v_and_b32_e32 v3, 0x1fc, v1
	s_add_u32 s7, s22, s26
	s_addc_u32 s10, s23, s27
	s_ashr_i32 s21, s20, 31
	s_lshl_b64 s[22:23], s[20:21], 2
	s_add_u32 s22, s7, s22
	s_addc_u32 s23, s10, s23
	global_load_dword v2, v20, s[22:23]
	v_lshl_add_u32 v3, v18, 6, v3
	s_waitcnt vmcnt(0)
	ds_write_b32 v3, v2
.LBB24_5:
	s_or_b64 exec, exec, s[0:1]
	s_add_i32 s0, s25, 7
	s_ashr_i32 s1, s0, 31
	s_lshr_b32 s1, s1, 29
	s_add_i32 s0, s0, s1
	s_lshl_b32 s10, s8, 6
	s_mul_i32 s1, s16, s2
	s_ashr_i32 s7, s0, 3
	s_add_i32 s0, s10, 64
	s_sub_i32 s1, s3, s1
	s_min_i32 s21, s0, s7
	s_xor_b32 s0, s17, s18
	s_add_i32 s3, s16, 1
	s_waitcnt lgkmcnt(0)
	s_sub_i32 s12, s1, s2
	s_cmp_ge_u32 s1, s2
	s_cselect_b32 s3, s3, s16
	s_cselect_b32 s1, s12, s1
	s_add_i32 s12, s3, 1
	s_cmp_ge_u32 s1, s2
	s_load_dwordx2 s[26:27], s[4:5], 0x38
	s_load_dword s2, s[4:5], 0x48
	v_lshrrev_b32_e32 v21, 6, v0
	s_cselect_b32 s1, s12, s3
	s_xor_b32 s1, s1, s0
	v_or_b32_e32 v22, s10, v21
	s_waitcnt lgkmcnt(0)
	s_mul_i32 s28, s24, s2
	s_sub_i32 s15, s1, s0
	s_ashr_i32 s29, s28, 31
	v_cmp_gt_i32_e64 s[0:1], s21, v22
	v_cmp_le_i32_e32 vcc, s21, v22
	v_mbcnt_lo_u32_b32 v19, -1, 0
	s_barrier
	s_waitcnt lgkmcnt(0)
                                        ; implicit-def: $sgpr36
                                        ; implicit-def: $vgpr24
                                        ; implicit-def: $vgpr25
	s_and_saveexec_b64 s[2:3], vcc
	s_xor_b64 s[2:3], exec, s[2:3]
; %bb.6:
	v_mbcnt_hi_u32_b32 v24, -1, v19
	v_and_b32_e32 v2, 64, v24
	v_add_u32_e32 v25, 64, v2
	s_mov_b32 s36, 0xff7fffff
                                        ; implicit-def: $vgpr18
                                        ; implicit-def: $vgpr19
; %bb.7:
	s_or_saveexec_b64 s[34:35], s[2:3]
	s_load_dwordx4 s[16:19], s[4:5], 0x0
	s_load_dwordx2 s[22:23], s[4:5], 0x10
	s_load_dwordx2 s[30:31], s[4:5], 0x28
	s_load_dword s12, s[4:5], 0x98
	v_mov_b32_e32 v27, s36
	s_mul_i32 s14, s15, s14
	v_ashrrev_i32_e32 v23, 31, v22
	s_xor_b64 exec, exec, s[34:35]
	s_cbranch_execz .LBB24_13
; %bb.8:
	s_load_dwordx2 s[2:3], s[4:5], 0x20
	s_ashr_i32 s15, s14, 31
	s_lshl_b64 s[4:5], s[14:15], 2
	v_bfe_u32 v27, v0, 3, 3
	v_lshlrev_b32_e32 v2, 4, v27
	s_waitcnt lgkmcnt(0)
	s_add_u32 s2, s2, s4
	s_addc_u32 s3, s3, s5
	v_mov_b32_e32 v3, s3
	v_add_co_u32_e32 v2, vcc, s2, v2
	v_and_b32_e32 v4, 3, v0
	v_addc_co_u32_e32 v3, vcc, 0, v3, vcc
	v_lshlrev_b32_e32 v4, 2, v4
	v_mbcnt_hi_u32_b32 v24, -1, v19
	v_add_co_u32_e32 v30, vcc, v2, v4
	v_and_b32_e32 v19, 64, v24
	v_addc_co_u32_e32 v31, vcc, 0, v3, vcc
	v_add_u32_e32 v25, 64, v19
	v_xor_b32_e32 v19, 4, v24
	v_cmp_lt_i32_e32 vcc, v19, v25
	v_cndmask_b32_e32 v19, v24, v19, vcc
	v_lshlrev_b32_e32 v26, 2, v19
	v_xor_b32_e32 v19, 2, v24
	v_cmp_lt_i32_e32 vcc, v19, v25
	v_cndmask_b32_e32 v19, v24, v19, vcc
	v_lshlrev_b32_e32 v28, 2, v19
	v_xor_b32_e32 v19, 1, v24
	v_cmp_lt_i32_e32 vcc, v19, v25
	v_lshlrev_b32_e32 v14, 6, v18
	v_cndmask_b32_e32 v19, v24, v19, vcc
	v_cmp_eq_u32_e32 vcc, 0, v18
	v_lshlrev_b32_e32 v18, 5, v0
	v_and_b32_e32 v18, 0x80, v18
	ds_read_b128 v[2:5], v14
	ds_read_b128 v[6:9], v14 offset:16
	ds_read_b128 v[10:13], v14 offset:32
	;; [unrolled: 1-line block ×3, first 2 shown]
	v_add_co_u32_e64 v30, s[4:5], v30, v18
	v_addc_co_u32_e64 v31, s[4:5], 0, v31, s[4:5]
	v_lshlrev_b32_e32 v33, 2, v27
	s_sub_i32 s15, 1, s25
	v_lshlrev_b32_e32 v18, 3, v21
	s_lshl_b64 s[4:5], s[28:29], 2
	v_add3_u32 v32, s33, v18, v27
	v_lshl_or_b32 v18, v21, 5, v33
	s_add_u32 s4, s26, s4
	v_lshlrev_b32_e32 v29, 2, v19
	v_add_u32_e32 v33, 0x210, v18
	v_lshlrev_b64 v[18:19], 2, v[22:23]
	s_addc_u32 s5, s27, s5
	v_mov_b32_e32 v27, s5
	v_add_co_u32_e64 v18, s[4:5], s4, v18
	s_mov_b32 s41, s13
	v_cmp_neq_f32_e64 s[2:3], s40, 0
	v_addc_co_u32_e64 v19, s[4:5], v27, v19, s[4:5]
	s_mov_b64 s[36:37], 0
	v_mov_b32_e32 v27, 0xff7fffff
	v_mov_b32_e32 v34, v22
	s_branch .LBB24_10
.LBB24_9:                               ;   in Loop: Header=BB24_10 Depth=1
	s_or_b64 exec, exec, s[38:39]
	v_add_u32_e32 v34, 2, v34
	v_cmp_le_i32_e64 s[4:5], s21, v34
	s_or_b64 s[36:37], s[4:5], s[36:37]
	v_add_co_u32_e64 v18, s[4:5], 8, v18
	v_add_u32_e32 v32, 16, v32
	v_add_u32_e32 v33, 64, v33
	v_addc_co_u32_e64 v19, s[4:5], 0, v19, s[4:5]
	s_andn2_b64 exec, exec, s[36:37]
	s_cbranch_execz .LBB24_12
.LBB24_10:                              ; =>This Inner Loop Header: Depth=1
	global_load_dword v35, v[18:19], off
	s_waitcnt vmcnt(0) lgkmcnt(0)
	v_mad_i64_i32 v[36:37], s[4:5], v35, s41, 0
	v_lshlrev_b64 v[36:37], 2, v[36:37]
	v_add_co_u32_e64 v36, s[4:5], v30, v36
	v_addc_co_u32_e64 v37, s[4:5], v31, v37, s[4:5]
	global_load_dword v35, v[36:37], off offset:256
	global_load_dword v38, v[36:37], off
	global_load_dword v39, v[36:37], off offset:512
	global_load_dword v40, v[36:37], off offset:768
	;; [unrolled: 1-line block ×13, first 2 shown]
	s_nop 0
	global_load_dword v36, v[36:37], off offset:3840
	s_waitcnt vmcnt(15) lgkmcnt(3)
	v_mul_f32_e32 v35, v3, v35
	s_waitcnt vmcnt(14)
	v_fmac_f32_e32 v35, v2, v38
	s_waitcnt vmcnt(13)
	v_fmac_f32_e32 v35, v4, v39
	s_waitcnt vmcnt(12)
	v_fmac_f32_e32 v35, v5, v40
	s_waitcnt vmcnt(11) lgkmcnt(2)
	v_fmac_f32_e32 v35, v6, v41
	s_waitcnt vmcnt(10)
	v_fmac_f32_e32 v35, v7, v42
	s_waitcnt vmcnt(9)
	v_fmac_f32_e32 v35, v8, v43
	s_waitcnt vmcnt(8)
	v_fmac_f32_e32 v35, v9, v44
	s_waitcnt vmcnt(7) lgkmcnt(1)
	v_fmac_f32_e32 v35, v10, v45
	;; [unrolled: 8-line block ×3, first 2 shown]
	s_waitcnt vmcnt(2)
	v_fmac_f32_e32 v35, v15, v50
	s_waitcnt vmcnt(1)
	v_fmac_f32_e32 v35, v16, v51
	s_waitcnt vmcnt(0)
	v_fmac_f32_e32 v35, v17, v36
	ds_bpermute_b32 v36, v26, v35
	s_waitcnt lgkmcnt(0)
	v_add_f32_e32 v35, v35, v36
	ds_bpermute_b32 v36, v28, v35
	s_waitcnt lgkmcnt(0)
	v_add_f32_e32 v35, v35, v36
	ds_bpermute_b32 v36, v29, v35
	s_and_saveexec_b64 s[38:39], vcc
	s_cbranch_execz .LBB24_9
; %bb.11:                               ;   in Loop: Header=BB24_10 Depth=1
	v_add_u32_e32 v37, s15, v32
	v_cvt_f32_i32_e32 v37, v37
	s_waitcnt lgkmcnt(0)
	v_add_f32_e32 v35, v35, v36
	v_cmp_gt_i32_e64 s[4:5], s25, v32
	v_max_f32_e32 v36, v27, v27
	v_mul_f32_e32 v37, s40, v37
	v_cndmask_b32_e64 v37, 0, v37, s[2:3]
	v_fmac_f32_e32 v37, s11, v35
	v_cndmask_b32_e64 v35, 0, v37, s[4:5]
	ds_write_b32 v33, v35
	v_max_f32_e32 v35, v36, v37
	v_cndmask_b32_e64 v27, v27, v35, s[4:5]
	s_branch .LBB24_9
.LBB24_12:
	s_or_b64 exec, exec, s[36:37]
.LBB24_13:
	s_or_b64 exec, exec, s[34:35]
	v_xor_b32_e32 v2, 32, v24
	v_cmp_lt_i32_e32 vcc, v2, v25
	v_cndmask_b32_e32 v2, v24, v2, vcc
	v_lshlrev_b32_e32 v3, 2, v2
	ds_bpermute_b32 v2, v3, v27
	v_xor_b32_e32 v5, 16, v24
	v_max_f32_e32 v4, v27, v27
	v_cmp_lt_i32_e32 vcc, v5, v25
	v_and_b32_e32 v30, 63, v0
	s_waitcnt lgkmcnt(0)
	v_max_f32_e32 v2, v2, v2
	v_max_f32_e32 v2, v4, v2
	v_cndmask_b32_e32 v4, v24, v5, vcc
	v_lshlrev_b32_e32 v6, 2, v4
	ds_bpermute_b32 v4, v6, v2
	v_xor_b32_e32 v5, 8, v24
	v_cmp_lt_i32_e32 vcc, v5, v25
	s_waitcnt lgkmcnt(0)
	v_max_f32_e32 v4, v4, v4
	v_max_f32_e32 v4, v2, v4
	v_cndmask_b32_e32 v2, v24, v5, vcc
	v_lshlrev_b32_e32 v7, 2, v2
	ds_bpermute_b32 v5, v7, v4
	v_cmp_eq_u32_e32 vcc, 0, v30
	v_lshlrev_b32_e32 v2, 2, v21
	s_and_saveexec_b64 s[2:3], vcc
	s_cbranch_execz .LBB24_15
; %bb.14:
	s_waitcnt lgkmcnt(0)
	v_max_f32_e32 v5, v5, v5
	v_max_f32_e32 v4, v4, v4
	;; [unrolled: 1-line block ×3, first 2 shown]
	ds_write_b32 v2, v4 offset:512
.LBB24_15:
	s_or_b64 exec, exec, s[2:3]
	v_cmp_gt_u32_e64 s[2:3], 2, v30
	v_mov_b32_e32 v4, 0xff7fffff
	s_waitcnt lgkmcnt(0)
	v_lshlrev_b32_e32 v5, 2, v30
	s_barrier
	s_and_saveexec_b64 s[4:5], s[2:3]
	s_cbranch_execz .LBB24_17
; %bb.16:
	ds_read_b32 v4, v5 offset:512
.LBB24_17:
	s_or_b64 exec, exec, s[4:5]
	v_xor_b32_e32 v8, 1, v24
	v_cmp_lt_i32_e64 s[4:5], v8, v25
	v_cndmask_b32_e64 v8, v24, v8, s[4:5]
	v_lshlrev_b32_e32 v31, 2, v8
	s_waitcnt lgkmcnt(0)
	ds_bpermute_b32 v8, v31, v4
	v_max_f32_e32 v4, v4, v4
	s_sub_i32 s4, s21, s10
	s_lshl_b32 s4, s4, 3
	s_add_i32 s4, s4, s33
	s_waitcnt lgkmcnt(0)
	v_max_f32_e32 v8, v8, v8
	v_max_f32_e32 v4, v4, v8
	v_lshlrev_b32_e32 v8, 2, v24
	v_and_b32_e32 v8, 0xffffff00, v8
	ds_bpermute_b32 v4, v8, v4
	s_min_i32 s38, s4, s25
	s_sub_i32 s15, s38, s33
	v_cmp_gt_i32_e64 s[4:5], s15, v0
	v_mov_b32_e32 v9, 0
	s_and_saveexec_b64 s[34:35], s[4:5]
	s_cbranch_execz .LBB24_21
; %bb.18:
	v_mov_b32_e32 v9, 0x210
	v_lshl_add_u32 v10, v0, 2, v9
	s_mov_b64 s[36:37], 0
	v_mov_b32_e32 v9, 0
	v_mov_b32_e32 v11, v0
.LBB24_19:                              ; =>This Inner Loop Header: Depth=1
	ds_read_b32 v12, v10
	v_add_u32_e32 v11, 0x80, v11
	v_cmp_le_i32_e64 s[10:11], s15, v11
	s_or_b64 s[36:37], s[10:11], s[36:37]
	s_waitcnt lgkmcnt(0)
	v_sub_f32_e32 v12, v12, v4
	v_mul_f32_e32 v12, 0x3fb8aa3b, v12
	v_exp_f32_e32 v12, v12
	ds_write_b32 v10, v12
	v_add_f32_e32 v9, v9, v12
	v_add_u32_e32 v10, 0x200, v10
	s_andn2_b64 exec, exec, s[36:37]
	s_cbranch_execnz .LBB24_19
; %bb.20:
	s_or_b64 exec, exec, s[36:37]
.LBB24_21:
	s_or_b64 exec, exec, s[34:35]
	ds_bpermute_b32 v3, v3, v9
	s_waitcnt lgkmcnt(0)
	v_add_f32_e32 v3, v9, v3
	ds_bpermute_b32 v6, v6, v3
	s_waitcnt lgkmcnt(0)
	v_add_f32_e32 v3, v3, v6
	ds_bpermute_b32 v6, v7, v3
	v_xor_b32_e32 v7, 4, v24
	v_cmp_lt_i32_e64 s[10:11], v7, v25
	v_cndmask_b32_e64 v7, v24, v7, s[10:11]
	v_lshlrev_b32_e32 v7, 2, v7
	s_waitcnt lgkmcnt(0)
	v_add_f32_e32 v3, v3, v6
	ds_bpermute_b32 v6, v7, v3
	v_xor_b32_e32 v7, 2, v24
	v_cmp_lt_i32_e64 s[10:11], v7, v25
	v_cndmask_b32_e64 v7, v24, v7, s[10:11]
	s_waitcnt lgkmcnt(0)
	v_add_f32_e32 v3, v3, v6
	v_lshlrev_b32_e32 v6, 2, v7
	ds_bpermute_b32 v6, v6, v3
	s_waitcnt lgkmcnt(0)
	v_add_f32_e32 v3, v3, v6
	ds_bpermute_b32 v6, v31, v3
	s_waitcnt lgkmcnt(0)
	v_add_f32_e32 v3, v3, v6
	s_and_saveexec_b64 s[10:11], vcc
	s_cbranch_execz .LBB24_23
; %bb.22:
	ds_write_b32 v2, v3 offset:520
.LBB24_23:
	s_or_b64 exec, exec, s[10:11]
	s_waitcnt lgkmcnt(0)
	s_barrier
	s_and_saveexec_b64 s[10:11], s[2:3]
	s_cbranch_execz .LBB24_25
; %bb.24:
	ds_read_b32 v3, v5 offset:520
.LBB24_25:
	s_or_b64 exec, exec, s[10:11]
	s_waitcnt lgkmcnt(0)
	ds_bpermute_b32 v2, v31, v3
	s_waitcnt lgkmcnt(0)
	v_add_f32_e32 v2, v3, v2
	ds_bpermute_b32 v5, v8, v2
	s_and_saveexec_b64 s[2:3], s[4:5]
	s_cbranch_execz .LBB24_38
; %bb.26:
	s_waitcnt lgkmcnt(0)
	v_add_f32_e32 v2, 0x358637bd, v5
	v_div_scale_f32 v3, s[4:5], v2, v2, 1.0
	v_rcp_f32_e32 v6, v3
	v_div_scale_f32 v7, vcc, 1.0, v2, 1.0
	s_movk_i32 s4, 0x7f
	v_fma_f32 v8, -v3, v6, 1.0
	v_fmac_f32_e32 v6, v8, v6
	v_mul_f32_e32 v8, v7, v6
	v_fma_f32 v9, -v3, v8, v7
	v_fmac_f32_e32 v8, v9, v6
	v_fma_f32 v3, -v3, v8, v7
	v_div_fmas_f32 v3, v3, v6, v8
	v_div_fixup_f32 v2, v3, v2, 1.0
	v_xad_u32 v3, v0, -1, s38
	v_subrev_u32_e32 v6, s33, v3
	v_cmp_lt_u32_e32 vcc, s4, v6
	s_mov_b64 s[10:11], -1
	v_mov_b32_e32 v3, v0
	s_and_saveexec_b64 s[4:5], vcc
	s_cbranch_execz .LBB24_35
; %bb.27:
	v_lshrrev_b32_e32 v6, 7, v6
	v_add_u32_e32 v8, -1, v6
	v_lshrrev_b32_e32 v7, 1, v8
	v_mov_b32_e32 v3, v2
	v_add_u32_e32 v7, 1, v7
	v_cmp_lt_u32_e32 vcc, 13, v8
	v_mov_b32_e32 v10, 0
	s_and_saveexec_b64 s[10:11], vcc
	s_cbranch_execz .LBB24_31
; %bb.28:
	v_mov_b32_e32 v9, 0x210
	v_and_b32_e32 v8, -8, v7
	v_lshl_add_u32 v9, v0, 2, v9
	s_mov_b32 s36, 0
	s_mov_b64 s[34:35], 0
.LBB24_29:                              ; =>This Inner Loop Header: Depth=1
	ds_read2st64_b32 v[10:11], v9 offset1:2
	ds_read2st64_b32 v[12:13], v9 offset0:4 offset1:6
	ds_read2st64_b32 v[14:15], v9 offset0:8 offset1:10
	ds_read2st64_b32 v[16:17], v9 offset0:12 offset1:14
	v_add_u32_e32 v8, -8, v8
	s_waitcnt lgkmcnt(3)
	v_pk_mul_f32 v[10:11], v[2:3], v[10:11]
	s_waitcnt lgkmcnt(2)
	v_pk_mul_f32 v[12:13], v[2:3], v[12:13]
	ds_write2st64_b32 v9, v10, v11 offset1:2
	ds_write2st64_b32 v9, v12, v13 offset0:4 offset1:6
	ds_read2st64_b32 v[12:13], v9 offset0:16 offset1:18
	s_waitcnt lgkmcnt(4)
	v_pk_mul_f32 v[10:11], v[2:3], v[14:15]
	ds_write2st64_b32 v9, v10, v11 offset0:8 offset1:10
	s_waitcnt lgkmcnt(4)
	v_pk_mul_f32 v[10:11], v[2:3], v[16:17]
	ds_write2st64_b32 v9, v10, v11 offset0:12 offset1:14
	ds_read2st64_b32 v[10:11], v9 offset0:20 offset1:22
	s_waitcnt lgkmcnt(3)
	v_pk_mul_f32 v[12:13], v[2:3], v[12:13]
	ds_read2st64_b32 v[14:15], v9 offset0:24 offset1:26
	ds_write2st64_b32 v9, v12, v13 offset0:16 offset1:18
	ds_read2st64_b32 v[12:13], v9 offset0:28 offset1:30
	s_waitcnt lgkmcnt(3)
	v_pk_mul_f32 v[10:11], v[2:3], v[10:11]
	ds_write2st64_b32 v9, v10, v11 offset0:20 offset1:22
	s_waitcnt lgkmcnt(3)
	v_pk_mul_f32 v[10:11], v[2:3], v[14:15]
	ds_write2st64_b32 v9, v10, v11 offset0:24 offset1:26
	s_waitcnt lgkmcnt(2)
	v_pk_mul_f32 v[10:11], v[2:3], v[12:13]
	s_add_i32 s36, s36, 16
	v_cmp_eq_u32_e32 vcc, 0, v8
	ds_write2st64_b32 v9, v10, v11 offset0:28 offset1:30
	v_add_u32_e32 v9, 0x2000, v9
	s_or_b64 s[34:35], vcc, s[34:35]
	v_mov_b32_e32 v10, s36
	s_andn2_b64 exec, exec, s[34:35]
	s_cbranch_execnz .LBB24_29
; %bb.30:
	s_or_b64 exec, exec, s[34:35]
.LBB24_31:
	s_or_b64 exec, exec, s[10:11]
	v_and_b32_e32 v7, 7, v7
	v_cmp_ne_u32_e32 vcc, 0, v7
	s_and_saveexec_b64 s[10:11], vcc
	s_cbranch_execz .LBB24_34
; %bb.32:
	v_lshlrev_b32_e32 v8, 9, v10
	s_movk_i32 s34, 0x210
	v_add3_u32 v8, v8, v20, s34
	s_mov_b64 s[34:35], 0
.LBB24_33:                              ; =>This Inner Loop Header: Depth=1
	ds_read2st64_b32 v[10:11], v8 offset1:2
	v_add_u32_e32 v7, -1, v7
	v_cmp_eq_u32_e32 vcc, 0, v7
	s_or_b64 s[34:35], vcc, s[34:35]
	s_waitcnt lgkmcnt(0)
	v_pk_mul_f32 v[10:11], v[2:3], v[10:11]
	ds_write2st64_b32 v8, v10, v11 offset1:2
	v_add_u32_e32 v8, 0x400, v8
	s_andn2_b64 exec, exec, s[34:35]
	s_cbranch_execnz .LBB24_33
.LBB24_34:
	s_or_b64 exec, exec, s[10:11]
	v_add_u32_e32 v6, 1, v6
	v_and_b32_e32 v7, 0x3fffffe, v6
	v_cmp_ne_u32_e32 vcc, v6, v7
	v_lshl_add_u32 v3, v7, 7, v0
	s_orn2_b64 s[10:11], vcc, exec
.LBB24_35:
	s_or_b64 exec, exec, s[4:5]
	s_and_b64 exec, exec, s[10:11]
	s_cbranch_execz .LBB24_38
; %bb.36:
	v_mov_b32_e32 v6, 0x210
	v_lshl_add_u32 v6, v3, 2, v6
	s_mov_b64 s[4:5], 0
.LBB24_37:                              ; =>This Inner Loop Header: Depth=1
	ds_read_b32 v7, v6
	v_add_u32_e32 v3, 0x80, v3
	v_cmp_le_i32_e32 vcc, s15, v3
	s_or_b64 s[4:5], vcc, s[4:5]
	s_waitcnt lgkmcnt(0)
	v_mul_f32_e32 v7, v2, v7
	ds_write_b32 v6, v7
	v_add_u32_e32 v6, 0x200, v6
	s_andn2_b64 exec, exec, s[4:5]
	s_cbranch_execnz .LBB24_37
.LBB24_38:
	s_or_b64 exec, exec, s[2:3]
	s_mul_i32 s2, s12, s24
	v_cmp_eq_u32_e32 vcc, 0, v0
	s_mul_i32 s2, s2, s9
	s_waitcnt lgkmcnt(0)
	s_barrier
	s_and_saveexec_b64 s[4:5], vcc
	s_cbranch_execz .LBB24_40
; %bb.39:
	s_ashr_i32 s3, s2, 31
	s_lshl_b64 s[10:11], s[2:3], 2
	s_add_u32 s3, s18, s10
	s_mul_i32 s18, s12, s6
	s_addc_u32 s9, s19, s11
	s_ashr_i32 s19, s18, 31
	s_lshl_b64 s[18:19], s[18:19], 2
	s_add_u32 s3, s3, s18
	s_addc_u32 s6, s9, s19
	s_ashr_i32 s9, s8, 31
	s_lshl_b64 s[34:35], s[8:9], 2
	s_add_u32 s36, s3, s34
	s_addc_u32 s37, s6, s35
	s_add_u32 s3, s16, s10
	s_addc_u32 s6, s17, s11
	;; [unrolled: 2-line block ×3, first 2 shown]
	s_add_u32 s10, s3, s34
	v_mov_b32_e32 v2, 0
	s_addc_u32 s11, s6, s35
	global_store_dword v2, v4, s[36:37]
	global_store_dword v2, v5, s[10:11]
.LBB24_40:
	s_or_b64 exec, exec, s[4:5]
	v_mov_b32_e32 v25, 0
	v_and_b32_e32 v32, 1, v0
	v_mov_b32_e32 v24, 0
	v_mov_b32_e32 v27, 0
	;; [unrolled: 1-line block ×3, first 2 shown]
	s_and_saveexec_b64 s[4:5], s[0:1]
	s_cbranch_execz .LBB24_52
; %bb.41:
	s_ashr_i32 s15, s14, 31
	s_lshl_b64 s[0:1], s[14:15], 2
	v_lshlrev_b32_e32 v3, 4, v0
	s_add_u32 s0, s30, s0
	v_and_b32_e32 v3, 0x3f0, v3
	v_and_b32_e32 v2, 4, v20
	s_addc_u32 s1, s31, s1
	v_add_co_u32_e32 v33, vcc, s0, v3
	v_lshl_add_u32 v3, v21, 3, s33
	s_add_i32 s9, s7, -1
	v_mov_b32_e32 v4, s1
	v_add3_u32 v35, v3, v2, 3
	v_lshlrev_b32_e32 v2, 4, v32
	s_lshl_b64 s[0:1], s[28:29], 2
	v_lshl_or_b32 v2, v21, 5, v2
	s_add_u32 s0, s26, s0
	v_addc_co_u32_e32 v34, vcc, 0, v4, vcc
	v_add_u32_e32 v36, 0x210, v2
	v_lshlrev_b64 v[2:3], 2, v[22:23]
	s_addc_u32 s1, s27, s1
	v_mov_b32_e32 v4, s1
	v_add_co_u32_e32 v28, vcc, s0, v2
	v_mov_b32_e32 v26, 0
	s_mov_b32 s3, s13
	v_addc_co_u32_e32 v29, vcc, v4, v3, vcc
	s_mov_b64 s[6:7], 0
	v_mov_b32_e32 v27, v26
	v_mov_b32_e32 v24, v26
	;; [unrolled: 1-line block ×3, first 2 shown]
	s_branch .LBB24_43
.LBB24_42:                              ;   in Loop: Header=BB24_43 Depth=1
	s_or_b64 exec, exec, s[0:1]
	s_waitcnt vmcnt(3) lgkmcnt(0)
	v_mul_f32_e32 v7, v3, v7
	v_fmac_f32_e32 v7, v2, v6
	s_waitcnt vmcnt(2)
	v_mul_f32_e32 v6, v3, v11
	v_fmac_f32_e32 v6, v2, v10
	v_fmac_f32_e32 v6, v4, v12
	;; [unrolled: 1-line block ×3, first 2 shown]
	v_add_f32_e32 v27, v27, v6
	s_waitcnt vmcnt(1)
	v_mul_f32_e32 v6, v3, v15
	s_waitcnt vmcnt(0)
	v_mul_f32_e32 v3, v3, v19
	v_fmac_f32_e32 v6, v2, v14
	v_fmac_f32_e32 v3, v2, v18
	v_add_u32_e32 v22, 2, v22
	v_fmac_f32_e32 v7, v4, v8
	v_fmac_f32_e32 v6, v4, v16
	;; [unrolled: 1-line block ×3, first 2 shown]
	v_cmp_le_i32_e32 vcc, s21, v22
	v_fmac_f32_e32 v7, v5, v9
	v_fmac_f32_e32 v6, v5, v17
	;; [unrolled: 1-line block ×3, first 2 shown]
	s_or_b64 s[6:7], vcc, s[6:7]
	v_add_co_u32_e32 v28, vcc, 8, v28
	v_add_f32_e32 v26, v26, v7
	v_add_f32_e32 v24, v24, v6
	;; [unrolled: 1-line block ×3, first 2 shown]
	v_add_u32_e32 v35, 16, v35
	v_add_u32_e32 v36, 64, v36
	v_addc_co_u32_e32 v29, vcc, 0, v29, vcc
	s_andn2_b64 exec, exec, s[6:7]
	s_cbranch_execz .LBB24_51
.LBB24_43:                              ; =>This Inner Loop Header: Depth=1
	global_load_dword v2, v[28:29], off
	v_add_u32_e32 v23, -3, v35
	v_add_u32_e32 v38, -2, v35
	;; [unrolled: 1-line block ×3, first 2 shown]
	s_waitcnt vmcnt(0)
	v_mad_i64_i32 v[2:3], s[0:1], v2, s3, 0
	v_lshlrev_b64 v[2:3], 2, v[2:3]
	v_add_co_u32_e32 v18, vcc, v33, v2
	v_addc_co_u32_e32 v19, vcc, v34, v3, vcc
	global_load_dwordx4 v[6:9], v[18:19], off
	ds_read_b128 v[2:5], v36
	v_cmp_eq_u32_e32 vcc, s9, v22
	s_and_saveexec_b64 s[10:11], vcc
	s_cbranch_execnz .LBB24_47
; %bb.44:                               ;   in Loop: Header=BB24_43 Depth=1
	s_or_b64 exec, exec, s[10:11]
	global_load_dwordx4 v[10:13], v[18:19], off offset:1024
	s_and_saveexec_b64 s[10:11], vcc
	s_cbranch_execnz .LBB24_48
.LBB24_45:                              ;   in Loop: Header=BB24_43 Depth=1
	s_or_b64 exec, exec, s[10:11]
	global_load_dwordx4 v[14:17], v[18:19], off offset:2048
	s_and_saveexec_b64 s[10:11], vcc
	s_cbranch_execnz .LBB24_49
.LBB24_46:                              ;   in Loop: Header=BB24_43 Depth=1
	s_or_b64 exec, exec, s[10:11]
	global_load_dwordx4 v[18:21], v[18:19], off offset:3072
	s_and_saveexec_b64 s[0:1], vcc
	s_cbranch_execz .LBB24_42
	s_branch .LBB24_50
.LBB24_47:                              ;   in Loop: Header=BB24_43 Depth=1
	v_cmp_gt_i32_e64 s[0:1], s25, v23
	s_waitcnt vmcnt(0)
	v_cndmask_b32_e64 v6, 0, v6, s[0:1]
	v_cmp_gt_i32_e64 s[0:1], s25, v38
	v_cndmask_b32_e64 v7, 0, v7, s[0:1]
	v_cmp_gt_i32_e64 s[0:1], s25, v37
	;; [unrolled: 2-line block ×3, first 2 shown]
	v_cndmask_b32_e64 v9, 0, v9, s[0:1]
	s_or_b64 exec, exec, s[10:11]
	global_load_dwordx4 v[10:13], v[18:19], off offset:1024
	s_and_saveexec_b64 s[10:11], vcc
	s_cbranch_execz .LBB24_45
.LBB24_48:                              ;   in Loop: Header=BB24_43 Depth=1
	v_cmp_gt_i32_e64 s[0:1], s25, v23
	s_waitcnt vmcnt(0)
	v_cndmask_b32_e64 v10, 0, v10, s[0:1]
	v_cmp_gt_i32_e64 s[0:1], s25, v38
	v_cndmask_b32_e64 v11, 0, v11, s[0:1]
	v_cmp_gt_i32_e64 s[0:1], s25, v37
	;; [unrolled: 2-line block ×3, first 2 shown]
	v_cndmask_b32_e64 v13, 0, v13, s[0:1]
	s_or_b64 exec, exec, s[10:11]
	global_load_dwordx4 v[14:17], v[18:19], off offset:2048
	s_and_saveexec_b64 s[10:11], vcc
	s_cbranch_execz .LBB24_46
.LBB24_49:                              ;   in Loop: Header=BB24_43 Depth=1
	v_cmp_gt_i32_e64 s[0:1], s25, v23
	s_waitcnt vmcnt(0)
	v_cndmask_b32_e64 v14, 0, v14, s[0:1]
	v_cmp_gt_i32_e64 s[0:1], s25, v38
	v_cndmask_b32_e64 v15, 0, v15, s[0:1]
	v_cmp_gt_i32_e64 s[0:1], s25, v37
	;; [unrolled: 2-line block ×3, first 2 shown]
	v_cndmask_b32_e64 v17, 0, v17, s[0:1]
	s_or_b64 exec, exec, s[10:11]
	global_load_dwordx4 v[18:21], v[18:19], off offset:3072
	s_and_saveexec_b64 s[0:1], vcc
	s_cbranch_execz .LBB24_42
.LBB24_50:                              ;   in Loop: Header=BB24_43 Depth=1
	v_cmp_gt_i32_e32 vcc, s25, v23
	s_waitcnt vmcnt(0)
	v_cndmask_b32_e32 v18, 0, v18, vcc
	v_cmp_gt_i32_e32 vcc, s25, v38
	v_cndmask_b32_e32 v19, 0, v19, vcc
	v_cmp_gt_i32_e32 vcc, s25, v37
	;; [unrolled: 2-line block ×3, first 2 shown]
	v_cndmask_b32_e32 v21, 0, v21, vcc
	s_branch .LBB24_42
.LBB24_51:
	s_or_b64 exec, exec, s[6:7]
.LBB24_52:
	s_or_b64 exec, exec, s[4:5]
	ds_bpermute_b32 v2, v31, v26
	ds_bpermute_b32 v3, v31, v27
	;; [unrolled: 1-line block ×4, first 2 shown]
	v_and_b32_e32 v6, 0x3c1, v0
	v_cmp_eq_u32_e32 vcc, 64, v6
	s_waitcnt lgkmcnt(2)
	v_pk_add_f32 v[2:3], v[26:27], v[2:3]
	s_waitcnt lgkmcnt(0)
	v_pk_add_f32 v[4:5], v[24:25], v[4:5]
	s_barrier
	s_and_saveexec_b64 s[0:1], vcc
	s_cbranch_execz .LBB24_54
; %bb.53:
	v_mov_b32_e32 v7, 0x210
	v_lshl_add_u32 v7, v30, 1, v7
	ds_write2_b32 v7, v2, v3 offset1:32
	ds_write2_b32 v7, v4, v5 offset0:64 offset1:96
.LBB24_54:
	s_or_b64 exec, exec, s[0:1]
	v_cmp_gt_u32_e32 vcc, 64, v0
	s_waitcnt lgkmcnt(0)
	s_barrier
	s_and_saveexec_b64 s[0:1], vcc
	s_cbranch_execz .LBB24_61
; %bb.55:
	v_cmp_eq_u32_e32 vcc, 0, v32
	s_and_saveexec_b64 s[4:5], vcc
	s_cbranch_execnz .LBB24_64
; %bb.56:
	s_or_b64 exec, exec, s[4:5]
	s_and_saveexec_b64 s[4:5], vcc
	s_cbranch_execnz .LBB24_65
.LBB24_57:
	s_or_b64 exec, exec, s[4:5]
	s_and_saveexec_b64 s[4:5], vcc
	s_cbranch_execnz .LBB24_66
.LBB24_58:
	s_or_b64 exec, exec, s[4:5]
	s_and_saveexec_b64 s[4:5], vcc
	s_cbranch_execz .LBB24_60
.LBB24_59:
	v_mov_b32_e32 v7, 0x210
	v_lshl_add_u32 v1, v1, 2, v7
	ds_read_b32 v1, v1 offset:384
	s_waitcnt lgkmcnt(0)
	v_add_f32_e32 v5, v5, v1
.LBB24_60:
	s_or_b64 exec, exec, s[4:5]
.LBB24_61:
	s_or_b64 exec, exec, s[0:1]
	v_cmp_eq_u32_e32 vcc, 0, v6
	s_barrier
	s_and_saveexec_b64 s[0:1], vcc
	s_cbranch_execz .LBB24_63
; %bb.62:
	s_lshl_b32 s0, s2, 7
	s_ashr_i32 s1, s0, 31
	s_lshl_b64 s[0:1], s[0:1], 2
	s_add_u32 s2, s22, s0
	s_mul_i32 s0, s12, s20
	s_addc_u32 s3, s23, s1
	s_ashr_i32 s1, s0, 31
	s_lshl_b64 s[0:1], s[0:1], 2
	s_add_u32 s2, s2, s0
	s_addc_u32 s3, s3, s1
	s_lshl_b32 s0, s8, 7
	s_ashr_i32 s1, s0, 31
	s_lshl_b64 s[0:1], s[0:1], 2
	s_add_u32 s0, s2, s0
	s_addc_u32 s1, s3, s1
	v_lshlrev_b32_e32 v0, 1, v0
	global_store_dword v0, v2, s[0:1]
	global_store_dword v0, v3, s[0:1] offset:128
	global_store_dword v0, v4, s[0:1] offset:256
	;; [unrolled: 1-line block ×3, first 2 shown]
.LBB24_63:
	s_endpgm
.LBB24_64:
	v_mov_b32_e32 v7, 0x210
	v_lshl_add_u32 v7, v1, 2, v7
	ds_read_b32 v7, v7
	s_waitcnt lgkmcnt(0)
	v_add_f32_e32 v2, v2, v7
	s_or_b64 exec, exec, s[4:5]
	s_and_saveexec_b64 s[4:5], vcc
	s_cbranch_execz .LBB24_57
.LBB24_65:
	v_mov_b32_e32 v7, 0x210
	v_lshl_add_u32 v7, v1, 2, v7
	ds_read_b32 v7, v7 offset:128
	s_waitcnt lgkmcnt(0)
	v_add_f32_e32 v3, v3, v7
	s_or_b64 exec, exec, s[4:5]
	s_and_saveexec_b64 s[4:5], vcc
	s_cbranch_execz .LBB24_58
.LBB24_66:
	v_mov_b32_e32 v7, 0x210
	v_lshl_add_u32 v7, v1, 2, v7
	ds_read_b32 v7, v7 offset:256
	s_waitcnt lgkmcnt(0)
	v_add_f32_e32 v4, v4, v7
	s_or_b64 exec, exec, s[4:5]
	s_and_saveexec_b64 s[4:5], vcc
	s_cbranch_execnz .LBB24_59
	s_branch .LBB24_60
	.section	.rodata,"a",@progbits
	.p2align	6, 0x0
	.amdhsa_kernel _ZN4vllm25paged_attention_v2_kernelIffLi128ELi8ELi128ELNS_18Fp8KVCacheDataTypeE0ELb0ELi512EEEvPfS2_PT_PKS3_PKT0_S9_ifPKiSB_iPKfiiiSD_SD_iiiii
		.amdhsa_group_segment_fixed_size 528
		.amdhsa_private_segment_fixed_size 0
		.amdhsa_kernarg_size 400
		.amdhsa_user_sgpr_count 6
		.amdhsa_user_sgpr_private_segment_buffer 1
		.amdhsa_user_sgpr_dispatch_ptr 0
		.amdhsa_user_sgpr_queue_ptr 0
		.amdhsa_user_sgpr_kernarg_segment_ptr 1
		.amdhsa_user_sgpr_dispatch_id 0
		.amdhsa_user_sgpr_flat_scratch_init 0
		.amdhsa_user_sgpr_kernarg_preload_length 0
		.amdhsa_user_sgpr_kernarg_preload_offset 0
		.amdhsa_user_sgpr_private_segment_size 0
		.amdhsa_uses_dynamic_stack 0
		.amdhsa_system_sgpr_private_segment_wavefront_offset 0
		.amdhsa_system_sgpr_workgroup_id_x 1
		.amdhsa_system_sgpr_workgroup_id_y 1
		.amdhsa_system_sgpr_workgroup_id_z 1
		.amdhsa_system_sgpr_workgroup_info 0
		.amdhsa_system_vgpr_workitem_id 0
		.amdhsa_next_free_vgpr 52
		.amdhsa_next_free_sgpr 42
		.amdhsa_accum_offset 52
		.amdhsa_reserve_vcc 1
		.amdhsa_reserve_flat_scratch 0
		.amdhsa_float_round_mode_32 0
		.amdhsa_float_round_mode_16_64 0
		.amdhsa_float_denorm_mode_32 3
		.amdhsa_float_denorm_mode_16_64 3
		.amdhsa_dx10_clamp 1
		.amdhsa_ieee_mode 1
		.amdhsa_fp16_overflow 0
		.amdhsa_tg_split 0
		.amdhsa_exception_fp_ieee_invalid_op 0
		.amdhsa_exception_fp_denorm_src 0
		.amdhsa_exception_fp_ieee_div_zero 0
		.amdhsa_exception_fp_ieee_overflow 0
		.amdhsa_exception_fp_ieee_underflow 0
		.amdhsa_exception_fp_ieee_inexact 0
		.amdhsa_exception_int_div_zero 0
	.end_amdhsa_kernel
	.section	.text._ZN4vllm25paged_attention_v2_kernelIffLi128ELi8ELi128ELNS_18Fp8KVCacheDataTypeE0ELb0ELi512EEEvPfS2_PT_PKS3_PKT0_S9_ifPKiSB_iPKfiiiSD_SD_iiiii,"axG",@progbits,_ZN4vllm25paged_attention_v2_kernelIffLi128ELi8ELi128ELNS_18Fp8KVCacheDataTypeE0ELb0ELi512EEEvPfS2_PT_PKS3_PKT0_S9_ifPKiSB_iPKfiiiSD_SD_iiiii,comdat
.Lfunc_end24:
	.size	_ZN4vllm25paged_attention_v2_kernelIffLi128ELi8ELi128ELNS_18Fp8KVCacheDataTypeE0ELb0ELi512EEEvPfS2_PT_PKS3_PKT0_S9_ifPKiSB_iPKfiiiSD_SD_iiiii, .Lfunc_end24-_ZN4vllm25paged_attention_v2_kernelIffLi128ELi8ELi128ELNS_18Fp8KVCacheDataTypeE0ELb0ELi512EEEvPfS2_PT_PKS3_PKT0_S9_ifPKiSB_iPKfiiiSD_SD_iiiii
                                        ; -- End function
	.section	.AMDGPU.csdata,"",@progbits
; Kernel info:
; codeLenInByte = 4136
; NumSgprs: 46
; NumVgprs: 52
; NumAgprs: 0
; TotalNumVgprs: 52
; ScratchSize: 0
; MemoryBound: 0
; FloatMode: 240
; IeeeMode: 1
; LDSByteSize: 528 bytes/workgroup (compile time only)
; SGPRBlocks: 5
; VGPRBlocks: 6
; NumSGPRsForWavesPerEU: 46
; NumVGPRsForWavesPerEU: 52
; AccumOffset: 52
; Occupancy: 8
; WaveLimiterHint : 1
; COMPUTE_PGM_RSRC2:SCRATCH_EN: 0
; COMPUTE_PGM_RSRC2:USER_SGPR: 6
; COMPUTE_PGM_RSRC2:TRAP_HANDLER: 0
; COMPUTE_PGM_RSRC2:TGID_X_EN: 1
; COMPUTE_PGM_RSRC2:TGID_Y_EN: 1
; COMPUTE_PGM_RSRC2:TGID_Z_EN: 1
; COMPUTE_PGM_RSRC2:TIDIG_COMP_CNT: 0
; COMPUTE_PGM_RSRC3_GFX90A:ACCUM_OFFSET: 12
; COMPUTE_PGM_RSRC3_GFX90A:TG_SPLIT: 0
	.section	.text._ZN4vllm25paged_attention_v2_kernelIffLi192ELi8ELi128ELNS_18Fp8KVCacheDataTypeE0ELb0ELi512EEEvPfS2_PT_PKS3_PKT0_S9_ifPKiSB_iPKfiiiSD_SD_iiiii,"axG",@progbits,_ZN4vllm25paged_attention_v2_kernelIffLi192ELi8ELi128ELNS_18Fp8KVCacheDataTypeE0ELb0ELi512EEEvPfS2_PT_PKS3_PKT0_S9_ifPKiSB_iPKfiiiSD_SD_iiiii,comdat
	.protected	_ZN4vllm25paged_attention_v2_kernelIffLi192ELi8ELi128ELNS_18Fp8KVCacheDataTypeE0ELb0ELi512EEEvPfS2_PT_PKS3_PKT0_S9_ifPKiSB_iPKfiiiSD_SD_iiiii ; -- Begin function _ZN4vllm25paged_attention_v2_kernelIffLi192ELi8ELi128ELNS_18Fp8KVCacheDataTypeE0ELb0ELi512EEEvPfS2_PT_PKS3_PKT0_S9_ifPKiSB_iPKfiiiSD_SD_iiiii
	.globl	_ZN4vllm25paged_attention_v2_kernelIffLi192ELi8ELi128ELNS_18Fp8KVCacheDataTypeE0ELb0ELi512EEEvPfS2_PT_PKS3_PKT0_S9_ifPKiSB_iPKfiiiSD_SD_iiiii
	.p2align	8
	.type	_ZN4vllm25paged_attention_v2_kernelIffLi192ELi8ELi128ELNS_18Fp8KVCacheDataTypeE0ELb0ELi512EEEvPfS2_PT_PKS3_PKT0_S9_ifPKiSB_iPKfiiiSD_SD_iiiii,@function
_ZN4vllm25paged_attention_v2_kernelIffLi192ELi8ELi128ELNS_18Fp8KVCacheDataTypeE0ELb0ELi512EEEvPfS2_PT_PKS3_PKT0_S9_ifPKiSB_iPKfiiiSD_SD_iiiii: ; @_ZN4vllm25paged_attention_v2_kernelIffLi192ELi8ELi128ELNS_18Fp8KVCacheDataTypeE0ELb0ELi512EEEvPfS2_PT_PKS3_PKT0_S9_ifPKiSB_iPKfiiiSD_SD_iiiii
; %bb.0:
	s_load_dwordx2 s[0:1], s[4:5], 0x40
	s_mov_b32 s28, s7
	s_ashr_i32 s29, s7, 31
	s_lshl_b64 s[2:3], s[28:29], 2
	s_waitcnt lgkmcnt(0)
	s_add_u32 s0, s0, s2
	s_addc_u32 s1, s1, s3
	s_load_dword s33, s[0:1], 0x0
	s_lshl_b32 s40, s8, 9
	s_waitcnt lgkmcnt(0)
	s_cmp_ge_i32 s40, s33
	s_cbranch_scc1 .LBB25_70
; %bb.1:
	s_load_dword s9, s[4:5], 0x90
	s_load_dwordx2 s[10:11], s[4:5], 0x30
	s_waitcnt lgkmcnt(0)
	s_abs_i32 s2, s9
	s_abs_i32 s0, s10
	v_cvt_f32_u32_e32 v1, s0
	s_sub_i32 s3, 0, s0
	s_xor_b32 s1, s9, s10
	s_ashr_i32 s1, s1, 31
	v_rcp_iflag_f32_e32 v1, v1
	v_mul_f32_e32 v1, 0x4f7ffffe, v1
	v_cvt_u32_f32_e32 v1, v1
	v_readfirstlane_b32 s7, v1
	s_mul_i32 s3, s3, s7
	s_mul_hi_u32 s3, s7, s3
	s_add_i32 s7, s7, s3
	s_mul_hi_u32 s3, s2, s7
	s_mul_i32 s7, s3, s0
	s_sub_i32 s2, s2, s7
	s_add_i32 s10, s3, 1
	s_sub_i32 s7, s2, s0
	s_cmp_ge_u32 s2, s0
	s_cselect_b32 s3, s10, s3
	s_cselect_b32 s2, s7, s2
	s_add_i32 s7, s3, 1
	s_cmp_ge_u32 s2, s0
	s_cselect_b32 s0, s7, s3
	s_xor_b32 s0, s0, s1
	s_sub_i32 s36, s0, s1
	s_abs_i32 s34, s36
	v_cvt_f32_u32_e32 v1, s34
	s_load_dwordx2 s[0:1], s[4:5], 0x50
	s_sub_i32 s2, 0, s34
	s_abs_i32 s35, s6
	v_rcp_iflag_f32_e32 v1, v1
	s_mov_b32 s10, 0
	v_mul_f32_e32 v1, 0x4f7ffffe, v1
	v_cvt_u32_f32_e32 v1, v1
	v_readfirstlane_b32 s3, v1
	s_mul_i32 s2, s2, s3
	s_mul_hi_u32 s2, s3, s2
	s_add_i32 s2, s3, s2
	s_waitcnt lgkmcnt(0)
	s_cmp_eq_u64 s[0:1], 0
	s_cbranch_scc1 .LBB25_3
; %bb.2:
	s_ashr_i32 s7, s6, 31
	s_lshl_b64 s[12:13], s[6:7], 2
	s_add_u32 s0, s0, s12
	s_addc_u32 s1, s1, s13
	s_load_dword s10, s[0:1], 0x0
.LBB25_3:
	s_load_dwordx4 s[20:23], s[4:5], 0x0
	s_load_dwordx2 s[24:25], s[4:5], 0x10
	s_load_dwordx4 s[12:15], s[4:5], 0x20
	s_load_dwordx2 s[30:31], s[4:5], 0x38
	s_load_dword s29, s[4:5], 0x98
	s_load_dwordx4 s[16:19], s[4:5], 0x58
	s_movk_i32 s0, 0xc0
	s_mul_i32 s26, s6, 0xc0
	s_mul_hi_u32 s37, s35, s2
	v_and_b32_e32 v26, 7, v0
	s_ashr_i32 s27, s26, 31
	v_cmp_gt_u32_e32 vcc, s0, v0
	s_and_saveexec_b64 s[0:1], vcc
	s_cbranch_execz .LBB25_6
; %bb.4:
	s_load_dwordx2 s[2:3], s[4:5], 0x18
	s_waitcnt lgkmcnt(0)
	s_mul_i32 s38, s28, s16
	v_lshrrev_b32_e32 v2, 3, v0
	s_ashr_i32 s39, s38, 31
	v_lshlrev_b32_e32 v3, 2, v2
	s_movk_i32 s7, 0x60
	s_lshl_b64 s[38:39], s[38:39], 2
	s_lshl_b64 s[42:43], s[26:27], 2
	v_mad_u32_u24 v4, v26, s7, v3
	s_add_u32 s7, s38, s42
	s_addc_u32 s16, s39, s43
	v_lshlrev_b32_e32 v3, 2, v26
	s_add_u32 s2, s2, s7
	v_add_u32_e32 v1, -16, v2
	v_lshl_or_b32 v2, v2, 5, v3
	s_addc_u32 s3, s3, s16
	v_mov_b32_e32 v3, s3
	v_add_co_u32_e32 v2, vcc, s2, v2
	v_addc_co_u32_e32 v3, vcc, 0, v3, vcc
	s_mov_b64 s[2:3], 0
.LBB25_5:                               ; =>This Inner Loop Header: Depth=1
	global_load_dword v5, v[2:3], off
	v_add_co_u32_e32 v2, vcc, 0x200, v2
	v_add_u32_e32 v1, 16, v1
	v_addc_co_u32_e32 v3, vcc, 0, v3, vcc
	v_cmp_lt_u32_e32 vcc, 7, v1
	s_or_b64 s[2:3], vcc, s[2:3]
	s_waitcnt vmcnt(0)
	ds_write_b32 v4, v5
	v_add_u32_e32 v4, 64, v4
	s_andn2_b64 exec, exec, s[2:3]
	s_cbranch_execnz .LBB25_5
.LBB25_6:
	s_or_b64 exec, exec, s[0:1]
	s_add_i32 s2, s33, 7
	s_ashr_i32 s3, s2, 31
	s_ashr_i32 s0, s6, 31
	;; [unrolled: 1-line block ×3, first 2 shown]
	s_lshr_b32 s3, s3, 29
	s_add_i32 s2, s2, s3
	s_lshl_b32 s27, s8, 6
	s_xor_b32 s0, s0, s1
	s_mul_i32 s1, s37, s34
	s_ashr_i32 s7, s2, 3
	s_add_i32 s2, s27, 64
	s_sub_i32 s1, s35, s1
	s_waitcnt lgkmcnt(0)
	s_min_i32 s16, s2, s7
	s_add_i32 s2, s37, 1
	s_sub_i32 s3, s1, s34
	s_cmp_ge_u32 s1, s34
	s_cselect_b32 s2, s2, s37
	s_cselect_b32 s1, s3, s1
	s_add_i32 s3, s2, 1
	s_cmp_ge_u32 s1, s34
	s_cselect_b32 s1, s3, s2
	s_load_dword s2, s[4:5], 0x48
	v_lshrrev_b32_e32 v1, 6, v0
	s_xor_b32 s1, s1, s0
	v_or_b32_e32 v30, s27, v1
	s_sub_i32 s4, s1, s0
	s_waitcnt lgkmcnt(0)
	s_mul_i32 s34, s28, s2
	s_ashr_i32 s35, s34, 31
	v_cmp_gt_i32_e64 s[0:1], s16, v30
	v_cmp_le_i32_e32 vcc, s16, v30
	v_mbcnt_lo_u32_b32 v27, -1, 0
	s_barrier
	s_waitcnt lgkmcnt(0)
                                        ; implicit-def: $sgpr5
                                        ; implicit-def: $vgpr28
                                        ; implicit-def: $vgpr29
	s_and_saveexec_b64 s[2:3], vcc
	s_xor_b64 s[2:3], exec, s[2:3]
; %bb.7:
	v_mbcnt_hi_u32_b32 v28, -1, v27
	v_and_b32_e32 v2, 64, v28
	v_add_u32_e32 v29, 64, v2
	s_mov_b32 s5, 0xff7fffff
                                        ; implicit-def: $vgpr26
                                        ; implicit-def: $vgpr27
; %bb.8:
	s_or_saveexec_b64 s[36:37], s[2:3]
	v_mov_b32_e32 v37, s5
	s_mul_i32 s18, s4, s18
	v_ashrrev_i32_e32 v31, 31, v30
	s_xor_b64 exec, exec, s[36:37]
	s_cbranch_execz .LBB25_14
; %bb.9:
	s_ashr_i32 s19, s18, 31
	s_lshl_b64 s[2:3], s[18:19], 2
	v_bfe_u32 v37, v0, 3, 3
	s_add_u32 s2, s12, s2
	s_addc_u32 s3, s13, s3
	v_lshlrev_b32_e32 v2, 4, v37
	v_mov_b32_e32 v3, s3
	v_add_co_u32_e32 v2, vcc, s2, v2
	v_and_b32_e32 v4, 3, v0
	v_addc_co_u32_e32 v3, vcc, 0, v3, vcc
	v_lshlrev_b32_e32 v4, 2, v4
	v_mbcnt_hi_u32_b32 v28, -1, v27
	v_add_co_u32_e32 v32, vcc, v2, v4
	v_and_b32_e32 v27, 64, v28
	v_addc_co_u32_e32 v33, vcc, 0, v3, vcc
	v_add_u32_e32 v29, 64, v27
	v_xor_b32_e32 v27, 4, v28
	v_cmp_lt_i32_e32 vcc, v27, v29
	v_cndmask_b32_e32 v27, v28, v27, vcc
	v_lshlrev_b32_e32 v5, 3, v0
	v_mul_u32_u24_e32 v22, 0x60, v26
	v_lshlrev_b32_e32 v34, 2, v27
	v_xor_b32_e32 v27, 2, v28
	v_and_b32_e32 v40, 32, v5
	ds_read_b128 v[2:5], v22
	ds_read_b128 v[6:9], v22 offset:16
	ds_read_b128 v[10:13], v22 offset:32
	;; [unrolled: 1-line block ×5, first 2 shown]
	v_cmp_lt_i32_e32 vcc, v27, v29
	v_cndmask_b32_e32 v27, v28, v27, vcc
	v_lshlrev_b32_e32 v35, 2, v27
	v_xor_b32_e32 v27, 1, v28
	v_cmp_lt_i32_e32 vcc, v27, v29
	v_lshlrev_b32_e32 v39, 2, v37
	v_cndmask_b32_e32 v27, v28, v27, vcc
	v_cmp_eq_u32_e32 vcc, 0, v26
	s_sub_i32 s19, 1, s33
	v_lshlrev_b32_e32 v26, 3, v1
	s_lshl_b64 s[4:5], s[34:35], 2
	v_add3_u32 v38, s40, v26, v37
	v_lshl_or_b32 v26, v1, 5, v39
	s_add_u32 s4, s30, s4
	v_lshlrev_b32_e32 v36, 2, v27
	v_add_u32_e32 v39, 0x310, v26
	v_lshlrev_b64 v[26:27], 2, v[30:31]
	s_addc_u32 s5, s31, s5
	v_or_b32_e32 v42, 0x400, v40
	v_or_b32_e32 v44, 0x440, v40
	;; [unrolled: 1-line block ×8, first 2 shown]
	v_mov_b32_e32 v37, s5
	v_add_co_u32_e64 v26, s[4:5], s4, v26
	s_mov_b32 s41, s17
	v_cmp_neq_f32_e64 s[2:3], s10, 0
	v_addc_co_u32_e64 v27, s[4:5], v37, v27, s[4:5]
	s_mov_b64 s[12:13], 0
	v_mov_b32_e32 v37, 0xff7fffff
	v_lshlrev_b32_e32 v40, 2, v40
	v_lshlrev_b32_e32 v41, 2, v42
	;; [unrolled: 1-line block ×9, first 2 shown]
	v_mov_b32_e32 v49, v30
	s_branch .LBB25_11
.LBB25_10:                              ;   in Loop: Header=BB25_11 Depth=1
	s_or_b64 exec, exec, s[38:39]
	v_add_u32_e32 v49, 2, v49
	v_cmp_le_i32_e64 s[4:5], s16, v49
	s_or_b64 s[12:13], s[4:5], s[12:13]
	v_add_co_u32_e64 v26, s[4:5], 8, v26
	v_add_u32_e32 v38, 16, v38
	v_add_u32_e32 v39, 64, v39
	v_addc_co_u32_e64 v27, s[4:5], 0, v27, s[4:5]
	s_andn2_b64 exec, exec, s[12:13]
	s_cbranch_execz .LBB25_13
.LBB25_11:                              ; =>This Inner Loop Header: Depth=1
	global_load_dword v50, v[26:27], off
	s_waitcnt vmcnt(0) lgkmcnt(0)
	v_mad_i64_i32 v[50:51], s[4:5], v50, s41, 0
	v_lshlrev_b64 v[50:51], 2, v[50:51]
	v_add_co_u32_e64 v64, s[4:5], v32, v50
	v_addc_co_u32_e64 v65, s[4:5], v33, v51, s[4:5]
	v_add_co_u32_e64 v50, s[4:5], v64, v40
	v_addc_co_u32_e64 v51, s[4:5], 0, v65, s[4:5]
	v_add_co_u32_e64 v52, s[4:5], v64, v41
	v_addc_co_u32_e64 v53, s[4:5], 0, v65, s[4:5]
	v_add_co_u32_e64 v54, s[4:5], v64, v42
	v_addc_co_u32_e64 v55, s[4:5], 0, v65, s[4:5]
	v_add_co_u32_e64 v56, s[4:5], v64, v43
	v_addc_co_u32_e64 v57, s[4:5], 0, v65, s[4:5]
	v_add_co_u32_e64 v58, s[4:5], v64, v44
	global_load_dword v66, v[50:51], off
	global_load_dword v67, v[50:51], off offset:256
	global_load_dword v68, v[50:51], off offset:512
	;; [unrolled: 1-line block ×15, first 2 shown]
	v_addc_co_u32_e64 v59, s[4:5], 0, v65, s[4:5]
	v_add_co_u32_e64 v50, s[4:5], v64, v45
	v_addc_co_u32_e64 v51, s[4:5], 0, v65, s[4:5]
	v_add_co_u32_e64 v60, s[4:5], v64, v46
	;; [unrolled: 2-line block ×4, first 2 shown]
	v_addc_co_u32_e64 v65, s[4:5], 0, v65, s[4:5]
	global_load_dword v52, v[52:53], off
	s_nop 0
	global_load_dword v53, v[54:55], off
	s_nop 0
	global_load_dword v54, v[56:57], off
	global_load_dword v55, v[58:59], off
	s_nop 0
	global_load_dword v50, v[50:51], off
	s_nop 0
	global_load_dword v51, v[60:61], off
	global_load_dword v56, v[62:63], off
	;; [unrolled: 1-line block ×3, first 2 shown]
	s_waitcnt vmcnt(22) lgkmcnt(5)
	v_mul_f32_e32 v58, v3, v67
	v_fmac_f32_e32 v58, v2, v66
	s_waitcnt vmcnt(21)
	v_fmac_f32_e32 v58, v4, v68
	s_waitcnt vmcnt(20)
	v_fmac_f32_e32 v58, v5, v69
	s_waitcnt vmcnt(19) lgkmcnt(4)
	v_fmac_f32_e32 v58, v6, v70
	s_waitcnt vmcnt(18)
	v_fmac_f32_e32 v58, v7, v71
	s_waitcnt vmcnt(17)
	v_fmac_f32_e32 v58, v8, v72
	s_waitcnt vmcnt(16)
	v_fmac_f32_e32 v58, v9, v73
	s_waitcnt vmcnt(15) lgkmcnt(3)
	v_fmac_f32_e32 v58, v10, v74
	s_waitcnt vmcnt(14)
	;; [unrolled: 8-line block ×5, first 2 shown]
	v_fmac_f32_e32 v58, v23, v51
	s_waitcnt vmcnt(1)
	v_fmac_f32_e32 v58, v24, v56
	s_waitcnt vmcnt(0)
	v_fmac_f32_e32 v58, v25, v57
	ds_bpermute_b32 v50, v34, v58
	s_waitcnt lgkmcnt(0)
	v_add_f32_e32 v50, v58, v50
	ds_bpermute_b32 v51, v35, v50
	s_waitcnt lgkmcnt(0)
	v_add_f32_e32 v50, v50, v51
	ds_bpermute_b32 v51, v36, v50
	s_and_saveexec_b64 s[38:39], vcc
	s_cbranch_execz .LBB25_10
; %bb.12:                               ;   in Loop: Header=BB25_11 Depth=1
	v_add_u32_e32 v52, s19, v38
	v_cvt_f32_i32_e32 v52, v52
	s_waitcnt lgkmcnt(0)
	v_add_f32_e32 v50, v50, v51
	v_cmp_gt_i32_e64 s[4:5], s33, v38
	v_max_f32_e32 v51, v37, v37
	v_mul_f32_e32 v52, s10, v52
	v_cndmask_b32_e64 v52, 0, v52, s[2:3]
	v_fmac_f32_e32 v52, s11, v50
	v_cndmask_b32_e64 v50, 0, v52, s[4:5]
	ds_write_b32 v39, v50
	v_max_f32_e32 v50, v51, v52
	v_cndmask_b32_e64 v37, v37, v50, s[4:5]
	s_branch .LBB25_10
.LBB25_13:
	s_or_b64 exec, exec, s[12:13]
.LBB25_14:
	s_or_b64 exec, exec, s[36:37]
	v_xor_b32_e32 v2, 32, v28
	v_cmp_lt_i32_e32 vcc, v2, v29
	v_cndmask_b32_e32 v2, v28, v2, vcc
	v_lshlrev_b32_e32 v3, 2, v2
	ds_bpermute_b32 v2, v3, v37
	v_xor_b32_e32 v5, 16, v28
	v_max_f32_e32 v4, v37, v37
	v_cmp_lt_i32_e32 vcc, v5, v29
	v_and_b32_e32 v40, 63, v0
	s_waitcnt lgkmcnt(0)
	v_max_f32_e32 v2, v2, v2
	v_max_f32_e32 v2, v4, v2
	v_cndmask_b32_e32 v4, v28, v5, vcc
	v_lshlrev_b32_e32 v6, 2, v4
	ds_bpermute_b32 v4, v6, v2
	v_xor_b32_e32 v5, 8, v28
	v_cmp_lt_i32_e32 vcc, v5, v29
	s_waitcnt lgkmcnt(0)
	v_max_f32_e32 v4, v4, v4
	v_max_f32_e32 v4, v2, v4
	v_cndmask_b32_e32 v2, v28, v5, vcc
	v_lshlrev_b32_e32 v7, 2, v2
	ds_bpermute_b32 v5, v7, v4
	v_cmp_eq_u32_e32 vcc, 0, v40
	v_lshlrev_b32_e32 v2, 2, v1
	s_and_saveexec_b64 s[2:3], vcc
	s_cbranch_execz .LBB25_16
; %bb.15:
	s_waitcnt lgkmcnt(0)
	v_max_f32_e32 v5, v5, v5
	v_max_f32_e32 v4, v4, v4
	;; [unrolled: 1-line block ×3, first 2 shown]
	ds_write_b32 v2, v4 offset:768
.LBB25_16:
	s_or_b64 exec, exec, s[2:3]
	v_cmp_gt_u32_e64 s[2:3], 2, v40
	v_mov_b32_e32 v4, 0xff7fffff
	s_waitcnt lgkmcnt(0)
	v_lshlrev_b32_e32 v5, 2, v40
	s_barrier
	s_and_saveexec_b64 s[4:5], s[2:3]
	s_cbranch_execz .LBB25_18
; %bb.17:
	ds_read_b32 v4, v5 offset:768
.LBB25_18:
	s_or_b64 exec, exec, s[4:5]
	v_xor_b32_e32 v8, 1, v28
	v_cmp_lt_i32_e64 s[4:5], v8, v29
	v_cndmask_b32_e64 v8, v28, v8, s[4:5]
	v_lshlrev_b32_e32 v41, 2, v8
	s_waitcnt lgkmcnt(0)
	ds_bpermute_b32 v8, v41, v4
	v_max_f32_e32 v4, v4, v4
	s_sub_i32 s4, s16, s27
	s_lshl_b32 s4, s4, 3
	s_add_i32 s4, s4, s40
	s_waitcnt lgkmcnt(0)
	v_max_f32_e32 v8, v8, v8
	v_max_f32_e32 v4, v4, v8
	v_lshlrev_b32_e32 v8, 2, v28
	v_and_b32_e32 v8, 0xffffff00, v8
	ds_bpermute_b32 v4, v8, v4
	s_min_i32 s27, s4, s33
	s_sub_i32 s19, s27, s40
	v_cmp_gt_i32_e64 s[4:5], s19, v0
	v_mov_b32_e32 v9, 0
	s_and_saveexec_b64 s[12:13], s[4:5]
	s_cbranch_execz .LBB25_22
; %bb.19:
	v_mov_b32_e32 v9, 0x310
	v_lshl_add_u32 v10, v0, 2, v9
	s_mov_b64 s[36:37], 0
	v_mov_b32_e32 v9, 0
	v_mov_b32_e32 v11, v0
.LBB25_20:                              ; =>This Inner Loop Header: Depth=1
	ds_read_b32 v12, v10
	v_add_u32_e32 v11, 0x80, v11
	v_cmp_le_i32_e64 s[10:11], s19, v11
	s_or_b64 s[36:37], s[10:11], s[36:37]
	s_waitcnt lgkmcnt(0)
	v_sub_f32_e32 v12, v12, v4
	v_mul_f32_e32 v12, 0x3fb8aa3b, v12
	v_exp_f32_e32 v12, v12
	ds_write_b32 v10, v12
	v_add_f32_e32 v9, v9, v12
	v_add_u32_e32 v10, 0x200, v10
	s_andn2_b64 exec, exec, s[36:37]
	s_cbranch_execnz .LBB25_20
; %bb.21:
	s_or_b64 exec, exec, s[36:37]
.LBB25_22:
	s_or_b64 exec, exec, s[12:13]
	ds_bpermute_b32 v3, v3, v9
	s_waitcnt lgkmcnt(0)
	v_add_f32_e32 v3, v9, v3
	ds_bpermute_b32 v6, v6, v3
	s_waitcnt lgkmcnt(0)
	v_add_f32_e32 v3, v3, v6
	ds_bpermute_b32 v6, v7, v3
	v_xor_b32_e32 v7, 4, v28
	v_cmp_lt_i32_e64 s[10:11], v7, v29
	v_cndmask_b32_e64 v7, v28, v7, s[10:11]
	v_lshlrev_b32_e32 v7, 2, v7
	s_waitcnt lgkmcnt(0)
	v_add_f32_e32 v3, v3, v6
	ds_bpermute_b32 v6, v7, v3
	v_xor_b32_e32 v7, 2, v28
	v_cmp_lt_i32_e64 s[10:11], v7, v29
	v_cndmask_b32_e64 v7, v28, v7, s[10:11]
	s_waitcnt lgkmcnt(0)
	v_add_f32_e32 v3, v3, v6
	v_lshlrev_b32_e32 v6, 2, v7
	ds_bpermute_b32 v6, v6, v3
	s_waitcnt lgkmcnt(0)
	v_add_f32_e32 v3, v3, v6
	ds_bpermute_b32 v6, v41, v3
	s_waitcnt lgkmcnt(0)
	v_add_f32_e32 v3, v3, v6
	s_and_saveexec_b64 s[10:11], vcc
	s_cbranch_execz .LBB25_24
; %bb.23:
	ds_write_b32 v2, v3 offset:776
.LBB25_24:
	s_or_b64 exec, exec, s[10:11]
	s_waitcnt lgkmcnt(0)
	s_barrier
	s_and_saveexec_b64 s[10:11], s[2:3]
	s_cbranch_execz .LBB25_26
; %bb.25:
	ds_read_b32 v3, v5 offset:776
.LBB25_26:
	s_or_b64 exec, exec, s[10:11]
	s_waitcnt lgkmcnt(0)
	ds_bpermute_b32 v2, v41, v3
	s_waitcnt lgkmcnt(0)
	v_add_f32_e32 v2, v3, v2
	ds_bpermute_b32 v5, v8, v2
	s_and_saveexec_b64 s[2:3], s[4:5]
	s_cbranch_execz .LBB25_39
; %bb.27:
	s_waitcnt lgkmcnt(0)
	v_add_f32_e32 v2, 0x358637bd, v5
	v_div_scale_f32 v3, s[4:5], v2, v2, 1.0
	v_rcp_f32_e32 v6, v3
	v_div_scale_f32 v7, vcc, 1.0, v2, 1.0
	s_movk_i32 s4, 0x7f
	v_fma_f32 v8, -v3, v6, 1.0
	v_fmac_f32_e32 v6, v8, v6
	v_mul_f32_e32 v8, v7, v6
	v_fma_f32 v9, -v3, v8, v7
	v_fmac_f32_e32 v8, v9, v6
	v_fma_f32 v3, -v3, v8, v7
	v_div_fmas_f32 v3, v3, v6, v8
	v_div_fixup_f32 v2, v3, v2, 1.0
	v_xad_u32 v3, v0, -1, s27
	v_subrev_u32_e32 v6, s40, v3
	v_cmp_lt_u32_e32 vcc, s4, v6
	s_mov_b64 s[10:11], -1
	v_mov_b32_e32 v3, v0
	s_and_saveexec_b64 s[4:5], vcc
	s_cbranch_execz .LBB25_36
; %bb.28:
	v_lshrrev_b32_e32 v6, 7, v6
	v_add_u32_e32 v8, -1, v6
	v_lshrrev_b32_e32 v7, 1, v8
	v_mov_b32_e32 v3, v2
	v_add_u32_e32 v7, 1, v7
	v_cmp_lt_u32_e32 vcc, 13, v8
	v_mov_b32_e32 v10, 0
	s_and_saveexec_b64 s[10:11], vcc
	s_cbranch_execz .LBB25_32
; %bb.29:
	v_mov_b32_e32 v9, 0x310
	v_and_b32_e32 v8, -8, v7
	v_lshl_add_u32 v9, v0, 2, v9
	s_mov_b32 s27, 0
	s_mov_b64 s[12:13], 0
.LBB25_30:                              ; =>This Inner Loop Header: Depth=1
	ds_read2st64_b32 v[10:11], v9 offset1:2
	ds_read2st64_b32 v[12:13], v9 offset0:4 offset1:6
	ds_read2st64_b32 v[14:15], v9 offset0:8 offset1:10
	;; [unrolled: 1-line block ×3, first 2 shown]
	v_add_u32_e32 v8, -8, v8
	s_waitcnt lgkmcnt(3)
	v_pk_mul_f32 v[10:11], v[2:3], v[10:11]
	s_waitcnt lgkmcnt(2)
	v_pk_mul_f32 v[12:13], v[2:3], v[12:13]
	ds_write2st64_b32 v9, v10, v11 offset1:2
	ds_write2st64_b32 v9, v12, v13 offset0:4 offset1:6
	ds_read2st64_b32 v[12:13], v9 offset0:16 offset1:18
	s_waitcnt lgkmcnt(4)
	v_pk_mul_f32 v[10:11], v[2:3], v[14:15]
	ds_write2st64_b32 v9, v10, v11 offset0:8 offset1:10
	s_waitcnt lgkmcnt(4)
	v_pk_mul_f32 v[10:11], v[2:3], v[16:17]
	ds_write2st64_b32 v9, v10, v11 offset0:12 offset1:14
	ds_read2st64_b32 v[10:11], v9 offset0:20 offset1:22
	s_waitcnt lgkmcnt(3)
	v_pk_mul_f32 v[12:13], v[2:3], v[12:13]
	ds_read2st64_b32 v[14:15], v9 offset0:24 offset1:26
	ds_write2st64_b32 v9, v12, v13 offset0:16 offset1:18
	ds_read2st64_b32 v[12:13], v9 offset0:28 offset1:30
	s_waitcnt lgkmcnt(3)
	v_pk_mul_f32 v[10:11], v[2:3], v[10:11]
	ds_write2st64_b32 v9, v10, v11 offset0:20 offset1:22
	s_waitcnt lgkmcnt(3)
	v_pk_mul_f32 v[10:11], v[2:3], v[14:15]
	ds_write2st64_b32 v9, v10, v11 offset0:24 offset1:26
	s_waitcnt lgkmcnt(2)
	v_pk_mul_f32 v[10:11], v[2:3], v[12:13]
	s_add_i32 s27, s27, 16
	v_cmp_eq_u32_e32 vcc, 0, v8
	ds_write2st64_b32 v9, v10, v11 offset0:28 offset1:30
	v_add_u32_e32 v9, 0x2000, v9
	s_or_b64 s[12:13], vcc, s[12:13]
	v_mov_b32_e32 v10, s27
	s_andn2_b64 exec, exec, s[12:13]
	s_cbranch_execnz .LBB25_30
; %bb.31:
	s_or_b64 exec, exec, s[12:13]
.LBB25_32:
	s_or_b64 exec, exec, s[10:11]
	v_and_b32_e32 v7, 7, v7
	v_cmp_ne_u32_e32 vcc, 0, v7
	s_and_saveexec_b64 s[10:11], vcc
	s_cbranch_execz .LBB25_35
; %bb.33:
	v_lshlrev_b32_e32 v8, 9, v10
	v_lshlrev_b32_e32 v9, 2, v0
	s_movk_i32 s12, 0x310
	v_add3_u32 v8, v8, v9, s12
	s_mov_b64 s[12:13], 0
.LBB25_34:                              ; =>This Inner Loop Header: Depth=1
	ds_read2st64_b32 v[10:11], v8 offset1:2
	v_add_u32_e32 v7, -1, v7
	v_cmp_eq_u32_e32 vcc, 0, v7
	s_or_b64 s[12:13], vcc, s[12:13]
	s_waitcnt lgkmcnt(0)
	v_pk_mul_f32 v[10:11], v[2:3], v[10:11]
	ds_write2st64_b32 v8, v10, v11 offset1:2
	v_add_u32_e32 v8, 0x400, v8
	s_andn2_b64 exec, exec, s[12:13]
	s_cbranch_execnz .LBB25_34
.LBB25_35:
	s_or_b64 exec, exec, s[10:11]
	v_add_u32_e32 v6, 1, v6
	v_and_b32_e32 v7, 0x3fffffe, v6
	v_cmp_ne_u32_e32 vcc, v6, v7
	v_lshl_add_u32 v3, v7, 7, v0
	s_orn2_b64 s[10:11], vcc, exec
.LBB25_36:
	s_or_b64 exec, exec, s[4:5]
	s_and_b64 exec, exec, s[10:11]
	s_cbranch_execz .LBB25_39
; %bb.37:
	v_mov_b32_e32 v6, 0x310
	v_lshl_add_u32 v6, v3, 2, v6
	s_mov_b64 s[4:5], 0
.LBB25_38:                              ; =>This Inner Loop Header: Depth=1
	ds_read_b32 v7, v6
	v_add_u32_e32 v3, 0x80, v3
	v_cmp_le_i32_e32 vcc, s19, v3
	s_or_b64 s[4:5], vcc, s[4:5]
	s_waitcnt lgkmcnt(0)
	v_mul_f32_e32 v7, v2, v7
	ds_write_b32 v6, v7
	v_add_u32_e32 v6, 0x200, v6
	s_andn2_b64 exec, exec, s[4:5]
	s_cbranch_execnz .LBB25_38
.LBB25_39:
	s_or_b64 exec, exec, s[2:3]
	s_mul_i32 s2, s29, s28
	v_cmp_eq_u32_e32 vcc, 0, v0
	s_mul_i32 s2, s2, s9
	s_waitcnt lgkmcnt(0)
	s_barrier
	s_and_saveexec_b64 s[4:5], vcc
	s_cbranch_execz .LBB25_41
; %bb.40:
	s_ashr_i32 s3, s2, 31
	s_lshl_b64 s[10:11], s[2:3], 2
	s_add_u32 s3, s22, s10
	s_mul_i32 s12, s29, s6
	s_addc_u32 s9, s23, s11
	s_ashr_i32 s13, s12, 31
	s_lshl_b64 s[12:13], s[12:13], 2
	s_add_u32 s3, s3, s12
	s_addc_u32 s6, s9, s13
	s_ashr_i32 s9, s8, 31
	s_lshl_b64 s[22:23], s[8:9], 2
	s_add_u32 s36, s3, s22
	s_addc_u32 s37, s6, s23
	s_add_u32 s3, s20, s10
	s_addc_u32 s6, s21, s11
	;; [unrolled: 2-line block ×3, first 2 shown]
	s_add_u32 s10, s3, s22
	v_mov_b32_e32 v2, 0
	s_addc_u32 s11, s6, s23
	global_store_dword v2, v4, s[36:37]
	global_store_dword v2, v5, s[10:11]
.LBB25_41:
	s_or_b64 exec, exec, s[4:5]
	v_mov_b32_e32 v35, 0
	v_and_b32_e32 v42, 1, v0
	v_mov_b32_e32 v34, 0
	v_mov_b32_e32 v37, 0
	;; [unrolled: 1-line block ×5, first 2 shown]
	s_and_saveexec_b64 s[4:5], s[0:1]
	s_cbranch_execz .LBB25_57
; %bb.42:
	s_ashr_i32 s19, s18, 31
	s_lshl_b64 s[0:1], s[18:19], 2
	s_add_u32 s9, s14, s0
	v_lshlrev_b32_e32 v2, 2, v0
	s_addc_u32 s10, s15, s1
	s_add_i32 s12, s7, -1
	s_lshl_b64 s[0:1], s[34:35], 2
	v_and_b32_e32 v3, 4, v2
	v_lshl_add_u32 v5, v1, 3, s40
	s_add_u32 s0, s30, s0
	v_and_b32_e32 v2, 0xfc, v2
	v_add3_u32 v43, v5, v3, 3
	v_lshlrev_b32_e32 v3, 4, v42
	v_lshlrev_b64 v[8:9], 2, v[30:31]
	s_addc_u32 s1, s31, s1
	v_mov_b32_e32 v32, 0
	v_or_b32_e32 v4, 0x400, v2
	v_or_b32_e32 v6, 0x500, v2
	v_lshl_or_b32 v1, v1, 5, v3
	v_mov_b32_e32 v3, s1
	v_add_co_u32_e32 v38, vcc, s0, v8
	s_mov_b32 s3, s17
	v_add_u32_e32 v1, 0x310, v1
	v_addc_co_u32_e32 v39, vcc, v3, v9, vcc
	s_mov_b64 s[6:7], 0
	v_mov_b32_e32 v31, s10
	v_lshlrev_b32_e32 v44, 2, v2
	v_lshlrev_b32_e32 v45, 2, v4
	;; [unrolled: 1-line block ×3, first 2 shown]
	v_mov_b32_e32 v33, v32
	v_mov_b32_e32 v36, v32
	v_mov_b32_e32 v37, v32
	v_mov_b32_e32 v34, v32
	v_mov_b32_e32 v35, v32
	s_branch .LBB25_44
.LBB25_43:                              ;   in Loop: Header=BB25_44 Depth=1
	s_or_b64 exec, exec, s[0:1]
	s_waitcnt vmcnt(5) lgkmcnt(0)
	v_mul_f32_e32 v7, v3, v7
	v_fmac_f32_e32 v7, v2, v6
	s_waitcnt vmcnt(4)
	v_mul_f32_e32 v6, v3, v11
	v_fmac_f32_e32 v6, v2, v10
	v_fmac_f32_e32 v6, v4, v12
	v_fmac_f32_e32 v6, v5, v13
	v_add_f32_e32 v33, v33, v6
	s_waitcnt vmcnt(3)
	v_mul_f32_e32 v6, v3, v15
	v_fmac_f32_e32 v6, v2, v14
	v_fmac_f32_e32 v6, v4, v16
	v_fmac_f32_e32 v6, v5, v17
	v_add_f32_e32 v36, v36, v6
	;; [unrolled: 6-line block ×3, first 2 shown]
	s_waitcnt vmcnt(1)
	v_mul_f32_e32 v6, v3, v23
	s_waitcnt vmcnt(0)
	v_mul_f32_e32 v3, v3, v27
	v_fmac_f32_e32 v6, v2, v22
	v_fmac_f32_e32 v3, v2, v26
	v_add_u32_e32 v30, 2, v30
	v_fmac_f32_e32 v7, v4, v8
	v_fmac_f32_e32 v6, v4, v24
	;; [unrolled: 1-line block ×3, first 2 shown]
	v_cmp_le_i32_e32 vcc, s16, v30
	v_fmac_f32_e32 v7, v5, v9
	v_fmac_f32_e32 v6, v5, v25
	;; [unrolled: 1-line block ×3, first 2 shown]
	s_or_b64 s[6:7], vcc, s[6:7]
	v_add_co_u32_e32 v38, vcc, 8, v38
	v_add_f32_e32 v32, v32, v7
	v_add_f32_e32 v34, v34, v6
	;; [unrolled: 1-line block ×3, first 2 shown]
	v_add_u32_e32 v43, 16, v43
	v_add_u32_e32 v1, 64, v1
	v_addc_co_u32_e32 v39, vcc, 0, v39, vcc
	s_andn2_b64 exec, exec, s[6:7]
	s_cbranch_execz .LBB25_56
.LBB25_44:                              ; =>This Inner Loop Header: Depth=1
	global_load_dword v2, v[38:39], off
	v_add_u32_e32 v47, -3, v43
	v_add_u32_e32 v49, -2, v43
	;; [unrolled: 1-line block ×3, first 2 shown]
	s_waitcnt vmcnt(0)
	v_mad_i64_i32 v[2:3], s[0:1], v2, s3, 0
	v_lshlrev_b64 v[2:3], 2, v[2:3]
	v_add_co_u32_e32 v26, vcc, s9, v2
	v_addc_co_u32_e32 v27, vcc, v31, v3, vcc
	v_add_co_u32_e32 v18, vcc, v26, v44
	v_addc_co_u32_e32 v19, vcc, 0, v27, vcc
	global_load_dwordx4 v[6:9], v[18:19], off
	ds_read_b128 v[2:5], v1
	v_cmp_eq_u32_e32 vcc, s12, v30
	s_and_saveexec_b64 s[10:11], vcc
	s_cbranch_execnz .LBB25_53
; %bb.45:                               ;   in Loop: Header=BB25_44 Depth=1
	s_or_b64 exec, exec, s[10:11]
	global_load_dwordx4 v[10:13], v[18:19], off offset:1024
	s_and_saveexec_b64 s[10:11], vcc
	s_cbranch_execnz .LBB25_54
.LBB25_46:                              ;   in Loop: Header=BB25_44 Depth=1
	s_or_b64 exec, exec, s[10:11]
	global_load_dwordx4 v[14:17], v[18:19], off offset:2048
	s_and_saveexec_b64 s[10:11], vcc
	s_cbranch_execnz .LBB25_55
.LBB25_47:                              ;   in Loop: Header=BB25_44 Depth=1
	s_or_b64 exec, exec, s[10:11]
	global_load_dwordx4 v[18:21], v[18:19], off offset:3072
	s_and_saveexec_b64 s[10:11], vcc
	s_cbranch_execz .LBB25_49
.LBB25_48:                              ;   in Loop: Header=BB25_44 Depth=1
	v_cmp_gt_i32_e64 s[0:1], s33, v47
	s_waitcnt vmcnt(0)
	v_cndmask_b32_e64 v18, 0, v18, s[0:1]
	v_cmp_gt_i32_e64 s[0:1], s33, v49
	v_cndmask_b32_e64 v19, 0, v19, s[0:1]
	v_cmp_gt_i32_e64 s[0:1], s33, v48
	;; [unrolled: 2-line block ×3, first 2 shown]
	v_cndmask_b32_e64 v21, 0, v21, s[0:1]
.LBB25_49:                              ;   in Loop: Header=BB25_44 Depth=1
	s_or_b64 exec, exec, s[10:11]
	v_add_co_u32_e64 v22, s[0:1], v26, v45
	v_addc_co_u32_e64 v23, s[0:1], 0, v27, s[0:1]
	global_load_dwordx4 v[22:25], v[22:23], off
	s_and_saveexec_b64 s[10:11], vcc
	s_cbranch_execz .LBB25_51
; %bb.50:                               ;   in Loop: Header=BB25_44 Depth=1
	v_cmp_gt_i32_e64 s[0:1], s33, v47
	s_waitcnt vmcnt(0)
	v_cndmask_b32_e64 v22, 0, v22, s[0:1]
	v_cmp_gt_i32_e64 s[0:1], s33, v49
	v_cndmask_b32_e64 v23, 0, v23, s[0:1]
	v_cmp_gt_i32_e64 s[0:1], s33, v48
	;; [unrolled: 2-line block ×3, first 2 shown]
	v_cndmask_b32_e64 v25, 0, v25, s[0:1]
.LBB25_51:                              ;   in Loop: Header=BB25_44 Depth=1
	s_or_b64 exec, exec, s[10:11]
	v_add_co_u32_e64 v26, s[0:1], v26, v46
	v_addc_co_u32_e64 v27, s[0:1], 0, v27, s[0:1]
	global_load_dwordx4 v[26:29], v[26:27], off
	s_and_saveexec_b64 s[0:1], vcc
	s_cbranch_execz .LBB25_43
; %bb.52:                               ;   in Loop: Header=BB25_44 Depth=1
	v_cmp_gt_i32_e32 vcc, s33, v47
	s_waitcnt vmcnt(0)
	v_cndmask_b32_e32 v26, 0, v26, vcc
	v_cmp_gt_i32_e32 vcc, s33, v49
	v_cndmask_b32_e32 v27, 0, v27, vcc
	v_cmp_gt_i32_e32 vcc, s33, v48
	;; [unrolled: 2-line block ×3, first 2 shown]
	v_cndmask_b32_e32 v29, 0, v29, vcc
	s_branch .LBB25_43
.LBB25_53:                              ;   in Loop: Header=BB25_44 Depth=1
	v_cmp_gt_i32_e64 s[0:1], s33, v47
	s_waitcnt vmcnt(0)
	v_cndmask_b32_e64 v6, 0, v6, s[0:1]
	v_cmp_gt_i32_e64 s[0:1], s33, v49
	v_cndmask_b32_e64 v7, 0, v7, s[0:1]
	v_cmp_gt_i32_e64 s[0:1], s33, v48
	;; [unrolled: 2-line block ×3, first 2 shown]
	v_cndmask_b32_e64 v9, 0, v9, s[0:1]
	s_or_b64 exec, exec, s[10:11]
	global_load_dwordx4 v[10:13], v[18:19], off offset:1024
	s_and_saveexec_b64 s[10:11], vcc
	s_cbranch_execz .LBB25_46
.LBB25_54:                              ;   in Loop: Header=BB25_44 Depth=1
	v_cmp_gt_i32_e64 s[0:1], s33, v47
	s_waitcnt vmcnt(0)
	v_cndmask_b32_e64 v10, 0, v10, s[0:1]
	v_cmp_gt_i32_e64 s[0:1], s33, v49
	v_cndmask_b32_e64 v11, 0, v11, s[0:1]
	v_cmp_gt_i32_e64 s[0:1], s33, v48
	;; [unrolled: 2-line block ×3, first 2 shown]
	v_cndmask_b32_e64 v13, 0, v13, s[0:1]
	s_or_b64 exec, exec, s[10:11]
	global_load_dwordx4 v[14:17], v[18:19], off offset:2048
	s_and_saveexec_b64 s[10:11], vcc
	s_cbranch_execz .LBB25_47
.LBB25_55:                              ;   in Loop: Header=BB25_44 Depth=1
	v_cmp_gt_i32_e64 s[0:1], s33, v47
	s_waitcnt vmcnt(0)
	v_cndmask_b32_e64 v14, 0, v14, s[0:1]
	v_cmp_gt_i32_e64 s[0:1], s33, v49
	v_cndmask_b32_e64 v15, 0, v15, s[0:1]
	v_cmp_gt_i32_e64 s[0:1], s33, v48
	v_cndmask_b32_e64 v16, 0, v16, s[0:1]
	v_cmp_gt_i32_e64 s[0:1], s33, v43
	v_cndmask_b32_e64 v17, 0, v17, s[0:1]
	s_or_b64 exec, exec, s[10:11]
	global_load_dwordx4 v[18:21], v[18:19], off offset:3072
	s_and_saveexec_b64 s[10:11], vcc
	s_cbranch_execnz .LBB25_48
	s_branch .LBB25_49
.LBB25_56:
	s_or_b64 exec, exec, s[6:7]
.LBB25_57:
	s_or_b64 exec, exec, s[4:5]
	ds_bpermute_b32 v2, v41, v32
	ds_bpermute_b32 v3, v41, v33
	;; [unrolled: 1-line block ×6, first 2 shown]
	v_and_b32_e32 v1, 0x3c1, v0
	s_waitcnt lgkmcnt(4)
	v_pk_add_f32 v[4:5], v[32:33], v[2:3]
	s_waitcnt lgkmcnt(2)
	v_pk_add_f32 v[2:3], v[36:37], v[6:7]
	v_cmp_eq_u32_e32 vcc, 64, v1
	s_waitcnt lgkmcnt(0)
	v_pk_add_f32 v[6:7], v[34:35], v[8:9]
	s_barrier
	s_and_saveexec_b64 s[0:1], vcc
	s_cbranch_execz .LBB25_59
; %bb.58:
	v_mov_b32_e32 v8, 0x310
	v_lshl_add_u32 v8, v40, 1, v8
	ds_write2_b32 v8, v4, v5 offset1:32
	ds_write2_b32 v8, v2, v3 offset0:64 offset1:96
	ds_write2_b32 v8, v6, v7 offset0:128 offset1:160
.LBB25_59:
	s_or_b64 exec, exec, s[0:1]
	v_cmp_gt_u32_e32 vcc, 64, v0
	s_waitcnt lgkmcnt(0)
	s_barrier
	s_and_saveexec_b64 s[0:1], vcc
	s_cbranch_execz .LBB25_68
; %bb.60:
	v_cmp_eq_u32_e32 vcc, 0, v42
	v_lshrrev_b32_e32 v8, 1, v0
	s_and_saveexec_b64 s[4:5], vcc
	s_cbranch_execnz .LBB25_71
; %bb.61:
	s_or_b64 exec, exec, s[4:5]
	s_and_saveexec_b64 s[4:5], vcc
	s_cbranch_execnz .LBB25_72
.LBB25_62:
	s_or_b64 exec, exec, s[4:5]
	s_and_saveexec_b64 s[4:5], vcc
	s_cbranch_execnz .LBB25_73
.LBB25_63:
	s_or_b64 exec, exec, s[4:5]
	s_and_saveexec_b64 s[4:5], vcc
	s_cbranch_execnz .LBB25_74
.LBB25_64:
	s_or_b64 exec, exec, s[4:5]
	s_and_saveexec_b64 s[4:5], vcc
	s_cbranch_execnz .LBB25_75
.LBB25_65:
	s_or_b64 exec, exec, s[4:5]
	s_and_saveexec_b64 s[4:5], vcc
	s_cbranch_execz .LBB25_67
.LBB25_66:
	v_mov_b32_e32 v9, 0x310
	v_lshl_add_u32 v8, v8, 2, v9
	ds_read_b32 v8, v8 offset:640
	s_waitcnt lgkmcnt(0)
	v_add_f32_e32 v7, v7, v8
.LBB25_67:
	s_or_b64 exec, exec, s[4:5]
.LBB25_68:
	s_or_b64 exec, exec, s[0:1]
	v_cmp_eq_u32_e32 vcc, 0, v1
	s_barrier
	s_and_saveexec_b64 s[0:1], vcc
	s_cbranch_execz .LBB25_70
; %bb.69:
	s_mul_i32 s0, s2, 0xc0
	s_ashr_i32 s1, s0, 31
	s_lshl_b64 s[0:1], s[0:1], 2
	s_add_u32 s2, s24, s0
	s_mul_i32 s0, s29, s26
	s_addc_u32 s3, s25, s1
	s_ashr_i32 s1, s0, 31
	s_lshl_b64 s[0:1], s[0:1], 2
	s_add_u32 s2, s2, s0
	s_mul_i32 s0, s8, 0xc0
	s_addc_u32 s3, s3, s1
	s_ashr_i32 s1, s0, 31
	s_lshl_b64 s[0:1], s[0:1], 2
	s_add_u32 s0, s2, s0
	s_addc_u32 s1, s3, s1
	v_lshlrev_b32_e32 v0, 1, v0
	global_store_dword v0, v4, s[0:1]
	global_store_dword v0, v5, s[0:1] offset:128
	global_store_dword v0, v2, s[0:1] offset:256
	global_store_dword v0, v3, s[0:1] offset:384
	global_store_dword v0, v6, s[0:1] offset:512
	global_store_dword v0, v7, s[0:1] offset:640
.LBB25_70:
	s_endpgm
.LBB25_71:
	v_mov_b32_e32 v9, 0x310
	v_lshl_add_u32 v9, v8, 2, v9
	ds_read_b32 v9, v9
	s_waitcnt lgkmcnt(0)
	v_add_f32_e32 v4, v4, v9
	s_or_b64 exec, exec, s[4:5]
	s_and_saveexec_b64 s[4:5], vcc
	s_cbranch_execz .LBB25_62
.LBB25_72:
	v_mov_b32_e32 v9, 0x310
	v_lshl_add_u32 v9, v8, 2, v9
	ds_read_b32 v9, v9 offset:128
	s_waitcnt lgkmcnt(0)
	v_add_f32_e32 v5, v5, v9
	s_or_b64 exec, exec, s[4:5]
	s_and_saveexec_b64 s[4:5], vcc
	s_cbranch_execz .LBB25_63
.LBB25_73:
	v_mov_b32_e32 v9, 0x310
	v_lshl_add_u32 v9, v8, 2, v9
	ds_read_b32 v9, v9 offset:256
	s_waitcnt lgkmcnt(0)
	v_add_f32_e32 v2, v2, v9
	s_or_b64 exec, exec, s[4:5]
	s_and_saveexec_b64 s[4:5], vcc
	s_cbranch_execz .LBB25_64
.LBB25_74:
	v_mov_b32_e32 v9, 0x310
	v_lshl_add_u32 v9, v8, 2, v9
	ds_read_b32 v9, v9 offset:384
	s_waitcnt lgkmcnt(0)
	v_add_f32_e32 v3, v3, v9
	s_or_b64 exec, exec, s[4:5]
	s_and_saveexec_b64 s[4:5], vcc
	s_cbranch_execz .LBB25_65
.LBB25_75:
	v_mov_b32_e32 v9, 0x310
	v_lshl_add_u32 v9, v8, 2, v9
	ds_read_b32 v9, v9 offset:512
	s_waitcnt lgkmcnt(0)
	v_add_f32_e32 v6, v6, v9
	s_or_b64 exec, exec, s[4:5]
	s_and_saveexec_b64 s[4:5], vcc
	s_cbranch_execnz .LBB25_66
	s_branch .LBB25_67
	.section	.rodata,"a",@progbits
	.p2align	6, 0x0
	.amdhsa_kernel _ZN4vllm25paged_attention_v2_kernelIffLi192ELi8ELi128ELNS_18Fp8KVCacheDataTypeE0ELb0ELi512EEEvPfS2_PT_PKS3_PKT0_S9_ifPKiSB_iPKfiiiSD_SD_iiiii
		.amdhsa_group_segment_fixed_size 784
		.amdhsa_private_segment_fixed_size 0
		.amdhsa_kernarg_size 400
		.amdhsa_user_sgpr_count 6
		.amdhsa_user_sgpr_private_segment_buffer 1
		.amdhsa_user_sgpr_dispatch_ptr 0
		.amdhsa_user_sgpr_queue_ptr 0
		.amdhsa_user_sgpr_kernarg_segment_ptr 1
		.amdhsa_user_sgpr_dispatch_id 0
		.amdhsa_user_sgpr_flat_scratch_init 0
		.amdhsa_user_sgpr_kernarg_preload_length 0
		.amdhsa_user_sgpr_kernarg_preload_offset 0
		.amdhsa_user_sgpr_private_segment_size 0
		.amdhsa_uses_dynamic_stack 0
		.amdhsa_system_sgpr_private_segment_wavefront_offset 0
		.amdhsa_system_sgpr_workgroup_id_x 1
		.amdhsa_system_sgpr_workgroup_id_y 1
		.amdhsa_system_sgpr_workgroup_id_z 1
		.amdhsa_system_sgpr_workgroup_info 0
		.amdhsa_system_vgpr_workitem_id 0
		.amdhsa_next_free_vgpr 82
		.amdhsa_next_free_sgpr 44
		.amdhsa_accum_offset 84
		.amdhsa_reserve_vcc 1
		.amdhsa_reserve_flat_scratch 0
		.amdhsa_float_round_mode_32 0
		.amdhsa_float_round_mode_16_64 0
		.amdhsa_float_denorm_mode_32 3
		.amdhsa_float_denorm_mode_16_64 3
		.amdhsa_dx10_clamp 1
		.amdhsa_ieee_mode 1
		.amdhsa_fp16_overflow 0
		.amdhsa_tg_split 0
		.amdhsa_exception_fp_ieee_invalid_op 0
		.amdhsa_exception_fp_denorm_src 0
		.amdhsa_exception_fp_ieee_div_zero 0
		.amdhsa_exception_fp_ieee_overflow 0
		.amdhsa_exception_fp_ieee_underflow 0
		.amdhsa_exception_fp_ieee_inexact 0
		.amdhsa_exception_int_div_zero 0
	.end_amdhsa_kernel
	.section	.text._ZN4vllm25paged_attention_v2_kernelIffLi192ELi8ELi128ELNS_18Fp8KVCacheDataTypeE0ELb0ELi512EEEvPfS2_PT_PKS3_PKT0_S9_ifPKiSB_iPKfiiiSD_SD_iiiii,"axG",@progbits,_ZN4vllm25paged_attention_v2_kernelIffLi192ELi8ELi128ELNS_18Fp8KVCacheDataTypeE0ELb0ELi512EEEvPfS2_PT_PKS3_PKT0_S9_ifPKiSB_iPKfiiiSD_SD_iiiii,comdat
.Lfunc_end25:
	.size	_ZN4vllm25paged_attention_v2_kernelIffLi192ELi8ELi128ELNS_18Fp8KVCacheDataTypeE0ELb0ELi512EEEvPfS2_PT_PKS3_PKT0_S9_ifPKiSB_iPKfiiiSD_SD_iiiii, .Lfunc_end25-_ZN4vllm25paged_attention_v2_kernelIffLi192ELi8ELi128ELNS_18Fp8KVCacheDataTypeE0ELb0ELi512EEEvPfS2_PT_PKS3_PKT0_S9_ifPKiSB_iPKfiiiSD_SD_iiiii
                                        ; -- End function
	.section	.AMDGPU.csdata,"",@progbits
; Kernel info:
; codeLenInByte = 5052
; NumSgprs: 48
; NumVgprs: 82
; NumAgprs: 0
; TotalNumVgprs: 82
; ScratchSize: 0
; MemoryBound: 0
; FloatMode: 240
; IeeeMode: 1
; LDSByteSize: 784 bytes/workgroup (compile time only)
; SGPRBlocks: 5
; VGPRBlocks: 10
; NumSGPRsForWavesPerEU: 48
; NumVGPRsForWavesPerEU: 82
; AccumOffset: 84
; Occupancy: 5
; WaveLimiterHint : 1
; COMPUTE_PGM_RSRC2:SCRATCH_EN: 0
; COMPUTE_PGM_RSRC2:USER_SGPR: 6
; COMPUTE_PGM_RSRC2:TRAP_HANDLER: 0
; COMPUTE_PGM_RSRC2:TGID_X_EN: 1
; COMPUTE_PGM_RSRC2:TGID_Y_EN: 1
; COMPUTE_PGM_RSRC2:TGID_Z_EN: 1
; COMPUTE_PGM_RSRC2:TIDIG_COMP_CNT: 0
; COMPUTE_PGM_RSRC3_GFX90A:ACCUM_OFFSET: 20
; COMPUTE_PGM_RSRC3_GFX90A:TG_SPLIT: 0
	.section	.text._ZN4vllm25paged_attention_v2_kernelIffLi256ELi8ELi128ELNS_18Fp8KVCacheDataTypeE0ELb0ELi512EEEvPfS2_PT_PKS3_PKT0_S9_ifPKiSB_iPKfiiiSD_SD_iiiii,"axG",@progbits,_ZN4vllm25paged_attention_v2_kernelIffLi256ELi8ELi128ELNS_18Fp8KVCacheDataTypeE0ELb0ELi512EEEvPfS2_PT_PKS3_PKT0_S9_ifPKiSB_iPKfiiiSD_SD_iiiii,comdat
	.protected	_ZN4vllm25paged_attention_v2_kernelIffLi256ELi8ELi128ELNS_18Fp8KVCacheDataTypeE0ELb0ELi512EEEvPfS2_PT_PKS3_PKT0_S9_ifPKiSB_iPKfiiiSD_SD_iiiii ; -- Begin function _ZN4vllm25paged_attention_v2_kernelIffLi256ELi8ELi128ELNS_18Fp8KVCacheDataTypeE0ELb0ELi512EEEvPfS2_PT_PKS3_PKT0_S9_ifPKiSB_iPKfiiiSD_SD_iiiii
	.globl	_ZN4vllm25paged_attention_v2_kernelIffLi256ELi8ELi128ELNS_18Fp8KVCacheDataTypeE0ELb0ELi512EEEvPfS2_PT_PKS3_PKT0_S9_ifPKiSB_iPKfiiiSD_SD_iiiii
	.p2align	8
	.type	_ZN4vllm25paged_attention_v2_kernelIffLi256ELi8ELi128ELNS_18Fp8KVCacheDataTypeE0ELb0ELi512EEEvPfS2_PT_PKS3_PKT0_S9_ifPKiSB_iPKfiiiSD_SD_iiiii,@function
_ZN4vllm25paged_attention_v2_kernelIffLi256ELi8ELi128ELNS_18Fp8KVCacheDataTypeE0ELb0ELi512EEEvPfS2_PT_PKS3_PKT0_S9_ifPKiSB_iPKfiiiSD_SD_iiiii: ; @_ZN4vllm25paged_attention_v2_kernelIffLi256ELi8ELi128ELNS_18Fp8KVCacheDataTypeE0ELb0ELi512EEEvPfS2_PT_PKS3_PKT0_S9_ifPKiSB_iPKfiiiSD_SD_iiiii
; %bb.0:
	s_load_dwordx2 s[0:1], s[4:5], 0x40
	s_mov_b32 s28, s7
	s_ashr_i32 s29, s7, 31
	s_lshl_b64 s[2:3], s[28:29], 2
	s_waitcnt lgkmcnt(0)
	s_add_u32 s0, s0, s2
	s_addc_u32 s1, s1, s3
	s_load_dword s33, s[0:1], 0x0
	s_lshl_b32 s40, s8, 9
	s_waitcnt lgkmcnt(0)
	s_cmp_ge_i32 s40, s33
	s_cbranch_scc1 .LBB26_76
; %bb.1:
	s_load_dword s9, s[4:5], 0x90
	s_load_dwordx2 s[10:11], s[4:5], 0x30
	s_waitcnt lgkmcnt(0)
	s_abs_i32 s2, s9
	s_abs_i32 s0, s10
	v_cvt_f32_u32_e32 v1, s0
	s_sub_i32 s3, 0, s0
	s_xor_b32 s1, s9, s10
	s_ashr_i32 s1, s1, 31
	v_rcp_iflag_f32_e32 v1, v1
	v_mul_f32_e32 v1, 0x4f7ffffe, v1
	v_cvt_u32_f32_e32 v1, v1
	v_readfirstlane_b32 s7, v1
	s_mul_i32 s3, s3, s7
	s_mul_hi_u32 s3, s7, s3
	s_add_i32 s7, s7, s3
	s_mul_hi_u32 s3, s2, s7
	s_mul_i32 s7, s3, s0
	s_sub_i32 s2, s2, s7
	s_add_i32 s10, s3, 1
	s_sub_i32 s7, s2, s0
	s_cmp_ge_u32 s2, s0
	s_cselect_b32 s3, s10, s3
	s_cselect_b32 s2, s7, s2
	s_add_i32 s7, s3, 1
	s_cmp_ge_u32 s2, s0
	s_cselect_b32 s0, s7, s3
	s_xor_b32 s0, s0, s1
	s_sub_i32 s38, s0, s1
	s_abs_i32 s36, s38
	v_cvt_f32_u32_e32 v1, s36
	s_load_dwordx2 s[0:1], s[4:5], 0x50
	s_sub_i32 s2, 0, s36
	s_abs_i32 s37, s6
	v_rcp_iflag_f32_e32 v1, v1
	s_mov_b32 s10, 0
	v_mul_f32_e32 v1, 0x4f7ffffe, v1
	v_cvt_u32_f32_e32 v1, v1
	v_readfirstlane_b32 s3, v1
	s_mul_i32 s2, s2, s3
	s_mul_hi_u32 s2, s3, s2
	s_add_i32 s2, s3, s2
	s_waitcnt lgkmcnt(0)
	s_cmp_eq_u64 s[0:1], 0
	s_cbranch_scc1 .LBB26_3
; %bb.2:
	s_ashr_i32 s7, s6, 31
	s_lshl_b64 s[12:13], s[6:7], 2
	s_add_u32 s0, s0, s12
	s_addc_u32 s1, s1, s13
	s_load_dword s10, s[0:1], 0x0
.LBB26_3:
	s_load_dwordx4 s[20:23], s[4:5], 0x0
	s_load_dwordx2 s[24:25], s[4:5], 0x10
	s_load_dwordx4 s[12:15], s[4:5], 0x20
	s_load_dwordx2 s[30:31], s[4:5], 0x38
	s_load_dword s29, s[4:5], 0x98
	s_load_dwordx4 s[16:19], s[4:5], 0x58
	s_lshl_b32 s26, s6, 8
	s_movk_i32 s0, 0x100
	s_mul_hi_u32 s39, s37, s2
	v_and_b32_e32 v26, 7, v0
	s_ashr_i32 s27, s26, 31
	v_cmp_gt_u32_e32 vcc, s0, v0
	s_and_saveexec_b64 s[2:3], vcc
	s_cbranch_execz .LBB26_6
; %bb.4:
	s_load_dwordx2 s[0:1], s[4:5], 0x18
	s_waitcnt lgkmcnt(0)
	s_mul_i32 s34, s28, s16
	s_ashr_i32 s35, s34, 31
	s_lshl_b64 s[34:35], s[34:35], 2
	s_lshl_b64 s[42:43], s[26:27], 2
	v_lshrrev_b32_e32 v2, 3, v0
	s_add_u32 s7, s34, s42
	v_lshlrev_b32_e32 v3, 2, v2
	s_addc_u32 s16, s35, s43
	v_lshl_add_u32 v4, v26, 7, v3
	v_lshlrev_b32_e32 v3, 2, v26
	s_add_u32 s0, s0, s7
	v_add_u32_e32 v1, -16, v2
	v_lshl_or_b32 v2, v2, 5, v3
	s_addc_u32 s1, s1, s16
	v_mov_b32_e32 v3, s1
	v_add_co_u32_e32 v2, vcc, s0, v2
	v_addc_co_u32_e32 v3, vcc, 0, v3, vcc
	s_mov_b64 s[34:35], 0
.LBB26_5:                               ; =>This Inner Loop Header: Depth=1
	global_load_dword v5, v[2:3], off
	v_add_co_u32_e64 v1, s[0:1], 16, v1
	s_xor_b64 s[0:1], s[0:1], -1
	v_add_co_u32_e32 v2, vcc, 0x200, v2
	s_and_b64 s[0:1], exec, s[0:1]
	v_addc_co_u32_e32 v3, vcc, 0, v3, vcc
	s_or_b64 s[34:35], s[0:1], s[34:35]
	s_waitcnt vmcnt(0)
	ds_write_b32 v4, v5
	v_add_u32_e32 v4, 64, v4
	s_andn2_b64 exec, exec, s[34:35]
	s_cbranch_execnz .LBB26_5
.LBB26_6:
	s_or_b64 exec, exec, s[2:3]
	s_add_i32 s2, s33, 7
	s_ashr_i32 s3, s2, 31
	s_ashr_i32 s0, s6, 31
	;; [unrolled: 1-line block ×3, first 2 shown]
	s_lshr_b32 s3, s3, 29
	s_add_i32 s2, s2, s3
	s_lshl_b32 s27, s8, 6
	s_xor_b32 s0, s0, s1
	s_mul_i32 s1, s39, s36
	s_ashr_i32 s7, s2, 3
	s_add_i32 s2, s27, 64
	s_sub_i32 s1, s37, s1
	s_waitcnt lgkmcnt(0)
	s_min_i32 s16, s2, s7
	s_add_i32 s2, s39, 1
	s_sub_i32 s3, s1, s36
	s_cmp_ge_u32 s1, s36
	s_cselect_b32 s2, s2, s39
	s_cselect_b32 s1, s3, s1
	s_add_i32 s3, s2, 1
	s_cmp_ge_u32 s1, s36
	s_cselect_b32 s1, s3, s2
	s_load_dword s2, s[4:5], 0x48
	v_lshrrev_b32_e32 v1, 6, v0
	s_xor_b32 s1, s1, s0
	v_or_b32_e32 v38, s27, v1
	s_sub_i32 s4, s1, s0
	s_waitcnt lgkmcnt(0)
	s_mul_i32 s34, s28, s2
	s_ashr_i32 s35, s34, 31
	v_cmp_gt_i32_e64 s[0:1], s16, v38
	v_cmp_le_i32_e32 vcc, s16, v38
	v_mbcnt_lo_u32_b32 v27, -1, 0
	s_barrier
	s_waitcnt lgkmcnt(0)
                                        ; implicit-def: $sgpr5
                                        ; implicit-def: $vgpr36
                                        ; implicit-def: $vgpr37
	s_and_saveexec_b64 s[2:3], vcc
	s_xor_b64 s[2:3], exec, s[2:3]
; %bb.7:
	v_mbcnt_hi_u32_b32 v36, -1, v27
	v_and_b32_e32 v2, 64, v36
	v_add_u32_e32 v37, 64, v2
	s_mov_b32 s5, 0xff7fffff
                                        ; implicit-def: $vgpr26
                                        ; implicit-def: $vgpr27
; %bb.8:
	s_or_saveexec_b64 s[36:37], s[2:3]
	v_mov_b32_e32 v50, s5
	s_mul_i32 s18, s4, s18
	v_ashrrev_i32_e32 v39, 31, v38
	s_xor_b64 exec, exec, s[36:37]
	s_cbranch_execz .LBB26_14
; %bb.9:
	s_ashr_i32 s19, s18, 31
	s_lshl_b64 s[2:3], s[18:19], 2
	v_bfe_u32 v29, v0, 3, 3
	s_add_u32 s2, s12, s2
	s_addc_u32 s3, s13, s3
	v_lshlrev_b32_e32 v2, 4, v29
	v_mov_b32_e32 v3, s3
	v_add_co_u32_e32 v2, vcc, s2, v2
	v_and_b32_e32 v4, 3, v0
	v_addc_co_u32_e32 v3, vcc, 0, v3, vcc
	v_lshlrev_b32_e32 v4, 2, v4
	v_mbcnt_hi_u32_b32 v36, -1, v27
	v_add_co_u32_e32 v40, vcc, v2, v4
	v_and_b32_e32 v27, 64, v36
	v_addc_co_u32_e32 v41, vcc, 0, v3, vcc
	v_add_u32_e32 v37, 64, v27
	v_xor_b32_e32 v27, 4, v36
	v_cmp_lt_i32_e32 vcc, v27, v37
	v_cndmask_b32_e32 v27, v36, v27, vcc
	v_lshlrev_b32_e32 v42, 2, v27
	v_xor_b32_e32 v27, 2, v36
	v_cmp_lt_i32_e32 vcc, v27, v37
	v_cndmask_b32_e32 v27, v36, v27, vcc
	v_lshlrev_b32_e32 v43, 2, v27
	v_xor_b32_e32 v27, 1, v36
	s_sub_i32 s19, 1, s33
	s_lshl_b64 s[4:5], s[34:35], 2
	v_lshlrev_b32_e32 v5, 3, v0
	v_lshlrev_b32_e32 v33, 7, v26
	v_cmp_lt_i32_e32 vcc, v27, v37
	s_add_u32 s4, s30, s4
	v_and_b32_e32 v28, 32, v5
	ds_read_b128 v[2:5], v33
	ds_read_b128 v[6:9], v33 offset:16
	ds_read_b128 v[10:13], v33 offset:32
	;; [unrolled: 1-line block ×5, first 2 shown]
	v_cndmask_b32_e32 v27, v36, v27, vcc
	v_lshlrev_b64 v[34:35], 2, v[38:39]
	s_addc_u32 s5, s31, s5
	v_lshlrev_b32_e32 v44, 2, v27
	v_cmp_eq_u32_e32 vcc, 0, v26
	v_or_b32_e32 v26, 0x400, v28
	v_mov_b32_e32 v27, s5
	v_add_co_u32_e64 v34, s[4:5], s4, v34
	v_lshlrev_b32_e32 v31, 2, v29
	v_or_b32_e32 v30, 0x440, v28
	v_or_b32_e32 v32, 0x480, v28
	;; [unrolled: 1-line block ×3, first 2 shown]
	v_addc_co_u32_e64 v35, s[4:5], v27, v35, s[4:5]
	v_lshlrev_b32_e32 v27, 3, v1
	v_lshlrev_b32_e32 v46, 2, v26
	v_or_b32_e32 v26, 0x640, v28
	v_or_b32_e32 v50, 0x4c0, v28
	;; [unrolled: 1-line block ×5, first 2 shown]
	v_add3_u32 v45, s40, v27, v29
	v_or_b32_e32 v60, 0x600, v28
	v_lshlrev_b32_e32 v47, 2, v30
	v_lshlrev_b32_e32 v48, 2, v32
	v_or_b32_e32 v30, 0x680, v28
	v_or_b32_e32 v32, 0x6c0, v28
	v_lshlrev_b32_e32 v53, 2, v56
	v_lshlrev_b32_e32 v56, 2, v26
	v_or_b32_e32 v26, 0x740, v28
	v_lshl_or_b32 v27, v1, 5, v31
	v_lshlrev_b32_e32 v49, 2, v50
	v_lshlrev_b32_e32 v51, 2, v52
	;; [unrolled: 1-line block ×4, first 2 shown]
	v_or_b32_e32 v50, 0x700, v28
	v_lshlrev_b32_e32 v55, 2, v60
	v_lshlrev_b32_e32 v57, 2, v30
	;; [unrolled: 1-line block ×3, first 2 shown]
	v_or_b32_e32 v64, 0x780, v28
	v_lshlrev_b32_e32 v60, 2, v28
	v_or_b32_e32 v66, 0x7c0, v28
	v_add_u32_e32 v61, 0x410, v27
	v_lshlrev_b32_e32 v62, 2, v26
	ds_read_b128 v[26:29], v33 offset:96
	ds_read_b128 v[30:33], v33 offset:112
	s_mov_b32 s41, s17
	v_cmp_neq_f32_e64 s[2:3], s10, 0
	v_lshlrev_b32_e32 v59, 2, v50
	s_mov_b64 s[12:13], 0
	v_mov_b32_e32 v50, 0xff7fffff
	v_lshlrev_b32_e32 v63, 2, v64
	v_lshlrev_b32_e32 v64, 2, v66
	v_mov_b32_e32 v65, v38
	s_branch .LBB26_11
.LBB26_10:                              ;   in Loop: Header=BB26_11 Depth=1
	s_or_b64 exec, exec, s[38:39]
	v_add_u32_e32 v65, 2, v65
	v_cmp_le_i32_e64 s[4:5], s16, v65
	s_or_b64 s[12:13], s[4:5], s[12:13]
	v_add_co_u32_e64 v34, s[4:5], 8, v34
	v_add_u32_e32 v45, 16, v45
	v_add_u32_e32 v61, 64, v61
	v_addc_co_u32_e64 v35, s[4:5], 0, v35, s[4:5]
	s_andn2_b64 exec, exec, s[12:13]
	s_cbranch_execz .LBB26_13
.LBB26_11:                              ; =>This Inner Loop Header: Depth=1
	global_load_dword v66, v[34:35], off
	s_waitcnt vmcnt(0) lgkmcnt(0)
	v_mad_i64_i32 v[66:67], s[4:5], v66, s41, 0
	v_lshlrev_b64 v[66:67], 2, v[66:67]
	v_add_co_u32_e64 v88, s[4:5], v40, v66
	v_addc_co_u32_e64 v89, s[4:5], v41, v67, s[4:5]
	v_add_co_u32_e64 v66, s[4:5], v88, v60
	v_addc_co_u32_e64 v67, s[4:5], 0, v89, s[4:5]
	;; [unrolled: 2-line block ×12, first 2 shown]
	global_load_dword v90, v[66:67], off
	global_load_dword v91, v[66:67], off offset:256
	global_load_dword v92, v[66:67], off offset:512
	;; [unrolled: 1-line block ×15, first 2 shown]
	global_load_dword v106, v[68:69], off
	global_load_dword v107, v[70:71], off
	;; [unrolled: 1-line block ×5, first 2 shown]
	s_nop 0
	global_load_dword v78, v[78:79], off
	s_nop 0
	global_load_dword v79, v[80:81], off
	;; [unrolled: 2-line block ×3, first 2 shown]
	v_add_co_u32_e64 v66, s[4:5], v88, v57
	v_addc_co_u32_e64 v67, s[4:5], 0, v89, s[4:5]
	v_add_co_u32_e64 v68, s[4:5], v88, v58
	v_addc_co_u32_e64 v69, s[4:5], 0, v89, s[4:5]
	;; [unrolled: 2-line block ×6, first 2 shown]
	global_load_dword v81, v[84:85], off
	global_load_dword v82, v[86:87], off
	s_nop 0
	global_load_dword v66, v[66:67], off
	s_nop 0
	global_load_dword v67, v[68:69], off
	s_nop 0
	global_load_dword v68, v[70:71], off
	global_load_dword v69, v[72:73], off
	s_nop 0
	global_load_dword v70, v[74:75], off
	global_load_dword v71, v[76:77], off
	s_waitcnt vmcnt(30) lgkmcnt(7)
	v_mul_f32_e32 v72, v3, v91
	v_fmac_f32_e32 v72, v2, v90
	s_waitcnt vmcnt(29)
	v_fmac_f32_e32 v72, v4, v92
	s_waitcnt vmcnt(28)
	v_fmac_f32_e32 v72, v5, v93
	s_waitcnt vmcnt(27) lgkmcnt(6)
	v_fmac_f32_e32 v72, v6, v94
	s_waitcnt vmcnt(26)
	v_fmac_f32_e32 v72, v7, v95
	s_waitcnt vmcnt(25)
	v_fmac_f32_e32 v72, v8, v96
	s_waitcnt vmcnt(24)
	v_fmac_f32_e32 v72, v9, v97
	s_waitcnt vmcnt(23) lgkmcnt(5)
	v_fmac_f32_e32 v72, v10, v98
	s_waitcnt vmcnt(22)
	;; [unrolled: 8-line block ×7, first 2 shown]
	v_fmac_f32_e32 v72, v31, v69
	s_waitcnt vmcnt(1)
	v_fmac_f32_e32 v72, v32, v70
	s_waitcnt vmcnt(0)
	v_fmac_f32_e32 v72, v33, v71
	ds_bpermute_b32 v66, v42, v72
	s_waitcnt lgkmcnt(0)
	v_add_f32_e32 v66, v72, v66
	ds_bpermute_b32 v67, v43, v66
	s_waitcnt lgkmcnt(0)
	v_add_f32_e32 v66, v66, v67
	ds_bpermute_b32 v67, v44, v66
	s_and_saveexec_b64 s[38:39], vcc
	s_cbranch_execz .LBB26_10
; %bb.12:                               ;   in Loop: Header=BB26_11 Depth=1
	v_add_u32_e32 v68, s19, v45
	v_cvt_f32_i32_e32 v68, v68
	s_waitcnt lgkmcnt(0)
	v_add_f32_e32 v66, v66, v67
	v_cmp_gt_i32_e64 s[4:5], s33, v45
	v_max_f32_e32 v67, v50, v50
	v_mul_f32_e32 v68, s10, v68
	v_cndmask_b32_e64 v68, 0, v68, s[2:3]
	v_fmac_f32_e32 v68, s11, v66
	v_cndmask_b32_e64 v66, 0, v68, s[4:5]
	ds_write_b32 v61, v66
	v_max_f32_e32 v66, v67, v68
	v_cndmask_b32_e64 v50, v50, v66, s[4:5]
	s_branch .LBB26_10
.LBB26_13:
	s_or_b64 exec, exec, s[12:13]
.LBB26_14:
	s_or_b64 exec, exec, s[36:37]
	v_xor_b32_e32 v2, 32, v36
	v_cmp_lt_i32_e32 vcc, v2, v37
	v_cndmask_b32_e32 v2, v36, v2, vcc
	v_lshlrev_b32_e32 v3, 2, v2
	ds_bpermute_b32 v2, v3, v50
	v_xor_b32_e32 v5, 16, v36
	v_max_f32_e32 v4, v50, v50
	v_cmp_lt_i32_e32 vcc, v5, v37
	v_and_b32_e32 v50, 63, v0
	s_waitcnt lgkmcnt(0)
	v_max_f32_e32 v2, v2, v2
	v_max_f32_e32 v2, v4, v2
	v_cndmask_b32_e32 v4, v36, v5, vcc
	v_lshlrev_b32_e32 v6, 2, v4
	ds_bpermute_b32 v4, v6, v2
	v_xor_b32_e32 v5, 8, v36
	v_cmp_lt_i32_e32 vcc, v5, v37
	s_waitcnt lgkmcnt(0)
	v_max_f32_e32 v4, v4, v4
	v_max_f32_e32 v4, v2, v4
	v_cndmask_b32_e32 v2, v36, v5, vcc
	v_lshlrev_b32_e32 v7, 2, v2
	ds_bpermute_b32 v5, v7, v4
	v_cmp_eq_u32_e32 vcc, 0, v50
	v_lshlrev_b32_e32 v2, 2, v1
	s_and_saveexec_b64 s[2:3], vcc
	s_cbranch_execz .LBB26_16
; %bb.15:
	s_waitcnt lgkmcnt(0)
	v_max_f32_e32 v5, v5, v5
	v_max_f32_e32 v4, v4, v4
	;; [unrolled: 1-line block ×3, first 2 shown]
	ds_write_b32 v2, v4 offset:1024
.LBB26_16:
	s_or_b64 exec, exec, s[2:3]
	v_cmp_gt_u32_e64 s[2:3], 2, v50
	v_mov_b32_e32 v4, 0xff7fffff
	s_waitcnt lgkmcnt(0)
	v_lshlrev_b32_e32 v5, 2, v50
	s_barrier
	s_and_saveexec_b64 s[4:5], s[2:3]
	s_cbranch_execz .LBB26_18
; %bb.17:
	ds_read_b32 v4, v5 offset:1024
.LBB26_18:
	s_or_b64 exec, exec, s[4:5]
	v_xor_b32_e32 v8, 1, v36
	v_cmp_lt_i32_e64 s[4:5], v8, v37
	v_cndmask_b32_e64 v8, v36, v8, s[4:5]
	v_lshlrev_b32_e32 v51, 2, v8
	s_waitcnt lgkmcnt(0)
	ds_bpermute_b32 v8, v51, v4
	v_max_f32_e32 v4, v4, v4
	s_sub_i32 s4, s16, s27
	s_lshl_b32 s4, s4, 3
	s_add_i32 s4, s4, s40
	s_waitcnt lgkmcnt(0)
	v_max_f32_e32 v8, v8, v8
	v_max_f32_e32 v4, v4, v8
	v_lshlrev_b32_e32 v8, 2, v36
	v_and_b32_e32 v8, 0xffffff00, v8
	ds_bpermute_b32 v4, v8, v4
	s_min_i32 s27, s4, s33
	s_sub_i32 s19, s27, s40
	v_cmp_gt_i32_e64 s[4:5], s19, v0
	v_mov_b32_e32 v9, 0
	s_and_saveexec_b64 s[12:13], s[4:5]
	s_cbranch_execz .LBB26_22
; %bb.19:
	v_mov_b32_e32 v9, 0x410
	v_lshl_add_u32 v10, v0, 2, v9
	s_mov_b64 s[36:37], 0
	v_mov_b32_e32 v9, 0
	v_mov_b32_e32 v11, v0
.LBB26_20:                              ; =>This Inner Loop Header: Depth=1
	ds_read_b32 v12, v10
	v_add_u32_e32 v11, 0x80, v11
	v_cmp_le_i32_e64 s[10:11], s19, v11
	s_or_b64 s[36:37], s[10:11], s[36:37]
	s_waitcnt lgkmcnt(0)
	v_sub_f32_e32 v12, v12, v4
	v_mul_f32_e32 v12, 0x3fb8aa3b, v12
	v_exp_f32_e32 v12, v12
	ds_write_b32 v10, v12
	v_add_f32_e32 v9, v9, v12
	v_add_u32_e32 v10, 0x200, v10
	s_andn2_b64 exec, exec, s[36:37]
	s_cbranch_execnz .LBB26_20
; %bb.21:
	s_or_b64 exec, exec, s[36:37]
.LBB26_22:
	s_or_b64 exec, exec, s[12:13]
	ds_bpermute_b32 v3, v3, v9
	s_waitcnt lgkmcnt(0)
	v_add_f32_e32 v3, v9, v3
	ds_bpermute_b32 v6, v6, v3
	s_waitcnt lgkmcnt(0)
	v_add_f32_e32 v3, v3, v6
	ds_bpermute_b32 v6, v7, v3
	v_xor_b32_e32 v7, 4, v36
	v_cmp_lt_i32_e64 s[10:11], v7, v37
	v_cndmask_b32_e64 v7, v36, v7, s[10:11]
	v_lshlrev_b32_e32 v7, 2, v7
	s_waitcnt lgkmcnt(0)
	v_add_f32_e32 v3, v3, v6
	ds_bpermute_b32 v6, v7, v3
	v_xor_b32_e32 v7, 2, v36
	v_cmp_lt_i32_e64 s[10:11], v7, v37
	v_cndmask_b32_e64 v7, v36, v7, s[10:11]
	s_waitcnt lgkmcnt(0)
	v_add_f32_e32 v3, v3, v6
	v_lshlrev_b32_e32 v6, 2, v7
	ds_bpermute_b32 v6, v6, v3
	s_waitcnt lgkmcnt(0)
	v_add_f32_e32 v3, v3, v6
	ds_bpermute_b32 v6, v51, v3
	s_waitcnt lgkmcnt(0)
	v_add_f32_e32 v3, v3, v6
	s_and_saveexec_b64 s[10:11], vcc
	s_cbranch_execz .LBB26_24
; %bb.23:
	ds_write_b32 v2, v3 offset:1032
.LBB26_24:
	s_or_b64 exec, exec, s[10:11]
	s_waitcnt lgkmcnt(0)
	s_barrier
	s_and_saveexec_b64 s[10:11], s[2:3]
	s_cbranch_execz .LBB26_26
; %bb.25:
	ds_read_b32 v3, v5 offset:1032
.LBB26_26:
	s_or_b64 exec, exec, s[10:11]
	s_waitcnt lgkmcnt(0)
	ds_bpermute_b32 v2, v51, v3
	s_waitcnt lgkmcnt(0)
	v_add_f32_e32 v2, v3, v2
	ds_bpermute_b32 v5, v8, v2
	s_and_saveexec_b64 s[2:3], s[4:5]
	s_cbranch_execz .LBB26_39
; %bb.27:
	s_waitcnt lgkmcnt(0)
	v_add_f32_e32 v2, 0x358637bd, v5
	v_div_scale_f32 v3, s[4:5], v2, v2, 1.0
	v_rcp_f32_e32 v6, v3
	v_div_scale_f32 v7, vcc, 1.0, v2, 1.0
	s_movk_i32 s4, 0x7f
	v_fma_f32 v8, -v3, v6, 1.0
	v_fmac_f32_e32 v6, v8, v6
	v_mul_f32_e32 v8, v7, v6
	v_fma_f32 v9, -v3, v8, v7
	v_fmac_f32_e32 v8, v9, v6
	v_fma_f32 v3, -v3, v8, v7
	v_div_fmas_f32 v3, v3, v6, v8
	v_div_fixup_f32 v2, v3, v2, 1.0
	v_xad_u32 v3, v0, -1, s27
	v_subrev_u32_e32 v6, s40, v3
	v_cmp_lt_u32_e32 vcc, s4, v6
	s_mov_b64 s[10:11], -1
	v_mov_b32_e32 v3, v0
	s_and_saveexec_b64 s[4:5], vcc
	s_cbranch_execz .LBB26_36
; %bb.28:
	v_lshrrev_b32_e32 v6, 7, v6
	v_add_u32_e32 v8, -1, v6
	v_lshrrev_b32_e32 v7, 1, v8
	v_mov_b32_e32 v3, v2
	v_add_u32_e32 v7, 1, v7
	v_cmp_lt_u32_e32 vcc, 13, v8
	v_mov_b32_e32 v10, 0
	s_and_saveexec_b64 s[10:11], vcc
	s_cbranch_execz .LBB26_32
; %bb.29:
	v_mov_b32_e32 v9, 0x410
	v_and_b32_e32 v8, -8, v7
	v_lshl_add_u32 v9, v0, 2, v9
	s_mov_b32 s27, 0
	s_mov_b64 s[12:13], 0
.LBB26_30:                              ; =>This Inner Loop Header: Depth=1
	ds_read2st64_b32 v[10:11], v9 offset1:2
	ds_read2st64_b32 v[12:13], v9 offset0:4 offset1:6
	ds_read2st64_b32 v[14:15], v9 offset0:8 offset1:10
	;; [unrolled: 1-line block ×3, first 2 shown]
	v_add_u32_e32 v8, -8, v8
	s_waitcnt lgkmcnt(3)
	v_pk_mul_f32 v[10:11], v[2:3], v[10:11]
	s_waitcnt lgkmcnt(2)
	v_pk_mul_f32 v[12:13], v[2:3], v[12:13]
	ds_write2st64_b32 v9, v10, v11 offset1:2
	ds_write2st64_b32 v9, v12, v13 offset0:4 offset1:6
	ds_read2st64_b32 v[12:13], v9 offset0:16 offset1:18
	s_waitcnt lgkmcnt(4)
	v_pk_mul_f32 v[10:11], v[2:3], v[14:15]
	ds_write2st64_b32 v9, v10, v11 offset0:8 offset1:10
	s_waitcnt lgkmcnt(4)
	v_pk_mul_f32 v[10:11], v[2:3], v[16:17]
	ds_write2st64_b32 v9, v10, v11 offset0:12 offset1:14
	ds_read2st64_b32 v[10:11], v9 offset0:20 offset1:22
	s_waitcnt lgkmcnt(3)
	v_pk_mul_f32 v[12:13], v[2:3], v[12:13]
	ds_read2st64_b32 v[14:15], v9 offset0:24 offset1:26
	ds_write2st64_b32 v9, v12, v13 offset0:16 offset1:18
	ds_read2st64_b32 v[12:13], v9 offset0:28 offset1:30
	s_waitcnt lgkmcnt(3)
	v_pk_mul_f32 v[10:11], v[2:3], v[10:11]
	ds_write2st64_b32 v9, v10, v11 offset0:20 offset1:22
	s_waitcnt lgkmcnt(3)
	v_pk_mul_f32 v[10:11], v[2:3], v[14:15]
	ds_write2st64_b32 v9, v10, v11 offset0:24 offset1:26
	s_waitcnt lgkmcnt(2)
	v_pk_mul_f32 v[10:11], v[2:3], v[12:13]
	s_add_i32 s27, s27, 16
	v_cmp_eq_u32_e32 vcc, 0, v8
	ds_write2st64_b32 v9, v10, v11 offset0:28 offset1:30
	v_add_u32_e32 v9, 0x2000, v9
	s_or_b64 s[12:13], vcc, s[12:13]
	v_mov_b32_e32 v10, s27
	s_andn2_b64 exec, exec, s[12:13]
	s_cbranch_execnz .LBB26_30
; %bb.31:
	s_or_b64 exec, exec, s[12:13]
.LBB26_32:
	s_or_b64 exec, exec, s[10:11]
	v_and_b32_e32 v7, 7, v7
	v_cmp_ne_u32_e32 vcc, 0, v7
	s_and_saveexec_b64 s[10:11], vcc
	s_cbranch_execz .LBB26_35
; %bb.33:
	v_lshlrev_b32_e32 v8, 9, v10
	v_lshlrev_b32_e32 v9, 2, v0
	s_movk_i32 s12, 0x410
	v_add3_u32 v8, v8, v9, s12
	s_mov_b64 s[12:13], 0
.LBB26_34:                              ; =>This Inner Loop Header: Depth=1
	ds_read2st64_b32 v[10:11], v8 offset1:2
	v_add_u32_e32 v7, -1, v7
	v_cmp_eq_u32_e32 vcc, 0, v7
	s_or_b64 s[12:13], vcc, s[12:13]
	s_waitcnt lgkmcnt(0)
	v_pk_mul_f32 v[10:11], v[2:3], v[10:11]
	ds_write2st64_b32 v8, v10, v11 offset1:2
	v_add_u32_e32 v8, 0x400, v8
	s_andn2_b64 exec, exec, s[12:13]
	s_cbranch_execnz .LBB26_34
.LBB26_35:
	s_or_b64 exec, exec, s[10:11]
	v_add_u32_e32 v6, 1, v6
	v_and_b32_e32 v7, 0x3fffffe, v6
	v_cmp_ne_u32_e32 vcc, v6, v7
	v_lshl_add_u32 v3, v7, 7, v0
	s_orn2_b64 s[10:11], vcc, exec
.LBB26_36:
	s_or_b64 exec, exec, s[4:5]
	s_and_b64 exec, exec, s[10:11]
	s_cbranch_execz .LBB26_39
; %bb.37:
	v_mov_b32_e32 v6, 0x410
	v_lshl_add_u32 v6, v3, 2, v6
	s_mov_b64 s[4:5], 0
.LBB26_38:                              ; =>This Inner Loop Header: Depth=1
	ds_read_b32 v7, v6
	v_add_u32_e32 v3, 0x80, v3
	v_cmp_le_i32_e32 vcc, s19, v3
	s_or_b64 s[4:5], vcc, s[4:5]
	s_waitcnt lgkmcnt(0)
	v_mul_f32_e32 v7, v2, v7
	ds_write_b32 v6, v7
	v_add_u32_e32 v6, 0x200, v6
	s_andn2_b64 exec, exec, s[4:5]
	s_cbranch_execnz .LBB26_38
.LBB26_39:
	s_or_b64 exec, exec, s[2:3]
	s_mul_i32 s2, s29, s28
	v_cmp_eq_u32_e32 vcc, 0, v0
	s_mul_i32 s2, s2, s9
	s_waitcnt lgkmcnt(0)
	s_barrier
	s_and_saveexec_b64 s[4:5], vcc
	s_cbranch_execz .LBB26_41
; %bb.40:
	s_ashr_i32 s3, s2, 31
	s_lshl_b64 s[10:11], s[2:3], 2
	s_add_u32 s3, s22, s10
	s_mul_i32 s12, s29, s6
	s_addc_u32 s9, s23, s11
	s_ashr_i32 s13, s12, 31
	s_lshl_b64 s[12:13], s[12:13], 2
	s_add_u32 s3, s3, s12
	s_addc_u32 s6, s9, s13
	s_ashr_i32 s9, s8, 31
	s_lshl_b64 s[22:23], s[8:9], 2
	s_add_u32 s36, s3, s22
	s_addc_u32 s37, s6, s23
	s_add_u32 s3, s20, s10
	s_addc_u32 s6, s21, s11
	s_add_u32 s3, s3, s12
	s_addc_u32 s6, s6, s13
	s_add_u32 s10, s3, s22
	v_mov_b32_e32 v2, 0
	s_addc_u32 s11, s6, s23
	global_store_dword v2, v4, s[36:37]
	global_store_dword v2, v5, s[10:11]
.LBB26_41:
	s_or_b64 exec, exec, s[4:5]
	v_mov_b32_e32 v43, 0
	v_and_b32_e32 v52, 1, v0
	v_mov_b32_e32 v42, 0
	v_mov_b32_e32 v45, 0
	;; [unrolled: 1-line block ×7, first 2 shown]
	s_and_saveexec_b64 s[4:5], s[0:1]
	s_cbranch_execz .LBB26_61
; %bb.42:
	s_ashr_i32 s19, s18, 31
	s_lshl_b64 s[0:1], s[18:19], 2
	s_add_u32 s9, s14, s0
	v_lshlrev_b32_e32 v2, 2, v0
	s_addc_u32 s10, s15, s1
	s_add_i32 s12, s7, -1
	s_lshl_b64 s[0:1], s[34:35], 2
	v_and_b32_e32 v3, 4, v2
	v_lshl_add_u32 v5, v1, 3, s40
	s_add_u32 s0, s30, s0
	v_and_b32_e32 v2, 0xfc, v2
	v_add3_u32 v53, v5, v3, 3
	v_lshlrev_b32_e32 v3, 4, v52
	v_lshlrev_b64 v[12:13], 2, v[38:39]
	s_addc_u32 s1, s31, s1
	v_mov_b32_e32 v40, 0
	v_or_b32_e32 v4, 0x400, v2
	v_or_b32_e32 v6, 0x500, v2
	;; [unrolled: 1-line block ×4, first 2 shown]
	v_lshl_or_b32 v1, v1, 5, v3
	v_mov_b32_e32 v3, s1
	v_add_co_u32_e32 v48, vcc, s0, v12
	s_mov_b32 s3, s17
	v_add_u32_e32 v1, 0x410, v1
	v_addc_co_u32_e32 v49, vcc, v3, v13, vcc
	s_mov_b64 s[6:7], 0
	v_mov_b32_e32 v39, s10
	v_lshlrev_b32_e32 v54, 2, v2
	v_lshlrev_b32_e32 v55, 2, v4
	;; [unrolled: 1-line block ×5, first 2 shown]
	v_mov_b32_e32 v41, v40
	v_mov_b32_e32 v46, v40
	;; [unrolled: 1-line block ×7, first 2 shown]
	s_branch .LBB26_44
.LBB26_43:                              ;   in Loop: Header=BB26_44 Depth=1
	s_or_b64 exec, exec, s[0:1]
	s_waitcnt vmcnt(7) lgkmcnt(0)
	v_mul_f32_e32 v7, v3, v7
	v_fmac_f32_e32 v7, v2, v6
	s_waitcnt vmcnt(6)
	v_mul_f32_e32 v6, v3, v11
	v_fmac_f32_e32 v6, v2, v10
	v_fmac_f32_e32 v6, v4, v12
	v_fmac_f32_e32 v6, v5, v13
	v_add_f32_e32 v41, v41, v6
	s_waitcnt vmcnt(5)
	v_mul_f32_e32 v6, v3, v15
	v_fmac_f32_e32 v6, v2, v14
	v_fmac_f32_e32 v6, v4, v16
	v_fmac_f32_e32 v6, v5, v17
	v_add_f32_e32 v46, v46, v6
	;; [unrolled: 6-line block ×5, first 2 shown]
	s_waitcnt vmcnt(1)
	v_mul_f32_e32 v6, v3, v31
	s_waitcnt vmcnt(0)
	v_mul_f32_e32 v3, v3, v35
	v_fmac_f32_e32 v6, v2, v30
	v_fmac_f32_e32 v3, v2, v34
	v_add_u32_e32 v38, 2, v38
	v_fmac_f32_e32 v7, v4, v8
	v_fmac_f32_e32 v6, v4, v32
	;; [unrolled: 1-line block ×3, first 2 shown]
	v_cmp_le_i32_e32 vcc, s16, v38
	v_fmac_f32_e32 v7, v5, v9
	v_fmac_f32_e32 v6, v5, v33
	;; [unrolled: 1-line block ×3, first 2 shown]
	s_or_b64 s[6:7], vcc, s[6:7]
	v_add_co_u32_e32 v48, vcc, 8, v48
	v_add_f32_e32 v40, v40, v7
	v_add_f32_e32 v42, v42, v6
	v_add_f32_e32 v43, v43, v3
	v_add_u32_e32 v53, 16, v53
	v_add_u32_e32 v1, 64, v1
	v_addc_co_u32_e32 v49, vcc, 0, v49, vcc
	s_andn2_b64 exec, exec, s[6:7]
	s_cbranch_execz .LBB26_60
.LBB26_44:                              ; =>This Inner Loop Header: Depth=1
	global_load_dword v2, v[48:49], off
	v_add_u32_e32 v59, -3, v53
	v_add_u32_e32 v61, -2, v53
	;; [unrolled: 1-line block ×3, first 2 shown]
	s_waitcnt vmcnt(0)
	v_mad_i64_i32 v[2:3], s[0:1], v2, s3, 0
	v_lshlrev_b64 v[2:3], 2, v[2:3]
	v_add_co_u32_e32 v34, vcc, s9, v2
	v_addc_co_u32_e32 v35, vcc, v39, v3, vcc
	v_add_co_u32_e32 v18, vcc, v34, v54
	v_addc_co_u32_e32 v19, vcc, 0, v35, vcc
	global_load_dwordx4 v[6:9], v[18:19], off
	ds_read_b128 v[2:5], v1
	v_cmp_eq_u32_e32 vcc, s12, v38
	s_and_saveexec_b64 s[10:11], vcc
	s_cbranch_execnz .LBB26_57
; %bb.45:                               ;   in Loop: Header=BB26_44 Depth=1
	s_or_b64 exec, exec, s[10:11]
	global_load_dwordx4 v[10:13], v[18:19], off offset:1024
	s_and_saveexec_b64 s[10:11], vcc
	s_cbranch_execnz .LBB26_58
.LBB26_46:                              ;   in Loop: Header=BB26_44 Depth=1
	s_or_b64 exec, exec, s[10:11]
	global_load_dwordx4 v[14:17], v[18:19], off offset:2048
	s_and_saveexec_b64 s[10:11], vcc
	s_cbranch_execnz .LBB26_59
.LBB26_47:                              ;   in Loop: Header=BB26_44 Depth=1
	s_or_b64 exec, exec, s[10:11]
	global_load_dwordx4 v[18:21], v[18:19], off offset:3072
	s_and_saveexec_b64 s[10:11], vcc
	s_cbranch_execz .LBB26_49
.LBB26_48:                              ;   in Loop: Header=BB26_44 Depth=1
	v_cmp_gt_i32_e64 s[0:1], s33, v59
	s_waitcnt vmcnt(0)
	v_cndmask_b32_e64 v18, 0, v18, s[0:1]
	v_cmp_gt_i32_e64 s[0:1], s33, v61
	v_cndmask_b32_e64 v19, 0, v19, s[0:1]
	v_cmp_gt_i32_e64 s[0:1], s33, v60
	;; [unrolled: 2-line block ×3, first 2 shown]
	v_cndmask_b32_e64 v21, 0, v21, s[0:1]
.LBB26_49:                              ;   in Loop: Header=BB26_44 Depth=1
	s_or_b64 exec, exec, s[10:11]
	v_add_co_u32_e64 v22, s[0:1], v34, v55
	v_addc_co_u32_e64 v23, s[0:1], 0, v35, s[0:1]
	global_load_dwordx4 v[22:25], v[22:23], off
	s_and_saveexec_b64 s[10:11], vcc
	s_cbranch_execz .LBB26_51
; %bb.50:                               ;   in Loop: Header=BB26_44 Depth=1
	v_cmp_gt_i32_e64 s[0:1], s33, v59
	s_waitcnt vmcnt(0)
	v_cndmask_b32_e64 v22, 0, v22, s[0:1]
	v_cmp_gt_i32_e64 s[0:1], s33, v61
	v_cndmask_b32_e64 v23, 0, v23, s[0:1]
	v_cmp_gt_i32_e64 s[0:1], s33, v60
	v_cndmask_b32_e64 v24, 0, v24, s[0:1]
	v_cmp_gt_i32_e64 s[0:1], s33, v53
	v_cndmask_b32_e64 v25, 0, v25, s[0:1]
.LBB26_51:                              ;   in Loop: Header=BB26_44 Depth=1
	s_or_b64 exec, exec, s[10:11]
	v_add_co_u32_e64 v26, s[0:1], v34, v56
	v_addc_co_u32_e64 v27, s[0:1], 0, v35, s[0:1]
	global_load_dwordx4 v[26:29], v[26:27], off
	s_and_saveexec_b64 s[10:11], vcc
	s_cbranch_execz .LBB26_53
; %bb.52:                               ;   in Loop: Header=BB26_44 Depth=1
	v_cmp_gt_i32_e64 s[0:1], s33, v59
	s_waitcnt vmcnt(0)
	v_cndmask_b32_e64 v26, 0, v26, s[0:1]
	v_cmp_gt_i32_e64 s[0:1], s33, v61
	v_cndmask_b32_e64 v27, 0, v27, s[0:1]
	v_cmp_gt_i32_e64 s[0:1], s33, v60
	v_cndmask_b32_e64 v28, 0, v28, s[0:1]
	v_cmp_gt_i32_e64 s[0:1], s33, v53
	v_cndmask_b32_e64 v29, 0, v29, s[0:1]
.LBB26_53:                              ;   in Loop: Header=BB26_44 Depth=1
	;; [unrolled: 17-line block ×3, first 2 shown]
	s_or_b64 exec, exec, s[10:11]
	v_add_co_u32_e64 v34, s[0:1], v34, v58
	v_addc_co_u32_e64 v35, s[0:1], 0, v35, s[0:1]
	global_load_dwordx4 v[34:37], v[34:35], off
	s_and_saveexec_b64 s[0:1], vcc
	s_cbranch_execz .LBB26_43
; %bb.56:                               ;   in Loop: Header=BB26_44 Depth=1
	v_cmp_gt_i32_e32 vcc, s33, v59
	s_waitcnt vmcnt(0)
	v_cndmask_b32_e32 v34, 0, v34, vcc
	v_cmp_gt_i32_e32 vcc, s33, v61
	v_cndmask_b32_e32 v35, 0, v35, vcc
	v_cmp_gt_i32_e32 vcc, s33, v60
	;; [unrolled: 2-line block ×3, first 2 shown]
	v_cndmask_b32_e32 v37, 0, v37, vcc
	s_branch .LBB26_43
.LBB26_57:                              ;   in Loop: Header=BB26_44 Depth=1
	v_cmp_gt_i32_e64 s[0:1], s33, v59
	s_waitcnt vmcnt(0)
	v_cndmask_b32_e64 v6, 0, v6, s[0:1]
	v_cmp_gt_i32_e64 s[0:1], s33, v61
	v_cndmask_b32_e64 v7, 0, v7, s[0:1]
	v_cmp_gt_i32_e64 s[0:1], s33, v60
	;; [unrolled: 2-line block ×3, first 2 shown]
	v_cndmask_b32_e64 v9, 0, v9, s[0:1]
	s_or_b64 exec, exec, s[10:11]
	global_load_dwordx4 v[10:13], v[18:19], off offset:1024
	s_and_saveexec_b64 s[10:11], vcc
	s_cbranch_execz .LBB26_46
.LBB26_58:                              ;   in Loop: Header=BB26_44 Depth=1
	v_cmp_gt_i32_e64 s[0:1], s33, v59
	s_waitcnt vmcnt(0)
	v_cndmask_b32_e64 v10, 0, v10, s[0:1]
	v_cmp_gt_i32_e64 s[0:1], s33, v61
	v_cndmask_b32_e64 v11, 0, v11, s[0:1]
	v_cmp_gt_i32_e64 s[0:1], s33, v60
	;; [unrolled: 2-line block ×3, first 2 shown]
	v_cndmask_b32_e64 v13, 0, v13, s[0:1]
	s_or_b64 exec, exec, s[10:11]
	global_load_dwordx4 v[14:17], v[18:19], off offset:2048
	s_and_saveexec_b64 s[10:11], vcc
	s_cbranch_execz .LBB26_47
.LBB26_59:                              ;   in Loop: Header=BB26_44 Depth=1
	v_cmp_gt_i32_e64 s[0:1], s33, v59
	s_waitcnt vmcnt(0)
	v_cndmask_b32_e64 v14, 0, v14, s[0:1]
	v_cmp_gt_i32_e64 s[0:1], s33, v61
	v_cndmask_b32_e64 v15, 0, v15, s[0:1]
	v_cmp_gt_i32_e64 s[0:1], s33, v60
	;; [unrolled: 2-line block ×3, first 2 shown]
	v_cndmask_b32_e64 v17, 0, v17, s[0:1]
	s_or_b64 exec, exec, s[10:11]
	global_load_dwordx4 v[18:21], v[18:19], off offset:3072
	s_and_saveexec_b64 s[10:11], vcc
	s_cbranch_execnz .LBB26_48
	s_branch .LBB26_49
.LBB26_60:
	s_or_b64 exec, exec, s[6:7]
.LBB26_61:
	s_or_b64 exec, exec, s[4:5]
	ds_bpermute_b32 v2, v51, v40
	ds_bpermute_b32 v3, v51, v41
	;; [unrolled: 1-line block ×8, first 2 shown]
	v_and_b32_e32 v1, 0x3c1, v0
	s_waitcnt lgkmcnt(6)
	v_pk_add_f32 v[6:7], v[40:41], v[2:3]
	s_waitcnt lgkmcnt(4)
	v_pk_add_f32 v[4:5], v[46:47], v[4:5]
	;; [unrolled: 2-line block ×4, first 2 shown]
	v_cmp_eq_u32_e32 vcc, 64, v1
	s_barrier
	s_and_saveexec_b64 s[0:1], vcc
	s_cbranch_execz .LBB26_63
; %bb.62:
	v_mov_b32_e32 v10, 0x410
	v_lshl_add_u32 v10, v50, 1, v10
	ds_write2_b32 v10, v6, v7 offset1:32
	ds_write2_b32 v10, v4, v5 offset0:64 offset1:96
	ds_write2_b32 v10, v2, v3 offset0:128 offset1:160
	;; [unrolled: 1-line block ×3, first 2 shown]
.LBB26_63:
	s_or_b64 exec, exec, s[0:1]
	v_cmp_gt_u32_e32 vcc, 64, v0
	s_waitcnt lgkmcnt(0)
	s_barrier
	s_and_saveexec_b64 s[0:1], vcc
	s_cbranch_execz .LBB26_74
; %bb.64:
	v_cmp_eq_u32_e32 vcc, 0, v52
	v_lshrrev_b32_e32 v10, 1, v0
	s_and_saveexec_b64 s[4:5], vcc
	s_cbranch_execnz .LBB26_77
; %bb.65:
	s_or_b64 exec, exec, s[4:5]
	s_and_saveexec_b64 s[4:5], vcc
	s_cbranch_execnz .LBB26_78
.LBB26_66:
	s_or_b64 exec, exec, s[4:5]
	s_and_saveexec_b64 s[4:5], vcc
	s_cbranch_execnz .LBB26_79
.LBB26_67:
	s_or_b64 exec, exec, s[4:5]
	s_and_saveexec_b64 s[4:5], vcc
	s_cbranch_execnz .LBB26_80
.LBB26_68:
	s_or_b64 exec, exec, s[4:5]
	s_and_saveexec_b64 s[4:5], vcc
	s_cbranch_execnz .LBB26_81
.LBB26_69:
	s_or_b64 exec, exec, s[4:5]
	s_and_saveexec_b64 s[4:5], vcc
	s_cbranch_execnz .LBB26_82
.LBB26_70:
	s_or_b64 exec, exec, s[4:5]
	s_and_saveexec_b64 s[4:5], vcc
	s_cbranch_execnz .LBB26_83
.LBB26_71:
	s_or_b64 exec, exec, s[4:5]
	s_and_saveexec_b64 s[4:5], vcc
	s_cbranch_execz .LBB26_73
.LBB26_72:
	v_mov_b32_e32 v11, 0x410
	v_lshl_add_u32 v10, v10, 2, v11
	ds_read_b32 v10, v10 offset:896
	s_waitcnt lgkmcnt(0)
	v_add_f32_e32 v9, v9, v10
.LBB26_73:
	s_or_b64 exec, exec, s[4:5]
.LBB26_74:
	s_or_b64 exec, exec, s[0:1]
	v_cmp_eq_u32_e32 vcc, 0, v1
	s_barrier
	s_and_saveexec_b64 s[0:1], vcc
	s_cbranch_execz .LBB26_76
; %bb.75:
	s_lshl_b32 s0, s2, 8
	s_ashr_i32 s1, s0, 31
	s_lshl_b64 s[0:1], s[0:1], 2
	s_add_u32 s2, s24, s0
	s_mul_i32 s0, s29, s26
	s_addc_u32 s3, s25, s1
	s_ashr_i32 s1, s0, 31
	s_lshl_b64 s[0:1], s[0:1], 2
	s_add_u32 s2, s2, s0
	s_addc_u32 s3, s3, s1
	s_lshl_b32 s0, s8, 8
	s_ashr_i32 s1, s0, 31
	s_lshl_b64 s[0:1], s[0:1], 2
	s_add_u32 s0, s2, s0
	s_addc_u32 s1, s3, s1
	v_lshlrev_b32_e32 v0, 1, v0
	global_store_dword v0, v6, s[0:1]
	global_store_dword v0, v7, s[0:1] offset:128
	global_store_dword v0, v4, s[0:1] offset:256
	;; [unrolled: 1-line block ×7, first 2 shown]
.LBB26_76:
	s_endpgm
.LBB26_77:
	v_mov_b32_e32 v11, 0x410
	v_lshl_add_u32 v11, v10, 2, v11
	ds_read_b32 v11, v11
	s_waitcnt lgkmcnt(0)
	v_add_f32_e32 v6, v6, v11
	s_or_b64 exec, exec, s[4:5]
	s_and_saveexec_b64 s[4:5], vcc
	s_cbranch_execz .LBB26_66
.LBB26_78:
	v_mov_b32_e32 v11, 0x410
	v_lshl_add_u32 v11, v10, 2, v11
	ds_read_b32 v11, v11 offset:128
	s_waitcnt lgkmcnt(0)
	v_add_f32_e32 v7, v7, v11
	s_or_b64 exec, exec, s[4:5]
	s_and_saveexec_b64 s[4:5], vcc
	s_cbranch_execz .LBB26_67
.LBB26_79:
	v_mov_b32_e32 v11, 0x410
	v_lshl_add_u32 v11, v10, 2, v11
	ds_read_b32 v11, v11 offset:256
	s_waitcnt lgkmcnt(0)
	v_add_f32_e32 v4, v4, v11
	s_or_b64 exec, exec, s[4:5]
	s_and_saveexec_b64 s[4:5], vcc
	s_cbranch_execz .LBB26_68
.LBB26_80:
	v_mov_b32_e32 v11, 0x410
	v_lshl_add_u32 v11, v10, 2, v11
	ds_read_b32 v11, v11 offset:384
	s_waitcnt lgkmcnt(0)
	v_add_f32_e32 v5, v5, v11
	s_or_b64 exec, exec, s[4:5]
	s_and_saveexec_b64 s[4:5], vcc
	s_cbranch_execz .LBB26_69
.LBB26_81:
	v_mov_b32_e32 v11, 0x410
	v_lshl_add_u32 v11, v10, 2, v11
	ds_read_b32 v11, v11 offset:512
	s_waitcnt lgkmcnt(0)
	v_add_f32_e32 v2, v2, v11
	s_or_b64 exec, exec, s[4:5]
	s_and_saveexec_b64 s[4:5], vcc
	s_cbranch_execz .LBB26_70
.LBB26_82:
	v_mov_b32_e32 v11, 0x410
	v_lshl_add_u32 v11, v10, 2, v11
	ds_read_b32 v11, v11 offset:640
	s_waitcnt lgkmcnt(0)
	v_add_f32_e32 v3, v3, v11
	s_or_b64 exec, exec, s[4:5]
	s_and_saveexec_b64 s[4:5], vcc
	s_cbranch_execz .LBB26_71
.LBB26_83:
	v_mov_b32_e32 v11, 0x410
	v_lshl_add_u32 v11, v10, 2, v11
	ds_read_b32 v11, v11 offset:768
	s_waitcnt lgkmcnt(0)
	v_add_f32_e32 v8, v8, v11
	s_or_b64 exec, exec, s[4:5]
	s_and_saveexec_b64 s[4:5], vcc
	s_cbranch_execnz .LBB26_72
	s_branch .LBB26_73
	.section	.rodata,"a",@progbits
	.p2align	6, 0x0
	.amdhsa_kernel _ZN4vllm25paged_attention_v2_kernelIffLi256ELi8ELi128ELNS_18Fp8KVCacheDataTypeE0ELb0ELi512EEEvPfS2_PT_PKS3_PKT0_S9_ifPKiSB_iPKfiiiSD_SD_iiiii
		.amdhsa_group_segment_fixed_size 1040
		.amdhsa_private_segment_fixed_size 0
		.amdhsa_kernarg_size 400
		.amdhsa_user_sgpr_count 6
		.amdhsa_user_sgpr_private_segment_buffer 1
		.amdhsa_user_sgpr_dispatch_ptr 0
		.amdhsa_user_sgpr_queue_ptr 0
		.amdhsa_user_sgpr_kernarg_segment_ptr 1
		.amdhsa_user_sgpr_dispatch_id 0
		.amdhsa_user_sgpr_flat_scratch_init 0
		.amdhsa_user_sgpr_kernarg_preload_length 0
		.amdhsa_user_sgpr_kernarg_preload_offset 0
		.amdhsa_user_sgpr_private_segment_size 0
		.amdhsa_uses_dynamic_stack 0
		.amdhsa_system_sgpr_private_segment_wavefront_offset 0
		.amdhsa_system_sgpr_workgroup_id_x 1
		.amdhsa_system_sgpr_workgroup_id_y 1
		.amdhsa_system_sgpr_workgroup_id_z 1
		.amdhsa_system_sgpr_workgroup_info 0
		.amdhsa_system_vgpr_workitem_id 0
		.amdhsa_next_free_vgpr 111
		.amdhsa_next_free_sgpr 44
		.amdhsa_accum_offset 112
		.amdhsa_reserve_vcc 1
		.amdhsa_reserve_flat_scratch 0
		.amdhsa_float_round_mode_32 0
		.amdhsa_float_round_mode_16_64 0
		.amdhsa_float_denorm_mode_32 3
		.amdhsa_float_denorm_mode_16_64 3
		.amdhsa_dx10_clamp 1
		.amdhsa_ieee_mode 1
		.amdhsa_fp16_overflow 0
		.amdhsa_tg_split 0
		.amdhsa_exception_fp_ieee_invalid_op 0
		.amdhsa_exception_fp_denorm_src 0
		.amdhsa_exception_fp_ieee_div_zero 0
		.amdhsa_exception_fp_ieee_overflow 0
		.amdhsa_exception_fp_ieee_underflow 0
		.amdhsa_exception_fp_ieee_inexact 0
		.amdhsa_exception_int_div_zero 0
	.end_amdhsa_kernel
	.section	.text._ZN4vllm25paged_attention_v2_kernelIffLi256ELi8ELi128ELNS_18Fp8KVCacheDataTypeE0ELb0ELi512EEEvPfS2_PT_PKS3_PKT0_S9_ifPKiSB_iPKfiiiSD_SD_iiiii,"axG",@progbits,_ZN4vllm25paged_attention_v2_kernelIffLi256ELi8ELi128ELNS_18Fp8KVCacheDataTypeE0ELb0ELi512EEEvPfS2_PT_PKS3_PKT0_S9_ifPKiSB_iPKfiiiSD_SD_iiiii,comdat
.Lfunc_end26:
	.size	_ZN4vllm25paged_attention_v2_kernelIffLi256ELi8ELi128ELNS_18Fp8KVCacheDataTypeE0ELb0ELi512EEEvPfS2_PT_PKS3_PKT0_S9_ifPKiSB_iPKfiiiSD_SD_iiiii, .Lfunc_end26-_ZN4vllm25paged_attention_v2_kernelIffLi256ELi8ELi128ELNS_18Fp8KVCacheDataTypeE0ELb0ELi512EEEvPfS2_PT_PKS3_PKT0_S9_ifPKiSB_iPKfiiiSD_SD_iiiii
                                        ; -- End function
	.section	.AMDGPU.csdata,"",@progbits
; Kernel info:
; codeLenInByte = 5880
; NumSgprs: 48
; NumVgprs: 111
; NumAgprs: 0
; TotalNumVgprs: 111
; ScratchSize: 0
; MemoryBound: 0
; FloatMode: 240
; IeeeMode: 1
; LDSByteSize: 1040 bytes/workgroup (compile time only)
; SGPRBlocks: 5
; VGPRBlocks: 13
; NumSGPRsForWavesPerEU: 48
; NumVGPRsForWavesPerEU: 111
; AccumOffset: 112
; Occupancy: 4
; WaveLimiterHint : 1
; COMPUTE_PGM_RSRC2:SCRATCH_EN: 0
; COMPUTE_PGM_RSRC2:USER_SGPR: 6
; COMPUTE_PGM_RSRC2:TRAP_HANDLER: 0
; COMPUTE_PGM_RSRC2:TGID_X_EN: 1
; COMPUTE_PGM_RSRC2:TGID_Y_EN: 1
; COMPUTE_PGM_RSRC2:TGID_Z_EN: 1
; COMPUTE_PGM_RSRC2:TIDIG_COMP_CNT: 0
; COMPUTE_PGM_RSRC3_GFX90A:ACCUM_OFFSET: 27
; COMPUTE_PGM_RSRC3_GFX90A:TG_SPLIT: 0
	.section	.text._ZN4vllm25paged_attention_v2_kernelIffLi32ELi16ELi128ELNS_18Fp8KVCacheDataTypeE0ELb1ELi512EEEvPfS2_PT_PKS3_PKT0_S9_ifPKiSB_iPKfiiiSD_SD_iiiii,"axG",@progbits,_ZN4vllm25paged_attention_v2_kernelIffLi32ELi16ELi128ELNS_18Fp8KVCacheDataTypeE0ELb1ELi512EEEvPfS2_PT_PKS3_PKT0_S9_ifPKiSB_iPKfiiiSD_SD_iiiii,comdat
	.protected	_ZN4vllm25paged_attention_v2_kernelIffLi32ELi16ELi128ELNS_18Fp8KVCacheDataTypeE0ELb1ELi512EEEvPfS2_PT_PKS3_PKT0_S9_ifPKiSB_iPKfiiiSD_SD_iiiii ; -- Begin function _ZN4vllm25paged_attention_v2_kernelIffLi32ELi16ELi128ELNS_18Fp8KVCacheDataTypeE0ELb1ELi512EEEvPfS2_PT_PKS3_PKT0_S9_ifPKiSB_iPKfiiiSD_SD_iiiii
	.globl	_ZN4vllm25paged_attention_v2_kernelIffLi32ELi16ELi128ELNS_18Fp8KVCacheDataTypeE0ELb1ELi512EEEvPfS2_PT_PKS3_PKT0_S9_ifPKiSB_iPKfiiiSD_SD_iiiii
	.p2align	8
	.type	_ZN4vllm25paged_attention_v2_kernelIffLi32ELi16ELi128ELNS_18Fp8KVCacheDataTypeE0ELb1ELi512EEEvPfS2_PT_PKS3_PKT0_S9_ifPKiSB_iPKfiiiSD_SD_iiiii,@function
_ZN4vllm25paged_attention_v2_kernelIffLi32ELi16ELi128ELNS_18Fp8KVCacheDataTypeE0ELb1ELi512EEEvPfS2_PT_PKS3_PKT0_S9_ifPKiSB_iPKfiiiSD_SD_iiiii: ; @_ZN4vllm25paged_attention_v2_kernelIffLi32ELi16ELi128ELNS_18Fp8KVCacheDataTypeE0ELb1ELi512EEEvPfS2_PT_PKS3_PKT0_S9_ifPKiSB_iPKfiiiSD_SD_iiiii
; %bb.0:
	s_load_dwordx2 s[0:1], s[4:5], 0x40
	s_mov_b32 s28, s7
	s_ashr_i32 s29, s7, 31
	s_lshl_b64 s[2:3], s[28:29], 2
	s_waitcnt lgkmcnt(0)
	s_add_u32 s0, s0, s2
	s_addc_u32 s1, s1, s3
	s_load_dword s29, s[0:1], 0x0
	s_lshl_b32 s49, s8, 9
	s_waitcnt lgkmcnt(0)
	s_cmp_ge_i32 s49, s29
	s_cbranch_scc1 .LBB27_67
; %bb.1:
	s_load_dword s9, s[4:5], 0x90
	s_load_dwordx2 s[38:39], s[4:5], 0x30
	s_mov_b32 s50, 0
	s_waitcnt lgkmcnt(0)
	s_abs_i32 s2, s9
	s_abs_i32 s0, s38
	v_cvt_f32_u32_e32 v1, s0
	s_sub_i32 s3, 0, s0
	s_xor_b32 s1, s9, s38
	s_ashr_i32 s1, s1, 31
	v_rcp_iflag_f32_e32 v1, v1
	v_mul_f32_e32 v1, 0x4f7ffffe, v1
	v_cvt_u32_f32_e32 v1, v1
	v_readfirstlane_b32 s7, v1
	s_mul_i32 s3, s3, s7
	s_mul_hi_u32 s3, s7, s3
	s_add_i32 s7, s7, s3
	s_mul_hi_u32 s3, s2, s7
	s_mul_i32 s7, s3, s0
	s_sub_i32 s2, s2, s7
	s_add_i32 s10, s3, 1
	s_sub_i32 s7, s2, s0
	s_cmp_ge_u32 s2, s0
	s_cselect_b32 s3, s10, s3
	s_cselect_b32 s2, s7, s2
	s_add_i32 s7, s3, 1
	s_cmp_ge_u32 s2, s0
	s_cselect_b32 s0, s7, s3
	s_xor_b32 s0, s0, s1
	s_sub_i32 s11, s0, s1
	s_abs_i32 s2, s11
	v_cvt_f32_u32_e32 v1, s2
	s_load_dwordx2 s[0:1], s[4:5], 0x50
	s_sub_i32 s7, 0, s2
	s_abs_i32 s3, s6
	v_rcp_iflag_f32_e32 v1, v1
	v_mul_f32_e32 v1, 0x4f7ffffe, v1
	v_cvt_u32_f32_e32 v1, v1
	v_readfirstlane_b32 s10, v1
	s_mul_i32 s7, s7, s10
	s_mul_hi_u32 s7, s10, s7
	s_add_i32 s10, s10, s7
	s_waitcnt lgkmcnt(0)
	s_cmp_eq_u64 s[0:1], 0
	s_mul_hi_u32 s10, s3, s10
	s_cbranch_scc1 .LBB27_3
; %bb.2:
	s_ashr_i32 s7, s6, 31
	s_lshl_b64 s[12:13], s[6:7], 2
	s_add_u32 s0, s0, s12
	s_addc_u32 s1, s1, s13
	s_load_dword s50, s[0:1], 0x0
.LBB27_3:
	s_load_dwordx4 s[12:15], s[4:5], 0x58
	v_lshrrev_b32_e32 v20, 2, v0
	s_ashr_i32 s7, s6, 31
	s_ashr_i32 s11, s11, 31
	v_and_b32_e32 v21, 3, v0
	s_lshl_b32 s24, s6, 5
	v_cmp_gt_u32_e32 vcc, 32, v0
	v_lshlrev_b32_e32 v4, 2, v0
	v_lshlrev_b32_e32 v1, 2, v20
	s_and_saveexec_b64 s[0:1], vcc
	s_cbranch_execz .LBB27_5
; %bb.4:
	s_load_dwordx2 s[16:17], s[4:5], 0x18
	s_waitcnt lgkmcnt(0)
	s_mul_i32 s18, s28, s12
	s_ashr_i32 s19, s18, 31
	s_lshl_b64 s[18:19], s[18:19], 2
	v_lshl_add_u32 v3, v21, 5, v1
	s_add_u32 s12, s16, s18
	s_addc_u32 s15, s17, s19
	s_ashr_i32 s25, s24, 31
	s_lshl_b64 s[16:17], s[24:25], 2
	s_add_u32 s16, s12, s16
	s_addc_u32 s17, s15, s17
	global_load_dword v2, v4, s[16:17]
	s_waitcnt vmcnt(0)
	ds_write_b32 v3, v2
.LBB27_5:
	s_or_b64 exec, exec, s[0:1]
	s_mul_i32 s1, s10, s2
	s_sub_i32 s1, s3, s1
	s_xor_b32 s0, s7, s11
	s_add_i32 s3, s10, 1
	s_sub_i32 s7, s1, s2
	s_load_dwordx4 s[16:19], s[4:5], 0x78
	s_cmp_ge_u32 s1, s2
	s_cselect_b32 s3, s3, s10
	s_load_dword s10, s[4:5], 0x88
	s_cselect_b32 s1, s7, s1
	s_add_i32 s7, s3, 1
	s_cmp_ge_u32 s1, s2
	s_cselect_b32 s1, s7, s3
	s_waitcnt lgkmcnt(0)
	s_abs_i32 s25, s19
	v_cvt_f32_u32_e32 v2, s25
	s_xor_b32 s1, s1, s0
	s_sub_i32 s2, s1, s0
	s_sub_i32 s0, 0, s25
	v_rcp_iflag_f32_e32 v2, v2
	s_add_i32 s11, s29, -1
	s_abs_i32 s3, s11
	v_mul_f32_e32 v2, 0x4f7ffffe, v2
	v_cvt_u32_f32_e32 v2, v2
	s_barrier
	v_readfirstlane_b32 s33, v2
	s_mul_i32 s0, s0, s33
	s_mul_hi_u32 s0, s33, s0
	s_add_i32 s33, s33, s0
	s_cmp_lt_i32 s10, 0
	s_mul_hi_u32 s7, s3, s33
	s_cbranch_scc0 .LBB27_7
; %bb.6:
	s_mul_i32 s0, s16, s38
	s_add_i32 s0, s2, s0
	s_mul_i32 s0, s0, s10
	s_sub_i32 s46, 1, s0
	s_mov_b64 s[0:1], 0
	s_branch .LBB27_8
.LBB27_7:
	s_mov_b64 s[0:1], -1
                                        ; implicit-def: $sgpr46
.LBB27_8:
	s_load_dwordx2 s[30:31], s[4:5], 0x38
	s_ashr_i32 s11, s11, 31
	s_andn2_b64 vcc, exec, s[0:1]
	s_ashr_i32 s19, s19, 31
	s_cbranch_vccnz .LBB27_10
; %bb.9:
	s_mul_i32 s0, s9, s16
	s_add_i32 s0, s0, s6
	s_mul_i32 s0, s0, s10
	s_add_i32 s46, s0, 1
.LBB27_10:
	s_load_dword s0, s[4:5], 0x48
	s_load_dwordx2 s[36:37], s[4:5], 0x28
	s_load_dword s16, s[4:5], 0x98
	s_load_dwordx4 s[20:23], s[4:5], 0x0
	s_load_dwordx2 s[26:27], s[4:5], 0x10
	s_mul_i32 s1, s7, s25
	s_waitcnt lgkmcnt(0)
	s_mul_i32 s34, s28, s0
	s_sub_i32 s1, s3, s1
	s_ashr_i32 s35, s34, 31
	s_xor_b32 s0, s11, s19
	s_add_i32 s3, s7, 1
	s_sub_i32 s10, s1, s25
	s_cmp_ge_u32 s1, s25
	s_cselect_b32 s3, s3, s7
	s_cselect_b32 s1, s10, s1
	s_add_i32 s7, s3, 1
	s_cmp_ge_u32 s1, s25
	s_cselect_b32 s1, s7, s3
	s_xor_b32 s1, s1, s0
	s_sub_i32 s48, s1, s0
	s_add_i32 s0, s29, 15
	s_ashr_i32 s1, s0, 31
	s_lshr_b32 s1, s1, 28
	s_add_i32 s0, s0, s1
	s_lshl_b32 s12, s8, 5
	s_ashr_i32 s7, s0, 4
	s_add_i32 s0, s12, 32
	v_lshrrev_b32_e32 v5, 6, v0
	s_min_i32 s47, s0, s7
	v_or_b32_e32 v14, s12, v5
	v_cmp_gt_i32_e64 s[0:1], s47, v14
	v_mov_b32_e32 v11, 0xff7fffff
	s_mul_i32 s14, s2, s14
	v_ashrrev_i32_e32 v15, 31, v14
	v_lshl_add_u32 v22, v5, 4, s49
	v_mbcnt_lo_u32_b32 v6, -1, 0
	s_and_saveexec_b64 s[40:41], s[0:1]
	s_cbranch_execz .LBB27_20
; %bb.11:
	s_load_dwordx2 s[2:3], s[4:5], 0x20
	s_ashr_i32 s15, s14, 31
	s_sub_i32 s38, s48, s17
	s_lshl_b64 s[4:5], s[14:15], 2
	v_bfe_u32 v7, v0, 2, 4
	s_waitcnt lgkmcnt(0)
	s_add_u32 s2, s2, s4
	s_addc_u32 s3, s3, s5
	s_abs_i32 s15, s18
	v_cvt_f32_u32_e32 v8, s15
	v_lshlrev_b32_e32 v2, 4, v7
	v_mov_b32_e32 v3, s3
	v_add_co_u32_e64 v2, s[2:3], s2, v2
	v_rcp_iflag_f32_e32 v10, v8
	v_addc_co_u32_e64 v3, s[2:3], 0, v3, s[2:3]
	v_lshlrev_b32_e32 v9, 2, v21
	v_add_co_u32_e64 v8, s[2:3], v2, v9
	v_mul_f32_e32 v2, 0x4f7ffffe, v10
	v_cvt_u32_f32_e32 v2, v2
	s_sub_i32 s4, 0, s15
	v_lshlrev_b32_e32 v11, 2, v7
	v_addc_co_u32_e64 v9, s[2:3], 0, v3, s[2:3]
	v_mul_lo_u32 v3, s4, v2
	s_lshl_b64 s[4:5], s[34:35], 2
	v_mul_hi_u32 v3, v2, v3
	s_add_u32 s4, s30, s4
	v_lshl_or_b32 v11, v5, 6, v11
	v_add_u32_e32 v12, v2, v3
	v_lshlrev_b64 v[2:3], 2, v[14:15]
	s_addc_u32 s5, s31, s5
	v_add_u32_e32 v16, 0x90, v11
	v_subrev_u32_e32 v11, s29, v7
	v_mbcnt_hi_u32_b32 v19, -1, v6
	v_mov_b32_e32 v13, s5
	v_add_co_u32_e64 v2, s[4:5], s4, v2
	v_add_u32_e32 v17, 1, v11
	v_and_b32_e32 v11, 64, v19
	v_cmp_eq_u32_e32 vcc, 0, v21
	s_mov_b32 s51, s13
	v_lshlrev_b32_e32 v10, 5, v21
	v_cmp_neq_f32_e64 s[2:3], s50, 0
	v_addc_co_u32_e64 v3, s[4:5], v13, v3, s[4:5]
	v_lshl_add_u32 v13, v5, 4, s49
	s_mov_b64 s[42:43], 0
	v_mov_b32_e32 v18, 0xff7fffff
	v_add_u32_e32 v23, 64, v11
	v_xor_b32_e32 v24, 2, v19
	v_xor_b32_e32 v25, 1, v19
	v_mov_b32_e32 v11, 0xff7fffff
	v_mov_b32_e32 v26, v14
	s_branch .LBB27_14
.LBB27_12:                              ;   in Loop: Header=BB27_14 Depth=1
	s_or_b64 exec, exec, s[44:45]
.LBB27_13:                              ;   in Loop: Header=BB27_14 Depth=1
	s_or_b64 exec, exec, s[10:11]
	v_add_co_u32_e64 v2, s[4:5], 8, v2
	v_add_u32_e32 v26, 2, v26
	v_addc_co_u32_e64 v3, s[4:5], 0, v3, s[4:5]
	v_cmp_le_i32_e64 s[4:5], s47, v26
	v_add_u32_e32 v13, 32, v13
	s_or_b64 s[42:43], s[4:5], s[42:43]
	v_add_u32_e32 v16, 0x80, v16
	s_andn2_b64 exec, exec, s[42:43]
	s_cbranch_execz .LBB27_19
.LBB27_14:                              ; =>This Inner Loop Header: Depth=1
	s_waitcnt lgkmcnt(0)
	v_sub_u32_e32 v28, 0, v13
	v_max_i32_e32 v28, v13, v28
	v_mul_hi_u32 v29, v28, s33
	v_mul_lo_u32 v30, v29, s25
	v_sub_u32_e32 v28, v28, v30
	v_add_u32_e32 v30, 1, v29
	v_cmp_le_u32_e64 s[4:5], s25, v28
	v_cndmask_b32_e64 v29, v29, v30, s[4:5]
	v_subrev_u32_e32 v30, s25, v28
	v_cndmask_b32_e64 v28, v28, v30, s[4:5]
	v_ashrrev_i32_e32 v27, 31, v13
	v_add_u32_e32 v30, 1, v29
	v_cmp_le_u32_e64 s[4:5], s25, v28
	v_xor_b32_e32 v27, s19, v27
	v_cndmask_b32_e64 v28, v29, v30, s[4:5]
	v_xor_b32_e32 v28, v28, v27
	v_sub_u32_e32 v27, v28, v27
	v_add_u32_e32 v28, s46, v27
	v_sub_u32_e32 v30, 0, v28
	v_ashrrev_i32_e32 v29, 31, v28
	v_max_i32_e32 v28, v28, v30
	v_mul_hi_u32 v30, v28, v12
	v_mul_lo_u32 v30, v30, s15
	v_sub_u32_e32 v28, v28, v30
	v_subrev_u32_e32 v30, s15, v28
	v_cmp_le_u32_e64 s[4:5], s15, v28
	v_cndmask_b32_e64 v28, v28, v30, s[4:5]
	v_subrev_u32_e32 v30, s15, v28
	v_cmp_le_u32_e64 s[4:5], s15, v28
	v_cndmask_b32_e64 v28, v28, v30, s[4:5]
	v_xor_b32_e32 v28, v28, v29
	v_sub_u32_e32 v28, v28, v29
	v_cmp_ne_u32_e64 s[4:5], 0, v28
	v_cmp_ge_i32_e64 s[10:11], s38, v27
	s_and_b64 s[4:5], s[4:5], s[10:11]
	s_and_b64 s[44:45], vcc, s[4:5]
	s_and_saveexec_b64 s[10:11], s[44:45]
	s_cbranch_execz .LBB27_16
; %bb.15:                               ;   in Loop: Header=BB27_14 Depth=1
	ds_write_b32 v16, v18
.LBB27_16:                              ;   in Loop: Header=BB27_14 Depth=1
	s_or_b64 exec, exec, s[10:11]
	s_xor_b64 s[4:5], s[4:5], -1
	s_and_saveexec_b64 s[10:11], s[4:5]
	s_cbranch_execz .LBB27_13
; %bb.17:                               ;   in Loop: Header=BB27_14 Depth=1
	global_load_dword v27, v[2:3], off
	s_waitcnt vmcnt(0)
	v_mad_i64_i32 v[28:29], s[4:5], v27, s51, 0
	v_lshlrev_b64 v[28:29], 2, v[28:29]
	v_add_co_u32_e64 v28, s[4:5], v8, v28
	v_addc_co_u32_e64 v29, s[4:5], v9, v29, s[4:5]
	global_load_dword v27, v[28:29], off offset:256
	global_load_dword v36, v[28:29], off
	global_load_dword v37, v[28:29], off offset:512
	global_load_dword v38, v[28:29], off offset:768
	;; [unrolled: 1-line block ×6, first 2 shown]
	ds_read_b128 v[28:31], v10
	ds_read_b128 v[32:35], v10 offset:16
	v_cmp_lt_i32_e64 s[4:5], v24, v23
	v_cndmask_b32_e64 v43, v19, v24, s[4:5]
	v_lshlrev_b32_e32 v43, 2, v43
	v_cmp_lt_i32_e64 s[4:5], v25, v23
	s_waitcnt vmcnt(7) lgkmcnt(1)
	v_mul_f32_e32 v27, v29, v27
	s_waitcnt vmcnt(6)
	v_fmac_f32_e32 v27, v28, v36
	s_waitcnt vmcnt(5)
	v_fmac_f32_e32 v27, v30, v37
	;; [unrolled: 2-line block ×3, first 2 shown]
	s_waitcnt vmcnt(3) lgkmcnt(0)
	v_fmac_f32_e32 v27, v32, v39
	s_waitcnt vmcnt(2)
	v_fmac_f32_e32 v27, v33, v40
	s_waitcnt vmcnt(1)
	;; [unrolled: 2-line block ×3, first 2 shown]
	v_fmac_f32_e32 v27, v35, v42
	ds_bpermute_b32 v28, v43, v27
	v_cndmask_b32_e64 v29, v19, v25, s[4:5]
	v_lshlrev_b32_e32 v29, 2, v29
	s_waitcnt lgkmcnt(0)
	v_add_f32_e32 v27, v27, v28
	ds_bpermute_b32 v28, v29, v27
	s_and_saveexec_b64 s[44:45], vcc
	s_cbranch_execz .LBB27_12
; %bb.18:                               ;   in Loop: Header=BB27_14 Depth=1
	v_add_u32_e32 v29, v17, v13
	v_cvt_f32_i32_e32 v29, v29
	s_waitcnt lgkmcnt(0)
	v_add_f32_e32 v27, v27, v28
	v_add_u32_e32 v30, v7, v13
	v_cmp_gt_i32_e64 s[4:5], s29, v30
	v_mul_f32_e32 v28, s50, v29
	v_cndmask_b32_e64 v28, 0, v28, s[2:3]
	v_fmac_f32_e32 v28, s39, v27
	v_cndmask_b32_e64 v27, 0, v28, s[4:5]
	ds_write_b32 v16, v27
	v_max_f32_e32 v27, v11, v11
	v_max_f32_e32 v27, v27, v28
	v_cndmask_b32_e64 v11, v11, v27, s[4:5]
	s_branch .LBB27_12
.LBB27_19:
	s_or_b64 exec, exec, s[42:43]
.LBB27_20:
	s_or_b64 exec, exec, s[40:41]
	v_mbcnt_hi_u32_b32 v2, -1, v6
	v_and_b32_e32 v3, 64, v2
	v_add_u32_e32 v3, 64, v3
	v_xor_b32_e32 v6, 32, v2
	v_cmp_lt_i32_e32 vcc, v6, v3
	v_cndmask_b32_e32 v6, v2, v6, vcc
	v_lshlrev_b32_e32 v7, 2, v6
	ds_bpermute_b32 v6, v7, v11
	v_xor_b32_e32 v9, 16, v2
	v_max_f32_e32 v8, v11, v11
	v_cmp_lt_i32_e32 vcc, v9, v3
	v_xor_b32_e32 v10, 8, v2
	s_waitcnt lgkmcnt(0)
	v_max_f32_e32 v6, v6, v6
	v_max_f32_e32 v6, v8, v6
	v_cndmask_b32_e32 v8, v2, v9, vcc
	v_lshlrev_b32_e32 v8, 2, v8
	ds_bpermute_b32 v9, v8, v6
	v_cmp_lt_i32_e32 vcc, v10, v3
	v_and_b32_e32 v23, 63, v0
	s_waitcnt lgkmcnt(0)
	v_max_f32_e32 v9, v9, v9
	v_max_f32_e32 v6, v6, v9
	v_cndmask_b32_e32 v9, v2, v10, vcc
	v_lshlrev_b32_e32 v11, 2, v9
	ds_bpermute_b32 v9, v11, v6
	v_xor_b32_e32 v10, 4, v2
	v_cmp_lt_i32_e32 vcc, v10, v3
	s_waitcnt lgkmcnt(0)
	v_max_f32_e32 v9, v9, v9
	v_max_f32_e32 v6, v6, v9
	v_cndmask_b32_e32 v9, v2, v10, vcc
	v_lshlrev_b32_e32 v12, 2, v9
	ds_bpermute_b32 v10, v12, v6
	v_cmp_eq_u32_e32 vcc, 0, v23
	v_lshlrev_b32_e32 v9, 2, v5
	s_and_saveexec_b64 s[2:3], vcc
	s_cbranch_execz .LBB27_22
; %bb.21:
	s_waitcnt lgkmcnt(0)
	v_max_f32_e32 v10, v10, v10
	v_max_f32_e32 v6, v6, v6
	;; [unrolled: 1-line block ×3, first 2 shown]
	ds_write_b32 v9, v6 offset:128
.LBB27_22:
	s_or_b64 exec, exec, s[2:3]
	v_cmp_gt_u32_e64 s[2:3], 2, v23
	v_mov_b32_e32 v6, 0xff7fffff
	s_waitcnt lgkmcnt(0)
	v_lshlrev_b32_e32 v10, 2, v23
	s_barrier
	s_and_saveexec_b64 s[4:5], s[2:3]
	s_cbranch_execz .LBB27_24
; %bb.23:
	ds_read_b32 v6, v10 offset:128
.LBB27_24:
	s_or_b64 exec, exec, s[4:5]
	v_xor_b32_e32 v13, 1, v2
	v_cmp_lt_i32_e64 s[4:5], v13, v3
	v_cndmask_b32_e64 v13, v2, v13, s[4:5]
	v_lshlrev_b32_e32 v24, 2, v13
	s_waitcnt lgkmcnt(0)
	ds_bpermute_b32 v13, v24, v6
	v_max_f32_e32 v6, v6, v6
	s_sub_i32 s4, s47, s12
	s_lshl_b32 s4, s4, 4
	s_add_i32 s4, s4, s49
	s_waitcnt lgkmcnt(0)
	v_max_f32_e32 v13, v13, v13
	v_max_f32_e32 v6, v6, v13
	v_lshlrev_b32_e32 v13, 2, v2
	v_and_b32_e32 v13, 0x100, v13
	ds_bpermute_b32 v6, v13, v6
	s_min_i32 s42, s4, s29
	s_sub_i32 s15, s42, s49
	v_cmp_gt_i32_e64 s[4:5], s15, v0
	v_mov_b32_e32 v16, 0
	s_and_saveexec_b64 s[38:39], s[4:5]
	s_cbranch_execz .LBB27_28
; %bb.25:
	v_mov_b32_e32 v16, 0x90
	v_lshl_add_u32 v17, v0, 2, v16
	s_mov_b64 s[40:41], 0
	v_mov_b32_e32 v16, 0
	v_mov_b32_e32 v18, v0
.LBB27_26:                              ; =>This Inner Loop Header: Depth=1
	ds_read_b32 v19, v17
	v_add_u32_e32 v18, 0x80, v18
	v_cmp_le_i32_e64 s[10:11], s15, v18
	s_or_b64 s[40:41], s[10:11], s[40:41]
	s_waitcnt lgkmcnt(0)
	v_sub_f32_e32 v19, v19, v6
	v_mul_f32_e32 v19, 0x3fb8aa3b, v19
	v_exp_f32_e32 v19, v19
	ds_write_b32 v17, v19
	v_add_f32_e32 v16, v16, v19
	v_add_u32_e32 v17, 0x200, v17
	s_andn2_b64 exec, exec, s[40:41]
	s_cbranch_execnz .LBB27_26
; %bb.27:
	s_or_b64 exec, exec, s[40:41]
.LBB27_28:
	s_or_b64 exec, exec, s[38:39]
	ds_bpermute_b32 v7, v7, v16
	s_waitcnt lgkmcnt(0)
	v_add_f32_e32 v7, v16, v7
	ds_bpermute_b32 v8, v8, v7
	s_waitcnt lgkmcnt(0)
	v_add_f32_e32 v7, v7, v8
	ds_bpermute_b32 v8, v11, v7
	v_xor_b32_e32 v11, 2, v2
	v_cmp_lt_i32_e64 s[10:11], v11, v3
	v_cndmask_b32_e64 v2, v2, v11, s[10:11]
	v_lshlrev_b32_e32 v25, 2, v2
	s_waitcnt lgkmcnt(0)
	v_add_f32_e32 v7, v7, v8
	ds_bpermute_b32 v8, v12, v7
	s_waitcnt lgkmcnt(0)
	v_add_f32_e32 v3, v7, v8
	ds_bpermute_b32 v2, v25, v3
	;; [unrolled: 3-line block ×3, first 2 shown]
	s_waitcnt lgkmcnt(0)
	v_add_f32_e32 v2, v2, v3
	s_and_saveexec_b64 s[10:11], vcc
	s_cbranch_execz .LBB27_30
; %bb.29:
	ds_write_b32 v9, v2 offset:136
.LBB27_30:
	s_or_b64 exec, exec, s[10:11]
	s_waitcnt lgkmcnt(0)
	s_barrier
	s_and_saveexec_b64 s[10:11], s[2:3]
	s_cbranch_execz .LBB27_32
; %bb.31:
	ds_read_b32 v2, v10 offset:136
.LBB27_32:
	s_or_b64 exec, exec, s[10:11]
	s_waitcnt lgkmcnt(0)
	ds_bpermute_b32 v3, v24, v2
	s_waitcnt lgkmcnt(0)
	v_add_f32_e32 v2, v2, v3
	ds_bpermute_b32 v7, v13, v2
	s_and_saveexec_b64 s[2:3], s[4:5]
	s_cbranch_execz .LBB27_45
; %bb.33:
	s_waitcnt lgkmcnt(0)
	v_add_f32_e32 v2, 0x358637bd, v7
	v_div_scale_f32 v3, s[4:5], v2, v2, 1.0
	v_rcp_f32_e32 v8, v3
	v_div_scale_f32 v9, vcc, 1.0, v2, 1.0
	s_movk_i32 s4, 0x7f
	v_fma_f32 v10, -v3, v8, 1.0
	v_fmac_f32_e32 v8, v10, v8
	v_mul_f32_e32 v10, v9, v8
	v_fma_f32 v11, -v3, v10, v9
	v_fmac_f32_e32 v10, v11, v8
	v_fma_f32 v3, -v3, v10, v9
	v_div_fmas_f32 v3, v3, v8, v10
	v_div_fixup_f32 v2, v3, v2, 1.0
	v_xad_u32 v3, v0, -1, s42
	v_subrev_u32_e32 v8, s49, v3
	v_cmp_lt_u32_e32 vcc, s4, v8
	s_mov_b64 s[10:11], -1
	v_mov_b32_e32 v3, v0
	s_and_saveexec_b64 s[4:5], vcc
	s_cbranch_execz .LBB27_42
; %bb.34:
	v_lshrrev_b32_e32 v8, 7, v8
	v_add_u32_e32 v10, -1, v8
	v_lshrrev_b32_e32 v9, 1, v10
	v_mov_b32_e32 v3, v2
	v_add_u32_e32 v9, 1, v9
	v_cmp_lt_u32_e32 vcc, 13, v10
	v_mov_b32_e32 v12, 0
	s_and_saveexec_b64 s[10:11], vcc
	s_cbranch_execz .LBB27_38
; %bb.35:
	v_mov_b32_e32 v11, 0x90
	v_and_b32_e32 v10, -8, v9
	v_lshl_add_u32 v11, v0, 2, v11
	s_mov_b32 s40, 0
	s_mov_b64 s[38:39], 0
.LBB27_36:                              ; =>This Inner Loop Header: Depth=1
	ds_read2st64_b32 v[12:13], v11 offset1:2
	ds_read2st64_b32 v[16:17], v11 offset0:4 offset1:6
	ds_read2st64_b32 v[18:19], v11 offset0:8 offset1:10
	;; [unrolled: 1-line block ×3, first 2 shown]
	v_add_u32_e32 v10, -8, v10
	s_waitcnt lgkmcnt(3)
	v_pk_mul_f32 v[12:13], v[2:3], v[12:13]
	s_waitcnt lgkmcnt(2)
	v_pk_mul_f32 v[16:17], v[2:3], v[16:17]
	ds_write2st64_b32 v11, v12, v13 offset1:2
	ds_write2st64_b32 v11, v16, v17 offset0:4 offset1:6
	ds_read2st64_b32 v[16:17], v11 offset0:16 offset1:18
	s_waitcnt lgkmcnt(4)
	v_pk_mul_f32 v[12:13], v[2:3], v[18:19]
	ds_write2st64_b32 v11, v12, v13 offset0:8 offset1:10
	s_waitcnt lgkmcnt(4)
	v_pk_mul_f32 v[12:13], v[2:3], v[26:27]
	ds_write2st64_b32 v11, v12, v13 offset0:12 offset1:14
	ds_read2st64_b32 v[12:13], v11 offset0:20 offset1:22
	s_waitcnt lgkmcnt(3)
	v_pk_mul_f32 v[16:17], v[2:3], v[16:17]
	ds_read2st64_b32 v[18:19], v11 offset0:24 offset1:26
	ds_write2st64_b32 v11, v16, v17 offset0:16 offset1:18
	ds_read2st64_b32 v[16:17], v11 offset0:28 offset1:30
	s_waitcnt lgkmcnt(3)
	v_pk_mul_f32 v[12:13], v[2:3], v[12:13]
	ds_write2st64_b32 v11, v12, v13 offset0:20 offset1:22
	s_waitcnt lgkmcnt(3)
	v_pk_mul_f32 v[12:13], v[2:3], v[18:19]
	ds_write2st64_b32 v11, v12, v13 offset0:24 offset1:26
	s_waitcnt lgkmcnt(2)
	v_pk_mul_f32 v[12:13], v[2:3], v[16:17]
	s_add_i32 s40, s40, 16
	v_cmp_eq_u32_e32 vcc, 0, v10
	ds_write2st64_b32 v11, v12, v13 offset0:28 offset1:30
	v_add_u32_e32 v11, 0x2000, v11
	s_or_b64 s[38:39], vcc, s[38:39]
	v_mov_b32_e32 v12, s40
	s_andn2_b64 exec, exec, s[38:39]
	s_cbranch_execnz .LBB27_36
; %bb.37:
	s_or_b64 exec, exec, s[38:39]
.LBB27_38:
	s_or_b64 exec, exec, s[10:11]
	v_and_b32_e32 v9, 7, v9
	v_cmp_ne_u32_e32 vcc, 0, v9
	s_and_saveexec_b64 s[10:11], vcc
	s_cbranch_execz .LBB27_41
; %bb.39:
	v_lshlrev_b32_e32 v10, 9, v12
	s_movk_i32 s38, 0x90
	v_add3_u32 v10, v10, v4, s38
	s_mov_b64 s[38:39], 0
.LBB27_40:                              ; =>This Inner Loop Header: Depth=1
	ds_read2st64_b32 v[12:13], v10 offset1:2
	v_add_u32_e32 v9, -1, v9
	v_cmp_eq_u32_e32 vcc, 0, v9
	s_or_b64 s[38:39], vcc, s[38:39]
	s_waitcnt lgkmcnt(0)
	v_pk_mul_f32 v[12:13], v[2:3], v[12:13]
	ds_write2st64_b32 v10, v12, v13 offset1:2
	v_add_u32_e32 v10, 0x400, v10
	s_andn2_b64 exec, exec, s[38:39]
	s_cbranch_execnz .LBB27_40
.LBB27_41:
	s_or_b64 exec, exec, s[10:11]
	v_add_u32_e32 v8, 1, v8
	v_and_b32_e32 v9, 0x3fffffe, v8
	v_cmp_ne_u32_e32 vcc, v8, v9
	v_lshl_add_u32 v3, v9, 7, v0
	s_orn2_b64 s[10:11], vcc, exec
.LBB27_42:
	s_or_b64 exec, exec, s[4:5]
	s_and_b64 exec, exec, s[10:11]
	s_cbranch_execz .LBB27_45
; %bb.43:
	v_mov_b32_e32 v8, 0x90
	v_lshl_add_u32 v8, v3, 2, v8
	s_mov_b64 s[4:5], 0
.LBB27_44:                              ; =>This Inner Loop Header: Depth=1
	ds_read_b32 v9, v8
	v_add_u32_e32 v3, 0x80, v3
	v_cmp_le_i32_e32 vcc, s15, v3
	s_or_b64 s[4:5], vcc, s[4:5]
	s_waitcnt lgkmcnt(0)
	v_mul_f32_e32 v9, v2, v9
	ds_write_b32 v8, v9
	v_add_u32_e32 v8, 0x200, v8
	s_andn2_b64 exec, exec, s[4:5]
	s_cbranch_execnz .LBB27_44
.LBB27_45:
	s_or_b64 exec, exec, s[2:3]
	s_mul_i32 s2, s16, s28
	v_cmp_eq_u32_e32 vcc, 0, v0
	s_mul_i32 s2, s2, s9
	s_waitcnt lgkmcnt(0)
	s_barrier
	s_and_saveexec_b64 s[4:5], vcc
	s_cbranch_execz .LBB27_47
; %bb.46:
	s_ashr_i32 s3, s2, 31
	s_lshl_b64 s[10:11], s[2:3], 2
	s_add_u32 s3, s22, s10
	s_mul_i32 s22, s16, s6
	s_addc_u32 s9, s23, s11
	s_ashr_i32 s23, s22, 31
	s_lshl_b64 s[22:23], s[22:23], 2
	s_add_u32 s3, s3, s22
	s_addc_u32 s6, s9, s23
	s_ashr_i32 s9, s8, 31
	s_lshl_b64 s[8:9], s[8:9], 2
	s_add_u32 s38, s3, s8
	s_addc_u32 s39, s6, s9
	s_add_u32 s3, s20, s10
	s_addc_u32 s6, s21, s11
	;; [unrolled: 2-line block ×3, first 2 shown]
	s_add_u32 s8, s3, s8
	v_mov_b32_e32 v2, 0
	s_addc_u32 s9, s6, s9
	global_store_dword v2, v6, s[38:39]
	global_store_dword v2, v7, s[8:9]
.LBB27_47:
	s_or_b64 exec, exec, s[4:5]
	v_mov_b32_e32 v17, 0
	v_mov_b32_e32 v16, 0
	s_and_saveexec_b64 s[4:5], s[0:1]
	s_cbranch_execz .LBB27_57
; %bb.48:
	s_ashr_i32 s15, s14, 31
	s_sub_i32 s3, s48, s17
	s_lshl_b64 s[0:1], s[14:15], 2
	s_add_u32 s0, s36, s0
	s_addc_u32 s1, s37, s1
	s_abs_i32 s14, s18
	v_cvt_f32_u32_e32 v2, s14
	v_lshlrev_b32_e32 v3, 4, v0
	s_sub_i32 s6, 0, s14
	v_and_b32_e32 v3, 0x3f0, v3
	v_rcp_iflag_f32_e32 v2, v2
	v_and_b32_e32 v26, 12, v4
	s_add_i32 s15, s7, -1
	v_mov_b32_e32 v4, s1
	v_mul_f32_e32 v2, 0x4f7ffffe, v2
	v_cvt_u32_f32_e32 v2, v2
	v_add_co_u32_e32 v28, vcc, s0, v3
	s_lshl_b64 s[0:1], s[34:35], 2
	v_mul_lo_u32 v6, s6, v2
	v_mul_hi_u32 v6, v2, v6
	v_add_u32_e32 v27, v2, v6
	v_addc_co_u32_e32 v29, vcc, 0, v4, vcc
	v_lshlrev_b64 v[2:3], 2, v[14:15]
	s_add_u32 s0, s30, s0
	s_addc_u32 s1, s31, s1
	v_add_co_u32_e32 v18, vcc, s0, v2
	v_lshlrev_b32_e32 v2, 4, v21
	v_mov_b32_e32 v4, s1
	v_lshl_or_b32 v2, v5, 6, v2
	v_mov_b32_e32 v17, 0
	v_addc_co_u32_e32 v19, vcc, v4, v3, vcc
	v_add_u32_e32 v15, 0x90, v2
	s_mov_b64 s[6:7], 0
	v_mov_b32_e32 v16, v17
	s_branch .LBB27_51
.LBB27_49:                              ;   in Loop: Header=BB27_51 Depth=1
	s_or_b64 exec, exec, s[0:1]
	s_waitcnt vmcnt(1) lgkmcnt(0)
	v_mul_f32_e32 v7, v3, v7
	s_waitcnt vmcnt(0)
	v_mul_f32_e32 v3, v3, v11
	v_fmac_f32_e32 v7, v2, v6
	v_fmac_f32_e32 v3, v2, v10
	;; [unrolled: 1-line block ×6, first 2 shown]
	v_add_f32_e32 v16, v16, v7
	v_add_f32_e32 v17, v17, v3
.LBB27_50:                              ;   in Loop: Header=BB27_51 Depth=1
	s_or_b64 exec, exec, s[8:9]
	v_add_co_u32_e32 v18, vcc, 8, v18
	v_add_u32_e32 v14, 2, v14
	v_addc_co_u32_e32 v19, vcc, 0, v19, vcc
	v_cmp_le_i32_e32 vcc, s47, v14
	v_add_u32_e32 v22, 32, v22
	s_or_b64 s[6:7], vcc, s[6:7]
	v_add_u32_e32 v15, 0x80, v15
	s_andn2_b64 exec, exec, s[6:7]
	s_cbranch_execz .LBB27_56
.LBB27_51:                              ; =>This Inner Loop Header: Depth=1
	v_sub_u32_e32 v3, 0, v22
	v_max_i32_e32 v3, v22, v3
	v_mul_hi_u32 v4, v3, s33
	v_mul_lo_u32 v5, v4, s25
	v_sub_u32_e32 v3, v3, v5
	v_add_u32_e32 v5, 1, v4
	v_cmp_le_u32_e32 vcc, s25, v3
	v_cndmask_b32_e32 v4, v4, v5, vcc
	v_subrev_u32_e32 v5, s25, v3
	v_cndmask_b32_e32 v3, v3, v5, vcc
	v_ashrrev_i32_e32 v2, 31, v22
	v_add_u32_e32 v5, 1, v4
	v_cmp_le_u32_e32 vcc, s25, v3
	v_xor_b32_e32 v2, s19, v2
	v_cndmask_b32_e32 v3, v4, v5, vcc
	v_xor_b32_e32 v3, v3, v2
	v_sub_u32_e32 v2, v3, v2
	v_add_u32_e32 v3, s46, v2
	v_sub_u32_e32 v5, 0, v3
	v_ashrrev_i32_e32 v4, 31, v3
	v_max_i32_e32 v3, v3, v5
	v_mul_hi_u32 v5, v3, v27
	v_mul_lo_u32 v5, v5, s14
	v_sub_u32_e32 v3, v3, v5
	v_subrev_u32_e32 v5, s14, v3
	v_cmp_le_u32_e32 vcc, s14, v3
	v_cndmask_b32_e32 v3, v3, v5, vcc
	v_subrev_u32_e32 v5, s14, v3
	v_cmp_le_u32_e32 vcc, s14, v3
	v_cndmask_b32_e32 v3, v3, v5, vcc
	v_xor_b32_e32 v3, v3, v4
	v_sub_u32_e32 v3, v3, v4
	v_cmp_eq_u32_e32 vcc, 0, v3
	v_cmp_lt_i32_e64 s[0:1], s3, v2
	s_or_b64 s[0:1], vcc, s[0:1]
	s_and_saveexec_b64 s[8:9], s[0:1]
	s_cbranch_execz .LBB27_50
; %bb.52:                               ;   in Loop: Header=BB27_51 Depth=1
	global_load_dword v2, v[18:19], off
	v_add_u32_e32 v30, v26, v22
	v_add_u32_e32 v33, 1, v30
	;; [unrolled: 1-line block ×4, first 2 shown]
	s_waitcnt vmcnt(0)
	v_mad_i64_i32 v[2:3], s[0:1], v2, s13, 0
	v_lshlrev_b64 v[2:3], 2, v[2:3]
	v_add_co_u32_e32 v10, vcc, v28, v2
	v_addc_co_u32_e32 v11, vcc, v29, v3, vcc
	global_load_dwordx4 v[6:9], v[10:11], off
	ds_read_b128 v[2:5], v15
	v_cmp_eq_u32_e32 vcc, s15, v14
	s_and_saveexec_b64 s[10:11], vcc
	s_cbranch_execz .LBB27_54
; %bb.53:                               ;   in Loop: Header=BB27_51 Depth=1
	v_cmp_gt_i32_e64 s[0:1], s29, v30
	s_waitcnt vmcnt(0)
	v_cndmask_b32_e64 v6, 0, v6, s[0:1]
	v_cmp_gt_i32_e64 s[0:1], s29, v33
	v_cndmask_b32_e64 v7, 0, v7, s[0:1]
	v_cmp_gt_i32_e64 s[0:1], s29, v32
	;; [unrolled: 2-line block ×3, first 2 shown]
	v_cndmask_b32_e64 v9, 0, v9, s[0:1]
.LBB27_54:                              ;   in Loop: Header=BB27_51 Depth=1
	s_or_b64 exec, exec, s[10:11]
	global_load_dwordx4 v[10:13], v[10:11], off offset:1024
	s_and_saveexec_b64 s[0:1], vcc
	s_cbranch_execz .LBB27_49
; %bb.55:                               ;   in Loop: Header=BB27_51 Depth=1
	v_cmp_gt_i32_e32 vcc, s29, v30
	s_waitcnt vmcnt(0)
	v_cndmask_b32_e32 v10, 0, v10, vcc
	v_cmp_gt_i32_e32 vcc, s29, v33
	v_cndmask_b32_e32 v11, 0, v11, vcc
	v_cmp_gt_i32_e32 vcc, s29, v32
	;; [unrolled: 2-line block ×3, first 2 shown]
	v_cndmask_b32_e32 v13, 0, v13, vcc
	s_branch .LBB27_49
.LBB27_56:
	s_or_b64 exec, exec, s[6:7]
.LBB27_57:
	s_or_b64 exec, exec, s[4:5]
	ds_bpermute_b32 v2, v25, v16
	ds_bpermute_b32 v3, v25, v17
	v_and_b32_e32 v4, 0x3c3, v0
	v_cmp_eq_u32_e32 vcc, 64, v4
	s_waitcnt lgkmcnt(0)
	s_barrier
	v_pk_add_f32 v[2:3], v[16:17], v[2:3]
	ds_bpermute_b32 v6, v24, v2
	ds_bpermute_b32 v7, v24, v3
	s_waitcnt lgkmcnt(0)
	v_pk_add_f32 v[2:3], v[2:3], v[6:7]
	s_and_saveexec_b64 s[0:1], vcc
	s_cbranch_execz .LBB27_59
; %bb.58:
	v_add_u32_e32 v6, 0x90, v23
	v_add_u32_e32 v5, 0x90, v0
	ds_write_b32 v6, v2
	ds_write_b32 v5, v3
.LBB27_59:
	s_or_b64 exec, exec, s[0:1]
	v_cmp_gt_u32_e32 vcc, 64, v0
	s_waitcnt lgkmcnt(0)
	s_barrier
	s_and_saveexec_b64 s[0:1], vcc
	s_cbranch_execz .LBB27_65
; %bb.60:
	v_cmp_eq_u32_e32 vcc, 0, v21
	s_and_saveexec_b64 s[4:5], vcc
	s_cbranch_execz .LBB27_62
; %bb.61:
	v_mov_b32_e32 v0, 0x90
	v_lshl_add_u32 v0, v20, 2, v0
	ds_read_b32 v0, v0
	s_waitcnt lgkmcnt(0)
	v_add_f32_e32 v2, v2, v0
.LBB27_62:
	s_or_b64 exec, exec, s[4:5]
	s_and_saveexec_b64 s[4:5], vcc
	s_cbranch_execz .LBB27_64
; %bb.63:
	v_mov_b32_e32 v0, 0x90
	v_lshl_add_u32 v0, v20, 2, v0
	ds_read_b32 v0, v0 offset:64
	s_waitcnt lgkmcnt(0)
	v_add_f32_e32 v3, v3, v0
.LBB27_64:
	s_or_b64 exec, exec, s[4:5]
.LBB27_65:
	s_or_b64 exec, exec, s[0:1]
	v_cmp_eq_u32_e32 vcc, 0, v4
	s_barrier
	s_and_saveexec_b64 s[0:1], vcc
	s_cbranch_execz .LBB27_67
; %bb.66:
	s_lshl_b32 s0, s2, 5
	s_ashr_i32 s1, s0, 31
	s_lshl_b64 s[0:1], s[0:1], 2
	s_add_u32 s2, s26, s0
	s_mul_i32 s0, s16, s24
	s_addc_u32 s3, s27, s1
	s_ashr_i32 s1, s0, 31
	s_lshl_b64 s[0:1], s[0:1], 2
	s_add_u32 s2, s2, s0
	s_addc_u32 s3, s3, s1
	s_ashr_i32 s13, s12, 31
	s_lshl_b64 s[0:1], s[12:13], 2
	s_add_u32 s0, s2, s0
	s_addc_u32 s1, s3, s1
	global_store_dword v1, v2, s[0:1]
	global_store_dword v1, v3, s[0:1] offset:64
.LBB27_67:
	s_endpgm
	.section	.rodata,"a",@progbits
	.p2align	6, 0x0
	.amdhsa_kernel _ZN4vllm25paged_attention_v2_kernelIffLi32ELi16ELi128ELNS_18Fp8KVCacheDataTypeE0ELb1ELi512EEEvPfS2_PT_PKS3_PKT0_S9_ifPKiSB_iPKfiiiSD_SD_iiiii
		.amdhsa_group_segment_fixed_size 144
		.amdhsa_private_segment_fixed_size 0
		.amdhsa_kernarg_size 400
		.amdhsa_user_sgpr_count 6
		.amdhsa_user_sgpr_private_segment_buffer 1
		.amdhsa_user_sgpr_dispatch_ptr 0
		.amdhsa_user_sgpr_queue_ptr 0
		.amdhsa_user_sgpr_kernarg_segment_ptr 1
		.amdhsa_user_sgpr_dispatch_id 0
		.amdhsa_user_sgpr_flat_scratch_init 0
		.amdhsa_user_sgpr_kernarg_preload_length 0
		.amdhsa_user_sgpr_kernarg_preload_offset 0
		.amdhsa_user_sgpr_private_segment_size 0
		.amdhsa_uses_dynamic_stack 0
		.amdhsa_system_sgpr_private_segment_wavefront_offset 0
		.amdhsa_system_sgpr_workgroup_id_x 1
		.amdhsa_system_sgpr_workgroup_id_y 1
		.amdhsa_system_sgpr_workgroup_id_z 1
		.amdhsa_system_sgpr_workgroup_info 0
		.amdhsa_system_vgpr_workitem_id 0
		.amdhsa_next_free_vgpr 44
		.amdhsa_next_free_sgpr 52
		.amdhsa_accum_offset 44
		.amdhsa_reserve_vcc 1
		.amdhsa_reserve_flat_scratch 0
		.amdhsa_float_round_mode_32 0
		.amdhsa_float_round_mode_16_64 0
		.amdhsa_float_denorm_mode_32 3
		.amdhsa_float_denorm_mode_16_64 3
		.amdhsa_dx10_clamp 1
		.amdhsa_ieee_mode 1
		.amdhsa_fp16_overflow 0
		.amdhsa_tg_split 0
		.amdhsa_exception_fp_ieee_invalid_op 0
		.amdhsa_exception_fp_denorm_src 0
		.amdhsa_exception_fp_ieee_div_zero 0
		.amdhsa_exception_fp_ieee_overflow 0
		.amdhsa_exception_fp_ieee_underflow 0
		.amdhsa_exception_fp_ieee_inexact 0
		.amdhsa_exception_int_div_zero 0
	.end_amdhsa_kernel
	.section	.text._ZN4vllm25paged_attention_v2_kernelIffLi32ELi16ELi128ELNS_18Fp8KVCacheDataTypeE0ELb1ELi512EEEvPfS2_PT_PKS3_PKT0_S9_ifPKiSB_iPKfiiiSD_SD_iiiii,"axG",@progbits,_ZN4vllm25paged_attention_v2_kernelIffLi32ELi16ELi128ELNS_18Fp8KVCacheDataTypeE0ELb1ELi512EEEvPfS2_PT_PKS3_PKT0_S9_ifPKiSB_iPKfiiiSD_SD_iiiii,comdat
.Lfunc_end27:
	.size	_ZN4vllm25paged_attention_v2_kernelIffLi32ELi16ELi128ELNS_18Fp8KVCacheDataTypeE0ELb1ELi512EEEvPfS2_PT_PKS3_PKT0_S9_ifPKiSB_iPKfiiiSD_SD_iiiii, .Lfunc_end27-_ZN4vllm25paged_attention_v2_kernelIffLi32ELi16ELi128ELNS_18Fp8KVCacheDataTypeE0ELb1ELi512EEEvPfS2_PT_PKS3_PKT0_S9_ifPKiSB_iPKfiiiSD_SD_iiiii
                                        ; -- End function
	.section	.AMDGPU.csdata,"",@progbits
; Kernel info:
; codeLenInByte = 4200
; NumSgprs: 56
; NumVgprs: 44
; NumAgprs: 0
; TotalNumVgprs: 44
; ScratchSize: 0
; MemoryBound: 0
; FloatMode: 240
; IeeeMode: 1
; LDSByteSize: 144 bytes/workgroup (compile time only)
; SGPRBlocks: 6
; VGPRBlocks: 5
; NumSGPRsForWavesPerEU: 56
; NumVGPRsForWavesPerEU: 44
; AccumOffset: 44
; Occupancy: 8
; WaveLimiterHint : 1
; COMPUTE_PGM_RSRC2:SCRATCH_EN: 0
; COMPUTE_PGM_RSRC2:USER_SGPR: 6
; COMPUTE_PGM_RSRC2:TRAP_HANDLER: 0
; COMPUTE_PGM_RSRC2:TGID_X_EN: 1
; COMPUTE_PGM_RSRC2:TGID_Y_EN: 1
; COMPUTE_PGM_RSRC2:TGID_Z_EN: 1
; COMPUTE_PGM_RSRC2:TIDIG_COMP_CNT: 0
; COMPUTE_PGM_RSRC3_GFX90A:ACCUM_OFFSET: 10
; COMPUTE_PGM_RSRC3_GFX90A:TG_SPLIT: 0
	.section	.text._ZN4vllm25paged_attention_v2_kernelIffLi64ELi16ELi128ELNS_18Fp8KVCacheDataTypeE0ELb1ELi512EEEvPfS2_PT_PKS3_PKT0_S9_ifPKiSB_iPKfiiiSD_SD_iiiii,"axG",@progbits,_ZN4vllm25paged_attention_v2_kernelIffLi64ELi16ELi128ELNS_18Fp8KVCacheDataTypeE0ELb1ELi512EEEvPfS2_PT_PKS3_PKT0_S9_ifPKiSB_iPKfiiiSD_SD_iiiii,comdat
	.protected	_ZN4vllm25paged_attention_v2_kernelIffLi64ELi16ELi128ELNS_18Fp8KVCacheDataTypeE0ELb1ELi512EEEvPfS2_PT_PKS3_PKT0_S9_ifPKiSB_iPKfiiiSD_SD_iiiii ; -- Begin function _ZN4vllm25paged_attention_v2_kernelIffLi64ELi16ELi128ELNS_18Fp8KVCacheDataTypeE0ELb1ELi512EEEvPfS2_PT_PKS3_PKT0_S9_ifPKiSB_iPKfiiiSD_SD_iiiii
	.globl	_ZN4vllm25paged_attention_v2_kernelIffLi64ELi16ELi128ELNS_18Fp8KVCacheDataTypeE0ELb1ELi512EEEvPfS2_PT_PKS3_PKT0_S9_ifPKiSB_iPKfiiiSD_SD_iiiii
	.p2align	8
	.type	_ZN4vllm25paged_attention_v2_kernelIffLi64ELi16ELi128ELNS_18Fp8KVCacheDataTypeE0ELb1ELi512EEEvPfS2_PT_PKS3_PKT0_S9_ifPKiSB_iPKfiiiSD_SD_iiiii,@function
_ZN4vllm25paged_attention_v2_kernelIffLi64ELi16ELi128ELNS_18Fp8KVCacheDataTypeE0ELb1ELi512EEEvPfS2_PT_PKS3_PKT0_S9_ifPKiSB_iPKfiiiSD_SD_iiiii: ; @_ZN4vllm25paged_attention_v2_kernelIffLi64ELi16ELi128ELNS_18Fp8KVCacheDataTypeE0ELb1ELi512EEEvPfS2_PT_PKS3_PKT0_S9_ifPKiSB_iPKfiiiSD_SD_iiiii
; %bb.0:
	s_load_dwordx2 s[0:1], s[4:5], 0x40
	s_mov_b32 s30, s7
	s_ashr_i32 s31, s7, 31
	s_lshl_b64 s[2:3], s[30:31], 2
	s_waitcnt lgkmcnt(0)
	s_add_u32 s0, s0, s2
	s_addc_u32 s1, s1, s3
	s_load_dword s31, s[0:1], 0x0
	s_lshl_b32 s51, s8, 9
	s_waitcnt lgkmcnt(0)
	s_cmp_ge_i32 s51, s31
	s_cbranch_scc1 .LBB28_72
; %bb.1:
	s_load_dword s9, s[4:5], 0x90
	s_load_dwordx2 s[40:41], s[4:5], 0x30
	s_waitcnt lgkmcnt(0)
	s_abs_i32 s2, s9
	s_abs_i32 s0, s40
	v_cvt_f32_u32_e32 v1, s0
	s_sub_i32 s3, 0, s0
	s_xor_b32 s1, s9, s40
	s_ashr_i32 s1, s1, 31
	v_rcp_iflag_f32_e32 v1, v1
	v_mul_f32_e32 v1, 0x4f7ffffe, v1
	v_cvt_u32_f32_e32 v1, v1
	v_readfirstlane_b32 s7, v1
	s_mul_i32 s3, s3, s7
	s_mul_hi_u32 s3, s7, s3
	s_add_i32 s7, s7, s3
	s_mul_hi_u32 s3, s2, s7
	s_mul_i32 s7, s3, s0
	s_sub_i32 s2, s2, s7
	s_add_i32 s10, s3, 1
	s_sub_i32 s7, s2, s0
	s_cmp_ge_u32 s2, s0
	s_cselect_b32 s3, s10, s3
	s_cselect_b32 s2, s7, s2
	s_add_i32 s7, s3, 1
	s_cmp_ge_u32 s2, s0
	s_cselect_b32 s0, s7, s3
	s_xor_b32 s0, s0, s1
	s_sub_i32 s2, s0, s1
	s_abs_i32 s10, s2
	v_cvt_f32_u32_e32 v1, s10
	s_load_dwordx2 s[0:1], s[4:5], 0x50
	s_sub_i32 s3, 0, s10
	s_abs_i32 s11, s6
	v_rcp_iflag_f32_e32 v1, v1
	s_mov_b32 s7, 0
	v_mul_f32_e32 v1, 0x4f7ffffe, v1
	v_cvt_u32_f32_e32 v1, v1
	v_readfirstlane_b32 s12, v1
	s_mul_i32 s3, s3, s12
	s_mul_hi_u32 s3, s12, s3
	s_add_i32 s12, s12, s3
	s_waitcnt lgkmcnt(0)
	s_cmp_eq_u64 s[0:1], 0
	s_mul_hi_u32 s12, s11, s12
	s_cbranch_scc1 .LBB28_3
; %bb.2:
	s_ashr_i32 s7, s6, 31
	s_lshl_b64 s[14:15], s[6:7], 2
	s_add_u32 s0, s0, s14
	s_addc_u32 s1, s1, s15
	s_load_dword s7, s[0:1], 0x0
.LBB28_3:
	s_load_dwordx4 s[16:19], s[4:5], 0x58
	v_lshrrev_b32_e32 v30, 2, v0
	s_ashr_i32 s13, s6, 31
	s_ashr_i32 s20, s2, 31
	v_and_b32_e32 v31, 3, v0
	s_lshl_b32 s14, s6, 6
	v_cmp_gt_u32_e64 s[0:1], 64, v0
	v_lshlrev_b32_e32 v6, 2, v0
	v_lshlrev_b32_e32 v1, 2, v30
	s_and_saveexec_b64 s[2:3], s[0:1]
	s_cbranch_execz .LBB28_5
; %bb.4:
	s_load_dwordx2 s[22:23], s[4:5], 0x18
	s_waitcnt lgkmcnt(0)
	s_mul_i32 s24, s30, s16
	s_ashr_i32 s25, s24, 31
	s_lshl_b64 s[24:25], s[24:25], 2
	v_lshl_add_u32 v3, v31, 6, v1
	s_add_u32 s16, s22, s24
	s_addc_u32 s19, s23, s25
	s_ashr_i32 s15, s14, 31
	s_lshl_b64 s[22:23], s[14:15], 2
	s_add_u32 s22, s16, s22
	s_addc_u32 s23, s19, s23
	global_load_dword v2, v6, s[22:23]
	s_waitcnt vmcnt(0)
	ds_write_b32 v3, v2
.LBB28_5:
	s_or_b64 exec, exec, s[2:3]
	s_mul_i32 s3, s12, s10
	s_sub_i32 s3, s11, s3
	s_xor_b32 s2, s13, s20
	s_add_i32 s11, s12, 1
	s_sub_i32 s13, s3, s10
	s_load_dwordx4 s[20:23], s[4:5], 0x78
	s_cmp_ge_u32 s3, s10
	s_cselect_b32 s11, s11, s12
	s_cselect_b32 s3, s13, s3
	s_load_dword s13, s[4:5], 0x88
	s_add_i32 s12, s11, 1
	s_cmp_ge_u32 s3, s10
	s_cselect_b32 s3, s12, s11
	s_waitcnt lgkmcnt(0)
	s_abs_i32 s33, s23
	v_cvt_f32_u32_e32 v2, s33
	s_xor_b32 s3, s3, s2
	s_sub_i32 s10, s3, s2
	s_sub_i32 s2, 0, s33
	v_rcp_iflag_f32_e32 v2, v2
	s_add_i32 s15, s31, -1
	s_abs_i32 s11, s15
	v_mul_f32_e32 v2, 0x4f7ffffe, v2
	v_cvt_u32_f32_e32 v2, v2
	s_barrier
	v_readfirstlane_b32 s48, v2
	s_mul_i32 s2, s2, s48
	s_mul_hi_u32 s2, s48, s2
	s_add_i32 s48, s48, s2
	s_cmp_lt_i32 s13, 0
	s_mul_hi_u32 s12, s11, s48
	s_cbranch_scc0 .LBB28_7
; %bb.6:
	s_mul_i32 s2, s20, s40
	s_add_i32 s2, s10, s2
	s_mul_i32 s2, s2, s13
	s_sub_i32 s49, 1, s2
	s_mov_b64 s[2:3], 0
	s_branch .LBB28_8
.LBB28_7:
	s_mov_b64 s[2:3], -1
                                        ; implicit-def: $sgpr49
.LBB28_8:
	s_load_dwordx2 s[34:35], s[4:5], 0x38
	s_ashr_i32 s16, s15, 31
	s_andn2_b64 vcc, exec, s[2:3]
	s_ashr_i32 s23, s23, 31
	s_cbranch_vccnz .LBB28_10
; %bb.9:
	s_mul_i32 s2, s9, s20
	s_add_i32 s2, s2, s6
	s_mul_i32 s2, s2, s13
	s_add_i32 s49, s2, 1
.LBB28_10:
	s_load_dword s2, s[4:5], 0x48
	s_load_dwordx2 s[38:39], s[4:5], 0x28
	s_load_dword s15, s[4:5], 0x98
	s_load_dwordx4 s[24:27], s[4:5], 0x0
	s_load_dwordx2 s[28:29], s[4:5], 0x10
	s_mul_i32 s3, s12, s33
	s_waitcnt lgkmcnt(0)
	s_mul_i32 s36, s30, s2
	s_sub_i32 s3, s11, s3
	s_ashr_i32 s37, s36, 31
	s_xor_b32 s2, s16, s23
	s_add_i32 s11, s12, 1
	s_sub_i32 s13, s3, s33
	s_cmp_ge_u32 s3, s33
	s_cselect_b32 s11, s11, s12
	s_cselect_b32 s3, s13, s3
	s_add_i32 s12, s11, 1
	s_cmp_ge_u32 s3, s33
	s_cselect_b32 s3, s12, s11
	s_xor_b32 s3, s3, s2
	s_sub_i32 s50, s3, s2
	s_add_i32 s2, s31, 15
	s_ashr_i32 s3, s2, 31
	s_lshr_b32 s3, s3, 28
	s_add_i32 s2, s2, s3
	s_lshl_b32 s40, s8, 5
	s_ashr_i32 s16, s2, 4
	s_add_i32 s2, s40, 32
	v_lshrrev_b32_e32 v7, 6, v0
	s_min_i32 s20, s2, s16
	v_or_b32_e32 v26, s40, v7
	v_cmp_gt_i32_e64 s[2:3], s20, v26
	v_mov_b32_e32 v11, 0xff7fffff
	s_mul_i32 s18, s10, s18
	v_ashrrev_i32_e32 v27, 31, v26
	v_lshl_add_u32 v32, v7, 4, s51
	v_mbcnt_lo_u32_b32 v4, -1, 0
	s_and_saveexec_b64 s[42:43], s[2:3]
	s_cbranch_execz .LBB28_20
; %bb.11:
	s_load_dwordx2 s[4:5], s[4:5], 0x20
	s_ashr_i32 s19, s18, 31
	s_sub_i32 s52, s50, s21
	s_lshl_b64 s[10:11], s[18:19], 2
	v_bfe_u32 v5, v0, 2, 4
	s_waitcnt lgkmcnt(0)
	s_add_u32 s4, s4, s10
	s_addc_u32 s5, s5, s11
	s_abs_i32 s19, s22
	v_cvt_f32_u32_e32 v8, s19
	v_lshlrev_b32_e32 v2, 4, v5
	v_mov_b32_e32 v3, s5
	v_add_co_u32_e64 v2, s[4:5], s4, v2
	v_rcp_iflag_f32_e32 v10, v8
	v_addc_co_u32_e64 v3, s[4:5], 0, v3, s[4:5]
	v_lshlrev_b32_e32 v9, 2, v31
	v_add_co_u32_e64 v8, s[4:5], v2, v9
	v_mul_f32_e32 v2, 0x4f7ffffe, v10
	v_cvt_u32_f32_e32 v2, v2
	s_sub_i32 s10, 0, s19
	v_lshlrev_b32_e32 v11, 2, v5
	v_addc_co_u32_e64 v9, s[4:5], 0, v3, s[4:5]
	v_mul_lo_u32 v3, s10, v2
	s_lshl_b64 s[10:11], s[36:37], 2
	v_mul_hi_u32 v3, v2, v3
	s_add_u32 s10, s34, s10
	v_lshl_or_b32 v11, v7, 6, v11
	v_add_u32_e32 v12, v2, v3
	v_lshlrev_b64 v[2:3], 2, v[26:27]
	s_addc_u32 s11, s35, s11
	v_add_u32_e32 v14, 0x110, v11
	v_subrev_u32_e32 v11, s31, v5
	v_mbcnt_hi_u32_b32 v17, -1, v4
	v_mov_b32_e32 v13, s11
	v_add_co_u32_e64 v2, s[10:11], s10, v2
	v_add_u32_e32 v15, 1, v11
	v_and_b32_e32 v11, 64, v17
	v_cmp_eq_u32_e32 vcc, 0, v31
	s_mov_b32 s53, s17
	v_lshlrev_b32_e32 v10, 6, v31
	v_cmp_neq_f32_e64 s[4:5], s7, 0
	v_addc_co_u32_e64 v3, s[10:11], v13, v3, s[10:11]
	v_lshl_add_u32 v13, v7, 4, s51
	s_mov_b64 s[44:45], 0
	v_mov_b32_e32 v16, 0xff7fffff
	v_add_u32_e32 v18, 64, v11
	v_xor_b32_e32 v19, 2, v17
	v_xor_b32_e32 v20, 1, v17
	v_mov_b32_e32 v11, 0xff7fffff
	v_mov_b32_e32 v21, v26
	s_branch .LBB28_14
.LBB28_12:                              ;   in Loop: Header=BB28_14 Depth=1
	s_or_b64 exec, exec, s[46:47]
.LBB28_13:                              ;   in Loop: Header=BB28_14 Depth=1
	s_or_b64 exec, exec, s[12:13]
	v_add_co_u32_e64 v2, s[10:11], 8, v2
	v_add_u32_e32 v21, 2, v21
	v_addc_co_u32_e64 v3, s[10:11], 0, v3, s[10:11]
	v_cmp_le_i32_e64 s[10:11], s20, v21
	v_add_u32_e32 v13, 32, v13
	s_or_b64 s[44:45], s[10:11], s[44:45]
	v_add_u32_e32 v14, 0x80, v14
	s_andn2_b64 exec, exec, s[44:45]
	s_cbranch_execz .LBB28_19
.LBB28_14:                              ; =>This Inner Loop Header: Depth=1
	s_waitcnt lgkmcnt(0)
	v_sub_u32_e32 v23, 0, v13
	v_max_i32_e32 v23, v13, v23
	v_mul_hi_u32 v24, v23, s48
	v_mul_lo_u32 v25, v24, s33
	v_sub_u32_e32 v23, v23, v25
	v_add_u32_e32 v25, 1, v24
	v_cmp_le_u32_e64 s[10:11], s33, v23
	v_cndmask_b32_e64 v24, v24, v25, s[10:11]
	v_subrev_u32_e32 v25, s33, v23
	v_cndmask_b32_e64 v23, v23, v25, s[10:11]
	v_ashrrev_i32_e32 v22, 31, v13
	v_add_u32_e32 v25, 1, v24
	v_cmp_le_u32_e64 s[10:11], s33, v23
	v_xor_b32_e32 v22, s23, v22
	v_cndmask_b32_e64 v23, v24, v25, s[10:11]
	v_xor_b32_e32 v23, v23, v22
	v_sub_u32_e32 v22, v23, v22
	v_add_u32_e32 v23, s49, v22
	v_sub_u32_e32 v25, 0, v23
	v_ashrrev_i32_e32 v24, 31, v23
	v_max_i32_e32 v23, v23, v25
	v_mul_hi_u32 v25, v23, v12
	v_mul_lo_u32 v25, v25, s19
	v_sub_u32_e32 v23, v23, v25
	v_subrev_u32_e32 v25, s19, v23
	v_cmp_le_u32_e64 s[10:11], s19, v23
	v_cndmask_b32_e64 v23, v23, v25, s[10:11]
	v_subrev_u32_e32 v25, s19, v23
	v_cmp_le_u32_e64 s[10:11], s19, v23
	v_cndmask_b32_e64 v23, v23, v25, s[10:11]
	v_xor_b32_e32 v23, v23, v24
	v_sub_u32_e32 v23, v23, v24
	v_cmp_ne_u32_e64 s[10:11], 0, v23
	v_cmp_ge_i32_e64 s[12:13], s52, v22
	s_and_b64 s[10:11], s[10:11], s[12:13]
	s_and_b64 s[46:47], vcc, s[10:11]
	s_and_saveexec_b64 s[12:13], s[46:47]
	s_cbranch_execz .LBB28_16
; %bb.15:                               ;   in Loop: Header=BB28_14 Depth=1
	ds_write_b32 v14, v16
.LBB28_16:                              ;   in Loop: Header=BB28_14 Depth=1
	s_or_b64 exec, exec, s[12:13]
	s_xor_b64 s[10:11], s[10:11], -1
	s_and_saveexec_b64 s[12:13], s[10:11]
	s_cbranch_execz .LBB28_13
; %bb.17:                               ;   in Loop: Header=BB28_14 Depth=1
	global_load_dword v22, v[2:3], off
	s_waitcnt vmcnt(0)
	v_mad_i64_i32 v[22:23], s[10:11], v22, s53, 0
	v_lshlrev_b64 v[22:23], 2, v[22:23]
	v_add_co_u32_e64 v22, s[10:11], v8, v22
	v_addc_co_u32_e64 v23, s[10:11], v9, v23, s[10:11]
	global_load_dword v28, v[22:23], off offset:256
	global_load_dword v29, v[22:23], off
	global_load_dword v33, v[22:23], off offset:512
	global_load_dword v46, v[22:23], off offset:768
	;; [unrolled: 1-line block ×14, first 2 shown]
	ds_read_b128 v[22:25], v10
	ds_read_b128 v[34:37], v10 offset:16
	ds_read_b128 v[38:41], v10 offset:32
	;; [unrolled: 1-line block ×3, first 2 shown]
	v_cmp_lt_i32_e64 s[10:11], v19, v18
	v_cndmask_b32_e64 v59, v17, v19, s[10:11]
	v_lshlrev_b32_e32 v59, 2, v59
	v_cmp_lt_i32_e64 s[10:11], v20, v18
	s_waitcnt vmcnt(15) lgkmcnt(3)
	v_mul_f32_e32 v23, v23, v28
	s_waitcnt vmcnt(14)
	v_fmac_f32_e32 v23, v22, v29
	s_waitcnt vmcnt(13)
	v_fmac_f32_e32 v23, v24, v33
	s_waitcnt vmcnt(12)
	v_fmac_f32_e32 v23, v25, v46
	s_waitcnt vmcnt(11) lgkmcnt(2)
	v_fmac_f32_e32 v23, v34, v47
	s_waitcnt vmcnt(10)
	v_fmac_f32_e32 v23, v35, v48
	s_waitcnt vmcnt(9)
	v_fmac_f32_e32 v23, v36, v49
	s_waitcnt vmcnt(8)
	v_fmac_f32_e32 v23, v37, v50
	s_waitcnt vmcnt(7) lgkmcnt(1)
	v_fmac_f32_e32 v23, v38, v51
	s_waitcnt vmcnt(6)
	v_fmac_f32_e32 v23, v39, v52
	s_waitcnt vmcnt(5)
	v_fmac_f32_e32 v23, v40, v53
	s_waitcnt vmcnt(4)
	v_fmac_f32_e32 v23, v41, v54
	s_waitcnt vmcnt(3) lgkmcnt(0)
	v_fmac_f32_e32 v23, v42, v55
	s_waitcnt vmcnt(2)
	v_fmac_f32_e32 v23, v43, v56
	s_waitcnt vmcnt(1)
	v_fmac_f32_e32 v23, v44, v57
	;; [unrolled: 2-line block ×3, first 2 shown]
	ds_bpermute_b32 v22, v59, v23
	v_cndmask_b32_e64 v24, v17, v20, s[10:11]
	v_lshlrev_b32_e32 v24, 2, v24
	s_waitcnt lgkmcnt(0)
	v_add_f32_e32 v22, v23, v22
	ds_bpermute_b32 v23, v24, v22
	s_and_saveexec_b64 s[46:47], vcc
	s_cbranch_execz .LBB28_12
; %bb.18:                               ;   in Loop: Header=BB28_14 Depth=1
	v_add_u32_e32 v24, v15, v13
	v_cvt_f32_i32_e32 v24, v24
	s_waitcnt lgkmcnt(0)
	v_add_f32_e32 v22, v22, v23
	v_add_u32_e32 v25, v5, v13
	v_cmp_gt_i32_e64 s[10:11], s31, v25
	v_mul_f32_e32 v23, s7, v24
	v_cndmask_b32_e64 v23, 0, v23, s[4:5]
	v_fmac_f32_e32 v23, s41, v22
	v_cndmask_b32_e64 v22, 0, v23, s[10:11]
	ds_write_b32 v14, v22
	v_max_f32_e32 v22, v11, v11
	v_max_f32_e32 v22, v22, v23
	v_cndmask_b32_e64 v11, v11, v22, s[10:11]
	s_branch .LBB28_12
.LBB28_19:
	s_or_b64 exec, exec, s[44:45]
.LBB28_20:
	s_or_b64 exec, exec, s[42:43]
	v_mbcnt_hi_u32_b32 v2, -1, v4
	v_and_b32_e32 v3, 64, v2
	v_add_u32_e32 v3, 64, v3
	v_xor_b32_e32 v4, 32, v2
	v_cmp_lt_i32_e32 vcc, v4, v3
	v_cndmask_b32_e32 v4, v2, v4, vcc
	v_lshlrev_b32_e32 v5, 2, v4
	ds_bpermute_b32 v4, v5, v11
	v_xor_b32_e32 v9, 16, v2
	v_max_f32_e32 v8, v11, v11
	v_cmp_lt_i32_e32 vcc, v9, v3
	v_xor_b32_e32 v10, 8, v2
	s_waitcnt lgkmcnt(0)
	v_max_f32_e32 v4, v4, v4
	v_max_f32_e32 v4, v8, v4
	v_cndmask_b32_e32 v8, v2, v9, vcc
	v_lshlrev_b32_e32 v8, 2, v8
	ds_bpermute_b32 v9, v8, v4
	v_cmp_lt_i32_e32 vcc, v10, v3
	v_and_b32_e32 v33, 63, v0
	s_waitcnt lgkmcnt(0)
	v_max_f32_e32 v9, v9, v9
	v_max_f32_e32 v4, v4, v9
	v_cndmask_b32_e32 v9, v2, v10, vcc
	v_lshlrev_b32_e32 v11, 2, v9
	ds_bpermute_b32 v9, v11, v4
	v_xor_b32_e32 v10, 4, v2
	v_cmp_lt_i32_e32 vcc, v10, v3
	s_waitcnt lgkmcnt(0)
	v_max_f32_e32 v9, v9, v9
	v_max_f32_e32 v4, v4, v9
	v_cndmask_b32_e32 v9, v2, v10, vcc
	v_lshlrev_b32_e32 v12, 2, v9
	ds_bpermute_b32 v10, v12, v4
	v_cmp_eq_u32_e32 vcc, 0, v33
	v_lshlrev_b32_e32 v9, 2, v7
	s_and_saveexec_b64 s[4:5], vcc
	s_cbranch_execz .LBB28_22
; %bb.21:
	s_waitcnt lgkmcnt(0)
	v_max_f32_e32 v10, v10, v10
	v_max_f32_e32 v4, v4, v4
	;; [unrolled: 1-line block ×3, first 2 shown]
	ds_write_b32 v9, v4 offset:256
.LBB28_22:
	s_or_b64 exec, exec, s[4:5]
	v_cmp_gt_u32_e64 s[4:5], 2, v33
	v_mov_b32_e32 v4, 0xff7fffff
	s_waitcnt lgkmcnt(0)
	v_lshlrev_b32_e32 v10, 2, v33
	s_barrier
	s_and_saveexec_b64 s[10:11], s[4:5]
	s_cbranch_execz .LBB28_24
; %bb.23:
	ds_read_b32 v4, v10 offset:256
.LBB28_24:
	s_or_b64 exec, exec, s[10:11]
	v_xor_b32_e32 v13, 1, v2
	v_cmp_lt_i32_e64 s[10:11], v13, v3
	v_cndmask_b32_e64 v13, v2, v13, s[10:11]
	v_lshlrev_b32_e32 v34, 2, v13
	s_waitcnt lgkmcnt(0)
	ds_bpermute_b32 v13, v34, v4
	v_max_f32_e32 v4, v4, v4
	s_sub_i32 s7, s20, s40
	s_lshl_b32 s7, s7, 4
	s_add_i32 s7, s7, s51
	s_waitcnt lgkmcnt(0)
	v_max_f32_e32 v13, v13, v13
	v_max_f32_e32 v4, v4, v13
	v_lshlrev_b32_e32 v13, 2, v2
	v_and_b32_e32 v13, 0x100, v13
	ds_bpermute_b32 v4, v13, v4
	s_min_i32 s19, s7, s31
	s_sub_i32 s7, s19, s51
	v_cmp_gt_i32_e64 s[10:11], s7, v0
	v_mov_b32_e32 v14, 0
	s_and_saveexec_b64 s[40:41], s[10:11]
	s_cbranch_execz .LBB28_28
; %bb.25:
	v_mov_b32_e32 v14, 0x110
	v_lshl_add_u32 v15, v0, 2, v14
	s_mov_b64 s[42:43], 0
	v_mov_b32_e32 v14, 0
	v_mov_b32_e32 v16, v0
.LBB28_26:                              ; =>This Inner Loop Header: Depth=1
	ds_read_b32 v17, v15
	v_add_u32_e32 v16, 0x80, v16
	v_cmp_le_i32_e64 s[12:13], s7, v16
	s_or_b64 s[42:43], s[12:13], s[42:43]
	s_waitcnt lgkmcnt(0)
	v_sub_f32_e32 v17, v17, v4
	v_mul_f32_e32 v17, 0x3fb8aa3b, v17
	v_exp_f32_e32 v17, v17
	ds_write_b32 v15, v17
	v_add_f32_e32 v14, v14, v17
	v_add_u32_e32 v15, 0x200, v15
	s_andn2_b64 exec, exec, s[42:43]
	s_cbranch_execnz .LBB28_26
; %bb.27:
	s_or_b64 exec, exec, s[42:43]
.LBB28_28:
	s_or_b64 exec, exec, s[40:41]
	ds_bpermute_b32 v5, v5, v14
	s_waitcnt lgkmcnt(0)
	v_add_f32_e32 v5, v14, v5
	ds_bpermute_b32 v8, v8, v5
	s_waitcnt lgkmcnt(0)
	v_add_f32_e32 v5, v5, v8
	ds_bpermute_b32 v8, v11, v5
	v_xor_b32_e32 v11, 2, v2
	v_cmp_lt_i32_e64 s[12:13], v11, v3
	v_cndmask_b32_e64 v2, v2, v11, s[12:13]
	v_lshlrev_b32_e32 v35, 2, v2
	s_waitcnt lgkmcnt(0)
	v_add_f32_e32 v5, v5, v8
	ds_bpermute_b32 v8, v12, v5
	s_waitcnt lgkmcnt(0)
	v_add_f32_e32 v3, v5, v8
	ds_bpermute_b32 v2, v35, v3
	s_waitcnt lgkmcnt(0)
	v_add_f32_e32 v2, v3, v2
	ds_bpermute_b32 v3, v34, v2
	s_waitcnt lgkmcnt(0)
	v_add_f32_e32 v2, v2, v3
	s_and_saveexec_b64 s[12:13], vcc
	s_cbranch_execz .LBB28_30
; %bb.29:
	ds_write_b32 v9, v2 offset:264
.LBB28_30:
	s_or_b64 exec, exec, s[12:13]
	s_waitcnt lgkmcnt(0)
	s_barrier
	s_and_saveexec_b64 s[12:13], s[4:5]
	s_cbranch_execz .LBB28_32
; %bb.31:
	ds_read_b32 v2, v10 offset:264
.LBB28_32:
	s_or_b64 exec, exec, s[12:13]
	s_waitcnt lgkmcnt(0)
	ds_bpermute_b32 v3, v34, v2
	s_waitcnt lgkmcnt(0)
	v_add_f32_e32 v2, v2, v3
	ds_bpermute_b32 v5, v13, v2
	s_and_saveexec_b64 s[4:5], s[10:11]
	s_cbranch_execz .LBB28_45
; %bb.33:
	s_waitcnt lgkmcnt(0)
	v_add_f32_e32 v2, 0x358637bd, v5
	v_div_scale_f32 v3, s[10:11], v2, v2, 1.0
	v_rcp_f32_e32 v8, v3
	v_div_scale_f32 v9, vcc, 1.0, v2, 1.0
	s_movk_i32 s10, 0x7f
	v_fma_f32 v10, -v3, v8, 1.0
	v_fmac_f32_e32 v8, v10, v8
	v_mul_f32_e32 v10, v9, v8
	v_fma_f32 v11, -v3, v10, v9
	v_fmac_f32_e32 v10, v11, v8
	v_fma_f32 v3, -v3, v10, v9
	v_div_fmas_f32 v3, v3, v8, v10
	v_div_fixup_f32 v2, v3, v2, 1.0
	v_xad_u32 v3, v0, -1, s19
	v_subrev_u32_e32 v8, s51, v3
	v_cmp_lt_u32_e32 vcc, s10, v8
	s_mov_b64 s[12:13], -1
	v_mov_b32_e32 v3, v0
	s_and_saveexec_b64 s[10:11], vcc
	s_cbranch_execz .LBB28_42
; %bb.34:
	v_lshrrev_b32_e32 v8, 7, v8
	v_add_u32_e32 v10, -1, v8
	v_lshrrev_b32_e32 v9, 1, v10
	v_mov_b32_e32 v3, v2
	v_add_u32_e32 v9, 1, v9
	v_cmp_lt_u32_e32 vcc, 13, v10
	v_mov_b32_e32 v12, 0
	s_and_saveexec_b64 s[12:13], vcc
	s_cbranch_execz .LBB28_38
; %bb.35:
	v_mov_b32_e32 v11, 0x110
	v_and_b32_e32 v10, -8, v9
	v_lshl_add_u32 v11, v0, 2, v11
	s_mov_b32 s19, 0
	s_mov_b64 s[40:41], 0
.LBB28_36:                              ; =>This Inner Loop Header: Depth=1
	ds_read2st64_b32 v[12:13], v11 offset1:2
	ds_read2st64_b32 v[14:15], v11 offset0:4 offset1:6
	ds_read2st64_b32 v[16:17], v11 offset0:8 offset1:10
	;; [unrolled: 1-line block ×3, first 2 shown]
	v_add_u32_e32 v10, -8, v10
	s_waitcnt lgkmcnt(3)
	v_pk_mul_f32 v[12:13], v[2:3], v[12:13]
	s_waitcnt lgkmcnt(2)
	v_pk_mul_f32 v[14:15], v[2:3], v[14:15]
	ds_write2st64_b32 v11, v12, v13 offset1:2
	ds_write2st64_b32 v11, v14, v15 offset0:4 offset1:6
	ds_read2st64_b32 v[14:15], v11 offset0:16 offset1:18
	s_waitcnt lgkmcnt(4)
	v_pk_mul_f32 v[12:13], v[2:3], v[16:17]
	ds_write2st64_b32 v11, v12, v13 offset0:8 offset1:10
	s_waitcnt lgkmcnt(4)
	v_pk_mul_f32 v[12:13], v[2:3], v[18:19]
	ds_write2st64_b32 v11, v12, v13 offset0:12 offset1:14
	ds_read2st64_b32 v[12:13], v11 offset0:20 offset1:22
	s_waitcnt lgkmcnt(3)
	v_pk_mul_f32 v[14:15], v[2:3], v[14:15]
	ds_read2st64_b32 v[16:17], v11 offset0:24 offset1:26
	ds_write2st64_b32 v11, v14, v15 offset0:16 offset1:18
	ds_read2st64_b32 v[14:15], v11 offset0:28 offset1:30
	s_waitcnt lgkmcnt(3)
	v_pk_mul_f32 v[12:13], v[2:3], v[12:13]
	ds_write2st64_b32 v11, v12, v13 offset0:20 offset1:22
	s_waitcnt lgkmcnt(3)
	v_pk_mul_f32 v[12:13], v[2:3], v[16:17]
	ds_write2st64_b32 v11, v12, v13 offset0:24 offset1:26
	s_waitcnt lgkmcnt(2)
	v_pk_mul_f32 v[12:13], v[2:3], v[14:15]
	s_add_i32 s19, s19, 16
	v_cmp_eq_u32_e32 vcc, 0, v10
	ds_write2st64_b32 v11, v12, v13 offset0:28 offset1:30
	v_add_u32_e32 v11, 0x2000, v11
	s_or_b64 s[40:41], vcc, s[40:41]
	v_mov_b32_e32 v12, s19
	s_andn2_b64 exec, exec, s[40:41]
	s_cbranch_execnz .LBB28_36
; %bb.37:
	s_or_b64 exec, exec, s[40:41]
.LBB28_38:
	s_or_b64 exec, exec, s[12:13]
	v_and_b32_e32 v9, 7, v9
	v_cmp_ne_u32_e32 vcc, 0, v9
	s_and_saveexec_b64 s[12:13], vcc
	s_cbranch_execz .LBB28_41
; %bb.39:
	v_lshlrev_b32_e32 v10, 9, v12
	s_movk_i32 s19, 0x110
	v_add3_u32 v10, v10, v6, s19
	s_mov_b64 s[40:41], 0
.LBB28_40:                              ; =>This Inner Loop Header: Depth=1
	ds_read2st64_b32 v[12:13], v10 offset1:2
	v_add_u32_e32 v9, -1, v9
	v_cmp_eq_u32_e32 vcc, 0, v9
	s_or_b64 s[40:41], vcc, s[40:41]
	s_waitcnt lgkmcnt(0)
	v_pk_mul_f32 v[12:13], v[2:3], v[12:13]
	ds_write2st64_b32 v10, v12, v13 offset1:2
	v_add_u32_e32 v10, 0x400, v10
	s_andn2_b64 exec, exec, s[40:41]
	s_cbranch_execnz .LBB28_40
.LBB28_41:
	s_or_b64 exec, exec, s[12:13]
	v_add_u32_e32 v8, 1, v8
	v_and_b32_e32 v9, 0x3fffffe, v8
	v_cmp_ne_u32_e32 vcc, v8, v9
	v_lshl_add_u32 v3, v9, 7, v0
	s_orn2_b64 s[12:13], vcc, exec
.LBB28_42:
	s_or_b64 exec, exec, s[10:11]
	s_and_b64 exec, exec, s[12:13]
	s_cbranch_execz .LBB28_45
; %bb.43:
	v_mov_b32_e32 v8, 0x110
	v_lshl_add_u32 v8, v3, 2, v8
	s_mov_b64 s[10:11], 0
.LBB28_44:                              ; =>This Inner Loop Header: Depth=1
	ds_read_b32 v9, v8
	v_add_u32_e32 v3, 0x80, v3
	v_cmp_le_i32_e32 vcc, s7, v3
	s_or_b64 s[10:11], vcc, s[10:11]
	s_waitcnt lgkmcnt(0)
	v_mul_f32_e32 v9, v2, v9
	ds_write_b32 v8, v9
	v_add_u32_e32 v8, 0x200, v8
	s_andn2_b64 exec, exec, s[10:11]
	s_cbranch_execnz .LBB28_44
.LBB28_45:
	s_or_b64 exec, exec, s[4:5]
	s_mul_i32 s4, s15, s30
	v_cmp_eq_u32_e32 vcc, 0, v0
	s_mul_i32 s4, s4, s9
	s_waitcnt lgkmcnt(0)
	s_barrier
	s_and_saveexec_b64 s[10:11], vcc
	s_cbranch_execz .LBB28_47
; %bb.46:
	s_ashr_i32 s5, s4, 31
	s_lshl_b64 s[12:13], s[4:5], 2
	s_add_u32 s5, s26, s12
	s_mul_i32 s6, s15, s6
	s_addc_u32 s9, s27, s13
	s_ashr_i32 s7, s6, 31
	s_lshl_b64 s[6:7], s[6:7], 2
	s_add_u32 s5, s5, s6
	s_addc_u32 s19, s9, s7
	s_ashr_i32 s9, s8, 31
	s_lshl_b64 s[26:27], s[8:9], 2
	s_add_u32 s40, s5, s26
	s_addc_u32 s41, s19, s27
	s_add_u32 s5, s24, s12
	s_addc_u32 s9, s25, s13
	;; [unrolled: 2-line block ×3, first 2 shown]
	s_add_u32 s6, s5, s26
	v_mov_b32_e32 v2, 0
	s_addc_u32 s7, s7, s27
	global_store_dword v2, v4, s[40:41]
	global_store_dword v2, v5, s[6:7]
.LBB28_47:
	s_or_b64 exec, exec, s[10:11]
	v_mov_b32_e32 v5, 0
	v_mov_b32_e32 v4, 0
	;; [unrolled: 1-line block ×4, first 2 shown]
	s_and_saveexec_b64 s[6:7], s[2:3]
	s_cbranch_execz .LBB28_61
; %bb.48:
	s_ashr_i32 s19, s18, 31
	s_sub_i32 s5, s50, s21
	s_lshl_b64 s[2:3], s[18:19], 2
	s_add_u32 s2, s38, s2
	s_addc_u32 s3, s39, s3
	s_abs_i32 s9, s22
	v_cvt_f32_u32_e32 v2, s9
	s_sub_i32 s10, 0, s9
	v_lshlrev_b32_e32 v3, 4, v0
	v_and_b32_e32 v3, 0x3f0, v3
	v_rcp_iflag_f32_e32 v2, v2
	s_add_i32 s19, s16, -1
	v_add_co_u32_e32 v38, vcc, s2, v3
	v_mul_f32_e32 v2, 0x4f7ffffe, v2
	v_cvt_u32_f32_e32 v2, v2
	s_mov_b32 s24, 0
	s_mov_b32 s25, s24
	;; [unrolled: 1-line block ×3, first 2 shown]
	v_mul_lo_u32 v4, s10, v2
	v_mul_hi_u32 v4, v2, v4
	v_add_u32_e32 v37, v2, v4
	v_mov_b32_e32 v2, s3
	s_lshl_b64 s[2:3], s[36:37], 2
	v_addc_co_u32_e32 v39, vcc, 0, v2, vcc
	v_lshlrev_b64 v[2:3], 2, v[26:27]
	s_add_u32 s2, s34, s2
	s_addc_u32 s3, s35, s3
	v_add_co_u32_e32 v28, vcc, s2, v2
	v_lshlrev_b32_e32 v2, 4, v31
	v_mov_b32_e32 v4, s3
	v_lshl_or_b32 v2, v7, 6, v2
	v_addc_co_u32_e32 v29, vcc, v4, v3, vcc
	v_add_u32_e32 v27, 0x110, v2
	s_mov_b32 s27, s24
	v_pk_mov_b32 v[2:3], s[24:25], s[24:25] op_sel:[0,1]
	v_and_b32_e32 v36, 12, v6
	s_mov_b32 s18, s17
	s_mov_b64 s[10:11], 0
	v_pk_mov_b32 v[4:5], s[26:27], s[26:27] op_sel:[0,1]
	s_branch .LBB28_51
.LBB28_49:                              ;   in Loop: Header=BB28_51 Depth=1
	s_or_b64 exec, exec, s[2:3]
	s_waitcnt vmcnt(3) lgkmcnt(0)
	v_mul_f32_e32 v11, v7, v11
	v_fmac_f32_e32 v11, v6, v10
	s_waitcnt vmcnt(2)
	v_mul_f32_e32 v10, v7, v15
	v_fmac_f32_e32 v10, v6, v14
	v_fmac_f32_e32 v10, v8, v16
	;; [unrolled: 1-line block ×3, first 2 shown]
	v_add_f32_e32 v3, v3, v10
	s_waitcnt vmcnt(1)
	v_mul_f32_e32 v10, v7, v19
	s_waitcnt vmcnt(0)
	v_mul_f32_e32 v7, v7, v23
	v_fmac_f32_e32 v10, v6, v18
	v_fmac_f32_e32 v7, v6, v22
	v_fmac_f32_e32 v11, v8, v12
	v_fmac_f32_e32 v10, v8, v20
	v_fmac_f32_e32 v7, v8, v24
	v_fmac_f32_e32 v11, v9, v13
	v_fmac_f32_e32 v10, v9, v21
	v_fmac_f32_e32 v7, v9, v25
	v_add_f32_e32 v2, v2, v11
	v_add_f32_e32 v4, v4, v10
	;; [unrolled: 1-line block ×3, first 2 shown]
.LBB28_50:                              ;   in Loop: Header=BB28_51 Depth=1
	s_or_b64 exec, exec, s[12:13]
	v_add_co_u32_e32 v28, vcc, 8, v28
	v_add_u32_e32 v26, 2, v26
	v_addc_co_u32_e32 v29, vcc, 0, v29, vcc
	v_cmp_le_i32_e32 vcc, s20, v26
	v_add_u32_e32 v32, 32, v32
	s_or_b64 s[10:11], vcc, s[10:11]
	v_add_u32_e32 v27, 0x80, v27
	s_andn2_b64 exec, exec, s[10:11]
	s_cbranch_execz .LBB28_60
.LBB28_51:                              ; =>This Inner Loop Header: Depth=1
	v_sub_u32_e32 v7, 0, v32
	v_max_i32_e32 v7, v32, v7
	v_mul_hi_u32 v8, v7, s48
	v_mul_lo_u32 v9, v8, s33
	v_sub_u32_e32 v7, v7, v9
	v_add_u32_e32 v9, 1, v8
	v_cmp_le_u32_e32 vcc, s33, v7
	v_cndmask_b32_e32 v8, v8, v9, vcc
	v_subrev_u32_e32 v9, s33, v7
	v_cndmask_b32_e32 v7, v7, v9, vcc
	v_ashrrev_i32_e32 v6, 31, v32
	v_add_u32_e32 v9, 1, v8
	v_cmp_le_u32_e32 vcc, s33, v7
	v_xor_b32_e32 v6, s23, v6
	v_cndmask_b32_e32 v7, v8, v9, vcc
	v_xor_b32_e32 v7, v7, v6
	v_sub_u32_e32 v6, v7, v6
	v_add_u32_e32 v7, s49, v6
	v_sub_u32_e32 v9, 0, v7
	v_ashrrev_i32_e32 v8, 31, v7
	v_max_i32_e32 v7, v7, v9
	v_mul_hi_u32 v9, v7, v37
	v_mul_lo_u32 v9, v9, s9
	v_sub_u32_e32 v7, v7, v9
	v_subrev_u32_e32 v9, s9, v7
	v_cmp_le_u32_e32 vcc, s9, v7
	v_cndmask_b32_e32 v7, v7, v9, vcc
	v_subrev_u32_e32 v9, s9, v7
	v_cmp_le_u32_e32 vcc, s9, v7
	v_cndmask_b32_e32 v7, v7, v9, vcc
	v_xor_b32_e32 v7, v7, v8
	v_sub_u32_e32 v7, v7, v8
	v_cmp_eq_u32_e32 vcc, 0, v7
	v_cmp_lt_i32_e64 s[2:3], s5, v6
	s_or_b64 s[2:3], vcc, s[2:3]
	s_and_saveexec_b64 s[12:13], s[2:3]
	s_cbranch_execz .LBB28_50
; %bb.52:                               ;   in Loop: Header=BB28_51 Depth=1
	global_load_dword v6, v[28:29], off
	v_add_u32_e32 v40, v36, v32
	v_add_u32_e32 v43, 1, v40
	;; [unrolled: 1-line block ×4, first 2 shown]
	s_waitcnt vmcnt(0)
	v_mad_i64_i32 v[6:7], s[2:3], v6, s18, 0
	v_lshlrev_b64 v[6:7], 2, v[6:7]
	v_add_co_u32_e32 v22, vcc, v38, v6
	v_addc_co_u32_e32 v23, vcc, v39, v7, vcc
	global_load_dwordx4 v[10:13], v[22:23], off
	ds_read_b128 v[6:9], v27
	v_cmp_eq_u32_e32 vcc, s19, v26
	s_and_saveexec_b64 s[16:17], vcc
	s_cbranch_execnz .LBB28_56
; %bb.53:                               ;   in Loop: Header=BB28_51 Depth=1
	s_or_b64 exec, exec, s[16:17]
	global_load_dwordx4 v[14:17], v[22:23], off offset:1024
	s_and_saveexec_b64 s[16:17], vcc
	s_cbranch_execnz .LBB28_57
.LBB28_54:                              ;   in Loop: Header=BB28_51 Depth=1
	s_or_b64 exec, exec, s[16:17]
	global_load_dwordx4 v[18:21], v[22:23], off offset:2048
	s_and_saveexec_b64 s[16:17], vcc
	s_cbranch_execnz .LBB28_58
.LBB28_55:                              ;   in Loop: Header=BB28_51 Depth=1
	s_or_b64 exec, exec, s[16:17]
	global_load_dwordx4 v[22:25], v[22:23], off offset:3072
	s_and_saveexec_b64 s[2:3], vcc
	s_cbranch_execz .LBB28_49
	s_branch .LBB28_59
.LBB28_56:                              ;   in Loop: Header=BB28_51 Depth=1
	v_cmp_gt_i32_e64 s[2:3], s31, v40
	s_waitcnt vmcnt(0)
	v_cndmask_b32_e64 v10, 0, v10, s[2:3]
	v_cmp_gt_i32_e64 s[2:3], s31, v43
	v_cndmask_b32_e64 v11, 0, v11, s[2:3]
	v_cmp_gt_i32_e64 s[2:3], s31, v42
	;; [unrolled: 2-line block ×3, first 2 shown]
	v_cndmask_b32_e64 v13, 0, v13, s[2:3]
	s_or_b64 exec, exec, s[16:17]
	global_load_dwordx4 v[14:17], v[22:23], off offset:1024
	s_and_saveexec_b64 s[16:17], vcc
	s_cbranch_execz .LBB28_54
.LBB28_57:                              ;   in Loop: Header=BB28_51 Depth=1
	v_cmp_gt_i32_e64 s[2:3], s31, v40
	s_waitcnt vmcnt(0)
	v_cndmask_b32_e64 v14, 0, v14, s[2:3]
	v_cmp_gt_i32_e64 s[2:3], s31, v43
	v_cndmask_b32_e64 v15, 0, v15, s[2:3]
	v_cmp_gt_i32_e64 s[2:3], s31, v42
	;; [unrolled: 2-line block ×3, first 2 shown]
	v_cndmask_b32_e64 v17, 0, v17, s[2:3]
	s_or_b64 exec, exec, s[16:17]
	global_load_dwordx4 v[18:21], v[22:23], off offset:2048
	s_and_saveexec_b64 s[16:17], vcc
	s_cbranch_execz .LBB28_55
.LBB28_58:                              ;   in Loop: Header=BB28_51 Depth=1
	v_cmp_gt_i32_e64 s[2:3], s31, v40
	s_waitcnt vmcnt(0)
	v_cndmask_b32_e64 v18, 0, v18, s[2:3]
	v_cmp_gt_i32_e64 s[2:3], s31, v43
	v_cndmask_b32_e64 v19, 0, v19, s[2:3]
	v_cmp_gt_i32_e64 s[2:3], s31, v42
	;; [unrolled: 2-line block ×3, first 2 shown]
	v_cndmask_b32_e64 v21, 0, v21, s[2:3]
	s_or_b64 exec, exec, s[16:17]
	global_load_dwordx4 v[22:25], v[22:23], off offset:3072
	s_and_saveexec_b64 s[2:3], vcc
	s_cbranch_execz .LBB28_49
.LBB28_59:                              ;   in Loop: Header=BB28_51 Depth=1
	v_cmp_gt_i32_e32 vcc, s31, v40
	s_waitcnt vmcnt(0)
	v_cndmask_b32_e32 v22, 0, v22, vcc
	v_cmp_gt_i32_e32 vcc, s31, v43
	v_cndmask_b32_e32 v23, 0, v23, vcc
	v_cmp_gt_i32_e32 vcc, s31, v42
	;; [unrolled: 2-line block ×3, first 2 shown]
	v_cndmask_b32_e32 v25, 0, v25, vcc
	s_branch .LBB28_49
.LBB28_60:
	s_or_b64 exec, exec, s[10:11]
.LBB28_61:
	s_or_b64 exec, exec, s[6:7]
	ds_bpermute_b32 v6, v35, v2
	ds_bpermute_b32 v7, v35, v3
	;; [unrolled: 1-line block ×4, first 2 shown]
	v_and_b32_e32 v0, 0x3c3, v0
	v_cmp_eq_u32_e32 vcc, 64, v0
	s_waitcnt lgkmcnt(2)
	v_pk_add_f32 v[2:3], v[2:3], v[6:7]
	ds_bpermute_b32 v6, v34, v2
	s_waitcnt lgkmcnt(1)
	v_pk_add_f32 v[4:5], v[4:5], v[8:9]
	ds_bpermute_b32 v7, v34, v3
	ds_bpermute_b32 v8, v34, v4
	;; [unrolled: 1-line block ×3, first 2 shown]
	s_waitcnt lgkmcnt(0)
	s_barrier
	v_pk_add_f32 v[2:3], v[2:3], v[6:7]
	v_pk_add_f32 v[4:5], v[4:5], v[8:9]
	s_and_saveexec_b64 s[2:3], vcc
	s_cbranch_execz .LBB28_63
; %bb.62:
	v_add_u32_e32 v6, 0x110, v33
	ds_write2_b32 v6, v2, v3 offset1:16
	ds_write2_b32 v6, v4, v5 offset0:32 offset1:48
.LBB28_63:
	s_or_b64 exec, exec, s[2:3]
	s_waitcnt lgkmcnt(0)
	s_barrier
	s_and_saveexec_b64 s[2:3], s[0:1]
	s_cbranch_execz .LBB28_70
; %bb.64:
	v_cmp_eq_u32_e32 vcc, 0, v31
	s_and_saveexec_b64 s[0:1], vcc
	s_cbranch_execnz .LBB28_73
; %bb.65:
	s_or_b64 exec, exec, s[0:1]
	s_and_saveexec_b64 s[0:1], vcc
	s_cbranch_execnz .LBB28_74
.LBB28_66:
	s_or_b64 exec, exec, s[0:1]
	s_and_saveexec_b64 s[0:1], vcc
	s_cbranch_execnz .LBB28_75
.LBB28_67:
	s_or_b64 exec, exec, s[0:1]
	s_and_saveexec_b64 s[0:1], vcc
	s_cbranch_execz .LBB28_69
.LBB28_68:
	v_mov_b32_e32 v6, 0x110
	v_lshl_add_u32 v6, v30, 2, v6
	ds_read_b32 v6, v6 offset:192
	s_waitcnt lgkmcnt(0)
	v_add_f32_e32 v5, v5, v6
.LBB28_69:
	s_or_b64 exec, exec, s[0:1]
.LBB28_70:
	s_or_b64 exec, exec, s[2:3]
	v_cmp_eq_u32_e32 vcc, 0, v0
	s_barrier
	s_and_saveexec_b64 s[0:1], vcc
	s_cbranch_execz .LBB28_72
; %bb.71:
	s_lshl_b32 s0, s4, 6
	s_ashr_i32 s1, s0, 31
	s_lshl_b64 s[0:1], s[0:1], 2
	s_add_u32 s2, s28, s0
	s_mul_i32 s0, s15, s14
	s_addc_u32 s3, s29, s1
	s_ashr_i32 s1, s0, 31
	s_lshl_b64 s[0:1], s[0:1], 2
	s_add_u32 s2, s2, s0
	s_addc_u32 s3, s3, s1
	s_lshl_b32 s0, s8, 6
	s_ashr_i32 s1, s0, 31
	s_lshl_b64 s[0:1], s[0:1], 2
	s_add_u32 s0, s2, s0
	s_addc_u32 s1, s3, s1
	global_store_dword v1, v2, s[0:1]
	global_store_dword v1, v3, s[0:1] offset:64
	global_store_dword v1, v4, s[0:1] offset:128
	;; [unrolled: 1-line block ×3, first 2 shown]
.LBB28_72:
	s_endpgm
.LBB28_73:
	v_mov_b32_e32 v6, 0x110
	v_lshl_add_u32 v6, v30, 2, v6
	ds_read_b32 v6, v6
	s_waitcnt lgkmcnt(0)
	v_add_f32_e32 v2, v2, v6
	s_or_b64 exec, exec, s[0:1]
	s_and_saveexec_b64 s[0:1], vcc
	s_cbranch_execz .LBB28_66
.LBB28_74:
	v_mov_b32_e32 v6, 0x110
	v_lshl_add_u32 v6, v30, 2, v6
	ds_read_b32 v6, v6 offset:64
	s_waitcnt lgkmcnt(0)
	v_add_f32_e32 v3, v3, v6
	s_or_b64 exec, exec, s[0:1]
	s_and_saveexec_b64 s[0:1], vcc
	s_cbranch_execz .LBB28_67
.LBB28_75:
	v_mov_b32_e32 v6, 0x110
	v_lshl_add_u32 v6, v30, 2, v6
	ds_read_b32 v6, v6 offset:128
	s_waitcnt lgkmcnt(0)
	v_add_f32_e32 v4, v4, v6
	s_or_b64 exec, exec, s[0:1]
	s_and_saveexec_b64 s[0:1], vcc
	s_cbranch_execnz .LBB28_68
	s_branch .LBB28_69
	.section	.rodata,"a",@progbits
	.p2align	6, 0x0
	.amdhsa_kernel _ZN4vllm25paged_attention_v2_kernelIffLi64ELi16ELi128ELNS_18Fp8KVCacheDataTypeE0ELb1ELi512EEEvPfS2_PT_PKS3_PKT0_S9_ifPKiSB_iPKfiiiSD_SD_iiiii
		.amdhsa_group_segment_fixed_size 272
		.amdhsa_private_segment_fixed_size 0
		.amdhsa_kernarg_size 400
		.amdhsa_user_sgpr_count 6
		.amdhsa_user_sgpr_private_segment_buffer 1
		.amdhsa_user_sgpr_dispatch_ptr 0
		.amdhsa_user_sgpr_queue_ptr 0
		.amdhsa_user_sgpr_kernarg_segment_ptr 1
		.amdhsa_user_sgpr_dispatch_id 0
		.amdhsa_user_sgpr_flat_scratch_init 0
		.amdhsa_user_sgpr_kernarg_preload_length 0
		.amdhsa_user_sgpr_kernarg_preload_offset 0
		.amdhsa_user_sgpr_private_segment_size 0
		.amdhsa_uses_dynamic_stack 0
		.amdhsa_system_sgpr_private_segment_wavefront_offset 0
		.amdhsa_system_sgpr_workgroup_id_x 1
		.amdhsa_system_sgpr_workgroup_id_y 1
		.amdhsa_system_sgpr_workgroup_id_z 1
		.amdhsa_system_sgpr_workgroup_info 0
		.amdhsa_system_vgpr_workitem_id 0
		.amdhsa_next_free_vgpr 60
		.amdhsa_next_free_sgpr 54
		.amdhsa_accum_offset 60
		.amdhsa_reserve_vcc 1
		.amdhsa_reserve_flat_scratch 0
		.amdhsa_float_round_mode_32 0
		.amdhsa_float_round_mode_16_64 0
		.amdhsa_float_denorm_mode_32 3
		.amdhsa_float_denorm_mode_16_64 3
		.amdhsa_dx10_clamp 1
		.amdhsa_ieee_mode 1
		.amdhsa_fp16_overflow 0
		.amdhsa_tg_split 0
		.amdhsa_exception_fp_ieee_invalid_op 0
		.amdhsa_exception_fp_denorm_src 0
		.amdhsa_exception_fp_ieee_div_zero 0
		.amdhsa_exception_fp_ieee_overflow 0
		.amdhsa_exception_fp_ieee_underflow 0
		.amdhsa_exception_fp_ieee_inexact 0
		.amdhsa_exception_int_div_zero 0
	.end_amdhsa_kernel
	.section	.text._ZN4vllm25paged_attention_v2_kernelIffLi64ELi16ELi128ELNS_18Fp8KVCacheDataTypeE0ELb1ELi512EEEvPfS2_PT_PKS3_PKT0_S9_ifPKiSB_iPKfiiiSD_SD_iiiii,"axG",@progbits,_ZN4vllm25paged_attention_v2_kernelIffLi64ELi16ELi128ELNS_18Fp8KVCacheDataTypeE0ELb1ELi512EEEvPfS2_PT_PKS3_PKT0_S9_ifPKiSB_iPKfiiiSD_SD_iiiii,comdat
.Lfunc_end28:
	.size	_ZN4vllm25paged_attention_v2_kernelIffLi64ELi16ELi128ELNS_18Fp8KVCacheDataTypeE0ELb1ELi512EEEvPfS2_PT_PKS3_PKT0_S9_ifPKiSB_iPKfiiiSD_SD_iiiii, .Lfunc_end28-_ZN4vllm25paged_attention_v2_kernelIffLi64ELi16ELi128ELNS_18Fp8KVCacheDataTypeE0ELb1ELi512EEEvPfS2_PT_PKS3_PKT0_S9_ifPKiSB_iPKfiiiSD_SD_iiiii
                                        ; -- End function
	.section	.AMDGPU.csdata,"",@progbits
; Kernel info:
; codeLenInByte = 4860
; NumSgprs: 58
; NumVgprs: 60
; NumAgprs: 0
; TotalNumVgprs: 60
; ScratchSize: 0
; MemoryBound: 0
; FloatMode: 240
; IeeeMode: 1
; LDSByteSize: 272 bytes/workgroup (compile time only)
; SGPRBlocks: 7
; VGPRBlocks: 7
; NumSGPRsForWavesPerEU: 58
; NumVGPRsForWavesPerEU: 60
; AccumOffset: 60
; Occupancy: 8
; WaveLimiterHint : 1
; COMPUTE_PGM_RSRC2:SCRATCH_EN: 0
; COMPUTE_PGM_RSRC2:USER_SGPR: 6
; COMPUTE_PGM_RSRC2:TRAP_HANDLER: 0
; COMPUTE_PGM_RSRC2:TGID_X_EN: 1
; COMPUTE_PGM_RSRC2:TGID_Y_EN: 1
; COMPUTE_PGM_RSRC2:TGID_Z_EN: 1
; COMPUTE_PGM_RSRC2:TIDIG_COMP_CNT: 0
; COMPUTE_PGM_RSRC3_GFX90A:ACCUM_OFFSET: 14
; COMPUTE_PGM_RSRC3_GFX90A:TG_SPLIT: 0
	.section	.text._ZN4vllm25paged_attention_v2_kernelIffLi80ELi16ELi128ELNS_18Fp8KVCacheDataTypeE0ELb1ELi512EEEvPfS2_PT_PKS3_PKT0_S9_ifPKiSB_iPKfiiiSD_SD_iiiii,"axG",@progbits,_ZN4vllm25paged_attention_v2_kernelIffLi80ELi16ELi128ELNS_18Fp8KVCacheDataTypeE0ELb1ELi512EEEvPfS2_PT_PKS3_PKT0_S9_ifPKiSB_iPKfiiiSD_SD_iiiii,comdat
	.protected	_ZN4vllm25paged_attention_v2_kernelIffLi80ELi16ELi128ELNS_18Fp8KVCacheDataTypeE0ELb1ELi512EEEvPfS2_PT_PKS3_PKT0_S9_ifPKiSB_iPKfiiiSD_SD_iiiii ; -- Begin function _ZN4vllm25paged_attention_v2_kernelIffLi80ELi16ELi128ELNS_18Fp8KVCacheDataTypeE0ELb1ELi512EEEvPfS2_PT_PKS3_PKT0_S9_ifPKiSB_iPKfiiiSD_SD_iiiii
	.globl	_ZN4vllm25paged_attention_v2_kernelIffLi80ELi16ELi128ELNS_18Fp8KVCacheDataTypeE0ELb1ELi512EEEvPfS2_PT_PKS3_PKT0_S9_ifPKiSB_iPKfiiiSD_SD_iiiii
	.p2align	8
	.type	_ZN4vllm25paged_attention_v2_kernelIffLi80ELi16ELi128ELNS_18Fp8KVCacheDataTypeE0ELb1ELi512EEEvPfS2_PT_PKS3_PKT0_S9_ifPKiSB_iPKfiiiSD_SD_iiiii,@function
_ZN4vllm25paged_attention_v2_kernelIffLi80ELi16ELi128ELNS_18Fp8KVCacheDataTypeE0ELb1ELi512EEEvPfS2_PT_PKS3_PKT0_S9_ifPKiSB_iPKfiiiSD_SD_iiiii: ; @_ZN4vllm25paged_attention_v2_kernelIffLi80ELi16ELi128ELNS_18Fp8KVCacheDataTypeE0ELb1ELi512EEEvPfS2_PT_PKS3_PKT0_S9_ifPKiSB_iPKfiiiSD_SD_iiiii
; %bb.0:
	s_load_dwordx2 s[0:1], s[4:5], 0x40
	s_mov_b32 s28, s7
	s_ashr_i32 s29, s7, 31
	s_lshl_b64 s[2:3], s[28:29], 2
	s_waitcnt lgkmcnt(0)
	s_add_u32 s0, s0, s2
	s_addc_u32 s1, s1, s3
	s_load_dword s29, s[0:1], 0x0
	s_lshl_b32 s49, s8, 9
	s_waitcnt lgkmcnt(0)
	s_cmp_ge_i32 s49, s29
	s_cbranch_scc1 .LBB29_75
; %bb.1:
	s_load_dword s9, s[4:5], 0x90
	s_load_dwordx2 s[38:39], s[4:5], 0x30
	s_mov_b32 s50, 0
	s_waitcnt lgkmcnt(0)
	s_abs_i32 s2, s9
	s_abs_i32 s0, s38
	v_cvt_f32_u32_e32 v1, s0
	s_sub_i32 s3, 0, s0
	s_xor_b32 s1, s9, s38
	s_ashr_i32 s1, s1, 31
	v_rcp_iflag_f32_e32 v1, v1
	v_mul_f32_e32 v1, 0x4f7ffffe, v1
	v_cvt_u32_f32_e32 v1, v1
	v_readfirstlane_b32 s7, v1
	s_mul_i32 s3, s3, s7
	s_mul_hi_u32 s3, s7, s3
	s_add_i32 s7, s7, s3
	s_mul_hi_u32 s3, s2, s7
	s_mul_i32 s7, s3, s0
	s_sub_i32 s2, s2, s7
	s_add_i32 s10, s3, 1
	s_sub_i32 s7, s2, s0
	s_cmp_ge_u32 s2, s0
	s_cselect_b32 s3, s10, s3
	s_cselect_b32 s2, s7, s2
	s_add_i32 s7, s3, 1
	s_cmp_ge_u32 s2, s0
	s_cselect_b32 s0, s7, s3
	s_xor_b32 s0, s0, s1
	s_sub_i32 s11, s0, s1
	s_abs_i32 s2, s11
	v_cvt_f32_u32_e32 v1, s2
	s_load_dwordx2 s[0:1], s[4:5], 0x50
	s_sub_i32 s7, 0, s2
	s_abs_i32 s3, s6
	v_rcp_iflag_f32_e32 v1, v1
	v_mul_f32_e32 v1, 0x4f7ffffe, v1
	v_cvt_u32_f32_e32 v1, v1
	v_readfirstlane_b32 s10, v1
	s_mul_i32 s7, s7, s10
	s_mul_hi_u32 s7, s10, s7
	s_add_i32 s10, s10, s7
	s_waitcnt lgkmcnt(0)
	s_cmp_eq_u64 s[0:1], 0
	s_mul_hi_u32 s10, s3, s10
	s_cbranch_scc1 .LBB29_3
; %bb.2:
	s_ashr_i32 s7, s6, 31
	s_lshl_b64 s[12:13], s[6:7], 2
	s_add_u32 s0, s0, s12
	s_addc_u32 s1, s1, s13
	s_load_dword s50, s[0:1], 0x0
.LBB29_3:
	s_load_dwordx4 s[12:15], s[4:5], 0x58
	v_lshrrev_b32_e32 v36, 2, v0
	s_waitcnt lgkmcnt(0)
	s_movk_i32 s15, 0x50
	s_ashr_i32 s7, s6, 31
	s_ashr_i32 s11, s11, 31
	v_and_b32_e32 v37, 3, v0
	s_mul_i32 s24, s6, 0x50
	v_cmp_gt_u32_e32 vcc, s15, v0
	v_lshlrev_b32_e32 v8, 2, v0
	v_lshlrev_b32_e32 v1, 2, v36
	s_and_saveexec_b64 s[0:1], vcc
	s_cbranch_execz .LBB29_5
; %bb.4:
	s_load_dwordx2 s[16:17], s[4:5], 0x18
	s_mul_i32 s18, s28, s12
	s_ashr_i32 s19, s18, 31
	s_lshl_b64 s[18:19], s[18:19], 2
	v_mad_u32_u24 v3, v37, s15, v1
	s_waitcnt lgkmcnt(0)
	s_add_u32 s12, s16, s18
	s_addc_u32 s18, s17, s19
	s_ashr_i32 s25, s24, 31
	s_lshl_b64 s[16:17], s[24:25], 2
	s_add_u32 s16, s12, s16
	s_addc_u32 s17, s18, s17
	global_load_dword v2, v8, s[16:17]
	s_waitcnt vmcnt(0)
	ds_write_b32 v3, v2
.LBB29_5:
	s_or_b64 exec, exec, s[0:1]
	s_mul_i32 s1, s10, s2
	s_sub_i32 s1, s3, s1
	s_xor_b32 s0, s7, s11
	s_add_i32 s3, s10, 1
	s_sub_i32 s7, s1, s2
	s_load_dwordx4 s[16:19], s[4:5], 0x78
	s_cmp_ge_u32 s1, s2
	s_cselect_b32 s3, s3, s10
	s_load_dword s10, s[4:5], 0x88
	s_cselect_b32 s1, s7, s1
	s_add_i32 s7, s3, 1
	s_cmp_ge_u32 s1, s2
	s_cselect_b32 s1, s7, s3
	s_waitcnt lgkmcnt(0)
	s_abs_i32 s25, s19
	v_cvt_f32_u32_e32 v2, s25
	s_xor_b32 s1, s1, s0
	s_sub_i32 s2, s1, s0
	s_sub_i32 s0, 0, s25
	v_rcp_iflag_f32_e32 v2, v2
	s_add_i32 s11, s29, -1
	s_abs_i32 s3, s11
	v_mul_f32_e32 v2, 0x4f7ffffe, v2
	v_cvt_u32_f32_e32 v2, v2
	s_barrier
	v_readfirstlane_b32 s33, v2
	s_mul_i32 s0, s0, s33
	s_mul_hi_u32 s0, s33, s0
	s_add_i32 s33, s33, s0
	s_cmp_lt_i32 s10, 0
	s_mul_hi_u32 s7, s3, s33
	s_cbranch_scc0 .LBB29_7
; %bb.6:
	s_mul_i32 s0, s16, s38
	s_add_i32 s0, s2, s0
	s_mul_i32 s0, s0, s10
	s_sub_i32 s46, 1, s0
	s_mov_b64 s[0:1], 0
	s_branch .LBB29_8
.LBB29_7:
	s_mov_b64 s[0:1], -1
                                        ; implicit-def: $sgpr46
.LBB29_8:
	s_load_dwordx2 s[30:31], s[4:5], 0x38
	s_ashr_i32 s11, s11, 31
	s_andn2_b64 vcc, exec, s[0:1]
	s_ashr_i32 s47, s19, 31
	s_cbranch_vccnz .LBB29_10
; %bb.9:
	s_mul_i32 s0, s9, s16
	s_add_i32 s0, s0, s6
	s_mul_i32 s0, s0, s10
	s_add_i32 s46, s0, 1
.LBB29_10:
	s_load_dword s0, s[4:5], 0x48
	s_load_dwordx2 s[36:37], s[4:5], 0x28
	s_load_dword s19, s[4:5], 0x98
	s_load_dwordx4 s[20:23], s[4:5], 0x0
	s_load_dwordx2 s[26:27], s[4:5], 0x10
	s_mul_i32 s1, s7, s25
	s_waitcnt lgkmcnt(0)
	s_mul_i32 s34, s28, s0
	s_sub_i32 s1, s3, s1
	s_ashr_i32 s35, s34, 31
	s_xor_b32 s0, s11, s47
	s_add_i32 s3, s7, 1
	s_sub_i32 s10, s1, s25
	s_cmp_ge_u32 s1, s25
	s_cselect_b32 s3, s3, s7
	s_cselect_b32 s1, s10, s1
	s_add_i32 s7, s3, 1
	s_cmp_ge_u32 s1, s25
	s_cselect_b32 s1, s7, s3
	s_xor_b32 s1, s1, s0
	s_sub_i32 s16, s1, s0
	s_add_i32 s0, s29, 15
	s_ashr_i32 s1, s0, 31
	s_lshr_b32 s1, s1, 28
	s_add_i32 s0, s0, s1
	s_lshl_b32 s12, s8, 5
	s_ashr_i32 s7, s0, 4
	s_add_i32 s0, s12, 32
	v_lshrrev_b32_e32 v9, 6, v0
	s_min_i32 s48, s0, s7
	v_or_b32_e32 v32, s12, v9
	v_cmp_gt_i32_e64 s[0:1], s48, v32
	v_mov_b32_e32 v12, 0xff7fffff
	s_mul_i32 s14, s2, s14
	v_ashrrev_i32_e32 v33, 31, v32
	v_lshl_add_u32 v7, v9, 4, s49
	v_mbcnt_lo_u32_b32 v4, -1, 0
	s_and_saveexec_b64 s[40:41], s[0:1]
	s_cbranch_execz .LBB29_20
; %bb.11:
	s_load_dwordx2 s[2:3], s[4:5], 0x20
	s_ashr_i32 s15, s14, 31
	s_sub_i32 s38, s16, s17
	s_lshl_b64 s[4:5], s[14:15], 2
	v_bfe_u32 v5, v0, 2, 4
	s_waitcnt lgkmcnt(0)
	s_add_u32 s2, s2, s4
	s_addc_u32 s3, s3, s5
	s_abs_i32 s15, s18
	v_cvt_f32_u32_e32 v6, s15
	v_lshlrev_b32_e32 v2, 4, v5
	v_mov_b32_e32 v3, s3
	v_add_co_u32_e64 v2, s[2:3], s2, v2
	v_rcp_iflag_f32_e32 v11, v6
	v_addc_co_u32_e64 v3, s[2:3], 0, v3, s[2:3]
	v_lshlrev_b32_e32 v10, 2, v37
	v_add_co_u32_e64 v6, s[2:3], v2, v10
	v_mul_f32_e32 v2, 0x4f7ffffe, v11
	v_cvt_u32_f32_e32 v2, v2
	s_sub_i32 s4, 0, s15
	v_lshlrev_b32_e32 v12, 2, v5
	v_addc_co_u32_e64 v10, s[2:3], 0, v3, s[2:3]
	v_mul_lo_u32 v3, s4, v2
	s_lshl_b64 s[4:5], s[34:35], 2
	v_mul_hi_u32 v3, v2, v3
	s_add_u32 s4, s30, s4
	v_lshl_or_b32 v12, v9, 6, v12
	v_add_u32_e32 v13, v2, v3
	v_lshlrev_b64 v[2:3], 2, v[32:33]
	s_addc_u32 s5, s31, s5
	v_add_u32_e32 v15, 0x150, v12
	v_subrev_u32_e32 v12, s29, v5
	v_mbcnt_hi_u32_b32 v18, -1, v4
	v_mov_b32_e32 v14, s5
	v_add_co_u32_e64 v2, s[4:5], s4, v2
	v_add_u32_e32 v16, 1, v12
	v_and_b32_e32 v12, 64, v18
	v_cmp_eq_u32_e32 vcc, 0, v37
	s_mov_b32 s51, s13
	v_mul_u32_u24_e32 v11, 0x50, v37
	v_cmp_neq_f32_e64 s[2:3], s50, 0
	v_addc_co_u32_e64 v3, s[4:5], v14, v3, s[4:5]
	v_lshl_add_u32 v14, v9, 4, s49
	s_mov_b64 s[42:43], 0
	v_mov_b32_e32 v17, 0xff7fffff
	s_movk_i32 s52, 0x1000
	v_add_u32_e32 v19, 64, v12
	v_xor_b32_e32 v20, 2, v18
	v_xor_b32_e32 v21, 1, v18
	v_mov_b32_e32 v12, 0xff7fffff
	v_mov_b32_e32 v22, v32
	s_branch .LBB29_14
.LBB29_12:                              ;   in Loop: Header=BB29_14 Depth=1
	s_or_b64 exec, exec, s[44:45]
.LBB29_13:                              ;   in Loop: Header=BB29_14 Depth=1
	s_or_b64 exec, exec, s[10:11]
	v_add_co_u32_e64 v2, s[4:5], 8, v2
	v_add_u32_e32 v22, 2, v22
	v_addc_co_u32_e64 v3, s[4:5], 0, v3, s[4:5]
	v_cmp_le_i32_e64 s[4:5], s48, v22
	v_add_u32_e32 v14, 32, v14
	s_or_b64 s[42:43], s[4:5], s[42:43]
	v_add_u32_e32 v15, 0x80, v15
	s_andn2_b64 exec, exec, s[42:43]
	s_cbranch_execz .LBB29_19
.LBB29_14:                              ; =>This Inner Loop Header: Depth=1
	s_waitcnt lgkmcnt(0)
	v_sub_u32_e32 v24, 0, v14
	v_max_i32_e32 v24, v14, v24
	v_mul_hi_u32 v25, v24, s33
	v_mul_lo_u32 v26, v25, s25
	v_sub_u32_e32 v24, v24, v26
	v_add_u32_e32 v26, 1, v25
	v_cmp_le_u32_e64 s[4:5], s25, v24
	v_cndmask_b32_e64 v25, v25, v26, s[4:5]
	v_subrev_u32_e32 v26, s25, v24
	v_cndmask_b32_e64 v24, v24, v26, s[4:5]
	v_ashrrev_i32_e32 v23, 31, v14
	v_add_u32_e32 v26, 1, v25
	v_cmp_le_u32_e64 s[4:5], s25, v24
	v_xor_b32_e32 v23, s47, v23
	v_cndmask_b32_e64 v24, v25, v26, s[4:5]
	v_xor_b32_e32 v24, v24, v23
	v_sub_u32_e32 v23, v24, v23
	v_add_u32_e32 v24, s46, v23
	v_sub_u32_e32 v26, 0, v24
	v_ashrrev_i32_e32 v25, 31, v24
	v_max_i32_e32 v24, v24, v26
	v_mul_hi_u32 v26, v24, v13
	v_mul_lo_u32 v26, v26, s15
	v_sub_u32_e32 v24, v24, v26
	v_subrev_u32_e32 v26, s15, v24
	v_cmp_le_u32_e64 s[4:5], s15, v24
	v_cndmask_b32_e64 v24, v24, v26, s[4:5]
	v_subrev_u32_e32 v26, s15, v24
	v_cmp_le_u32_e64 s[4:5], s15, v24
	v_cndmask_b32_e64 v24, v24, v26, s[4:5]
	v_xor_b32_e32 v24, v24, v25
	v_sub_u32_e32 v24, v24, v25
	v_cmp_ne_u32_e64 s[4:5], 0, v24
	v_cmp_ge_i32_e64 s[10:11], s38, v23
	s_and_b64 s[4:5], s[4:5], s[10:11]
	s_and_b64 s[44:45], vcc, s[4:5]
	s_and_saveexec_b64 s[10:11], s[44:45]
	s_cbranch_execz .LBB29_16
; %bb.15:                               ;   in Loop: Header=BB29_14 Depth=1
	ds_write_b32 v15, v17
.LBB29_16:                              ;   in Loop: Header=BB29_14 Depth=1
	s_or_b64 exec, exec, s[10:11]
	s_xor_b64 s[4:5], s[4:5], -1
	s_and_saveexec_b64 s[10:11], s[4:5]
	s_cbranch_execz .LBB29_13
; %bb.17:                               ;   in Loop: Header=BB29_14 Depth=1
	global_load_dword v23, v[2:3], off
	s_waitcnt vmcnt(0)
	v_mad_i64_i32 v[24:25], s[4:5], v23, s51, 0
	v_lshlrev_b64 v[24:25], 2, v[24:25]
	v_add_co_u32_e64 v24, s[4:5], v6, v24
	v_addc_co_u32_e64 v25, s[4:5], v10, v25, s[4:5]
	global_load_dword v23, v[24:25], off
	global_load_dword v34, v[24:25], off offset:256
	global_load_dword v35, v[24:25], off offset:512
	global_load_dword v50, v[24:25], off offset:768
	global_load_dword v51, v[24:25], off offset:1024
	global_load_dword v52, v[24:25], off offset:1280
	global_load_dword v53, v[24:25], off offset:1536
	global_load_dword v54, v[24:25], off offset:1792
	global_load_dword v55, v[24:25], off offset:2048
	global_load_dword v56, v[24:25], off offset:2304
	global_load_dword v57, v[24:25], off offset:2560
	global_load_dword v58, v[24:25], off offset:2816
	global_load_dword v59, v[24:25], off offset:3072
	global_load_dword v60, v[24:25], off offset:3328
	global_load_dword v61, v[24:25], off offset:3584
	global_load_dword v62, v[24:25], off offset:3840
	v_add_co_u32_e64 v24, s[4:5], s52, v24
	v_addc_co_u32_e64 v25, s[4:5], 0, v25, s[4:5]
	global_load_dword v63, v[24:25], off
	global_load_dword v64, v[24:25], off offset:256
	global_load_dword v65, v[24:25], off offset:512
	;; [unrolled: 1-line block ×3, first 2 shown]
	ds_read_b128 v[24:27], v11
	ds_read_b128 v[28:31], v11 offset:16
	ds_read_b128 v[38:41], v11 offset:32
	ds_read_b128 v[42:45], v11 offset:48
	ds_read_b128 v[46:49], v11 offset:64
	v_cmp_lt_i32_e64 s[4:5], v20, v19
	v_cndmask_b32_e64 v67, v18, v20, s[4:5]
	v_lshlrev_b32_e32 v67, 2, v67
	v_cmp_lt_i32_e64 s[4:5], v21, v19
	s_waitcnt vmcnt(18) lgkmcnt(4)
	v_mul_f32_e32 v25, v25, v34
	v_fmac_f32_e32 v25, v24, v23
	s_waitcnt vmcnt(17)
	v_fmac_f32_e32 v25, v26, v35
	s_waitcnt vmcnt(16)
	v_fmac_f32_e32 v25, v27, v50
	s_waitcnt vmcnt(15) lgkmcnt(3)
	v_fmac_f32_e32 v25, v28, v51
	s_waitcnt vmcnt(14)
	v_fmac_f32_e32 v25, v29, v52
	s_waitcnt vmcnt(13)
	v_fmac_f32_e32 v25, v30, v53
	s_waitcnt vmcnt(12)
	v_fmac_f32_e32 v25, v31, v54
	s_waitcnt vmcnt(11) lgkmcnt(2)
	v_fmac_f32_e32 v25, v38, v55
	s_waitcnt vmcnt(10)
	;; [unrolled: 8-line block ×4, first 2 shown]
	v_fmac_f32_e32 v25, v47, v64
	s_waitcnt vmcnt(1)
	v_fmac_f32_e32 v25, v48, v65
	s_waitcnt vmcnt(0)
	v_fmac_f32_e32 v25, v49, v66
	ds_bpermute_b32 v23, v67, v25
	v_cndmask_b32_e64 v24, v18, v21, s[4:5]
	v_lshlrev_b32_e32 v24, 2, v24
	s_waitcnt lgkmcnt(0)
	v_add_f32_e32 v23, v25, v23
	ds_bpermute_b32 v24, v24, v23
	s_and_saveexec_b64 s[44:45], vcc
	s_cbranch_execz .LBB29_12
; %bb.18:                               ;   in Loop: Header=BB29_14 Depth=1
	v_add_u32_e32 v25, v16, v14
	v_cvt_f32_i32_e32 v25, v25
	s_waitcnt lgkmcnt(0)
	v_add_f32_e32 v23, v23, v24
	v_add_u32_e32 v26, v5, v14
	v_cmp_gt_i32_e64 s[4:5], s29, v26
	v_mul_f32_e32 v24, s50, v25
	v_cndmask_b32_e64 v24, 0, v24, s[2:3]
	v_fmac_f32_e32 v24, s39, v23
	v_cndmask_b32_e64 v23, 0, v24, s[4:5]
	ds_write_b32 v15, v23
	v_max_f32_e32 v23, v12, v12
	v_max_f32_e32 v23, v23, v24
	v_cndmask_b32_e64 v12, v12, v23, s[4:5]
	s_branch .LBB29_12
.LBB29_19:
	s_or_b64 exec, exec, s[42:43]
.LBB29_20:
	s_or_b64 exec, exec, s[40:41]
	v_mbcnt_hi_u32_b32 v2, -1, v4
	v_and_b32_e32 v3, 64, v2
	v_add_u32_e32 v3, 64, v3
	v_xor_b32_e32 v4, 32, v2
	v_cmp_lt_i32_e32 vcc, v4, v3
	v_cndmask_b32_e32 v4, v2, v4, vcc
	v_lshlrev_b32_e32 v5, 2, v4
	ds_bpermute_b32 v4, v5, v12
	v_xor_b32_e32 v10, 16, v2
	v_max_f32_e32 v6, v12, v12
	v_cmp_lt_i32_e32 vcc, v10, v3
	v_xor_b32_e32 v11, 8, v2
	s_waitcnt lgkmcnt(0)
	v_max_f32_e32 v4, v4, v4
	v_max_f32_e32 v4, v6, v4
	v_cndmask_b32_e32 v6, v2, v10, vcc
	v_lshlrev_b32_e32 v6, 2, v6
	ds_bpermute_b32 v10, v6, v4
	v_cmp_lt_i32_e32 vcc, v11, v3
	v_and_b32_e32 v38, 63, v0
	s_waitcnt lgkmcnt(0)
	v_max_f32_e32 v10, v10, v10
	v_max_f32_e32 v4, v4, v10
	v_cndmask_b32_e32 v10, v2, v11, vcc
	v_lshlrev_b32_e32 v12, 2, v10
	ds_bpermute_b32 v10, v12, v4
	v_xor_b32_e32 v11, 4, v2
	v_cmp_lt_i32_e32 vcc, v11, v3
	s_waitcnt lgkmcnt(0)
	v_max_f32_e32 v10, v10, v10
	v_max_f32_e32 v4, v4, v10
	v_cndmask_b32_e32 v10, v2, v11, vcc
	v_lshlrev_b32_e32 v13, 2, v10
	ds_bpermute_b32 v11, v13, v4
	v_cmp_eq_u32_e32 vcc, 0, v38
	v_lshlrev_b32_e32 v10, 2, v9
	s_and_saveexec_b64 s[2:3], vcc
	s_cbranch_execz .LBB29_22
; %bb.21:
	s_waitcnt lgkmcnt(0)
	v_max_f32_e32 v11, v11, v11
	v_max_f32_e32 v4, v4, v4
	;; [unrolled: 1-line block ×3, first 2 shown]
	ds_write_b32 v10, v4 offset:320
.LBB29_22:
	s_or_b64 exec, exec, s[2:3]
	v_cmp_gt_u32_e64 s[2:3], 2, v38
	v_mov_b32_e32 v4, 0xff7fffff
	s_waitcnt lgkmcnt(0)
	v_lshlrev_b32_e32 v11, 2, v38
	s_barrier
	s_and_saveexec_b64 s[4:5], s[2:3]
	s_cbranch_execz .LBB29_24
; %bb.23:
	ds_read_b32 v4, v11 offset:320
.LBB29_24:
	s_or_b64 exec, exec, s[4:5]
	v_xor_b32_e32 v14, 1, v2
	v_cmp_lt_i32_e64 s[4:5], v14, v3
	v_cndmask_b32_e64 v14, v2, v14, s[4:5]
	v_lshlrev_b32_e32 v39, 2, v14
	s_waitcnt lgkmcnt(0)
	ds_bpermute_b32 v14, v39, v4
	v_max_f32_e32 v4, v4, v4
	s_sub_i32 s4, s48, s12
	s_lshl_b32 s4, s4, 4
	s_add_i32 s4, s4, s49
	s_waitcnt lgkmcnt(0)
	v_max_f32_e32 v14, v14, v14
	v_max_f32_e32 v4, v4, v14
	v_lshlrev_b32_e32 v14, 2, v2
	v_and_b32_e32 v14, 0x100, v14
	ds_bpermute_b32 v4, v14, v4
	s_min_i32 s15, s4, s29
	s_sub_i32 s12, s15, s49
	v_cmp_gt_i32_e64 s[4:5], s12, v0
	v_mov_b32_e32 v15, 0
	s_and_saveexec_b64 s[38:39], s[4:5]
	s_cbranch_execz .LBB29_28
; %bb.25:
	v_mov_b32_e32 v15, 0x150
	v_lshl_add_u32 v16, v0, 2, v15
	s_mov_b64 s[40:41], 0
	v_mov_b32_e32 v15, 0
	v_mov_b32_e32 v17, v0
.LBB29_26:                              ; =>This Inner Loop Header: Depth=1
	ds_read_b32 v18, v16
	v_add_u32_e32 v17, 0x80, v17
	v_cmp_le_i32_e64 s[10:11], s12, v17
	s_or_b64 s[40:41], s[10:11], s[40:41]
	s_waitcnt lgkmcnt(0)
	v_sub_f32_e32 v18, v18, v4
	v_mul_f32_e32 v18, 0x3fb8aa3b, v18
	v_exp_f32_e32 v18, v18
	ds_write_b32 v16, v18
	v_add_f32_e32 v15, v15, v18
	v_add_u32_e32 v16, 0x200, v16
	s_andn2_b64 exec, exec, s[40:41]
	s_cbranch_execnz .LBB29_26
; %bb.27:
	s_or_b64 exec, exec, s[40:41]
.LBB29_28:
	s_or_b64 exec, exec, s[38:39]
	ds_bpermute_b32 v5, v5, v15
	s_waitcnt lgkmcnt(0)
	v_add_f32_e32 v5, v15, v5
	ds_bpermute_b32 v6, v6, v5
	s_waitcnt lgkmcnt(0)
	v_add_f32_e32 v5, v5, v6
	ds_bpermute_b32 v6, v12, v5
	v_xor_b32_e32 v12, 2, v2
	v_cmp_lt_i32_e64 s[10:11], v12, v3
	v_cndmask_b32_e64 v2, v2, v12, s[10:11]
	v_lshlrev_b32_e32 v40, 2, v2
	s_waitcnt lgkmcnt(0)
	v_add_f32_e32 v5, v5, v6
	ds_bpermute_b32 v6, v13, v5
	s_waitcnt lgkmcnt(0)
	v_add_f32_e32 v3, v5, v6
	ds_bpermute_b32 v2, v40, v3
	;; [unrolled: 3-line block ×3, first 2 shown]
	s_waitcnt lgkmcnt(0)
	v_add_f32_e32 v2, v2, v3
	s_and_saveexec_b64 s[10:11], vcc
	s_cbranch_execz .LBB29_30
; %bb.29:
	ds_write_b32 v10, v2 offset:328
.LBB29_30:
	s_or_b64 exec, exec, s[10:11]
	s_waitcnt lgkmcnt(0)
	s_barrier
	s_and_saveexec_b64 s[10:11], s[2:3]
	s_cbranch_execz .LBB29_32
; %bb.31:
	ds_read_b32 v2, v11 offset:328
.LBB29_32:
	s_or_b64 exec, exec, s[10:11]
	s_waitcnt lgkmcnt(0)
	ds_bpermute_b32 v3, v39, v2
	s_waitcnt lgkmcnt(0)
	v_add_f32_e32 v2, v2, v3
	ds_bpermute_b32 v5, v14, v2
	s_and_saveexec_b64 s[2:3], s[4:5]
	s_cbranch_execz .LBB29_45
; %bb.33:
	s_waitcnt lgkmcnt(0)
	v_add_f32_e32 v2, 0x358637bd, v5
	v_div_scale_f32 v3, s[4:5], v2, v2, 1.0
	v_rcp_f32_e32 v6, v3
	v_div_scale_f32 v10, vcc, 1.0, v2, 1.0
	s_movk_i32 s4, 0x7f
	v_fma_f32 v11, -v3, v6, 1.0
	v_fmac_f32_e32 v6, v11, v6
	v_mul_f32_e32 v11, v10, v6
	v_fma_f32 v12, -v3, v11, v10
	v_fmac_f32_e32 v11, v12, v6
	v_fma_f32 v3, -v3, v11, v10
	v_div_fmas_f32 v3, v3, v6, v11
	v_div_fixup_f32 v2, v3, v2, 1.0
	v_xad_u32 v3, v0, -1, s15
	v_subrev_u32_e32 v6, s49, v3
	v_cmp_lt_u32_e32 vcc, s4, v6
	s_mov_b64 s[10:11], -1
	v_mov_b32_e32 v3, v0
	s_and_saveexec_b64 s[4:5], vcc
	s_cbranch_execz .LBB29_42
; %bb.34:
	v_lshrrev_b32_e32 v6, 7, v6
	v_add_u32_e32 v11, -1, v6
	v_lshrrev_b32_e32 v10, 1, v11
	v_mov_b32_e32 v3, v2
	v_add_u32_e32 v10, 1, v10
	v_cmp_lt_u32_e32 vcc, 13, v11
	v_mov_b32_e32 v13, 0
	s_and_saveexec_b64 s[10:11], vcc
	s_cbranch_execz .LBB29_38
; %bb.35:
	v_mov_b32_e32 v12, 0x150
	v_and_b32_e32 v11, -8, v10
	v_lshl_add_u32 v12, v0, 2, v12
	s_mov_b32 s15, 0
	s_mov_b64 s[38:39], 0
.LBB29_36:                              ; =>This Inner Loop Header: Depth=1
	ds_read2st64_b32 v[14:15], v12 offset1:2
	ds_read2st64_b32 v[16:17], v12 offset0:4 offset1:6
	ds_read2st64_b32 v[18:19], v12 offset0:8 offset1:10
	;; [unrolled: 1-line block ×3, first 2 shown]
	v_add_u32_e32 v11, -8, v11
	s_waitcnt lgkmcnt(3)
	v_pk_mul_f32 v[14:15], v[2:3], v[14:15]
	s_waitcnt lgkmcnt(2)
	v_pk_mul_f32 v[16:17], v[2:3], v[16:17]
	ds_write2st64_b32 v12, v14, v15 offset1:2
	ds_write2st64_b32 v12, v16, v17 offset0:4 offset1:6
	ds_read2st64_b32 v[16:17], v12 offset0:16 offset1:18
	s_waitcnt lgkmcnt(4)
	v_pk_mul_f32 v[14:15], v[2:3], v[18:19]
	ds_write2st64_b32 v12, v14, v15 offset0:8 offset1:10
	s_waitcnt lgkmcnt(4)
	v_pk_mul_f32 v[14:15], v[2:3], v[20:21]
	ds_write2st64_b32 v12, v14, v15 offset0:12 offset1:14
	ds_read2st64_b32 v[14:15], v12 offset0:20 offset1:22
	s_waitcnt lgkmcnt(3)
	v_pk_mul_f32 v[16:17], v[2:3], v[16:17]
	ds_read2st64_b32 v[18:19], v12 offset0:24 offset1:26
	ds_write2st64_b32 v12, v16, v17 offset0:16 offset1:18
	ds_read2st64_b32 v[16:17], v12 offset0:28 offset1:30
	s_waitcnt lgkmcnt(3)
	v_pk_mul_f32 v[14:15], v[2:3], v[14:15]
	ds_write2st64_b32 v12, v14, v15 offset0:20 offset1:22
	s_waitcnt lgkmcnt(3)
	v_pk_mul_f32 v[14:15], v[2:3], v[18:19]
	ds_write2st64_b32 v12, v14, v15 offset0:24 offset1:26
	s_waitcnt lgkmcnt(2)
	v_pk_mul_f32 v[14:15], v[2:3], v[16:17]
	s_add_i32 s15, s15, 16
	v_cmp_eq_u32_e32 vcc, 0, v11
	ds_write2st64_b32 v12, v14, v15 offset0:28 offset1:30
	v_add_u32_e32 v12, 0x2000, v12
	s_or_b64 s[38:39], vcc, s[38:39]
	v_mov_b32_e32 v13, s15
	s_andn2_b64 exec, exec, s[38:39]
	s_cbranch_execnz .LBB29_36
; %bb.37:
	s_or_b64 exec, exec, s[38:39]
.LBB29_38:
	s_or_b64 exec, exec, s[10:11]
	v_and_b32_e32 v10, 7, v10
	v_cmp_ne_u32_e32 vcc, 0, v10
	s_and_saveexec_b64 s[10:11], vcc
	s_cbranch_execz .LBB29_41
; %bb.39:
	v_lshlrev_b32_e32 v11, 9, v13
	s_movk_i32 s15, 0x150
	v_add3_u32 v11, v11, v8, s15
	s_mov_b64 s[38:39], 0
.LBB29_40:                              ; =>This Inner Loop Header: Depth=1
	ds_read2st64_b32 v[12:13], v11 offset1:2
	v_add_u32_e32 v10, -1, v10
	v_cmp_eq_u32_e32 vcc, 0, v10
	s_or_b64 s[38:39], vcc, s[38:39]
	s_waitcnt lgkmcnt(0)
	v_pk_mul_f32 v[12:13], v[2:3], v[12:13]
	ds_write2st64_b32 v11, v12, v13 offset1:2
	v_add_u32_e32 v11, 0x400, v11
	s_andn2_b64 exec, exec, s[38:39]
	s_cbranch_execnz .LBB29_40
.LBB29_41:
	s_or_b64 exec, exec, s[10:11]
	v_add_u32_e32 v6, 1, v6
	v_and_b32_e32 v10, 0x3fffffe, v6
	v_cmp_ne_u32_e32 vcc, v6, v10
	v_lshl_add_u32 v3, v10, 7, v0
	s_orn2_b64 s[10:11], vcc, exec
.LBB29_42:
	s_or_b64 exec, exec, s[4:5]
	s_and_b64 exec, exec, s[10:11]
	s_cbranch_execz .LBB29_45
; %bb.43:
	v_mov_b32_e32 v6, 0x150
	v_lshl_add_u32 v6, v3, 2, v6
	s_mov_b64 s[4:5], 0
.LBB29_44:                              ; =>This Inner Loop Header: Depth=1
	ds_read_b32 v10, v6
	v_add_u32_e32 v3, 0x80, v3
	v_cmp_le_i32_e32 vcc, s12, v3
	s_or_b64 s[4:5], vcc, s[4:5]
	s_waitcnt lgkmcnt(0)
	v_mul_f32_e32 v10, v2, v10
	ds_write_b32 v6, v10
	v_add_u32_e32 v6, 0x200, v6
	s_andn2_b64 exec, exec, s[4:5]
	s_cbranch_execnz .LBB29_44
.LBB29_45:
	s_or_b64 exec, exec, s[2:3]
	s_mul_i32 s2, s19, s28
	v_cmp_eq_u32_e32 vcc, 0, v0
	s_mul_i32 s2, s2, s9
	s_waitcnt lgkmcnt(0)
	s_barrier
	s_and_saveexec_b64 s[4:5], vcc
	s_cbranch_execz .LBB29_47
; %bb.46:
	s_ashr_i32 s3, s2, 31
	s_lshl_b64 s[10:11], s[2:3], 2
	s_add_u32 s3, s22, s10
	s_mul_i32 s22, s19, s6
	s_addc_u32 s9, s23, s11
	s_ashr_i32 s23, s22, 31
	s_lshl_b64 s[22:23], s[22:23], 2
	s_add_u32 s3, s3, s22
	s_addc_u32 s6, s9, s23
	s_ashr_i32 s9, s8, 31
	s_lshl_b64 s[38:39], s[8:9], 2
	s_add_u32 s40, s3, s38
	s_addc_u32 s41, s6, s39
	s_add_u32 s3, s20, s10
	s_addc_u32 s6, s21, s11
	;; [unrolled: 2-line block ×3, first 2 shown]
	s_add_u32 s10, s3, s38
	v_mov_b32_e32 v2, 0
	s_addc_u32 s11, s6, s39
	global_store_dword v2, v4, s[40:41]
	global_store_dword v2, v5, s[10:11]
.LBB29_47:
	s_or_b64 exec, exec, s[4:5]
	s_mov_b32 s12, 0
	v_mov_b32_e32 v6, 0
	v_mov_b32_e32 v5, 0
	;; [unrolled: 1-line block ×5, first 2 shown]
	s_and_saveexec_b64 s[4:5], s[0:1]
	s_cbranch_execz .LBB29_63
; %bb.48:
	s_ashr_i32 s15, s14, 31
	s_sub_i32 s3, s16, s17
	s_lshl_b64 s[0:1], s[14:15], 2
	s_add_u32 s9, s36, s0
	s_addc_u32 s17, s37, s1
	s_abs_i32 s18, s18
	v_cvt_f32_u32_e32 v2, s18
	s_sub_i32 s6, 0, s18
	s_add_i32 s21, s7, -1
	s_lshl_b64 s[0:1], s[34:35], 2
	v_rcp_iflag_f32_e32 v2, v2
	s_add_u32 s0, s30, s0
	s_addc_u32 s1, s31, s1
	v_and_b32_e32 v41, 12, v8
	v_mul_f32_e32 v2, 0x4f7ffffe, v2
	v_cvt_u32_f32_e32 v2, v2
	v_and_b32_e32 v8, 0xfc, v8
	v_mov_b32_e32 v4, s1
	s_mov_b32 s20, s13
	v_mul_lo_u32 v3, s6, v2
	v_mul_hi_u32 v3, v2, v3
	v_add_u32_e32 v42, v2, v3
	v_lshlrev_b64 v[2:3], 2, v[32:33]
	v_add_co_u32_e32 v34, vcc, s0, v2
	v_lshlrev_b32_e32 v2, 4, v37
	v_lshl_or_b32 v2, v9, 6, v2
	v_or_b32_e32 v10, 0x400, v8
	v_addc_co_u32_e32 v35, vcc, v4, v3, vcc
	v_add_u32_e32 v33, 0x150, v2
	s_mov_b32 s13, s12
	s_mov_b32 s14, s12
	;; [unrolled: 1-line block ×4, first 2 shown]
	v_mov_b32_e32 v2, s12
	s_mov_b64 s[6:7], 0
	v_mov_b32_e32 v3, s13
	v_mov_b32_e32 v4, s14
	v_mov_b32_e32 v5, s15
	v_mov_b32_e32 v6, s16
	v_lshlrev_b32_e32 v43, 2, v8
	v_lshlrev_b32_e32 v44, 2, v10
	s_branch .LBB29_51
.LBB29_49:                              ;   in Loop: Header=BB29_51 Depth=1
	s_or_b64 exec, exec, s[0:1]
	s_waitcnt vmcnt(4) lgkmcnt(0)
	v_mul_f32_e32 v13, v9, v13
	v_fmac_f32_e32 v13, v8, v12
	s_waitcnt vmcnt(3)
	v_mul_f32_e32 v12, v9, v17
	v_fmac_f32_e32 v12, v8, v16
	v_fmac_f32_e32 v12, v10, v18
	;; [unrolled: 1-line block ×3, first 2 shown]
	v_add_f32_e32 v3, v3, v12
	s_waitcnt vmcnt(2)
	v_mul_f32_e32 v12, v9, v21
	v_fmac_f32_e32 v12, v8, v20
	v_fmac_f32_e32 v12, v10, v22
	;; [unrolled: 1-line block ×3, first 2 shown]
	v_add_f32_e32 v4, v4, v12
	s_waitcnt vmcnt(1)
	v_mul_f32_e32 v12, v9, v25
	s_waitcnt vmcnt(0)
	v_mul_f32_e32 v9, v9, v29
	v_fmac_f32_e32 v12, v8, v24
	v_fmac_f32_e32 v9, v8, v28
	;; [unrolled: 1-line block ×8, first 2 shown]
	v_add_f32_e32 v2, v2, v13
	v_add_f32_e32 v5, v5, v12
	;; [unrolled: 1-line block ×3, first 2 shown]
.LBB29_50:                              ;   in Loop: Header=BB29_51 Depth=1
	s_or_b64 exec, exec, s[10:11]
	v_add_co_u32_e32 v34, vcc, 8, v34
	v_add_u32_e32 v32, 2, v32
	v_addc_co_u32_e32 v35, vcc, 0, v35, vcc
	v_cmp_le_i32_e32 vcc, s48, v32
	v_add_u32_e32 v7, 32, v7
	s_or_b64 s[6:7], vcc, s[6:7]
	v_add_u32_e32 v33, 0x80, v33
	s_andn2_b64 exec, exec, s[6:7]
	s_cbranch_execz .LBB29_62
.LBB29_51:                              ; =>This Inner Loop Header: Depth=1
	v_sub_u32_e32 v9, 0, v7
	v_max_i32_e32 v9, v7, v9
	v_mul_hi_u32 v10, v9, s33
	v_mul_lo_u32 v11, v10, s25
	v_sub_u32_e32 v9, v9, v11
	v_add_u32_e32 v11, 1, v10
	v_cmp_le_u32_e32 vcc, s25, v9
	v_cndmask_b32_e32 v10, v10, v11, vcc
	v_subrev_u32_e32 v11, s25, v9
	v_cndmask_b32_e32 v9, v9, v11, vcc
	v_ashrrev_i32_e32 v8, 31, v7
	v_add_u32_e32 v11, 1, v10
	v_cmp_le_u32_e32 vcc, s25, v9
	v_xor_b32_e32 v8, s47, v8
	v_cndmask_b32_e32 v9, v10, v11, vcc
	v_xor_b32_e32 v9, v9, v8
	v_sub_u32_e32 v8, v9, v8
	v_add_u32_e32 v9, s46, v8
	v_sub_u32_e32 v11, 0, v9
	v_ashrrev_i32_e32 v10, 31, v9
	v_max_i32_e32 v9, v9, v11
	v_mul_hi_u32 v11, v9, v42
	v_mul_lo_u32 v11, v11, s18
	v_sub_u32_e32 v9, v9, v11
	v_subrev_u32_e32 v11, s18, v9
	v_cmp_le_u32_e32 vcc, s18, v9
	v_cndmask_b32_e32 v9, v9, v11, vcc
	v_subrev_u32_e32 v11, s18, v9
	v_cmp_le_u32_e32 vcc, s18, v9
	v_cndmask_b32_e32 v9, v9, v11, vcc
	v_xor_b32_e32 v9, v9, v10
	v_sub_u32_e32 v9, v9, v10
	v_cmp_eq_u32_e32 vcc, 0, v9
	v_cmp_lt_i32_e64 s[0:1], s3, v8
	s_or_b64 s[0:1], vcc, s[0:1]
	s_and_saveexec_b64 s[10:11], s[0:1]
	s_cbranch_execz .LBB29_50
; %bb.52:                               ;   in Loop: Header=BB29_51 Depth=1
	global_load_dword v8, v[34:35], off
	v_mov_b32_e32 v10, s17
	v_add_u32_e32 v45, v41, v7
	v_add_u32_e32 v48, 1, v45
	v_add_u32_e32 v47, 2, v45
	v_add_u32_e32 v46, 3, v45
	s_waitcnt vmcnt(0)
	v_mad_i64_i32 v[8:9], s[0:1], v8, s20, 0
	v_lshlrev_b64 v[8:9], 2, v[8:9]
	v_add_co_u32_e32 v28, vcc, s9, v8
	v_addc_co_u32_e32 v29, vcc, v10, v9, vcc
	v_add_co_u32_e32 v24, vcc, v28, v43
	v_addc_co_u32_e32 v25, vcc, 0, v29, vcc
	global_load_dwordx4 v[12:15], v[24:25], off
	ds_read_b128 v[8:11], v33
	v_cmp_eq_u32_e32 vcc, s21, v32
	s_and_saveexec_b64 s[12:13], vcc
	s_cbranch_execnz .LBB29_59
; %bb.53:                               ;   in Loop: Header=BB29_51 Depth=1
	s_or_b64 exec, exec, s[12:13]
	global_load_dwordx4 v[16:19], v[24:25], off offset:1024
	s_and_saveexec_b64 s[12:13], vcc
	s_cbranch_execnz .LBB29_60
.LBB29_54:                              ;   in Loop: Header=BB29_51 Depth=1
	s_or_b64 exec, exec, s[12:13]
	global_load_dwordx4 v[20:23], v[24:25], off offset:2048
	s_and_saveexec_b64 s[12:13], vcc
	s_cbranch_execnz .LBB29_61
.LBB29_55:                              ;   in Loop: Header=BB29_51 Depth=1
	s_or_b64 exec, exec, s[12:13]
	global_load_dwordx4 v[24:27], v[24:25], off offset:3072
	s_and_saveexec_b64 s[12:13], vcc
	s_cbranch_execz .LBB29_57
.LBB29_56:                              ;   in Loop: Header=BB29_51 Depth=1
	v_cmp_gt_i32_e64 s[0:1], s29, v45
	s_waitcnt vmcnt(0)
	v_cndmask_b32_e64 v24, 0, v24, s[0:1]
	v_cmp_gt_i32_e64 s[0:1], s29, v48
	v_cndmask_b32_e64 v25, 0, v25, s[0:1]
	v_cmp_gt_i32_e64 s[0:1], s29, v47
	v_cndmask_b32_e64 v26, 0, v26, s[0:1]
	v_cmp_gt_i32_e64 s[0:1], s29, v46
	v_cndmask_b32_e64 v27, 0, v27, s[0:1]
.LBB29_57:                              ;   in Loop: Header=BB29_51 Depth=1
	s_or_b64 exec, exec, s[12:13]
	v_add_co_u32_e64 v28, s[0:1], v28, v44
	v_addc_co_u32_e64 v29, s[0:1], 0, v29, s[0:1]
	global_load_dwordx4 v[28:31], v[28:29], off
	s_and_saveexec_b64 s[0:1], vcc
	s_cbranch_execz .LBB29_49
; %bb.58:                               ;   in Loop: Header=BB29_51 Depth=1
	v_cmp_gt_i32_e32 vcc, s29, v45
	s_waitcnt vmcnt(0)
	v_cndmask_b32_e32 v28, 0, v28, vcc
	v_cmp_gt_i32_e32 vcc, s29, v48
	v_cndmask_b32_e32 v29, 0, v29, vcc
	v_cmp_gt_i32_e32 vcc, s29, v47
	v_cndmask_b32_e32 v30, 0, v30, vcc
	v_cmp_gt_i32_e32 vcc, s29, v46
	v_cndmask_b32_e32 v31, 0, v31, vcc
	s_branch .LBB29_49
.LBB29_59:                              ;   in Loop: Header=BB29_51 Depth=1
	v_cmp_gt_i32_e64 s[0:1], s29, v45
	s_waitcnt vmcnt(0)
	v_cndmask_b32_e64 v12, 0, v12, s[0:1]
	v_cmp_gt_i32_e64 s[0:1], s29, v48
	v_cndmask_b32_e64 v13, 0, v13, s[0:1]
	v_cmp_gt_i32_e64 s[0:1], s29, v47
	;; [unrolled: 2-line block ×3, first 2 shown]
	v_cndmask_b32_e64 v15, 0, v15, s[0:1]
	s_or_b64 exec, exec, s[12:13]
	global_load_dwordx4 v[16:19], v[24:25], off offset:1024
	s_and_saveexec_b64 s[12:13], vcc
	s_cbranch_execz .LBB29_54
.LBB29_60:                              ;   in Loop: Header=BB29_51 Depth=1
	v_cmp_gt_i32_e64 s[0:1], s29, v45
	s_waitcnt vmcnt(0)
	v_cndmask_b32_e64 v16, 0, v16, s[0:1]
	v_cmp_gt_i32_e64 s[0:1], s29, v48
	v_cndmask_b32_e64 v17, 0, v17, s[0:1]
	v_cmp_gt_i32_e64 s[0:1], s29, v47
	;; [unrolled: 2-line block ×3, first 2 shown]
	v_cndmask_b32_e64 v19, 0, v19, s[0:1]
	s_or_b64 exec, exec, s[12:13]
	global_load_dwordx4 v[20:23], v[24:25], off offset:2048
	s_and_saveexec_b64 s[12:13], vcc
	s_cbranch_execz .LBB29_55
.LBB29_61:                              ;   in Loop: Header=BB29_51 Depth=1
	v_cmp_gt_i32_e64 s[0:1], s29, v45
	s_waitcnt vmcnt(0)
	v_cndmask_b32_e64 v20, 0, v20, s[0:1]
	v_cmp_gt_i32_e64 s[0:1], s29, v48
	v_cndmask_b32_e64 v21, 0, v21, s[0:1]
	v_cmp_gt_i32_e64 s[0:1], s29, v47
	;; [unrolled: 2-line block ×3, first 2 shown]
	v_cndmask_b32_e64 v23, 0, v23, s[0:1]
	s_or_b64 exec, exec, s[12:13]
	global_load_dwordx4 v[24:27], v[24:25], off offset:3072
	s_and_saveexec_b64 s[12:13], vcc
	s_cbranch_execnz .LBB29_56
	s_branch .LBB29_57
.LBB29_62:
	s_or_b64 exec, exec, s[6:7]
.LBB29_63:
	s_or_b64 exec, exec, s[4:5]
	ds_bpermute_b32 v8, v40, v2
	ds_bpermute_b32 v9, v40, v3
	;; [unrolled: 1-line block ×5, first 2 shown]
	s_waitcnt lgkmcnt(0)
	v_pk_add_f32 v[2:3], v[2:3], v[8:9]
	ds_bpermute_b32 v8, v39, v2
	v_pk_add_f32 v[4:5], v[4:5], v[10:11]
	ds_bpermute_b32 v9, v39, v3
	ds_bpermute_b32 v10, v39, v4
	;; [unrolled: 1-line block ×3, first 2 shown]
	v_add_f32_e32 v12, v6, v7
	ds_bpermute_b32 v13, v39, v12
	s_waitcnt lgkmcnt(3)
	v_pk_add_f32 v[6:7], v[2:3], v[8:9]
	s_barrier
	s_waitcnt lgkmcnt(1)
	v_pk_add_f32 v[2:3], v[4:5], v[10:11]
	v_and_b32_e32 v5, 0x3c3, v0
	s_waitcnt lgkmcnt(0)
	v_add_f32_e32 v4, v12, v13
	v_cmp_eq_u32_e32 vcc, 64, v5
	s_and_saveexec_b64 s[0:1], vcc
	s_cbranch_execz .LBB29_65
; %bb.64:
	v_add_u32_e32 v8, 0x150, v38
	ds_write2_b32 v8, v6, v7 offset1:16
	ds_write2_b32 v8, v2, v3 offset0:32 offset1:48
	ds_write_b32 v8, v4 offset:256
.LBB29_65:
	s_or_b64 exec, exec, s[0:1]
	v_cmp_gt_u32_e32 vcc, 64, v0
	s_waitcnt lgkmcnt(0)
	s_barrier
	s_and_saveexec_b64 s[0:1], vcc
	s_cbranch_execz .LBB29_73
; %bb.66:
	v_cmp_eq_u32_e32 vcc, 0, v37
	s_and_saveexec_b64 s[4:5], vcc
	s_cbranch_execnz .LBB29_76
; %bb.67:
	s_or_b64 exec, exec, s[4:5]
	s_and_saveexec_b64 s[4:5], vcc
	s_cbranch_execnz .LBB29_77
.LBB29_68:
	s_or_b64 exec, exec, s[4:5]
	s_and_saveexec_b64 s[4:5], vcc
	s_cbranch_execnz .LBB29_78
.LBB29_69:
	s_or_b64 exec, exec, s[4:5]
	s_and_saveexec_b64 s[4:5], vcc
	s_cbranch_execnz .LBB29_79
.LBB29_70:
	s_or_b64 exec, exec, s[4:5]
	s_and_saveexec_b64 s[4:5], vcc
	s_cbranch_execz .LBB29_72
.LBB29_71:
	v_mov_b32_e32 v0, 0x150
	v_lshl_add_u32 v0, v36, 2, v0
	ds_read_b32 v0, v0 offset:256
	s_waitcnt lgkmcnt(0)
	v_add_f32_e32 v4, v4, v0
.LBB29_72:
	s_or_b64 exec, exec, s[4:5]
.LBB29_73:
	s_or_b64 exec, exec, s[0:1]
	v_cmp_eq_u32_e32 vcc, 0, v5
	s_barrier
	s_and_saveexec_b64 s[0:1], vcc
	s_cbranch_execz .LBB29_75
; %bb.74:
	s_mul_i32 s0, s2, 0x50
	s_ashr_i32 s1, s0, 31
	s_lshl_b64 s[0:1], s[0:1], 2
	s_add_u32 s2, s26, s0
	s_mul_i32 s0, s19, s24
	s_addc_u32 s3, s27, s1
	s_ashr_i32 s1, s0, 31
	s_lshl_b64 s[0:1], s[0:1], 2
	s_add_u32 s2, s2, s0
	s_mul_i32 s0, s8, 0x50
	s_addc_u32 s3, s3, s1
	s_ashr_i32 s1, s0, 31
	s_lshl_b64 s[0:1], s[0:1], 2
	s_add_u32 s0, s2, s0
	s_addc_u32 s1, s3, s1
	global_store_dword v1, v6, s[0:1]
	global_store_dword v1, v7, s[0:1] offset:64
	global_store_dword v1, v2, s[0:1] offset:128
	;; [unrolled: 1-line block ×4, first 2 shown]
.LBB29_75:
	s_endpgm
.LBB29_76:
	v_mov_b32_e32 v0, 0x150
	v_lshl_add_u32 v0, v36, 2, v0
	ds_read_b32 v0, v0
	s_waitcnt lgkmcnt(0)
	v_add_f32_e32 v6, v6, v0
	s_or_b64 exec, exec, s[4:5]
	s_and_saveexec_b64 s[4:5], vcc
	s_cbranch_execz .LBB29_68
.LBB29_77:
	v_mov_b32_e32 v0, 0x150
	v_lshl_add_u32 v0, v36, 2, v0
	ds_read_b32 v0, v0 offset:64
	s_waitcnt lgkmcnt(0)
	v_add_f32_e32 v7, v7, v0
	s_or_b64 exec, exec, s[4:5]
	s_and_saveexec_b64 s[4:5], vcc
	s_cbranch_execz .LBB29_69
.LBB29_78:
	v_mov_b32_e32 v0, 0x150
	v_lshl_add_u32 v0, v36, 2, v0
	ds_read_b32 v0, v0 offset:128
	s_waitcnt lgkmcnt(0)
	v_add_f32_e32 v2, v2, v0
	s_or_b64 exec, exec, s[4:5]
	s_and_saveexec_b64 s[4:5], vcc
	s_cbranch_execz .LBB29_70
.LBB29_79:
	v_mov_b32_e32 v0, 0x150
	v_lshl_add_u32 v0, v36, 2, v0
	ds_read_b32 v0, v0 offset:192
	s_waitcnt lgkmcnt(0)
	v_add_f32_e32 v3, v3, v0
	s_or_b64 exec, exec, s[4:5]
	s_and_saveexec_b64 s[4:5], vcc
	s_cbranch_execnz .LBB29_71
	s_branch .LBB29_72
	.section	.rodata,"a",@progbits
	.p2align	6, 0x0
	.amdhsa_kernel _ZN4vllm25paged_attention_v2_kernelIffLi80ELi16ELi128ELNS_18Fp8KVCacheDataTypeE0ELb1ELi512EEEvPfS2_PT_PKS3_PKT0_S9_ifPKiSB_iPKfiiiSD_SD_iiiii
		.amdhsa_group_segment_fixed_size 336
		.amdhsa_private_segment_fixed_size 0
		.amdhsa_kernarg_size 400
		.amdhsa_user_sgpr_count 6
		.amdhsa_user_sgpr_private_segment_buffer 1
		.amdhsa_user_sgpr_dispatch_ptr 0
		.amdhsa_user_sgpr_queue_ptr 0
		.amdhsa_user_sgpr_kernarg_segment_ptr 1
		.amdhsa_user_sgpr_dispatch_id 0
		.amdhsa_user_sgpr_flat_scratch_init 0
		.amdhsa_user_sgpr_kernarg_preload_length 0
		.amdhsa_user_sgpr_kernarg_preload_offset 0
		.amdhsa_user_sgpr_private_segment_size 0
		.amdhsa_uses_dynamic_stack 0
		.amdhsa_system_sgpr_private_segment_wavefront_offset 0
		.amdhsa_system_sgpr_workgroup_id_x 1
		.amdhsa_system_sgpr_workgroup_id_y 1
		.amdhsa_system_sgpr_workgroup_id_z 1
		.amdhsa_system_sgpr_workgroup_info 0
		.amdhsa_system_vgpr_workitem_id 0
		.amdhsa_next_free_vgpr 68
		.amdhsa_next_free_sgpr 53
		.amdhsa_accum_offset 68
		.amdhsa_reserve_vcc 1
		.amdhsa_reserve_flat_scratch 0
		.amdhsa_float_round_mode_32 0
		.amdhsa_float_round_mode_16_64 0
		.amdhsa_float_denorm_mode_32 3
		.amdhsa_float_denorm_mode_16_64 3
		.amdhsa_dx10_clamp 1
		.amdhsa_ieee_mode 1
		.amdhsa_fp16_overflow 0
		.amdhsa_tg_split 0
		.amdhsa_exception_fp_ieee_invalid_op 0
		.amdhsa_exception_fp_denorm_src 0
		.amdhsa_exception_fp_ieee_div_zero 0
		.amdhsa_exception_fp_ieee_overflow 0
		.amdhsa_exception_fp_ieee_underflow 0
		.amdhsa_exception_fp_ieee_inexact 0
		.amdhsa_exception_int_div_zero 0
	.end_amdhsa_kernel
	.section	.text._ZN4vllm25paged_attention_v2_kernelIffLi80ELi16ELi128ELNS_18Fp8KVCacheDataTypeE0ELb1ELi512EEEvPfS2_PT_PKS3_PKT0_S9_ifPKiSB_iPKfiiiSD_SD_iiiii,"axG",@progbits,_ZN4vllm25paged_attention_v2_kernelIffLi80ELi16ELi128ELNS_18Fp8KVCacheDataTypeE0ELb1ELi512EEEvPfS2_PT_PKS3_PKT0_S9_ifPKiSB_iPKfiiiSD_SD_iiiii,comdat
.Lfunc_end29:
	.size	_ZN4vllm25paged_attention_v2_kernelIffLi80ELi16ELi128ELNS_18Fp8KVCacheDataTypeE0ELb1ELi512EEEvPfS2_PT_PKS3_PKT0_S9_ifPKiSB_iPKfiiiSD_SD_iiiii, .Lfunc_end29-_ZN4vllm25paged_attention_v2_kernelIffLi80ELi16ELi128ELNS_18Fp8KVCacheDataTypeE0ELb1ELi512EEEvPfS2_PT_PKS3_PKT0_S9_ifPKiSB_iPKfiiiSD_SD_iiiii
                                        ; -- End function
	.section	.AMDGPU.csdata,"",@progbits
; Kernel info:
; codeLenInByte = 5224
; NumSgprs: 57
; NumVgprs: 68
; NumAgprs: 0
; TotalNumVgprs: 68
; ScratchSize: 0
; MemoryBound: 0
; FloatMode: 240
; IeeeMode: 1
; LDSByteSize: 336 bytes/workgroup (compile time only)
; SGPRBlocks: 7
; VGPRBlocks: 8
; NumSGPRsForWavesPerEU: 57
; NumVGPRsForWavesPerEU: 68
; AccumOffset: 68
; Occupancy: 7
; WaveLimiterHint : 1
; COMPUTE_PGM_RSRC2:SCRATCH_EN: 0
; COMPUTE_PGM_RSRC2:USER_SGPR: 6
; COMPUTE_PGM_RSRC2:TRAP_HANDLER: 0
; COMPUTE_PGM_RSRC2:TGID_X_EN: 1
; COMPUTE_PGM_RSRC2:TGID_Y_EN: 1
; COMPUTE_PGM_RSRC2:TGID_Z_EN: 1
; COMPUTE_PGM_RSRC2:TIDIG_COMP_CNT: 0
; COMPUTE_PGM_RSRC3_GFX90A:ACCUM_OFFSET: 16
; COMPUTE_PGM_RSRC3_GFX90A:TG_SPLIT: 0
	.section	.text._ZN4vllm25paged_attention_v2_kernelIffLi96ELi16ELi128ELNS_18Fp8KVCacheDataTypeE0ELb1ELi512EEEvPfS2_PT_PKS3_PKT0_S9_ifPKiSB_iPKfiiiSD_SD_iiiii,"axG",@progbits,_ZN4vllm25paged_attention_v2_kernelIffLi96ELi16ELi128ELNS_18Fp8KVCacheDataTypeE0ELb1ELi512EEEvPfS2_PT_PKS3_PKT0_S9_ifPKiSB_iPKfiiiSD_SD_iiiii,comdat
	.protected	_ZN4vllm25paged_attention_v2_kernelIffLi96ELi16ELi128ELNS_18Fp8KVCacheDataTypeE0ELb1ELi512EEEvPfS2_PT_PKS3_PKT0_S9_ifPKiSB_iPKfiiiSD_SD_iiiii ; -- Begin function _ZN4vllm25paged_attention_v2_kernelIffLi96ELi16ELi128ELNS_18Fp8KVCacheDataTypeE0ELb1ELi512EEEvPfS2_PT_PKS3_PKT0_S9_ifPKiSB_iPKfiiiSD_SD_iiiii
	.globl	_ZN4vllm25paged_attention_v2_kernelIffLi96ELi16ELi128ELNS_18Fp8KVCacheDataTypeE0ELb1ELi512EEEvPfS2_PT_PKS3_PKT0_S9_ifPKiSB_iPKfiiiSD_SD_iiiii
	.p2align	8
	.type	_ZN4vllm25paged_attention_v2_kernelIffLi96ELi16ELi128ELNS_18Fp8KVCacheDataTypeE0ELb1ELi512EEEvPfS2_PT_PKS3_PKT0_S9_ifPKiSB_iPKfiiiSD_SD_iiiii,@function
_ZN4vllm25paged_attention_v2_kernelIffLi96ELi16ELi128ELNS_18Fp8KVCacheDataTypeE0ELb1ELi512EEEvPfS2_PT_PKS3_PKT0_S9_ifPKiSB_iPKfiiiSD_SD_iiiii: ; @_ZN4vllm25paged_attention_v2_kernelIffLi96ELi16ELi128ELNS_18Fp8KVCacheDataTypeE0ELb1ELi512EEEvPfS2_PT_PKS3_PKT0_S9_ifPKiSB_iPKfiiiSD_SD_iiiii
; %bb.0:
	s_load_dwordx2 s[0:1], s[4:5], 0x40
	s_mov_b32 s28, s7
	s_ashr_i32 s29, s7, 31
	s_lshl_b64 s[2:3], s[28:29], 2
	s_waitcnt lgkmcnt(0)
	s_add_u32 s0, s0, s2
	s_addc_u32 s1, s1, s3
	s_load_dword s29, s[0:1], 0x0
	s_lshl_b32 s49, s8, 9
	s_waitcnt lgkmcnt(0)
	s_cmp_ge_i32 s49, s29
	s_cbranch_scc1 .LBB30_78
; %bb.1:
	s_load_dword s9, s[4:5], 0x90
	s_load_dwordx2 s[38:39], s[4:5], 0x30
	s_mov_b32 s50, 0
	s_waitcnt lgkmcnt(0)
	s_abs_i32 s2, s9
	s_abs_i32 s0, s38
	v_cvt_f32_u32_e32 v1, s0
	s_sub_i32 s3, 0, s0
	s_xor_b32 s1, s9, s38
	s_ashr_i32 s1, s1, 31
	v_rcp_iflag_f32_e32 v1, v1
	v_mul_f32_e32 v1, 0x4f7ffffe, v1
	v_cvt_u32_f32_e32 v1, v1
	v_readfirstlane_b32 s7, v1
	s_mul_i32 s3, s3, s7
	s_mul_hi_u32 s3, s7, s3
	s_add_i32 s7, s7, s3
	s_mul_hi_u32 s3, s2, s7
	s_mul_i32 s7, s3, s0
	s_sub_i32 s2, s2, s7
	s_add_i32 s10, s3, 1
	s_sub_i32 s7, s2, s0
	s_cmp_ge_u32 s2, s0
	s_cselect_b32 s3, s10, s3
	s_cselect_b32 s2, s7, s2
	s_add_i32 s7, s3, 1
	s_cmp_ge_u32 s2, s0
	s_cselect_b32 s0, s7, s3
	s_xor_b32 s0, s0, s1
	s_sub_i32 s11, s0, s1
	s_abs_i32 s2, s11
	v_cvt_f32_u32_e32 v1, s2
	s_load_dwordx2 s[0:1], s[4:5], 0x50
	s_sub_i32 s7, 0, s2
	s_abs_i32 s3, s6
	v_rcp_iflag_f32_e32 v1, v1
	v_mul_f32_e32 v1, 0x4f7ffffe, v1
	v_cvt_u32_f32_e32 v1, v1
	v_readfirstlane_b32 s10, v1
	s_mul_i32 s7, s7, s10
	s_mul_hi_u32 s7, s10, s7
	s_add_i32 s10, s10, s7
	s_waitcnt lgkmcnt(0)
	s_cmp_eq_u64 s[0:1], 0
	s_mul_hi_u32 s10, s3, s10
	s_cbranch_scc1 .LBB30_3
; %bb.2:
	s_ashr_i32 s7, s6, 31
	s_lshl_b64 s[12:13], s[6:7], 2
	s_add_u32 s0, s0, s12
	s_addc_u32 s1, s1, s13
	s_load_dword s50, s[0:1], 0x0
.LBB30_3:
	s_load_dwordx4 s[12:15], s[4:5], 0x58
	v_lshrrev_b32_e32 v40, 2, v0
	s_waitcnt lgkmcnt(0)
	s_movk_i32 s15, 0x60
	s_ashr_i32 s7, s6, 31
	s_ashr_i32 s11, s11, 31
	v_and_b32_e32 v41, 3, v0
	s_mul_i32 s24, s6, 0x60
	v_cmp_gt_u32_e32 vcc, s15, v0
	v_lshlrev_b32_e32 v8, 2, v0
	v_lshlrev_b32_e32 v1, 2, v40
	s_and_saveexec_b64 s[0:1], vcc
	s_cbranch_execz .LBB30_5
; %bb.4:
	s_load_dwordx2 s[16:17], s[4:5], 0x18
	s_mul_i32 s18, s28, s12
	s_ashr_i32 s19, s18, 31
	s_lshl_b64 s[18:19], s[18:19], 2
	v_mad_u32_u24 v3, v41, s15, v1
	s_waitcnt lgkmcnt(0)
	s_add_u32 s12, s16, s18
	s_addc_u32 s18, s17, s19
	s_ashr_i32 s25, s24, 31
	s_lshl_b64 s[16:17], s[24:25], 2
	s_add_u32 s16, s12, s16
	s_addc_u32 s17, s18, s17
	global_load_dword v2, v8, s[16:17]
	s_waitcnt vmcnt(0)
	ds_write_b32 v3, v2
.LBB30_5:
	s_or_b64 exec, exec, s[0:1]
	s_mul_i32 s1, s10, s2
	s_sub_i32 s1, s3, s1
	s_xor_b32 s0, s7, s11
	s_add_i32 s3, s10, 1
	s_sub_i32 s7, s1, s2
	s_load_dwordx4 s[16:19], s[4:5], 0x78
	s_cmp_ge_u32 s1, s2
	s_cselect_b32 s3, s3, s10
	s_load_dword s10, s[4:5], 0x88
	s_cselect_b32 s1, s7, s1
	s_add_i32 s7, s3, 1
	s_cmp_ge_u32 s1, s2
	s_cselect_b32 s1, s7, s3
	s_waitcnt lgkmcnt(0)
	s_abs_i32 s25, s19
	v_cvt_f32_u32_e32 v2, s25
	s_xor_b32 s1, s1, s0
	s_sub_i32 s2, s1, s0
	s_sub_i32 s0, 0, s25
	v_rcp_iflag_f32_e32 v2, v2
	s_add_i32 s11, s29, -1
	s_abs_i32 s3, s11
	v_mul_f32_e32 v2, 0x4f7ffffe, v2
	v_cvt_u32_f32_e32 v2, v2
	s_barrier
	v_readfirstlane_b32 s33, v2
	s_mul_i32 s0, s0, s33
	s_mul_hi_u32 s0, s33, s0
	s_add_i32 s33, s33, s0
	s_cmp_lt_i32 s10, 0
	s_mul_hi_u32 s7, s3, s33
	s_cbranch_scc0 .LBB30_7
; %bb.6:
	s_mul_i32 s0, s16, s38
	s_add_i32 s0, s2, s0
	s_mul_i32 s0, s0, s10
	s_sub_i32 s46, 1, s0
	s_mov_b64 s[0:1], 0
	s_branch .LBB30_8
.LBB30_7:
	s_mov_b64 s[0:1], -1
                                        ; implicit-def: $sgpr46
.LBB30_8:
	s_load_dwordx2 s[30:31], s[4:5], 0x38
	s_ashr_i32 s11, s11, 31
	s_andn2_b64 vcc, exec, s[0:1]
	s_ashr_i32 s47, s19, 31
	s_cbranch_vccnz .LBB30_10
; %bb.9:
	s_mul_i32 s0, s9, s16
	s_add_i32 s0, s0, s6
	s_mul_i32 s0, s0, s10
	s_add_i32 s46, s0, 1
.LBB30_10:
	s_load_dword s0, s[4:5], 0x48
	s_load_dwordx2 s[36:37], s[4:5], 0x28
	s_load_dword s19, s[4:5], 0x98
	s_load_dwordx4 s[20:23], s[4:5], 0x0
	s_load_dwordx2 s[26:27], s[4:5], 0x10
	s_mul_i32 s1, s7, s25
	s_waitcnt lgkmcnt(0)
	s_mul_i32 s34, s28, s0
	s_sub_i32 s1, s3, s1
	s_ashr_i32 s35, s34, 31
	s_xor_b32 s0, s11, s47
	s_add_i32 s3, s7, 1
	s_sub_i32 s10, s1, s25
	s_cmp_ge_u32 s1, s25
	s_cselect_b32 s3, s3, s7
	s_cselect_b32 s1, s10, s1
	s_add_i32 s7, s3, 1
	s_cmp_ge_u32 s1, s25
	s_cselect_b32 s1, s7, s3
	s_xor_b32 s1, s1, s0
	s_sub_i32 s16, s1, s0
	s_add_i32 s0, s29, 15
	s_ashr_i32 s1, s0, 31
	s_lshr_b32 s1, s1, 28
	s_add_i32 s0, s0, s1
	s_lshl_b32 s12, s8, 5
	s_ashr_i32 s7, s0, 4
	s_add_i32 s0, s12, 32
	v_lshrrev_b32_e32 v9, 6, v0
	s_min_i32 s48, s0, s7
	v_or_b32_e32 v36, s12, v9
	v_cmp_gt_i32_e64 s[0:1], s48, v36
	v_mov_b32_e32 v11, 0xff7fffff
	s_mul_i32 s14, s2, s14
	v_ashrrev_i32_e32 v37, 31, v36
	v_lshl_add_u32 v42, v9, 4, s49
	v_mbcnt_lo_u32_b32 v4, -1, 0
	s_and_saveexec_b64 s[40:41], s[0:1]
	s_cbranch_execz .LBB30_20
; %bb.11:
	s_load_dwordx2 s[2:3], s[4:5], 0x20
	s_ashr_i32 s15, s14, 31
	s_sub_i32 s38, s16, s17
	s_lshl_b64 s[4:5], s[14:15], 2
	v_bfe_u32 v5, v0, 2, 4
	s_waitcnt lgkmcnt(0)
	s_add_u32 s2, s2, s4
	s_addc_u32 s3, s3, s5
	s_abs_i32 s15, s18
	v_cvt_f32_u32_e32 v6, s15
	v_lshlrev_b32_e32 v2, 4, v5
	v_mov_b32_e32 v3, s3
	v_add_co_u32_e64 v2, s[2:3], s2, v2
	v_rcp_iflag_f32_e32 v10, v6
	v_addc_co_u32_e64 v3, s[2:3], 0, v3, s[2:3]
	v_lshlrev_b32_e32 v7, 2, v41
	v_add_co_u32_e64 v6, s[2:3], v2, v7
	v_mul_f32_e32 v2, 0x4f7ffffe, v10
	v_cvt_u32_f32_e32 v2, v2
	s_sub_i32 s4, 0, s15
	v_lshlrev_b32_e32 v11, 2, v5
	v_addc_co_u32_e64 v7, s[2:3], 0, v3, s[2:3]
	v_mul_lo_u32 v3, s4, v2
	s_lshl_b64 s[4:5], s[34:35], 2
	v_mul_hi_u32 v3, v2, v3
	s_add_u32 s4, s30, s4
	v_lshl_or_b32 v11, v9, 6, v11
	v_add_u32_e32 v12, v2, v3
	v_lshlrev_b64 v[2:3], 2, v[36:37]
	s_addc_u32 s5, s31, s5
	v_add_u32_e32 v14, 0x190, v11
	v_subrev_u32_e32 v11, s29, v5
	v_mbcnt_hi_u32_b32 v17, -1, v4
	v_mov_b32_e32 v13, s5
	v_add_co_u32_e64 v2, s[4:5], s4, v2
	v_add_u32_e32 v15, 1, v11
	v_and_b32_e32 v11, 64, v17
	v_cmp_eq_u32_e32 vcc, 0, v41
	s_mov_b32 s51, s13
	v_mul_u32_u24_e32 v10, 0x60, v41
	v_cmp_neq_f32_e64 s[2:3], s50, 0
	v_addc_co_u32_e64 v3, s[4:5], v13, v3, s[4:5]
	v_lshl_add_u32 v13, v9, 4, s49
	s_mov_b64 s[42:43], 0
	v_mov_b32_e32 v16, 0xff7fffff
	s_movk_i32 s52, 0x1000
	v_add_u32_e32 v18, 64, v11
	v_xor_b32_e32 v19, 2, v17
	v_xor_b32_e32 v20, 1, v17
	v_mov_b32_e32 v11, 0xff7fffff
	v_mov_b32_e32 v21, v36
	s_branch .LBB30_14
.LBB30_12:                              ;   in Loop: Header=BB30_14 Depth=1
	s_or_b64 exec, exec, s[44:45]
.LBB30_13:                              ;   in Loop: Header=BB30_14 Depth=1
	s_or_b64 exec, exec, s[10:11]
	v_add_co_u32_e64 v2, s[4:5], 8, v2
	v_add_u32_e32 v21, 2, v21
	v_addc_co_u32_e64 v3, s[4:5], 0, v3, s[4:5]
	v_cmp_le_i32_e64 s[4:5], s48, v21
	v_add_u32_e32 v13, 32, v13
	s_or_b64 s[42:43], s[4:5], s[42:43]
	v_add_u32_e32 v14, 0x80, v14
	s_andn2_b64 exec, exec, s[42:43]
	s_cbranch_execz .LBB30_19
.LBB30_14:                              ; =>This Inner Loop Header: Depth=1
	s_waitcnt lgkmcnt(0)
	v_sub_u32_e32 v23, 0, v13
	v_max_i32_e32 v23, v13, v23
	v_mul_hi_u32 v24, v23, s33
	v_mul_lo_u32 v25, v24, s25
	v_sub_u32_e32 v23, v23, v25
	v_add_u32_e32 v25, 1, v24
	v_cmp_le_u32_e64 s[4:5], s25, v23
	v_cndmask_b32_e64 v24, v24, v25, s[4:5]
	v_subrev_u32_e32 v25, s25, v23
	v_cndmask_b32_e64 v23, v23, v25, s[4:5]
	v_ashrrev_i32_e32 v22, 31, v13
	v_add_u32_e32 v25, 1, v24
	v_cmp_le_u32_e64 s[4:5], s25, v23
	v_xor_b32_e32 v22, s47, v22
	v_cndmask_b32_e64 v23, v24, v25, s[4:5]
	v_xor_b32_e32 v23, v23, v22
	v_sub_u32_e32 v22, v23, v22
	v_add_u32_e32 v23, s46, v22
	v_sub_u32_e32 v25, 0, v23
	v_ashrrev_i32_e32 v24, 31, v23
	v_max_i32_e32 v23, v23, v25
	v_mul_hi_u32 v25, v23, v12
	v_mul_lo_u32 v25, v25, s15
	v_sub_u32_e32 v23, v23, v25
	v_subrev_u32_e32 v25, s15, v23
	v_cmp_le_u32_e64 s[4:5], s15, v23
	v_cndmask_b32_e64 v23, v23, v25, s[4:5]
	v_subrev_u32_e32 v25, s15, v23
	v_cmp_le_u32_e64 s[4:5], s15, v23
	v_cndmask_b32_e64 v23, v23, v25, s[4:5]
	v_xor_b32_e32 v23, v23, v24
	v_sub_u32_e32 v23, v23, v24
	v_cmp_ne_u32_e64 s[4:5], 0, v23
	v_cmp_ge_i32_e64 s[10:11], s38, v22
	s_and_b64 s[4:5], s[4:5], s[10:11]
	s_and_b64 s[44:45], vcc, s[4:5]
	s_and_saveexec_b64 s[10:11], s[44:45]
	s_cbranch_execz .LBB30_16
; %bb.15:                               ;   in Loop: Header=BB30_14 Depth=1
	ds_write_b32 v14, v16
.LBB30_16:                              ;   in Loop: Header=BB30_14 Depth=1
	s_or_b64 exec, exec, s[10:11]
	s_xor_b64 s[4:5], s[4:5], -1
	s_and_saveexec_b64 s[10:11], s[4:5]
	s_cbranch_execz .LBB30_13
; %bb.17:                               ;   in Loop: Header=BB30_14 Depth=1
	global_load_dword v22, v[2:3], off
	s_waitcnt vmcnt(0)
	v_mad_i64_i32 v[22:23], s[4:5], v22, s51, 0
	v_lshlrev_b64 v[22:23], 2, v[22:23]
	v_add_co_u32_e64 v22, s[4:5], v6, v22
	v_addc_co_u32_e64 v23, s[4:5], v7, v23, s[4:5]
	global_load_dword v34, v[22:23], off
	global_load_dword v35, v[22:23], off offset:256
	global_load_dword v38, v[22:23], off offset:512
	;; [unrolled: 1-line block ×15, first 2 shown]
	v_add_co_u32_e64 v22, s[4:5], s52, v22
	v_addc_co_u32_e64 v23, s[4:5], 0, v23, s[4:5]
	global_load_dword v67, v[22:23], off
	global_load_dword v68, v[22:23], off offset:256
	global_load_dword v69, v[22:23], off offset:512
	;; [unrolled: 1-line block ×7, first 2 shown]
	ds_read_b128 v[22:25], v10
	ds_read_b128 v[26:29], v10 offset:16
	ds_read_b128 v[30:33], v10 offset:32
	;; [unrolled: 1-line block ×5, first 2 shown]
	v_cmp_lt_i32_e64 s[4:5], v19, v18
	v_cndmask_b32_e64 v75, v17, v19, s[4:5]
	v_lshlrev_b32_e32 v75, 2, v75
	v_cmp_lt_i32_e64 s[4:5], v20, v18
	s_waitcnt vmcnt(22) lgkmcnt(5)
	v_mul_f32_e32 v23, v23, v35
	v_fmac_f32_e32 v23, v22, v34
	s_waitcnt vmcnt(21)
	v_fmac_f32_e32 v23, v24, v38
	s_waitcnt vmcnt(20)
	v_fmac_f32_e32 v23, v25, v39
	s_waitcnt vmcnt(19) lgkmcnt(4)
	v_fmac_f32_e32 v23, v26, v43
	s_waitcnt vmcnt(18)
	v_fmac_f32_e32 v23, v27, v56
	s_waitcnt vmcnt(17)
	v_fmac_f32_e32 v23, v28, v57
	s_waitcnt vmcnt(16)
	v_fmac_f32_e32 v23, v29, v58
	s_waitcnt vmcnt(15) lgkmcnt(3)
	v_fmac_f32_e32 v23, v30, v59
	s_waitcnt vmcnt(14)
	;; [unrolled: 8-line block ×5, first 2 shown]
	v_fmac_f32_e32 v23, v53, v72
	s_waitcnt vmcnt(1)
	v_fmac_f32_e32 v23, v54, v73
	s_waitcnt vmcnt(0)
	v_fmac_f32_e32 v23, v55, v74
	ds_bpermute_b32 v22, v75, v23
	v_cndmask_b32_e64 v24, v17, v20, s[4:5]
	v_lshlrev_b32_e32 v24, 2, v24
	s_waitcnt lgkmcnt(0)
	v_add_f32_e32 v22, v23, v22
	ds_bpermute_b32 v23, v24, v22
	s_and_saveexec_b64 s[44:45], vcc
	s_cbranch_execz .LBB30_12
; %bb.18:                               ;   in Loop: Header=BB30_14 Depth=1
	v_add_u32_e32 v24, v15, v13
	v_cvt_f32_i32_e32 v24, v24
	s_waitcnt lgkmcnt(0)
	v_add_f32_e32 v22, v22, v23
	v_add_u32_e32 v25, v5, v13
	v_cmp_gt_i32_e64 s[4:5], s29, v25
	v_mul_f32_e32 v23, s50, v24
	v_cndmask_b32_e64 v23, 0, v23, s[2:3]
	v_fmac_f32_e32 v23, s39, v22
	v_cndmask_b32_e64 v22, 0, v23, s[4:5]
	ds_write_b32 v14, v22
	v_max_f32_e32 v22, v11, v11
	v_max_f32_e32 v22, v22, v23
	v_cndmask_b32_e64 v11, v11, v22, s[4:5]
	s_branch .LBB30_12
.LBB30_19:
	s_or_b64 exec, exec, s[42:43]
.LBB30_20:
	s_or_b64 exec, exec, s[40:41]
	v_mbcnt_hi_u32_b32 v2, -1, v4
	v_and_b32_e32 v3, 64, v2
	v_add_u32_e32 v3, 64, v3
	v_xor_b32_e32 v4, 32, v2
	v_cmp_lt_i32_e32 vcc, v4, v3
	v_cndmask_b32_e32 v4, v2, v4, vcc
	v_lshlrev_b32_e32 v5, 2, v4
	ds_bpermute_b32 v4, v5, v11
	v_xor_b32_e32 v7, 16, v2
	v_max_f32_e32 v6, v11, v11
	v_cmp_lt_i32_e32 vcc, v7, v3
	v_xor_b32_e32 v10, 8, v2
	s_waitcnt lgkmcnt(0)
	v_max_f32_e32 v4, v4, v4
	v_max_f32_e32 v4, v6, v4
	v_cndmask_b32_e32 v6, v2, v7, vcc
	v_lshlrev_b32_e32 v6, 2, v6
	ds_bpermute_b32 v7, v6, v4
	v_cmp_lt_i32_e32 vcc, v10, v3
	v_and_b32_e32 v43, 63, v0
	s_waitcnt lgkmcnt(0)
	v_max_f32_e32 v7, v7, v7
	v_max_f32_e32 v4, v4, v7
	v_cndmask_b32_e32 v7, v2, v10, vcc
	v_lshlrev_b32_e32 v11, 2, v7
	ds_bpermute_b32 v7, v11, v4
	v_xor_b32_e32 v10, 4, v2
	v_cmp_lt_i32_e32 vcc, v10, v3
	s_waitcnt lgkmcnt(0)
	v_max_f32_e32 v7, v7, v7
	v_max_f32_e32 v4, v4, v7
	v_cndmask_b32_e32 v7, v2, v10, vcc
	v_lshlrev_b32_e32 v12, 2, v7
	ds_bpermute_b32 v10, v12, v4
	v_cmp_eq_u32_e32 vcc, 0, v43
	v_lshlrev_b32_e32 v7, 2, v9
	s_and_saveexec_b64 s[2:3], vcc
	s_cbranch_execz .LBB30_22
; %bb.21:
	s_waitcnt lgkmcnt(0)
	v_max_f32_e32 v10, v10, v10
	v_max_f32_e32 v4, v4, v4
	;; [unrolled: 1-line block ×3, first 2 shown]
	ds_write_b32 v7, v4 offset:384
.LBB30_22:
	s_or_b64 exec, exec, s[2:3]
	v_cmp_gt_u32_e64 s[2:3], 2, v43
	v_mov_b32_e32 v4, 0xff7fffff
	s_waitcnt lgkmcnt(0)
	v_lshlrev_b32_e32 v10, 2, v43
	s_barrier
	s_and_saveexec_b64 s[4:5], s[2:3]
	s_cbranch_execz .LBB30_24
; %bb.23:
	ds_read_b32 v4, v10 offset:384
.LBB30_24:
	s_or_b64 exec, exec, s[4:5]
	v_xor_b32_e32 v13, 1, v2
	v_cmp_lt_i32_e64 s[4:5], v13, v3
	v_cndmask_b32_e64 v13, v2, v13, s[4:5]
	v_lshlrev_b32_e32 v44, 2, v13
	s_waitcnt lgkmcnt(0)
	ds_bpermute_b32 v13, v44, v4
	v_max_f32_e32 v4, v4, v4
	s_sub_i32 s4, s48, s12
	s_lshl_b32 s4, s4, 4
	s_add_i32 s4, s4, s49
	s_waitcnt lgkmcnt(0)
	v_max_f32_e32 v13, v13, v13
	v_max_f32_e32 v4, v4, v13
	v_lshlrev_b32_e32 v13, 2, v2
	v_and_b32_e32 v13, 0x100, v13
	ds_bpermute_b32 v4, v13, v4
	s_min_i32 s15, s4, s29
	s_sub_i32 s12, s15, s49
	v_cmp_gt_i32_e64 s[4:5], s12, v0
	v_mov_b32_e32 v14, 0
	s_and_saveexec_b64 s[38:39], s[4:5]
	s_cbranch_execz .LBB30_28
; %bb.25:
	v_mov_b32_e32 v14, 0x190
	v_lshl_add_u32 v15, v0, 2, v14
	s_mov_b64 s[40:41], 0
	v_mov_b32_e32 v14, 0
	v_mov_b32_e32 v16, v0
.LBB30_26:                              ; =>This Inner Loop Header: Depth=1
	ds_read_b32 v17, v15
	v_add_u32_e32 v16, 0x80, v16
	v_cmp_le_i32_e64 s[10:11], s12, v16
	s_or_b64 s[40:41], s[10:11], s[40:41]
	s_waitcnt lgkmcnt(0)
	v_sub_f32_e32 v17, v17, v4
	v_mul_f32_e32 v17, 0x3fb8aa3b, v17
	v_exp_f32_e32 v17, v17
	ds_write_b32 v15, v17
	v_add_f32_e32 v14, v14, v17
	v_add_u32_e32 v15, 0x200, v15
	s_andn2_b64 exec, exec, s[40:41]
	s_cbranch_execnz .LBB30_26
; %bb.27:
	s_or_b64 exec, exec, s[40:41]
.LBB30_28:
	s_or_b64 exec, exec, s[38:39]
	ds_bpermute_b32 v5, v5, v14
	s_waitcnt lgkmcnt(0)
	v_add_f32_e32 v5, v14, v5
	ds_bpermute_b32 v6, v6, v5
	s_waitcnt lgkmcnt(0)
	v_add_f32_e32 v5, v5, v6
	ds_bpermute_b32 v6, v11, v5
	v_xor_b32_e32 v11, 2, v2
	v_cmp_lt_i32_e64 s[10:11], v11, v3
	v_cndmask_b32_e64 v2, v2, v11, s[10:11]
	v_lshlrev_b32_e32 v45, 2, v2
	s_waitcnt lgkmcnt(0)
	v_add_f32_e32 v5, v5, v6
	ds_bpermute_b32 v6, v12, v5
	s_waitcnt lgkmcnt(0)
	v_add_f32_e32 v3, v5, v6
	ds_bpermute_b32 v2, v45, v3
	;; [unrolled: 3-line block ×3, first 2 shown]
	s_waitcnt lgkmcnt(0)
	v_add_f32_e32 v2, v2, v3
	s_and_saveexec_b64 s[10:11], vcc
	s_cbranch_execz .LBB30_30
; %bb.29:
	ds_write_b32 v7, v2 offset:392
.LBB30_30:
	s_or_b64 exec, exec, s[10:11]
	s_waitcnt lgkmcnt(0)
	s_barrier
	s_and_saveexec_b64 s[10:11], s[2:3]
	s_cbranch_execz .LBB30_32
; %bb.31:
	ds_read_b32 v2, v10 offset:392
.LBB30_32:
	s_or_b64 exec, exec, s[10:11]
	s_waitcnt lgkmcnt(0)
	ds_bpermute_b32 v3, v44, v2
	s_waitcnt lgkmcnt(0)
	v_add_f32_e32 v2, v2, v3
	ds_bpermute_b32 v5, v13, v2
	s_and_saveexec_b64 s[2:3], s[4:5]
	s_cbranch_execz .LBB30_45
; %bb.33:
	s_waitcnt lgkmcnt(0)
	v_add_f32_e32 v2, 0x358637bd, v5
	v_div_scale_f32 v3, s[4:5], v2, v2, 1.0
	v_rcp_f32_e32 v6, v3
	v_div_scale_f32 v7, vcc, 1.0, v2, 1.0
	s_movk_i32 s4, 0x7f
	v_fma_f32 v10, -v3, v6, 1.0
	v_fmac_f32_e32 v6, v10, v6
	v_mul_f32_e32 v10, v7, v6
	v_fma_f32 v11, -v3, v10, v7
	v_fmac_f32_e32 v10, v11, v6
	v_fma_f32 v3, -v3, v10, v7
	v_div_fmas_f32 v3, v3, v6, v10
	v_div_fixup_f32 v2, v3, v2, 1.0
	v_xad_u32 v3, v0, -1, s15
	v_subrev_u32_e32 v6, s49, v3
	v_cmp_lt_u32_e32 vcc, s4, v6
	s_mov_b64 s[10:11], -1
	v_mov_b32_e32 v3, v0
	s_and_saveexec_b64 s[4:5], vcc
	s_cbranch_execz .LBB30_42
; %bb.34:
	v_lshrrev_b32_e32 v6, 7, v6
	v_add_u32_e32 v10, -1, v6
	v_lshrrev_b32_e32 v7, 1, v10
	v_mov_b32_e32 v3, v2
	v_add_u32_e32 v7, 1, v7
	v_cmp_lt_u32_e32 vcc, 13, v10
	v_mov_b32_e32 v12, 0
	s_and_saveexec_b64 s[10:11], vcc
	s_cbranch_execz .LBB30_38
; %bb.35:
	v_mov_b32_e32 v11, 0x190
	v_and_b32_e32 v10, -8, v7
	v_lshl_add_u32 v11, v0, 2, v11
	s_mov_b32 s15, 0
	s_mov_b64 s[38:39], 0
.LBB30_36:                              ; =>This Inner Loop Header: Depth=1
	ds_read2st64_b32 v[12:13], v11 offset1:2
	ds_read2st64_b32 v[14:15], v11 offset0:4 offset1:6
	ds_read2st64_b32 v[16:17], v11 offset0:8 offset1:10
	;; [unrolled: 1-line block ×3, first 2 shown]
	v_add_u32_e32 v10, -8, v10
	s_waitcnt lgkmcnt(3)
	v_pk_mul_f32 v[12:13], v[2:3], v[12:13]
	s_waitcnt lgkmcnt(2)
	v_pk_mul_f32 v[14:15], v[2:3], v[14:15]
	ds_write2st64_b32 v11, v12, v13 offset1:2
	ds_write2st64_b32 v11, v14, v15 offset0:4 offset1:6
	ds_read2st64_b32 v[14:15], v11 offset0:16 offset1:18
	s_waitcnt lgkmcnt(4)
	v_pk_mul_f32 v[12:13], v[2:3], v[16:17]
	ds_write2st64_b32 v11, v12, v13 offset0:8 offset1:10
	s_waitcnt lgkmcnt(4)
	v_pk_mul_f32 v[12:13], v[2:3], v[18:19]
	ds_write2st64_b32 v11, v12, v13 offset0:12 offset1:14
	ds_read2st64_b32 v[12:13], v11 offset0:20 offset1:22
	s_waitcnt lgkmcnt(3)
	v_pk_mul_f32 v[14:15], v[2:3], v[14:15]
	ds_read2st64_b32 v[16:17], v11 offset0:24 offset1:26
	ds_write2st64_b32 v11, v14, v15 offset0:16 offset1:18
	ds_read2st64_b32 v[14:15], v11 offset0:28 offset1:30
	s_waitcnt lgkmcnt(3)
	v_pk_mul_f32 v[12:13], v[2:3], v[12:13]
	ds_write2st64_b32 v11, v12, v13 offset0:20 offset1:22
	s_waitcnt lgkmcnt(3)
	v_pk_mul_f32 v[12:13], v[2:3], v[16:17]
	ds_write2st64_b32 v11, v12, v13 offset0:24 offset1:26
	s_waitcnt lgkmcnt(2)
	v_pk_mul_f32 v[12:13], v[2:3], v[14:15]
	s_add_i32 s15, s15, 16
	v_cmp_eq_u32_e32 vcc, 0, v10
	ds_write2st64_b32 v11, v12, v13 offset0:28 offset1:30
	v_add_u32_e32 v11, 0x2000, v11
	s_or_b64 s[38:39], vcc, s[38:39]
	v_mov_b32_e32 v12, s15
	s_andn2_b64 exec, exec, s[38:39]
	s_cbranch_execnz .LBB30_36
; %bb.37:
	s_or_b64 exec, exec, s[38:39]
.LBB30_38:
	s_or_b64 exec, exec, s[10:11]
	v_and_b32_e32 v7, 7, v7
	v_cmp_ne_u32_e32 vcc, 0, v7
	s_and_saveexec_b64 s[10:11], vcc
	s_cbranch_execz .LBB30_41
; %bb.39:
	v_lshlrev_b32_e32 v10, 9, v12
	s_movk_i32 s15, 0x190
	v_add3_u32 v10, v10, v8, s15
	s_mov_b64 s[38:39], 0
.LBB30_40:                              ; =>This Inner Loop Header: Depth=1
	ds_read2st64_b32 v[12:13], v10 offset1:2
	v_add_u32_e32 v7, -1, v7
	v_cmp_eq_u32_e32 vcc, 0, v7
	s_or_b64 s[38:39], vcc, s[38:39]
	s_waitcnt lgkmcnt(0)
	v_pk_mul_f32 v[12:13], v[2:3], v[12:13]
	ds_write2st64_b32 v10, v12, v13 offset1:2
	v_add_u32_e32 v10, 0x400, v10
	s_andn2_b64 exec, exec, s[38:39]
	s_cbranch_execnz .LBB30_40
.LBB30_41:
	s_or_b64 exec, exec, s[10:11]
	v_add_u32_e32 v6, 1, v6
	v_and_b32_e32 v7, 0x3fffffe, v6
	v_cmp_ne_u32_e32 vcc, v6, v7
	v_lshl_add_u32 v3, v7, 7, v0
	s_orn2_b64 s[10:11], vcc, exec
.LBB30_42:
	s_or_b64 exec, exec, s[4:5]
	s_and_b64 exec, exec, s[10:11]
	s_cbranch_execz .LBB30_45
; %bb.43:
	v_mov_b32_e32 v6, 0x190
	v_lshl_add_u32 v6, v3, 2, v6
	s_mov_b64 s[4:5], 0
.LBB30_44:                              ; =>This Inner Loop Header: Depth=1
	ds_read_b32 v7, v6
	v_add_u32_e32 v3, 0x80, v3
	v_cmp_le_i32_e32 vcc, s12, v3
	s_or_b64 s[4:5], vcc, s[4:5]
	s_waitcnt lgkmcnt(0)
	v_mul_f32_e32 v7, v2, v7
	ds_write_b32 v6, v7
	v_add_u32_e32 v6, 0x200, v6
	s_andn2_b64 exec, exec, s[4:5]
	s_cbranch_execnz .LBB30_44
.LBB30_45:
	s_or_b64 exec, exec, s[2:3]
	s_mul_i32 s2, s19, s28
	v_cmp_eq_u32_e32 vcc, 0, v0
	s_mul_i32 s2, s2, s9
	s_waitcnt lgkmcnt(0)
	s_barrier
	s_and_saveexec_b64 s[4:5], vcc
	s_cbranch_execz .LBB30_47
; %bb.46:
	s_ashr_i32 s3, s2, 31
	s_lshl_b64 s[10:11], s[2:3], 2
	s_add_u32 s3, s22, s10
	s_mul_i32 s22, s19, s6
	s_addc_u32 s9, s23, s11
	s_ashr_i32 s23, s22, 31
	s_lshl_b64 s[22:23], s[22:23], 2
	s_add_u32 s3, s3, s22
	s_addc_u32 s6, s9, s23
	s_ashr_i32 s9, s8, 31
	s_lshl_b64 s[38:39], s[8:9], 2
	s_add_u32 s40, s3, s38
	s_addc_u32 s41, s6, s39
	s_add_u32 s3, s20, s10
	s_addc_u32 s6, s21, s11
	;; [unrolled: 2-line block ×3, first 2 shown]
	s_add_u32 s10, s3, s38
	v_mov_b32_e32 v2, 0
	s_addc_u32 s11, s6, s39
	global_store_dword v2, v4, s[40:41]
	global_store_dword v2, v5, s[10:11]
.LBB30_47:
	s_or_b64 exec, exec, s[4:5]
	s_mov_b32 s12, 0
	v_mov_b32_e32 v7, 0
	v_mov_b32_e32 v6, 0
	;; [unrolled: 1-line block ×6, first 2 shown]
	s_and_saveexec_b64 s[4:5], s[0:1]
	s_cbranch_execz .LBB30_65
; %bb.48:
	s_ashr_i32 s15, s14, 31
	s_sub_i32 s3, s16, s17
	s_lshl_b64 s[0:1], s[14:15], 2
	s_add_u32 s9, s36, s0
	s_addc_u32 s20, s37, s1
	s_abs_i32 s18, s18
	v_cvt_f32_u32_e32 v2, s18
	s_sub_i32 s0, 0, s18
	s_add_i32 s22, s7, -1
	v_and_b32_e32 v46, 12, v8
	v_rcp_iflag_f32_e32 v2, v2
	s_mov_b32 s21, s13
	v_and_b32_e32 v8, 0xfc, v8
	s_mov_b32 s13, s12
	v_mul_f32_e32 v2, 0x4f7ffffe, v2
	v_cvt_u32_f32_e32 v2, v2
	v_or_b32_e32 v10, 0x400, v8
	v_or_b32_e32 v12, 0x500, v8
	s_mov_b32 s14, s12
	v_mul_lo_u32 v3, s0, v2
	v_mul_hi_u32 v3, v2, v3
	s_lshl_b64 s[0:1], s[34:35], 2
	v_add_u32_e32 v47, v2, v3
	v_lshlrev_b64 v[2:3], 2, v[36:37]
	s_add_u32 s0, s30, s0
	s_addc_u32 s1, s31, s1
	v_add_co_u32_e32 v38, vcc, s0, v2
	v_lshlrev_b32_e32 v2, 4, v41
	v_mov_b32_e32 v4, s1
	v_lshl_or_b32 v2, v9, 6, v2
	v_addc_co_u32_e32 v39, vcc, v4, v3, vcc
	v_add_u32_e32 v37, 0x190, v2
	s_mov_b32 s15, s12
	s_mov_b32 s16, s12
	;; [unrolled: 1-line block ×3, first 2 shown]
	v_pk_mov_b32 v[2:3], s[12:13], s[12:13] op_sel:[0,1]
	s_mov_b64 s[6:7], 0
	v_pk_mov_b32 v[4:5], s[14:15], s[14:15] op_sel:[0,1]
	v_pk_mov_b32 v[6:7], s[16:17], s[16:17] op_sel:[0,1]
	v_lshlrev_b32_e32 v48, 2, v8
	v_lshlrev_b32_e32 v49, 2, v10
	;; [unrolled: 1-line block ×3, first 2 shown]
	s_branch .LBB30_51
.LBB30_49:                              ;   in Loop: Header=BB30_51 Depth=1
	s_or_b64 exec, exec, s[0:1]
	s_waitcnt vmcnt(5) lgkmcnt(0)
	v_mul_f32_e32 v13, v9, v13
	v_fmac_f32_e32 v13, v8, v12
	s_waitcnt vmcnt(4)
	v_mul_f32_e32 v12, v9, v17
	v_fmac_f32_e32 v12, v8, v16
	v_fmac_f32_e32 v12, v10, v18
	v_fmac_f32_e32 v12, v11, v19
	v_add_f32_e32 v3, v3, v12
	s_waitcnt vmcnt(3)
	v_mul_f32_e32 v12, v9, v21
	v_fmac_f32_e32 v12, v8, v20
	v_fmac_f32_e32 v12, v10, v22
	v_fmac_f32_e32 v12, v11, v23
	v_add_f32_e32 v4, v4, v12
	s_waitcnt vmcnt(2)
	v_mul_f32_e32 v12, v9, v25
	v_fmac_f32_e32 v12, v8, v24
	v_fmac_f32_e32 v12, v10, v26
	v_fmac_f32_e32 v12, v11, v27
	v_add_f32_e32 v5, v5, v12
	s_waitcnt vmcnt(1)
	v_mul_f32_e32 v12, v9, v29
	s_waitcnt vmcnt(0)
	v_mul_f32_e32 v9, v9, v33
	v_fmac_f32_e32 v12, v8, v28
	v_fmac_f32_e32 v9, v8, v32
	;; [unrolled: 1-line block ×8, first 2 shown]
	v_add_f32_e32 v2, v2, v13
	v_add_f32_e32 v6, v6, v12
	;; [unrolled: 1-line block ×3, first 2 shown]
.LBB30_50:                              ;   in Loop: Header=BB30_51 Depth=1
	s_or_b64 exec, exec, s[10:11]
	v_add_co_u32_e32 v38, vcc, 8, v38
	v_add_u32_e32 v36, 2, v36
	v_addc_co_u32_e32 v39, vcc, 0, v39, vcc
	v_cmp_le_i32_e32 vcc, s48, v36
	v_add_u32_e32 v42, 32, v42
	s_or_b64 s[6:7], vcc, s[6:7]
	v_add_u32_e32 v37, 0x80, v37
	s_andn2_b64 exec, exec, s[6:7]
	s_cbranch_execz .LBB30_64
.LBB30_51:                              ; =>This Inner Loop Header: Depth=1
	v_sub_u32_e32 v9, 0, v42
	v_max_i32_e32 v9, v42, v9
	v_mul_hi_u32 v10, v9, s33
	v_mul_lo_u32 v11, v10, s25
	v_sub_u32_e32 v9, v9, v11
	v_add_u32_e32 v11, 1, v10
	v_cmp_le_u32_e32 vcc, s25, v9
	v_cndmask_b32_e32 v10, v10, v11, vcc
	v_subrev_u32_e32 v11, s25, v9
	v_cndmask_b32_e32 v9, v9, v11, vcc
	v_ashrrev_i32_e32 v8, 31, v42
	v_add_u32_e32 v11, 1, v10
	v_cmp_le_u32_e32 vcc, s25, v9
	v_xor_b32_e32 v8, s47, v8
	v_cndmask_b32_e32 v9, v10, v11, vcc
	v_xor_b32_e32 v9, v9, v8
	v_sub_u32_e32 v8, v9, v8
	v_add_u32_e32 v9, s46, v8
	v_sub_u32_e32 v11, 0, v9
	v_ashrrev_i32_e32 v10, 31, v9
	v_max_i32_e32 v9, v9, v11
	v_mul_hi_u32 v11, v9, v47
	v_mul_lo_u32 v11, v11, s18
	v_sub_u32_e32 v9, v9, v11
	v_subrev_u32_e32 v11, s18, v9
	v_cmp_le_u32_e32 vcc, s18, v9
	v_cndmask_b32_e32 v9, v9, v11, vcc
	v_subrev_u32_e32 v11, s18, v9
	v_cmp_le_u32_e32 vcc, s18, v9
	v_cndmask_b32_e32 v9, v9, v11, vcc
	v_xor_b32_e32 v9, v9, v10
	v_sub_u32_e32 v9, v9, v10
	v_cmp_eq_u32_e32 vcc, 0, v9
	v_cmp_lt_i32_e64 s[0:1], s3, v8
	s_or_b64 s[0:1], vcc, s[0:1]
	s_and_saveexec_b64 s[10:11], s[0:1]
	s_cbranch_execz .LBB30_50
; %bb.52:                               ;   in Loop: Header=BB30_51 Depth=1
	global_load_dword v8, v[38:39], off
	v_mov_b32_e32 v10, s20
	v_add_u32_e32 v51, v46, v42
	v_add_u32_e32 v54, 1, v51
	;; [unrolled: 1-line block ×4, first 2 shown]
	s_waitcnt vmcnt(0)
	v_mad_i64_i32 v[8:9], s[0:1], v8, s21, 0
	v_lshlrev_b64 v[8:9], 2, v[8:9]
	v_add_co_u32_e32 v32, vcc, s9, v8
	v_addc_co_u32_e32 v33, vcc, v10, v9, vcc
	v_add_co_u32_e32 v24, vcc, v32, v48
	v_addc_co_u32_e32 v25, vcc, 0, v33, vcc
	global_load_dwordx4 v[12:15], v[24:25], off
	ds_read_b128 v[8:11], v37
	v_cmp_eq_u32_e32 vcc, s22, v36
	s_and_saveexec_b64 s[12:13], vcc
	s_cbranch_execnz .LBB30_61
; %bb.53:                               ;   in Loop: Header=BB30_51 Depth=1
	s_or_b64 exec, exec, s[12:13]
	global_load_dwordx4 v[16:19], v[24:25], off offset:1024
	s_and_saveexec_b64 s[12:13], vcc
	s_cbranch_execnz .LBB30_62
.LBB30_54:                              ;   in Loop: Header=BB30_51 Depth=1
	s_or_b64 exec, exec, s[12:13]
	global_load_dwordx4 v[20:23], v[24:25], off offset:2048
	s_and_saveexec_b64 s[12:13], vcc
	s_cbranch_execnz .LBB30_63
.LBB30_55:                              ;   in Loop: Header=BB30_51 Depth=1
	s_or_b64 exec, exec, s[12:13]
	global_load_dwordx4 v[24:27], v[24:25], off offset:3072
	s_and_saveexec_b64 s[12:13], vcc
	s_cbranch_execz .LBB30_57
.LBB30_56:                              ;   in Loop: Header=BB30_51 Depth=1
	v_cmp_gt_i32_e64 s[0:1], s29, v51
	s_waitcnt vmcnt(0)
	v_cndmask_b32_e64 v24, 0, v24, s[0:1]
	v_cmp_gt_i32_e64 s[0:1], s29, v54
	v_cndmask_b32_e64 v25, 0, v25, s[0:1]
	v_cmp_gt_i32_e64 s[0:1], s29, v53
	;; [unrolled: 2-line block ×3, first 2 shown]
	v_cndmask_b32_e64 v27, 0, v27, s[0:1]
.LBB30_57:                              ;   in Loop: Header=BB30_51 Depth=1
	s_or_b64 exec, exec, s[12:13]
	v_add_co_u32_e64 v28, s[0:1], v32, v49
	v_addc_co_u32_e64 v29, s[0:1], 0, v33, s[0:1]
	global_load_dwordx4 v[28:31], v[28:29], off
	s_and_saveexec_b64 s[12:13], vcc
	s_cbranch_execz .LBB30_59
; %bb.58:                               ;   in Loop: Header=BB30_51 Depth=1
	v_cmp_gt_i32_e64 s[0:1], s29, v51
	s_waitcnt vmcnt(0)
	v_cndmask_b32_e64 v28, 0, v28, s[0:1]
	v_cmp_gt_i32_e64 s[0:1], s29, v54
	v_cndmask_b32_e64 v29, 0, v29, s[0:1]
	v_cmp_gt_i32_e64 s[0:1], s29, v53
	;; [unrolled: 2-line block ×3, first 2 shown]
	v_cndmask_b32_e64 v31, 0, v31, s[0:1]
.LBB30_59:                              ;   in Loop: Header=BB30_51 Depth=1
	s_or_b64 exec, exec, s[12:13]
	v_add_co_u32_e64 v32, s[0:1], v32, v50
	v_addc_co_u32_e64 v33, s[0:1], 0, v33, s[0:1]
	global_load_dwordx4 v[32:35], v[32:33], off
	s_and_saveexec_b64 s[0:1], vcc
	s_cbranch_execz .LBB30_49
; %bb.60:                               ;   in Loop: Header=BB30_51 Depth=1
	v_cmp_gt_i32_e32 vcc, s29, v51
	s_waitcnt vmcnt(0)
	v_cndmask_b32_e32 v32, 0, v32, vcc
	v_cmp_gt_i32_e32 vcc, s29, v54
	v_cndmask_b32_e32 v33, 0, v33, vcc
	v_cmp_gt_i32_e32 vcc, s29, v53
	;; [unrolled: 2-line block ×3, first 2 shown]
	v_cndmask_b32_e32 v35, 0, v35, vcc
	s_branch .LBB30_49
.LBB30_61:                              ;   in Loop: Header=BB30_51 Depth=1
	v_cmp_gt_i32_e64 s[0:1], s29, v51
	s_waitcnt vmcnt(0)
	v_cndmask_b32_e64 v12, 0, v12, s[0:1]
	v_cmp_gt_i32_e64 s[0:1], s29, v54
	v_cndmask_b32_e64 v13, 0, v13, s[0:1]
	v_cmp_gt_i32_e64 s[0:1], s29, v53
	;; [unrolled: 2-line block ×3, first 2 shown]
	v_cndmask_b32_e64 v15, 0, v15, s[0:1]
	s_or_b64 exec, exec, s[12:13]
	global_load_dwordx4 v[16:19], v[24:25], off offset:1024
	s_and_saveexec_b64 s[12:13], vcc
	s_cbranch_execz .LBB30_54
.LBB30_62:                              ;   in Loop: Header=BB30_51 Depth=1
	v_cmp_gt_i32_e64 s[0:1], s29, v51
	s_waitcnt vmcnt(0)
	v_cndmask_b32_e64 v16, 0, v16, s[0:1]
	v_cmp_gt_i32_e64 s[0:1], s29, v54
	v_cndmask_b32_e64 v17, 0, v17, s[0:1]
	v_cmp_gt_i32_e64 s[0:1], s29, v53
	;; [unrolled: 2-line block ×3, first 2 shown]
	v_cndmask_b32_e64 v19, 0, v19, s[0:1]
	s_or_b64 exec, exec, s[12:13]
	global_load_dwordx4 v[20:23], v[24:25], off offset:2048
	s_and_saveexec_b64 s[12:13], vcc
	s_cbranch_execz .LBB30_55
.LBB30_63:                              ;   in Loop: Header=BB30_51 Depth=1
	v_cmp_gt_i32_e64 s[0:1], s29, v51
	s_waitcnt vmcnt(0)
	v_cndmask_b32_e64 v20, 0, v20, s[0:1]
	v_cmp_gt_i32_e64 s[0:1], s29, v54
	v_cndmask_b32_e64 v21, 0, v21, s[0:1]
	v_cmp_gt_i32_e64 s[0:1], s29, v53
	;; [unrolled: 2-line block ×3, first 2 shown]
	v_cndmask_b32_e64 v23, 0, v23, s[0:1]
	s_or_b64 exec, exec, s[12:13]
	global_load_dwordx4 v[24:27], v[24:25], off offset:3072
	s_and_saveexec_b64 s[12:13], vcc
	s_cbranch_execnz .LBB30_56
	s_branch .LBB30_57
.LBB30_64:
	s_or_b64 exec, exec, s[6:7]
.LBB30_65:
	s_or_b64 exec, exec, s[4:5]
	ds_bpermute_b32 v8, v45, v2
	ds_bpermute_b32 v9, v45, v3
	;; [unrolled: 1-line block ×6, first 2 shown]
	s_waitcnt lgkmcnt(4)
	v_pk_add_f32 v[2:3], v[2:3], v[8:9]
	ds_bpermute_b32 v8, v44, v2
	ds_bpermute_b32 v9, v44, v3
	s_waitcnt lgkmcnt(4)
	v_pk_add_f32 v[4:5], v[4:5], v[10:11]
	s_waitcnt lgkmcnt(2)
	v_pk_add_f32 v[12:13], v[6:7], v[12:13]
	ds_bpermute_b32 v10, v44, v4
	ds_bpermute_b32 v11, v44, v5
	;; [unrolled: 1-line block ×4, first 2 shown]
	s_waitcnt lgkmcnt(4)
	v_pk_add_f32 v[6:7], v[2:3], v[8:9]
	v_and_b32_e32 v8, 0x3c3, v0
	s_waitcnt lgkmcnt(2)
	v_pk_add_f32 v[2:3], v[4:5], v[10:11]
	v_cmp_eq_u32_e32 vcc, 64, v8
	s_waitcnt lgkmcnt(0)
	v_pk_add_f32 v[4:5], v[12:13], v[14:15]
	s_barrier
	s_and_saveexec_b64 s[0:1], vcc
	s_cbranch_execz .LBB30_67
; %bb.66:
	v_add_u32_e32 v9, 0x190, v43
	ds_write2_b32 v9, v6, v7 offset1:16
	ds_write2_b32 v9, v2, v3 offset0:32 offset1:48
	ds_write2_b32 v9, v4, v5 offset0:64 offset1:80
.LBB30_67:
	s_or_b64 exec, exec, s[0:1]
	v_cmp_gt_u32_e32 vcc, 64, v0
	s_waitcnt lgkmcnt(0)
	s_barrier
	s_and_saveexec_b64 s[0:1], vcc
	s_cbranch_execz .LBB30_76
; %bb.68:
	v_cmp_eq_u32_e32 vcc, 0, v41
	s_and_saveexec_b64 s[4:5], vcc
	s_cbranch_execnz .LBB30_79
; %bb.69:
	s_or_b64 exec, exec, s[4:5]
	s_and_saveexec_b64 s[4:5], vcc
	s_cbranch_execnz .LBB30_80
.LBB30_70:
	s_or_b64 exec, exec, s[4:5]
	s_and_saveexec_b64 s[4:5], vcc
	s_cbranch_execnz .LBB30_81
.LBB30_71:
	s_or_b64 exec, exec, s[4:5]
	s_and_saveexec_b64 s[4:5], vcc
	s_cbranch_execnz .LBB30_82
.LBB30_72:
	s_or_b64 exec, exec, s[4:5]
	s_and_saveexec_b64 s[4:5], vcc
	s_cbranch_execnz .LBB30_83
.LBB30_73:
	s_or_b64 exec, exec, s[4:5]
	s_and_saveexec_b64 s[4:5], vcc
	s_cbranch_execz .LBB30_75
.LBB30_74:
	v_mov_b32_e32 v0, 0x190
	v_lshl_add_u32 v0, v40, 2, v0
	ds_read_b32 v0, v0 offset:320
	s_waitcnt lgkmcnt(0)
	v_add_f32_e32 v5, v5, v0
.LBB30_75:
	s_or_b64 exec, exec, s[4:5]
.LBB30_76:
	s_or_b64 exec, exec, s[0:1]
	v_cmp_eq_u32_e32 vcc, 0, v8
	s_barrier
	s_and_saveexec_b64 s[0:1], vcc
	s_cbranch_execz .LBB30_78
; %bb.77:
	s_mul_i32 s0, s2, 0x60
	s_ashr_i32 s1, s0, 31
	s_lshl_b64 s[0:1], s[0:1], 2
	s_add_u32 s2, s26, s0
	s_mul_i32 s0, s19, s24
	s_addc_u32 s3, s27, s1
	s_ashr_i32 s1, s0, 31
	s_lshl_b64 s[0:1], s[0:1], 2
	s_add_u32 s2, s2, s0
	s_mul_i32 s0, s8, 0x60
	s_addc_u32 s3, s3, s1
	s_ashr_i32 s1, s0, 31
	s_lshl_b64 s[0:1], s[0:1], 2
	s_add_u32 s0, s2, s0
	s_addc_u32 s1, s3, s1
	global_store_dword v1, v6, s[0:1]
	global_store_dword v1, v7, s[0:1] offset:64
	global_store_dword v1, v2, s[0:1] offset:128
	;; [unrolled: 1-line block ×5, first 2 shown]
.LBB30_78:
	s_endpgm
.LBB30_79:
	v_mov_b32_e32 v0, 0x190
	v_lshl_add_u32 v0, v40, 2, v0
	ds_read_b32 v0, v0
	s_waitcnt lgkmcnt(0)
	v_add_f32_e32 v6, v6, v0
	s_or_b64 exec, exec, s[4:5]
	s_and_saveexec_b64 s[4:5], vcc
	s_cbranch_execz .LBB30_70
.LBB30_80:
	v_mov_b32_e32 v0, 0x190
	v_lshl_add_u32 v0, v40, 2, v0
	ds_read_b32 v0, v0 offset:64
	s_waitcnt lgkmcnt(0)
	v_add_f32_e32 v7, v7, v0
	s_or_b64 exec, exec, s[4:5]
	s_and_saveexec_b64 s[4:5], vcc
	s_cbranch_execz .LBB30_71
.LBB30_81:
	v_mov_b32_e32 v0, 0x190
	v_lshl_add_u32 v0, v40, 2, v0
	ds_read_b32 v0, v0 offset:128
	s_waitcnt lgkmcnt(0)
	v_add_f32_e32 v2, v2, v0
	s_or_b64 exec, exec, s[4:5]
	s_and_saveexec_b64 s[4:5], vcc
	s_cbranch_execz .LBB30_72
.LBB30_82:
	v_mov_b32_e32 v0, 0x190
	v_lshl_add_u32 v0, v40, 2, v0
	ds_read_b32 v0, v0 offset:192
	s_waitcnt lgkmcnt(0)
	v_add_f32_e32 v3, v3, v0
	s_or_b64 exec, exec, s[4:5]
	s_and_saveexec_b64 s[4:5], vcc
	s_cbranch_execz .LBB30_73
.LBB30_83:
	v_mov_b32_e32 v0, 0x190
	v_lshl_add_u32 v0, v40, 2, v0
	ds_read_b32 v0, v0 offset:256
	s_waitcnt lgkmcnt(0)
	v_add_f32_e32 v4, v4, v0
	s_or_b64 exec, exec, s[4:5]
	s_and_saveexec_b64 s[4:5], vcc
	s_cbranch_execnz .LBB30_74
	s_branch .LBB30_75
	.section	.rodata,"a",@progbits
	.p2align	6, 0x0
	.amdhsa_kernel _ZN4vllm25paged_attention_v2_kernelIffLi96ELi16ELi128ELNS_18Fp8KVCacheDataTypeE0ELb1ELi512EEEvPfS2_PT_PKS3_PKT0_S9_ifPKiSB_iPKfiiiSD_SD_iiiii
		.amdhsa_group_segment_fixed_size 400
		.amdhsa_private_segment_fixed_size 0
		.amdhsa_kernarg_size 400
		.amdhsa_user_sgpr_count 6
		.amdhsa_user_sgpr_private_segment_buffer 1
		.amdhsa_user_sgpr_dispatch_ptr 0
		.amdhsa_user_sgpr_queue_ptr 0
		.amdhsa_user_sgpr_kernarg_segment_ptr 1
		.amdhsa_user_sgpr_dispatch_id 0
		.amdhsa_user_sgpr_flat_scratch_init 0
		.amdhsa_user_sgpr_kernarg_preload_length 0
		.amdhsa_user_sgpr_kernarg_preload_offset 0
		.amdhsa_user_sgpr_private_segment_size 0
		.amdhsa_uses_dynamic_stack 0
		.amdhsa_system_sgpr_private_segment_wavefront_offset 0
		.amdhsa_system_sgpr_workgroup_id_x 1
		.amdhsa_system_sgpr_workgroup_id_y 1
		.amdhsa_system_sgpr_workgroup_id_z 1
		.amdhsa_system_sgpr_workgroup_info 0
		.amdhsa_system_vgpr_workitem_id 0
		.amdhsa_next_free_vgpr 76
		.amdhsa_next_free_sgpr 53
		.amdhsa_accum_offset 76
		.amdhsa_reserve_vcc 1
		.amdhsa_reserve_flat_scratch 0
		.amdhsa_float_round_mode_32 0
		.amdhsa_float_round_mode_16_64 0
		.amdhsa_float_denorm_mode_32 3
		.amdhsa_float_denorm_mode_16_64 3
		.amdhsa_dx10_clamp 1
		.amdhsa_ieee_mode 1
		.amdhsa_fp16_overflow 0
		.amdhsa_tg_split 0
		.amdhsa_exception_fp_ieee_invalid_op 0
		.amdhsa_exception_fp_denorm_src 0
		.amdhsa_exception_fp_ieee_div_zero 0
		.amdhsa_exception_fp_ieee_overflow 0
		.amdhsa_exception_fp_ieee_underflow 0
		.amdhsa_exception_fp_ieee_inexact 0
		.amdhsa_exception_int_div_zero 0
	.end_amdhsa_kernel
	.section	.text._ZN4vllm25paged_attention_v2_kernelIffLi96ELi16ELi128ELNS_18Fp8KVCacheDataTypeE0ELb1ELi512EEEvPfS2_PT_PKS3_PKT0_S9_ifPKiSB_iPKfiiiSD_SD_iiiii,"axG",@progbits,_ZN4vllm25paged_attention_v2_kernelIffLi96ELi16ELi128ELNS_18Fp8KVCacheDataTypeE0ELb1ELi512EEEvPfS2_PT_PKS3_PKT0_S9_ifPKiSB_iPKfiiiSD_SD_iiiii,comdat
.Lfunc_end30:
	.size	_ZN4vllm25paged_attention_v2_kernelIffLi96ELi16ELi128ELNS_18Fp8KVCacheDataTypeE0ELb1ELi512EEEvPfS2_PT_PKS3_PKT0_S9_ifPKiSB_iPKfiiiSD_SD_iiiii, .Lfunc_end30-_ZN4vllm25paged_attention_v2_kernelIffLi96ELi16ELi128ELNS_18Fp8KVCacheDataTypeE0ELb1ELi512EEEvPfS2_PT_PKS3_PKT0_S9_ifPKiSB_iPKfiiiSD_SD_iiiii
                                        ; -- End function
	.section	.AMDGPU.csdata,"",@progbits
; Kernel info:
; codeLenInByte = 5544
; NumSgprs: 57
; NumVgprs: 76
; NumAgprs: 0
; TotalNumVgprs: 76
; ScratchSize: 0
; MemoryBound: 0
; FloatMode: 240
; IeeeMode: 1
; LDSByteSize: 400 bytes/workgroup (compile time only)
; SGPRBlocks: 7
; VGPRBlocks: 9
; NumSGPRsForWavesPerEU: 57
; NumVGPRsForWavesPerEU: 76
; AccumOffset: 76
; Occupancy: 6
; WaveLimiterHint : 1
; COMPUTE_PGM_RSRC2:SCRATCH_EN: 0
; COMPUTE_PGM_RSRC2:USER_SGPR: 6
; COMPUTE_PGM_RSRC2:TRAP_HANDLER: 0
; COMPUTE_PGM_RSRC2:TGID_X_EN: 1
; COMPUTE_PGM_RSRC2:TGID_Y_EN: 1
; COMPUTE_PGM_RSRC2:TGID_Z_EN: 1
; COMPUTE_PGM_RSRC2:TIDIG_COMP_CNT: 0
; COMPUTE_PGM_RSRC3_GFX90A:ACCUM_OFFSET: 18
; COMPUTE_PGM_RSRC3_GFX90A:TG_SPLIT: 0
	.section	.text._ZN4vllm25paged_attention_v2_kernelIffLi112ELi16ELi128ELNS_18Fp8KVCacheDataTypeE0ELb1ELi512EEEvPfS2_PT_PKS3_PKT0_S9_ifPKiSB_iPKfiiiSD_SD_iiiii,"axG",@progbits,_ZN4vllm25paged_attention_v2_kernelIffLi112ELi16ELi128ELNS_18Fp8KVCacheDataTypeE0ELb1ELi512EEEvPfS2_PT_PKS3_PKT0_S9_ifPKiSB_iPKfiiiSD_SD_iiiii,comdat
	.protected	_ZN4vllm25paged_attention_v2_kernelIffLi112ELi16ELi128ELNS_18Fp8KVCacheDataTypeE0ELb1ELi512EEEvPfS2_PT_PKS3_PKT0_S9_ifPKiSB_iPKfiiiSD_SD_iiiii ; -- Begin function _ZN4vllm25paged_attention_v2_kernelIffLi112ELi16ELi128ELNS_18Fp8KVCacheDataTypeE0ELb1ELi512EEEvPfS2_PT_PKS3_PKT0_S9_ifPKiSB_iPKfiiiSD_SD_iiiii
	.globl	_ZN4vllm25paged_attention_v2_kernelIffLi112ELi16ELi128ELNS_18Fp8KVCacheDataTypeE0ELb1ELi512EEEvPfS2_PT_PKS3_PKT0_S9_ifPKiSB_iPKfiiiSD_SD_iiiii
	.p2align	8
	.type	_ZN4vllm25paged_attention_v2_kernelIffLi112ELi16ELi128ELNS_18Fp8KVCacheDataTypeE0ELb1ELi512EEEvPfS2_PT_PKS3_PKT0_S9_ifPKiSB_iPKfiiiSD_SD_iiiii,@function
_ZN4vllm25paged_attention_v2_kernelIffLi112ELi16ELi128ELNS_18Fp8KVCacheDataTypeE0ELb1ELi512EEEvPfS2_PT_PKS3_PKT0_S9_ifPKiSB_iPKfiiiSD_SD_iiiii: ; @_ZN4vllm25paged_attention_v2_kernelIffLi112ELi16ELi128ELNS_18Fp8KVCacheDataTypeE0ELb1ELi512EEEvPfS2_PT_PKS3_PKT0_S9_ifPKiSB_iPKfiiiSD_SD_iiiii
; %bb.0:
	s_load_dwordx2 s[0:1], s[4:5], 0x40
	s_mov_b32 s28, s7
	s_ashr_i32 s29, s7, 31
	s_lshl_b64 s[2:3], s[28:29], 2
	s_waitcnt lgkmcnt(0)
	s_add_u32 s0, s0, s2
	s_addc_u32 s1, s1, s3
	s_load_dword s29, s[0:1], 0x0
	s_lshl_b32 s49, s8, 9
	s_waitcnt lgkmcnt(0)
	s_cmp_ge_i32 s49, s29
	s_cbranch_scc1 .LBB31_81
; %bb.1:
	s_load_dword s9, s[4:5], 0x90
	s_load_dwordx2 s[38:39], s[4:5], 0x30
	s_mov_b32 s50, 0
	s_waitcnt lgkmcnt(0)
	s_abs_i32 s2, s9
	s_abs_i32 s0, s38
	v_cvt_f32_u32_e32 v1, s0
	s_sub_i32 s3, 0, s0
	s_xor_b32 s1, s9, s38
	s_ashr_i32 s1, s1, 31
	v_rcp_iflag_f32_e32 v1, v1
	v_mul_f32_e32 v1, 0x4f7ffffe, v1
	v_cvt_u32_f32_e32 v1, v1
	v_readfirstlane_b32 s7, v1
	s_mul_i32 s3, s3, s7
	s_mul_hi_u32 s3, s7, s3
	s_add_i32 s7, s7, s3
	s_mul_hi_u32 s3, s2, s7
	s_mul_i32 s7, s3, s0
	s_sub_i32 s2, s2, s7
	s_add_i32 s10, s3, 1
	s_sub_i32 s7, s2, s0
	s_cmp_ge_u32 s2, s0
	s_cselect_b32 s3, s10, s3
	s_cselect_b32 s2, s7, s2
	s_add_i32 s7, s3, 1
	s_cmp_ge_u32 s2, s0
	s_cselect_b32 s0, s7, s3
	s_xor_b32 s0, s0, s1
	s_sub_i32 s11, s0, s1
	s_abs_i32 s2, s11
	v_cvt_f32_u32_e32 v1, s2
	s_load_dwordx2 s[0:1], s[4:5], 0x50
	s_sub_i32 s7, 0, s2
	s_abs_i32 s3, s6
	v_rcp_iflag_f32_e32 v1, v1
	v_mul_f32_e32 v1, 0x4f7ffffe, v1
	v_cvt_u32_f32_e32 v1, v1
	v_readfirstlane_b32 s10, v1
	s_mul_i32 s7, s7, s10
	s_mul_hi_u32 s7, s10, s7
	s_add_i32 s10, s10, s7
	s_waitcnt lgkmcnt(0)
	s_cmp_eq_u64 s[0:1], 0
	s_mul_hi_u32 s10, s3, s10
	s_cbranch_scc1 .LBB31_3
; %bb.2:
	s_ashr_i32 s7, s6, 31
	s_lshl_b64 s[12:13], s[6:7], 2
	s_add_u32 s0, s0, s12
	s_addc_u32 s1, s1, s13
	s_load_dword s50, s[0:1], 0x0
.LBB31_3:
	s_load_dwordx4 s[12:15], s[4:5], 0x58
	v_lshrrev_b32_e32 v46, 2, v0
	s_waitcnt lgkmcnt(0)
	s_movk_i32 s15, 0x70
	s_ashr_i32 s7, s6, 31
	s_ashr_i32 s11, s11, 31
	v_and_b32_e32 v47, 3, v0
	s_mul_i32 s24, s6, 0x70
	v_cmp_gt_u32_e32 vcc, s15, v0
	v_lshlrev_b32_e32 v10, 2, v0
	v_lshlrev_b32_e32 v1, 2, v46
	s_and_saveexec_b64 s[0:1], vcc
	s_cbranch_execz .LBB31_5
; %bb.4:
	s_load_dwordx2 s[16:17], s[4:5], 0x18
	s_mul_i32 s18, s28, s12
	s_ashr_i32 s19, s18, 31
	s_lshl_b64 s[18:19], s[18:19], 2
	v_mad_u32_u24 v3, v47, s15, v1
	s_waitcnt lgkmcnt(0)
	s_add_u32 s12, s16, s18
	s_addc_u32 s18, s17, s19
	s_ashr_i32 s25, s24, 31
	s_lshl_b64 s[16:17], s[24:25], 2
	s_add_u32 s16, s12, s16
	s_addc_u32 s17, s18, s17
	global_load_dword v2, v10, s[16:17]
	s_waitcnt vmcnt(0)
	ds_write_b32 v3, v2
.LBB31_5:
	s_or_b64 exec, exec, s[0:1]
	s_mul_i32 s1, s10, s2
	s_sub_i32 s1, s3, s1
	s_xor_b32 s0, s7, s11
	s_add_i32 s3, s10, 1
	s_sub_i32 s7, s1, s2
	s_load_dwordx4 s[16:19], s[4:5], 0x78
	s_cmp_ge_u32 s1, s2
	s_cselect_b32 s3, s3, s10
	s_load_dword s10, s[4:5], 0x88
	s_cselect_b32 s1, s7, s1
	s_add_i32 s7, s3, 1
	s_cmp_ge_u32 s1, s2
	s_cselect_b32 s1, s7, s3
	s_waitcnt lgkmcnt(0)
	s_abs_i32 s25, s19
	v_cvt_f32_u32_e32 v2, s25
	s_xor_b32 s1, s1, s0
	s_sub_i32 s2, s1, s0
	s_sub_i32 s0, 0, s25
	v_rcp_iflag_f32_e32 v2, v2
	s_add_i32 s11, s29, -1
	s_abs_i32 s3, s11
	v_mul_f32_e32 v2, 0x4f7ffffe, v2
	v_cvt_u32_f32_e32 v2, v2
	s_barrier
	v_readfirstlane_b32 s33, v2
	s_mul_i32 s0, s0, s33
	s_mul_hi_u32 s0, s33, s0
	s_add_i32 s33, s33, s0
	s_cmp_lt_i32 s10, 0
	s_mul_hi_u32 s7, s3, s33
	s_cbranch_scc0 .LBB31_7
; %bb.6:
	s_mul_i32 s0, s16, s38
	s_add_i32 s0, s2, s0
	s_mul_i32 s0, s0, s10
	s_sub_i32 s46, 1, s0
	s_mov_b64 s[0:1], 0
	s_branch .LBB31_8
.LBB31_7:
	s_mov_b64 s[0:1], -1
                                        ; implicit-def: $sgpr46
.LBB31_8:
	s_load_dwordx2 s[30:31], s[4:5], 0x38
	s_ashr_i32 s11, s11, 31
	s_andn2_b64 vcc, exec, s[0:1]
	s_ashr_i32 s47, s19, 31
	s_cbranch_vccnz .LBB31_10
; %bb.9:
	s_mul_i32 s0, s9, s16
	s_add_i32 s0, s0, s6
	s_mul_i32 s0, s0, s10
	s_add_i32 s46, s0, 1
.LBB31_10:
	s_load_dword s0, s[4:5], 0x48
	s_load_dwordx2 s[36:37], s[4:5], 0x28
	s_load_dword s19, s[4:5], 0x98
	s_load_dwordx4 s[20:23], s[4:5], 0x0
	s_load_dwordx2 s[26:27], s[4:5], 0x10
	s_mul_i32 s1, s7, s25
	s_waitcnt lgkmcnt(0)
	s_mul_i32 s34, s28, s0
	s_sub_i32 s1, s3, s1
	s_ashr_i32 s35, s34, 31
	s_xor_b32 s0, s11, s47
	s_add_i32 s3, s7, 1
	s_sub_i32 s10, s1, s25
	s_cmp_ge_u32 s1, s25
	s_cselect_b32 s3, s3, s7
	s_cselect_b32 s1, s10, s1
	s_add_i32 s7, s3, 1
	s_cmp_ge_u32 s1, s25
	s_cselect_b32 s1, s7, s3
	s_xor_b32 s1, s1, s0
	s_sub_i32 s16, s1, s0
	s_add_i32 s0, s29, 15
	s_ashr_i32 s1, s0, 31
	s_lshr_b32 s1, s1, 28
	s_add_i32 s0, s0, s1
	s_lshl_b32 s12, s8, 5
	s_ashr_i32 s7, s0, 4
	s_add_i32 s0, s12, 32
	v_lshrrev_b32_e32 v11, 6, v0
	s_min_i32 s48, s0, s7
	v_or_b32_e32 v42, s12, v11
	v_cmp_gt_i32_e64 s[0:1], s48, v42
	v_mov_b32_e32 v12, 0xff7fffff
	s_mul_i32 s14, s2, s14
	v_ashrrev_i32_e32 v43, 31, v42
	v_lshl_add_u32 v9, v11, 4, s49
	v_mbcnt_lo_u32_b32 v4, -1, 0
	s_and_saveexec_b64 s[40:41], s[0:1]
	s_cbranch_execz .LBB31_20
; %bb.11:
	s_load_dwordx2 s[2:3], s[4:5], 0x20
	s_ashr_i32 s15, s14, 31
	s_sub_i32 s38, s16, s17
	s_lshl_b64 s[4:5], s[14:15], 2
	v_bfe_u32 v5, v0, 2, 4
	s_waitcnt lgkmcnt(0)
	s_add_u32 s2, s2, s4
	s_addc_u32 s3, s3, s5
	s_abs_i32 s15, s18
	v_cvt_f32_u32_e32 v6, s15
	v_lshlrev_b32_e32 v2, 4, v5
	v_mov_b32_e32 v3, s3
	v_add_co_u32_e64 v2, s[2:3], s2, v2
	v_rcp_iflag_f32_e32 v8, v6
	v_addc_co_u32_e64 v3, s[2:3], 0, v3, s[2:3]
	v_lshlrev_b32_e32 v7, 2, v47
	v_add_co_u32_e64 v6, s[2:3], v2, v7
	v_mul_f32_e32 v2, 0x4f7ffffe, v8
	v_cvt_u32_f32_e32 v2, v2
	s_sub_i32 s4, 0, s15
	v_lshlrev_b32_e32 v12, 2, v5
	v_addc_co_u32_e64 v7, s[2:3], 0, v3, s[2:3]
	v_mul_lo_u32 v3, s4, v2
	s_lshl_b64 s[4:5], s[34:35], 2
	v_mul_hi_u32 v3, v2, v3
	s_add_u32 s4, s30, s4
	v_lshl_or_b32 v12, v11, 6, v12
	v_add_u32_e32 v13, v2, v3
	v_lshlrev_b64 v[2:3], 2, v[42:43]
	s_addc_u32 s5, s31, s5
	v_add_u32_e32 v15, 0x1d0, v12
	v_subrev_u32_e32 v12, s29, v5
	v_mbcnt_hi_u32_b32 v18, -1, v4
	v_mov_b32_e32 v14, s5
	v_add_co_u32_e64 v2, s[4:5], s4, v2
	v_add_u32_e32 v16, 1, v12
	v_and_b32_e32 v12, 64, v18
	v_cmp_eq_u32_e32 vcc, 0, v47
	s_mov_b32 s51, s13
	v_mul_u32_u24_e32 v8, 0x70, v47
	v_cmp_neq_f32_e64 s[2:3], s50, 0
	v_addc_co_u32_e64 v3, s[4:5], v14, v3, s[4:5]
	v_lshl_add_u32 v14, v11, 4, s49
	s_mov_b64 s[42:43], 0
	v_mov_b32_e32 v17, 0xff7fffff
	s_movk_i32 s52, 0x1000
	v_add_u32_e32 v19, 64, v12
	v_xor_b32_e32 v20, 2, v18
	v_xor_b32_e32 v21, 1, v18
	v_mov_b32_e32 v12, 0xff7fffff
	v_mov_b32_e32 v22, v42
	s_branch .LBB31_14
.LBB31_12:                              ;   in Loop: Header=BB31_14 Depth=1
	s_or_b64 exec, exec, s[44:45]
.LBB31_13:                              ;   in Loop: Header=BB31_14 Depth=1
	s_or_b64 exec, exec, s[10:11]
	v_add_co_u32_e64 v2, s[4:5], 8, v2
	v_add_u32_e32 v22, 2, v22
	v_addc_co_u32_e64 v3, s[4:5], 0, v3, s[4:5]
	v_cmp_le_i32_e64 s[4:5], s48, v22
	v_add_u32_e32 v14, 32, v14
	s_or_b64 s[42:43], s[4:5], s[42:43]
	v_add_u32_e32 v15, 0x80, v15
	s_andn2_b64 exec, exec, s[42:43]
	s_cbranch_execz .LBB31_19
.LBB31_14:                              ; =>This Inner Loop Header: Depth=1
	s_waitcnt lgkmcnt(0)
	v_sub_u32_e32 v24, 0, v14
	v_max_i32_e32 v24, v14, v24
	v_mul_hi_u32 v25, v24, s33
	v_mul_lo_u32 v26, v25, s25
	v_sub_u32_e32 v24, v24, v26
	v_add_u32_e32 v26, 1, v25
	v_cmp_le_u32_e64 s[4:5], s25, v24
	v_cndmask_b32_e64 v25, v25, v26, s[4:5]
	v_subrev_u32_e32 v26, s25, v24
	v_cndmask_b32_e64 v24, v24, v26, s[4:5]
	v_ashrrev_i32_e32 v23, 31, v14
	v_add_u32_e32 v26, 1, v25
	v_cmp_le_u32_e64 s[4:5], s25, v24
	v_xor_b32_e32 v23, s47, v23
	v_cndmask_b32_e64 v24, v25, v26, s[4:5]
	v_xor_b32_e32 v24, v24, v23
	v_sub_u32_e32 v23, v24, v23
	v_add_u32_e32 v24, s46, v23
	v_sub_u32_e32 v26, 0, v24
	v_ashrrev_i32_e32 v25, 31, v24
	v_max_i32_e32 v24, v24, v26
	v_mul_hi_u32 v26, v24, v13
	v_mul_lo_u32 v26, v26, s15
	v_sub_u32_e32 v24, v24, v26
	v_subrev_u32_e32 v26, s15, v24
	v_cmp_le_u32_e64 s[4:5], s15, v24
	v_cndmask_b32_e64 v24, v24, v26, s[4:5]
	v_subrev_u32_e32 v26, s15, v24
	v_cmp_le_u32_e64 s[4:5], s15, v24
	v_cndmask_b32_e64 v24, v24, v26, s[4:5]
	v_xor_b32_e32 v24, v24, v25
	v_sub_u32_e32 v24, v24, v25
	v_cmp_ne_u32_e64 s[4:5], 0, v24
	v_cmp_ge_i32_e64 s[10:11], s38, v23
	s_and_b64 s[4:5], s[4:5], s[10:11]
	s_and_b64 s[44:45], vcc, s[4:5]
	s_and_saveexec_b64 s[10:11], s[44:45]
	s_cbranch_execz .LBB31_16
; %bb.15:                               ;   in Loop: Header=BB31_14 Depth=1
	ds_write_b32 v15, v17
.LBB31_16:                              ;   in Loop: Header=BB31_14 Depth=1
	s_or_b64 exec, exec, s[10:11]
	s_xor_b64 s[4:5], s[4:5], -1
	s_and_saveexec_b64 s[10:11], s[4:5]
	s_cbranch_execz .LBB31_13
; %bb.17:                               ;   in Loop: Header=BB31_14 Depth=1
	global_load_dword v23, v[2:3], off
	s_waitcnt vmcnt(0)
	v_mad_i64_i32 v[24:25], s[4:5], v23, s51, 0
	v_lshlrev_b64 v[24:25], 2, v[24:25]
	v_add_co_u32_e64 v24, s[4:5], v6, v24
	v_addc_co_u32_e64 v25, s[4:5], v7, v25, s[4:5]
	global_load_dword v23, v[24:25], off offset:512
	global_load_dword v40, v[24:25], off offset:768
	;; [unrolled: 1-line block ×7, first 2 shown]
	global_load_dword v62, v[24:25], off
	global_load_dword v63, v[24:25], off offset:2048
	global_load_dword v64, v[24:25], off offset:2304
	;; [unrolled: 1-line block ×8, first 2 shown]
	v_add_co_u32_e64 v24, s[4:5], s52, v24
	v_addc_co_u32_e64 v25, s[4:5], 0, v25, s[4:5]
	global_load_dword v71, v[24:25], off
	global_load_dword v72, v[24:25], off offset:256
	global_load_dword v73, v[24:25], off offset:512
	;; [unrolled: 1-line block ×11, first 2 shown]
	ds_read_b128 v[24:27], v8
	ds_read_b128 v[28:31], v8 offset:16
	ds_read_b128 v[32:35], v8 offset:32
	;; [unrolled: 1-line block ×6, first 2 shown]
	v_cmp_lt_i32_e64 s[4:5], v20, v19
	v_cndmask_b32_e64 v83, v18, v20, s[4:5]
	v_cmp_lt_i32_e64 s[4:5], v21, v19
	s_waitcnt vmcnt(21) lgkmcnt(6)
	v_mul_f32_e32 v25, v25, v61
	s_waitcnt vmcnt(20)
	v_fmac_f32_e32 v25, v24, v62
	v_fmac_f32_e32 v25, v26, v23
	v_fmac_f32_e32 v25, v27, v40
	s_waitcnt lgkmcnt(5)
	v_fmac_f32_e32 v25, v28, v41
	v_fmac_f32_e32 v25, v29, v44
	;; [unrolled: 1-line block ×4, first 2 shown]
	s_waitcnt vmcnt(19) lgkmcnt(4)
	v_fmac_f32_e32 v25, v32, v63
	s_waitcnt vmcnt(18)
	v_fmac_f32_e32 v25, v33, v64
	s_waitcnt vmcnt(17)
	v_fmac_f32_e32 v25, v34, v65
	s_waitcnt vmcnt(16)
	v_fmac_f32_e32 v25, v35, v66
	s_waitcnt vmcnt(15) lgkmcnt(3)
	v_fmac_f32_e32 v25, v36, v67
	s_waitcnt vmcnt(14)
	v_fmac_f32_e32 v25, v37, v68
	s_waitcnt vmcnt(13)
	v_fmac_f32_e32 v25, v38, v69
	s_waitcnt vmcnt(12)
	v_fmac_f32_e32 v25, v39, v70
	;; [unrolled: 8-line block ×4, first 2 shown]
	s_waitcnt vmcnt(3) lgkmcnt(0)
	v_fmac_f32_e32 v25, v56, v79
	s_waitcnt vmcnt(2)
	v_fmac_f32_e32 v25, v57, v80
	s_waitcnt vmcnt(1)
	v_fmac_f32_e32 v25, v58, v81
	v_lshlrev_b32_e32 v23, 2, v83
	s_waitcnt vmcnt(0)
	v_fmac_f32_e32 v25, v59, v82
	ds_bpermute_b32 v23, v23, v25
	v_cndmask_b32_e64 v24, v18, v21, s[4:5]
	v_lshlrev_b32_e32 v24, 2, v24
	s_waitcnt lgkmcnt(0)
	v_add_f32_e32 v23, v25, v23
	ds_bpermute_b32 v24, v24, v23
	s_and_saveexec_b64 s[44:45], vcc
	s_cbranch_execz .LBB31_12
; %bb.18:                               ;   in Loop: Header=BB31_14 Depth=1
	v_add_u32_e32 v25, v16, v14
	v_cvt_f32_i32_e32 v25, v25
	s_waitcnt lgkmcnt(0)
	v_add_f32_e32 v23, v23, v24
	v_add_u32_e32 v26, v5, v14
	v_cmp_gt_i32_e64 s[4:5], s29, v26
	v_mul_f32_e32 v24, s50, v25
	v_cndmask_b32_e64 v24, 0, v24, s[2:3]
	v_fmac_f32_e32 v24, s39, v23
	v_cndmask_b32_e64 v23, 0, v24, s[4:5]
	ds_write_b32 v15, v23
	v_max_f32_e32 v23, v12, v12
	v_max_f32_e32 v23, v23, v24
	v_cndmask_b32_e64 v12, v12, v23, s[4:5]
	s_branch .LBB31_12
.LBB31_19:
	s_or_b64 exec, exec, s[42:43]
.LBB31_20:
	s_or_b64 exec, exec, s[40:41]
	v_mbcnt_hi_u32_b32 v2, -1, v4
	v_and_b32_e32 v3, 64, v2
	v_add_u32_e32 v3, 64, v3
	v_xor_b32_e32 v4, 32, v2
	v_cmp_lt_i32_e32 vcc, v4, v3
	v_cndmask_b32_e32 v4, v2, v4, vcc
	v_lshlrev_b32_e32 v5, 2, v4
	ds_bpermute_b32 v4, v5, v12
	v_xor_b32_e32 v7, 16, v2
	v_max_f32_e32 v6, v12, v12
	v_cmp_lt_i32_e32 vcc, v7, v3
	v_xor_b32_e32 v8, 8, v2
	s_waitcnt lgkmcnt(0)
	v_max_f32_e32 v4, v4, v4
	v_max_f32_e32 v4, v6, v4
	v_cndmask_b32_e32 v6, v2, v7, vcc
	v_lshlrev_b32_e32 v6, 2, v6
	ds_bpermute_b32 v7, v6, v4
	v_cmp_lt_i32_e32 vcc, v8, v3
	v_and_b32_e32 v48, 63, v0
	s_waitcnt lgkmcnt(0)
	v_max_f32_e32 v7, v7, v7
	v_max_f32_e32 v4, v4, v7
	v_cndmask_b32_e32 v7, v2, v8, vcc
	v_lshlrev_b32_e32 v12, 2, v7
	ds_bpermute_b32 v7, v12, v4
	v_xor_b32_e32 v8, 4, v2
	v_cmp_lt_i32_e32 vcc, v8, v3
	s_waitcnt lgkmcnt(0)
	v_max_f32_e32 v7, v7, v7
	v_max_f32_e32 v4, v4, v7
	v_cndmask_b32_e32 v7, v2, v8, vcc
	v_lshlrev_b32_e32 v13, 2, v7
	ds_bpermute_b32 v8, v13, v4
	v_cmp_eq_u32_e32 vcc, 0, v48
	v_lshlrev_b32_e32 v7, 2, v11
	s_and_saveexec_b64 s[2:3], vcc
	s_cbranch_execz .LBB31_22
; %bb.21:
	s_waitcnt lgkmcnt(0)
	v_max_f32_e32 v8, v8, v8
	v_max_f32_e32 v4, v4, v4
	;; [unrolled: 1-line block ×3, first 2 shown]
	ds_write_b32 v7, v4 offset:448
.LBB31_22:
	s_or_b64 exec, exec, s[2:3]
	v_cmp_gt_u32_e64 s[2:3], 2, v48
	v_mov_b32_e32 v4, 0xff7fffff
	s_waitcnt lgkmcnt(0)
	v_lshlrev_b32_e32 v8, 2, v48
	s_barrier
	s_and_saveexec_b64 s[4:5], s[2:3]
	s_cbranch_execz .LBB31_24
; %bb.23:
	ds_read_b32 v4, v8 offset:448
.LBB31_24:
	s_or_b64 exec, exec, s[4:5]
	v_xor_b32_e32 v14, 1, v2
	v_cmp_lt_i32_e64 s[4:5], v14, v3
	v_cndmask_b32_e64 v14, v2, v14, s[4:5]
	v_lshlrev_b32_e32 v49, 2, v14
	s_waitcnt lgkmcnt(0)
	ds_bpermute_b32 v14, v49, v4
	v_max_f32_e32 v4, v4, v4
	s_sub_i32 s4, s48, s12
	s_lshl_b32 s4, s4, 4
	s_add_i32 s4, s4, s49
	s_waitcnt lgkmcnt(0)
	v_max_f32_e32 v14, v14, v14
	v_max_f32_e32 v4, v4, v14
	v_lshlrev_b32_e32 v14, 2, v2
	v_and_b32_e32 v14, 0x100, v14
	ds_bpermute_b32 v4, v14, v4
	s_min_i32 s15, s4, s29
	s_sub_i32 s12, s15, s49
	v_cmp_gt_i32_e64 s[4:5], s12, v0
	v_mov_b32_e32 v15, 0
	s_and_saveexec_b64 s[38:39], s[4:5]
	s_cbranch_execz .LBB31_28
; %bb.25:
	v_mov_b32_e32 v15, 0x1d0
	v_lshl_add_u32 v16, v0, 2, v15
	s_mov_b64 s[40:41], 0
	v_mov_b32_e32 v15, 0
	v_mov_b32_e32 v17, v0
.LBB31_26:                              ; =>This Inner Loop Header: Depth=1
	ds_read_b32 v18, v16
	v_add_u32_e32 v17, 0x80, v17
	v_cmp_le_i32_e64 s[10:11], s12, v17
	s_or_b64 s[40:41], s[10:11], s[40:41]
	s_waitcnt lgkmcnt(0)
	v_sub_f32_e32 v18, v18, v4
	v_mul_f32_e32 v18, 0x3fb8aa3b, v18
	v_exp_f32_e32 v18, v18
	ds_write_b32 v16, v18
	v_add_f32_e32 v15, v15, v18
	v_add_u32_e32 v16, 0x200, v16
	s_andn2_b64 exec, exec, s[40:41]
	s_cbranch_execnz .LBB31_26
; %bb.27:
	s_or_b64 exec, exec, s[40:41]
.LBB31_28:
	s_or_b64 exec, exec, s[38:39]
	ds_bpermute_b32 v5, v5, v15
	s_waitcnt lgkmcnt(0)
	v_add_f32_e32 v5, v15, v5
	ds_bpermute_b32 v6, v6, v5
	s_waitcnt lgkmcnt(0)
	v_add_f32_e32 v5, v5, v6
	ds_bpermute_b32 v6, v12, v5
	v_xor_b32_e32 v12, 2, v2
	v_cmp_lt_i32_e64 s[10:11], v12, v3
	v_cndmask_b32_e64 v2, v2, v12, s[10:11]
	v_lshlrev_b32_e32 v50, 2, v2
	s_waitcnt lgkmcnt(0)
	v_add_f32_e32 v5, v5, v6
	ds_bpermute_b32 v6, v13, v5
	s_waitcnt lgkmcnt(0)
	v_add_f32_e32 v3, v5, v6
	ds_bpermute_b32 v2, v50, v3
	;; [unrolled: 3-line block ×3, first 2 shown]
	s_waitcnt lgkmcnt(0)
	v_add_f32_e32 v2, v2, v3
	s_and_saveexec_b64 s[10:11], vcc
	s_cbranch_execz .LBB31_30
; %bb.29:
	ds_write_b32 v7, v2 offset:456
.LBB31_30:
	s_or_b64 exec, exec, s[10:11]
	s_waitcnt lgkmcnt(0)
	s_barrier
	s_and_saveexec_b64 s[10:11], s[2:3]
	s_cbranch_execz .LBB31_32
; %bb.31:
	ds_read_b32 v2, v8 offset:456
.LBB31_32:
	s_or_b64 exec, exec, s[10:11]
	s_waitcnt lgkmcnt(0)
	ds_bpermute_b32 v3, v49, v2
	s_waitcnt lgkmcnt(0)
	v_add_f32_e32 v2, v2, v3
	ds_bpermute_b32 v5, v14, v2
	s_and_saveexec_b64 s[2:3], s[4:5]
	s_cbranch_execz .LBB31_45
; %bb.33:
	s_waitcnt lgkmcnt(0)
	v_add_f32_e32 v2, 0x358637bd, v5
	v_div_scale_f32 v3, s[4:5], v2, v2, 1.0
	v_rcp_f32_e32 v6, v3
	v_div_scale_f32 v7, vcc, 1.0, v2, 1.0
	s_movk_i32 s4, 0x7f
	v_fma_f32 v8, -v3, v6, 1.0
	v_fmac_f32_e32 v6, v8, v6
	v_mul_f32_e32 v8, v7, v6
	v_fma_f32 v12, -v3, v8, v7
	v_fmac_f32_e32 v8, v12, v6
	v_fma_f32 v3, -v3, v8, v7
	v_div_fmas_f32 v3, v3, v6, v8
	v_div_fixup_f32 v2, v3, v2, 1.0
	v_xad_u32 v3, v0, -1, s15
	v_subrev_u32_e32 v6, s49, v3
	v_cmp_lt_u32_e32 vcc, s4, v6
	s_mov_b64 s[10:11], -1
	v_mov_b32_e32 v3, v0
	s_and_saveexec_b64 s[4:5], vcc
	s_cbranch_execz .LBB31_42
; %bb.34:
	v_lshrrev_b32_e32 v6, 7, v6
	v_add_u32_e32 v8, -1, v6
	v_lshrrev_b32_e32 v7, 1, v8
	v_mov_b32_e32 v3, v2
	v_add_u32_e32 v7, 1, v7
	v_cmp_lt_u32_e32 vcc, 13, v8
	v_mov_b32_e32 v13, 0
	s_and_saveexec_b64 s[10:11], vcc
	s_cbranch_execz .LBB31_38
; %bb.35:
	v_mov_b32_e32 v12, 0x1d0
	v_and_b32_e32 v8, -8, v7
	v_lshl_add_u32 v12, v0, 2, v12
	s_mov_b32 s15, 0
	s_mov_b64 s[38:39], 0
.LBB31_36:                              ; =>This Inner Loop Header: Depth=1
	ds_read2st64_b32 v[14:15], v12 offset1:2
	ds_read2st64_b32 v[16:17], v12 offset0:4 offset1:6
	ds_read2st64_b32 v[18:19], v12 offset0:8 offset1:10
	;; [unrolled: 1-line block ×3, first 2 shown]
	v_add_u32_e32 v8, -8, v8
	s_waitcnt lgkmcnt(3)
	v_pk_mul_f32 v[14:15], v[2:3], v[14:15]
	s_waitcnt lgkmcnt(2)
	v_pk_mul_f32 v[16:17], v[2:3], v[16:17]
	ds_write2st64_b32 v12, v14, v15 offset1:2
	ds_write2st64_b32 v12, v16, v17 offset0:4 offset1:6
	ds_read2st64_b32 v[16:17], v12 offset0:16 offset1:18
	s_waitcnt lgkmcnt(4)
	v_pk_mul_f32 v[14:15], v[2:3], v[18:19]
	ds_write2st64_b32 v12, v14, v15 offset0:8 offset1:10
	s_waitcnt lgkmcnt(4)
	v_pk_mul_f32 v[14:15], v[2:3], v[20:21]
	ds_write2st64_b32 v12, v14, v15 offset0:12 offset1:14
	ds_read2st64_b32 v[14:15], v12 offset0:20 offset1:22
	s_waitcnt lgkmcnt(3)
	v_pk_mul_f32 v[16:17], v[2:3], v[16:17]
	ds_read2st64_b32 v[18:19], v12 offset0:24 offset1:26
	ds_write2st64_b32 v12, v16, v17 offset0:16 offset1:18
	ds_read2st64_b32 v[16:17], v12 offset0:28 offset1:30
	s_waitcnt lgkmcnt(3)
	v_pk_mul_f32 v[14:15], v[2:3], v[14:15]
	ds_write2st64_b32 v12, v14, v15 offset0:20 offset1:22
	s_waitcnt lgkmcnt(3)
	v_pk_mul_f32 v[14:15], v[2:3], v[18:19]
	ds_write2st64_b32 v12, v14, v15 offset0:24 offset1:26
	s_waitcnt lgkmcnt(2)
	v_pk_mul_f32 v[14:15], v[2:3], v[16:17]
	s_add_i32 s15, s15, 16
	v_cmp_eq_u32_e32 vcc, 0, v8
	ds_write2st64_b32 v12, v14, v15 offset0:28 offset1:30
	v_add_u32_e32 v12, 0x2000, v12
	s_or_b64 s[38:39], vcc, s[38:39]
	v_mov_b32_e32 v13, s15
	s_andn2_b64 exec, exec, s[38:39]
	s_cbranch_execnz .LBB31_36
; %bb.37:
	s_or_b64 exec, exec, s[38:39]
.LBB31_38:
	s_or_b64 exec, exec, s[10:11]
	v_and_b32_e32 v7, 7, v7
	v_cmp_ne_u32_e32 vcc, 0, v7
	s_and_saveexec_b64 s[10:11], vcc
	s_cbranch_execz .LBB31_41
; %bb.39:
	v_lshlrev_b32_e32 v8, 9, v13
	s_movk_i32 s15, 0x1d0
	v_add3_u32 v8, v8, v10, s15
	s_mov_b64 s[38:39], 0
.LBB31_40:                              ; =>This Inner Loop Header: Depth=1
	ds_read2st64_b32 v[12:13], v8 offset1:2
	v_add_u32_e32 v7, -1, v7
	v_cmp_eq_u32_e32 vcc, 0, v7
	s_or_b64 s[38:39], vcc, s[38:39]
	s_waitcnt lgkmcnt(0)
	v_pk_mul_f32 v[12:13], v[2:3], v[12:13]
	ds_write2st64_b32 v8, v12, v13 offset1:2
	v_add_u32_e32 v8, 0x400, v8
	s_andn2_b64 exec, exec, s[38:39]
	s_cbranch_execnz .LBB31_40
.LBB31_41:
	s_or_b64 exec, exec, s[10:11]
	v_add_u32_e32 v6, 1, v6
	v_and_b32_e32 v7, 0x3fffffe, v6
	v_cmp_ne_u32_e32 vcc, v6, v7
	v_lshl_add_u32 v3, v7, 7, v0
	s_orn2_b64 s[10:11], vcc, exec
.LBB31_42:
	s_or_b64 exec, exec, s[4:5]
	s_and_b64 exec, exec, s[10:11]
	s_cbranch_execz .LBB31_45
; %bb.43:
	v_mov_b32_e32 v6, 0x1d0
	v_lshl_add_u32 v6, v3, 2, v6
	s_mov_b64 s[4:5], 0
.LBB31_44:                              ; =>This Inner Loop Header: Depth=1
	ds_read_b32 v7, v6
	v_add_u32_e32 v3, 0x80, v3
	v_cmp_le_i32_e32 vcc, s12, v3
	s_or_b64 s[4:5], vcc, s[4:5]
	s_waitcnt lgkmcnt(0)
	v_mul_f32_e32 v7, v2, v7
	ds_write_b32 v6, v7
	v_add_u32_e32 v6, 0x200, v6
	s_andn2_b64 exec, exec, s[4:5]
	s_cbranch_execnz .LBB31_44
.LBB31_45:
	s_or_b64 exec, exec, s[2:3]
	s_mul_i32 s2, s19, s28
	v_cmp_eq_u32_e32 vcc, 0, v0
	s_mul_i32 s2, s2, s9
	s_waitcnt lgkmcnt(0)
	s_barrier
	s_and_saveexec_b64 s[4:5], vcc
	s_cbranch_execz .LBB31_47
; %bb.46:
	s_ashr_i32 s3, s2, 31
	s_lshl_b64 s[10:11], s[2:3], 2
	s_add_u32 s3, s22, s10
	s_mul_i32 s22, s19, s6
	s_addc_u32 s9, s23, s11
	s_ashr_i32 s23, s22, 31
	s_lshl_b64 s[22:23], s[22:23], 2
	s_add_u32 s3, s3, s22
	s_addc_u32 s6, s9, s23
	s_ashr_i32 s9, s8, 31
	s_lshl_b64 s[38:39], s[8:9], 2
	s_add_u32 s40, s3, s38
	s_addc_u32 s41, s6, s39
	s_add_u32 s3, s20, s10
	s_addc_u32 s6, s21, s11
	s_add_u32 s3, s3, s22
	s_addc_u32 s6, s6, s23
	s_add_u32 s10, s3, s38
	v_mov_b32_e32 v2, 0
	s_addc_u32 s11, s6, s39
	global_store_dword v2, v4, s[40:41]
	global_store_dword v2, v5, s[10:11]
.LBB31_47:
	s_or_b64 exec, exec, s[4:5]
	s_mov_b32 s12, 0
	v_mov_b32_e32 v8, 0
	v_mov_b32_e32 v7, 0
	;; [unrolled: 1-line block ×7, first 2 shown]
	s_and_saveexec_b64 s[4:5], s[0:1]
	s_cbranch_execz .LBB31_67
; %bb.48:
	s_ashr_i32 s15, s14, 31
	s_sub_i32 s3, s16, s17
	s_lshl_b64 s[0:1], s[14:15], 2
	s_add_u32 s9, s36, s0
	s_addc_u32 s20, s37, s1
	s_abs_i32 s21, s18
	v_cvt_f32_u32_e32 v2, s21
	s_sub_i32 s0, 0, s21
	s_add_i32 s23, s7, -1
	v_and_b32_e32 v51, 12, v10
	v_rcp_iflag_f32_e32 v2, v2
	v_and_b32_e32 v10, 0xfc, v10
	s_mov_b32 s22, s13
	v_or_b32_e32 v12, 0x400, v10
	v_mul_f32_e32 v2, 0x4f7ffffe, v2
	v_cvt_u32_f32_e32 v2, v2
	v_or_b32_e32 v14, 0x500, v10
	v_or_b32_e32 v16, 0x600, v10
	s_mov_b32 s13, s12
	v_mul_lo_u32 v3, s0, v2
	v_mul_hi_u32 v3, v2, v3
	s_lshl_b64 s[0:1], s[34:35], 2
	v_add_u32_e32 v52, v2, v3
	v_lshlrev_b64 v[2:3], 2, v[42:43]
	s_add_u32 s0, s30, s0
	s_addc_u32 s1, s31, s1
	v_add_co_u32_e32 v44, vcc, s0, v2
	v_lshlrev_b32_e32 v2, 4, v47
	v_mov_b32_e32 v4, s1
	v_lshl_or_b32 v2, v11, 6, v2
	v_addc_co_u32_e32 v45, vcc, v4, v3, vcc
	v_add_u32_e32 v43, 0x1d0, v2
	s_mov_b32 s14, s12
	s_mov_b32 s15, s12
	;; [unrolled: 1-line block ×5, first 2 shown]
	v_mov_b32_e32 v2, s12
	s_mov_b64 s[6:7], 0
	v_mov_b32_e32 v3, s13
	v_mov_b32_e32 v4, s14
	;; [unrolled: 1-line block ×6, first 2 shown]
	v_lshlrev_b32_e32 v53, 2, v10
	v_lshlrev_b32_e32 v54, 2, v12
	;; [unrolled: 1-line block ×4, first 2 shown]
	s_branch .LBB31_51
.LBB31_49:                              ;   in Loop: Header=BB31_51 Depth=1
	s_or_b64 exec, exec, s[0:1]
	s_waitcnt vmcnt(6) lgkmcnt(0)
	v_mul_f32_e32 v15, v11, v15
	v_fmac_f32_e32 v15, v10, v14
	s_waitcnt vmcnt(5)
	v_mul_f32_e32 v14, v11, v19
	v_fmac_f32_e32 v14, v10, v18
	v_fmac_f32_e32 v14, v12, v20
	v_fmac_f32_e32 v14, v13, v21
	v_add_f32_e32 v3, v3, v14
	s_waitcnt vmcnt(4)
	v_mul_f32_e32 v14, v11, v23
	v_fmac_f32_e32 v14, v10, v22
	v_fmac_f32_e32 v14, v12, v24
	v_fmac_f32_e32 v14, v13, v25
	v_add_f32_e32 v4, v4, v14
	;; [unrolled: 6-line block ×4, first 2 shown]
	s_waitcnt vmcnt(1)
	v_mul_f32_e32 v14, v11, v35
	s_waitcnt vmcnt(0)
	v_mul_f32_e32 v11, v11, v39
	v_fmac_f32_e32 v14, v10, v34
	v_fmac_f32_e32 v11, v10, v38
	;; [unrolled: 1-line block ×8, first 2 shown]
	v_add_f32_e32 v2, v2, v15
	v_add_f32_e32 v7, v7, v14
	;; [unrolled: 1-line block ×3, first 2 shown]
.LBB31_50:                              ;   in Loop: Header=BB31_51 Depth=1
	s_or_b64 exec, exec, s[10:11]
	v_add_co_u32_e32 v44, vcc, 8, v44
	v_add_u32_e32 v42, 2, v42
	v_addc_co_u32_e32 v45, vcc, 0, v45, vcc
	v_cmp_le_i32_e32 vcc, s48, v42
	v_add_u32_e32 v9, 32, v9
	s_or_b64 s[6:7], vcc, s[6:7]
	v_add_u32_e32 v43, 0x80, v43
	s_andn2_b64 exec, exec, s[6:7]
	s_cbranch_execz .LBB31_66
.LBB31_51:                              ; =>This Inner Loop Header: Depth=1
	v_sub_u32_e32 v11, 0, v9
	v_max_i32_e32 v11, v9, v11
	v_mul_hi_u32 v12, v11, s33
	v_mul_lo_u32 v13, v12, s25
	v_sub_u32_e32 v11, v11, v13
	v_add_u32_e32 v13, 1, v12
	v_cmp_le_u32_e32 vcc, s25, v11
	v_cndmask_b32_e32 v12, v12, v13, vcc
	v_subrev_u32_e32 v13, s25, v11
	v_cndmask_b32_e32 v11, v11, v13, vcc
	v_ashrrev_i32_e32 v10, 31, v9
	v_add_u32_e32 v13, 1, v12
	v_cmp_le_u32_e32 vcc, s25, v11
	v_xor_b32_e32 v10, s47, v10
	v_cndmask_b32_e32 v11, v12, v13, vcc
	v_xor_b32_e32 v11, v11, v10
	v_sub_u32_e32 v10, v11, v10
	v_add_u32_e32 v11, s46, v10
	v_sub_u32_e32 v13, 0, v11
	v_ashrrev_i32_e32 v12, 31, v11
	v_max_i32_e32 v11, v11, v13
	v_mul_hi_u32 v13, v11, v52
	v_mul_lo_u32 v13, v13, s21
	v_sub_u32_e32 v11, v11, v13
	v_subrev_u32_e32 v13, s21, v11
	v_cmp_le_u32_e32 vcc, s21, v11
	v_cndmask_b32_e32 v11, v11, v13, vcc
	v_subrev_u32_e32 v13, s21, v11
	v_cmp_le_u32_e32 vcc, s21, v11
	v_cndmask_b32_e32 v11, v11, v13, vcc
	v_xor_b32_e32 v11, v11, v12
	v_sub_u32_e32 v11, v11, v12
	v_cmp_eq_u32_e32 vcc, 0, v11
	v_cmp_lt_i32_e64 s[0:1], s3, v10
	s_or_b64 s[0:1], vcc, s[0:1]
	s_and_saveexec_b64 s[10:11], s[0:1]
	s_cbranch_execz .LBB31_50
; %bb.52:                               ;   in Loop: Header=BB31_51 Depth=1
	global_load_dword v10, v[44:45], off
	v_mov_b32_e32 v12, s20
	v_add_u32_e32 v57, v51, v9
	v_add_u32_e32 v60, 1, v57
	;; [unrolled: 1-line block ×4, first 2 shown]
	s_waitcnt vmcnt(0)
	v_mad_i64_i32 v[10:11], s[0:1], v10, s22, 0
	v_lshlrev_b64 v[10:11], 2, v[10:11]
	v_add_co_u32_e32 v38, vcc, s9, v10
	v_addc_co_u32_e32 v39, vcc, v12, v11, vcc
	v_add_co_u32_e32 v26, vcc, v38, v53
	v_addc_co_u32_e32 v27, vcc, 0, v39, vcc
	global_load_dwordx4 v[14:17], v[26:27], off
	ds_read_b128 v[10:13], v43
	v_cmp_eq_u32_e32 vcc, s23, v42
	s_and_saveexec_b64 s[12:13], vcc
	s_cbranch_execnz .LBB31_63
; %bb.53:                               ;   in Loop: Header=BB31_51 Depth=1
	s_or_b64 exec, exec, s[12:13]
	global_load_dwordx4 v[18:21], v[26:27], off offset:1024
	s_and_saveexec_b64 s[12:13], vcc
	s_cbranch_execnz .LBB31_64
.LBB31_54:                              ;   in Loop: Header=BB31_51 Depth=1
	s_or_b64 exec, exec, s[12:13]
	global_load_dwordx4 v[22:25], v[26:27], off offset:2048
	s_and_saveexec_b64 s[12:13], vcc
	s_cbranch_execnz .LBB31_65
.LBB31_55:                              ;   in Loop: Header=BB31_51 Depth=1
	s_or_b64 exec, exec, s[12:13]
	global_load_dwordx4 v[26:29], v[26:27], off offset:3072
	s_and_saveexec_b64 s[12:13], vcc
	s_cbranch_execz .LBB31_57
.LBB31_56:                              ;   in Loop: Header=BB31_51 Depth=1
	v_cmp_gt_i32_e64 s[0:1], s29, v57
	s_waitcnt vmcnt(0)
	v_cndmask_b32_e64 v26, 0, v26, s[0:1]
	v_cmp_gt_i32_e64 s[0:1], s29, v60
	v_cndmask_b32_e64 v27, 0, v27, s[0:1]
	v_cmp_gt_i32_e64 s[0:1], s29, v59
	;; [unrolled: 2-line block ×3, first 2 shown]
	v_cndmask_b32_e64 v29, 0, v29, s[0:1]
.LBB31_57:                              ;   in Loop: Header=BB31_51 Depth=1
	s_or_b64 exec, exec, s[12:13]
	v_add_co_u32_e64 v30, s[0:1], v38, v54
	v_addc_co_u32_e64 v31, s[0:1], 0, v39, s[0:1]
	global_load_dwordx4 v[30:33], v[30:31], off
	s_and_saveexec_b64 s[12:13], vcc
	s_cbranch_execz .LBB31_59
; %bb.58:                               ;   in Loop: Header=BB31_51 Depth=1
	v_cmp_gt_i32_e64 s[0:1], s29, v57
	s_waitcnt vmcnt(0)
	v_cndmask_b32_e64 v30, 0, v30, s[0:1]
	v_cmp_gt_i32_e64 s[0:1], s29, v60
	v_cndmask_b32_e64 v31, 0, v31, s[0:1]
	v_cmp_gt_i32_e64 s[0:1], s29, v59
	;; [unrolled: 2-line block ×3, first 2 shown]
	v_cndmask_b32_e64 v33, 0, v33, s[0:1]
.LBB31_59:                              ;   in Loop: Header=BB31_51 Depth=1
	s_or_b64 exec, exec, s[12:13]
	v_add_co_u32_e64 v34, s[0:1], v38, v55
	v_addc_co_u32_e64 v35, s[0:1], 0, v39, s[0:1]
	global_load_dwordx4 v[34:37], v[34:35], off
	s_and_saveexec_b64 s[12:13], vcc
	s_cbranch_execz .LBB31_61
; %bb.60:                               ;   in Loop: Header=BB31_51 Depth=1
	v_cmp_gt_i32_e64 s[0:1], s29, v57
	s_waitcnt vmcnt(0)
	v_cndmask_b32_e64 v34, 0, v34, s[0:1]
	v_cmp_gt_i32_e64 s[0:1], s29, v60
	v_cndmask_b32_e64 v35, 0, v35, s[0:1]
	v_cmp_gt_i32_e64 s[0:1], s29, v59
	;; [unrolled: 2-line block ×3, first 2 shown]
	v_cndmask_b32_e64 v37, 0, v37, s[0:1]
.LBB31_61:                              ;   in Loop: Header=BB31_51 Depth=1
	s_or_b64 exec, exec, s[12:13]
	v_add_co_u32_e64 v38, s[0:1], v38, v56
	v_addc_co_u32_e64 v39, s[0:1], 0, v39, s[0:1]
	global_load_dwordx4 v[38:41], v[38:39], off
	s_and_saveexec_b64 s[0:1], vcc
	s_cbranch_execz .LBB31_49
; %bb.62:                               ;   in Loop: Header=BB31_51 Depth=1
	v_cmp_gt_i32_e32 vcc, s29, v57
	s_waitcnt vmcnt(0)
	v_cndmask_b32_e32 v38, 0, v38, vcc
	v_cmp_gt_i32_e32 vcc, s29, v60
	v_cndmask_b32_e32 v39, 0, v39, vcc
	v_cmp_gt_i32_e32 vcc, s29, v59
	;; [unrolled: 2-line block ×3, first 2 shown]
	v_cndmask_b32_e32 v41, 0, v41, vcc
	s_branch .LBB31_49
.LBB31_63:                              ;   in Loop: Header=BB31_51 Depth=1
	v_cmp_gt_i32_e64 s[0:1], s29, v57
	s_waitcnt vmcnt(0)
	v_cndmask_b32_e64 v14, 0, v14, s[0:1]
	v_cmp_gt_i32_e64 s[0:1], s29, v60
	v_cndmask_b32_e64 v15, 0, v15, s[0:1]
	v_cmp_gt_i32_e64 s[0:1], s29, v59
	;; [unrolled: 2-line block ×3, first 2 shown]
	v_cndmask_b32_e64 v17, 0, v17, s[0:1]
	s_or_b64 exec, exec, s[12:13]
	global_load_dwordx4 v[18:21], v[26:27], off offset:1024
	s_and_saveexec_b64 s[12:13], vcc
	s_cbranch_execz .LBB31_54
.LBB31_64:                              ;   in Loop: Header=BB31_51 Depth=1
	v_cmp_gt_i32_e64 s[0:1], s29, v57
	s_waitcnt vmcnt(0)
	v_cndmask_b32_e64 v18, 0, v18, s[0:1]
	v_cmp_gt_i32_e64 s[0:1], s29, v60
	v_cndmask_b32_e64 v19, 0, v19, s[0:1]
	v_cmp_gt_i32_e64 s[0:1], s29, v59
	;; [unrolled: 2-line block ×3, first 2 shown]
	v_cndmask_b32_e64 v21, 0, v21, s[0:1]
	s_or_b64 exec, exec, s[12:13]
	global_load_dwordx4 v[22:25], v[26:27], off offset:2048
	s_and_saveexec_b64 s[12:13], vcc
	s_cbranch_execz .LBB31_55
.LBB31_65:                              ;   in Loop: Header=BB31_51 Depth=1
	v_cmp_gt_i32_e64 s[0:1], s29, v57
	s_waitcnt vmcnt(0)
	v_cndmask_b32_e64 v22, 0, v22, s[0:1]
	v_cmp_gt_i32_e64 s[0:1], s29, v60
	v_cndmask_b32_e64 v23, 0, v23, s[0:1]
	v_cmp_gt_i32_e64 s[0:1], s29, v59
	;; [unrolled: 2-line block ×3, first 2 shown]
	v_cndmask_b32_e64 v25, 0, v25, s[0:1]
	s_or_b64 exec, exec, s[12:13]
	global_load_dwordx4 v[26:29], v[26:27], off offset:3072
	s_and_saveexec_b64 s[12:13], vcc
	s_cbranch_execnz .LBB31_56
	s_branch .LBB31_57
.LBB31_66:
	s_or_b64 exec, exec, s[6:7]
.LBB31_67:
	s_or_b64 exec, exec, s[4:5]
	ds_bpermute_b32 v10, v50, v2
	ds_bpermute_b32 v11, v50, v3
	;; [unrolled: 1-line block ×7, first 2 shown]
	s_waitcnt lgkmcnt(5)
	v_pk_add_f32 v[2:3], v[2:3], v[10:11]
	s_waitcnt lgkmcnt(3)
	v_pk_add_f32 v[6:7], v[6:7], v[14:15]
	ds_bpermute_b32 v10, v49, v2
	ds_bpermute_b32 v11, v49, v3
	s_waitcnt lgkmcnt(3)
	v_pk_add_f32 v[4:5], v[4:5], v[12:13]
	ds_bpermute_b32 v14, v49, v6
	ds_bpermute_b32 v15, v49, v7
	s_waitcnt lgkmcnt(4)
	v_add_f32_e32 v16, v8, v9
	ds_bpermute_b32 v12, v49, v4
	ds_bpermute_b32 v13, v49, v5
	;; [unrolled: 1-line block ×3, first 2 shown]
	s_waitcnt lgkmcnt(5)
	v_pk_add_f32 v[8:9], v[2:3], v[10:11]
	s_waitcnt lgkmcnt(3)
	v_pk_add_f32 v[2:3], v[6:7], v[14:15]
	v_and_b32_e32 v7, 0x3c3, v0
	s_waitcnt lgkmcnt(1)
	v_pk_add_f32 v[4:5], v[4:5], v[12:13]
	s_waitcnt lgkmcnt(0)
	v_add_f32_e32 v6, v16, v17
	v_cmp_eq_u32_e32 vcc, 64, v7
	s_barrier
	s_and_saveexec_b64 s[0:1], vcc
	s_cbranch_execz .LBB31_69
; %bb.68:
	v_add_u32_e32 v10, 0x1d0, v48
	ds_write2_b32 v10, v8, v9 offset1:16
	ds_write2_b32 v10, v4, v5 offset0:32 offset1:48
	ds_write2_b32 v10, v2, v3 offset0:64 offset1:80
	ds_write_b32 v10, v6 offset:384
.LBB31_69:
	s_or_b64 exec, exec, s[0:1]
	v_cmp_gt_u32_e32 vcc, 64, v0
	s_waitcnt lgkmcnt(0)
	s_barrier
	s_and_saveexec_b64 s[0:1], vcc
	s_cbranch_execz .LBB31_79
; %bb.70:
	v_cmp_eq_u32_e32 vcc, 0, v47
	s_and_saveexec_b64 s[4:5], vcc
	s_cbranch_execnz .LBB31_82
; %bb.71:
	s_or_b64 exec, exec, s[4:5]
	s_and_saveexec_b64 s[4:5], vcc
	s_cbranch_execnz .LBB31_83
.LBB31_72:
	s_or_b64 exec, exec, s[4:5]
	s_and_saveexec_b64 s[4:5], vcc
	s_cbranch_execnz .LBB31_84
.LBB31_73:
	s_or_b64 exec, exec, s[4:5]
	s_and_saveexec_b64 s[4:5], vcc
	s_cbranch_execnz .LBB31_85
.LBB31_74:
	s_or_b64 exec, exec, s[4:5]
	s_and_saveexec_b64 s[4:5], vcc
	s_cbranch_execnz .LBB31_86
.LBB31_75:
	s_or_b64 exec, exec, s[4:5]
	s_and_saveexec_b64 s[4:5], vcc
	s_cbranch_execnz .LBB31_87
.LBB31_76:
	s_or_b64 exec, exec, s[4:5]
	s_and_saveexec_b64 s[4:5], vcc
	s_cbranch_execz .LBB31_78
.LBB31_77:
	v_mov_b32_e32 v0, 0x1d0
	v_lshl_add_u32 v0, v46, 2, v0
	ds_read_b32 v0, v0 offset:384
	s_waitcnt lgkmcnt(0)
	v_add_f32_e32 v6, v6, v0
.LBB31_78:
	s_or_b64 exec, exec, s[4:5]
.LBB31_79:
	s_or_b64 exec, exec, s[0:1]
	v_cmp_eq_u32_e32 vcc, 0, v7
	s_barrier
	s_and_saveexec_b64 s[0:1], vcc
	s_cbranch_execz .LBB31_81
; %bb.80:
	s_mul_i32 s0, s2, 0x70
	s_ashr_i32 s1, s0, 31
	s_lshl_b64 s[0:1], s[0:1], 2
	s_add_u32 s2, s26, s0
	s_mul_i32 s0, s19, s24
	s_addc_u32 s3, s27, s1
	s_ashr_i32 s1, s0, 31
	s_lshl_b64 s[0:1], s[0:1], 2
	s_add_u32 s2, s2, s0
	s_mul_i32 s0, s8, 0x70
	s_addc_u32 s3, s3, s1
	s_ashr_i32 s1, s0, 31
	s_lshl_b64 s[0:1], s[0:1], 2
	s_add_u32 s0, s2, s0
	s_addc_u32 s1, s3, s1
	global_store_dword v1, v8, s[0:1]
	global_store_dword v1, v9, s[0:1] offset:64
	global_store_dword v1, v4, s[0:1] offset:128
	;; [unrolled: 1-line block ×6, first 2 shown]
.LBB31_81:
	s_endpgm
.LBB31_82:
	v_mov_b32_e32 v0, 0x1d0
	v_lshl_add_u32 v0, v46, 2, v0
	ds_read_b32 v0, v0
	s_waitcnt lgkmcnt(0)
	v_add_f32_e32 v8, v8, v0
	s_or_b64 exec, exec, s[4:5]
	s_and_saveexec_b64 s[4:5], vcc
	s_cbranch_execz .LBB31_72
.LBB31_83:
	v_mov_b32_e32 v0, 0x1d0
	v_lshl_add_u32 v0, v46, 2, v0
	ds_read_b32 v0, v0 offset:64
	s_waitcnt lgkmcnt(0)
	v_add_f32_e32 v9, v9, v0
	s_or_b64 exec, exec, s[4:5]
	s_and_saveexec_b64 s[4:5], vcc
	s_cbranch_execz .LBB31_73
.LBB31_84:
	v_mov_b32_e32 v0, 0x1d0
	v_lshl_add_u32 v0, v46, 2, v0
	ds_read_b32 v0, v0 offset:128
	s_waitcnt lgkmcnt(0)
	v_add_f32_e32 v4, v4, v0
	s_or_b64 exec, exec, s[4:5]
	s_and_saveexec_b64 s[4:5], vcc
	s_cbranch_execz .LBB31_74
.LBB31_85:
	v_mov_b32_e32 v0, 0x1d0
	v_lshl_add_u32 v0, v46, 2, v0
	ds_read_b32 v0, v0 offset:192
	s_waitcnt lgkmcnt(0)
	v_add_f32_e32 v5, v5, v0
	s_or_b64 exec, exec, s[4:5]
	s_and_saveexec_b64 s[4:5], vcc
	s_cbranch_execz .LBB31_75
.LBB31_86:
	v_mov_b32_e32 v0, 0x1d0
	v_lshl_add_u32 v0, v46, 2, v0
	ds_read_b32 v0, v0 offset:256
	s_waitcnt lgkmcnt(0)
	v_add_f32_e32 v2, v2, v0
	s_or_b64 exec, exec, s[4:5]
	s_and_saveexec_b64 s[4:5], vcc
	s_cbranch_execz .LBB31_76
.LBB31_87:
	v_mov_b32_e32 v0, 0x1d0
	v_lshl_add_u32 v0, v46, 2, v0
	ds_read_b32 v0, v0 offset:320
	s_waitcnt lgkmcnt(0)
	v_add_f32_e32 v3, v3, v0
	s_or_b64 exec, exec, s[4:5]
	s_and_saveexec_b64 s[4:5], vcc
	s_cbranch_execnz .LBB31_77
	s_branch .LBB31_78
	.section	.rodata,"a",@progbits
	.p2align	6, 0x0
	.amdhsa_kernel _ZN4vllm25paged_attention_v2_kernelIffLi112ELi16ELi128ELNS_18Fp8KVCacheDataTypeE0ELb1ELi512EEEvPfS2_PT_PKS3_PKT0_S9_ifPKiSB_iPKfiiiSD_SD_iiiii
		.amdhsa_group_segment_fixed_size 464
		.amdhsa_private_segment_fixed_size 0
		.amdhsa_kernarg_size 400
		.amdhsa_user_sgpr_count 6
		.amdhsa_user_sgpr_private_segment_buffer 1
		.amdhsa_user_sgpr_dispatch_ptr 0
		.amdhsa_user_sgpr_queue_ptr 0
		.amdhsa_user_sgpr_kernarg_segment_ptr 1
		.amdhsa_user_sgpr_dispatch_id 0
		.amdhsa_user_sgpr_flat_scratch_init 0
		.amdhsa_user_sgpr_kernarg_preload_length 0
		.amdhsa_user_sgpr_kernarg_preload_offset 0
		.amdhsa_user_sgpr_private_segment_size 0
		.amdhsa_uses_dynamic_stack 0
		.amdhsa_system_sgpr_private_segment_wavefront_offset 0
		.amdhsa_system_sgpr_workgroup_id_x 1
		.amdhsa_system_sgpr_workgroup_id_y 1
		.amdhsa_system_sgpr_workgroup_id_z 1
		.amdhsa_system_sgpr_workgroup_info 0
		.amdhsa_system_vgpr_workitem_id 0
		.amdhsa_next_free_vgpr 84
		.amdhsa_next_free_sgpr 53
		.amdhsa_accum_offset 84
		.amdhsa_reserve_vcc 1
		.amdhsa_reserve_flat_scratch 0
		.amdhsa_float_round_mode_32 0
		.amdhsa_float_round_mode_16_64 0
		.amdhsa_float_denorm_mode_32 3
		.amdhsa_float_denorm_mode_16_64 3
		.amdhsa_dx10_clamp 1
		.amdhsa_ieee_mode 1
		.amdhsa_fp16_overflow 0
		.amdhsa_tg_split 0
		.amdhsa_exception_fp_ieee_invalid_op 0
		.amdhsa_exception_fp_denorm_src 0
		.amdhsa_exception_fp_ieee_div_zero 0
		.amdhsa_exception_fp_ieee_overflow 0
		.amdhsa_exception_fp_ieee_underflow 0
		.amdhsa_exception_fp_ieee_inexact 0
		.amdhsa_exception_int_div_zero 0
	.end_amdhsa_kernel
	.section	.text._ZN4vllm25paged_attention_v2_kernelIffLi112ELi16ELi128ELNS_18Fp8KVCacheDataTypeE0ELb1ELi512EEEvPfS2_PT_PKS3_PKT0_S9_ifPKiSB_iPKfiiiSD_SD_iiiii,"axG",@progbits,_ZN4vllm25paged_attention_v2_kernelIffLi112ELi16ELi128ELNS_18Fp8KVCacheDataTypeE0ELb1ELi512EEEvPfS2_PT_PKS3_PKT0_S9_ifPKiSB_iPKfiiiSD_SD_iiiii,comdat
.Lfunc_end31:
	.size	_ZN4vllm25paged_attention_v2_kernelIffLi112ELi16ELi128ELNS_18Fp8KVCacheDataTypeE0ELb1ELi512EEEvPfS2_PT_PKS3_PKT0_S9_ifPKiSB_iPKfiiiSD_SD_iiiii, .Lfunc_end31-_ZN4vllm25paged_attention_v2_kernelIffLi112ELi16ELi128ELNS_18Fp8KVCacheDataTypeE0ELb1ELi512EEEvPfS2_PT_PKS3_PKT0_S9_ifPKiSB_iPKfiiiSD_SD_iiiii
                                        ; -- End function
	.section	.AMDGPU.csdata,"",@progbits
; Kernel info:
; codeLenInByte = 5856
; NumSgprs: 57
; NumVgprs: 84
; NumAgprs: 0
; TotalNumVgprs: 84
; ScratchSize: 0
; MemoryBound: 0
; FloatMode: 240
; IeeeMode: 1
; LDSByteSize: 464 bytes/workgroup (compile time only)
; SGPRBlocks: 7
; VGPRBlocks: 10
; NumSGPRsForWavesPerEU: 57
; NumVGPRsForWavesPerEU: 84
; AccumOffset: 84
; Occupancy: 5
; WaveLimiterHint : 1
; COMPUTE_PGM_RSRC2:SCRATCH_EN: 0
; COMPUTE_PGM_RSRC2:USER_SGPR: 6
; COMPUTE_PGM_RSRC2:TRAP_HANDLER: 0
; COMPUTE_PGM_RSRC2:TGID_X_EN: 1
; COMPUTE_PGM_RSRC2:TGID_Y_EN: 1
; COMPUTE_PGM_RSRC2:TGID_Z_EN: 1
; COMPUTE_PGM_RSRC2:TIDIG_COMP_CNT: 0
; COMPUTE_PGM_RSRC3_GFX90A:ACCUM_OFFSET: 20
; COMPUTE_PGM_RSRC3_GFX90A:TG_SPLIT: 0
	.section	.text._ZN4vllm25paged_attention_v2_kernelIffLi120ELi16ELi128ELNS_18Fp8KVCacheDataTypeE0ELb1ELi512EEEvPfS2_PT_PKS3_PKT0_S9_ifPKiSB_iPKfiiiSD_SD_iiiii,"axG",@progbits,_ZN4vllm25paged_attention_v2_kernelIffLi120ELi16ELi128ELNS_18Fp8KVCacheDataTypeE0ELb1ELi512EEEvPfS2_PT_PKS3_PKT0_S9_ifPKiSB_iPKfiiiSD_SD_iiiii,comdat
	.protected	_ZN4vllm25paged_attention_v2_kernelIffLi120ELi16ELi128ELNS_18Fp8KVCacheDataTypeE0ELb1ELi512EEEvPfS2_PT_PKS3_PKT0_S9_ifPKiSB_iPKfiiiSD_SD_iiiii ; -- Begin function _ZN4vllm25paged_attention_v2_kernelIffLi120ELi16ELi128ELNS_18Fp8KVCacheDataTypeE0ELb1ELi512EEEvPfS2_PT_PKS3_PKT0_S9_ifPKiSB_iPKfiiiSD_SD_iiiii
	.globl	_ZN4vllm25paged_attention_v2_kernelIffLi120ELi16ELi128ELNS_18Fp8KVCacheDataTypeE0ELb1ELi512EEEvPfS2_PT_PKS3_PKT0_S9_ifPKiSB_iPKfiiiSD_SD_iiiii
	.p2align	8
	.type	_ZN4vllm25paged_attention_v2_kernelIffLi120ELi16ELi128ELNS_18Fp8KVCacheDataTypeE0ELb1ELi512EEEvPfS2_PT_PKS3_PKT0_S9_ifPKiSB_iPKfiiiSD_SD_iiiii,@function
_ZN4vllm25paged_attention_v2_kernelIffLi120ELi16ELi128ELNS_18Fp8KVCacheDataTypeE0ELb1ELi512EEEvPfS2_PT_PKS3_PKT0_S9_ifPKiSB_iPKfiiiSD_SD_iiiii: ; @_ZN4vllm25paged_attention_v2_kernelIffLi120ELi16ELi128ELNS_18Fp8KVCacheDataTypeE0ELb1ELi512EEEvPfS2_PT_PKS3_PKT0_S9_ifPKiSB_iPKfiiiSD_SD_iiiii
; %bb.0:
	s_load_dwordx2 s[0:1], s[4:5], 0x40
	s_mov_b32 s28, s7
	s_ashr_i32 s29, s7, 31
	s_lshl_b64 s[2:3], s[28:29], 2
	s_waitcnt lgkmcnt(0)
	s_add_u32 s0, s0, s2
	s_addc_u32 s1, s1, s3
	s_load_dword s29, s[0:1], 0x0
	s_lshl_b32 s49, s8, 9
	s_waitcnt lgkmcnt(0)
	s_cmp_ge_i32 s49, s29
	s_cbranch_scc1 .LBB32_111
; %bb.1:
	s_load_dword s9, s[4:5], 0x90
	s_load_dwordx2 s[38:39], s[4:5], 0x30
	s_waitcnt lgkmcnt(0)
	s_abs_i32 s2, s9
	s_abs_i32 s0, s38
	v_cvt_f32_u32_e32 v1, s0
	s_sub_i32 s3, 0, s0
	s_xor_b32 s1, s9, s38
	s_ashr_i32 s1, s1, 31
	v_rcp_iflag_f32_e32 v1, v1
	v_mul_f32_e32 v1, 0x4f7ffffe, v1
	v_cvt_u32_f32_e32 v1, v1
	v_readfirstlane_b32 s7, v1
	s_mul_i32 s3, s3, s7
	s_mul_hi_u32 s3, s7, s3
	s_add_i32 s7, s7, s3
	s_mul_hi_u32 s3, s2, s7
	s_mul_i32 s7, s3, s0
	s_sub_i32 s2, s2, s7
	s_add_i32 s10, s3, 1
	s_sub_i32 s7, s2, s0
	s_cmp_ge_u32 s2, s0
	s_cselect_b32 s3, s10, s3
	s_cselect_b32 s2, s7, s2
	s_add_i32 s7, s3, 1
	s_cmp_ge_u32 s2, s0
	s_cselect_b32 s0, s7, s3
	s_xor_b32 s0, s0, s1
	s_sub_i32 s12, s0, s1
	s_abs_i32 s2, s12
	v_cvt_f32_u32_e32 v1, s2
	s_load_dwordx2 s[0:1], s[4:5], 0x50
	s_sub_i32 s10, 0, s2
	s_abs_i32 s3, s6
	v_rcp_iflag_f32_e32 v1, v1
	s_mov_b32 s7, 0
	v_mul_f32_e32 v1, 0x4f7ffffe, v1
	v_cvt_u32_f32_e32 v1, v1
	v_readfirstlane_b32 s11, v1
	s_mul_i32 s10, s10, s11
	s_mul_hi_u32 s10, s11, s10
	s_add_i32 s11, s11, s10
	s_waitcnt lgkmcnt(0)
	s_cmp_eq_u64 s[0:1], 0
	s_mul_hi_u32 s10, s3, s11
	s_cbranch_scc1 .LBB32_3
; %bb.2:
	s_ashr_i32 s7, s6, 31
	s_lshl_b64 s[14:15], s[6:7], 2
	s_add_u32 s0, s0, s14
	s_addc_u32 s1, s1, s15
	s_load_dword s7, s[0:1], 0x0
.LBB32_3:
	s_ashr_i32 s16, s12, 31
	s_load_dwordx4 s[12:15], s[4:5], 0x58
	v_lshrrev_b32_e32 v50, 2, v0
	s_waitcnt lgkmcnt(0)
	s_movk_i32 s15, 0x78
	s_ashr_i32 s11, s6, 31
	v_and_b32_e32 v51, 3, v0
	s_mul_i32 s24, s6, 0x78
	v_cmp_gt_u32_e32 vcc, s15, v0
	v_lshlrev_b32_e32 v4, 2, v0
	v_lshlrev_b32_e32 v1, 2, v50
	s_and_saveexec_b64 s[0:1], vcc
	s_cbranch_execz .LBB32_5
; %bb.4:
	s_load_dwordx2 s[18:19], s[4:5], 0x18
	s_mul_i32 s20, s28, s12
	s_ashr_i32 s21, s20, 31
	s_lshl_b64 s[20:21], s[20:21], 2
	v_mad_u32_u24 v3, v51, s15, v1
	s_waitcnt lgkmcnt(0)
	s_add_u32 s12, s18, s20
	s_addc_u32 s17, s19, s21
	s_ashr_i32 s25, s24, 31
	s_lshl_b64 s[18:19], s[24:25], 2
	s_add_u32 s18, s12, s18
	s_addc_u32 s19, s17, s19
	global_load_dword v2, v4, s[18:19]
	s_waitcnt vmcnt(0)
	ds_write_b32 v3, v2
.LBB32_5:
	s_or_b64 exec, exec, s[0:1]
	s_mul_i32 s1, s10, s2
	s_sub_i32 s1, s3, s1
	s_xor_b32 s0, s11, s16
	s_add_i32 s3, s10, 1
	s_sub_i32 s11, s1, s2
	s_load_dwordx4 s[16:19], s[4:5], 0x78
	s_cmp_ge_u32 s1, s2
	s_cselect_b32 s3, s3, s10
	s_cselect_b32 s1, s11, s1
	s_load_dword s11, s[4:5], 0x88
	s_add_i32 s10, s3, 1
	s_cmp_ge_u32 s1, s2
	s_cselect_b32 s1, s10, s3
	s_waitcnt lgkmcnt(0)
	s_abs_i32 s25, s19
	v_cvt_f32_u32_e32 v2, s25
	s_xor_b32 s1, s1, s0
	s_sub_i32 s2, s1, s0
	s_sub_i32 s0, 0, s25
	v_rcp_iflag_f32_e32 v2, v2
	s_add_i32 s12, s29, -1
	s_abs_i32 s3, s12
	v_mul_f32_e32 v2, 0x4f7ffffe, v2
	v_cvt_u32_f32_e32 v2, v2
	s_barrier
	v_readfirstlane_b32 s33, v2
	s_mul_i32 s0, s0, s33
	s_mul_hi_u32 s0, s33, s0
	s_add_i32 s33, s33, s0
	s_cmp_lt_i32 s11, 0
	s_mul_hi_u32 s10, s3, s33
	s_cbranch_scc0 .LBB32_7
; %bb.6:
	s_mul_i32 s0, s16, s38
	s_add_i32 s0, s2, s0
	s_mul_i32 s0, s0, s11
	s_sub_i32 s46, 1, s0
	s_mov_b64 s[0:1], 0
	s_branch .LBB32_8
.LBB32_7:
	s_mov_b64 s[0:1], -1
                                        ; implicit-def: $sgpr46
.LBB32_8:
	s_load_dwordx2 s[30:31], s[4:5], 0x38
	s_ashr_i32 s12, s12, 31
	s_andn2_b64 vcc, exec, s[0:1]
	s_ashr_i32 s19, s19, 31
	s_cbranch_vccnz .LBB32_10
; %bb.9:
	s_mul_i32 s0, s9, s16
	s_add_i32 s0, s0, s6
	s_mul_i32 s0, s0, s11
	s_add_i32 s46, s0, 1
.LBB32_10:
	s_load_dword s0, s[4:5], 0x48
	s_load_dwordx2 s[36:37], s[4:5], 0x28
	s_load_dword s16, s[4:5], 0x98
	s_load_dwordx4 s[20:23], s[4:5], 0x0
	s_load_dwordx2 s[26:27], s[4:5], 0x10
	s_mul_i32 s1, s10, s25
	s_waitcnt lgkmcnt(0)
	s_mul_i32 s34, s28, s0
	s_sub_i32 s1, s3, s1
	s_ashr_i32 s35, s34, 31
	s_xor_b32 s0, s12, s19
	s_add_i32 s3, s10, 1
	s_sub_i32 s11, s1, s25
	s_cmp_ge_u32 s1, s25
	s_cselect_b32 s3, s3, s10
	s_cselect_b32 s1, s11, s1
	s_add_i32 s10, s3, 1
	s_cmp_ge_u32 s1, s25
	s_cselect_b32 s1, s10, s3
	s_xor_b32 s1, s1, s0
	s_sub_i32 s48, s1, s0
	s_add_i32 s0, s29, 15
	s_ashr_i32 s1, s0, 31
	s_lshr_b32 s1, s1, 28
	s_add_i32 s0, s0, s1
	s_lshl_b32 s38, s8, 5
	s_ashr_i32 s12, s0, 4
	s_add_i32 s0, s38, 32
	v_lshrrev_b32_e32 v5, 6, v0
	s_min_i32 s47, s0, s12
	v_or_b32_e32 v38, s38, v5
	v_cmp_gt_i32_e64 s[0:1], s47, v38
	v_mov_b32_e32 v11, 0xff7fffff
	s_mul_i32 s14, s2, s14
	v_ashrrev_i32_e32 v39, 31, v38
	v_lshl_add_u32 v52, v5, 4, s49
	v_mbcnt_lo_u32_b32 v6, -1, 0
	s_and_saveexec_b64 s[40:41], s[0:1]
	s_cbranch_execz .LBB32_20
; %bb.11:
	s_load_dwordx2 s[2:3], s[4:5], 0x20
	s_ashr_i32 s15, s14, 31
	s_sub_i32 s50, s48, s17
	s_lshl_b64 s[4:5], s[14:15], 2
	v_bfe_u32 v7, v0, 2, 4
	s_waitcnt lgkmcnt(0)
	s_add_u32 s2, s2, s4
	s_addc_u32 s3, s3, s5
	s_abs_i32 s15, s18
	v_cvt_f32_u32_e32 v8, s15
	v_lshlrev_b32_e32 v2, 4, v7
	v_mov_b32_e32 v3, s3
	v_add_co_u32_e64 v2, s[2:3], s2, v2
	v_rcp_iflag_f32_e32 v10, v8
	v_addc_co_u32_e64 v3, s[2:3], 0, v3, s[2:3]
	v_lshlrev_b32_e32 v9, 2, v51
	v_add_co_u32_e64 v8, s[2:3], v2, v9
	v_mul_f32_e32 v2, 0x4f7ffffe, v10
	v_cvt_u32_f32_e32 v2, v2
	s_sub_i32 s4, 0, s15
	v_lshlrev_b32_e32 v11, 2, v7
	v_addc_co_u32_e64 v9, s[2:3], 0, v3, s[2:3]
	v_mul_lo_u32 v3, s4, v2
	s_lshl_b64 s[4:5], s[34:35], 2
	v_mul_hi_u32 v3, v2, v3
	s_add_u32 s4, s30, s4
	v_lshl_or_b32 v11, v5, 6, v11
	v_add_u32_e32 v12, v2, v3
	v_lshlrev_b64 v[2:3], 2, v[38:39]
	s_addc_u32 s5, s31, s5
	v_add_u32_e32 v14, 0x1f0, v11
	v_subrev_u32_e32 v11, s29, v7
	v_mbcnt_hi_u32_b32 v17, -1, v6
	v_mov_b32_e32 v13, s5
	v_add_co_u32_e64 v2, s[4:5], s4, v2
	v_add_u32_e32 v15, 1, v11
	v_and_b32_e32 v11, 64, v17
	v_cmp_eq_u32_e32 vcc, 0, v51
	s_mov_b32 s51, s13
	v_mul_u32_u24_e32 v10, 0x78, v51
	v_cmp_neq_f32_e64 s[2:3], s7, 0
	v_addc_co_u32_e64 v3, s[4:5], v13, v3, s[4:5]
	v_lshl_add_u32 v13, v5, 4, s49
	s_mov_b64 s[42:43], 0
	v_mov_b32_e32 v16, 0xff7fffff
	s_movk_i32 s52, 0x1000
	v_add_u32_e32 v18, 64, v11
	v_xor_b32_e32 v19, 2, v17
	v_xor_b32_e32 v20, 1, v17
	v_mov_b32_e32 v11, 0xff7fffff
	v_mov_b32_e32 v21, v38
	s_branch .LBB32_14
.LBB32_12:                              ;   in Loop: Header=BB32_14 Depth=1
	s_or_b64 exec, exec, s[44:45]
.LBB32_13:                              ;   in Loop: Header=BB32_14 Depth=1
	s_or_b64 exec, exec, s[10:11]
	v_add_co_u32_e64 v2, s[4:5], 8, v2
	v_add_u32_e32 v21, 2, v21
	v_addc_co_u32_e64 v3, s[4:5], 0, v3, s[4:5]
	v_cmp_le_i32_e64 s[4:5], s47, v21
	v_add_u32_e32 v13, 32, v13
	s_or_b64 s[42:43], s[4:5], s[42:43]
	v_add_u32_e32 v14, 0x80, v14
	s_andn2_b64 exec, exec, s[42:43]
	s_cbranch_execz .LBB32_19
.LBB32_14:                              ; =>This Inner Loop Header: Depth=1
	s_waitcnt lgkmcnt(0)
	v_sub_u32_e32 v23, 0, v13
	v_max_i32_e32 v23, v13, v23
	v_mul_hi_u32 v24, v23, s33
	v_mul_lo_u32 v25, v24, s25
	v_sub_u32_e32 v23, v23, v25
	v_add_u32_e32 v25, 1, v24
	v_cmp_le_u32_e64 s[4:5], s25, v23
	v_cndmask_b32_e64 v24, v24, v25, s[4:5]
	v_subrev_u32_e32 v25, s25, v23
	v_cndmask_b32_e64 v23, v23, v25, s[4:5]
	v_ashrrev_i32_e32 v22, 31, v13
	v_add_u32_e32 v25, 1, v24
	v_cmp_le_u32_e64 s[4:5], s25, v23
	v_xor_b32_e32 v22, s19, v22
	v_cndmask_b32_e64 v23, v24, v25, s[4:5]
	v_xor_b32_e32 v23, v23, v22
	v_sub_u32_e32 v22, v23, v22
	v_add_u32_e32 v23, s46, v22
	v_sub_u32_e32 v25, 0, v23
	v_ashrrev_i32_e32 v24, 31, v23
	v_max_i32_e32 v23, v23, v25
	v_mul_hi_u32 v25, v23, v12
	v_mul_lo_u32 v25, v25, s15
	v_sub_u32_e32 v23, v23, v25
	v_subrev_u32_e32 v25, s15, v23
	v_cmp_le_u32_e64 s[4:5], s15, v23
	v_cndmask_b32_e64 v23, v23, v25, s[4:5]
	v_subrev_u32_e32 v25, s15, v23
	v_cmp_le_u32_e64 s[4:5], s15, v23
	v_cndmask_b32_e64 v23, v23, v25, s[4:5]
	v_xor_b32_e32 v23, v23, v24
	v_sub_u32_e32 v23, v23, v24
	v_cmp_ne_u32_e64 s[4:5], 0, v23
	v_cmp_ge_i32_e64 s[10:11], s50, v22
	s_and_b64 s[4:5], s[4:5], s[10:11]
	s_and_b64 s[44:45], vcc, s[4:5]
	s_and_saveexec_b64 s[10:11], s[44:45]
	s_cbranch_execz .LBB32_16
; %bb.15:                               ;   in Loop: Header=BB32_14 Depth=1
	ds_write_b32 v14, v16
.LBB32_16:                              ;   in Loop: Header=BB32_14 Depth=1
	s_or_b64 exec, exec, s[10:11]
	s_xor_b64 s[4:5], s[4:5], -1
	s_and_saveexec_b64 s[10:11], s[4:5]
	s_cbranch_execz .LBB32_13
; %bb.17:                               ;   in Loop: Header=BB32_14 Depth=1
	global_load_dword v22, v[2:3], off
	s_waitcnt vmcnt(0)
	v_mad_i64_i32 v[22:23], s[4:5], v22, s51, 0
	v_lshlrev_b64 v[22:23], 2, v[22:23]
	v_add_co_u32_e64 v22, s[4:5], v8, v22
	v_addc_co_u32_e64 v23, s[4:5], v9, v23, s[4:5]
	global_load_dword v53, v[22:23], off offset:512
	global_load_dword v58, v[22:23], off offset:768
	;; [unrolled: 1-line block ×7, first 2 shown]
	global_load_dword v64, v[22:23], off
	global_load_dword v65, v[22:23], off offset:2048
	global_load_dword v66, v[22:23], off offset:2304
	;; [unrolled: 1-line block ×8, first 2 shown]
	v_add_co_u32_e64 v22, s[4:5], s52, v22
	v_addc_co_u32_e64 v23, s[4:5], 0, v23, s[4:5]
	global_load_dword v73, v[22:23], off
	global_load_dword v74, v[22:23], off offset:256
	global_load_dword v75, v[22:23], off offset:512
	;; [unrolled: 1-line block ×13, first 2 shown]
	ds_read2_b64 v[22:25], v10 offset1:1
	ds_read2_b64 v[26:29], v10 offset0:2 offset1:3
	ds_read2_b64 v[30:33], v10 offset0:4 offset1:5
	ds_read2_b64 v[34:37], v10 offset0:6 offset1:7
	ds_read2_b64 v[40:43], v10 offset0:8 offset1:9
	ds_read2_b64 v[44:47], v10 offset0:10 offset1:11
	ds_read2_b64 v[54:57], v10 offset0:12 offset1:13
	ds_read_b64 v[48:49], v10 offset:112
	v_cmp_lt_i32_e64 s[4:5], v19, v18
	v_cndmask_b32_e64 v87, v17, v19, s[4:5]
	v_cmp_lt_i32_e64 s[4:5], v20, v18
	s_waitcnt vmcnt(23) lgkmcnt(7)
	v_mul_f32_e32 v23, v23, v63
	s_waitcnt vmcnt(22)
	v_fmac_f32_e32 v23, v22, v64
	v_fmac_f32_e32 v23, v24, v53
	;; [unrolled: 1-line block ×3, first 2 shown]
	s_waitcnt lgkmcnt(6)
	v_fmac_f32_e32 v23, v26, v59
	v_fmac_f32_e32 v23, v27, v60
	;; [unrolled: 1-line block ×4, first 2 shown]
	s_waitcnt vmcnt(21) lgkmcnt(5)
	v_fmac_f32_e32 v23, v30, v65
	s_waitcnt vmcnt(20)
	v_fmac_f32_e32 v23, v31, v66
	s_waitcnt vmcnt(19)
	v_fmac_f32_e32 v23, v32, v67
	s_waitcnt vmcnt(18)
	v_fmac_f32_e32 v23, v33, v68
	s_waitcnt vmcnt(17) lgkmcnt(4)
	v_fmac_f32_e32 v23, v34, v69
	s_waitcnt vmcnt(16)
	v_fmac_f32_e32 v23, v35, v70
	s_waitcnt vmcnt(15)
	v_fmac_f32_e32 v23, v36, v71
	s_waitcnt vmcnt(14)
	v_fmac_f32_e32 v23, v37, v72
	;; [unrolled: 8-line block ×5, first 2 shown]
	s_waitcnt vmcnt(1) lgkmcnt(0)
	v_fmac_f32_e32 v23, v48, v85
	v_lshlrev_b32_e32 v22, 2, v87
	s_waitcnt vmcnt(0)
	v_fmac_f32_e32 v23, v49, v86
	ds_bpermute_b32 v22, v22, v23
	v_cndmask_b32_e64 v24, v17, v20, s[4:5]
	v_lshlrev_b32_e32 v24, 2, v24
	s_waitcnt lgkmcnt(0)
	v_add_f32_e32 v22, v23, v22
	ds_bpermute_b32 v23, v24, v22
	s_and_saveexec_b64 s[44:45], vcc
	s_cbranch_execz .LBB32_12
; %bb.18:                               ;   in Loop: Header=BB32_14 Depth=1
	v_add_u32_e32 v24, v15, v13
	v_cvt_f32_i32_e32 v24, v24
	s_waitcnt lgkmcnt(0)
	v_add_f32_e32 v22, v22, v23
	v_add_u32_e32 v25, v7, v13
	v_cmp_gt_i32_e64 s[4:5], s29, v25
	v_mul_f32_e32 v23, s7, v24
	v_cndmask_b32_e64 v23, 0, v23, s[2:3]
	v_fmac_f32_e32 v23, s39, v22
	v_cndmask_b32_e64 v22, 0, v23, s[4:5]
	ds_write_b32 v14, v22
	v_max_f32_e32 v22, v11, v11
	v_max_f32_e32 v22, v22, v23
	v_cndmask_b32_e64 v11, v11, v22, s[4:5]
	s_branch .LBB32_12
.LBB32_19:
	s_or_b64 exec, exec, s[42:43]
.LBB32_20:
	s_or_b64 exec, exec, s[40:41]
	v_mbcnt_hi_u32_b32 v2, -1, v6
	v_and_b32_e32 v3, 64, v2
	v_add_u32_e32 v3, 64, v3
	v_xor_b32_e32 v6, 32, v2
	v_cmp_lt_i32_e32 vcc, v6, v3
	v_cndmask_b32_e32 v6, v2, v6, vcc
	v_lshlrev_b32_e32 v8, 2, v6
	ds_bpermute_b32 v6, v8, v11
	v_xor_b32_e32 v9, 16, v2
	v_max_f32_e32 v7, v11, v11
	v_cmp_lt_i32_e32 vcc, v9, v3
	v_xor_b32_e32 v10, 8, v2
	s_waitcnt lgkmcnt(0)
	v_max_f32_e32 v6, v6, v6
	v_max_f32_e32 v6, v7, v6
	v_cndmask_b32_e32 v7, v2, v9, vcc
	v_lshlrev_b32_e32 v9, 2, v7
	ds_bpermute_b32 v7, v9, v6
	v_cmp_lt_i32_e32 vcc, v10, v3
	s_waitcnt lgkmcnt(0)
	v_max_f32_e32 v7, v7, v7
	v_max_f32_e32 v6, v6, v7
	v_cndmask_b32_e32 v7, v2, v10, vcc
	v_lshlrev_b32_e32 v12, 2, v7
	ds_bpermute_b32 v7, v12, v6
	v_xor_b32_e32 v10, 4, v2
	v_cmp_lt_i32_e32 vcc, v10, v3
	s_waitcnt lgkmcnt(0)
	v_max_f32_e32 v7, v7, v7
	v_max_f32_e32 v7, v6, v7
	v_cndmask_b32_e32 v6, v2, v10, vcc
	v_lshlrev_b32_e32 v13, 2, v6
	ds_bpermute_b32 v11, v13, v7
	v_and_b32_e32 v6, 63, v0
	v_cmp_eq_u32_e32 vcc, 0, v6
	v_lshlrev_b32_e32 v10, 2, v5
	s_and_saveexec_b64 s[2:3], vcc
	s_cbranch_execz .LBB32_22
; %bb.21:
	s_waitcnt lgkmcnt(0)
	v_max_f32_e32 v11, v11, v11
	v_max_f32_e32 v7, v7, v7
	;; [unrolled: 1-line block ×3, first 2 shown]
	ds_write_b32 v10, v7 offset:480
.LBB32_22:
	s_or_b64 exec, exec, s[2:3]
	v_cmp_gt_u32_e64 s[2:3], 2, v6
	v_mov_b32_e32 v7, 0xff7fffff
	s_waitcnt lgkmcnt(0)
	v_lshlrev_b32_e32 v11, 2, v6
	s_barrier
	s_and_saveexec_b64 s[4:5], s[2:3]
	s_cbranch_execz .LBB32_24
; %bb.23:
	ds_read_b32 v7, v11 offset:480
.LBB32_24:
	s_or_b64 exec, exec, s[4:5]
	v_xor_b32_e32 v14, 1, v2
	v_cmp_lt_i32_e64 s[4:5], v14, v3
	v_cndmask_b32_e64 v14, v2, v14, s[4:5]
	v_lshlrev_b32_e32 v53, 2, v14
	s_waitcnt lgkmcnt(0)
	ds_bpermute_b32 v14, v53, v7
	v_max_f32_e32 v7, v7, v7
	s_sub_i32 s4, s47, s38
	s_lshl_b32 s4, s4, 4
	s_add_i32 s4, s4, s49
	s_waitcnt lgkmcnt(0)
	v_max_f32_e32 v14, v14, v14
	v_max_f32_e32 v7, v7, v14
	v_lshlrev_b32_e32 v14, 2, v2
	v_and_b32_e32 v14, 0x100, v14
	ds_bpermute_b32 v7, v14, v7
	s_min_i32 s15, s4, s29
	s_sub_i32 s7, s15, s49
	v_cmp_gt_i32_e64 s[4:5], s7, v0
	v_mov_b32_e32 v15, 0
	s_and_saveexec_b64 s[38:39], s[4:5]
	s_cbranch_execz .LBB32_28
; %bb.25:
	v_mov_b32_e32 v15, 0x1f0
	v_lshl_add_u32 v16, v0, 2, v15
	s_mov_b64 s[40:41], 0
	v_mov_b32_e32 v15, 0
	v_mov_b32_e32 v17, v0
.LBB32_26:                              ; =>This Inner Loop Header: Depth=1
	ds_read_b32 v18, v16
	v_add_u32_e32 v17, 0x80, v17
	v_cmp_le_i32_e64 s[10:11], s7, v17
	s_or_b64 s[40:41], s[10:11], s[40:41]
	s_waitcnt lgkmcnt(0)
	v_sub_f32_e32 v18, v18, v7
	v_mul_f32_e32 v18, 0x3fb8aa3b, v18
	v_exp_f32_e32 v18, v18
	ds_write_b32 v16, v18
	v_add_f32_e32 v15, v15, v18
	v_add_u32_e32 v16, 0x200, v16
	s_andn2_b64 exec, exec, s[40:41]
	s_cbranch_execnz .LBB32_26
; %bb.27:
	s_or_b64 exec, exec, s[40:41]
.LBB32_28:
	s_or_b64 exec, exec, s[38:39]
	ds_bpermute_b32 v8, v8, v15
	s_waitcnt lgkmcnt(0)
	v_add_f32_e32 v8, v15, v8
	ds_bpermute_b32 v9, v9, v8
	s_waitcnt lgkmcnt(0)
	v_add_f32_e32 v8, v8, v9
	ds_bpermute_b32 v9, v12, v8
	v_xor_b32_e32 v12, 2, v2
	v_cmp_lt_i32_e64 s[10:11], v12, v3
	v_cndmask_b32_e64 v2, v2, v12, s[10:11]
	v_lshlrev_b32_e32 v54, 2, v2
	s_waitcnt lgkmcnt(0)
	v_add_f32_e32 v8, v8, v9
	ds_bpermute_b32 v9, v13, v8
	s_waitcnt lgkmcnt(0)
	v_add_f32_e32 v3, v8, v9
	ds_bpermute_b32 v2, v54, v3
	;; [unrolled: 3-line block ×3, first 2 shown]
	s_waitcnt lgkmcnt(0)
	v_add_f32_e32 v2, v2, v3
	s_and_saveexec_b64 s[10:11], vcc
	s_cbranch_execz .LBB32_30
; %bb.29:
	ds_write_b32 v10, v2 offset:488
.LBB32_30:
	s_or_b64 exec, exec, s[10:11]
	s_waitcnt lgkmcnt(0)
	s_barrier
	s_and_saveexec_b64 s[10:11], s[2:3]
	s_cbranch_execz .LBB32_32
; %bb.31:
	ds_read_b32 v2, v11 offset:488
.LBB32_32:
	s_or_b64 exec, exec, s[10:11]
	s_waitcnt lgkmcnt(0)
	ds_bpermute_b32 v3, v53, v2
	s_waitcnt lgkmcnt(0)
	v_add_f32_e32 v2, v2, v3
	ds_bpermute_b32 v8, v14, v2
	s_and_saveexec_b64 s[2:3], s[4:5]
	s_cbranch_execz .LBB32_45
; %bb.33:
	s_waitcnt lgkmcnt(0)
	v_add_f32_e32 v2, 0x358637bd, v8
	v_div_scale_f32 v3, s[4:5], v2, v2, 1.0
	v_rcp_f32_e32 v9, v3
	v_div_scale_f32 v10, vcc, 1.0, v2, 1.0
	s_movk_i32 s4, 0x7f
	v_fma_f32 v11, -v3, v9, 1.0
	v_fmac_f32_e32 v9, v11, v9
	v_mul_f32_e32 v11, v10, v9
	v_fma_f32 v12, -v3, v11, v10
	v_fmac_f32_e32 v11, v12, v9
	v_fma_f32 v3, -v3, v11, v10
	v_div_fmas_f32 v3, v3, v9, v11
	v_div_fixup_f32 v2, v3, v2, 1.0
	v_xad_u32 v3, v0, -1, s15
	v_subrev_u32_e32 v9, s49, v3
	v_cmp_lt_u32_e32 vcc, s4, v9
	s_mov_b64 s[10:11], -1
	v_mov_b32_e32 v3, v0
	s_and_saveexec_b64 s[4:5], vcc
	s_cbranch_execz .LBB32_42
; %bb.34:
	v_lshrrev_b32_e32 v9, 7, v9
	v_add_u32_e32 v11, -1, v9
	v_lshrrev_b32_e32 v10, 1, v11
	v_mov_b32_e32 v3, v2
	v_add_u32_e32 v10, 1, v10
	v_cmp_lt_u32_e32 vcc, 13, v11
	v_mov_b32_e32 v13, 0
	s_and_saveexec_b64 s[10:11], vcc
	s_cbranch_execz .LBB32_38
; %bb.35:
	v_mov_b32_e32 v12, 0x1f0
	v_and_b32_e32 v11, -8, v10
	v_lshl_add_u32 v12, v0, 2, v12
	s_mov_b32 s15, 0
	s_mov_b64 s[38:39], 0
.LBB32_36:                              ; =>This Inner Loop Header: Depth=1
	ds_read2st64_b32 v[14:15], v12 offset1:2
	ds_read2st64_b32 v[16:17], v12 offset0:4 offset1:6
	ds_read2st64_b32 v[18:19], v12 offset0:8 offset1:10
	;; [unrolled: 1-line block ×3, first 2 shown]
	v_add_u32_e32 v11, -8, v11
	s_waitcnt lgkmcnt(3)
	v_pk_mul_f32 v[14:15], v[2:3], v[14:15]
	s_waitcnt lgkmcnt(2)
	v_pk_mul_f32 v[16:17], v[2:3], v[16:17]
	ds_write2st64_b32 v12, v14, v15 offset1:2
	ds_write2st64_b32 v12, v16, v17 offset0:4 offset1:6
	ds_read2st64_b32 v[16:17], v12 offset0:16 offset1:18
	s_waitcnt lgkmcnt(4)
	v_pk_mul_f32 v[14:15], v[2:3], v[18:19]
	ds_write2st64_b32 v12, v14, v15 offset0:8 offset1:10
	s_waitcnt lgkmcnt(4)
	v_pk_mul_f32 v[14:15], v[2:3], v[20:21]
	ds_write2st64_b32 v12, v14, v15 offset0:12 offset1:14
	ds_read2st64_b32 v[14:15], v12 offset0:20 offset1:22
	s_waitcnt lgkmcnt(3)
	v_pk_mul_f32 v[16:17], v[2:3], v[16:17]
	ds_read2st64_b32 v[18:19], v12 offset0:24 offset1:26
	ds_write2st64_b32 v12, v16, v17 offset0:16 offset1:18
	ds_read2st64_b32 v[16:17], v12 offset0:28 offset1:30
	s_waitcnt lgkmcnt(3)
	v_pk_mul_f32 v[14:15], v[2:3], v[14:15]
	ds_write2st64_b32 v12, v14, v15 offset0:20 offset1:22
	s_waitcnt lgkmcnt(3)
	v_pk_mul_f32 v[14:15], v[2:3], v[18:19]
	ds_write2st64_b32 v12, v14, v15 offset0:24 offset1:26
	s_waitcnt lgkmcnt(2)
	v_pk_mul_f32 v[14:15], v[2:3], v[16:17]
	s_add_i32 s15, s15, 16
	v_cmp_eq_u32_e32 vcc, 0, v11
	ds_write2st64_b32 v12, v14, v15 offset0:28 offset1:30
	v_add_u32_e32 v12, 0x2000, v12
	s_or_b64 s[38:39], vcc, s[38:39]
	v_mov_b32_e32 v13, s15
	s_andn2_b64 exec, exec, s[38:39]
	s_cbranch_execnz .LBB32_36
; %bb.37:
	s_or_b64 exec, exec, s[38:39]
.LBB32_38:
	s_or_b64 exec, exec, s[10:11]
	v_and_b32_e32 v10, 7, v10
	v_cmp_ne_u32_e32 vcc, 0, v10
	s_and_saveexec_b64 s[10:11], vcc
	s_cbranch_execz .LBB32_41
; %bb.39:
	v_lshlrev_b32_e32 v11, 9, v13
	s_movk_i32 s15, 0x1f0
	v_add3_u32 v11, v11, v4, s15
	s_mov_b64 s[38:39], 0
.LBB32_40:                              ; =>This Inner Loop Header: Depth=1
	ds_read2st64_b32 v[12:13], v11 offset1:2
	v_add_u32_e32 v10, -1, v10
	v_cmp_eq_u32_e32 vcc, 0, v10
	s_or_b64 s[38:39], vcc, s[38:39]
	s_waitcnt lgkmcnt(0)
	v_pk_mul_f32 v[12:13], v[2:3], v[12:13]
	ds_write2st64_b32 v11, v12, v13 offset1:2
	v_add_u32_e32 v11, 0x400, v11
	s_andn2_b64 exec, exec, s[38:39]
	s_cbranch_execnz .LBB32_40
.LBB32_41:
	s_or_b64 exec, exec, s[10:11]
	v_add_u32_e32 v9, 1, v9
	v_and_b32_e32 v10, 0x3fffffe, v9
	v_cmp_ne_u32_e32 vcc, v9, v10
	v_lshl_add_u32 v3, v10, 7, v0
	s_orn2_b64 s[10:11], vcc, exec
.LBB32_42:
	s_or_b64 exec, exec, s[4:5]
	s_and_b64 exec, exec, s[10:11]
	s_cbranch_execz .LBB32_45
; %bb.43:
	v_mov_b32_e32 v9, 0x1f0
	v_lshl_add_u32 v9, v3, 2, v9
	s_mov_b64 s[4:5], 0
.LBB32_44:                              ; =>This Inner Loop Header: Depth=1
	ds_read_b32 v10, v9
	v_add_u32_e32 v3, 0x80, v3
	v_cmp_le_i32_e32 vcc, s7, v3
	s_or_b64 s[4:5], vcc, s[4:5]
	s_waitcnt lgkmcnt(0)
	v_mul_f32_e32 v10, v2, v10
	ds_write_b32 v9, v10
	v_add_u32_e32 v9, 0x200, v9
	s_andn2_b64 exec, exec, s[4:5]
	s_cbranch_execnz .LBB32_44
.LBB32_45:
	s_or_b64 exec, exec, s[2:3]
	s_mul_i32 s2, s16, s28
	v_cmp_eq_u32_e32 vcc, 0, v0
	s_mul_i32 s4, s2, s9
	s_waitcnt lgkmcnt(0)
	s_barrier
	s_and_saveexec_b64 s[2:3], vcc
	s_cbranch_execz .LBB32_47
; %bb.46:
	s_ashr_i32 s5, s4, 31
	s_lshl_b64 s[10:11], s[4:5], 2
	s_add_u32 s5, s22, s10
	s_mul_i32 s6, s16, s6
	s_addc_u32 s9, s23, s11
	s_ashr_i32 s7, s6, 31
	s_lshl_b64 s[6:7], s[6:7], 2
	s_add_u32 s5, s5, s6
	s_addc_u32 s15, s9, s7
	s_ashr_i32 s9, s8, 31
	s_lshl_b64 s[22:23], s[8:9], 2
	s_add_u32 s38, s5, s22
	s_addc_u32 s39, s15, s23
	s_add_u32 s5, s20, s10
	s_addc_u32 s9, s21, s11
	;; [unrolled: 2-line block ×3, first 2 shown]
	s_add_u32 s6, s5, s22
	v_mov_b32_e32 v2, 0
	s_addc_u32 s7, s7, s23
	global_store_dword v2, v7, s[38:39]
	global_store_dword v2, v8, s[6:7]
.LBB32_47:
	s_or_b64 exec, exec, s[2:3]
	v_mov_b32_e32 v43, 0
	v_lshrrev_b32_e32 v55, 2, v6
	v_mov_b32_e32 v42, 0
	v_mov_b32_e32 v45, 0
	v_mov_b32_e32 v44, 0
	v_mov_b32_e32 v47, 0
	v_mov_b32_e32 v46, 0
	v_mov_b32_e32 v41, 0
	v_mov_b32_e32 v40, 0
	s_and_saveexec_b64 s[6:7], s[0:1]
	s_cbranch_execz .LBB32_71
; %bb.48:
	s_ashr_i32 s15, s14, 31
	s_sub_i32 s5, s48, s17
	s_lshl_b64 s[0:1], s[14:15], 2
	s_add_u32 s17, s36, s0
	s_addc_u32 s20, s37, s1
	s_abs_i32 s18, s18
	v_cvt_f32_u32_e32 v3, s18
	v_or_b32_e32 v7, 0x70, v55
	s_movk_i32 s0, 0x78
	v_and_b32_e32 v56, 12, v4
	v_rcp_iflag_f32_e32 v3, v3
	v_cmp_gt_u32_e32 vcc, s0, v7
	s_sub_i32 s0, 0, s18
	s_add_i32 s21, s12, -1
	v_mul_f32_e32 v3, 0x4f7ffffe, v3
	v_cvt_u32_f32_e32 v3, v3
	v_lshl_or_b32 v10, v7, 4, v56
	v_lshlrev_b64 v[12:13], 2, v[38:39]
	v_lshl_or_b32 v2, v55, 4, v56
	v_mul_lo_u32 v7, s0, v3
	s_lshl_b64 s[0:1], s[34:35], 2
	s_add_u32 s0, s30, s0
	v_mul_hi_u32 v7, v3, v7
	s_addc_u32 s1, s31, s1
	v_add_u32_e32 v57, v3, v7
	v_mov_b32_e32 v3, s1
	v_add_co_u32_e64 v48, s[0:1], s0, v12
	v_addc_co_u32_e64 v49, s[0:1], v3, v13, s[0:1]
	v_lshlrev_b32_e32 v3, 4, v51
	v_mov_b32_e32 v40, 0
	v_or_b32_e32 v4, 0x400, v2
	v_or_b32_e32 v6, 0x500, v2
	;; [unrolled: 1-line block ×3, first 2 shown]
	v_lshl_or_b32 v3, v5, 6, v3
	s_mov_b32 s9, s13
	v_add_u32_e32 v39, 0x1f0, v3
	s_mov_b64 s[10:11], 0
	v_lshlrev_b32_e32 v58, 2, v2
	v_lshlrev_b32_e32 v59, 2, v4
	;; [unrolled: 1-line block ×5, first 2 shown]
	v_mov_b32_e32 v41, v40
	v_mov_b32_e32 v46, v40
	;; [unrolled: 1-line block ×7, first 2 shown]
	s_branch .LBB32_52
.LBB32_49:                              ;   in Loop: Header=BB32_52 Depth=1
	s_or_b64 exec, exec, s[2:3]
	s_waitcnt vmcnt(0) lgkmcnt(0)
	v_mul_f32_e32 v35, v3, v35
	v_fmac_f32_e32 v35, v2, v34
	v_fmac_f32_e32 v35, v4, v36
	;; [unrolled: 1-line block ×3, first 2 shown]
	v_add_f32_e32 v43, v43, v35
.LBB32_50:                              ;   in Loop: Header=BB32_52 Depth=1
	s_or_b64 exec, exec, s[14:15]
	s_waitcnt vmcnt(6) lgkmcnt(0)
	v_mul_f32_e32 v7, v3, v7
	v_fmac_f32_e32 v7, v2, v6
	s_waitcnt vmcnt(5)
	v_mul_f32_e32 v6, v3, v11
	v_fmac_f32_e32 v6, v2, v10
	v_fmac_f32_e32 v6, v4, v12
	v_fmac_f32_e32 v6, v5, v13
	v_add_f32_e32 v41, v41, v6
	s_waitcnt vmcnt(4)
	v_mul_f32_e32 v6, v3, v15
	v_fmac_f32_e32 v6, v2, v14
	v_fmac_f32_e32 v6, v4, v16
	v_fmac_f32_e32 v6, v5, v17
	v_add_f32_e32 v46, v46, v6
	;; [unrolled: 6-line block ×4, first 2 shown]
	s_waitcnt vmcnt(1)
	v_mul_f32_e32 v6, v3, v27
	s_waitcnt vmcnt(0)
	v_mul_f32_e32 v3, v3, v31
	v_fmac_f32_e32 v6, v2, v26
	v_fmac_f32_e32 v3, v2, v30
	;; [unrolled: 1-line block ×8, first 2 shown]
	v_add_f32_e32 v40, v40, v7
	v_add_f32_e32 v45, v45, v6
	;; [unrolled: 1-line block ×3, first 2 shown]
.LBB32_51:                              ;   in Loop: Header=BB32_52 Depth=1
	s_or_b64 exec, exec, s[12:13]
	v_add_co_u32_e64 v48, s[0:1], 8, v48
	v_add_u32_e32 v38, 2, v38
	v_addc_co_u32_e64 v49, s[0:1], 0, v49, s[0:1]
	v_cmp_le_i32_e64 s[0:1], s47, v38
	v_add_u32_e32 v52, 32, v52
	s_or_b64 s[10:11], s[0:1], s[10:11]
	v_add_u32_e32 v39, 0x80, v39
	s_andn2_b64 exec, exec, s[10:11]
	s_cbranch_execz .LBB32_70
.LBB32_52:                              ; =>This Inner Loop Header: Depth=1
	v_sub_u32_e32 v3, 0, v52
	v_max_i32_e32 v3, v52, v3
	v_mul_hi_u32 v4, v3, s33
	v_mul_lo_u32 v5, v4, s25
	v_sub_u32_e32 v3, v3, v5
	v_add_u32_e32 v5, 1, v4
	v_cmp_le_u32_e64 s[0:1], s25, v3
	v_cndmask_b32_e64 v4, v4, v5, s[0:1]
	v_subrev_u32_e32 v5, s25, v3
	v_cndmask_b32_e64 v3, v3, v5, s[0:1]
	v_ashrrev_i32_e32 v2, 31, v52
	v_add_u32_e32 v5, 1, v4
	v_cmp_le_u32_e64 s[0:1], s25, v3
	v_xor_b32_e32 v2, s19, v2
	v_cndmask_b32_e64 v3, v4, v5, s[0:1]
	v_xor_b32_e32 v3, v3, v2
	v_sub_u32_e32 v2, v3, v2
	v_add_u32_e32 v3, s46, v2
	v_sub_u32_e32 v5, 0, v3
	v_ashrrev_i32_e32 v4, 31, v3
	v_max_i32_e32 v3, v3, v5
	v_mul_hi_u32 v5, v3, v57
	v_mul_lo_u32 v5, v5, s18
	v_sub_u32_e32 v3, v3, v5
	v_subrev_u32_e32 v5, s18, v3
	v_cmp_le_u32_e64 s[0:1], s18, v3
	v_cndmask_b32_e64 v3, v3, v5, s[0:1]
	v_subrev_u32_e32 v5, s18, v3
	v_cmp_le_u32_e64 s[0:1], s18, v3
	v_cndmask_b32_e64 v3, v3, v5, s[0:1]
	v_xor_b32_e32 v3, v3, v4
	v_sub_u32_e32 v3, v3, v4
	v_cmp_eq_u32_e64 s[0:1], 0, v3
	v_cmp_lt_i32_e64 s[2:3], s5, v2
	s_or_b64 s[0:1], s[0:1], s[2:3]
	s_and_saveexec_b64 s[12:13], s[0:1]
	s_cbranch_execz .LBB32_51
; %bb.53:                               ;   in Loop: Header=BB32_52 Depth=1
	global_load_dword v2, v[48:49], off
	v_mov_b32_e32 v4, s20
	v_add_u32_e32 v63, v56, v52
	s_waitcnt vmcnt(0)
	v_mad_i64_i32 v[2:3], s[0:1], v2, s9, 0
	v_lshlrev_b64 v[2:3], 2, v[2:3]
	v_add_co_u32_e64 v34, s[0:1], s17, v2
	v_addc_co_u32_e64 v35, s[0:1], v4, v3, s[0:1]
	v_add_co_u32_e64 v18, s[0:1], v34, v58
	v_addc_co_u32_e64 v19, s[0:1], 0, v35, s[0:1]
	global_load_dwordx4 v[6:9], v[18:19], off
	ds_read_b128 v[2:5], v39
	v_cmp_eq_u32_e64 s[0:1], s21, v38
	s_and_saveexec_b64 s[14:15], s[0:1]
	s_cbranch_execnz .LBB32_67
; %bb.54:                               ;   in Loop: Header=BB32_52 Depth=1
	s_or_b64 exec, exec, s[14:15]
	global_load_dwordx4 v[10:13], v[18:19], off offset:1024
	s_and_saveexec_b64 s[14:15], s[0:1]
	s_cbranch_execnz .LBB32_68
.LBB32_55:                              ;   in Loop: Header=BB32_52 Depth=1
	s_or_b64 exec, exec, s[14:15]
	global_load_dwordx4 v[14:17], v[18:19], off offset:2048
	s_and_saveexec_b64 s[14:15], s[0:1]
	s_cbranch_execnz .LBB32_69
.LBB32_56:                              ;   in Loop: Header=BB32_52 Depth=1
	s_or_b64 exec, exec, s[14:15]
	global_load_dwordx4 v[18:21], v[18:19], off offset:3072
	s_and_saveexec_b64 s[14:15], s[0:1]
	s_cbranch_execz .LBB32_58
.LBB32_57:                              ;   in Loop: Header=BB32_52 Depth=1
	v_cmp_gt_i32_e64 s[2:3], s29, v63
	v_add_u32_e32 v22, 1, v63
	s_waitcnt vmcnt(0)
	v_cndmask_b32_e64 v18, 0, v18, s[2:3]
	v_cmp_gt_i32_e64 s[2:3], s29, v22
	v_add_u32_e32 v22, 2, v63
	v_cndmask_b32_e64 v19, 0, v19, s[2:3]
	v_cmp_gt_i32_e64 s[2:3], s29, v22
	v_add_u32_e32 v22, 3, v63
	v_cndmask_b32_e64 v20, 0, v20, s[2:3]
	v_cmp_gt_i32_e64 s[2:3], s29, v22
	v_cndmask_b32_e64 v21, 0, v21, s[2:3]
.LBB32_58:                              ;   in Loop: Header=BB32_52 Depth=1
	s_or_b64 exec, exec, s[14:15]
	v_add_co_u32_e64 v22, s[2:3], v34, v59
	v_addc_co_u32_e64 v23, s[2:3], 0, v35, s[2:3]
	global_load_dwordx4 v[22:25], v[22:23], off
	s_and_saveexec_b64 s[14:15], s[0:1]
	s_cbranch_execz .LBB32_60
; %bb.59:                               ;   in Loop: Header=BB32_52 Depth=1
	v_cmp_gt_i32_e64 s[2:3], s29, v63
	v_add_u32_e32 v26, 1, v63
	s_waitcnt vmcnt(0)
	v_cndmask_b32_e64 v22, 0, v22, s[2:3]
	v_cmp_gt_i32_e64 s[2:3], s29, v26
	v_add_u32_e32 v26, 2, v63
	v_cndmask_b32_e64 v23, 0, v23, s[2:3]
	v_cmp_gt_i32_e64 s[2:3], s29, v26
	v_add_u32_e32 v26, 3, v63
	v_cndmask_b32_e64 v24, 0, v24, s[2:3]
	v_cmp_gt_i32_e64 s[2:3], s29, v26
	v_cndmask_b32_e64 v25, 0, v25, s[2:3]
.LBB32_60:                              ;   in Loop: Header=BB32_52 Depth=1
	s_or_b64 exec, exec, s[14:15]
	v_add_co_u32_e64 v26, s[2:3], v34, v60
	v_addc_co_u32_e64 v27, s[2:3], 0, v35, s[2:3]
	global_load_dwordx4 v[26:29], v[26:27], off
	s_and_saveexec_b64 s[14:15], s[0:1]
	s_cbranch_execz .LBB32_62
; %bb.61:                               ;   in Loop: Header=BB32_52 Depth=1
	v_cmp_gt_i32_e64 s[2:3], s29, v63
	v_add_u32_e32 v30, 1, v63
	s_waitcnt vmcnt(0)
	v_cndmask_b32_e64 v26, 0, v26, s[2:3]
	v_cmp_gt_i32_e64 s[2:3], s29, v30
	v_add_u32_e32 v30, 2, v63
	v_cndmask_b32_e64 v27, 0, v27, s[2:3]
	v_cmp_gt_i32_e64 s[2:3], s29, v30
	v_add_u32_e32 v30, 3, v63
	v_cndmask_b32_e64 v28, 0, v28, s[2:3]
	v_cmp_gt_i32_e64 s[2:3], s29, v30
	v_cndmask_b32_e64 v29, 0, v29, s[2:3]
.LBB32_62:                              ;   in Loop: Header=BB32_52 Depth=1
	;; [unrolled: 20-line block ×3, first 2 shown]
	s_or_b64 exec, exec, s[14:15]
	s_and_saveexec_b64 s[14:15], vcc
	s_cbranch_execz .LBB32_50
; %bb.65:                               ;   in Loop: Header=BB32_52 Depth=1
	v_add_co_u32_e64 v34, s[2:3], v34, v62
	v_addc_co_u32_e64 v35, s[2:3], 0, v35, s[2:3]
	global_load_dwordx4 v[34:37], v[34:35], off
	s_and_saveexec_b64 s[2:3], s[0:1]
	s_cbranch_execz .LBB32_49
; %bb.66:                               ;   in Loop: Header=BB32_52 Depth=1
	v_cmp_gt_i32_e64 s[0:1], s29, v63
	v_add_u32_e32 v64, 1, v63
	s_waitcnt vmcnt(0)
	v_cndmask_b32_e64 v34, 0, v34, s[0:1]
	v_cmp_gt_i32_e64 s[0:1], s29, v64
	v_add_u32_e32 v64, 2, v63
	v_cndmask_b32_e64 v35, 0, v35, s[0:1]
	v_cmp_gt_i32_e64 s[0:1], s29, v64
	v_add_u32_e32 v63, 3, v63
	v_cndmask_b32_e64 v36, 0, v36, s[0:1]
	v_cmp_gt_i32_e64 s[0:1], s29, v63
	v_cndmask_b32_e64 v37, 0, v37, s[0:1]
	s_branch .LBB32_49
.LBB32_67:                              ;   in Loop: Header=BB32_52 Depth=1
	v_cmp_gt_i32_e64 s[2:3], s29, v63
	v_add_u32_e32 v10, 1, v63
	s_waitcnt vmcnt(0)
	v_cndmask_b32_e64 v6, 0, v6, s[2:3]
	v_cmp_gt_i32_e64 s[2:3], s29, v10
	v_add_u32_e32 v10, 2, v63
	v_cndmask_b32_e64 v7, 0, v7, s[2:3]
	v_cmp_gt_i32_e64 s[2:3], s29, v10
	v_add_u32_e32 v10, 3, v63
	v_cndmask_b32_e64 v8, 0, v8, s[2:3]
	v_cmp_gt_i32_e64 s[2:3], s29, v10
	v_cndmask_b32_e64 v9, 0, v9, s[2:3]
	s_or_b64 exec, exec, s[14:15]
	global_load_dwordx4 v[10:13], v[18:19], off offset:1024
	s_and_saveexec_b64 s[14:15], s[0:1]
	s_cbranch_execz .LBB32_55
.LBB32_68:                              ;   in Loop: Header=BB32_52 Depth=1
	v_cmp_gt_i32_e64 s[2:3], s29, v63
	v_add_u32_e32 v14, 1, v63
	s_waitcnt vmcnt(0)
	v_cndmask_b32_e64 v10, 0, v10, s[2:3]
	v_cmp_gt_i32_e64 s[2:3], s29, v14
	v_add_u32_e32 v14, 2, v63
	v_cndmask_b32_e64 v11, 0, v11, s[2:3]
	v_cmp_gt_i32_e64 s[2:3], s29, v14
	v_add_u32_e32 v14, 3, v63
	v_cndmask_b32_e64 v12, 0, v12, s[2:3]
	v_cmp_gt_i32_e64 s[2:3], s29, v14
	v_cndmask_b32_e64 v13, 0, v13, s[2:3]
	s_or_b64 exec, exec, s[14:15]
	global_load_dwordx4 v[14:17], v[18:19], off offset:2048
	s_and_saveexec_b64 s[14:15], s[0:1]
	s_cbranch_execz .LBB32_56
.LBB32_69:                              ;   in Loop: Header=BB32_52 Depth=1
	v_cmp_gt_i32_e64 s[2:3], s29, v63
	v_add_u32_e32 v20, 1, v63
	s_waitcnt vmcnt(0)
	v_cndmask_b32_e64 v14, 0, v14, s[2:3]
	v_cmp_gt_i32_e64 s[2:3], s29, v20
	v_add_u32_e32 v20, 2, v63
	v_cndmask_b32_e64 v15, 0, v15, s[2:3]
	v_cmp_gt_i32_e64 s[2:3], s29, v20
	v_add_u32_e32 v20, 3, v63
	v_cndmask_b32_e64 v16, 0, v16, s[2:3]
	v_cmp_gt_i32_e64 s[2:3], s29, v20
	v_cndmask_b32_e64 v17, 0, v17, s[2:3]
	s_or_b64 exec, exec, s[14:15]
	global_load_dwordx4 v[18:21], v[18:19], off offset:3072
	s_and_saveexec_b64 s[14:15], s[0:1]
	s_cbranch_execnz .LBB32_57
	s_branch .LBB32_58
.LBB32_70:
	s_or_b64 exec, exec, s[10:11]
.LBB32_71:
	s_or_b64 exec, exec, s[6:7]
	ds_bpermute_b32 v2, v54, v40
	ds_bpermute_b32 v3, v54, v41
	;; [unrolled: 1-line block ×8, first 2 shown]
	s_waitcnt lgkmcnt(6)
	v_pk_add_f32 v[2:3], v[40:41], v[2:3]
	s_waitcnt lgkmcnt(4)
	v_pk_add_f32 v[4:5], v[46:47], v[4:5]
	ds_bpermute_b32 v6, v53, v2
	ds_bpermute_b32 v7, v53, v3
	;; [unrolled: 1-line block ×4, first 2 shown]
	s_waitcnt lgkmcnt(6)
	v_pk_add_f32 v[14:15], v[44:45], v[8:9]
	s_waitcnt lgkmcnt(4)
	v_pk_add_f32 v[12:13], v[42:43], v[12:13]
	ds_bpermute_b32 v16, v53, v14
	ds_bpermute_b32 v17, v53, v15
	;; [unrolled: 1-line block ×4, first 2 shown]
	s_waitcnt lgkmcnt(6)
	v_pk_add_f32 v[8:9], v[2:3], v[6:7]
	s_waitcnt lgkmcnt(4)
	v_pk_add_f32 v[6:7], v[4:5], v[10:11]
	v_and_b32_e32 v10, 0x3c0, v0
	s_waitcnt lgkmcnt(2)
	v_pk_add_f32 v[4:5], v[14:15], v[16:17]
	s_waitcnt lgkmcnt(0)
	v_pk_add_f32 v[2:3], v[12:13], v[18:19]
	v_cmp_eq_u32_e32 vcc, 64, v10
	s_barrier
	s_and_saveexec_b64 s[2:3], vcc
	s_cbranch_execz .LBB32_76
; %bb.72:
	v_cmp_eq_u32_e32 vcc, 0, v51
	s_and_saveexec_b64 s[0:1], vcc
	s_cbranch_execz .LBB32_74
; %bb.73:
	v_mov_b32_e32 v10, 0x1f0
	v_lshl_add_u32 v10, v55, 2, v10
	ds_write2_b32 v10, v8, v9 offset1:16
	ds_write2_b32 v10, v6, v7 offset0:32 offset1:48
	ds_write2_b32 v10, v4, v5 offset0:64 offset1:80
	ds_write_b32 v10, v2 offset:384
.LBB32_74:
	s_or_b64 exec, exec, s[0:1]
	v_or_b32_e32 v10, 0x70, v55
	s_movk_i32 s0, 0x78
	v_cmp_gt_u32_e64 s[0:1], s0, v10
	s_and_b64 s[0:1], vcc, s[0:1]
	s_and_b64 exec, exec, s[0:1]
	s_cbranch_execz .LBB32_76
; %bb.75:
	v_mov_b32_e32 v10, 0x1f0
	v_lshl_add_u32 v10, v55, 2, v10
	ds_write_b32 v10, v3 offset:448
.LBB32_76:
	s_or_b64 exec, exec, s[2:3]
	v_cmp_gt_u32_e32 vcc, 64, v0
	s_waitcnt lgkmcnt(0)
	s_barrier
	s_and_saveexec_b64 s[6:7], vcc
	s_cbranch_execz .LBB32_94
; %bb.77:
	v_cmp_eq_u32_e64 s[0:1], 0, v51
	s_and_saveexec_b64 s[2:3], s[0:1]
	s_cbranch_execz .LBB32_79
; %bb.78:
	v_mov_b32_e32 v0, 0x1f0
	v_lshl_add_u32 v0, v50, 2, v0
	ds_read_b32 v0, v0
	s_waitcnt lgkmcnt(0)
	v_add_f32_e32 v8, v8, v0
.LBB32_79:
	s_or_b64 exec, exec, s[2:3]
	v_or_b32_e32 v0, 16, v50
	s_movk_i32 s5, 0x78
	v_cmp_gt_u32_e64 s[2:3], s5, v0
	s_and_b64 s[10:11], s[0:1], s[2:3]
	s_and_saveexec_b64 s[2:3], s[10:11]
	s_cbranch_execz .LBB32_81
; %bb.80:
	v_mov_b32_e32 v0, 0x1f0
	v_lshl_add_u32 v0, v50, 2, v0
	ds_read_b32 v0, v0 offset:64
	s_waitcnt lgkmcnt(0)
	v_add_f32_e32 v9, v9, v0
.LBB32_81:
	s_or_b64 exec, exec, s[2:3]
	v_or_b32_e32 v0, 32, v50
	v_cmp_gt_u32_e64 s[2:3], s5, v0
	s_and_b64 s[10:11], s[0:1], s[2:3]
	s_and_saveexec_b64 s[2:3], s[10:11]
	s_cbranch_execz .LBB32_83
; %bb.82:
	v_mov_b32_e32 v0, 0x1f0
	v_lshl_add_u32 v0, v50, 2, v0
	ds_read_b32 v0, v0 offset:128
	s_waitcnt lgkmcnt(0)
	v_add_f32_e32 v6, v6, v0
.LBB32_83:
	s_or_b64 exec, exec, s[2:3]
	v_or_b32_e32 v0, 48, v50
	;; [unrolled: 13-line block ×6, first 2 shown]
	s_movk_i32 s2, 0x78
	v_cmp_gt_u32_e64 s[2:3], s2, v0
	s_and_b64 s[2:3], s[0:1], s[2:3]
	s_and_saveexec_b64 s[0:1], s[2:3]
	s_cbranch_execz .LBB32_93
; %bb.92:
	v_mov_b32_e32 v0, 0x1f0
	v_lshl_add_u32 v0, v50, 2, v0
	ds_read_b32 v0, v0 offset:448
	s_waitcnt lgkmcnt(0)
	v_add_f32_e32 v3, v3, v0
.LBB32_93:
	s_or_b64 exec, exec, s[0:1]
.LBB32_94:
	s_or_b64 exec, exec, s[6:7]
	s_barrier
	s_and_saveexec_b64 s[0:1], vcc
	s_cbranch_execz .LBB32_111
; %bb.95:
	s_mul_i32 s0, s4, 0x78
	s_ashr_i32 s1, s0, 31
	s_lshl_b64 s[0:1], s[0:1], 2
	s_add_u32 s2, s26, s0
	s_mul_i32 s0, s16, s24
	s_addc_u32 s3, s27, s1
	s_ashr_i32 s1, s0, 31
	s_lshl_b64 s[0:1], s[0:1], 2
	s_add_u32 s2, s2, s0
	s_mul_i32 s0, s8, 0x78
	s_addc_u32 s3, s3, s1
	s_ashr_i32 s1, s0, 31
	s_lshl_b64 s[0:1], s[0:1], 2
	s_add_u32 s2, s2, s0
	s_movk_i32 s5, 0x78
	s_addc_u32 s3, s3, s1
	v_cmp_eq_u32_e32 vcc, 0, v51
	s_and_saveexec_b64 s[0:1], vcc
	s_cbranch_execz .LBB32_97
; %bb.96:
	global_store_dword v1, v8, s[2:3]
.LBB32_97:
	s_or_b64 exec, exec, s[0:1]
	v_or_b32_e32 v0, 16, v50
	v_cmp_gt_u32_e64 s[0:1], s5, v0
	s_and_b64 s[4:5], vcc, s[0:1]
	s_and_saveexec_b64 s[0:1], s[4:5]
	s_cbranch_execz .LBB32_99
; %bb.98:
	global_store_dword v1, v9, s[2:3] offset:64
.LBB32_99:
	s_or_b64 exec, exec, s[0:1]
	v_or_b32_e32 v0, 32, v50
	s_movk_i32 s4, 0x78
	v_cmp_gt_u32_e64 s[0:1], s4, v0
	s_and_b64 s[6:7], vcc, s[0:1]
	s_and_saveexec_b64 s[0:1], s[6:7]
	s_cbranch_execz .LBB32_101
; %bb.100:
	global_store_dword v1, v6, s[2:3] offset:128
.LBB32_101:
	s_or_b64 exec, exec, s[0:1]
	v_or_b32_e32 v0, 48, v50
	v_cmp_gt_u32_e64 s[0:1], s4, v0
	s_and_b64 s[4:5], vcc, s[0:1]
	s_and_saveexec_b64 s[0:1], s[4:5]
	s_cbranch_execz .LBB32_103
; %bb.102:
	global_store_dword v1, v7, s[2:3] offset:192
.LBB32_103:
	s_or_b64 exec, exec, s[0:1]
	v_or_b32_e32 v0, 64, v50
	s_movk_i32 s4, 0x78
	v_cmp_gt_u32_e64 s[0:1], s4, v0
	s_and_b64 s[6:7], vcc, s[0:1]
	s_and_saveexec_b64 s[0:1], s[6:7]
	s_cbranch_execz .LBB32_105
; %bb.104:
	global_store_dword v1, v4, s[2:3] offset:256
.LBB32_105:
	;; [unrolled: 19-line block ×3, first 2 shown]
	s_or_b64 exec, exec, s[0:1]
	v_or_b32_e32 v0, 0x70, v50
	v_cmp_gt_u32_e64 s[0:1], s4, v0
	s_and_b64 s[0:1], vcc, s[0:1]
	s_and_b64 exec, exec, s[0:1]
	s_cbranch_execz .LBB32_111
; %bb.110:
	global_store_dword v1, v3, s[2:3] offset:448
.LBB32_111:
	s_endpgm
	.section	.rodata,"a",@progbits
	.p2align	6, 0x0
	.amdhsa_kernel _ZN4vllm25paged_attention_v2_kernelIffLi120ELi16ELi128ELNS_18Fp8KVCacheDataTypeE0ELb1ELi512EEEvPfS2_PT_PKS3_PKT0_S9_ifPKiSB_iPKfiiiSD_SD_iiiii
		.amdhsa_group_segment_fixed_size 496
		.amdhsa_private_segment_fixed_size 0
		.amdhsa_kernarg_size 400
		.amdhsa_user_sgpr_count 6
		.amdhsa_user_sgpr_private_segment_buffer 1
		.amdhsa_user_sgpr_dispatch_ptr 0
		.amdhsa_user_sgpr_queue_ptr 0
		.amdhsa_user_sgpr_kernarg_segment_ptr 1
		.amdhsa_user_sgpr_dispatch_id 0
		.amdhsa_user_sgpr_flat_scratch_init 0
		.amdhsa_user_sgpr_kernarg_preload_length 0
		.amdhsa_user_sgpr_kernarg_preload_offset 0
		.amdhsa_user_sgpr_private_segment_size 0
		.amdhsa_uses_dynamic_stack 0
		.amdhsa_system_sgpr_private_segment_wavefront_offset 0
		.amdhsa_system_sgpr_workgroup_id_x 1
		.amdhsa_system_sgpr_workgroup_id_y 1
		.amdhsa_system_sgpr_workgroup_id_z 1
		.amdhsa_system_sgpr_workgroup_info 0
		.amdhsa_system_vgpr_workitem_id 0
		.amdhsa_next_free_vgpr 88
		.amdhsa_next_free_sgpr 53
		.amdhsa_accum_offset 88
		.amdhsa_reserve_vcc 1
		.amdhsa_reserve_flat_scratch 0
		.amdhsa_float_round_mode_32 0
		.amdhsa_float_round_mode_16_64 0
		.amdhsa_float_denorm_mode_32 3
		.amdhsa_float_denorm_mode_16_64 3
		.amdhsa_dx10_clamp 1
		.amdhsa_ieee_mode 1
		.amdhsa_fp16_overflow 0
		.amdhsa_tg_split 0
		.amdhsa_exception_fp_ieee_invalid_op 0
		.amdhsa_exception_fp_denorm_src 0
		.amdhsa_exception_fp_ieee_div_zero 0
		.amdhsa_exception_fp_ieee_overflow 0
		.amdhsa_exception_fp_ieee_underflow 0
		.amdhsa_exception_fp_ieee_inexact 0
		.amdhsa_exception_int_div_zero 0
	.end_amdhsa_kernel
	.section	.text._ZN4vllm25paged_attention_v2_kernelIffLi120ELi16ELi128ELNS_18Fp8KVCacheDataTypeE0ELb1ELi512EEEvPfS2_PT_PKS3_PKT0_S9_ifPKiSB_iPKfiiiSD_SD_iiiii,"axG",@progbits,_ZN4vllm25paged_attention_v2_kernelIffLi120ELi16ELi128ELNS_18Fp8KVCacheDataTypeE0ELb1ELi512EEEvPfS2_PT_PKS3_PKT0_S9_ifPKiSB_iPKfiiiSD_SD_iiiii,comdat
.Lfunc_end32:
	.size	_ZN4vllm25paged_attention_v2_kernelIffLi120ELi16ELi128ELNS_18Fp8KVCacheDataTypeE0ELb1ELi512EEEvPfS2_PT_PKS3_PKT0_S9_ifPKiSB_iPKfiiiSD_SD_iiiii, .Lfunc_end32-_ZN4vllm25paged_attention_v2_kernelIffLi120ELi16ELi128ELNS_18Fp8KVCacheDataTypeE0ELb1ELi512EEEvPfS2_PT_PKS3_PKT0_S9_ifPKiSB_iPKfiiiSD_SD_iiiii
                                        ; -- End function
	.section	.AMDGPU.csdata,"",@progbits
; Kernel info:
; codeLenInByte = 6692
; NumSgprs: 57
; NumVgprs: 88
; NumAgprs: 0
; TotalNumVgprs: 88
; ScratchSize: 0
; MemoryBound: 0
; FloatMode: 240
; IeeeMode: 1
; LDSByteSize: 496 bytes/workgroup (compile time only)
; SGPRBlocks: 7
; VGPRBlocks: 10
; NumSGPRsForWavesPerEU: 57
; NumVGPRsForWavesPerEU: 88
; AccumOffset: 88
; Occupancy: 5
; WaveLimiterHint : 1
; COMPUTE_PGM_RSRC2:SCRATCH_EN: 0
; COMPUTE_PGM_RSRC2:USER_SGPR: 6
; COMPUTE_PGM_RSRC2:TRAP_HANDLER: 0
; COMPUTE_PGM_RSRC2:TGID_X_EN: 1
; COMPUTE_PGM_RSRC2:TGID_Y_EN: 1
; COMPUTE_PGM_RSRC2:TGID_Z_EN: 1
; COMPUTE_PGM_RSRC2:TIDIG_COMP_CNT: 0
; COMPUTE_PGM_RSRC3_GFX90A:ACCUM_OFFSET: 21
; COMPUTE_PGM_RSRC3_GFX90A:TG_SPLIT: 0
	.section	.text._ZN4vllm25paged_attention_v2_kernelIffLi128ELi16ELi128ELNS_18Fp8KVCacheDataTypeE0ELb1ELi512EEEvPfS2_PT_PKS3_PKT0_S9_ifPKiSB_iPKfiiiSD_SD_iiiii,"axG",@progbits,_ZN4vllm25paged_attention_v2_kernelIffLi128ELi16ELi128ELNS_18Fp8KVCacheDataTypeE0ELb1ELi512EEEvPfS2_PT_PKS3_PKT0_S9_ifPKiSB_iPKfiiiSD_SD_iiiii,comdat
	.protected	_ZN4vllm25paged_attention_v2_kernelIffLi128ELi16ELi128ELNS_18Fp8KVCacheDataTypeE0ELb1ELi512EEEvPfS2_PT_PKS3_PKT0_S9_ifPKiSB_iPKfiiiSD_SD_iiiii ; -- Begin function _ZN4vllm25paged_attention_v2_kernelIffLi128ELi16ELi128ELNS_18Fp8KVCacheDataTypeE0ELb1ELi512EEEvPfS2_PT_PKS3_PKT0_S9_ifPKiSB_iPKfiiiSD_SD_iiiii
	.globl	_ZN4vllm25paged_attention_v2_kernelIffLi128ELi16ELi128ELNS_18Fp8KVCacheDataTypeE0ELb1ELi512EEEvPfS2_PT_PKS3_PKT0_S9_ifPKiSB_iPKfiiiSD_SD_iiiii
	.p2align	8
	.type	_ZN4vllm25paged_attention_v2_kernelIffLi128ELi16ELi128ELNS_18Fp8KVCacheDataTypeE0ELb1ELi512EEEvPfS2_PT_PKS3_PKT0_S9_ifPKiSB_iPKfiiiSD_SD_iiiii,@function
_ZN4vllm25paged_attention_v2_kernelIffLi128ELi16ELi128ELNS_18Fp8KVCacheDataTypeE0ELb1ELi512EEEvPfS2_PT_PKS3_PKT0_S9_ifPKiSB_iPKfiiiSD_SD_iiiii: ; @_ZN4vllm25paged_attention_v2_kernelIffLi128ELi16ELi128ELNS_18Fp8KVCacheDataTypeE0ELb1ELi512EEEvPfS2_PT_PKS3_PKT0_S9_ifPKiSB_iPKfiiiSD_SD_iiiii
; %bb.0:
	s_load_dwordx2 s[0:1], s[4:5], 0x40
	s_mov_b32 s28, s7
	s_ashr_i32 s29, s7, 31
	s_lshl_b64 s[2:3], s[28:29], 2
	s_waitcnt lgkmcnt(0)
	s_add_u32 s0, s0, s2
	s_addc_u32 s1, s1, s3
	s_load_dword s29, s[0:1], 0x0
	s_lshl_b32 s50, s8, 9
	s_waitcnt lgkmcnt(0)
	s_cmp_ge_i32 s50, s29
	s_cbranch_scc1 .LBB33_84
; %bb.1:
	s_load_dword s9, s[4:5], 0x90
	s_load_dwordx2 s[38:39], s[4:5], 0x30
	s_mov_b32 s51, 0
	s_waitcnt lgkmcnt(0)
	s_abs_i32 s2, s9
	s_abs_i32 s0, s38
	v_cvt_f32_u32_e32 v1, s0
	s_sub_i32 s3, 0, s0
	s_xor_b32 s1, s9, s38
	s_ashr_i32 s1, s1, 31
	v_rcp_iflag_f32_e32 v1, v1
	v_mul_f32_e32 v1, 0x4f7ffffe, v1
	v_cvt_u32_f32_e32 v1, v1
	v_readfirstlane_b32 s7, v1
	s_mul_i32 s3, s3, s7
	s_mul_hi_u32 s3, s7, s3
	s_add_i32 s7, s7, s3
	s_mul_hi_u32 s3, s2, s7
	s_mul_i32 s7, s3, s0
	s_sub_i32 s2, s2, s7
	s_add_i32 s10, s3, 1
	s_sub_i32 s7, s2, s0
	s_cmp_ge_u32 s2, s0
	s_cselect_b32 s3, s10, s3
	s_cselect_b32 s2, s7, s2
	s_add_i32 s7, s3, 1
	s_cmp_ge_u32 s2, s0
	s_cselect_b32 s0, s7, s3
	s_xor_b32 s0, s0, s1
	s_sub_i32 s11, s0, s1
	s_abs_i32 s2, s11
	v_cvt_f32_u32_e32 v1, s2
	s_load_dwordx2 s[0:1], s[4:5], 0x50
	s_sub_i32 s7, 0, s2
	s_abs_i32 s3, s6
	v_rcp_iflag_f32_e32 v1, v1
	v_mul_f32_e32 v1, 0x4f7ffffe, v1
	v_cvt_u32_f32_e32 v1, v1
	v_readfirstlane_b32 s10, v1
	s_mul_i32 s7, s7, s10
	s_mul_hi_u32 s7, s10, s7
	s_add_i32 s10, s10, s7
	s_waitcnt lgkmcnt(0)
	s_cmp_eq_u64 s[0:1], 0
	s_mul_hi_u32 s10, s3, s10
	s_cbranch_scc1 .LBB33_3
; %bb.2:
	s_ashr_i32 s7, s6, 31
	s_lshl_b64 s[12:13], s[6:7], 2
	s_add_u32 s0, s0, s12
	s_addc_u32 s1, s1, s13
	s_load_dword s51, s[0:1], 0x0
.LBB33_3:
	s_load_dwordx4 s[12:15], s[4:5], 0x58
	v_lshrrev_b32_e32 v50, 2, v0
	s_movk_i32 s0, 0x80
	s_ashr_i32 s7, s6, 31
	s_ashr_i32 s11, s11, 31
	v_and_b32_e32 v51, 3, v0
	s_lshl_b32 s24, s6, 7
	v_cmp_gt_u32_e32 vcc, s0, v0
	v_lshlrev_b32_e32 v10, 2, v0
	v_lshlrev_b32_e32 v1, 2, v50
	s_and_saveexec_b64 s[0:1], vcc
	s_cbranch_execz .LBB33_5
; %bb.4:
	s_load_dwordx2 s[16:17], s[4:5], 0x18
	s_waitcnt lgkmcnt(0)
	s_mul_i32 s18, s28, s12
	s_ashr_i32 s19, s18, 31
	s_lshl_b64 s[18:19], s[18:19], 2
	v_lshl_add_u32 v3, v51, 7, v1
	s_add_u32 s12, s16, s18
	s_addc_u32 s15, s17, s19
	s_ashr_i32 s25, s24, 31
	s_lshl_b64 s[16:17], s[24:25], 2
	s_add_u32 s16, s12, s16
	s_addc_u32 s17, s15, s17
	global_load_dword v2, v10, s[16:17]
	s_waitcnt vmcnt(0)
	ds_write_b32 v3, v2
.LBB33_5:
	s_or_b64 exec, exec, s[0:1]
	s_mul_i32 s1, s10, s2
	s_sub_i32 s1, s3, s1
	s_xor_b32 s0, s7, s11
	s_add_i32 s3, s10, 1
	s_sub_i32 s7, s1, s2
	s_load_dwordx4 s[16:19], s[4:5], 0x78
	s_cmp_ge_u32 s1, s2
	s_cselect_b32 s3, s3, s10
	s_load_dword s10, s[4:5], 0x88
	s_cselect_b32 s1, s7, s1
	s_add_i32 s7, s3, 1
	s_cmp_ge_u32 s1, s2
	s_cselect_b32 s1, s7, s3
	s_waitcnt lgkmcnt(0)
	s_abs_i32 s33, s19
	v_cvt_f32_u32_e32 v2, s33
	s_xor_b32 s1, s1, s0
	s_sub_i32 s2, s1, s0
	s_sub_i32 s0, 0, s33
	v_rcp_iflag_f32_e32 v2, v2
	s_add_i32 s11, s29, -1
	s_abs_i32 s3, s11
	v_mul_f32_e32 v2, 0x4f7ffffe, v2
	v_cvt_u32_f32_e32 v2, v2
	s_barrier
	v_readfirstlane_b32 s46, v2
	s_mul_i32 s0, s0, s46
	s_mul_hi_u32 s0, s46, s0
	s_add_i32 s46, s46, s0
	s_cmp_lt_i32 s10, 0
	s_mul_hi_u32 s7, s3, s46
	s_cbranch_scc0 .LBB33_7
; %bb.6:
	s_mul_i32 s0, s16, s38
	s_add_i32 s0, s2, s0
	s_mul_i32 s0, s0, s10
	s_sub_i32 s47, 1, s0
	s_mov_b64 s[0:1], 0
	s_branch .LBB33_8
.LBB33_7:
	s_mov_b64 s[0:1], -1
                                        ; implicit-def: $sgpr47
.LBB33_8:
	s_load_dwordx2 s[30:31], s[4:5], 0x38
	s_ashr_i32 s11, s11, 31
	s_andn2_b64 vcc, exec, s[0:1]
	s_ashr_i32 s48, s19, 31
	s_cbranch_vccnz .LBB33_10
; %bb.9:
	s_mul_i32 s0, s9, s16
	s_add_i32 s0, s0, s6
	s_mul_i32 s0, s0, s10
	s_add_i32 s47, s0, 1
.LBB33_10:
	s_load_dword s0, s[4:5], 0x48
	s_load_dwordx2 s[36:37], s[4:5], 0x28
	s_load_dword s25, s[4:5], 0x98
	s_load_dwordx4 s[20:23], s[4:5], 0x0
	s_load_dwordx2 s[26:27], s[4:5], 0x10
	s_mul_i32 s1, s7, s33
	s_waitcnt lgkmcnt(0)
	s_mul_i32 s34, s28, s0
	s_sub_i32 s1, s3, s1
	s_ashr_i32 s35, s34, 31
	s_xor_b32 s0, s11, s48
	s_add_i32 s3, s7, 1
	s_sub_i32 s10, s1, s33
	s_cmp_ge_u32 s1, s33
	s_cselect_b32 s3, s3, s7
	s_cselect_b32 s1, s10, s1
	s_add_i32 s7, s3, 1
	s_cmp_ge_u32 s1, s33
	s_cselect_b32 s1, s7, s3
	s_xor_b32 s1, s1, s0
	s_sub_i32 s16, s1, s0
	s_add_i32 s0, s29, 15
	s_ashr_i32 s1, s0, 31
	s_lshr_b32 s1, s1, 28
	s_add_i32 s0, s0, s1
	s_lshl_b32 s12, s8, 5
	s_ashr_i32 s7, s0, 4
	s_add_i32 s0, s12, 32
	v_lshrrev_b32_e32 v11, 6, v0
	s_min_i32 s49, s0, s7
	v_or_b32_e32 v46, s12, v11
	v_cmp_gt_i32_e64 s[0:1], s49, v46
	v_mov_b32_e32 v9, 0xff7fffff
	s_mul_i32 s14, s2, s14
	v_ashrrev_i32_e32 v47, 31, v46
	v_lshl_add_u32 v52, v11, 4, s50
	v_mbcnt_lo_u32_b32 v4, -1, 0
	s_and_saveexec_b64 s[40:41], s[0:1]
	s_cbranch_execz .LBB33_20
; %bb.11:
	s_load_dwordx2 s[2:3], s[4:5], 0x20
	s_ashr_i32 s15, s14, 31
	s_sub_i32 s19, s16, s17
	s_lshl_b64 s[4:5], s[14:15], 2
	v_bfe_u32 v5, v0, 2, 4
	s_waitcnt lgkmcnt(0)
	s_add_u32 s2, s2, s4
	s_addc_u32 s3, s3, s5
	s_abs_i32 s15, s18
	v_cvt_f32_u32_e32 v6, s15
	v_lshlrev_b32_e32 v2, 4, v5
	v_mov_b32_e32 v3, s3
	v_add_co_u32_e64 v2, s[2:3], s2, v2
	v_rcp_iflag_f32_e32 v8, v6
	v_addc_co_u32_e64 v3, s[2:3], 0, v3, s[2:3]
	v_lshlrev_b32_e32 v7, 2, v51
	v_add_co_u32_e64 v6, s[2:3], v2, v7
	v_mul_f32_e32 v2, 0x4f7ffffe, v8
	v_cvt_u32_f32_e32 v2, v2
	s_sub_i32 s4, 0, s15
	v_lshlrev_b32_e32 v9, 2, v5
	v_addc_co_u32_e64 v7, s[2:3], 0, v3, s[2:3]
	v_mul_lo_u32 v3, s4, v2
	s_lshl_b64 s[4:5], s[34:35], 2
	v_mul_hi_u32 v3, v2, v3
	s_add_u32 s4, s30, s4
	v_lshl_or_b32 v9, v11, 6, v9
	v_add_u32_e32 v12, v2, v3
	v_lshlrev_b64 v[2:3], 2, v[46:47]
	s_addc_u32 s5, s31, s5
	v_add_u32_e32 v14, 0x210, v9
	v_subrev_u32_e32 v9, s29, v5
	v_mbcnt_hi_u32_b32 v17, -1, v4
	v_mov_b32_e32 v13, s5
	v_add_co_u32_e64 v2, s[4:5], s4, v2
	v_add_u32_e32 v15, 1, v9
	v_and_b32_e32 v9, 64, v17
	v_cmp_eq_u32_e32 vcc, 0, v51
	s_mov_b32 s38, s13
	v_lshlrev_b32_e32 v8, 7, v51
	v_cmp_neq_f32_e64 s[2:3], s51, 0
	v_addc_co_u32_e64 v3, s[4:5], v13, v3, s[4:5]
	v_lshl_add_u32 v13, v11, 4, s50
	s_mov_b64 s[42:43], 0
	v_mov_b32_e32 v16, 0xff7fffff
	s_movk_i32 s52, 0x1000
	v_add_u32_e32 v18, 64, v9
	v_xor_b32_e32 v19, 2, v17
	v_xor_b32_e32 v20, 1, v17
	v_mov_b32_e32 v9, 0xff7fffff
	v_mov_b32_e32 v21, v46
	s_branch .LBB33_14
.LBB33_12:                              ;   in Loop: Header=BB33_14 Depth=1
	s_or_b64 exec, exec, s[44:45]
.LBB33_13:                              ;   in Loop: Header=BB33_14 Depth=1
	s_or_b64 exec, exec, s[10:11]
	v_add_co_u32_e64 v2, s[4:5], 8, v2
	v_add_u32_e32 v21, 2, v21
	v_addc_co_u32_e64 v3, s[4:5], 0, v3, s[4:5]
	v_cmp_le_i32_e64 s[4:5], s49, v21
	v_add_u32_e32 v13, 32, v13
	s_or_b64 s[42:43], s[4:5], s[42:43]
	v_add_u32_e32 v14, 0x80, v14
	s_andn2_b64 exec, exec, s[42:43]
	s_cbranch_execz .LBB33_19
.LBB33_14:                              ; =>This Inner Loop Header: Depth=1
	s_waitcnt lgkmcnt(0)
	v_sub_u32_e32 v23, 0, v13
	v_max_i32_e32 v23, v13, v23
	v_mul_hi_u32 v24, v23, s46
	v_mul_lo_u32 v25, v24, s33
	v_sub_u32_e32 v23, v23, v25
	v_add_u32_e32 v25, 1, v24
	v_cmp_le_u32_e64 s[4:5], s33, v23
	v_cndmask_b32_e64 v24, v24, v25, s[4:5]
	v_subrev_u32_e32 v25, s33, v23
	v_cndmask_b32_e64 v23, v23, v25, s[4:5]
	v_ashrrev_i32_e32 v22, 31, v13
	v_add_u32_e32 v25, 1, v24
	v_cmp_le_u32_e64 s[4:5], s33, v23
	v_xor_b32_e32 v22, s48, v22
	v_cndmask_b32_e64 v23, v24, v25, s[4:5]
	v_xor_b32_e32 v23, v23, v22
	v_sub_u32_e32 v22, v23, v22
	v_add_u32_e32 v23, s47, v22
	v_sub_u32_e32 v25, 0, v23
	v_ashrrev_i32_e32 v24, 31, v23
	v_max_i32_e32 v23, v23, v25
	v_mul_hi_u32 v25, v23, v12
	v_mul_lo_u32 v25, v25, s15
	v_sub_u32_e32 v23, v23, v25
	v_subrev_u32_e32 v25, s15, v23
	v_cmp_le_u32_e64 s[4:5], s15, v23
	v_cndmask_b32_e64 v23, v23, v25, s[4:5]
	v_subrev_u32_e32 v25, s15, v23
	v_cmp_le_u32_e64 s[4:5], s15, v23
	v_cndmask_b32_e64 v23, v23, v25, s[4:5]
	v_xor_b32_e32 v23, v23, v24
	v_sub_u32_e32 v23, v23, v24
	v_cmp_ne_u32_e64 s[4:5], 0, v23
	v_cmp_ge_i32_e64 s[10:11], s19, v22
	s_and_b64 s[4:5], s[4:5], s[10:11]
	s_and_b64 s[44:45], vcc, s[4:5]
	s_and_saveexec_b64 s[10:11], s[44:45]
	s_cbranch_execz .LBB33_16
; %bb.15:                               ;   in Loop: Header=BB33_14 Depth=1
	ds_write_b32 v14, v16
.LBB33_16:                              ;   in Loop: Header=BB33_14 Depth=1
	s_or_b64 exec, exec, s[10:11]
	s_xor_b64 s[4:5], s[4:5], -1
	s_and_saveexec_b64 s[10:11], s[4:5]
	s_cbranch_execz .LBB33_13
; %bb.17:                               ;   in Loop: Header=BB33_14 Depth=1
	global_load_dword v22, v[2:3], off
	s_waitcnt vmcnt(0)
	v_mad_i64_i32 v[22:23], s[4:5], v22, s38, 0
	v_lshlrev_b64 v[22:23], 2, v[22:23]
	v_add_co_u32_e64 v22, s[4:5], v6, v22
	v_addc_co_u32_e64 v23, s[4:5], v7, v23, s[4:5]
	global_load_dword v48, v[22:23], off offset:512
	global_load_dword v49, v[22:23], off offset:768
	global_load_dword v53, v[22:23], off offset:1024
	global_load_dword v62, v[22:23], off offset:1280
	global_load_dword v63, v[22:23], off offset:1536
	global_load_dword v64, v[22:23], off offset:1792
	global_load_dword v65, v[22:23], off offset:256
	global_load_dword v66, v[22:23], off
	global_load_dword v67, v[22:23], off offset:2048
	global_load_dword v68, v[22:23], off offset:2304
	;; [unrolled: 1-line block ×8, first 2 shown]
	v_add_co_u32_e64 v22, s[4:5], s52, v22
	v_addc_co_u32_e64 v23, s[4:5], 0, v23, s[4:5]
	global_load_dword v75, v[22:23], off
	global_load_dword v76, v[22:23], off offset:256
	global_load_dword v77, v[22:23], off offset:512
	;; [unrolled: 1-line block ×15, first 2 shown]
	ds_read_b128 v[22:25], v8
	ds_read_b128 v[26:29], v8 offset:16
	ds_read_b128 v[30:33], v8 offset:32
	;; [unrolled: 1-line block ×7, first 2 shown]
	v_cmp_lt_i32_e64 s[4:5], v19, v18
	v_cndmask_b32_e64 v91, v17, v19, s[4:5]
	v_cmp_lt_i32_e64 s[4:5], v20, v18
	s_waitcnt vmcnt(25) lgkmcnt(7)
	v_mul_f32_e32 v23, v23, v65
	s_waitcnt vmcnt(24)
	v_fmac_f32_e32 v23, v22, v66
	v_fmac_f32_e32 v23, v24, v48
	;; [unrolled: 1-line block ×3, first 2 shown]
	s_waitcnt lgkmcnt(6)
	v_fmac_f32_e32 v23, v26, v53
	v_fmac_f32_e32 v23, v27, v62
	;; [unrolled: 1-line block ×4, first 2 shown]
	s_waitcnt vmcnt(23) lgkmcnt(5)
	v_fmac_f32_e32 v23, v30, v67
	s_waitcnt vmcnt(22)
	v_fmac_f32_e32 v23, v31, v68
	s_waitcnt vmcnt(21)
	v_fmac_f32_e32 v23, v32, v69
	s_waitcnt vmcnt(20)
	v_fmac_f32_e32 v23, v33, v70
	s_waitcnt vmcnt(19) lgkmcnt(4)
	v_fmac_f32_e32 v23, v34, v71
	s_waitcnt vmcnt(18)
	v_fmac_f32_e32 v23, v35, v72
	s_waitcnt vmcnt(17)
	v_fmac_f32_e32 v23, v36, v73
	s_waitcnt vmcnt(16)
	v_fmac_f32_e32 v23, v37, v74
	;; [unrolled: 8-line block ×5, first 2 shown]
	s_waitcnt vmcnt(3) lgkmcnt(0)
	v_fmac_f32_e32 v23, v58, v87
	s_waitcnt vmcnt(2)
	v_fmac_f32_e32 v23, v59, v88
	s_waitcnt vmcnt(1)
	v_fmac_f32_e32 v23, v60, v89
	v_lshlrev_b32_e32 v22, 2, v91
	s_waitcnt vmcnt(0)
	v_fmac_f32_e32 v23, v61, v90
	ds_bpermute_b32 v22, v22, v23
	v_cndmask_b32_e64 v24, v17, v20, s[4:5]
	v_lshlrev_b32_e32 v24, 2, v24
	s_waitcnt lgkmcnt(0)
	v_add_f32_e32 v22, v23, v22
	ds_bpermute_b32 v23, v24, v22
	s_and_saveexec_b64 s[44:45], vcc
	s_cbranch_execz .LBB33_12
; %bb.18:                               ;   in Loop: Header=BB33_14 Depth=1
	v_add_u32_e32 v24, v15, v13
	v_cvt_f32_i32_e32 v24, v24
	s_waitcnt lgkmcnt(0)
	v_add_f32_e32 v22, v22, v23
	v_add_u32_e32 v25, v5, v13
	v_cmp_gt_i32_e64 s[4:5], s29, v25
	v_mul_f32_e32 v23, s51, v24
	v_cndmask_b32_e64 v23, 0, v23, s[2:3]
	v_fmac_f32_e32 v23, s39, v22
	v_cndmask_b32_e64 v22, 0, v23, s[4:5]
	ds_write_b32 v14, v22
	v_max_f32_e32 v22, v9, v9
	v_max_f32_e32 v22, v22, v23
	v_cndmask_b32_e64 v9, v9, v22, s[4:5]
	s_branch .LBB33_12
.LBB33_19:
	s_or_b64 exec, exec, s[42:43]
.LBB33_20:
	s_or_b64 exec, exec, s[40:41]
	v_mbcnt_hi_u32_b32 v2, -1, v4
	v_and_b32_e32 v3, 64, v2
	v_add_u32_e32 v3, 64, v3
	v_xor_b32_e32 v4, 32, v2
	v_cmp_lt_i32_e32 vcc, v4, v3
	v_cndmask_b32_e32 v4, v2, v4, vcc
	v_lshlrev_b32_e32 v5, 2, v4
	ds_bpermute_b32 v4, v5, v9
	v_xor_b32_e32 v7, 16, v2
	v_max_f32_e32 v6, v9, v9
	v_cmp_lt_i32_e32 vcc, v7, v3
	v_xor_b32_e32 v8, 8, v2
	s_waitcnt lgkmcnt(0)
	v_max_f32_e32 v4, v4, v4
	v_max_f32_e32 v4, v6, v4
	v_cndmask_b32_e32 v6, v2, v7, vcc
	v_lshlrev_b32_e32 v6, 2, v6
	ds_bpermute_b32 v7, v6, v4
	v_cmp_lt_i32_e32 vcc, v8, v3
	v_and_b32_e32 v53, 63, v0
	s_waitcnt lgkmcnt(0)
	v_max_f32_e32 v7, v7, v7
	v_max_f32_e32 v4, v4, v7
	v_cndmask_b32_e32 v7, v2, v8, vcc
	v_lshlrev_b32_e32 v9, 2, v7
	ds_bpermute_b32 v7, v9, v4
	v_xor_b32_e32 v8, 4, v2
	v_cmp_lt_i32_e32 vcc, v8, v3
	s_waitcnt lgkmcnt(0)
	v_max_f32_e32 v7, v7, v7
	v_max_f32_e32 v4, v4, v7
	v_cndmask_b32_e32 v7, v2, v8, vcc
	v_lshlrev_b32_e32 v12, 2, v7
	ds_bpermute_b32 v8, v12, v4
	v_cmp_eq_u32_e32 vcc, 0, v53
	v_lshlrev_b32_e32 v7, 2, v11
	s_and_saveexec_b64 s[2:3], vcc
	s_cbranch_execz .LBB33_22
; %bb.21:
	s_waitcnt lgkmcnt(0)
	v_max_f32_e32 v8, v8, v8
	v_max_f32_e32 v4, v4, v4
	;; [unrolled: 1-line block ×3, first 2 shown]
	ds_write_b32 v7, v4 offset:512
.LBB33_22:
	s_or_b64 exec, exec, s[2:3]
	v_cmp_gt_u32_e64 s[2:3], 2, v53
	v_mov_b32_e32 v4, 0xff7fffff
	s_waitcnt lgkmcnt(0)
	v_lshlrev_b32_e32 v8, 2, v53
	s_barrier
	s_and_saveexec_b64 s[4:5], s[2:3]
	s_cbranch_execz .LBB33_24
; %bb.23:
	ds_read_b32 v4, v8 offset:512
.LBB33_24:
	s_or_b64 exec, exec, s[4:5]
	v_xor_b32_e32 v13, 1, v2
	v_cmp_lt_i32_e64 s[4:5], v13, v3
	v_cndmask_b32_e64 v13, v2, v13, s[4:5]
	v_lshlrev_b32_e32 v54, 2, v13
	s_waitcnt lgkmcnt(0)
	ds_bpermute_b32 v13, v54, v4
	v_max_f32_e32 v4, v4, v4
	s_sub_i32 s4, s49, s12
	s_lshl_b32 s4, s4, 4
	s_add_i32 s4, s4, s50
	s_waitcnt lgkmcnt(0)
	v_max_f32_e32 v13, v13, v13
	v_max_f32_e32 v4, v4, v13
	v_lshlrev_b32_e32 v13, 2, v2
	v_and_b32_e32 v13, 0x100, v13
	ds_bpermute_b32 v4, v13, v4
	s_min_i32 s15, s4, s29
	s_sub_i32 s12, s15, s50
	v_cmp_gt_i32_e64 s[4:5], s12, v0
	v_mov_b32_e32 v14, 0
	s_and_saveexec_b64 s[38:39], s[4:5]
	s_cbranch_execz .LBB33_28
; %bb.25:
	v_mov_b32_e32 v14, 0x210
	v_lshl_add_u32 v15, v0, 2, v14
	s_mov_b64 s[40:41], 0
	v_mov_b32_e32 v14, 0
	v_mov_b32_e32 v16, v0
.LBB33_26:                              ; =>This Inner Loop Header: Depth=1
	ds_read_b32 v17, v15
	v_add_u32_e32 v16, 0x80, v16
	v_cmp_le_i32_e64 s[10:11], s12, v16
	s_or_b64 s[40:41], s[10:11], s[40:41]
	s_waitcnt lgkmcnt(0)
	v_sub_f32_e32 v17, v17, v4
	v_mul_f32_e32 v17, 0x3fb8aa3b, v17
	v_exp_f32_e32 v17, v17
	ds_write_b32 v15, v17
	v_add_f32_e32 v14, v14, v17
	v_add_u32_e32 v15, 0x200, v15
	s_andn2_b64 exec, exec, s[40:41]
	s_cbranch_execnz .LBB33_26
; %bb.27:
	s_or_b64 exec, exec, s[40:41]
.LBB33_28:
	s_or_b64 exec, exec, s[38:39]
	ds_bpermute_b32 v5, v5, v14
	s_waitcnt lgkmcnt(0)
	v_add_f32_e32 v5, v14, v5
	ds_bpermute_b32 v6, v6, v5
	s_waitcnt lgkmcnt(0)
	v_add_f32_e32 v5, v5, v6
	ds_bpermute_b32 v6, v9, v5
	v_xor_b32_e32 v9, 2, v2
	v_cmp_lt_i32_e64 s[10:11], v9, v3
	v_cndmask_b32_e64 v2, v2, v9, s[10:11]
	v_lshlrev_b32_e32 v55, 2, v2
	s_waitcnt lgkmcnt(0)
	v_add_f32_e32 v5, v5, v6
	ds_bpermute_b32 v6, v12, v5
	s_waitcnt lgkmcnt(0)
	v_add_f32_e32 v3, v5, v6
	ds_bpermute_b32 v2, v55, v3
	;; [unrolled: 3-line block ×3, first 2 shown]
	s_waitcnt lgkmcnt(0)
	v_add_f32_e32 v2, v2, v3
	s_and_saveexec_b64 s[10:11], vcc
	s_cbranch_execz .LBB33_30
; %bb.29:
	ds_write_b32 v7, v2 offset:520
.LBB33_30:
	s_or_b64 exec, exec, s[10:11]
	s_waitcnt lgkmcnt(0)
	s_barrier
	s_and_saveexec_b64 s[10:11], s[2:3]
	s_cbranch_execz .LBB33_32
; %bb.31:
	ds_read_b32 v2, v8 offset:520
.LBB33_32:
	s_or_b64 exec, exec, s[10:11]
	s_waitcnt lgkmcnt(0)
	ds_bpermute_b32 v3, v54, v2
	s_waitcnt lgkmcnt(0)
	v_add_f32_e32 v2, v2, v3
	ds_bpermute_b32 v5, v13, v2
	s_and_saveexec_b64 s[2:3], s[4:5]
	s_cbranch_execz .LBB33_45
; %bb.33:
	s_waitcnt lgkmcnt(0)
	v_add_f32_e32 v2, 0x358637bd, v5
	v_div_scale_f32 v3, s[4:5], v2, v2, 1.0
	v_rcp_f32_e32 v6, v3
	v_div_scale_f32 v7, vcc, 1.0, v2, 1.0
	s_movk_i32 s4, 0x7f
	v_fma_f32 v8, -v3, v6, 1.0
	v_fmac_f32_e32 v6, v8, v6
	v_mul_f32_e32 v8, v7, v6
	v_fma_f32 v9, -v3, v8, v7
	v_fmac_f32_e32 v8, v9, v6
	v_fma_f32 v3, -v3, v8, v7
	v_div_fmas_f32 v3, v3, v6, v8
	v_div_fixup_f32 v2, v3, v2, 1.0
	v_xad_u32 v3, v0, -1, s15
	v_subrev_u32_e32 v6, s50, v3
	v_cmp_lt_u32_e32 vcc, s4, v6
	s_mov_b64 s[10:11], -1
	v_mov_b32_e32 v3, v0
	s_and_saveexec_b64 s[4:5], vcc
	s_cbranch_execz .LBB33_42
; %bb.34:
	v_lshrrev_b32_e32 v6, 7, v6
	v_add_u32_e32 v8, -1, v6
	v_lshrrev_b32_e32 v7, 1, v8
	v_mov_b32_e32 v3, v2
	v_add_u32_e32 v7, 1, v7
	v_cmp_lt_u32_e32 vcc, 13, v8
	v_mov_b32_e32 v12, 0
	s_and_saveexec_b64 s[10:11], vcc
	s_cbranch_execz .LBB33_38
; %bb.35:
	v_mov_b32_e32 v9, 0x210
	v_and_b32_e32 v8, -8, v7
	v_lshl_add_u32 v9, v0, 2, v9
	s_mov_b32 s15, 0
	s_mov_b64 s[38:39], 0
.LBB33_36:                              ; =>This Inner Loop Header: Depth=1
	ds_read2st64_b32 v[12:13], v9 offset1:2
	ds_read2st64_b32 v[14:15], v9 offset0:4 offset1:6
	ds_read2st64_b32 v[16:17], v9 offset0:8 offset1:10
	;; [unrolled: 1-line block ×3, first 2 shown]
	v_add_u32_e32 v8, -8, v8
	s_waitcnt lgkmcnt(3)
	v_pk_mul_f32 v[12:13], v[2:3], v[12:13]
	s_waitcnt lgkmcnt(2)
	v_pk_mul_f32 v[14:15], v[2:3], v[14:15]
	ds_write2st64_b32 v9, v12, v13 offset1:2
	ds_write2st64_b32 v9, v14, v15 offset0:4 offset1:6
	ds_read2st64_b32 v[14:15], v9 offset0:16 offset1:18
	s_waitcnt lgkmcnt(4)
	v_pk_mul_f32 v[12:13], v[2:3], v[16:17]
	ds_write2st64_b32 v9, v12, v13 offset0:8 offset1:10
	s_waitcnt lgkmcnt(4)
	v_pk_mul_f32 v[12:13], v[2:3], v[18:19]
	ds_write2st64_b32 v9, v12, v13 offset0:12 offset1:14
	ds_read2st64_b32 v[12:13], v9 offset0:20 offset1:22
	s_waitcnt lgkmcnt(3)
	v_pk_mul_f32 v[14:15], v[2:3], v[14:15]
	ds_read2st64_b32 v[16:17], v9 offset0:24 offset1:26
	ds_write2st64_b32 v9, v14, v15 offset0:16 offset1:18
	ds_read2st64_b32 v[14:15], v9 offset0:28 offset1:30
	s_waitcnt lgkmcnt(3)
	v_pk_mul_f32 v[12:13], v[2:3], v[12:13]
	ds_write2st64_b32 v9, v12, v13 offset0:20 offset1:22
	s_waitcnt lgkmcnt(3)
	v_pk_mul_f32 v[12:13], v[2:3], v[16:17]
	ds_write2st64_b32 v9, v12, v13 offset0:24 offset1:26
	s_waitcnt lgkmcnt(2)
	v_pk_mul_f32 v[12:13], v[2:3], v[14:15]
	s_add_i32 s15, s15, 16
	v_cmp_eq_u32_e32 vcc, 0, v8
	ds_write2st64_b32 v9, v12, v13 offset0:28 offset1:30
	v_add_u32_e32 v9, 0x2000, v9
	s_or_b64 s[38:39], vcc, s[38:39]
	v_mov_b32_e32 v12, s15
	s_andn2_b64 exec, exec, s[38:39]
	s_cbranch_execnz .LBB33_36
; %bb.37:
	s_or_b64 exec, exec, s[38:39]
.LBB33_38:
	s_or_b64 exec, exec, s[10:11]
	v_and_b32_e32 v7, 7, v7
	v_cmp_ne_u32_e32 vcc, 0, v7
	s_and_saveexec_b64 s[10:11], vcc
	s_cbranch_execz .LBB33_41
; %bb.39:
	v_lshlrev_b32_e32 v8, 9, v12
	s_movk_i32 s15, 0x210
	v_add3_u32 v8, v8, v10, s15
	s_mov_b64 s[38:39], 0
.LBB33_40:                              ; =>This Inner Loop Header: Depth=1
	ds_read2st64_b32 v[12:13], v8 offset1:2
	v_add_u32_e32 v7, -1, v7
	v_cmp_eq_u32_e32 vcc, 0, v7
	s_or_b64 s[38:39], vcc, s[38:39]
	s_waitcnt lgkmcnt(0)
	v_pk_mul_f32 v[12:13], v[2:3], v[12:13]
	ds_write2st64_b32 v8, v12, v13 offset1:2
	v_add_u32_e32 v8, 0x400, v8
	s_andn2_b64 exec, exec, s[38:39]
	s_cbranch_execnz .LBB33_40
.LBB33_41:
	s_or_b64 exec, exec, s[10:11]
	v_add_u32_e32 v6, 1, v6
	v_and_b32_e32 v7, 0x3fffffe, v6
	v_cmp_ne_u32_e32 vcc, v6, v7
	v_lshl_add_u32 v3, v7, 7, v0
	s_orn2_b64 s[10:11], vcc, exec
.LBB33_42:
	s_or_b64 exec, exec, s[4:5]
	s_and_b64 exec, exec, s[10:11]
	s_cbranch_execz .LBB33_45
; %bb.43:
	v_mov_b32_e32 v6, 0x210
	v_lshl_add_u32 v6, v3, 2, v6
	s_mov_b64 s[4:5], 0
.LBB33_44:                              ; =>This Inner Loop Header: Depth=1
	ds_read_b32 v7, v6
	v_add_u32_e32 v3, 0x80, v3
	v_cmp_le_i32_e32 vcc, s12, v3
	s_or_b64 s[4:5], vcc, s[4:5]
	s_waitcnt lgkmcnt(0)
	v_mul_f32_e32 v7, v2, v7
	ds_write_b32 v6, v7
	v_add_u32_e32 v6, 0x200, v6
	s_andn2_b64 exec, exec, s[4:5]
	s_cbranch_execnz .LBB33_44
.LBB33_45:
	s_or_b64 exec, exec, s[2:3]
	s_mul_i32 s2, s25, s28
	v_cmp_eq_u32_e32 vcc, 0, v0
	s_mul_i32 s2, s2, s9
	s_waitcnt lgkmcnt(0)
	s_barrier
	s_and_saveexec_b64 s[4:5], vcc
	s_cbranch_execz .LBB33_47
; %bb.46:
	s_ashr_i32 s3, s2, 31
	s_lshl_b64 s[10:11], s[2:3], 2
	s_add_u32 s3, s22, s10
	s_mul_i32 s22, s25, s6
	s_addc_u32 s9, s23, s11
	s_ashr_i32 s23, s22, 31
	s_lshl_b64 s[22:23], s[22:23], 2
	s_add_u32 s3, s3, s22
	s_addc_u32 s6, s9, s23
	s_ashr_i32 s9, s8, 31
	s_lshl_b64 s[38:39], s[8:9], 2
	s_add_u32 s40, s3, s38
	s_addc_u32 s41, s6, s39
	s_add_u32 s3, s20, s10
	s_addc_u32 s6, s21, s11
	;; [unrolled: 2-line block ×3, first 2 shown]
	s_add_u32 s10, s3, s38
	v_mov_b32_e32 v2, 0
	s_addc_u32 s11, s6, s39
	global_store_dword v2, v4, s[40:41]
	global_store_dword v2, v5, s[10:11]
.LBB33_47:
	s_or_b64 exec, exec, s[4:5]
	s_mov_b32 s12, 0
	v_mov_b32_e32 v9, 0
	v_mov_b32_e32 v8, 0
	;; [unrolled: 1-line block ×8, first 2 shown]
	s_and_saveexec_b64 s[4:5], s[0:1]
	s_cbranch_execz .LBB33_69
; %bb.48:
	s_ashr_i32 s15, s14, 31
	s_sub_i32 s3, s16, s17
	s_lshl_b64 s[0:1], s[14:15], 2
	s_add_u32 s9, s36, s0
	s_addc_u32 s20, s37, s1
	s_abs_i32 s21, s18
	v_cvt_f32_u32_e32 v2, s21
	s_sub_i32 s0, 0, s21
	s_add_i32 s23, s7, -1
	v_and_b32_e32 v56, 12, v10
	v_rcp_iflag_f32_e32 v2, v2
	s_mov_b32 s22, s13
	v_and_b32_e32 v10, 0xfc, v10
	s_mov_b32 s13, s12
	v_mul_f32_e32 v2, 0x4f7ffffe, v2
	v_cvt_u32_f32_e32 v2, v2
	v_or_b32_e32 v12, 0x400, v10
	v_or_b32_e32 v14, 0x500, v10
	;; [unrolled: 1-line block ×3, first 2 shown]
	v_mul_lo_u32 v3, s0, v2
	v_mul_hi_u32 v3, v2, v3
	s_lshl_b64 s[0:1], s[34:35], 2
	v_add_u32_e32 v57, v2, v3
	v_lshlrev_b64 v[2:3], 2, v[46:47]
	s_add_u32 s0, s30, s0
	s_addc_u32 s1, s31, s1
	v_add_co_u32_e32 v48, vcc, s0, v2
	v_lshlrev_b32_e32 v2, 4, v51
	v_mov_b32_e32 v4, s1
	v_lshl_or_b32 v2, v11, 6, v2
	v_or_b32_e32 v18, 0x700, v10
	v_addc_co_u32_e32 v49, vcc, v4, v3, vcc
	v_add_u32_e32 v47, 0x210, v2
	s_mov_b32 s14, s12
	s_mov_b32 s15, s12
	;; [unrolled: 1-line block ×6, first 2 shown]
	v_pk_mov_b32 v[2:3], s[12:13], s[12:13] op_sel:[0,1]
	s_mov_b64 s[6:7], 0
	v_pk_mov_b32 v[4:5], s[14:15], s[14:15] op_sel:[0,1]
	v_pk_mov_b32 v[6:7], s[16:17], s[16:17] op_sel:[0,1]
	v_pk_mov_b32 v[8:9], s[18:19], s[18:19] op_sel:[0,1]
	v_lshlrev_b32_e32 v58, 2, v10
	v_lshlrev_b32_e32 v59, 2, v12
	;; [unrolled: 1-line block ×5, first 2 shown]
	s_branch .LBB33_51
.LBB33_49:                              ;   in Loop: Header=BB33_51 Depth=1
	s_or_b64 exec, exec, s[0:1]
	s_waitcnt vmcnt(7) lgkmcnt(0)
	v_mul_f32_e32 v15, v11, v15
	v_fmac_f32_e32 v15, v10, v14
	s_waitcnt vmcnt(6)
	v_mul_f32_e32 v14, v11, v19
	v_fmac_f32_e32 v14, v10, v18
	v_fmac_f32_e32 v14, v12, v20
	v_fmac_f32_e32 v14, v13, v21
	v_add_f32_e32 v3, v3, v14
	s_waitcnt vmcnt(5)
	v_mul_f32_e32 v14, v11, v23
	v_fmac_f32_e32 v14, v10, v22
	v_fmac_f32_e32 v14, v12, v24
	v_fmac_f32_e32 v14, v13, v25
	v_add_f32_e32 v4, v4, v14
	;; [unrolled: 6-line block ×5, first 2 shown]
	s_waitcnt vmcnt(1)
	v_mul_f32_e32 v14, v11, v39
	s_waitcnt vmcnt(0)
	v_mul_f32_e32 v11, v11, v43
	v_fmac_f32_e32 v14, v10, v38
	v_fmac_f32_e32 v11, v10, v42
	v_fmac_f32_e32 v15, v12, v16
	v_fmac_f32_e32 v14, v12, v40
	v_fmac_f32_e32 v11, v12, v44
	v_fmac_f32_e32 v15, v13, v17
	v_fmac_f32_e32 v14, v13, v41
	v_fmac_f32_e32 v11, v13, v45
	v_add_f32_e32 v2, v2, v15
	v_add_f32_e32 v8, v8, v14
	;; [unrolled: 1-line block ×3, first 2 shown]
.LBB33_50:                              ;   in Loop: Header=BB33_51 Depth=1
	s_or_b64 exec, exec, s[10:11]
	v_add_co_u32_e32 v48, vcc, 8, v48
	v_add_u32_e32 v46, 2, v46
	v_addc_co_u32_e32 v49, vcc, 0, v49, vcc
	v_cmp_le_i32_e32 vcc, s49, v46
	v_add_u32_e32 v52, 32, v52
	s_or_b64 s[6:7], vcc, s[6:7]
	v_add_u32_e32 v47, 0x80, v47
	s_andn2_b64 exec, exec, s[6:7]
	s_cbranch_execz .LBB33_68
.LBB33_51:                              ; =>This Inner Loop Header: Depth=1
	v_sub_u32_e32 v11, 0, v52
	v_max_i32_e32 v11, v52, v11
	v_mul_hi_u32 v12, v11, s46
	v_mul_lo_u32 v13, v12, s33
	v_sub_u32_e32 v11, v11, v13
	v_add_u32_e32 v13, 1, v12
	v_cmp_le_u32_e32 vcc, s33, v11
	v_cndmask_b32_e32 v12, v12, v13, vcc
	v_subrev_u32_e32 v13, s33, v11
	v_cndmask_b32_e32 v11, v11, v13, vcc
	v_ashrrev_i32_e32 v10, 31, v52
	v_add_u32_e32 v13, 1, v12
	v_cmp_le_u32_e32 vcc, s33, v11
	v_xor_b32_e32 v10, s48, v10
	v_cndmask_b32_e32 v11, v12, v13, vcc
	v_xor_b32_e32 v11, v11, v10
	v_sub_u32_e32 v10, v11, v10
	v_add_u32_e32 v11, s47, v10
	v_sub_u32_e32 v13, 0, v11
	v_ashrrev_i32_e32 v12, 31, v11
	v_max_i32_e32 v11, v11, v13
	v_mul_hi_u32 v13, v11, v57
	v_mul_lo_u32 v13, v13, s21
	v_sub_u32_e32 v11, v11, v13
	v_subrev_u32_e32 v13, s21, v11
	v_cmp_le_u32_e32 vcc, s21, v11
	v_cndmask_b32_e32 v11, v11, v13, vcc
	v_subrev_u32_e32 v13, s21, v11
	v_cmp_le_u32_e32 vcc, s21, v11
	v_cndmask_b32_e32 v11, v11, v13, vcc
	v_xor_b32_e32 v11, v11, v12
	v_sub_u32_e32 v11, v11, v12
	v_cmp_eq_u32_e32 vcc, 0, v11
	v_cmp_lt_i32_e64 s[0:1], s3, v10
	s_or_b64 s[0:1], vcc, s[0:1]
	s_and_saveexec_b64 s[10:11], s[0:1]
	s_cbranch_execz .LBB33_50
; %bb.52:                               ;   in Loop: Header=BB33_51 Depth=1
	global_load_dword v10, v[48:49], off
	v_mov_b32_e32 v12, s20
	v_add_u32_e32 v63, v56, v52
	v_add_u32_e32 v66, 1, v63
	;; [unrolled: 1-line block ×4, first 2 shown]
	s_waitcnt vmcnt(0)
	v_mad_i64_i32 v[10:11], s[0:1], v10, s22, 0
	v_lshlrev_b64 v[10:11], 2, v[10:11]
	v_add_co_u32_e32 v42, vcc, s9, v10
	v_addc_co_u32_e32 v43, vcc, v12, v11, vcc
	v_add_co_u32_e32 v26, vcc, v42, v58
	v_addc_co_u32_e32 v27, vcc, 0, v43, vcc
	global_load_dwordx4 v[14:17], v[26:27], off
	ds_read_b128 v[10:13], v47
	v_cmp_eq_u32_e32 vcc, s23, v46
	s_and_saveexec_b64 s[12:13], vcc
	s_cbranch_execnz .LBB33_65
; %bb.53:                               ;   in Loop: Header=BB33_51 Depth=1
	s_or_b64 exec, exec, s[12:13]
	global_load_dwordx4 v[18:21], v[26:27], off offset:1024
	s_and_saveexec_b64 s[12:13], vcc
	s_cbranch_execnz .LBB33_66
.LBB33_54:                              ;   in Loop: Header=BB33_51 Depth=1
	s_or_b64 exec, exec, s[12:13]
	global_load_dwordx4 v[22:25], v[26:27], off offset:2048
	s_and_saveexec_b64 s[12:13], vcc
	s_cbranch_execnz .LBB33_67
.LBB33_55:                              ;   in Loop: Header=BB33_51 Depth=1
	s_or_b64 exec, exec, s[12:13]
	global_load_dwordx4 v[26:29], v[26:27], off offset:3072
	s_and_saveexec_b64 s[12:13], vcc
	s_cbranch_execz .LBB33_57
.LBB33_56:                              ;   in Loop: Header=BB33_51 Depth=1
	v_cmp_gt_i32_e64 s[0:1], s29, v63
	s_waitcnt vmcnt(0)
	v_cndmask_b32_e64 v26, 0, v26, s[0:1]
	v_cmp_gt_i32_e64 s[0:1], s29, v66
	v_cndmask_b32_e64 v27, 0, v27, s[0:1]
	v_cmp_gt_i32_e64 s[0:1], s29, v65
	;; [unrolled: 2-line block ×3, first 2 shown]
	v_cndmask_b32_e64 v29, 0, v29, s[0:1]
.LBB33_57:                              ;   in Loop: Header=BB33_51 Depth=1
	s_or_b64 exec, exec, s[12:13]
	v_add_co_u32_e64 v30, s[0:1], v42, v59
	v_addc_co_u32_e64 v31, s[0:1], 0, v43, s[0:1]
	global_load_dwordx4 v[30:33], v[30:31], off
	s_and_saveexec_b64 s[12:13], vcc
	s_cbranch_execz .LBB33_59
; %bb.58:                               ;   in Loop: Header=BB33_51 Depth=1
	v_cmp_gt_i32_e64 s[0:1], s29, v63
	s_waitcnt vmcnt(0)
	v_cndmask_b32_e64 v30, 0, v30, s[0:1]
	v_cmp_gt_i32_e64 s[0:1], s29, v66
	v_cndmask_b32_e64 v31, 0, v31, s[0:1]
	v_cmp_gt_i32_e64 s[0:1], s29, v65
	v_cndmask_b32_e64 v32, 0, v32, s[0:1]
	v_cmp_gt_i32_e64 s[0:1], s29, v64
	v_cndmask_b32_e64 v33, 0, v33, s[0:1]
.LBB33_59:                              ;   in Loop: Header=BB33_51 Depth=1
	s_or_b64 exec, exec, s[12:13]
	v_add_co_u32_e64 v34, s[0:1], v42, v60
	v_addc_co_u32_e64 v35, s[0:1], 0, v43, s[0:1]
	global_load_dwordx4 v[34:37], v[34:35], off
	s_and_saveexec_b64 s[12:13], vcc
	s_cbranch_execz .LBB33_61
; %bb.60:                               ;   in Loop: Header=BB33_51 Depth=1
	v_cmp_gt_i32_e64 s[0:1], s29, v63
	s_waitcnt vmcnt(0)
	v_cndmask_b32_e64 v34, 0, v34, s[0:1]
	v_cmp_gt_i32_e64 s[0:1], s29, v66
	v_cndmask_b32_e64 v35, 0, v35, s[0:1]
	v_cmp_gt_i32_e64 s[0:1], s29, v65
	v_cndmask_b32_e64 v36, 0, v36, s[0:1]
	v_cmp_gt_i32_e64 s[0:1], s29, v64
	v_cndmask_b32_e64 v37, 0, v37, s[0:1]
.LBB33_61:                              ;   in Loop: Header=BB33_51 Depth=1
	;; [unrolled: 17-line block ×3, first 2 shown]
	s_or_b64 exec, exec, s[12:13]
	v_add_co_u32_e64 v42, s[0:1], v42, v62
	v_addc_co_u32_e64 v43, s[0:1], 0, v43, s[0:1]
	global_load_dwordx4 v[42:45], v[42:43], off
	s_and_saveexec_b64 s[0:1], vcc
	s_cbranch_execz .LBB33_49
; %bb.64:                               ;   in Loop: Header=BB33_51 Depth=1
	v_cmp_gt_i32_e32 vcc, s29, v63
	s_waitcnt vmcnt(0)
	v_cndmask_b32_e32 v42, 0, v42, vcc
	v_cmp_gt_i32_e32 vcc, s29, v66
	v_cndmask_b32_e32 v43, 0, v43, vcc
	v_cmp_gt_i32_e32 vcc, s29, v65
	;; [unrolled: 2-line block ×3, first 2 shown]
	v_cndmask_b32_e32 v45, 0, v45, vcc
	s_branch .LBB33_49
.LBB33_65:                              ;   in Loop: Header=BB33_51 Depth=1
	v_cmp_gt_i32_e64 s[0:1], s29, v63
	s_waitcnt vmcnt(0)
	v_cndmask_b32_e64 v14, 0, v14, s[0:1]
	v_cmp_gt_i32_e64 s[0:1], s29, v66
	v_cndmask_b32_e64 v15, 0, v15, s[0:1]
	v_cmp_gt_i32_e64 s[0:1], s29, v65
	;; [unrolled: 2-line block ×3, first 2 shown]
	v_cndmask_b32_e64 v17, 0, v17, s[0:1]
	s_or_b64 exec, exec, s[12:13]
	global_load_dwordx4 v[18:21], v[26:27], off offset:1024
	s_and_saveexec_b64 s[12:13], vcc
	s_cbranch_execz .LBB33_54
.LBB33_66:                              ;   in Loop: Header=BB33_51 Depth=1
	v_cmp_gt_i32_e64 s[0:1], s29, v63
	s_waitcnt vmcnt(0)
	v_cndmask_b32_e64 v18, 0, v18, s[0:1]
	v_cmp_gt_i32_e64 s[0:1], s29, v66
	v_cndmask_b32_e64 v19, 0, v19, s[0:1]
	v_cmp_gt_i32_e64 s[0:1], s29, v65
	;; [unrolled: 2-line block ×3, first 2 shown]
	v_cndmask_b32_e64 v21, 0, v21, s[0:1]
	s_or_b64 exec, exec, s[12:13]
	global_load_dwordx4 v[22:25], v[26:27], off offset:2048
	s_and_saveexec_b64 s[12:13], vcc
	s_cbranch_execz .LBB33_55
.LBB33_67:                              ;   in Loop: Header=BB33_51 Depth=1
	v_cmp_gt_i32_e64 s[0:1], s29, v63
	s_waitcnt vmcnt(0)
	v_cndmask_b32_e64 v22, 0, v22, s[0:1]
	v_cmp_gt_i32_e64 s[0:1], s29, v66
	v_cndmask_b32_e64 v23, 0, v23, s[0:1]
	v_cmp_gt_i32_e64 s[0:1], s29, v65
	;; [unrolled: 2-line block ×3, first 2 shown]
	v_cndmask_b32_e64 v25, 0, v25, s[0:1]
	s_or_b64 exec, exec, s[12:13]
	global_load_dwordx4 v[26:29], v[26:27], off offset:3072
	s_and_saveexec_b64 s[12:13], vcc
	s_cbranch_execnz .LBB33_56
	s_branch .LBB33_57
.LBB33_68:
	s_or_b64 exec, exec, s[6:7]
.LBB33_69:
	s_or_b64 exec, exec, s[4:5]
	ds_bpermute_b32 v12, v55, v4
	ds_bpermute_b32 v13, v55, v5
	ds_bpermute_b32 v10, v55, v2
	ds_bpermute_b32 v11, v55, v3
	ds_bpermute_b32 v16, v55, v8
	ds_bpermute_b32 v17, v55, v9
	s_waitcnt lgkmcnt(4)
	v_pk_add_f32 v[4:5], v[4:5], v[12:13]
	ds_bpermute_b32 v12, v55, v6
	ds_bpermute_b32 v13, v55, v7
	s_waitcnt lgkmcnt(4)
	v_pk_add_f32 v[2:3], v[2:3], v[10:11]
	ds_bpermute_b32 v10, v54, v2
	ds_bpermute_b32 v11, v54, v3
	s_waitcnt lgkmcnt(4)
	v_pk_add_f32 v[16:17], v[8:9], v[16:17]
	s_waitcnt lgkmcnt(2)
	v_pk_add_f32 v[12:13], v[6:7], v[12:13]
	ds_bpermute_b32 v14, v54, v4
	ds_bpermute_b32 v15, v54, v5
	;; [unrolled: 1-line block ×6, first 2 shown]
	s_waitcnt lgkmcnt(6)
	v_pk_add_f32 v[8:9], v[2:3], v[10:11]
	v_and_b32_e32 v10, 0x3c3, v0
	s_waitcnt lgkmcnt(4)
	v_pk_add_f32 v[6:7], v[4:5], v[14:15]
	s_waitcnt lgkmcnt(2)
	v_pk_add_f32 v[2:3], v[12:13], v[18:19]
	;; [unrolled: 2-line block ×3, first 2 shown]
	v_cmp_eq_u32_e32 vcc, 64, v10
	s_barrier
	s_and_saveexec_b64 s[0:1], vcc
	s_cbranch_execz .LBB33_71
; %bb.70:
	v_add_u32_e32 v11, 0x210, v53
	ds_write2_b32 v11, v8, v9 offset1:16
	ds_write2_b32 v11, v6, v7 offset0:32 offset1:48
	ds_write2_b32 v11, v2, v3 offset0:64 offset1:80
	;; [unrolled: 1-line block ×3, first 2 shown]
.LBB33_71:
	s_or_b64 exec, exec, s[0:1]
	v_cmp_gt_u32_e32 vcc, 64, v0
	s_waitcnt lgkmcnt(0)
	s_barrier
	s_and_saveexec_b64 s[0:1], vcc
	s_cbranch_execz .LBB33_82
; %bb.72:
	v_cmp_eq_u32_e32 vcc, 0, v51
	s_and_saveexec_b64 s[4:5], vcc
	s_cbranch_execnz .LBB33_85
; %bb.73:
	s_or_b64 exec, exec, s[4:5]
	s_and_saveexec_b64 s[4:5], vcc
	s_cbranch_execnz .LBB33_86
.LBB33_74:
	s_or_b64 exec, exec, s[4:5]
	s_and_saveexec_b64 s[4:5], vcc
	s_cbranch_execnz .LBB33_87
.LBB33_75:
	s_or_b64 exec, exec, s[4:5]
	s_and_saveexec_b64 s[4:5], vcc
	s_cbranch_execnz .LBB33_88
.LBB33_76:
	s_or_b64 exec, exec, s[4:5]
	s_and_saveexec_b64 s[4:5], vcc
	s_cbranch_execnz .LBB33_89
.LBB33_77:
	s_or_b64 exec, exec, s[4:5]
	s_and_saveexec_b64 s[4:5], vcc
	s_cbranch_execnz .LBB33_90
.LBB33_78:
	s_or_b64 exec, exec, s[4:5]
	s_and_saveexec_b64 s[4:5], vcc
	s_cbranch_execnz .LBB33_91
.LBB33_79:
	s_or_b64 exec, exec, s[4:5]
	s_and_saveexec_b64 s[4:5], vcc
	s_cbranch_execz .LBB33_81
.LBB33_80:
	v_mov_b32_e32 v0, 0x210
	v_lshl_add_u32 v0, v50, 2, v0
	ds_read_b32 v0, v0 offset:448
	s_waitcnt lgkmcnt(0)
	v_add_f32_e32 v5, v5, v0
.LBB33_81:
	s_or_b64 exec, exec, s[4:5]
.LBB33_82:
	s_or_b64 exec, exec, s[0:1]
	v_cmp_eq_u32_e32 vcc, 0, v10
	s_barrier
	s_and_saveexec_b64 s[0:1], vcc
	s_cbranch_execz .LBB33_84
; %bb.83:
	s_lshl_b32 s0, s2, 7
	s_ashr_i32 s1, s0, 31
	s_lshl_b64 s[0:1], s[0:1], 2
	s_add_u32 s2, s26, s0
	s_mul_i32 s0, s25, s24
	s_addc_u32 s3, s27, s1
	s_ashr_i32 s1, s0, 31
	s_lshl_b64 s[0:1], s[0:1], 2
	s_add_u32 s2, s2, s0
	s_addc_u32 s3, s3, s1
	s_lshl_b32 s0, s8, 7
	s_ashr_i32 s1, s0, 31
	s_lshl_b64 s[0:1], s[0:1], 2
	s_add_u32 s0, s2, s0
	s_addc_u32 s1, s3, s1
	global_store_dword v1, v8, s[0:1]
	global_store_dword v1, v9, s[0:1] offset:64
	global_store_dword v1, v6, s[0:1] offset:128
	;; [unrolled: 1-line block ×7, first 2 shown]
.LBB33_84:
	s_endpgm
.LBB33_85:
	v_mov_b32_e32 v0, 0x210
	v_lshl_add_u32 v0, v50, 2, v0
	ds_read_b32 v0, v0
	s_waitcnt lgkmcnt(0)
	v_add_f32_e32 v8, v8, v0
	s_or_b64 exec, exec, s[4:5]
	s_and_saveexec_b64 s[4:5], vcc
	s_cbranch_execz .LBB33_74
.LBB33_86:
	v_mov_b32_e32 v0, 0x210
	v_lshl_add_u32 v0, v50, 2, v0
	ds_read_b32 v0, v0 offset:64
	s_waitcnt lgkmcnt(0)
	v_add_f32_e32 v9, v9, v0
	s_or_b64 exec, exec, s[4:5]
	s_and_saveexec_b64 s[4:5], vcc
	s_cbranch_execz .LBB33_75
.LBB33_87:
	v_mov_b32_e32 v0, 0x210
	v_lshl_add_u32 v0, v50, 2, v0
	ds_read_b32 v0, v0 offset:128
	s_waitcnt lgkmcnt(0)
	v_add_f32_e32 v6, v6, v0
	s_or_b64 exec, exec, s[4:5]
	s_and_saveexec_b64 s[4:5], vcc
	s_cbranch_execz .LBB33_76
.LBB33_88:
	v_mov_b32_e32 v0, 0x210
	v_lshl_add_u32 v0, v50, 2, v0
	ds_read_b32 v0, v0 offset:192
	s_waitcnt lgkmcnt(0)
	v_add_f32_e32 v7, v7, v0
	s_or_b64 exec, exec, s[4:5]
	s_and_saveexec_b64 s[4:5], vcc
	s_cbranch_execz .LBB33_77
.LBB33_89:
	v_mov_b32_e32 v0, 0x210
	v_lshl_add_u32 v0, v50, 2, v0
	ds_read_b32 v0, v0 offset:256
	s_waitcnt lgkmcnt(0)
	v_add_f32_e32 v2, v2, v0
	s_or_b64 exec, exec, s[4:5]
	s_and_saveexec_b64 s[4:5], vcc
	s_cbranch_execz .LBB33_78
.LBB33_90:
	v_mov_b32_e32 v0, 0x210
	v_lshl_add_u32 v0, v50, 2, v0
	ds_read_b32 v0, v0 offset:320
	s_waitcnt lgkmcnt(0)
	v_add_f32_e32 v3, v3, v0
	s_or_b64 exec, exec, s[4:5]
	s_and_saveexec_b64 s[4:5], vcc
	s_cbranch_execz .LBB33_79
.LBB33_91:
	v_mov_b32_e32 v0, 0x210
	v_lshl_add_u32 v0, v50, 2, v0
	ds_read_b32 v0, v0 offset:384
	s_waitcnt lgkmcnt(0)
	v_add_f32_e32 v4, v4, v0
	s_or_b64 exec, exec, s[4:5]
	s_and_saveexec_b64 s[4:5], vcc
	s_cbranch_execnz .LBB33_80
	s_branch .LBB33_81
	.section	.rodata,"a",@progbits
	.p2align	6, 0x0
	.amdhsa_kernel _ZN4vllm25paged_attention_v2_kernelIffLi128ELi16ELi128ELNS_18Fp8KVCacheDataTypeE0ELb1ELi512EEEvPfS2_PT_PKS3_PKT0_S9_ifPKiSB_iPKfiiiSD_SD_iiiii
		.amdhsa_group_segment_fixed_size 528
		.amdhsa_private_segment_fixed_size 0
		.amdhsa_kernarg_size 400
		.amdhsa_user_sgpr_count 6
		.amdhsa_user_sgpr_private_segment_buffer 1
		.amdhsa_user_sgpr_dispatch_ptr 0
		.amdhsa_user_sgpr_queue_ptr 0
		.amdhsa_user_sgpr_kernarg_segment_ptr 1
		.amdhsa_user_sgpr_dispatch_id 0
		.amdhsa_user_sgpr_flat_scratch_init 0
		.amdhsa_user_sgpr_kernarg_preload_length 0
		.amdhsa_user_sgpr_kernarg_preload_offset 0
		.amdhsa_user_sgpr_private_segment_size 0
		.amdhsa_uses_dynamic_stack 0
		.amdhsa_system_sgpr_private_segment_wavefront_offset 0
		.amdhsa_system_sgpr_workgroup_id_x 1
		.amdhsa_system_sgpr_workgroup_id_y 1
		.amdhsa_system_sgpr_workgroup_id_z 1
		.amdhsa_system_sgpr_workgroup_info 0
		.amdhsa_system_vgpr_workitem_id 0
		.amdhsa_next_free_vgpr 92
		.amdhsa_next_free_sgpr 53
		.amdhsa_accum_offset 92
		.amdhsa_reserve_vcc 1
		.amdhsa_reserve_flat_scratch 0
		.amdhsa_float_round_mode_32 0
		.amdhsa_float_round_mode_16_64 0
		.amdhsa_float_denorm_mode_32 3
		.amdhsa_float_denorm_mode_16_64 3
		.amdhsa_dx10_clamp 1
		.amdhsa_ieee_mode 1
		.amdhsa_fp16_overflow 0
		.amdhsa_tg_split 0
		.amdhsa_exception_fp_ieee_invalid_op 0
		.amdhsa_exception_fp_denorm_src 0
		.amdhsa_exception_fp_ieee_div_zero 0
		.amdhsa_exception_fp_ieee_overflow 0
		.amdhsa_exception_fp_ieee_underflow 0
		.amdhsa_exception_fp_ieee_inexact 0
		.amdhsa_exception_int_div_zero 0
	.end_amdhsa_kernel
	.section	.text._ZN4vllm25paged_attention_v2_kernelIffLi128ELi16ELi128ELNS_18Fp8KVCacheDataTypeE0ELb1ELi512EEEvPfS2_PT_PKS3_PKT0_S9_ifPKiSB_iPKfiiiSD_SD_iiiii,"axG",@progbits,_ZN4vllm25paged_attention_v2_kernelIffLi128ELi16ELi128ELNS_18Fp8KVCacheDataTypeE0ELb1ELi512EEEvPfS2_PT_PKS3_PKT0_S9_ifPKiSB_iPKfiiiSD_SD_iiiii,comdat
.Lfunc_end33:
	.size	_ZN4vllm25paged_attention_v2_kernelIffLi128ELi16ELi128ELNS_18Fp8KVCacheDataTypeE0ELb1ELi512EEEvPfS2_PT_PKS3_PKT0_S9_ifPKiSB_iPKfiiiSD_SD_iiiii, .Lfunc_end33-_ZN4vllm25paged_attention_v2_kernelIffLi128ELi16ELi128ELNS_18Fp8KVCacheDataTypeE0ELb1ELi512EEEvPfS2_PT_PKS3_PKT0_S9_ifPKiSB_iPKfiiiSD_SD_iiiii
                                        ; -- End function
	.section	.AMDGPU.csdata,"",@progbits
; Kernel info:
; codeLenInByte = 6148
; NumSgprs: 57
; NumVgprs: 92
; NumAgprs: 0
; TotalNumVgprs: 92
; ScratchSize: 0
; MemoryBound: 0
; FloatMode: 240
; IeeeMode: 1
; LDSByteSize: 528 bytes/workgroup (compile time only)
; SGPRBlocks: 7
; VGPRBlocks: 11
; NumSGPRsForWavesPerEU: 57
; NumVGPRsForWavesPerEU: 92
; AccumOffset: 92
; Occupancy: 5
; WaveLimiterHint : 1
; COMPUTE_PGM_RSRC2:SCRATCH_EN: 0
; COMPUTE_PGM_RSRC2:USER_SGPR: 6
; COMPUTE_PGM_RSRC2:TRAP_HANDLER: 0
; COMPUTE_PGM_RSRC2:TGID_X_EN: 1
; COMPUTE_PGM_RSRC2:TGID_Y_EN: 1
; COMPUTE_PGM_RSRC2:TGID_Z_EN: 1
; COMPUTE_PGM_RSRC2:TIDIG_COMP_CNT: 0
; COMPUTE_PGM_RSRC3_GFX90A:ACCUM_OFFSET: 22
; COMPUTE_PGM_RSRC3_GFX90A:TG_SPLIT: 0
	.section	.text._ZN4vllm25paged_attention_v2_kernelIffLi192ELi16ELi128ELNS_18Fp8KVCacheDataTypeE0ELb1ELi512EEEvPfS2_PT_PKS3_PKT0_S9_ifPKiSB_iPKfiiiSD_SD_iiiii,"axG",@progbits,_ZN4vllm25paged_attention_v2_kernelIffLi192ELi16ELi128ELNS_18Fp8KVCacheDataTypeE0ELb1ELi512EEEvPfS2_PT_PKS3_PKT0_S9_ifPKiSB_iPKfiiiSD_SD_iiiii,comdat
	.protected	_ZN4vllm25paged_attention_v2_kernelIffLi192ELi16ELi128ELNS_18Fp8KVCacheDataTypeE0ELb1ELi512EEEvPfS2_PT_PKS3_PKT0_S9_ifPKiSB_iPKfiiiSD_SD_iiiii ; -- Begin function _ZN4vllm25paged_attention_v2_kernelIffLi192ELi16ELi128ELNS_18Fp8KVCacheDataTypeE0ELb1ELi512EEEvPfS2_PT_PKS3_PKT0_S9_ifPKiSB_iPKfiiiSD_SD_iiiii
	.globl	_ZN4vllm25paged_attention_v2_kernelIffLi192ELi16ELi128ELNS_18Fp8KVCacheDataTypeE0ELb1ELi512EEEvPfS2_PT_PKS3_PKT0_S9_ifPKiSB_iPKfiiiSD_SD_iiiii
	.p2align	8
	.type	_ZN4vllm25paged_attention_v2_kernelIffLi192ELi16ELi128ELNS_18Fp8KVCacheDataTypeE0ELb1ELi512EEEvPfS2_PT_PKS3_PKT0_S9_ifPKiSB_iPKfiiiSD_SD_iiiii,@function
_ZN4vllm25paged_attention_v2_kernelIffLi192ELi16ELi128ELNS_18Fp8KVCacheDataTypeE0ELb1ELi512EEEvPfS2_PT_PKS3_PKT0_S9_ifPKiSB_iPKfiiiSD_SD_iiiii: ; @_ZN4vllm25paged_attention_v2_kernelIffLi192ELi16ELi128ELNS_18Fp8KVCacheDataTypeE0ELb1ELi512EEEvPfS2_PT_PKS3_PKT0_S9_ifPKiSB_iPKfiiiSD_SD_iiiii
; %bb.0:
	s_load_dwordx2 s[0:1], s[4:5], 0x40
	s_mov_b32 s36, s7
	s_ashr_i32 s37, s7, 31
	s_lshl_b64 s[2:3], s[36:37], 2
	s_waitcnt lgkmcnt(0)
	s_add_u32 s0, s0, s2
	s_addc_u32 s1, s1, s3
	s_load_dword s37, s[0:1], 0x0
	s_lshl_b32 s48, s8, 9
	s_waitcnt lgkmcnt(0)
	s_cmp_ge_i32 s48, s37
	s_cbranch_scc1 .LBB34_98
; %bb.1:
	s_load_dword s9, s[4:5], 0x90
	s_load_dwordx2 s[40:41], s[4:5], 0x30
	s_mov_b32 s49, 0
	s_waitcnt lgkmcnt(0)
	s_abs_i32 s2, s9
	s_abs_i32 s0, s40
	v_cvt_f32_u32_e32 v1, s0
	s_sub_i32 s3, 0, s0
	s_xor_b32 s1, s9, s40
	s_ashr_i32 s1, s1, 31
	v_rcp_iflag_f32_e32 v1, v1
	v_mul_f32_e32 v1, 0x4f7ffffe, v1
	v_cvt_u32_f32_e32 v1, v1
	v_readfirstlane_b32 s7, v1
	s_mul_i32 s3, s3, s7
	s_mul_hi_u32 s3, s7, s3
	s_add_i32 s7, s7, s3
	s_mul_hi_u32 s3, s2, s7
	s_mul_i32 s7, s3, s0
	s_sub_i32 s2, s2, s7
	s_add_i32 s10, s3, 1
	s_sub_i32 s7, s2, s0
	s_cmp_ge_u32 s2, s0
	s_cselect_b32 s3, s10, s3
	s_cselect_b32 s2, s7, s2
	s_add_i32 s7, s3, 1
	s_cmp_ge_u32 s2, s0
	s_cselect_b32 s0, s7, s3
	s_xor_b32 s0, s0, s1
	s_sub_i32 s11, s0, s1
	s_abs_i32 s10, s11
	v_cvt_f32_u32_e32 v1, s10
	s_load_dwordx2 s[0:1], s[4:5], 0x50
	s_sub_i32 s2, 0, s10
	s_abs_i32 s24, s6
	v_rcp_iflag_f32_e32 v1, v1
	v_mul_f32_e32 v1, 0x4f7ffffe, v1
	v_cvt_u32_f32_e32 v1, v1
	v_readfirstlane_b32 s3, v1
	s_mul_i32 s2, s2, s3
	s_mul_hi_u32 s2, s3, s2
	s_add_i32 s2, s3, s2
	s_waitcnt lgkmcnt(0)
	s_cmp_eq_u64 s[0:1], 0
	s_cbranch_scc1 .LBB34_3
; %bb.2:
	s_ashr_i32 s7, s6, 31
	s_lshl_b64 s[12:13], s[6:7], 2
	s_add_u32 s0, s0, s12
	s_addc_u32 s1, s1, s13
	s_load_dword s49, s[0:1], 0x0
.LBB34_3:
	s_load_dwordx4 s[20:23], s[4:5], 0x0
	s_load_dwordx2 s[28:29], s[4:5], 0x10
	s_load_dwordx4 s[12:15], s[4:5], 0x20
	s_load_dwordx2 s[34:35], s[4:5], 0x38
	s_load_dword s33, s[4:5], 0x98
	s_load_dwordx4 s[16:19], s[4:5], 0x58
	s_mul_hi_u32 s7, s24, s2
	v_lshrrev_b32_e32 v70, 2, v0
	s_movk_i32 s2, 0xc0
	s_mul_i32 s30, s6, 0xc0
	v_and_b32_e32 v71, 3, v0
	s_ashr_i32 s31, s30, 31
	v_cmp_gt_u32_e32 vcc, s2, v0
	v_lshlrev_b32_e32 v1, 2, v70
	s_and_saveexec_b64 s[0:1], vcc
	s_cbranch_execz .LBB34_6
; %bb.4:
	s_load_dwordx2 s[26:27], s[4:5], 0x18
	s_waitcnt lgkmcnt(0)
	s_mul_i32 s38, s36, s16
	s_ashr_i32 s39, s38, 31
	v_mad_u32_u24 v5, v71, s2, v1
	s_lshl_b64 s[2:3], s[38:39], 2
	s_lshl_b64 s[38:39], s[30:31], 2
	s_add_u32 s2, s2, s38
	s_addc_u32 s3, s3, s39
	v_or_b32_e32 v2, v1, v71
	s_add_u32 s2, s26, s2
	v_lshlrev_b32_e32 v2, 2, v2
	s_addc_u32 s3, s27, s3
	v_mov_b32_e32 v3, s3
	v_add_co_u32_e32 v2, vcc, s2, v2
	v_subrev_u32_e32 v4, 32, v70
	v_addc_co_u32_e32 v3, vcc, 0, v3, vcc
	s_mov_b64 s[2:3], 0
.LBB34_5:                               ; =>This Inner Loop Header: Depth=1
	global_load_dword v6, v[2:3], off
	v_add_co_u32_e32 v2, vcc, 0x200, v2
	v_add_u32_e32 v4, 32, v4
	v_addc_co_u32_e32 v3, vcc, 0, v3, vcc
	v_cmp_lt_u32_e32 vcc, 15, v4
	s_or_b64 s[2:3], vcc, s[2:3]
	s_waitcnt vmcnt(0)
	ds_write_b32 v5, v6
	v_add_u32_e32 v5, 0x80, v5
	s_andn2_b64 exec, exec, s[2:3]
	s_cbranch_execnz .LBB34_5
.LBB34_6:
	s_or_b64 exec, exec, s[0:1]
	s_ashr_i32 s0, s6, 31
	s_ashr_i32 s1, s11, 31
	s_xor_b32 s0, s0, s1
	s_mul_i32 s1, s7, s10
	s_sub_i32 s1, s24, s1
	s_add_i32 s2, s7, 1
	s_sub_i32 s3, s1, s10
	s_load_dwordx4 s[24:27], s[4:5], 0x78
	s_cmp_ge_u32 s1, s10
	s_cselect_b32 s2, s2, s7
	s_cselect_b32 s1, s3, s1
	s_add_i32 s3, s2, 1
	s_cmp_ge_u32 s1, s10
	s_cselect_b32 s1, s3, s2
	s_load_dword s3, s[4:5], 0x88
	s_waitcnt lgkmcnt(0)
	s_abs_i32 s16, s27
	v_cvt_f32_u32_e32 v2, s16
	s_xor_b32 s1, s1, s0
	s_sub_i32 s2, s1, s0
	s_sub_i32 s0, 0, s16
	v_rcp_iflag_f32_e32 v2, v2
	s_add_i32 s11, s37, -1
	s_abs_i32 s7, s11
	v_mul_f32_e32 v2, 0x4f7ffffe, v2
	v_cvt_u32_f32_e32 v2, v2
	s_barrier
	v_readfirstlane_b32 s31, v2
	s_mul_i32 s0, s0, s31
	s_mul_hi_u32 s0, s31, s0
	s_add_i32 s31, s31, s0
	s_cmp_lt_i32 s3, 0
	s_mul_hi_u32 s10, s7, s31
	s_cbranch_scc0 .LBB34_8
; %bb.7:
	s_mul_i32 s0, s24, s40
	s_add_i32 s0, s2, s0
	s_mul_i32 s0, s0, s3
	s_sub_i32 s46, 1, s0
	s_ashr_i32 s11, s11, 31
	s_ashr_i32 s27, s27, 31
	s_cbranch_execz .LBB34_9
	s_branch .LBB34_10
.LBB34_8:
                                        ; implicit-def: $sgpr46
	s_ashr_i32 s11, s11, 31
	s_ashr_i32 s27, s27, 31
.LBB34_9:
	s_mul_i32 s0, s9, s24
	s_add_i32 s0, s0, s6
	s_mul_i32 s0, s0, s3
	s_add_i32 s46, s0, 1
.LBB34_10:
	s_load_dword s0, s[4:5], 0x48
	s_mul_i32 s3, s10, s16
	s_sub_i32 s3, s7, s3
	s_xor_b32 s1, s11, s27
	s_add_i32 s4, s10, 1
	s_waitcnt lgkmcnt(0)
	s_mul_i32 s38, s36, s0
	s_ashr_i32 s39, s38, 31
	s_sub_i32 s0, s3, s16
	s_cmp_ge_u32 s3, s16
	s_cselect_b32 s4, s4, s10
	s_cselect_b32 s0, s0, s3
	s_add_i32 s3, s4, 1
	s_cmp_ge_u32 s0, s16
	s_cselect_b32 s0, s3, s4
	s_xor_b32 s0, s0, s1
	s_sub_i32 s47, s0, s1
	s_add_i32 s0, s37, 15
	s_ashr_i32 s1, s0, 31
	s_lshr_b32 s1, s1, 28
	s_add_i32 s0, s0, s1
	s_lshl_b32 s40, s8, 5
	s_ashr_i32 s7, s0, 4
	s_add_i32 s0, s40, 32
	v_lshrrev_b32_e32 v4, 6, v0
	s_min_i32 s24, s0, s7
	v_or_b32_e32 v54, s40, v4
	v_cmp_gt_i32_e64 s[0:1], s24, v54
	v_mov_b32_e32 v11, 0xff7fffff
	s_mul_i32 s18, s2, s18
	v_ashrrev_i32_e32 v55, 31, v54
	v_lshl_add_u32 v72, v4, 4, s48
	v_mbcnt_lo_u32_b32 v5, -1, 0
	s_and_saveexec_b64 s[42:43], s[0:1]
	s_cbranch_execz .LBB34_20
; %bb.11:
	s_ashr_i32 s19, s18, 31
	s_sub_i32 s50, s47, s25
	s_lshl_b64 s[2:3], s[18:19], 2
	s_add_u32 s2, s12, s2
	s_addc_u32 s3, s13, s3
	s_abs_i32 s19, s26
	v_cvt_f32_u32_e32 v7, s19
	v_bfe_u32 v6, v0, 2, 4
	v_lshlrev_b32_e32 v2, 4, v6
	v_mov_b32_e32 v3, s3
	v_rcp_iflag_f32_e32 v9, v7
	v_add_co_u32_e64 v2, s[2:3], s2, v2
	v_addc_co_u32_e64 v3, s[2:3], 0, v3, s[2:3]
	v_lshlrev_b32_e32 v8, 2, v71
	v_add_co_u32_e64 v7, s[2:3], v2, v8
	v_mul_f32_e32 v2, 0x4f7ffffe, v9
	v_cvt_u32_f32_e32 v2, v2
	s_sub_i32 s4, 0, s19
	v_lshlrev_b32_e32 v11, 2, v6
	v_addc_co_u32_e64 v8, s[2:3], 0, v3, s[2:3]
	v_mul_lo_u32 v3, s4, v2
	s_lshl_b64 s[4:5], s[38:39], 2
	v_mul_hi_u32 v3, v2, v3
	s_add_u32 s4, s34, s4
	v_lshl_or_b32 v11, v4, 6, v11
	v_add_u32_e32 v10, v2, v3
	v_lshlrev_b64 v[2:3], 2, v[54:55]
	s_addc_u32 s5, s35, s5
	v_add_u32_e32 v13, 0x310, v11
	v_subrev_u32_e32 v11, s37, v6
	v_mbcnt_hi_u32_b32 v16, -1, v5
	v_mov_b32_e32 v12, s5
	v_add_co_u32_e64 v2, s[4:5], s4, v2
	v_add_u32_e32 v14, 1, v11
	v_and_b32_e32 v11, 64, v16
	v_cmp_eq_u32_e32 vcc, 0, v71
	s_mov_b32 s51, s17
	v_mul_u32_u24_e32 v9, 0xc0, v71
	v_cmp_neq_f32_e64 s[2:3], s49, 0
	v_addc_co_u32_e64 v3, s[4:5], v12, v3, s[4:5]
	v_lshl_add_u32 v12, v4, 4, s48
	s_mov_b64 s[12:13], 0
	v_mov_b32_e32 v15, 0xff7fffff
	s_movk_i32 s52, 0x1000
	s_movk_i32 s53, 0x2000
	v_add_u32_e32 v17, 64, v11
	v_xor_b32_e32 v18, 2, v16
	v_xor_b32_e32 v19, 1, v16
	v_mov_b32_e32 v11, 0xff7fffff
	v_mov_b32_e32 v20, v54
	s_branch .LBB34_14
.LBB34_12:                              ;   in Loop: Header=BB34_14 Depth=1
	s_or_b64 exec, exec, s[44:45]
.LBB34_13:                              ;   in Loop: Header=BB34_14 Depth=1
	s_or_b64 exec, exec, s[10:11]
	v_add_co_u32_e64 v2, s[4:5], 8, v2
	v_add_u32_e32 v20, 2, v20
	v_addc_co_u32_e64 v3, s[4:5], 0, v3, s[4:5]
	v_cmp_le_i32_e64 s[4:5], s24, v20
	v_add_u32_e32 v12, 32, v12
	s_or_b64 s[12:13], s[4:5], s[12:13]
	v_add_u32_e32 v13, 0x80, v13
	s_andn2_b64 exec, exec, s[12:13]
	s_cbranch_execz .LBB34_19
.LBB34_14:                              ; =>This Inner Loop Header: Depth=1
	s_waitcnt lgkmcnt(0)
	v_sub_u32_e32 v22, 0, v12
	v_max_i32_e32 v22, v12, v22
	v_mul_hi_u32 v23, v22, s31
	v_mul_lo_u32 v24, v23, s16
	v_sub_u32_e32 v22, v22, v24
	v_add_u32_e32 v24, 1, v23
	v_cmp_le_u32_e64 s[4:5], s16, v22
	v_cndmask_b32_e64 v23, v23, v24, s[4:5]
	v_subrev_u32_e32 v24, s16, v22
	v_cndmask_b32_e64 v22, v22, v24, s[4:5]
	v_ashrrev_i32_e32 v21, 31, v12
	v_add_u32_e32 v24, 1, v23
	v_cmp_le_u32_e64 s[4:5], s16, v22
	v_xor_b32_e32 v21, s27, v21
	v_cndmask_b32_e64 v22, v23, v24, s[4:5]
	v_xor_b32_e32 v22, v22, v21
	v_sub_u32_e32 v21, v22, v21
	v_add_u32_e32 v22, s46, v21
	v_sub_u32_e32 v24, 0, v22
	v_ashrrev_i32_e32 v23, 31, v22
	v_max_i32_e32 v22, v22, v24
	v_mul_hi_u32 v24, v22, v10
	v_mul_lo_u32 v24, v24, s19
	v_sub_u32_e32 v22, v22, v24
	v_subrev_u32_e32 v24, s19, v22
	v_cmp_le_u32_e64 s[4:5], s19, v22
	v_cndmask_b32_e64 v22, v22, v24, s[4:5]
	v_subrev_u32_e32 v24, s19, v22
	v_cmp_le_u32_e64 s[4:5], s19, v22
	v_cndmask_b32_e64 v22, v22, v24, s[4:5]
	v_xor_b32_e32 v22, v22, v23
	v_sub_u32_e32 v22, v22, v23
	v_cmp_ne_u32_e64 s[4:5], 0, v22
	v_cmp_ge_i32_e64 s[10:11], s50, v21
	s_and_b64 s[4:5], s[4:5], s[10:11]
	s_and_b64 s[44:45], vcc, s[4:5]
	s_and_saveexec_b64 s[10:11], s[44:45]
	s_cbranch_execz .LBB34_16
; %bb.15:                               ;   in Loop: Header=BB34_14 Depth=1
	ds_write_b32 v13, v15
.LBB34_16:                              ;   in Loop: Header=BB34_14 Depth=1
	s_or_b64 exec, exec, s[10:11]
	s_xor_b64 s[4:5], s[4:5], -1
	s_and_saveexec_b64 s[10:11], s[4:5]
	s_cbranch_execz .LBB34_13
; %bb.17:                               ;   in Loop: Header=BB34_14 Depth=1
	global_load_dword v21, v[2:3], off
	s_waitcnt vmcnt(0)
	v_mad_i64_i32 v[22:23], s[4:5], v21, s51, 0
	v_lshlrev_b64 v[22:23], 2, v[22:23]
	v_add_co_u32_e64 v22, s[4:5], v7, v22
	v_addc_co_u32_e64 v23, s[4:5], v8, v23, s[4:5]
	global_load_dword v21, v[22:23], off offset:512
	global_load_dword v56, v[22:23], off offset:768
	;; [unrolled: 1-line block ×7, first 2 shown]
	global_load_dword v58, v[22:23], off
	global_load_dword v64, v[22:23], off offset:2048
	global_load_dword v65, v[22:23], off offset:2304
	global_load_dword v66, v[22:23], off offset:2560
	global_load_dword v67, v[22:23], off offset:2816
	global_load_dword v68, v[22:23], off offset:3072
	global_load_dword v69, v[22:23], off offset:3328
	global_load_dword v73, v[22:23], off offset:3584
	global_load_dword v74, v[22:23], off offset:3840
	v_add_co_u32_e64 v24, s[4:5], s52, v22
	v_addc_co_u32_e64 v25, s[4:5], 0, v23, s[4:5]
	v_add_co_u32_e64 v22, s[4:5], s53, v22
	v_addc_co_u32_e64 v23, s[4:5], 0, v23, s[4:5]
	global_load_dword v75, v[22:23], off offset:-4096
	global_load_dword v76, v[24:25], off offset:256
	global_load_dword v77, v[24:25], off offset:512
	;; [unrolled: 1-line block ×15, first 2 shown]
	global_load_dword v91, v[22:23], off
	global_load_dword v92, v[22:23], off offset:256
	global_load_dword v93, v[22:23], off offset:512
	;; [unrolled: 1-line block ×15, first 2 shown]
	ds_read_b128 v[22:25], v9
	ds_read_b128 v[26:29], v9 offset:16
	ds_read_b128 v[30:33], v9 offset:32
	;; [unrolled: 1-line block ×7, first 2 shown]
	v_cmp_lt_i32_e64 s[4:5], v18, v17
	s_waitcnt vmcnt(41) lgkmcnt(7)
	v_mul_f32_e32 v107, v23, v57
	s_waitcnt vmcnt(40)
	v_fmac_f32_e32 v107, v22, v58
	v_fmac_f32_e32 v107, v24, v21
	v_fmac_f32_e32 v107, v25, v56
	s_waitcnt lgkmcnt(6)
	v_fmac_f32_e32 v107, v26, v60
	v_fmac_f32_e32 v107, v27, v61
	;; [unrolled: 1-line block ×4, first 2 shown]
	s_waitcnt vmcnt(39) lgkmcnt(5)
	v_fmac_f32_e32 v107, v30, v64
	s_waitcnt vmcnt(38)
	v_fmac_f32_e32 v107, v31, v65
	s_waitcnt vmcnt(37)
	v_fmac_f32_e32 v107, v32, v66
	s_waitcnt vmcnt(36)
	v_fmac_f32_e32 v107, v33, v67
	s_waitcnt vmcnt(35) lgkmcnt(4)
	v_fmac_f32_e32 v107, v34, v68
	s_waitcnt vmcnt(34)
	v_fmac_f32_e32 v107, v35, v69
	s_waitcnt vmcnt(33)
	v_fmac_f32_e32 v107, v36, v73
	s_waitcnt vmcnt(32)
	v_fmac_f32_e32 v107, v37, v74
	;; [unrolled: 8-line block ×5, first 2 shown]
	ds_read_b128 v[22:25], v9 offset:128
	ds_read_b128 v[56:59], v9 offset:144
	s_waitcnt vmcnt(19) lgkmcnt(2)
	v_fmac_f32_e32 v107, v50, v87
	s_waitcnt vmcnt(18)
	v_fmac_f32_e32 v107, v51, v88
	s_waitcnt vmcnt(17)
	;; [unrolled: 2-line block ×3, first 2 shown]
	v_fmac_f32_e32 v107, v53, v90
	s_waitcnt vmcnt(15) lgkmcnt(1)
	v_fmac_f32_e32 v107, v22, v91
	s_waitcnt vmcnt(14)
	v_fmac_f32_e32 v107, v23, v92
	s_waitcnt vmcnt(13)
	;; [unrolled: 2-line block ×3, first 2 shown]
	v_fmac_f32_e32 v107, v25, v94
	ds_read_b128 v[26:29], v9 offset:160
	ds_read_b128 v[60:63], v9 offset:176
	s_waitcnt vmcnt(11) lgkmcnt(2)
	v_fmac_f32_e32 v107, v56, v95
	s_waitcnt vmcnt(10)
	v_fmac_f32_e32 v107, v57, v96
	s_waitcnt vmcnt(9)
	;; [unrolled: 2-line block ×3, first 2 shown]
	v_fmac_f32_e32 v107, v59, v98
	s_waitcnt vmcnt(7) lgkmcnt(1)
	v_fmac_f32_e32 v107, v26, v99
	s_waitcnt vmcnt(6)
	v_fmac_f32_e32 v107, v27, v100
	s_waitcnt vmcnt(5)
	;; [unrolled: 2-line block ×3, first 2 shown]
	v_fmac_f32_e32 v107, v29, v102
	s_waitcnt vmcnt(3) lgkmcnt(0)
	v_fmac_f32_e32 v107, v60, v103
	s_waitcnt vmcnt(2)
	v_fmac_f32_e32 v107, v61, v104
	v_cndmask_b32_e64 v21, v16, v18, s[4:5]
	s_waitcnt vmcnt(1)
	v_fmac_f32_e32 v107, v62, v105
	v_lshlrev_b32_e32 v21, 2, v21
	s_waitcnt vmcnt(0)
	v_fmac_f32_e32 v107, v63, v106
	ds_bpermute_b32 v21, v21, v107
	v_cmp_lt_i32_e64 s[4:5], v19, v17
	v_cndmask_b32_e64 v22, v16, v19, s[4:5]
	v_lshlrev_b32_e32 v22, 2, v22
	s_waitcnt lgkmcnt(0)
	v_add_f32_e32 v21, v107, v21
	ds_bpermute_b32 v22, v22, v21
	s_and_saveexec_b64 s[44:45], vcc
	s_cbranch_execz .LBB34_12
; %bb.18:                               ;   in Loop: Header=BB34_14 Depth=1
	v_add_u32_e32 v23, v14, v12
	v_cvt_f32_i32_e32 v23, v23
	s_waitcnt lgkmcnt(0)
	v_add_f32_e32 v21, v21, v22
	v_add_u32_e32 v24, v6, v12
	v_cmp_gt_i32_e64 s[4:5], s37, v24
	v_mul_f32_e32 v22, s49, v23
	v_cndmask_b32_e64 v22, 0, v22, s[2:3]
	v_fmac_f32_e32 v22, s41, v21
	v_cndmask_b32_e64 v21, 0, v22, s[4:5]
	ds_write_b32 v13, v21
	v_max_f32_e32 v21, v11, v11
	v_max_f32_e32 v21, v21, v22
	v_cndmask_b32_e64 v11, v11, v21, s[4:5]
	s_branch .LBB34_12
.LBB34_19:
	s_or_b64 exec, exec, s[12:13]
.LBB34_20:
	s_or_b64 exec, exec, s[42:43]
	v_mbcnt_hi_u32_b32 v2, -1, v5
	v_and_b32_e32 v3, 64, v2
	v_add_u32_e32 v3, 64, v3
	v_xor_b32_e32 v5, 32, v2
	v_cmp_lt_i32_e32 vcc, v5, v3
	v_cndmask_b32_e32 v5, v2, v5, vcc
	v_lshlrev_b32_e32 v6, 2, v5
	ds_bpermute_b32 v5, v6, v11
	v_xor_b32_e32 v8, 16, v2
	v_max_f32_e32 v7, v11, v11
	v_cmp_lt_i32_e32 vcc, v8, v3
	v_xor_b32_e32 v9, 8, v2
	s_waitcnt lgkmcnt(0)
	v_max_f32_e32 v5, v5, v5
	v_max_f32_e32 v5, v7, v5
	v_cndmask_b32_e32 v7, v2, v8, vcc
	v_lshlrev_b32_e32 v7, 2, v7
	ds_bpermute_b32 v8, v7, v5
	v_cmp_lt_i32_e32 vcc, v9, v3
	v_and_b32_e32 v73, 63, v0
	s_waitcnt lgkmcnt(0)
	v_max_f32_e32 v8, v8, v8
	v_max_f32_e32 v5, v5, v8
	v_cndmask_b32_e32 v8, v2, v9, vcc
	v_lshlrev_b32_e32 v10, 2, v8
	ds_bpermute_b32 v8, v10, v5
	v_xor_b32_e32 v9, 4, v2
	v_cmp_lt_i32_e32 vcc, v9, v3
	s_waitcnt lgkmcnt(0)
	v_max_f32_e32 v8, v8, v8
	v_max_f32_e32 v5, v5, v8
	v_cndmask_b32_e32 v8, v2, v9, vcc
	v_lshlrev_b32_e32 v11, 2, v8
	ds_bpermute_b32 v9, v11, v5
	v_cmp_eq_u32_e32 vcc, 0, v73
	v_lshlrev_b32_e32 v8, 2, v4
	s_and_saveexec_b64 s[2:3], vcc
	s_cbranch_execz .LBB34_22
; %bb.21:
	s_waitcnt lgkmcnt(0)
	v_max_f32_e32 v9, v9, v9
	v_max_f32_e32 v5, v5, v5
	;; [unrolled: 1-line block ×3, first 2 shown]
	ds_write_b32 v8, v5 offset:768
.LBB34_22:
	s_or_b64 exec, exec, s[2:3]
	v_cmp_gt_u32_e64 s[2:3], 2, v73
	v_mov_b32_e32 v5, 0xff7fffff
	s_waitcnt lgkmcnt(0)
	v_lshlrev_b32_e32 v9, 2, v73
	s_barrier
	s_and_saveexec_b64 s[4:5], s[2:3]
	s_cbranch_execz .LBB34_24
; %bb.23:
	ds_read_b32 v5, v9 offset:768
.LBB34_24:
	s_or_b64 exec, exec, s[4:5]
	v_xor_b32_e32 v12, 1, v2
	v_cmp_lt_i32_e64 s[4:5], v12, v3
	v_cndmask_b32_e64 v12, v2, v12, s[4:5]
	v_lshlrev_b32_e32 v74, 2, v12
	s_waitcnt lgkmcnt(0)
	ds_bpermute_b32 v12, v74, v5
	v_max_f32_e32 v5, v5, v5
	s_sub_i32 s4, s24, s40
	s_lshl_b32 s4, s4, 4
	s_add_i32 s4, s4, s48
	s_waitcnt lgkmcnt(0)
	v_max_f32_e32 v12, v12, v12
	v_max_f32_e32 v5, v5, v12
	v_lshlrev_b32_e32 v12, 2, v2
	v_and_b32_e32 v12, 0x100, v12
	ds_bpermute_b32 v5, v12, v5
	s_min_i32 s42, s4, s37
	s_sub_i32 s19, s42, s48
	v_cmp_gt_i32_e64 s[4:5], s19, v0
	v_mov_b32_e32 v13, 0
	s_and_saveexec_b64 s[12:13], s[4:5]
	s_cbranch_execz .LBB34_28
; %bb.25:
	v_mov_b32_e32 v13, 0x310
	v_lshl_add_u32 v14, v0, 2, v13
	s_mov_b64 s[40:41], 0
	v_mov_b32_e32 v13, 0
	v_mov_b32_e32 v15, v0
.LBB34_26:                              ; =>This Inner Loop Header: Depth=1
	ds_read_b32 v16, v14
	v_add_u32_e32 v15, 0x80, v15
	v_cmp_le_i32_e64 s[10:11], s19, v15
	s_or_b64 s[40:41], s[10:11], s[40:41]
	s_waitcnt lgkmcnt(0)
	v_sub_f32_e32 v16, v16, v5
	v_mul_f32_e32 v16, 0x3fb8aa3b, v16
	v_exp_f32_e32 v16, v16
	ds_write_b32 v14, v16
	v_add_f32_e32 v13, v13, v16
	v_add_u32_e32 v14, 0x200, v14
	s_andn2_b64 exec, exec, s[40:41]
	s_cbranch_execnz .LBB34_26
; %bb.27:
	s_or_b64 exec, exec, s[40:41]
.LBB34_28:
	s_or_b64 exec, exec, s[12:13]
	ds_bpermute_b32 v6, v6, v13
	s_waitcnt lgkmcnt(0)
	v_add_f32_e32 v6, v13, v6
	ds_bpermute_b32 v7, v7, v6
	s_waitcnt lgkmcnt(0)
	v_add_f32_e32 v6, v6, v7
	ds_bpermute_b32 v7, v10, v6
	v_xor_b32_e32 v10, 2, v2
	v_cmp_lt_i32_e64 s[10:11], v10, v3
	v_cndmask_b32_e64 v2, v2, v10, s[10:11]
	v_lshlrev_b32_e32 v75, 2, v2
	s_waitcnt lgkmcnt(0)
	v_add_f32_e32 v6, v6, v7
	ds_bpermute_b32 v7, v11, v6
	s_waitcnt lgkmcnt(0)
	v_add_f32_e32 v3, v6, v7
	ds_bpermute_b32 v2, v75, v3
	;; [unrolled: 3-line block ×3, first 2 shown]
	s_waitcnt lgkmcnt(0)
	v_add_f32_e32 v2, v2, v3
	s_and_saveexec_b64 s[10:11], vcc
	s_cbranch_execz .LBB34_30
; %bb.29:
	ds_write_b32 v8, v2 offset:776
.LBB34_30:
	s_or_b64 exec, exec, s[10:11]
	s_waitcnt lgkmcnt(0)
	s_barrier
	s_and_saveexec_b64 s[10:11], s[2:3]
	s_cbranch_execz .LBB34_32
; %bb.31:
	ds_read_b32 v2, v9 offset:776
.LBB34_32:
	s_or_b64 exec, exec, s[10:11]
	s_waitcnt lgkmcnt(0)
	ds_bpermute_b32 v3, v74, v2
	s_waitcnt lgkmcnt(0)
	v_add_f32_e32 v2, v2, v3
	ds_bpermute_b32 v6, v12, v2
	s_and_saveexec_b64 s[2:3], s[4:5]
	s_cbranch_execz .LBB34_45
; %bb.33:
	s_waitcnt lgkmcnt(0)
	v_add_f32_e32 v2, 0x358637bd, v6
	v_div_scale_f32 v3, s[4:5], v2, v2, 1.0
	v_rcp_f32_e32 v7, v3
	v_div_scale_f32 v8, vcc, 1.0, v2, 1.0
	s_movk_i32 s4, 0x7f
	v_fma_f32 v9, -v3, v7, 1.0
	v_fmac_f32_e32 v7, v9, v7
	v_mul_f32_e32 v9, v8, v7
	v_fma_f32 v10, -v3, v9, v8
	v_fmac_f32_e32 v9, v10, v7
	v_fma_f32 v3, -v3, v9, v8
	v_div_fmas_f32 v3, v3, v7, v9
	v_div_fixup_f32 v2, v3, v2, 1.0
	v_xad_u32 v3, v0, -1, s42
	v_subrev_u32_e32 v7, s48, v3
	v_cmp_lt_u32_e32 vcc, s4, v7
	s_mov_b64 s[10:11], -1
	v_mov_b32_e32 v3, v0
	s_and_saveexec_b64 s[4:5], vcc
	s_cbranch_execz .LBB34_42
; %bb.34:
	v_lshrrev_b32_e32 v7, 7, v7
	v_add_u32_e32 v9, -1, v7
	v_lshrrev_b32_e32 v8, 1, v9
	v_mov_b32_e32 v3, v2
	v_add_u32_e32 v8, 1, v8
	v_cmp_lt_u32_e32 vcc, 13, v9
	v_mov_b32_e32 v11, 0
	s_and_saveexec_b64 s[10:11], vcc
	s_cbranch_execz .LBB34_38
; %bb.35:
	v_mov_b32_e32 v10, 0x310
	v_and_b32_e32 v9, -8, v8
	v_lshl_add_u32 v10, v0, 2, v10
	s_mov_b32 s40, 0
	s_mov_b64 s[12:13], 0
.LBB34_36:                              ; =>This Inner Loop Header: Depth=1
	ds_read2st64_b32 v[12:13], v10 offset1:2
	ds_read2st64_b32 v[14:15], v10 offset0:4 offset1:6
	ds_read2st64_b32 v[16:17], v10 offset0:8 offset1:10
	;; [unrolled: 1-line block ×3, first 2 shown]
	v_add_u32_e32 v9, -8, v9
	s_waitcnt lgkmcnt(3)
	v_pk_mul_f32 v[12:13], v[2:3], v[12:13]
	s_waitcnt lgkmcnt(2)
	v_pk_mul_f32 v[14:15], v[2:3], v[14:15]
	ds_write2st64_b32 v10, v12, v13 offset1:2
	ds_write2st64_b32 v10, v14, v15 offset0:4 offset1:6
	ds_read2st64_b32 v[14:15], v10 offset0:16 offset1:18
	s_waitcnt lgkmcnt(4)
	v_pk_mul_f32 v[12:13], v[2:3], v[16:17]
	ds_write2st64_b32 v10, v12, v13 offset0:8 offset1:10
	s_waitcnt lgkmcnt(4)
	v_pk_mul_f32 v[12:13], v[2:3], v[18:19]
	ds_write2st64_b32 v10, v12, v13 offset0:12 offset1:14
	ds_read2st64_b32 v[12:13], v10 offset0:20 offset1:22
	s_waitcnt lgkmcnt(3)
	v_pk_mul_f32 v[14:15], v[2:3], v[14:15]
	ds_read2st64_b32 v[16:17], v10 offset0:24 offset1:26
	ds_write2st64_b32 v10, v14, v15 offset0:16 offset1:18
	ds_read2st64_b32 v[14:15], v10 offset0:28 offset1:30
	s_waitcnt lgkmcnt(3)
	v_pk_mul_f32 v[12:13], v[2:3], v[12:13]
	ds_write2st64_b32 v10, v12, v13 offset0:20 offset1:22
	s_waitcnt lgkmcnt(3)
	v_pk_mul_f32 v[12:13], v[2:3], v[16:17]
	ds_write2st64_b32 v10, v12, v13 offset0:24 offset1:26
	s_waitcnt lgkmcnt(2)
	v_pk_mul_f32 v[12:13], v[2:3], v[14:15]
	s_add_i32 s40, s40, 16
	v_cmp_eq_u32_e32 vcc, 0, v9
	ds_write2st64_b32 v10, v12, v13 offset0:28 offset1:30
	v_add_u32_e32 v10, 0x2000, v10
	s_or_b64 s[12:13], vcc, s[12:13]
	v_mov_b32_e32 v11, s40
	s_andn2_b64 exec, exec, s[12:13]
	s_cbranch_execnz .LBB34_36
; %bb.37:
	s_or_b64 exec, exec, s[12:13]
.LBB34_38:
	s_or_b64 exec, exec, s[10:11]
	v_and_b32_e32 v8, 7, v8
	v_cmp_ne_u32_e32 vcc, 0, v8
	s_and_saveexec_b64 s[10:11], vcc
	s_cbranch_execz .LBB34_41
; %bb.39:
	v_lshlrev_b32_e32 v9, 9, v11
	v_lshlrev_b32_e32 v10, 2, v0
	s_movk_i32 s12, 0x310
	v_add3_u32 v9, v9, v10, s12
	s_mov_b64 s[12:13], 0
.LBB34_40:                              ; =>This Inner Loop Header: Depth=1
	ds_read2st64_b32 v[10:11], v9 offset1:2
	v_add_u32_e32 v8, -1, v8
	v_cmp_eq_u32_e32 vcc, 0, v8
	s_or_b64 s[12:13], vcc, s[12:13]
	s_waitcnt lgkmcnt(0)
	v_pk_mul_f32 v[10:11], v[2:3], v[10:11]
	ds_write2st64_b32 v9, v10, v11 offset1:2
	v_add_u32_e32 v9, 0x400, v9
	s_andn2_b64 exec, exec, s[12:13]
	s_cbranch_execnz .LBB34_40
.LBB34_41:
	s_or_b64 exec, exec, s[10:11]
	v_add_u32_e32 v7, 1, v7
	v_and_b32_e32 v8, 0x3fffffe, v7
	v_cmp_ne_u32_e32 vcc, v7, v8
	v_lshl_add_u32 v3, v8, 7, v0
	s_orn2_b64 s[10:11], vcc, exec
.LBB34_42:
	s_or_b64 exec, exec, s[4:5]
	s_and_b64 exec, exec, s[10:11]
	s_cbranch_execz .LBB34_45
; %bb.43:
	v_mov_b32_e32 v7, 0x310
	v_lshl_add_u32 v7, v3, 2, v7
	s_mov_b64 s[4:5], 0
.LBB34_44:                              ; =>This Inner Loop Header: Depth=1
	ds_read_b32 v8, v7
	v_add_u32_e32 v3, 0x80, v3
	v_cmp_le_i32_e32 vcc, s19, v3
	s_or_b64 s[4:5], vcc, s[4:5]
	s_waitcnt lgkmcnt(0)
	v_mul_f32_e32 v8, v2, v8
	ds_write_b32 v7, v8
	v_add_u32_e32 v7, 0x200, v7
	s_andn2_b64 exec, exec, s[4:5]
	s_cbranch_execnz .LBB34_44
.LBB34_45:
	s_or_b64 exec, exec, s[2:3]
	s_mul_i32 s2, s33, s36
	v_cmp_eq_u32_e32 vcc, 0, v0
	s_mul_i32 s2, s2, s9
	s_waitcnt lgkmcnt(0)
	s_barrier
	s_and_saveexec_b64 s[4:5], vcc
	s_cbranch_execz .LBB34_47
; %bb.46:
	s_ashr_i32 s3, s2, 31
	s_lshl_b64 s[10:11], s[2:3], 2
	s_add_u32 s3, s22, s10
	s_mul_i32 s12, s33, s6
	s_addc_u32 s9, s23, s11
	s_ashr_i32 s13, s12, 31
	s_lshl_b64 s[12:13], s[12:13], 2
	s_add_u32 s3, s3, s12
	s_addc_u32 s6, s9, s13
	s_ashr_i32 s9, s8, 31
	s_lshl_b64 s[22:23], s[8:9], 2
	s_add_u32 s40, s3, s22
	s_addc_u32 s41, s6, s23
	s_add_u32 s3, s20, s10
	s_addc_u32 s6, s21, s11
	;; [unrolled: 2-line block ×3, first 2 shown]
	s_add_u32 s10, s3, s22
	v_mov_b32_e32 v2, 0
	s_addc_u32 s11, s6, s23
	global_store_dword v2, v5, s[40:41]
	global_store_dword v2, v6, s[10:11]
.LBB34_47:
	s_or_b64 exec, exec, s[4:5]
	v_mov_b32_e32 v57, 0
	v_mov_b32_e32 v56, 0
	;; [unrolled: 1-line block ×12, first 2 shown]
	s_and_saveexec_b64 s[4:5], s[0:1]
	s_cbranch_execz .LBB34_77
; %bb.48:
	s_ashr_i32 s19, s18, 31
	s_sub_i32 s3, s47, s25
	s_lshl_b64 s[0:1], s[18:19], 2
	s_add_u32 s14, s14, s0
	s_addc_u32 s15, s15, s1
	s_abs_i32 s18, s26
	v_cvt_f32_u32_e32 v3, s18
	s_sub_i32 s0, 0, s18
	s_mov_b32 s9, s17
	s_add_i32 s17, s7, -1
	v_rcp_iflag_f32_e32 v3, v3
	v_lshlrev_b64 v[22:23], 2, v[54:55]
	v_lshlrev_b32_e32 v2, 2, v0
	v_and_b32_e32 v76, 12, v2
	v_mul_f32_e32 v3, 0x4f7ffffe, v3
	v_cvt_u32_f32_e32 v3, v3
	v_and_b32_e32 v2, 0xfc, v2
	v_mov_b32_e32 v57, 0
	v_or_b32_e32 v6, 0x400, v2
	v_mul_lo_u32 v5, s0, v3
	s_lshl_b64 s[0:1], s[38:39], 2
	s_add_u32 s0, s34, s0
	v_mul_hi_u32 v5, v3, v5
	s_addc_u32 s1, s35, s1
	v_add_u32_e32 v77, v3, v5
	v_mov_b32_e32 v3, s1
	v_add_co_u32_e32 v68, vcc, s0, v22
	v_addc_co_u32_e32 v69, vcc, v3, v23, vcc
	v_lshlrev_b32_e32 v3, 4, v71
	v_or_b32_e32 v8, 0x500, v2
	v_or_b32_e32 v10, 0x600, v2
	;; [unrolled: 1-line block ×7, first 2 shown]
	v_lshl_or_b32 v3, v4, 6, v3
	v_add_u32_e32 v55, 0x310, v3
	s_mov_b64 s[6:7], 0
	v_lshlrev_b32_e32 v78, 2, v2
	v_lshlrev_b32_e32 v79, 2, v6
	;; [unrolled: 1-line block ×9, first 2 shown]
	v_mov_b32_e32 v56, v57
	v_mov_b32_e32 v59, v57
	;; [unrolled: 1-line block ×11, first 2 shown]
	s_branch .LBB34_51
.LBB34_49:                              ;   in Loop: Header=BB34_51 Depth=1
	s_or_b64 exec, exec, s[0:1]
	s_waitcnt vmcnt(1) lgkmcnt(0)
	v_mul_f32_e32 v51, v3, v51
	v_mul_f32_e32 v47, v3, v47
	;; [unrolled: 1-line block ×11, first 2 shown]
	s_waitcnt vmcnt(0)
	v_mul_f32_e32 v3, v3, v43
	v_fmac_f32_e32 v51, v2, v50
	v_fmac_f32_e32 v47, v2, v46
	;; [unrolled: 1-line block ×36, first 2 shown]
	v_add_f32_e32 v56, v56, v51
	v_add_f32_e32 v59, v59, v47
	;; [unrolled: 1-line block ×12, first 2 shown]
.LBB34_50:                              ;   in Loop: Header=BB34_51 Depth=1
	s_or_b64 exec, exec, s[10:11]
	v_add_co_u32_e32 v68, vcc, 8, v68
	v_add_u32_e32 v54, 2, v54
	v_addc_co_u32_e32 v69, vcc, 0, v69, vcc
	v_cmp_le_i32_e32 vcc, s24, v54
	v_add_u32_e32 v72, 32, v72
	s_or_b64 s[6:7], vcc, s[6:7]
	v_add_u32_e32 v55, 0x80, v55
	s_andn2_b64 exec, exec, s[6:7]
	s_cbranch_execz .LBB34_76
.LBB34_51:                              ; =>This Inner Loop Header: Depth=1
	v_sub_u32_e32 v3, 0, v72
	v_max_i32_e32 v3, v72, v3
	v_mul_hi_u32 v4, v3, s31
	v_mul_lo_u32 v5, v4, s16
	v_sub_u32_e32 v3, v3, v5
	v_add_u32_e32 v5, 1, v4
	v_cmp_le_u32_e32 vcc, s16, v3
	v_cndmask_b32_e32 v4, v4, v5, vcc
	v_subrev_u32_e32 v5, s16, v3
	v_cndmask_b32_e32 v3, v3, v5, vcc
	v_ashrrev_i32_e32 v2, 31, v72
	v_add_u32_e32 v5, 1, v4
	v_cmp_le_u32_e32 vcc, s16, v3
	v_xor_b32_e32 v2, s27, v2
	v_cndmask_b32_e32 v3, v4, v5, vcc
	v_xor_b32_e32 v3, v3, v2
	v_sub_u32_e32 v2, v3, v2
	v_add_u32_e32 v3, s46, v2
	v_sub_u32_e32 v5, 0, v3
	v_ashrrev_i32_e32 v4, 31, v3
	v_max_i32_e32 v3, v3, v5
	v_mul_hi_u32 v5, v3, v77
	v_mul_lo_u32 v5, v5, s18
	v_sub_u32_e32 v3, v3, v5
	v_subrev_u32_e32 v5, s18, v3
	v_cmp_le_u32_e32 vcc, s18, v3
	v_cndmask_b32_e32 v3, v3, v5, vcc
	v_subrev_u32_e32 v5, s18, v3
	v_cmp_le_u32_e32 vcc, s18, v3
	v_cndmask_b32_e32 v3, v3, v5, vcc
	v_xor_b32_e32 v3, v3, v4
	v_sub_u32_e32 v3, v3, v4
	v_cmp_eq_u32_e32 vcc, 0, v3
	v_cmp_lt_i32_e64 s[0:1], s3, v2
	s_or_b64 s[0:1], vcc, s[0:1]
	s_and_saveexec_b64 s[10:11], s[0:1]
	s_cbranch_execz .LBB34_50
; %bb.52:                               ;   in Loop: Header=BB34_51 Depth=1
	global_load_dword v2, v[68:69], off
	v_mov_b32_e32 v4, s15
	v_add_u32_e32 v87, v76, v72
	v_add_u32_e32 v90, 1, v87
	;; [unrolled: 1-line block ×4, first 2 shown]
	s_waitcnt vmcnt(0)
	v_mad_i64_i32 v[2:3], s[0:1], v2, s9, 0
	v_lshlrev_b64 v[2:3], 2, v[2:3]
	v_add_co_u32_e32 v42, vcc, s14, v2
	v_addc_co_u32_e32 v43, vcc, v4, v3, vcc
	v_add_co_u32_e32 v18, vcc, v42, v78
	v_addc_co_u32_e32 v19, vcc, 0, v43, vcc
	global_load_dwordx4 v[6:9], v[18:19], off
	ds_read_b128 v[2:5], v55
	v_cmp_eq_u32_e32 vcc, s17, v54
	s_and_saveexec_b64 s[12:13], vcc
	s_cbranch_execnz .LBB34_73
; %bb.53:                               ;   in Loop: Header=BB34_51 Depth=1
	s_or_b64 exec, exec, s[12:13]
	global_load_dwordx4 v[10:13], v[18:19], off offset:1024
	s_and_saveexec_b64 s[12:13], vcc
	s_cbranch_execnz .LBB34_74
.LBB34_54:                              ;   in Loop: Header=BB34_51 Depth=1
	s_or_b64 exec, exec, s[12:13]
	global_load_dwordx4 v[14:17], v[18:19], off offset:2048
	s_and_saveexec_b64 s[12:13], vcc
	s_cbranch_execnz .LBB34_75
.LBB34_55:                              ;   in Loop: Header=BB34_51 Depth=1
	s_or_b64 exec, exec, s[12:13]
	global_load_dwordx4 v[18:21], v[18:19], off offset:3072
	s_and_saveexec_b64 s[12:13], vcc
	s_cbranch_execz .LBB34_57
.LBB34_56:                              ;   in Loop: Header=BB34_51 Depth=1
	v_cmp_gt_i32_e64 s[0:1], s37, v87
	s_waitcnt vmcnt(0)
	v_cndmask_b32_e64 v18, 0, v18, s[0:1]
	v_cmp_gt_i32_e64 s[0:1], s37, v90
	v_cndmask_b32_e64 v19, 0, v19, s[0:1]
	v_cmp_gt_i32_e64 s[0:1], s37, v89
	;; [unrolled: 2-line block ×3, first 2 shown]
	v_cndmask_b32_e64 v21, 0, v21, s[0:1]
.LBB34_57:                              ;   in Loop: Header=BB34_51 Depth=1
	s_or_b64 exec, exec, s[12:13]
	v_add_co_u32_e64 v22, s[0:1], v42, v79
	v_addc_co_u32_e64 v23, s[0:1], 0, v43, s[0:1]
	global_load_dwordx4 v[22:25], v[22:23], off
	s_and_saveexec_b64 s[12:13], vcc
	s_cbranch_execz .LBB34_59
; %bb.58:                               ;   in Loop: Header=BB34_51 Depth=1
	v_cmp_gt_i32_e64 s[0:1], s37, v87
	s_waitcnt vmcnt(0)
	v_cndmask_b32_e64 v22, 0, v22, s[0:1]
	v_cmp_gt_i32_e64 s[0:1], s37, v90
	v_cndmask_b32_e64 v23, 0, v23, s[0:1]
	v_cmp_gt_i32_e64 s[0:1], s37, v89
	v_cndmask_b32_e64 v24, 0, v24, s[0:1]
	v_cmp_gt_i32_e64 s[0:1], s37, v88
	v_cndmask_b32_e64 v25, 0, v25, s[0:1]
.LBB34_59:                              ;   in Loop: Header=BB34_51 Depth=1
	s_or_b64 exec, exec, s[12:13]
	v_add_co_u32_e64 v26, s[0:1], v42, v80
	v_addc_co_u32_e64 v27, s[0:1], 0, v43, s[0:1]
	global_load_dwordx4 v[26:29], v[26:27], off
	s_and_saveexec_b64 s[12:13], vcc
	s_cbranch_execz .LBB34_61
; %bb.60:                               ;   in Loop: Header=BB34_51 Depth=1
	v_cmp_gt_i32_e64 s[0:1], s37, v87
	s_waitcnt vmcnt(0)
	v_cndmask_b32_e64 v26, 0, v26, s[0:1]
	v_cmp_gt_i32_e64 s[0:1], s37, v90
	v_cndmask_b32_e64 v27, 0, v27, s[0:1]
	v_cmp_gt_i32_e64 s[0:1], s37, v89
	v_cndmask_b32_e64 v28, 0, v28, s[0:1]
	v_cmp_gt_i32_e64 s[0:1], s37, v88
	v_cndmask_b32_e64 v29, 0, v29, s[0:1]
.LBB34_61:                              ;   in Loop: Header=BB34_51 Depth=1
	;; [unrolled: 17-line block ×7, first 2 shown]
	s_or_b64 exec, exec, s[12:13]
	v_add_co_u32_e64 v42, s[0:1], v42, v86
	v_addc_co_u32_e64 v43, s[0:1], 0, v43, s[0:1]
	global_load_dwordx4 v[42:45], v[42:43], off
	s_and_saveexec_b64 s[0:1], vcc
	s_cbranch_execz .LBB34_49
; %bb.72:                               ;   in Loop: Header=BB34_51 Depth=1
	v_cmp_gt_i32_e32 vcc, s37, v87
	s_waitcnt vmcnt(0)
	v_cndmask_b32_e32 v42, 0, v42, vcc
	v_cmp_gt_i32_e32 vcc, s37, v90
	v_cndmask_b32_e32 v43, 0, v43, vcc
	v_cmp_gt_i32_e32 vcc, s37, v89
	;; [unrolled: 2-line block ×3, first 2 shown]
	v_cndmask_b32_e32 v45, 0, v45, vcc
	s_branch .LBB34_49
.LBB34_73:                              ;   in Loop: Header=BB34_51 Depth=1
	v_cmp_gt_i32_e64 s[0:1], s37, v87
	s_waitcnt vmcnt(0)
	v_cndmask_b32_e64 v6, 0, v6, s[0:1]
	v_cmp_gt_i32_e64 s[0:1], s37, v90
	v_cndmask_b32_e64 v7, 0, v7, s[0:1]
	v_cmp_gt_i32_e64 s[0:1], s37, v89
	;; [unrolled: 2-line block ×3, first 2 shown]
	v_cndmask_b32_e64 v9, 0, v9, s[0:1]
	s_or_b64 exec, exec, s[12:13]
	global_load_dwordx4 v[10:13], v[18:19], off offset:1024
	s_and_saveexec_b64 s[12:13], vcc
	s_cbranch_execz .LBB34_54
.LBB34_74:                              ;   in Loop: Header=BB34_51 Depth=1
	v_cmp_gt_i32_e64 s[0:1], s37, v87
	s_waitcnt vmcnt(0)
	v_cndmask_b32_e64 v10, 0, v10, s[0:1]
	v_cmp_gt_i32_e64 s[0:1], s37, v90
	v_cndmask_b32_e64 v11, 0, v11, s[0:1]
	v_cmp_gt_i32_e64 s[0:1], s37, v89
	;; [unrolled: 2-line block ×3, first 2 shown]
	v_cndmask_b32_e64 v13, 0, v13, s[0:1]
	s_or_b64 exec, exec, s[12:13]
	global_load_dwordx4 v[14:17], v[18:19], off offset:2048
	s_and_saveexec_b64 s[12:13], vcc
	s_cbranch_execz .LBB34_55
.LBB34_75:                              ;   in Loop: Header=BB34_51 Depth=1
	v_cmp_gt_i32_e64 s[0:1], s37, v87
	s_waitcnt vmcnt(0)
	v_cndmask_b32_e64 v14, 0, v14, s[0:1]
	v_cmp_gt_i32_e64 s[0:1], s37, v90
	v_cndmask_b32_e64 v15, 0, v15, s[0:1]
	v_cmp_gt_i32_e64 s[0:1], s37, v89
	;; [unrolled: 2-line block ×3, first 2 shown]
	v_cndmask_b32_e64 v17, 0, v17, s[0:1]
	s_or_b64 exec, exec, s[12:13]
	global_load_dwordx4 v[18:21], v[18:19], off offset:3072
	s_and_saveexec_b64 s[12:13], vcc
	s_cbranch_execnz .LBB34_56
	s_branch .LBB34_57
.LBB34_76:
	s_or_b64 exec, exec, s[6:7]
.LBB34_77:
	s_or_b64 exec, exec, s[4:5]
	ds_bpermute_b32 v2, v75, v66
	ds_bpermute_b32 v3, v75, v67
	;; [unrolled: 1-line block ×6, first 2 shown]
	s_waitcnt lgkmcnt(4)
	v_pk_add_f32 v[2:3], v[66:67], v[2:3]
	ds_bpermute_b32 v6, v74, v2
	ds_bpermute_b32 v7, v74, v3
	;; [unrolled: 1-line block ×4, first 2 shown]
	s_waitcnt lgkmcnt(4)
	v_pk_add_f32 v[4:5], v[64:65], v[4:5]
	ds_bpermute_b32 v22, v75, v56
	s_waitcnt lgkmcnt(3)
	v_pk_add_f32 v[2:3], v[2:3], v[6:7]
	v_pk_add_f32 v[6:7], v[62:63], v[8:9]
	ds_bpermute_b32 v8, v75, v60
	ds_bpermute_b32 v9, v75, v61
	;; [unrolled: 1-line block ×4, first 2 shown]
	s_waitcnt lgkmcnt(5)
	v_pk_add_f32 v[14:15], v[58:59], v[14:15]
	ds_bpermute_b32 v23, v75, v57
	ds_bpermute_b32 v10, v74, v4
	;; [unrolled: 1-line block ×5, first 2 shown]
	s_waitcnt lgkmcnt(7)
	v_pk_add_f32 v[16:17], v[60:61], v[8:9]
	ds_bpermute_b32 v18, v74, v16
	ds_bpermute_b32 v19, v74, v17
	s_waitcnt lgkmcnt(7)
	v_pk_add_f32 v[8:9], v[6:7], v[12:13]
	s_waitcnt lgkmcnt(6)
	v_pk_add_f32 v[12:13], v[56:57], v[22:23]
	;; [unrolled: 2-line block ×4, first 2 shown]
	ds_bpermute_b32 v14, v74, v12
	ds_bpermute_b32 v15, v74, v13
	s_waitcnt lgkmcnt(2)
	v_pk_add_f32 v[6:7], v[16:17], v[18:19]
	v_and_b32_e32 v16, 0x3c3, v0
	v_cmp_ne_u32_e32 vcc, 64, v16
	s_waitcnt lgkmcnt(0)
	s_barrier
	s_and_saveexec_b64 s[0:1], vcc
	s_xor_b64 s[0:1], exec, s[0:1]
; %bb.78:
                                        ; implicit-def: $vgpr73
; %bb.79:
	s_or_saveexec_b64 s[0:1], s[0:1]
	v_pk_add_f32 v[12:13], v[12:13], v[14:15]
	s_xor_b64 exec, exec, s[0:1]
	s_cbranch_execz .LBB34_81
; %bb.80:
	v_add_u32_e32 v14, 0x310, v73
	ds_write2_b32 v14, v2, v3 offset1:16
	ds_write2_b32 v14, v10, v11 offset0:32 offset1:48
	ds_write2_b32 v14, v8, v9 offset0:64 offset1:80
	;; [unrolled: 1-line block ×5, first 2 shown]
.LBB34_81:
	s_or_b64 exec, exec, s[0:1]
	v_cmp_gt_u32_e32 vcc, 64, v0
	s_waitcnt lgkmcnt(0)
	s_barrier
	s_and_saveexec_b64 s[0:1], vcc
	s_cbranch_execz .LBB34_96
; %bb.82:
	v_cmp_eq_u32_e32 vcc, 0, v71
	s_and_saveexec_b64 s[4:5], vcc
	s_cbranch_execnz .LBB34_99
; %bb.83:
	s_or_b64 exec, exec, s[4:5]
	s_and_saveexec_b64 s[4:5], vcc
	s_cbranch_execnz .LBB34_100
.LBB34_84:
	s_or_b64 exec, exec, s[4:5]
	s_and_saveexec_b64 s[4:5], vcc
	s_cbranch_execnz .LBB34_101
.LBB34_85:
	s_or_b64 exec, exec, s[4:5]
	s_and_saveexec_b64 s[4:5], vcc
	s_cbranch_execnz .LBB34_102
.LBB34_86:
	s_or_b64 exec, exec, s[4:5]
	s_and_saveexec_b64 s[4:5], vcc
	s_cbranch_execnz .LBB34_103
.LBB34_87:
	s_or_b64 exec, exec, s[4:5]
	s_and_saveexec_b64 s[4:5], vcc
	s_cbranch_execnz .LBB34_104
.LBB34_88:
	s_or_b64 exec, exec, s[4:5]
	s_and_saveexec_b64 s[4:5], vcc
	s_cbranch_execnz .LBB34_105
.LBB34_89:
	s_or_b64 exec, exec, s[4:5]
	s_and_saveexec_b64 s[4:5], vcc
	s_cbranch_execnz .LBB34_106
.LBB34_90:
	s_or_b64 exec, exec, s[4:5]
	s_and_saveexec_b64 s[4:5], vcc
	s_cbranch_execnz .LBB34_107
.LBB34_91:
	s_or_b64 exec, exec, s[4:5]
	s_and_saveexec_b64 s[4:5], vcc
	s_cbranch_execnz .LBB34_108
.LBB34_92:
	s_or_b64 exec, exec, s[4:5]
	s_and_saveexec_b64 s[4:5], vcc
	s_cbranch_execnz .LBB34_109
.LBB34_93:
	s_or_b64 exec, exec, s[4:5]
	s_and_saveexec_b64 s[4:5], vcc
	s_cbranch_execz .LBB34_95
.LBB34_94:
	v_mov_b32_e32 v0, 0x310
	v_lshl_add_u32 v0, v70, 2, v0
	ds_read_b32 v0, v0 offset:704
	s_waitcnt lgkmcnt(0)
	v_add_f32_e32 v13, v13, v0
.LBB34_95:
	s_or_b64 exec, exec, s[4:5]
.LBB34_96:
	s_or_b64 exec, exec, s[0:1]
	v_cmp_eq_u32_e32 vcc, 0, v16
	s_barrier
	s_and_saveexec_b64 s[0:1], vcc
	s_cbranch_execz .LBB34_98
; %bb.97:
	s_mul_i32 s0, s2, 0xc0
	s_ashr_i32 s1, s0, 31
	s_lshl_b64 s[0:1], s[0:1], 2
	s_add_u32 s2, s28, s0
	s_mul_i32 s0, s33, s30
	s_addc_u32 s3, s29, s1
	s_ashr_i32 s1, s0, 31
	s_lshl_b64 s[0:1], s[0:1], 2
	s_add_u32 s2, s2, s0
	s_mul_i32 s0, s8, 0xc0
	s_addc_u32 s3, s3, s1
	s_ashr_i32 s1, s0, 31
	s_lshl_b64 s[0:1], s[0:1], 2
	s_add_u32 s0, s2, s0
	s_addc_u32 s1, s3, s1
	global_store_dword v1, v2, s[0:1]
	global_store_dword v1, v3, s[0:1] offset:64
	global_store_dword v1, v10, s[0:1] offset:128
	;; [unrolled: 1-line block ×11, first 2 shown]
.LBB34_98:
	s_endpgm
.LBB34_99:
	v_mov_b32_e32 v0, 0x310
	v_lshl_add_u32 v0, v70, 2, v0
	ds_read_b32 v0, v0
	s_waitcnt lgkmcnt(0)
	v_add_f32_e32 v2, v2, v0
	s_or_b64 exec, exec, s[4:5]
	s_and_saveexec_b64 s[4:5], vcc
	s_cbranch_execz .LBB34_84
.LBB34_100:
	v_mov_b32_e32 v0, 0x310
	v_lshl_add_u32 v0, v70, 2, v0
	ds_read_b32 v0, v0 offset:64
	s_waitcnt lgkmcnt(0)
	v_add_f32_e32 v3, v3, v0
	s_or_b64 exec, exec, s[4:5]
	s_and_saveexec_b64 s[4:5], vcc
	s_cbranch_execz .LBB34_85
.LBB34_101:
	v_mov_b32_e32 v0, 0x310
	v_lshl_add_u32 v0, v70, 2, v0
	ds_read_b32 v0, v0 offset:128
	s_waitcnt lgkmcnt(0)
	v_add_f32_e32 v10, v10, v0
	s_or_b64 exec, exec, s[4:5]
	s_and_saveexec_b64 s[4:5], vcc
	s_cbranch_execz .LBB34_86
.LBB34_102:
	v_mov_b32_e32 v0, 0x310
	v_lshl_add_u32 v0, v70, 2, v0
	ds_read_b32 v0, v0 offset:192
	s_waitcnt lgkmcnt(0)
	v_add_f32_e32 v11, v11, v0
	s_or_b64 exec, exec, s[4:5]
	s_and_saveexec_b64 s[4:5], vcc
	s_cbranch_execz .LBB34_87
.LBB34_103:
	v_mov_b32_e32 v0, 0x310
	v_lshl_add_u32 v0, v70, 2, v0
	ds_read_b32 v0, v0 offset:256
	s_waitcnt lgkmcnt(0)
	v_add_f32_e32 v8, v8, v0
	s_or_b64 exec, exec, s[4:5]
	s_and_saveexec_b64 s[4:5], vcc
	s_cbranch_execz .LBB34_88
.LBB34_104:
	v_mov_b32_e32 v0, 0x310
	v_lshl_add_u32 v0, v70, 2, v0
	ds_read_b32 v0, v0 offset:320
	s_waitcnt lgkmcnt(0)
	v_add_f32_e32 v9, v9, v0
	s_or_b64 exec, exec, s[4:5]
	s_and_saveexec_b64 s[4:5], vcc
	s_cbranch_execz .LBB34_89
.LBB34_105:
	v_mov_b32_e32 v0, 0x310
	v_lshl_add_u32 v0, v70, 2, v0
	ds_read_b32 v0, v0 offset:384
	s_waitcnt lgkmcnt(0)
	v_add_f32_e32 v6, v6, v0
	s_or_b64 exec, exec, s[4:5]
	s_and_saveexec_b64 s[4:5], vcc
	s_cbranch_execz .LBB34_90
.LBB34_106:
	v_mov_b32_e32 v0, 0x310
	v_lshl_add_u32 v0, v70, 2, v0
	ds_read_b32 v0, v0 offset:448
	s_waitcnt lgkmcnt(0)
	v_add_f32_e32 v7, v7, v0
	s_or_b64 exec, exec, s[4:5]
	s_and_saveexec_b64 s[4:5], vcc
	s_cbranch_execz .LBB34_91
.LBB34_107:
	v_mov_b32_e32 v0, 0x310
	v_lshl_add_u32 v0, v70, 2, v0
	ds_read_b32 v0, v0 offset:512
	s_waitcnt lgkmcnt(0)
	v_add_f32_e32 v4, v4, v0
	s_or_b64 exec, exec, s[4:5]
	s_and_saveexec_b64 s[4:5], vcc
	s_cbranch_execz .LBB34_92
.LBB34_108:
	v_mov_b32_e32 v0, 0x310
	v_lshl_add_u32 v0, v70, 2, v0
	ds_read_b32 v0, v0 offset:576
	s_waitcnt lgkmcnt(0)
	v_add_f32_e32 v5, v5, v0
	s_or_b64 exec, exec, s[4:5]
	s_and_saveexec_b64 s[4:5], vcc
	s_cbranch_execz .LBB34_93
.LBB34_109:
	v_mov_b32_e32 v0, 0x310
	v_lshl_add_u32 v0, v70, 2, v0
	ds_read_b32 v0, v0 offset:640
	s_waitcnt lgkmcnt(0)
	v_add_f32_e32 v12, v12, v0
	s_or_b64 exec, exec, s[4:5]
	s_and_saveexec_b64 s[4:5], vcc
	s_cbranch_execnz .LBB34_94
	s_branch .LBB34_95
	.section	.rodata,"a",@progbits
	.p2align	6, 0x0
	.amdhsa_kernel _ZN4vllm25paged_attention_v2_kernelIffLi192ELi16ELi128ELNS_18Fp8KVCacheDataTypeE0ELb1ELi512EEEvPfS2_PT_PKS3_PKT0_S9_ifPKiSB_iPKfiiiSD_SD_iiiii
		.amdhsa_group_segment_fixed_size 784
		.amdhsa_private_segment_fixed_size 0
		.amdhsa_kernarg_size 400
		.amdhsa_user_sgpr_count 6
		.amdhsa_user_sgpr_private_segment_buffer 1
		.amdhsa_user_sgpr_dispatch_ptr 0
		.amdhsa_user_sgpr_queue_ptr 0
		.amdhsa_user_sgpr_kernarg_segment_ptr 1
		.amdhsa_user_sgpr_dispatch_id 0
		.amdhsa_user_sgpr_flat_scratch_init 0
		.amdhsa_user_sgpr_kernarg_preload_length 0
		.amdhsa_user_sgpr_kernarg_preload_offset 0
		.amdhsa_user_sgpr_private_segment_size 0
		.amdhsa_uses_dynamic_stack 0
		.amdhsa_system_sgpr_private_segment_wavefront_offset 0
		.amdhsa_system_sgpr_workgroup_id_x 1
		.amdhsa_system_sgpr_workgroup_id_y 1
		.amdhsa_system_sgpr_workgroup_id_z 1
		.amdhsa_system_sgpr_workgroup_info 0
		.amdhsa_system_vgpr_workitem_id 0
		.amdhsa_next_free_vgpr 108
		.amdhsa_next_free_sgpr 54
		.amdhsa_accum_offset 108
		.amdhsa_reserve_vcc 1
		.amdhsa_reserve_flat_scratch 0
		.amdhsa_float_round_mode_32 0
		.amdhsa_float_round_mode_16_64 0
		.amdhsa_float_denorm_mode_32 3
		.amdhsa_float_denorm_mode_16_64 3
		.amdhsa_dx10_clamp 1
		.amdhsa_ieee_mode 1
		.amdhsa_fp16_overflow 0
		.amdhsa_tg_split 0
		.amdhsa_exception_fp_ieee_invalid_op 0
		.amdhsa_exception_fp_denorm_src 0
		.amdhsa_exception_fp_ieee_div_zero 0
		.amdhsa_exception_fp_ieee_overflow 0
		.amdhsa_exception_fp_ieee_underflow 0
		.amdhsa_exception_fp_ieee_inexact 0
		.amdhsa_exception_int_div_zero 0
	.end_amdhsa_kernel
	.section	.text._ZN4vllm25paged_attention_v2_kernelIffLi192ELi16ELi128ELNS_18Fp8KVCacheDataTypeE0ELb1ELi512EEEvPfS2_PT_PKS3_PKT0_S9_ifPKiSB_iPKfiiiSD_SD_iiiii,"axG",@progbits,_ZN4vllm25paged_attention_v2_kernelIffLi192ELi16ELi128ELNS_18Fp8KVCacheDataTypeE0ELb1ELi512EEEvPfS2_PT_PKS3_PKT0_S9_ifPKiSB_iPKfiiiSD_SD_iiiii,comdat
.Lfunc_end34:
	.size	_ZN4vllm25paged_attention_v2_kernelIffLi192ELi16ELi128ELNS_18Fp8KVCacheDataTypeE0ELb1ELi512EEEvPfS2_PT_PKS3_PKT0_S9_ifPKiSB_iPKfiiiSD_SD_iiiii, .Lfunc_end34-_ZN4vllm25paged_attention_v2_kernelIffLi192ELi16ELi128ELNS_18Fp8KVCacheDataTypeE0ELb1ELi512EEEvPfS2_PT_PKS3_PKT0_S9_ifPKiSB_iPKfiiiSD_SD_iiiii
                                        ; -- End function
	.section	.AMDGPU.csdata,"",@progbits
; Kernel info:
; codeLenInByte = 7440
; NumSgprs: 58
; NumVgprs: 108
; NumAgprs: 0
; TotalNumVgprs: 108
; ScratchSize: 0
; MemoryBound: 0
; FloatMode: 240
; IeeeMode: 1
; LDSByteSize: 784 bytes/workgroup (compile time only)
; SGPRBlocks: 7
; VGPRBlocks: 13
; NumSGPRsForWavesPerEU: 58
; NumVGPRsForWavesPerEU: 108
; AccumOffset: 108
; Occupancy: 4
; WaveLimiterHint : 1
; COMPUTE_PGM_RSRC2:SCRATCH_EN: 0
; COMPUTE_PGM_RSRC2:USER_SGPR: 6
; COMPUTE_PGM_RSRC2:TRAP_HANDLER: 0
; COMPUTE_PGM_RSRC2:TGID_X_EN: 1
; COMPUTE_PGM_RSRC2:TGID_Y_EN: 1
; COMPUTE_PGM_RSRC2:TGID_Z_EN: 1
; COMPUTE_PGM_RSRC2:TIDIG_COMP_CNT: 0
; COMPUTE_PGM_RSRC3_GFX90A:ACCUM_OFFSET: 26
; COMPUTE_PGM_RSRC3_GFX90A:TG_SPLIT: 0
	.section	.text._ZN4vllm25paged_attention_v2_kernelIffLi256ELi16ELi128ELNS_18Fp8KVCacheDataTypeE0ELb1ELi512EEEvPfS2_PT_PKS3_PKT0_S9_ifPKiSB_iPKfiiiSD_SD_iiiii,"axG",@progbits,_ZN4vllm25paged_attention_v2_kernelIffLi256ELi16ELi128ELNS_18Fp8KVCacheDataTypeE0ELb1ELi512EEEvPfS2_PT_PKS3_PKT0_S9_ifPKiSB_iPKfiiiSD_SD_iiiii,comdat
	.protected	_ZN4vllm25paged_attention_v2_kernelIffLi256ELi16ELi128ELNS_18Fp8KVCacheDataTypeE0ELb1ELi512EEEvPfS2_PT_PKS3_PKT0_S9_ifPKiSB_iPKfiiiSD_SD_iiiii ; -- Begin function _ZN4vllm25paged_attention_v2_kernelIffLi256ELi16ELi128ELNS_18Fp8KVCacheDataTypeE0ELb1ELi512EEEvPfS2_PT_PKS3_PKT0_S9_ifPKiSB_iPKfiiiSD_SD_iiiii
	.globl	_ZN4vllm25paged_attention_v2_kernelIffLi256ELi16ELi128ELNS_18Fp8KVCacheDataTypeE0ELb1ELi512EEEvPfS2_PT_PKS3_PKT0_S9_ifPKiSB_iPKfiiiSD_SD_iiiii
	.p2align	8
	.type	_ZN4vllm25paged_attention_v2_kernelIffLi256ELi16ELi128ELNS_18Fp8KVCacheDataTypeE0ELb1ELi512EEEvPfS2_PT_PKS3_PKT0_S9_ifPKiSB_iPKfiiiSD_SD_iiiii,@function
_ZN4vllm25paged_attention_v2_kernelIffLi256ELi16ELi128ELNS_18Fp8KVCacheDataTypeE0ELb1ELi512EEEvPfS2_PT_PKS3_PKT0_S9_ifPKiSB_iPKfiiiSD_SD_iiiii: ; @_ZN4vllm25paged_attention_v2_kernelIffLi256ELi16ELi128ELNS_18Fp8KVCacheDataTypeE0ELb1ELi512EEEvPfS2_PT_PKS3_PKT0_S9_ifPKiSB_iPKfiiiSD_SD_iiiii
; %bb.0:
	s_load_dwordx2 s[0:1], s[4:5], 0x40
	s_mov_b32 s36, s7
	s_ashr_i32 s37, s7, 31
	s_lshl_b64 s[2:3], s[36:37], 2
	s_waitcnt lgkmcnt(0)
	s_add_u32 s0, s0, s2
	s_addc_u32 s1, s1, s3
	s_load_dword s37, s[0:1], 0x0
	s_lshl_b32 s48, s8, 9
	s_waitcnt lgkmcnt(0)
	s_cmp_ge_i32 s48, s37
	s_cbranch_scc1 .LBB35_110
; %bb.1:
	s_load_dword s9, s[4:5], 0x90
	s_load_dwordx2 s[40:41], s[4:5], 0x30
	s_mov_b32 s49, 0
	s_waitcnt lgkmcnt(0)
	s_abs_i32 s2, s9
	s_abs_i32 s0, s40
	v_cvt_f32_u32_e32 v1, s0
	s_sub_i32 s3, 0, s0
	s_xor_b32 s1, s9, s40
	s_ashr_i32 s1, s1, 31
	v_rcp_iflag_f32_e32 v1, v1
	v_mul_f32_e32 v1, 0x4f7ffffe, v1
	v_cvt_u32_f32_e32 v1, v1
	v_readfirstlane_b32 s7, v1
	s_mul_i32 s3, s3, s7
	s_mul_hi_u32 s3, s7, s3
	s_add_i32 s7, s7, s3
	s_mul_hi_u32 s3, s2, s7
	s_mul_i32 s7, s3, s0
	s_sub_i32 s2, s2, s7
	s_add_i32 s10, s3, 1
	s_sub_i32 s7, s2, s0
	s_cmp_ge_u32 s2, s0
	s_cselect_b32 s3, s10, s3
	s_cselect_b32 s2, s7, s2
	s_add_i32 s7, s3, 1
	s_cmp_ge_u32 s2, s0
	s_cselect_b32 s0, s7, s3
	s_xor_b32 s0, s0, s1
	s_sub_i32 s24, s0, s1
	s_abs_i32 s38, s24
	v_cvt_f32_u32_e32 v1, s38
	s_load_dwordx2 s[0:1], s[4:5], 0x50
	s_sub_i32 s2, 0, s38
	s_abs_i32 s25, s6
	v_rcp_iflag_f32_e32 v1, v1
	v_mul_f32_e32 v1, 0x4f7ffffe, v1
	v_cvt_u32_f32_e32 v1, v1
	v_readfirstlane_b32 s3, v1
	s_mul_i32 s2, s2, s3
	s_mul_hi_u32 s2, s3, s2
	s_add_i32 s2, s3, s2
	s_waitcnt lgkmcnt(0)
	s_cmp_eq_u64 s[0:1], 0
	s_cbranch_scc1 .LBB35_3
; %bb.2:
	s_ashr_i32 s7, s6, 31
	s_lshl_b64 s[10:11], s[6:7], 2
	s_add_u32 s0, s0, s10
	s_addc_u32 s1, s1, s11
	s_load_dword s49, s[0:1], 0x0
.LBB35_3:
	s_load_dwordx4 s[20:23], s[4:5], 0x0
	s_load_dwordx2 s[28:29], s[4:5], 0x10
	s_load_dwordx4 s[12:15], s[4:5], 0x20
	s_load_dwordx2 s[34:35], s[4:5], 0x38
	s_load_dword s33, s[4:5], 0x98
	s_load_dwordx4 s[16:19], s[4:5], 0x58
	v_lshrrev_b32_e32 v90, 2, v0
	s_lshl_b32 s30, s6, 8
	s_movk_i32 s0, 0x100
	s_mul_hi_u32 s7, s25, s2
	v_and_b32_e32 v91, 3, v0
	s_ashr_i32 s31, s30, 31
	v_cmp_gt_u32_e32 vcc, s0, v0
	v_lshlrev_b32_e32 v1, 2, v90
	s_and_saveexec_b64 s[2:3], vcc
	s_cbranch_execz .LBB35_6
; %bb.4:
	s_load_dwordx2 s[0:1], s[4:5], 0x18
	s_waitcnt lgkmcnt(0)
	s_mul_i32 s10, s36, s16
	s_ashr_i32 s11, s10, 31
	s_lshl_b64 s[10:11], s[10:11], 2
	s_lshl_b64 s[26:27], s[30:31], 2
	s_add_u32 s10, s10, s26
	s_addc_u32 s11, s11, s27
	v_or_b32_e32 v2, v1, v91
	s_add_u32 s0, s0, s10
	v_lshlrev_b32_e32 v2, 2, v2
	s_addc_u32 s1, s1, s11
	v_mov_b32_e32 v3, s1
	v_add_co_u32_e32 v2, vcc, s0, v2
	v_subrev_u32_e32 v4, 32, v90
	v_lshl_add_u32 v5, v91, 8, v1
	v_addc_co_u32_e32 v3, vcc, 0, v3, vcc
	s_mov_b64 s[10:11], 0
.LBB35_5:                               ; =>This Inner Loop Header: Depth=1
	global_load_dword v6, v[2:3], off
	v_add_co_u32_e64 v4, s[0:1], 32, v4
	s_xor_b64 s[0:1], s[0:1], -1
	v_add_co_u32_e32 v2, vcc, 0x200, v2
	s_and_b64 s[0:1], exec, s[0:1]
	v_addc_co_u32_e32 v3, vcc, 0, v3, vcc
	s_or_b64 s[10:11], s[0:1], s[10:11]
	s_waitcnt vmcnt(0)
	ds_write_b32 v5, v6
	v_add_u32_e32 v5, 0x80, v5
	s_andn2_b64 exec, exec, s[10:11]
	s_cbranch_execnz .LBB35_5
.LBB35_6:
	s_or_b64 exec, exec, s[2:3]
	s_ashr_i32 s0, s6, 31
	s_ashr_i32 s1, s24, 31
	s_xor_b32 s0, s0, s1
	s_mul_i32 s1, s7, s38
	s_sub_i32 s1, s25, s1
	s_add_i32 s2, s7, 1
	s_sub_i32 s3, s1, s38
	s_load_dwordx4 s[24:27], s[4:5], 0x78
	s_cmp_ge_u32 s1, s38
	s_cselect_b32 s2, s2, s7
	s_cselect_b32 s1, s3, s1
	s_add_i32 s3, s2, 1
	s_cmp_ge_u32 s1, s38
	s_cselect_b32 s1, s3, s2
	s_load_dword s3, s[4:5], 0x88
	s_waitcnt lgkmcnt(0)
	s_abs_i32 s16, s27
	v_cvt_f32_u32_e32 v2, s16
	s_xor_b32 s1, s1, s0
	s_sub_i32 s2, s1, s0
	s_sub_i32 s0, 0, s16
	v_rcp_iflag_f32_e32 v2, v2
	s_add_i32 s11, s37, -1
	s_abs_i32 s7, s11
	v_mul_f32_e32 v2, 0x4f7ffffe, v2
	v_cvt_u32_f32_e32 v2, v2
	s_barrier
	v_readfirstlane_b32 s31, v2
	s_mul_i32 s0, s0, s31
	s_mul_hi_u32 s0, s31, s0
	s_add_i32 s31, s31, s0
	s_cmp_lt_i32 s3, 0
	s_mul_hi_u32 s10, s7, s31
	s_cbranch_scc0 .LBB35_8
; %bb.7:
	s_mul_i32 s0, s24, s40
	s_add_i32 s0, s2, s0
	s_mul_i32 s0, s0, s3
	s_sub_i32 s46, 1, s0
	s_ashr_i32 s11, s11, 31
	s_ashr_i32 s27, s27, 31
	s_cbranch_execz .LBB35_9
	s_branch .LBB35_10
.LBB35_8:
                                        ; implicit-def: $sgpr46
	s_ashr_i32 s11, s11, 31
	s_ashr_i32 s27, s27, 31
.LBB35_9:
	s_mul_i32 s0, s9, s24
	s_add_i32 s0, s0, s6
	s_mul_i32 s0, s0, s3
	s_add_i32 s46, s0, 1
.LBB35_10:
	s_load_dword s0, s[4:5], 0x48
	s_mul_i32 s3, s10, s16
	s_sub_i32 s3, s7, s3
	s_xor_b32 s1, s11, s27
	s_add_i32 s4, s10, 1
	s_waitcnt lgkmcnt(0)
	s_mul_i32 s38, s36, s0
	s_ashr_i32 s39, s38, 31
	s_sub_i32 s0, s3, s16
	s_cmp_ge_u32 s3, s16
	s_cselect_b32 s4, s4, s10
	s_cselect_b32 s0, s0, s3
	s_add_i32 s3, s4, 1
	s_cmp_ge_u32 s0, s16
	s_cselect_b32 s0, s3, s4
	s_xor_b32 s0, s0, s1
	s_sub_i32 s47, s0, s1
	s_add_i32 s0, s37, 15
	s_ashr_i32 s1, s0, 31
	s_lshr_b32 s1, s1, 28
	s_add_i32 s0, s0, s1
	s_lshl_b32 s40, s8, 5
	s_ashr_i32 s7, s0, 4
	s_add_i32 s0, s40, 32
	v_lshrrev_b32_e32 v6, 6, v0
	s_min_i32 s24, s0, s7
	v_or_b32_e32 v70, s40, v6
	v_cmp_gt_i32_e64 s[0:1], s24, v70
	v_mov_b32_e32 v13, 0xff7fffff
	s_mul_i32 s18, s2, s18
	v_ashrrev_i32_e32 v71, 31, v70
	v_lshl_add_u32 v92, v6, 4, s48
	v_mbcnt_lo_u32_b32 v7, -1, 0
	s_and_saveexec_b64 s[42:43], s[0:1]
	s_cbranch_execz .LBB35_20
; %bb.11:
	s_ashr_i32 s19, s18, 31
	s_sub_i32 s50, s47, s25
	s_lshl_b64 s[2:3], s[18:19], 2
	s_add_u32 s2, s12, s2
	s_addc_u32 s3, s13, s3
	s_abs_i32 s19, s26
	v_cvt_f32_u32_e32 v5, s19
	v_bfe_u32 v8, v0, 2, 4
	v_lshlrev_b32_e32 v2, 4, v8
	v_mov_b32_e32 v3, s3
	v_rcp_iflag_f32_e32 v5, v5
	v_add_co_u32_e64 v2, s[2:3], s2, v2
	v_addc_co_u32_e64 v3, s[2:3], 0, v3, s[2:3]
	v_lshlrev_b32_e32 v9, 2, v91
	v_add_co_u32_e64 v9, s[2:3], v2, v9
	v_mul_f32_e32 v2, 0x4f7ffffe, v5
	v_cvt_u32_f32_e32 v2, v2
	s_sub_i32 s4, 0, s19
	v_lshlrev_b32_e32 v4, 2, v8
	v_addc_co_u32_e64 v10, s[2:3], 0, v3, s[2:3]
	v_mul_lo_u32 v3, s4, v2
	s_lshl_b64 s[4:5], s[38:39], 2
	v_mul_hi_u32 v3, v2, v3
	s_add_u32 s4, s34, s4
	v_lshl_or_b32 v4, v6, 6, v4
	v_add_u32_e32 v12, v2, v3
	v_lshlrev_b64 v[2:3], 2, v[70:71]
	s_addc_u32 s5, s35, s5
	v_add_u32_e32 v15, 0x410, v4
	v_subrev_u32_e32 v4, s37, v8
	v_mbcnt_hi_u32_b32 v18, -1, v7
	v_mov_b32_e32 v5, s5
	v_add_co_u32_e64 v2, s[4:5], s4, v2
	v_add_u32_e32 v16, 1, v4
	v_and_b32_e32 v4, 64, v18
	v_cmp_eq_u32_e32 vcc, 0, v91
	s_mov_b32 s51, s17
	v_lshlrev_b32_e32 v11, 8, v91
	v_cmp_neq_f32_e64 s[2:3], s49, 0
	v_addc_co_u32_e64 v3, s[4:5], v5, v3, s[4:5]
	v_lshl_add_u32 v14, v6, 4, s48
	s_mov_b64 s[12:13], 0
	v_mov_b32_e32 v17, 0xff7fffff
	s_movk_i32 s52, 0x1000
	s_movk_i32 s53, 0x2000
	;; [unrolled: 1-line block ×3, first 2 shown]
	v_add_u32_e32 v19, 64, v4
	v_xor_b32_e32 v20, 2, v18
	v_xor_b32_e32 v21, 1, v18
	v_mov_b32_e32 v13, 0xff7fffff
	v_mov_b32_e32 v22, v70
	s_branch .LBB35_14
.LBB35_12:                              ;   in Loop: Header=BB35_14 Depth=1
	s_or_b64 exec, exec, s[44:45]
.LBB35_13:                              ;   in Loop: Header=BB35_14 Depth=1
	s_or_b64 exec, exec, s[10:11]
	v_add_co_u32_e64 v2, s[4:5], 8, v2
	v_add_u32_e32 v22, 2, v22
	v_addc_co_u32_e64 v3, s[4:5], 0, v3, s[4:5]
	v_cmp_le_i32_e64 s[4:5], s24, v22
	v_add_u32_e32 v14, 32, v14
	s_or_b64 s[12:13], s[4:5], s[12:13]
	v_add_u32_e32 v15, 0x80, v15
	s_andn2_b64 exec, exec, s[12:13]
	s_cbranch_execz .LBB35_19
.LBB35_14:                              ; =>This Inner Loop Header: Depth=1
	s_waitcnt lgkmcnt(0)
	v_sub_u32_e32 v5, 0, v14
	v_max_i32_e32 v5, v14, v5
	v_mul_hi_u32 v23, v5, s31
	v_mul_lo_u32 v24, v23, s16
	v_sub_u32_e32 v5, v5, v24
	v_add_u32_e32 v24, 1, v23
	v_cmp_le_u32_e64 s[4:5], s16, v5
	v_cndmask_b32_e64 v23, v23, v24, s[4:5]
	v_subrev_u32_e32 v24, s16, v5
	v_cndmask_b32_e64 v5, v5, v24, s[4:5]
	v_ashrrev_i32_e32 v4, 31, v14
	v_add_u32_e32 v24, 1, v23
	v_cmp_le_u32_e64 s[4:5], s16, v5
	v_xor_b32_e32 v4, s27, v4
	v_cndmask_b32_e64 v5, v23, v24, s[4:5]
	v_xor_b32_e32 v5, v5, v4
	v_sub_u32_e32 v4, v5, v4
	v_add_u32_e32 v5, s46, v4
	v_sub_u32_e32 v24, 0, v5
	v_ashrrev_i32_e32 v23, 31, v5
	v_max_i32_e32 v5, v5, v24
	v_mul_hi_u32 v24, v5, v12
	v_mul_lo_u32 v24, v24, s19
	v_sub_u32_e32 v5, v5, v24
	v_subrev_u32_e32 v24, s19, v5
	v_cmp_le_u32_e64 s[4:5], s19, v5
	v_cndmask_b32_e64 v5, v5, v24, s[4:5]
	v_subrev_u32_e32 v24, s19, v5
	v_cmp_le_u32_e64 s[4:5], s19, v5
	v_cndmask_b32_e64 v5, v5, v24, s[4:5]
	v_xor_b32_e32 v5, v5, v23
	v_sub_u32_e32 v5, v5, v23
	v_cmp_ne_u32_e64 s[4:5], 0, v5
	v_cmp_ge_i32_e64 s[10:11], s50, v4
	s_and_b64 s[4:5], s[4:5], s[10:11]
	s_and_b64 s[44:45], vcc, s[4:5]
	s_and_saveexec_b64 s[10:11], s[44:45]
	s_cbranch_execz .LBB35_16
; %bb.15:                               ;   in Loop: Header=BB35_14 Depth=1
	ds_write_b32 v15, v17
.LBB35_16:                              ;   in Loop: Header=BB35_14 Depth=1
	s_or_b64 exec, exec, s[10:11]
	s_xor_b64 s[4:5], s[4:5], -1
	s_and_saveexec_b64 s[10:11], s[4:5]
	s_cbranch_execz .LBB35_13
; %bb.17:                               ;   in Loop: Header=BB35_14 Depth=1
	global_load_dword v4, v[2:3], off
	s_waitcnt vmcnt(0)
	v_mad_i64_i32 v[4:5], s[4:5], v4, s51, 0
	v_lshlrev_b64 v[4:5], 2, v[4:5]
	v_add_co_u32_e64 v4, s[4:5], v9, v4
	v_addc_co_u32_e64 v5, s[4:5], v10, v5, s[4:5]
	global_load_dword v23, v[4:5], off offset:256
	global_load_dword v40, v[4:5], off
	global_load_dword v41, v[4:5], off offset:512
	global_load_dword v42, v[4:5], off offset:768
	;; [unrolled: 1-line block ×14, first 2 shown]
	v_add_co_u32_e64 v36, s[4:5], s52, v4
	v_addc_co_u32_e64 v37, s[4:5], 0, v5, s[4:5]
	v_add_co_u32_e64 v38, s[4:5], s53, v4
	v_addc_co_u32_e64 v39, s[4:5], 0, v5, s[4:5]
	global_load_dword v55, v[38:39], off offset:-4096
	global_load_dword v56, v[36:37], off offset:256
	global_load_dword v57, v[36:37], off offset:512
	;; [unrolled: 1-line block ×3, first 2 shown]
	ds_read_b128 v[24:27], v11
	ds_read_b128 v[28:31], v11 offset:16
	ds_read_b128 v[32:35], v11 offset:32
	global_load_dword v59, v[36:37], off offset:1024
	global_load_dword v60, v[36:37], off offset:1280
	global_load_dword v61, v[36:37], off offset:1536
	global_load_dword v62, v[36:37], off offset:1792
	global_load_dword v63, v[36:37], off offset:2048
	global_load_dword v64, v[36:37], off offset:2304
	global_load_dword v65, v[36:37], off offset:2560
	global_load_dword v66, v[36:37], off offset:2816
	global_load_dword v67, v[36:37], off offset:3072
	global_load_dword v68, v[36:37], off offset:3328
	global_load_dword v69, v[36:37], off offset:3584
	s_nop 0
	global_load_dword v36, v[36:37], off offset:3840
	v_add_co_u32_e64 v4, s[4:5], s54, v4
	v_addc_co_u32_e64 v5, s[4:5], 0, v5, s[4:5]
	v_cmp_lt_i32_e64 s[4:5], v20, v19
	s_waitcnt vmcnt(31) lgkmcnt(2)
	v_mul_f32_e32 v23, v25, v23
	s_waitcnt vmcnt(30)
	v_fmac_f32_e32 v23, v24, v40
	s_waitcnt vmcnt(29)
	v_fmac_f32_e32 v23, v26, v41
	;; [unrolled: 2-line block ×3, first 2 shown]
	global_load_dword v40, v[38:39], off
	global_load_dword v41, v[38:39], off offset:256
	global_load_dword v42, v[38:39], off offset:512
	;; [unrolled: 1-line block ×7, first 2 shown]
	s_waitcnt vmcnt(35) lgkmcnt(1)
	v_fmac_f32_e32 v23, v28, v43
	s_waitcnt vmcnt(34)
	v_fmac_f32_e32 v23, v29, v44
	s_waitcnt vmcnt(33)
	;; [unrolled: 2-line block ×3, first 2 shown]
	v_fmac_f32_e32 v23, v31, v46
	s_waitcnt vmcnt(31) lgkmcnt(0)
	v_fmac_f32_e32 v23, v32, v47
	global_load_dword v44, v[38:39], off offset:2048
	global_load_dword v45, v[38:39], off offset:2304
	;; [unrolled: 1-line block ×8, first 2 shown]
	ds_read_b128 v[24:27], v11 offset:48
	s_waitcnt vmcnt(38)
	v_fmac_f32_e32 v23, v33, v48
	s_waitcnt vmcnt(37)
	v_fmac_f32_e32 v23, v34, v49
	;; [unrolled: 2-line block ×3, first 2 shown]
	ds_read_b128 v[28:31], v11 offset:64
	ds_read_b128 v[32:35], v11 offset:80
	global_load_dword v47, v[4:5], off
	global_load_dword v48, v[4:5], off offset:3840
	s_waitcnt vmcnt(37) lgkmcnt(2)
	v_fmac_f32_e32 v23, v24, v51
	s_waitcnt vmcnt(36)
	v_fmac_f32_e32 v23, v25, v52
	s_waitcnt vmcnt(35)
	;; [unrolled: 2-line block ×3, first 2 shown]
	v_fmac_f32_e32 v23, v27, v54
	s_waitcnt vmcnt(33) lgkmcnt(1)
	v_fmac_f32_e32 v23, v28, v55
	s_waitcnt vmcnt(32)
	v_fmac_f32_e32 v23, v29, v56
	global_load_dword v49, v[4:5], off offset:256
	global_load_dword v50, v[4:5], off offset:512
	global_load_dword v51, v[4:5], off offset:768
	global_load_dword v52, v[4:5], off offset:1024
	global_load_dword v53, v[4:5], off offset:1280
	global_load_dword v54, v[4:5], off offset:1536
	global_load_dword v55, v[4:5], off offset:1792
	global_load_dword v56, v[4:5], off offset:2048
	s_waitcnt vmcnt(39)
	v_fmac_f32_e32 v23, v30, v57
	s_waitcnt vmcnt(38)
	v_fmac_f32_e32 v23, v31, v58
	global_load_dword v57, v[4:5], off offset:2304
	global_load_dword v58, v[4:5], off offset:2560
	;; [unrolled: 1-line block ×5, first 2 shown]
	s_nop 0
	global_load_dword v4, v[4:5], off offset:3584
	ds_read_b128 v[24:27], v11 offset:96
	ds_read_b128 v[28:31], v11 offset:112
	s_waitcnt vmcnt(43) lgkmcnt(2)
	v_fmac_f32_e32 v23, v32, v59
	s_waitcnt vmcnt(42)
	v_fmac_f32_e32 v23, v33, v60
	s_waitcnt vmcnt(41)
	;; [unrolled: 2-line block ×3, first 2 shown]
	v_fmac_f32_e32 v23, v35, v62
	s_waitcnt vmcnt(39) lgkmcnt(1)
	v_fmac_f32_e32 v23, v24, v63
	s_waitcnt vmcnt(38)
	v_fmac_f32_e32 v23, v25, v64
	s_waitcnt vmcnt(37)
	;; [unrolled: 2-line block ×3, first 2 shown]
	v_fmac_f32_e32 v23, v27, v66
	ds_read_b128 v[24:27], v11 offset:128
	ds_read_b128 v[32:35], v11 offset:144
	s_waitcnt vmcnt(35) lgkmcnt(2)
	v_fmac_f32_e32 v23, v28, v67
	s_waitcnt vmcnt(34)
	v_fmac_f32_e32 v23, v29, v68
	s_waitcnt vmcnt(33)
	;; [unrolled: 2-line block ×3, first 2 shown]
	v_fmac_f32_e32 v23, v31, v36
	ds_read_b128 v[28:31], v11 offset:160
	ds_read_b128 v[36:39], v11 offset:176
	v_cndmask_b32_e64 v5, v18, v20, s[4:5]
	v_lshlrev_b32_e32 v5, 2, v5
	v_cmp_lt_i32_e64 s[4:5], v21, v19
	s_waitcnt vmcnt(31) lgkmcnt(3)
	v_fmac_f32_e32 v23, v24, v40
	s_waitcnt vmcnt(30)
	v_fmac_f32_e32 v23, v25, v41
	s_waitcnt vmcnt(29)
	v_fmac_f32_e32 v23, v26, v42
	s_waitcnt vmcnt(28)
	v_fmac_f32_e32 v23, v27, v72
	s_waitcnt vmcnt(27) lgkmcnt(2)
	v_fmac_f32_e32 v23, v32, v73
	s_waitcnt vmcnt(26)
	v_fmac_f32_e32 v23, v33, v74
	s_waitcnt vmcnt(25)
	v_fmac_f32_e32 v23, v34, v75
	s_waitcnt vmcnt(24)
	v_fmac_f32_e32 v23, v35, v76
	;; [unrolled: 8-line block ×3, first 2 shown]
	ds_read_b128 v[24:27], v11 offset:192
	ds_read_b128 v[40:43], v11 offset:208
	s_waitcnt vmcnt(19) lgkmcnt(2)
	v_fmac_f32_e32 v23, v36, v78
	s_waitcnt vmcnt(18)
	v_fmac_f32_e32 v23, v37, v79
	s_waitcnt vmcnt(17)
	v_fmac_f32_e32 v23, v38, v80
	s_waitcnt vmcnt(16)
	v_fmac_f32_e32 v23, v39, v81
	ds_read_b128 v[28:31], v11 offset:240
	s_waitcnt vmcnt(15) lgkmcnt(2)
	v_fmac_f32_e32 v23, v24, v47
	s_waitcnt vmcnt(13)
	v_fmac_f32_e32 v23, v25, v49
	s_waitcnt vmcnt(12)
	v_fmac_f32_e32 v23, v50, v26
	s_waitcnt vmcnt(11)
	v_fmac_f32_e32 v23, v51, v27
	;; [unrolled: 9-line block ×3, first 2 shown]
	s_waitcnt vmcnt(6) lgkmcnt(0)
	v_fmac_f32_e32 v23, v56, v24
	s_waitcnt vmcnt(5)
	v_fmac_f32_e32 v23, v57, v25
	s_waitcnt vmcnt(4)
	v_fmac_f32_e32 v23, v58, v26
	s_waitcnt vmcnt(3)
	v_fmac_f32_e32 v23, v82, v27
	s_waitcnt vmcnt(2)
	v_fmac_f32_e32 v23, v83, v28
	s_waitcnt vmcnt(1)
	v_fmac_f32_e32 v23, v84, v29
	s_waitcnt vmcnt(0)
	v_fmac_f32_e32 v23, v4, v30
	v_fmac_f32_e32 v23, v48, v31
	ds_bpermute_b32 v4, v5, v23
	v_cndmask_b32_e64 v5, v18, v21, s[4:5]
	v_lshlrev_b32_e32 v5, 2, v5
	s_waitcnt lgkmcnt(0)
	v_add_f32_e32 v4, v23, v4
	ds_bpermute_b32 v5, v5, v4
	s_and_saveexec_b64 s[44:45], vcc
	s_cbranch_execz .LBB35_12
; %bb.18:                               ;   in Loop: Header=BB35_14 Depth=1
	v_add_u32_e32 v23, v16, v14
	v_cvt_f32_i32_e32 v23, v23
	s_waitcnt lgkmcnt(0)
	v_add_f32_e32 v4, v4, v5
	v_add_u32_e32 v24, v8, v14
	v_cmp_gt_i32_e64 s[4:5], s37, v24
	v_mul_f32_e32 v5, s49, v23
	v_cndmask_b32_e64 v5, 0, v5, s[2:3]
	v_fmac_f32_e32 v5, s41, v4
	v_cndmask_b32_e64 v4, 0, v5, s[4:5]
	ds_write_b32 v15, v4
	v_max_f32_e32 v4, v13, v13
	v_max_f32_e32 v4, v4, v5
	v_cndmask_b32_e64 v13, v13, v4, s[4:5]
	s_branch .LBB35_12
.LBB35_19:
	s_or_b64 exec, exec, s[12:13]
.LBB35_20:
	s_or_b64 exec, exec, s[42:43]
	v_mbcnt_hi_u32_b32 v2, -1, v7
	v_and_b32_e32 v3, 64, v2
	v_add_u32_e32 v3, 64, v3
	v_xor_b32_e32 v4, 32, v2
	v_cmp_lt_i32_e32 vcc, v4, v3
	v_cndmask_b32_e32 v4, v2, v4, vcc
	s_waitcnt lgkmcnt(0)
	v_lshlrev_b32_e32 v5, 2, v4
	ds_bpermute_b32 v4, v5, v13
	v_xor_b32_e32 v8, 16, v2
	v_max_f32_e32 v7, v13, v13
	v_cmp_lt_i32_e32 vcc, v8, v3
	v_xor_b32_e32 v9, 8, v2
	s_waitcnt lgkmcnt(0)
	v_max_f32_e32 v4, v4, v4
	v_max_f32_e32 v4, v7, v4
	v_cndmask_b32_e32 v7, v2, v8, vcc
	v_lshlrev_b32_e32 v7, 2, v7
	ds_bpermute_b32 v8, v7, v4
	v_cmp_lt_i32_e32 vcc, v9, v3
	v_and_b32_e32 v93, 63, v0
	s_waitcnt lgkmcnt(0)
	v_max_f32_e32 v8, v8, v8
	v_max_f32_e32 v4, v4, v8
	v_cndmask_b32_e32 v8, v2, v9, vcc
	v_lshlrev_b32_e32 v10, 2, v8
	ds_bpermute_b32 v8, v10, v4
	v_xor_b32_e32 v9, 4, v2
	v_cmp_lt_i32_e32 vcc, v9, v3
	s_waitcnt lgkmcnt(0)
	v_max_f32_e32 v8, v8, v8
	v_max_f32_e32 v4, v4, v8
	v_cndmask_b32_e32 v8, v2, v9, vcc
	v_lshlrev_b32_e32 v11, 2, v8
	ds_bpermute_b32 v9, v11, v4
	v_cmp_eq_u32_e32 vcc, 0, v93
	v_lshlrev_b32_e32 v8, 2, v6
	s_and_saveexec_b64 s[2:3], vcc
	s_cbranch_execz .LBB35_22
; %bb.21:
	s_waitcnt lgkmcnt(0)
	v_max_f32_e32 v9, v9, v9
	v_max_f32_e32 v4, v4, v4
	;; [unrolled: 1-line block ×3, first 2 shown]
	ds_write_b32 v8, v4 offset:1024
.LBB35_22:
	s_or_b64 exec, exec, s[2:3]
	v_cmp_gt_u32_e64 s[2:3], 2, v93
	v_mov_b32_e32 v4, 0xff7fffff
	s_waitcnt lgkmcnt(0)
	v_lshlrev_b32_e32 v9, 2, v93
	s_barrier
	s_and_saveexec_b64 s[4:5], s[2:3]
	s_cbranch_execz .LBB35_24
; %bb.23:
	ds_read_b32 v4, v9 offset:1024
.LBB35_24:
	s_or_b64 exec, exec, s[4:5]
	v_xor_b32_e32 v12, 1, v2
	v_cmp_lt_i32_e64 s[4:5], v12, v3
	v_cndmask_b32_e64 v12, v2, v12, s[4:5]
	v_lshlrev_b32_e32 v94, 2, v12
	s_waitcnt lgkmcnt(0)
	ds_bpermute_b32 v12, v94, v4
	v_max_f32_e32 v4, v4, v4
	s_sub_i32 s4, s24, s40
	s_lshl_b32 s4, s4, 4
	s_add_i32 s4, s4, s48
	s_waitcnt lgkmcnt(0)
	v_max_f32_e32 v12, v12, v12
	v_max_f32_e32 v4, v4, v12
	v_lshlrev_b32_e32 v12, 2, v2
	v_and_b32_e32 v12, 0x100, v12
	ds_bpermute_b32 v4, v12, v4
	s_min_i32 s42, s4, s37
	s_sub_i32 s19, s42, s48
	v_cmp_gt_i32_e64 s[4:5], s19, v0
	v_mov_b32_e32 v13, 0
	s_and_saveexec_b64 s[12:13], s[4:5]
	s_cbranch_execz .LBB35_28
; %bb.25:
	v_mov_b32_e32 v13, 0x410
	v_lshl_add_u32 v14, v0, 2, v13
	s_mov_b64 s[40:41], 0
	v_mov_b32_e32 v13, 0
	v_mov_b32_e32 v15, v0
.LBB35_26:                              ; =>This Inner Loop Header: Depth=1
	ds_read_b32 v16, v14
	v_add_u32_e32 v15, 0x80, v15
	v_cmp_le_i32_e64 s[10:11], s19, v15
	s_or_b64 s[40:41], s[10:11], s[40:41]
	s_waitcnt lgkmcnt(0)
	v_sub_f32_e32 v16, v16, v4
	v_mul_f32_e32 v16, 0x3fb8aa3b, v16
	v_exp_f32_e32 v16, v16
	ds_write_b32 v14, v16
	v_add_f32_e32 v13, v13, v16
	v_add_u32_e32 v14, 0x200, v14
	s_andn2_b64 exec, exec, s[40:41]
	s_cbranch_execnz .LBB35_26
; %bb.27:
	s_or_b64 exec, exec, s[40:41]
.LBB35_28:
	s_or_b64 exec, exec, s[12:13]
	ds_bpermute_b32 v5, v5, v13
	s_waitcnt lgkmcnt(0)
	v_add_f32_e32 v5, v13, v5
	ds_bpermute_b32 v7, v7, v5
	s_waitcnt lgkmcnt(0)
	v_add_f32_e32 v5, v5, v7
	ds_bpermute_b32 v7, v10, v5
	v_xor_b32_e32 v10, 2, v2
	v_cmp_lt_i32_e64 s[10:11], v10, v3
	v_cndmask_b32_e64 v2, v2, v10, s[10:11]
	v_lshlrev_b32_e32 v95, 2, v2
	s_waitcnt lgkmcnt(0)
	v_add_f32_e32 v5, v5, v7
	ds_bpermute_b32 v7, v11, v5
	s_waitcnt lgkmcnt(0)
	v_add_f32_e32 v3, v5, v7
	ds_bpermute_b32 v2, v95, v3
	s_waitcnt lgkmcnt(0)
	v_add_f32_e32 v2, v3, v2
	ds_bpermute_b32 v3, v94, v2
	s_waitcnt lgkmcnt(0)
	v_add_f32_e32 v2, v2, v3
	s_and_saveexec_b64 s[10:11], vcc
	s_cbranch_execz .LBB35_30
; %bb.29:
	ds_write_b32 v8, v2 offset:1032
.LBB35_30:
	s_or_b64 exec, exec, s[10:11]
	s_waitcnt lgkmcnt(0)
	s_barrier
	s_and_saveexec_b64 s[10:11], s[2:3]
	s_cbranch_execz .LBB35_32
; %bb.31:
	ds_read_b32 v2, v9 offset:1032
.LBB35_32:
	s_or_b64 exec, exec, s[10:11]
	s_waitcnt lgkmcnt(0)
	ds_bpermute_b32 v3, v94, v2
	s_waitcnt lgkmcnt(0)
	v_add_f32_e32 v2, v2, v3
	ds_bpermute_b32 v5, v12, v2
	s_and_saveexec_b64 s[2:3], s[4:5]
	s_cbranch_execz .LBB35_45
; %bb.33:
	s_waitcnt lgkmcnt(0)
	v_add_f32_e32 v2, 0x358637bd, v5
	v_div_scale_f32 v3, s[4:5], v2, v2, 1.0
	v_rcp_f32_e32 v7, v3
	v_div_scale_f32 v8, vcc, 1.0, v2, 1.0
	s_movk_i32 s4, 0x7f
	v_fma_f32 v9, -v3, v7, 1.0
	v_fmac_f32_e32 v7, v9, v7
	v_mul_f32_e32 v9, v8, v7
	v_fma_f32 v10, -v3, v9, v8
	v_fmac_f32_e32 v9, v10, v7
	v_fma_f32 v3, -v3, v9, v8
	v_div_fmas_f32 v3, v3, v7, v9
	v_div_fixup_f32 v2, v3, v2, 1.0
	v_xad_u32 v3, v0, -1, s42
	v_subrev_u32_e32 v7, s48, v3
	v_cmp_lt_u32_e32 vcc, s4, v7
	s_mov_b64 s[10:11], -1
	v_mov_b32_e32 v3, v0
	s_and_saveexec_b64 s[4:5], vcc
	s_cbranch_execz .LBB35_42
; %bb.34:
	v_lshrrev_b32_e32 v7, 7, v7
	v_add_u32_e32 v9, -1, v7
	v_lshrrev_b32_e32 v8, 1, v9
	v_mov_b32_e32 v3, v2
	v_add_u32_e32 v8, 1, v8
	v_cmp_lt_u32_e32 vcc, 13, v9
	v_mov_b32_e32 v11, 0
	s_and_saveexec_b64 s[10:11], vcc
	s_cbranch_execz .LBB35_38
; %bb.35:
	v_mov_b32_e32 v10, 0x410
	v_and_b32_e32 v9, -8, v8
	v_lshl_add_u32 v10, v0, 2, v10
	s_mov_b32 s40, 0
	s_mov_b64 s[12:13], 0
.LBB35_36:                              ; =>This Inner Loop Header: Depth=1
	ds_read2st64_b32 v[12:13], v10 offset1:2
	ds_read2st64_b32 v[14:15], v10 offset0:4 offset1:6
	ds_read2st64_b32 v[16:17], v10 offset0:8 offset1:10
	;; [unrolled: 1-line block ×3, first 2 shown]
	v_add_u32_e32 v9, -8, v9
	s_waitcnt lgkmcnt(3)
	v_pk_mul_f32 v[12:13], v[2:3], v[12:13]
	s_waitcnt lgkmcnt(2)
	v_pk_mul_f32 v[14:15], v[2:3], v[14:15]
	ds_write2st64_b32 v10, v12, v13 offset1:2
	ds_write2st64_b32 v10, v14, v15 offset0:4 offset1:6
	ds_read2st64_b32 v[14:15], v10 offset0:16 offset1:18
	s_waitcnt lgkmcnt(4)
	v_pk_mul_f32 v[12:13], v[2:3], v[16:17]
	ds_write2st64_b32 v10, v12, v13 offset0:8 offset1:10
	s_waitcnt lgkmcnt(4)
	v_pk_mul_f32 v[12:13], v[2:3], v[18:19]
	ds_write2st64_b32 v10, v12, v13 offset0:12 offset1:14
	ds_read2st64_b32 v[12:13], v10 offset0:20 offset1:22
	s_waitcnt lgkmcnt(3)
	v_pk_mul_f32 v[14:15], v[2:3], v[14:15]
	ds_read2st64_b32 v[16:17], v10 offset0:24 offset1:26
	ds_write2st64_b32 v10, v14, v15 offset0:16 offset1:18
	ds_read2st64_b32 v[14:15], v10 offset0:28 offset1:30
	s_waitcnt lgkmcnt(3)
	v_pk_mul_f32 v[12:13], v[2:3], v[12:13]
	ds_write2st64_b32 v10, v12, v13 offset0:20 offset1:22
	s_waitcnt lgkmcnt(3)
	v_pk_mul_f32 v[12:13], v[2:3], v[16:17]
	ds_write2st64_b32 v10, v12, v13 offset0:24 offset1:26
	s_waitcnt lgkmcnt(2)
	v_pk_mul_f32 v[12:13], v[2:3], v[14:15]
	s_add_i32 s40, s40, 16
	v_cmp_eq_u32_e32 vcc, 0, v9
	ds_write2st64_b32 v10, v12, v13 offset0:28 offset1:30
	v_add_u32_e32 v10, 0x2000, v10
	s_or_b64 s[12:13], vcc, s[12:13]
	v_mov_b32_e32 v11, s40
	s_andn2_b64 exec, exec, s[12:13]
	s_cbranch_execnz .LBB35_36
; %bb.37:
	s_or_b64 exec, exec, s[12:13]
.LBB35_38:
	s_or_b64 exec, exec, s[10:11]
	v_and_b32_e32 v8, 7, v8
	v_cmp_ne_u32_e32 vcc, 0, v8
	s_and_saveexec_b64 s[10:11], vcc
	s_cbranch_execz .LBB35_41
; %bb.39:
	v_lshlrev_b32_e32 v9, 9, v11
	v_lshlrev_b32_e32 v10, 2, v0
	s_movk_i32 s12, 0x410
	v_add3_u32 v9, v9, v10, s12
	s_mov_b64 s[12:13], 0
.LBB35_40:                              ; =>This Inner Loop Header: Depth=1
	ds_read2st64_b32 v[10:11], v9 offset1:2
	v_add_u32_e32 v8, -1, v8
	v_cmp_eq_u32_e32 vcc, 0, v8
	s_or_b64 s[12:13], vcc, s[12:13]
	s_waitcnt lgkmcnt(0)
	v_pk_mul_f32 v[10:11], v[2:3], v[10:11]
	ds_write2st64_b32 v9, v10, v11 offset1:2
	v_add_u32_e32 v9, 0x400, v9
	s_andn2_b64 exec, exec, s[12:13]
	s_cbranch_execnz .LBB35_40
.LBB35_41:
	s_or_b64 exec, exec, s[10:11]
	v_add_u32_e32 v7, 1, v7
	v_and_b32_e32 v8, 0x3fffffe, v7
	v_cmp_ne_u32_e32 vcc, v7, v8
	v_lshl_add_u32 v3, v8, 7, v0
	s_orn2_b64 s[10:11], vcc, exec
.LBB35_42:
	s_or_b64 exec, exec, s[4:5]
	s_and_b64 exec, exec, s[10:11]
	s_cbranch_execz .LBB35_45
; %bb.43:
	v_mov_b32_e32 v7, 0x410
	v_lshl_add_u32 v7, v3, 2, v7
	s_mov_b64 s[4:5], 0
.LBB35_44:                              ; =>This Inner Loop Header: Depth=1
	ds_read_b32 v8, v7
	v_add_u32_e32 v3, 0x80, v3
	v_cmp_le_i32_e32 vcc, s19, v3
	s_or_b64 s[4:5], vcc, s[4:5]
	s_waitcnt lgkmcnt(0)
	v_mul_f32_e32 v8, v2, v8
	ds_write_b32 v7, v8
	v_add_u32_e32 v7, 0x200, v7
	s_andn2_b64 exec, exec, s[4:5]
	s_cbranch_execnz .LBB35_44
.LBB35_45:
	s_or_b64 exec, exec, s[2:3]
	s_mul_i32 s2, s33, s36
	v_cmp_eq_u32_e32 vcc, 0, v0
	s_mul_i32 s2, s2, s9
	s_waitcnt lgkmcnt(0)
	s_barrier
	s_and_saveexec_b64 s[4:5], vcc
	s_cbranch_execz .LBB35_47
; %bb.46:
	s_ashr_i32 s3, s2, 31
	s_lshl_b64 s[10:11], s[2:3], 2
	s_add_u32 s3, s22, s10
	s_mul_i32 s12, s33, s6
	s_addc_u32 s9, s23, s11
	s_ashr_i32 s13, s12, 31
	s_lshl_b64 s[12:13], s[12:13], 2
	s_add_u32 s3, s3, s12
	s_addc_u32 s6, s9, s13
	s_ashr_i32 s9, s8, 31
	s_lshl_b64 s[22:23], s[8:9], 2
	s_add_u32 s40, s3, s22
	s_addc_u32 s41, s6, s23
	s_add_u32 s3, s20, s10
	s_addc_u32 s6, s21, s11
	;; [unrolled: 2-line block ×3, first 2 shown]
	s_add_u32 s10, s3, s22
	v_mov_b32_e32 v2, 0
	s_addc_u32 s11, s6, s23
	global_store_dword v2, v4, s[40:41]
	global_store_dword v2, v5, s[10:11]
.LBB35_47:
	s_or_b64 exec, exec, s[4:5]
	v_mov_b32_e32 v86, 0
	v_mov_b32_e32 v87, 0
	;; [unrolled: 1-line block ×16, first 2 shown]
	s_and_saveexec_b64 s[4:5], s[0:1]
	s_cbranch_execz .LBB35_85
; %bb.48:
	s_ashr_i32 s19, s18, 31
	s_sub_i32 s3, s47, s25
	s_lshl_b64 s[0:1], s[18:19], 2
	s_add_u32 s14, s14, s0
	s_addc_u32 s15, s15, s1
	s_abs_i32 s18, s26
	v_cvt_f32_u32_e32 v5, s18
	v_lshlrev_b32_e32 v3, 2, v0
	s_sub_i32 s0, 0, s18
	v_and_b32_e32 v96, 12, v3
	v_rcp_iflag_f32_e32 v5, v5
	s_mov_b32 s9, s17
	s_add_i32 s17, s7, -1
	v_and_b32_e32 v2, 0xfc, v3
	v_mul_f32_e32 v5, 0x4f7ffffe, v5
	v_cvt_u32_f32_e32 v5, v5
	v_or_b32_e32 v28, 0xf00, v3
	v_lshlrev_b64 v[30:31], 2, v[70:71]
	v_mov_b32_e32 v73, 0
	v_mul_lo_u32 v3, s0, v5
	s_lshl_b64 s[0:1], s[38:39], 2
	s_add_u32 s0, s34, s0
	v_mul_hi_u32 v3, v5, v3
	s_addc_u32 s1, s35, s1
	v_add_u32_e32 v97, v5, v3
	v_mov_b32_e32 v3, s1
	v_add_co_u32_e32 v88, vcc, s0, v30
	v_addc_co_u32_e32 v89, vcc, v3, v31, vcc
	v_lshlrev_b32_e32 v3, 4, v91
	v_or_b32_e32 v4, 0x400, v2
	v_or_b32_e32 v8, 0x500, v2
	v_or_b32_e32 v10, 0x600, v2
	v_or_b32_e32 v12, 0x700, v2
	v_or_b32_e32 v14, 0x800, v2
	v_or_b32_e32 v16, 0x900, v2
	v_or_b32_e32 v18, 0xa00, v2
	v_or_b32_e32 v20, 0xb00, v2
	v_or_b32_e32 v22, 0xc00, v2
	v_or_b32_e32 v24, 0xd00, v2
	v_or_b32_e32 v26, 0xe00, v2
	v_lshl_or_b32 v3, v6, 6, v3
	v_add_u32_e32 v71, 0x410, v3
	s_mov_b64 s[6:7], 0
	v_lshlrev_b32_e32 v98, 2, v2
	v_lshlrev_b32_e32 v99, 2, v4
	;; [unrolled: 1-line block ×13, first 2 shown]
	v_mov_b32_e32 v72, v73
	v_mov_b32_e32 v75, v73
	;; [unrolled: 1-line block ×15, first 2 shown]
	s_branch .LBB35_51
.LBB35_49:                              ;   in Loop: Header=BB35_51 Depth=1
	s_or_b64 exec, exec, s[0:1]
	s_waitcnt vmcnt(1) lgkmcnt(0)
	v_mul_f32_e32 v67, v3, v67
	v_mul_f32_e32 v63, v3, v63
	;; [unrolled: 1-line block ×15, first 2 shown]
	s_waitcnt vmcnt(0)
	v_mul_f32_e32 v3, v3, v59
	v_fmac_f32_e32 v67, v2, v66
	v_fmac_f32_e32 v63, v2, v62
	;; [unrolled: 1-line block ×48, first 2 shown]
	v_add_f32_e32 v72, v72, v67
	v_add_f32_e32 v75, v75, v63
	;; [unrolled: 1-line block ×16, first 2 shown]
.LBB35_50:                              ;   in Loop: Header=BB35_51 Depth=1
	s_or_b64 exec, exec, s[10:11]
	v_add_co_u32_e32 v88, vcc, 8, v88
	v_add_u32_e32 v70, 2, v70
	v_addc_co_u32_e32 v89, vcc, 0, v89, vcc
	v_cmp_le_i32_e32 vcc, s24, v70
	v_add_u32_e32 v92, 32, v92
	s_or_b64 s[6:7], vcc, s[6:7]
	v_add_u32_e32 v71, 0x80, v71
	s_andn2_b64 exec, exec, s[6:7]
	s_cbranch_execz .LBB35_84
.LBB35_51:                              ; =>This Inner Loop Header: Depth=1
	v_sub_u32_e32 v3, 0, v92
	v_max_i32_e32 v3, v92, v3
	v_mul_hi_u32 v4, v3, s31
	v_mul_lo_u32 v5, v4, s16
	v_sub_u32_e32 v3, v3, v5
	v_add_u32_e32 v5, 1, v4
	v_cmp_le_u32_e32 vcc, s16, v3
	v_cndmask_b32_e32 v4, v4, v5, vcc
	v_subrev_u32_e32 v5, s16, v3
	v_cndmask_b32_e32 v3, v3, v5, vcc
	v_ashrrev_i32_e32 v2, 31, v92
	v_add_u32_e32 v5, 1, v4
	v_cmp_le_u32_e32 vcc, s16, v3
	v_xor_b32_e32 v2, s27, v2
	v_cndmask_b32_e32 v3, v4, v5, vcc
	v_xor_b32_e32 v3, v3, v2
	v_sub_u32_e32 v2, v3, v2
	v_add_u32_e32 v3, s46, v2
	v_sub_u32_e32 v5, 0, v3
	v_ashrrev_i32_e32 v4, 31, v3
	v_max_i32_e32 v3, v3, v5
	v_mul_hi_u32 v5, v3, v97
	v_mul_lo_u32 v5, v5, s18
	v_sub_u32_e32 v3, v3, v5
	v_subrev_u32_e32 v5, s18, v3
	v_cmp_le_u32_e32 vcc, s18, v3
	v_cndmask_b32_e32 v3, v3, v5, vcc
	v_subrev_u32_e32 v5, s18, v3
	v_cmp_le_u32_e32 vcc, s18, v3
	v_cndmask_b32_e32 v3, v3, v5, vcc
	v_xor_b32_e32 v3, v3, v4
	v_sub_u32_e32 v3, v3, v4
	v_cmp_eq_u32_e32 vcc, 0, v3
	v_cmp_lt_i32_e64 s[0:1], s3, v2
	s_or_b64 s[0:1], vcc, s[0:1]
	s_and_saveexec_b64 s[10:11], s[0:1]
	s_cbranch_execz .LBB35_50
; %bb.52:                               ;   in Loop: Header=BB35_51 Depth=1
	global_load_dword v2, v[88:89], off
	v_mov_b32_e32 v4, s15
	v_add_u32_e32 v111, v96, v92
	v_add_u32_e32 v114, 1, v111
	;; [unrolled: 1-line block ×4, first 2 shown]
	s_waitcnt vmcnt(0)
	v_mad_i64_i32 v[2:3], s[0:1], v2, s9, 0
	v_lshlrev_b64 v[2:3], 2, v[2:3]
	v_add_co_u32_e32 v58, vcc, s14, v2
	v_addc_co_u32_e32 v59, vcc, v4, v3, vcc
	v_add_co_u32_e32 v18, vcc, v58, v98
	v_addc_co_u32_e32 v19, vcc, 0, v59, vcc
	global_load_dwordx4 v[6:9], v[18:19], off
	ds_read_b128 v[2:5], v71
	v_cmp_eq_u32_e32 vcc, s17, v70
	s_and_saveexec_b64 s[12:13], vcc
	s_cbranch_execnz .LBB35_81
; %bb.53:                               ;   in Loop: Header=BB35_51 Depth=1
	s_or_b64 exec, exec, s[12:13]
	global_load_dwordx4 v[10:13], v[18:19], off offset:1024
	s_and_saveexec_b64 s[12:13], vcc
	s_cbranch_execnz .LBB35_82
.LBB35_54:                              ;   in Loop: Header=BB35_51 Depth=1
	s_or_b64 exec, exec, s[12:13]
	global_load_dwordx4 v[14:17], v[18:19], off offset:2048
	s_and_saveexec_b64 s[12:13], vcc
	s_cbranch_execnz .LBB35_83
.LBB35_55:                              ;   in Loop: Header=BB35_51 Depth=1
	s_or_b64 exec, exec, s[12:13]
	global_load_dwordx4 v[18:21], v[18:19], off offset:3072
	s_and_saveexec_b64 s[12:13], vcc
	s_cbranch_execz .LBB35_57
.LBB35_56:                              ;   in Loop: Header=BB35_51 Depth=1
	v_cmp_gt_i32_e64 s[0:1], s37, v111
	s_waitcnt vmcnt(0)
	v_cndmask_b32_e64 v18, 0, v18, s[0:1]
	v_cmp_gt_i32_e64 s[0:1], s37, v114
	v_cndmask_b32_e64 v19, 0, v19, s[0:1]
	v_cmp_gt_i32_e64 s[0:1], s37, v113
	v_cndmask_b32_e64 v20, 0, v20, s[0:1]
	v_cmp_gt_i32_e64 s[0:1], s37, v112
	v_cndmask_b32_e64 v21, 0, v21, s[0:1]
.LBB35_57:                              ;   in Loop: Header=BB35_51 Depth=1
	s_or_b64 exec, exec, s[12:13]
	v_add_co_u32_e64 v22, s[0:1], v58, v99
	v_addc_co_u32_e64 v23, s[0:1], 0, v59, s[0:1]
	global_load_dwordx4 v[22:25], v[22:23], off
	s_and_saveexec_b64 s[12:13], vcc
	s_cbranch_execz .LBB35_59
; %bb.58:                               ;   in Loop: Header=BB35_51 Depth=1
	v_cmp_gt_i32_e64 s[0:1], s37, v111
	s_waitcnt vmcnt(0)
	v_cndmask_b32_e64 v22, 0, v22, s[0:1]
	v_cmp_gt_i32_e64 s[0:1], s37, v114
	v_cndmask_b32_e64 v23, 0, v23, s[0:1]
	v_cmp_gt_i32_e64 s[0:1], s37, v113
	v_cndmask_b32_e64 v24, 0, v24, s[0:1]
	v_cmp_gt_i32_e64 s[0:1], s37, v112
	v_cndmask_b32_e64 v25, 0, v25, s[0:1]
.LBB35_59:                              ;   in Loop: Header=BB35_51 Depth=1
	s_or_b64 exec, exec, s[12:13]
	v_add_co_u32_e64 v26, s[0:1], v58, v100
	v_addc_co_u32_e64 v27, s[0:1], 0, v59, s[0:1]
	global_load_dwordx4 v[26:29], v[26:27], off
	s_and_saveexec_b64 s[12:13], vcc
	s_cbranch_execz .LBB35_61
; %bb.60:                               ;   in Loop: Header=BB35_51 Depth=1
	v_cmp_gt_i32_e64 s[0:1], s37, v111
	s_waitcnt vmcnt(0)
	v_cndmask_b32_e64 v26, 0, v26, s[0:1]
	v_cmp_gt_i32_e64 s[0:1], s37, v114
	v_cndmask_b32_e64 v27, 0, v27, s[0:1]
	v_cmp_gt_i32_e64 s[0:1], s37, v113
	v_cndmask_b32_e64 v28, 0, v28, s[0:1]
	v_cmp_gt_i32_e64 s[0:1], s37, v112
	v_cndmask_b32_e64 v29, 0, v29, s[0:1]
.LBB35_61:                              ;   in Loop: Header=BB35_51 Depth=1
	;; [unrolled: 17-line block ×11, first 2 shown]
	s_or_b64 exec, exec, s[12:13]
	v_add_co_u32_e64 v58, s[0:1], v58, v110
	v_addc_co_u32_e64 v59, s[0:1], 0, v59, s[0:1]
	global_load_dwordx4 v[58:61], v[58:59], off
	s_and_saveexec_b64 s[0:1], vcc
	s_cbranch_execz .LBB35_49
; %bb.80:                               ;   in Loop: Header=BB35_51 Depth=1
	v_cmp_gt_i32_e32 vcc, s37, v111
	s_waitcnt vmcnt(0)
	v_cndmask_b32_e32 v58, 0, v58, vcc
	v_cmp_gt_i32_e32 vcc, s37, v114
	v_cndmask_b32_e32 v59, 0, v59, vcc
	v_cmp_gt_i32_e32 vcc, s37, v113
	;; [unrolled: 2-line block ×3, first 2 shown]
	v_cndmask_b32_e32 v61, 0, v61, vcc
	s_branch .LBB35_49
.LBB35_81:                              ;   in Loop: Header=BB35_51 Depth=1
	v_cmp_gt_i32_e64 s[0:1], s37, v111
	s_waitcnt vmcnt(0)
	v_cndmask_b32_e64 v6, 0, v6, s[0:1]
	v_cmp_gt_i32_e64 s[0:1], s37, v114
	v_cndmask_b32_e64 v7, 0, v7, s[0:1]
	v_cmp_gt_i32_e64 s[0:1], s37, v113
	;; [unrolled: 2-line block ×3, first 2 shown]
	v_cndmask_b32_e64 v9, 0, v9, s[0:1]
	s_or_b64 exec, exec, s[12:13]
	global_load_dwordx4 v[10:13], v[18:19], off offset:1024
	s_and_saveexec_b64 s[12:13], vcc
	s_cbranch_execz .LBB35_54
.LBB35_82:                              ;   in Loop: Header=BB35_51 Depth=1
	v_cmp_gt_i32_e64 s[0:1], s37, v111
	s_waitcnt vmcnt(0)
	v_cndmask_b32_e64 v10, 0, v10, s[0:1]
	v_cmp_gt_i32_e64 s[0:1], s37, v114
	v_cndmask_b32_e64 v11, 0, v11, s[0:1]
	v_cmp_gt_i32_e64 s[0:1], s37, v113
	;; [unrolled: 2-line block ×3, first 2 shown]
	v_cndmask_b32_e64 v13, 0, v13, s[0:1]
	s_or_b64 exec, exec, s[12:13]
	global_load_dwordx4 v[14:17], v[18:19], off offset:2048
	s_and_saveexec_b64 s[12:13], vcc
	s_cbranch_execz .LBB35_55
.LBB35_83:                              ;   in Loop: Header=BB35_51 Depth=1
	v_cmp_gt_i32_e64 s[0:1], s37, v111
	s_waitcnt vmcnt(0)
	v_cndmask_b32_e64 v14, 0, v14, s[0:1]
	v_cmp_gt_i32_e64 s[0:1], s37, v114
	v_cndmask_b32_e64 v15, 0, v15, s[0:1]
	v_cmp_gt_i32_e64 s[0:1], s37, v113
	;; [unrolled: 2-line block ×3, first 2 shown]
	v_cndmask_b32_e64 v17, 0, v17, s[0:1]
	s_or_b64 exec, exec, s[12:13]
	global_load_dwordx4 v[18:21], v[18:19], off offset:3072
	s_and_saveexec_b64 s[12:13], vcc
	s_cbranch_execnz .LBB35_56
	s_branch .LBB35_57
.LBB35_84:
	s_or_b64 exec, exec, s[6:7]
.LBB35_85:
	s_or_b64 exec, exec, s[4:5]
	ds_bpermute_b32 v2, v95, v86
	ds_bpermute_b32 v3, v95, v87
	;; [unrolled: 1-line block ×6, first 2 shown]
	s_waitcnt lgkmcnt(4)
	v_pk_add_f32 v[2:3], v[86:87], v[2:3]
	ds_bpermute_b32 v6, v94, v2
	ds_bpermute_b32 v7, v94, v3
	s_waitcnt lgkmcnt(4)
	v_pk_add_f32 v[4:5], v[84:85], v[4:5]
	ds_bpermute_b32 v10, v94, v4
	ds_bpermute_b32 v11, v94, v5
	;; [unrolled: 1-line block ×3, first 2 shown]
	s_waitcnt lgkmcnt(3)
	v_pk_add_f32 v[2:3], v[2:3], v[6:7]
	v_pk_add_f32 v[6:7], v[82:83], v[8:9]
	ds_bpermute_b32 v8, v94, v6
	ds_bpermute_b32 v9, v94, v7
	;; [unrolled: 1-line block ×3, first 2 shown]
	s_waitcnt lgkmcnt(4)
	v_pk_add_f32 v[4:5], v[4:5], v[10:11]
	ds_bpermute_b32 v10, v95, v78
	ds_bpermute_b32 v11, v95, v79
	;; [unrolled: 1-line block ×6, first 2 shown]
	s_waitcnt lgkmcnt(7)
	v_pk_add_f32 v[6:7], v[6:7], v[8:9]
	s_waitcnt lgkmcnt(6)
	v_pk_add_f32 v[8:9], v[80:81], v[12:13]
	;; [unrolled: 2-line block ×3, first 2 shown]
	ds_bpermute_b32 v12, v94, v8
	ds_bpermute_b32 v13, v94, v9
	;; [unrolled: 1-line block ×4, first 2 shown]
	s_waitcnt lgkmcnt(6)
	v_pk_add_f32 v[18:19], v[74:75], v[18:19]
	ds_bpermute_b32 v26, v95, v72
	ds_bpermute_b32 v27, v95, v73
	;; [unrolled: 1-line block ×4, first 2 shown]
	s_waitcnt lgkmcnt(8)
	v_pk_add_f32 v[20:21], v[76:77], v[14:15]
	ds_bpermute_b32 v22, v94, v20
	ds_bpermute_b32 v23, v94, v21
	s_waitcnt lgkmcnt(8)
	v_pk_add_f32 v[14:15], v[8:9], v[12:13]
	s_waitcnt lgkmcnt(6)
	v_pk_add_f32 v[12:13], v[10:11], v[16:17]
	;; [unrolled: 2-line block ×4, first 2 shown]
	ds_bpermute_b32 v18, v94, v16
	ds_bpermute_b32 v19, v94, v17
	s_waitcnt lgkmcnt(2)
	v_pk_add_f32 v[10:11], v[20:21], v[22:23]
	v_and_b32_e32 v20, 0x3c3, v0
	v_cmp_ne_u32_e32 vcc, 64, v20
	s_waitcnt lgkmcnt(0)
	s_barrier
	s_and_saveexec_b64 s[0:1], vcc
	s_xor_b64 s[0:1], exec, s[0:1]
; %bb.86:
                                        ; implicit-def: $vgpr93
; %bb.87:
	s_or_saveexec_b64 s[0:1], s[0:1]
	v_pk_add_f32 v[16:17], v[16:17], v[18:19]
	s_xor_b64 exec, exec, s[0:1]
	s_cbranch_execz .LBB35_89
; %bb.88:
	v_add_u32_e32 v18, 0x410, v93
	ds_write2_b32 v18, v2, v3 offset1:16
	ds_write2_b32 v18, v4, v5 offset0:32 offset1:48
	ds_write2_b32 v18, v6, v7 offset0:64 offset1:80
	;; [unrolled: 1-line block ×7, first 2 shown]
.LBB35_89:
	s_or_b64 exec, exec, s[0:1]
	v_cmp_gt_u32_e32 vcc, 64, v0
	s_waitcnt lgkmcnt(0)
	s_barrier
	s_and_saveexec_b64 s[0:1], vcc
	s_cbranch_execz .LBB35_108
; %bb.90:
	v_cmp_eq_u32_e32 vcc, 0, v91
	s_and_saveexec_b64 s[4:5], vcc
	s_cbranch_execnz .LBB35_111
; %bb.91:
	s_or_b64 exec, exec, s[4:5]
	s_and_saveexec_b64 s[4:5], vcc
	s_cbranch_execnz .LBB35_112
.LBB35_92:
	s_or_b64 exec, exec, s[4:5]
	s_and_saveexec_b64 s[4:5], vcc
	s_cbranch_execnz .LBB35_113
.LBB35_93:
	s_or_b64 exec, exec, s[4:5]
	s_and_saveexec_b64 s[4:5], vcc
	s_cbranch_execnz .LBB35_114
.LBB35_94:
	s_or_b64 exec, exec, s[4:5]
	s_and_saveexec_b64 s[4:5], vcc
	s_cbranch_execnz .LBB35_115
.LBB35_95:
	s_or_b64 exec, exec, s[4:5]
	s_and_saveexec_b64 s[4:5], vcc
	s_cbranch_execnz .LBB35_116
.LBB35_96:
	s_or_b64 exec, exec, s[4:5]
	s_and_saveexec_b64 s[4:5], vcc
	s_cbranch_execnz .LBB35_117
.LBB35_97:
	s_or_b64 exec, exec, s[4:5]
	s_and_saveexec_b64 s[4:5], vcc
	s_cbranch_execnz .LBB35_118
.LBB35_98:
	s_or_b64 exec, exec, s[4:5]
	s_and_saveexec_b64 s[4:5], vcc
	s_cbranch_execnz .LBB35_119
.LBB35_99:
	s_or_b64 exec, exec, s[4:5]
	s_and_saveexec_b64 s[4:5], vcc
	s_cbranch_execnz .LBB35_120
.LBB35_100:
	s_or_b64 exec, exec, s[4:5]
	s_and_saveexec_b64 s[4:5], vcc
	s_cbranch_execnz .LBB35_121
.LBB35_101:
	s_or_b64 exec, exec, s[4:5]
	s_and_saveexec_b64 s[4:5], vcc
	s_cbranch_execnz .LBB35_122
.LBB35_102:
	s_or_b64 exec, exec, s[4:5]
	s_and_saveexec_b64 s[4:5], vcc
	s_cbranch_execnz .LBB35_123
.LBB35_103:
	s_or_b64 exec, exec, s[4:5]
	s_and_saveexec_b64 s[4:5], vcc
	s_cbranch_execnz .LBB35_124
.LBB35_104:
	s_or_b64 exec, exec, s[4:5]
	s_and_saveexec_b64 s[4:5], vcc
	s_cbranch_execnz .LBB35_125
.LBB35_105:
	s_or_b64 exec, exec, s[4:5]
	s_and_saveexec_b64 s[4:5], vcc
	s_cbranch_execz .LBB35_107
.LBB35_106:
	v_mov_b32_e32 v0, 0x410
	v_lshl_add_u32 v0, v90, 2, v0
	ds_read_b32 v0, v0 offset:960
	s_waitcnt lgkmcnt(0)
	v_add_f32_e32 v17, v17, v0
.LBB35_107:
	s_or_b64 exec, exec, s[4:5]
.LBB35_108:
	s_or_b64 exec, exec, s[0:1]
	v_cmp_eq_u32_e32 vcc, 0, v20
	s_barrier
	s_and_saveexec_b64 s[0:1], vcc
	s_cbranch_execz .LBB35_110
; %bb.109:
	s_lshl_b32 s0, s2, 8
	s_ashr_i32 s1, s0, 31
	s_lshl_b64 s[0:1], s[0:1], 2
	s_add_u32 s2, s28, s0
	s_mul_i32 s0, s33, s30
	s_addc_u32 s3, s29, s1
	s_ashr_i32 s1, s0, 31
	s_lshl_b64 s[0:1], s[0:1], 2
	s_add_u32 s2, s2, s0
	s_addc_u32 s3, s3, s1
	s_lshl_b32 s0, s8, 8
	s_ashr_i32 s1, s0, 31
	s_lshl_b64 s[0:1], s[0:1], 2
	s_add_u32 s0, s2, s0
	s_addc_u32 s1, s3, s1
	global_store_dword v1, v2, s[0:1]
	global_store_dword v1, v3, s[0:1] offset:64
	global_store_dword v1, v4, s[0:1] offset:128
	;; [unrolled: 1-line block ×15, first 2 shown]
.LBB35_110:
	s_endpgm
.LBB35_111:
	v_mov_b32_e32 v0, 0x410
	v_lshl_add_u32 v0, v90, 2, v0
	ds_read_b32 v0, v0
	s_waitcnt lgkmcnt(0)
	v_add_f32_e32 v2, v2, v0
	s_or_b64 exec, exec, s[4:5]
	s_and_saveexec_b64 s[4:5], vcc
	s_cbranch_execz .LBB35_92
.LBB35_112:
	v_mov_b32_e32 v0, 0x410
	v_lshl_add_u32 v0, v90, 2, v0
	ds_read_b32 v0, v0 offset:64
	s_waitcnt lgkmcnt(0)
	v_add_f32_e32 v3, v3, v0
	s_or_b64 exec, exec, s[4:5]
	s_and_saveexec_b64 s[4:5], vcc
	s_cbranch_execz .LBB35_93
.LBB35_113:
	v_mov_b32_e32 v0, 0x410
	v_lshl_add_u32 v0, v90, 2, v0
	ds_read_b32 v0, v0 offset:128
	s_waitcnt lgkmcnt(0)
	v_add_f32_e32 v4, v4, v0
	s_or_b64 exec, exec, s[4:5]
	s_and_saveexec_b64 s[4:5], vcc
	s_cbranch_execz .LBB35_94
.LBB35_114:
	v_mov_b32_e32 v0, 0x410
	v_lshl_add_u32 v0, v90, 2, v0
	ds_read_b32 v0, v0 offset:192
	s_waitcnt lgkmcnt(0)
	v_add_f32_e32 v5, v5, v0
	s_or_b64 exec, exec, s[4:5]
	s_and_saveexec_b64 s[4:5], vcc
	s_cbranch_execz .LBB35_95
.LBB35_115:
	v_mov_b32_e32 v0, 0x410
	v_lshl_add_u32 v0, v90, 2, v0
	ds_read_b32 v0, v0 offset:256
	s_waitcnt lgkmcnt(0)
	v_add_f32_e32 v6, v6, v0
	s_or_b64 exec, exec, s[4:5]
	s_and_saveexec_b64 s[4:5], vcc
	s_cbranch_execz .LBB35_96
.LBB35_116:
	v_mov_b32_e32 v0, 0x410
	v_lshl_add_u32 v0, v90, 2, v0
	ds_read_b32 v0, v0 offset:320
	s_waitcnt lgkmcnt(0)
	v_add_f32_e32 v7, v7, v0
	s_or_b64 exec, exec, s[4:5]
	s_and_saveexec_b64 s[4:5], vcc
	s_cbranch_execz .LBB35_97
.LBB35_117:
	v_mov_b32_e32 v0, 0x410
	v_lshl_add_u32 v0, v90, 2, v0
	ds_read_b32 v0, v0 offset:384
	s_waitcnt lgkmcnt(0)
	v_add_f32_e32 v14, v14, v0
	s_or_b64 exec, exec, s[4:5]
	s_and_saveexec_b64 s[4:5], vcc
	s_cbranch_execz .LBB35_98
.LBB35_118:
	v_mov_b32_e32 v0, 0x410
	v_lshl_add_u32 v0, v90, 2, v0
	ds_read_b32 v0, v0 offset:448
	s_waitcnt lgkmcnt(0)
	v_add_f32_e32 v15, v15, v0
	s_or_b64 exec, exec, s[4:5]
	s_and_saveexec_b64 s[4:5], vcc
	s_cbranch_execz .LBB35_99
.LBB35_119:
	v_mov_b32_e32 v0, 0x410
	v_lshl_add_u32 v0, v90, 2, v0
	ds_read_b32 v0, v0 offset:512
	s_waitcnt lgkmcnt(0)
	v_add_f32_e32 v12, v12, v0
	s_or_b64 exec, exec, s[4:5]
	s_and_saveexec_b64 s[4:5], vcc
	s_cbranch_execz .LBB35_100
.LBB35_120:
	v_mov_b32_e32 v0, 0x410
	v_lshl_add_u32 v0, v90, 2, v0
	ds_read_b32 v0, v0 offset:576
	s_waitcnt lgkmcnt(0)
	v_add_f32_e32 v13, v13, v0
	s_or_b64 exec, exec, s[4:5]
	s_and_saveexec_b64 s[4:5], vcc
	s_cbranch_execz .LBB35_101
.LBB35_121:
	v_mov_b32_e32 v0, 0x410
	v_lshl_add_u32 v0, v90, 2, v0
	ds_read_b32 v0, v0 offset:640
	s_waitcnt lgkmcnt(0)
	v_add_f32_e32 v10, v10, v0
	s_or_b64 exec, exec, s[4:5]
	s_and_saveexec_b64 s[4:5], vcc
	s_cbranch_execz .LBB35_102
.LBB35_122:
	v_mov_b32_e32 v0, 0x410
	v_lshl_add_u32 v0, v90, 2, v0
	ds_read_b32 v0, v0 offset:704
	s_waitcnt lgkmcnt(0)
	v_add_f32_e32 v11, v11, v0
	s_or_b64 exec, exec, s[4:5]
	s_and_saveexec_b64 s[4:5], vcc
	s_cbranch_execz .LBB35_103
.LBB35_123:
	v_mov_b32_e32 v0, 0x410
	v_lshl_add_u32 v0, v90, 2, v0
	ds_read_b32 v0, v0 offset:768
	s_waitcnt lgkmcnt(0)
	v_add_f32_e32 v8, v8, v0
	s_or_b64 exec, exec, s[4:5]
	s_and_saveexec_b64 s[4:5], vcc
	s_cbranch_execz .LBB35_104
.LBB35_124:
	v_mov_b32_e32 v0, 0x410
	v_lshl_add_u32 v0, v90, 2, v0
	ds_read_b32 v0, v0 offset:832
	s_waitcnt lgkmcnt(0)
	v_add_f32_e32 v9, v9, v0
	s_or_b64 exec, exec, s[4:5]
	s_and_saveexec_b64 s[4:5], vcc
	s_cbranch_execz .LBB35_105
.LBB35_125:
	v_mov_b32_e32 v0, 0x410
	v_lshl_add_u32 v0, v90, 2, v0
	ds_read_b32 v0, v0 offset:896
	s_waitcnt lgkmcnt(0)
	v_add_f32_e32 v16, v16, v0
	s_or_b64 exec, exec, s[4:5]
	s_and_saveexec_b64 s[4:5], vcc
	s_cbranch_execnz .LBB35_106
	s_branch .LBB35_107
	.section	.rodata,"a",@progbits
	.p2align	6, 0x0
	.amdhsa_kernel _ZN4vllm25paged_attention_v2_kernelIffLi256ELi16ELi128ELNS_18Fp8KVCacheDataTypeE0ELb1ELi512EEEvPfS2_PT_PKS3_PKT0_S9_ifPKiSB_iPKfiiiSD_SD_iiiii
		.amdhsa_group_segment_fixed_size 1040
		.amdhsa_private_segment_fixed_size 0
		.amdhsa_kernarg_size 400
		.amdhsa_user_sgpr_count 6
		.amdhsa_user_sgpr_private_segment_buffer 1
		.amdhsa_user_sgpr_dispatch_ptr 0
		.amdhsa_user_sgpr_queue_ptr 0
		.amdhsa_user_sgpr_kernarg_segment_ptr 1
		.amdhsa_user_sgpr_dispatch_id 0
		.amdhsa_user_sgpr_flat_scratch_init 0
		.amdhsa_user_sgpr_kernarg_preload_length 0
		.amdhsa_user_sgpr_kernarg_preload_offset 0
		.amdhsa_user_sgpr_private_segment_size 0
		.amdhsa_uses_dynamic_stack 0
		.amdhsa_system_sgpr_private_segment_wavefront_offset 0
		.amdhsa_system_sgpr_workgroup_id_x 1
		.amdhsa_system_sgpr_workgroup_id_y 1
		.amdhsa_system_sgpr_workgroup_id_z 1
		.amdhsa_system_sgpr_workgroup_info 0
		.amdhsa_system_vgpr_workitem_id 0
		.amdhsa_next_free_vgpr 115
		.amdhsa_next_free_sgpr 55
		.amdhsa_accum_offset 116
		.amdhsa_reserve_vcc 1
		.amdhsa_reserve_flat_scratch 0
		.amdhsa_float_round_mode_32 0
		.amdhsa_float_round_mode_16_64 0
		.amdhsa_float_denorm_mode_32 3
		.amdhsa_float_denorm_mode_16_64 3
		.amdhsa_dx10_clamp 1
		.amdhsa_ieee_mode 1
		.amdhsa_fp16_overflow 0
		.amdhsa_tg_split 0
		.amdhsa_exception_fp_ieee_invalid_op 0
		.amdhsa_exception_fp_denorm_src 0
		.amdhsa_exception_fp_ieee_div_zero 0
		.amdhsa_exception_fp_ieee_overflow 0
		.amdhsa_exception_fp_ieee_underflow 0
		.amdhsa_exception_fp_ieee_inexact 0
		.amdhsa_exception_int_div_zero 0
	.end_amdhsa_kernel
	.section	.text._ZN4vllm25paged_attention_v2_kernelIffLi256ELi16ELi128ELNS_18Fp8KVCacheDataTypeE0ELb1ELi512EEEvPfS2_PT_PKS3_PKT0_S9_ifPKiSB_iPKfiiiSD_SD_iiiii,"axG",@progbits,_ZN4vllm25paged_attention_v2_kernelIffLi256ELi16ELi128ELNS_18Fp8KVCacheDataTypeE0ELb1ELi512EEEvPfS2_PT_PKS3_PKT0_S9_ifPKiSB_iPKfiiiSD_SD_iiiii,comdat
.Lfunc_end35:
	.size	_ZN4vllm25paged_attention_v2_kernelIffLi256ELi16ELi128ELNS_18Fp8KVCacheDataTypeE0ELb1ELi512EEEvPfS2_PT_PKS3_PKT0_S9_ifPKiSB_iPKfiiiSD_SD_iiiii, .Lfunc_end35-_ZN4vllm25paged_attention_v2_kernelIffLi256ELi16ELi128ELNS_18Fp8KVCacheDataTypeE0ELb1ELi512EEEvPfS2_PT_PKS3_PKT0_S9_ifPKiSB_iPKfiiiSD_SD_iiiii
                                        ; -- End function
	.section	.AMDGPU.csdata,"",@progbits
; Kernel info:
; codeLenInByte = 8728
; NumSgprs: 59
; NumVgprs: 115
; NumAgprs: 0
; TotalNumVgprs: 115
; ScratchSize: 0
; MemoryBound: 0
; FloatMode: 240
; IeeeMode: 1
; LDSByteSize: 1040 bytes/workgroup (compile time only)
; SGPRBlocks: 7
; VGPRBlocks: 14
; NumSGPRsForWavesPerEU: 59
; NumVGPRsForWavesPerEU: 115
; AccumOffset: 116
; Occupancy: 4
; WaveLimiterHint : 1
; COMPUTE_PGM_RSRC2:SCRATCH_EN: 0
; COMPUTE_PGM_RSRC2:USER_SGPR: 6
; COMPUTE_PGM_RSRC2:TRAP_HANDLER: 0
; COMPUTE_PGM_RSRC2:TGID_X_EN: 1
; COMPUTE_PGM_RSRC2:TGID_Y_EN: 1
; COMPUTE_PGM_RSRC2:TGID_Z_EN: 1
; COMPUTE_PGM_RSRC2:TIDIG_COMP_CNT: 0
; COMPUTE_PGM_RSRC3_GFX90A:ACCUM_OFFSET: 28
; COMPUTE_PGM_RSRC3_GFX90A:TG_SPLIT: 0
	.section	.text._ZN4vllm25paged_attention_v2_kernelIffLi32ELi16ELi128ELNS_18Fp8KVCacheDataTypeE0ELb0ELi512EEEvPfS2_PT_PKS3_PKT0_S9_ifPKiSB_iPKfiiiSD_SD_iiiii,"axG",@progbits,_ZN4vllm25paged_attention_v2_kernelIffLi32ELi16ELi128ELNS_18Fp8KVCacheDataTypeE0ELb0ELi512EEEvPfS2_PT_PKS3_PKT0_S9_ifPKiSB_iPKfiiiSD_SD_iiiii,comdat
	.protected	_ZN4vllm25paged_attention_v2_kernelIffLi32ELi16ELi128ELNS_18Fp8KVCacheDataTypeE0ELb0ELi512EEEvPfS2_PT_PKS3_PKT0_S9_ifPKiSB_iPKfiiiSD_SD_iiiii ; -- Begin function _ZN4vllm25paged_attention_v2_kernelIffLi32ELi16ELi128ELNS_18Fp8KVCacheDataTypeE0ELb0ELi512EEEvPfS2_PT_PKS3_PKT0_S9_ifPKiSB_iPKfiiiSD_SD_iiiii
	.globl	_ZN4vllm25paged_attention_v2_kernelIffLi32ELi16ELi128ELNS_18Fp8KVCacheDataTypeE0ELb0ELi512EEEvPfS2_PT_PKS3_PKT0_S9_ifPKiSB_iPKfiiiSD_SD_iiiii
	.p2align	8
	.type	_ZN4vllm25paged_attention_v2_kernelIffLi32ELi16ELi128ELNS_18Fp8KVCacheDataTypeE0ELb0ELi512EEEvPfS2_PT_PKS3_PKT0_S9_ifPKiSB_iPKfiiiSD_SD_iiiii,@function
_ZN4vllm25paged_attention_v2_kernelIffLi32ELi16ELi128ELNS_18Fp8KVCacheDataTypeE0ELb0ELi512EEEvPfS2_PT_PKS3_PKT0_S9_ifPKiSB_iPKfiiiSD_SD_iiiii: ; @_ZN4vllm25paged_attention_v2_kernelIffLi32ELi16ELi128ELNS_18Fp8KVCacheDataTypeE0ELb0ELi512EEEvPfS2_PT_PKS3_PKT0_S9_ifPKiSB_iPKfiiiSD_SD_iiiii
; %bb.0:
	s_load_dwordx2 s[0:1], s[4:5], 0x40
	s_mov_b32 s24, s7
	s_ashr_i32 s25, s7, 31
	s_lshl_b64 s[2:3], s[24:25], 2
	s_waitcnt lgkmcnt(0)
	s_add_u32 s0, s0, s2
	s_addc_u32 s1, s1, s3
	s_load_dword s25, s[0:1], 0x0
	s_lshl_b32 s40, s8, 9
	s_waitcnt lgkmcnt(0)
	s_cmp_ge_i32 s40, s25
	s_cbranch_scc1 .LBB36_58
; %bb.1:
	s_load_dword s9, s[4:5], 0x90
	s_load_dwordx2 s[10:11], s[4:5], 0x30
	s_waitcnt lgkmcnt(0)
	s_abs_i32 s2, s9
	s_abs_i32 s0, s10
	v_cvt_f32_u32_e32 v1, s0
	s_sub_i32 s3, 0, s0
	s_xor_b32 s1, s9, s10
	s_ashr_i32 s1, s1, 31
	v_rcp_iflag_f32_e32 v1, v1
	v_mul_f32_e32 v1, 0x4f7ffffe, v1
	v_cvt_u32_f32_e32 v1, v1
	v_readfirstlane_b32 s7, v1
	s_mul_i32 s3, s3, s7
	s_mul_hi_u32 s3, s7, s3
	s_add_i32 s7, s7, s3
	s_mul_hi_u32 s3, s2, s7
	s_mul_i32 s7, s3, s0
	s_sub_i32 s2, s2, s7
	s_add_i32 s10, s3, 1
	s_sub_i32 s7, s2, s0
	s_cmp_ge_u32 s2, s0
	s_cselect_b32 s3, s10, s3
	s_cselect_b32 s2, s7, s2
	s_add_i32 s7, s3, 1
	s_cmp_ge_u32 s2, s0
	s_cselect_b32 s0, s7, s3
	s_xor_b32 s0, s0, s1
	s_sub_i32 s12, s0, s1
	s_abs_i32 s2, s12
	v_cvt_f32_u32_e32 v1, s2
	s_load_dwordx2 s[0:1], s[4:5], 0x50
	s_sub_i32 s7, 0, s2
	s_abs_i32 s3, s6
	v_rcp_iflag_f32_e32 v1, v1
	s_mov_b32 s10, 0
	v_mul_f32_e32 v1, 0x4f7ffffe, v1
	v_cvt_u32_f32_e32 v1, v1
	v_readfirstlane_b32 s13, v1
	s_mul_i32 s7, s7, s13
	s_mul_hi_u32 s7, s13, s7
	s_add_i32 s13, s13, s7
	s_waitcnt lgkmcnt(0)
	s_cmp_eq_u64 s[0:1], 0
	s_mul_hi_u32 s16, s3, s13
	s_cbranch_scc1 .LBB36_3
; %bb.2:
	s_ashr_i32 s7, s6, 31
	s_lshl_b64 s[14:15], s[6:7], 2
	s_add_u32 s0, s0, s14
	s_addc_u32 s1, s1, s15
	s_load_dword s10, s[0:1], 0x0
.LBB36_3:
	s_ashr_i32 s18, s12, 31
	s_load_dwordx4 s[12:15], s[4:5], 0x58
	v_lshrrev_b32_e32 v20, 2, v0
	s_ashr_i32 s17, s6, 31
	v_and_b32_e32 v21, 3, v0
	s_lshl_b32 s20, s6, 5
	v_cmp_gt_u32_e32 vcc, 32, v0
	v_lshlrev_b32_e32 v12, 2, v0
	v_lshlrev_b32_e32 v1, 2, v20
	s_and_saveexec_b64 s[0:1], vcc
	s_cbranch_execz .LBB36_5
; %bb.4:
	s_load_dwordx2 s[22:23], s[4:5], 0x18
	s_waitcnt lgkmcnt(0)
	s_mul_i32 s26, s24, s12
	s_ashr_i32 s27, s26, 31
	s_lshl_b64 s[26:27], s[26:27], 2
	v_lshl_add_u32 v3, v21, 5, v1
	s_add_u32 s7, s22, s26
	s_addc_u32 s12, s23, s27
	s_ashr_i32 s21, s20, 31
	s_lshl_b64 s[22:23], s[20:21], 2
	s_add_u32 s22, s7, s22
	s_addc_u32 s23, s12, s23
	global_load_dword v2, v12, s[22:23]
	s_waitcnt vmcnt(0)
	ds_write_b32 v3, v2
.LBB36_5:
	s_or_b64 exec, exec, s[0:1]
	s_add_i32 s0, s25, 15
	s_ashr_i32 s1, s0, 31
	s_lshr_b32 s1, s1, 28
	s_add_i32 s0, s0, s1
	s_waitcnt lgkmcnt(0)
	s_lshl_b32 s12, s8, 5
	s_mul_i32 s1, s16, s2
	s_ashr_i32 s7, s0, 4
	s_add_i32 s0, s12, 32
	s_sub_i32 s1, s3, s1
	s_min_i32 s33, s0, s7
	s_xor_b32 s0, s17, s18
	s_add_i32 s3, s16, 1
	s_sub_i32 s15, s1, s2
	s_cmp_ge_u32 s1, s2
	s_cselect_b32 s3, s3, s16
	s_cselect_b32 s1, s15, s1
	s_add_i32 s15, s3, 1
	s_cmp_ge_u32 s1, s2
	s_load_dwordx2 s[26:27], s[4:5], 0x38
	s_load_dword s2, s[4:5], 0x48
	v_lshrrev_b32_e32 v13, 6, v0
	s_cselect_b32 s1, s15, s3
	s_xor_b32 s1, s1, s0
	v_or_b32_e32 v14, s12, v13
	s_waitcnt lgkmcnt(0)
	s_mul_i32 s28, s24, s2
	s_sub_i32 s15, s1, s0
	s_ashr_i32 s29, s28, 31
	v_cmp_gt_i32_e64 s[0:1], s33, v14
	v_cmp_le_i32_e32 vcc, s33, v14
	v_mbcnt_lo_u32_b32 v10, -1, 0
	s_barrier
	s_waitcnt lgkmcnt(0)
                                        ; implicit-def: $sgpr36
                                        ; implicit-def: $vgpr16
                                        ; implicit-def: $vgpr17
	s_and_saveexec_b64 s[2:3], vcc
	s_xor_b64 s[2:3], exec, s[2:3]
; %bb.6:
	v_mbcnt_hi_u32_b32 v16, -1, v10
	v_and_b32_e32 v2, 64, v16
	v_add_u32_e32 v17, 64, v2
	s_mov_b32 s36, 0xff7fffff
                                        ; implicit-def: $vgpr10
; %bb.7:
	s_or_saveexec_b64 s[34:35], s[2:3]
	s_load_dwordx4 s[16:19], s[4:5], 0x0
	s_load_dwordx2 s[22:23], s[4:5], 0x10
	s_load_dwordx2 s[30:31], s[4:5], 0x28
	s_load_dword s21, s[4:5], 0x98
	v_mov_b32_e32 v22, s36
	s_mul_i32 s14, s15, s14
	v_ashrrev_i32_e32 v15, 31, v14
	s_xor_b64 exec, exec, s[34:35]
	s_cbranch_execz .LBB36_13
; %bb.8:
	s_load_dwordx2 s[2:3], s[4:5], 0x20
	s_ashr_i32 s15, s14, 31
	s_lshl_b64 s[4:5], s[14:15], 2
	v_bfe_u32 v11, v0, 2, 4
	v_lshlrev_b32_e32 v2, 4, v11
	s_waitcnt lgkmcnt(0)
	s_add_u32 s2, s2, s4
	s_addc_u32 s3, s3, s5
	v_mov_b32_e32 v3, s3
	v_add_co_u32_e32 v2, vcc, s2, v2
	v_addc_co_u32_e32 v3, vcc, 0, v3, vcc
	v_lshlrev_b32_e32 v4, 2, v21
	v_mbcnt_hi_u32_b32 v16, -1, v10
	v_add_co_u32_e32 v18, vcc, v2, v4
	v_and_b32_e32 v10, 64, v16
	v_addc_co_u32_e32 v19, vcc, 0, v3, vcc
	v_add_u32_e32 v17, 64, v10
	v_xor_b32_e32 v10, 2, v16
	v_cmp_lt_i32_e32 vcc, v10, v17
	v_cndmask_b32_e32 v10, v16, v10, vcc
	v_lshlrev_b32_e32 v23, 2, v10
	v_xor_b32_e32 v10, 1, v16
	v_cmp_lt_i32_e32 vcc, v10, v17
	v_lshlrev_b32_e32 v6, 5, v21
	v_cndmask_b32_e32 v10, v16, v10, vcc
	v_lshlrev_b32_e32 v22, 2, v11
	ds_read_b128 v[2:5], v6
	ds_read_b128 v[6:9], v6 offset:16
	v_lshlrev_b32_e32 v24, 2, v10
	s_sub_i32 s15, 1, s25
	v_lshlrev_b32_e32 v10, 4, v13
	s_lshl_b64 s[4:5], s[28:29], 2
	v_add3_u32 v25, s40, v10, v11
	v_lshl_or_b32 v10, v13, 6, v22
	s_add_u32 s4, s26, s4
	v_add_u32_e32 v26, 0x90, v10
	v_lshlrev_b64 v[10:11], 2, v[14:15]
	s_addc_u32 s5, s27, s5
	v_mov_b32_e32 v22, s5
	v_add_co_u32_e64 v10, s[4:5], s4, v10
	s_mov_b32 s41, s13
	v_cmp_eq_u32_e32 vcc, 0, v21
	v_cmp_neq_f32_e64 s[2:3], s10, 0
	v_addc_co_u32_e64 v11, s[4:5], v22, v11, s[4:5]
	s_mov_b64 s[36:37], 0
	v_mov_b32_e32 v22, 0xff7fffff
	v_mov_b32_e32 v27, v14
	s_branch .LBB36_10
.LBB36_9:                               ;   in Loop: Header=BB36_10 Depth=1
	s_or_b64 exec, exec, s[38:39]
	v_add_u32_e32 v27, 2, v27
	v_cmp_le_i32_e64 s[4:5], s33, v27
	s_or_b64 s[36:37], s[4:5], s[36:37]
	v_add_co_u32_e64 v10, s[4:5], 8, v10
	v_add_u32_e32 v25, 32, v25
	v_add_u32_e32 v26, 0x80, v26
	v_addc_co_u32_e64 v11, s[4:5], 0, v11, s[4:5]
	s_andn2_b64 exec, exec, s[36:37]
	s_cbranch_execz .LBB36_12
.LBB36_10:                              ; =>This Inner Loop Header: Depth=1
	global_load_dword v28, v[10:11], off
	s_waitcnt vmcnt(0) lgkmcnt(0)
	v_mad_i64_i32 v[28:29], s[4:5], v28, s41, 0
	v_lshlrev_b64 v[28:29], 2, v[28:29]
	v_add_co_u32_e64 v28, s[4:5], v18, v28
	v_addc_co_u32_e64 v29, s[4:5], v19, v29, s[4:5]
	global_load_dword v30, v[28:29], off offset:256
	global_load_dword v31, v[28:29], off
	global_load_dword v32, v[28:29], off offset:512
	global_load_dword v33, v[28:29], off offset:768
	;; [unrolled: 1-line block ×6, first 2 shown]
	s_waitcnt vmcnt(7) lgkmcnt(1)
	v_mul_f32_e32 v28, v3, v30
	s_waitcnt vmcnt(6)
	v_fmac_f32_e32 v28, v2, v31
	s_waitcnt vmcnt(5)
	v_fmac_f32_e32 v28, v4, v32
	;; [unrolled: 2-line block ×3, first 2 shown]
	s_waitcnt vmcnt(3) lgkmcnt(0)
	v_fmac_f32_e32 v28, v6, v34
	s_waitcnt vmcnt(2)
	v_fmac_f32_e32 v28, v7, v35
	s_waitcnt vmcnt(1)
	;; [unrolled: 2-line block ×3, first 2 shown]
	v_fmac_f32_e32 v28, v9, v37
	ds_bpermute_b32 v29, v23, v28
	s_waitcnt lgkmcnt(0)
	v_add_f32_e32 v28, v28, v29
	ds_bpermute_b32 v29, v24, v28
	s_and_saveexec_b64 s[38:39], vcc
	s_cbranch_execz .LBB36_9
; %bb.11:                               ;   in Loop: Header=BB36_10 Depth=1
	v_add_u32_e32 v30, s15, v25
	v_cvt_f32_i32_e32 v30, v30
	s_waitcnt lgkmcnt(0)
	v_add_f32_e32 v28, v28, v29
	v_cmp_gt_i32_e64 s[4:5], s25, v25
	v_max_f32_e32 v29, v22, v22
	v_mul_f32_e32 v30, s10, v30
	v_cndmask_b32_e64 v30, 0, v30, s[2:3]
	v_fmac_f32_e32 v30, s11, v28
	v_cndmask_b32_e64 v28, 0, v30, s[4:5]
	ds_write_b32 v26, v28
	v_max_f32_e32 v28, v29, v30
	v_cndmask_b32_e64 v22, v22, v28, s[4:5]
	s_branch .LBB36_9
.LBB36_12:
	s_or_b64 exec, exec, s[36:37]
.LBB36_13:
	s_or_b64 exec, exec, s[34:35]
	v_xor_b32_e32 v2, 32, v16
	v_cmp_lt_i32_e32 vcc, v2, v17
	v_cndmask_b32_e32 v2, v16, v2, vcc
	v_lshlrev_b32_e32 v2, 2, v2
	ds_bpermute_b32 v3, v2, v22
	v_xor_b32_e32 v5, 16, v16
	v_max_f32_e32 v4, v22, v22
	v_cmp_lt_i32_e32 vcc, v5, v17
	v_xor_b32_e32 v6, 8, v16
	s_waitcnt lgkmcnt(0)
	v_max_f32_e32 v3, v3, v3
	v_max_f32_e32 v4, v4, v3
	v_cndmask_b32_e32 v3, v16, v5, vcc
	v_lshlrev_b32_e32 v3, 2, v3
	ds_bpermute_b32 v5, v3, v4
	v_cmp_lt_i32_e32 vcc, v6, v17
	v_and_b32_e32 v22, 63, v0
	s_waitcnt lgkmcnt(0)
	v_max_f32_e32 v5, v5, v5
	v_max_f32_e32 v4, v4, v5
	v_cndmask_b32_e32 v5, v16, v6, vcc
	v_lshlrev_b32_e32 v7, 2, v5
	ds_bpermute_b32 v5, v7, v4
	v_xor_b32_e32 v6, 4, v16
	v_cmp_lt_i32_e32 vcc, v6, v17
	s_waitcnt lgkmcnt(0)
	v_max_f32_e32 v5, v5, v5
	v_max_f32_e32 v4, v4, v5
	v_cndmask_b32_e32 v5, v16, v6, vcc
	v_lshlrev_b32_e32 v8, 2, v5
	ds_bpermute_b32 v6, v8, v4
	v_cmp_eq_u32_e32 vcc, 0, v22
	v_lshlrev_b32_e32 v5, 2, v13
	s_and_saveexec_b64 s[2:3], vcc
	s_cbranch_execz .LBB36_15
; %bb.14:
	s_waitcnt lgkmcnt(0)
	v_max_f32_e32 v6, v6, v6
	v_max_f32_e32 v4, v4, v4
	v_max_f32_e32 v4, v4, v6
	ds_write_b32 v5, v4 offset:128
.LBB36_15:
	s_or_b64 exec, exec, s[2:3]
	v_cmp_gt_u32_e64 s[2:3], 2, v22
	v_mov_b32_e32 v4, 0xff7fffff
	s_waitcnt lgkmcnt(0)
	v_lshlrev_b32_e32 v6, 2, v22
	s_barrier
	s_and_saveexec_b64 s[4:5], s[2:3]
	s_cbranch_execz .LBB36_17
; %bb.16:
	ds_read_b32 v4, v6 offset:128
.LBB36_17:
	s_or_b64 exec, exec, s[4:5]
	v_xor_b32_e32 v9, 1, v16
	v_cmp_lt_i32_e64 s[4:5], v9, v17
	v_cndmask_b32_e64 v9, v16, v9, s[4:5]
	v_lshlrev_b32_e32 v23, 2, v9
	s_waitcnt lgkmcnt(0)
	ds_bpermute_b32 v9, v23, v4
	v_max_f32_e32 v4, v4, v4
	s_sub_i32 s4, s33, s12
	s_lshl_b32 s4, s4, 4
	s_add_i32 s4, s4, s40
	s_waitcnt lgkmcnt(0)
	v_max_f32_e32 v9, v9, v9
	v_max_f32_e32 v4, v4, v9
	v_lshlrev_b32_e32 v9, 2, v16
	v_and_b32_e32 v9, 0xffffff00, v9
	ds_bpermute_b32 v4, v9, v4
	s_min_i32 s38, s4, s25
	s_sub_i32 s15, s38, s40
	v_cmp_gt_i32_e64 s[4:5], s15, v0
	v_mov_b32_e32 v10, 0
	s_and_saveexec_b64 s[34:35], s[4:5]
	s_cbranch_execz .LBB36_21
; %bb.18:
	v_mov_b32_e32 v10, 0x90
	v_lshl_add_u32 v11, v0, 2, v10
	s_mov_b64 s[36:37], 0
	v_mov_b32_e32 v10, 0
	v_mov_b32_e32 v18, v0
.LBB36_19:                              ; =>This Inner Loop Header: Depth=1
	ds_read_b32 v19, v11
	v_add_u32_e32 v18, 0x80, v18
	v_cmp_le_i32_e64 s[10:11], s15, v18
	s_or_b64 s[36:37], s[10:11], s[36:37]
	s_waitcnt lgkmcnt(0)
	v_sub_f32_e32 v19, v19, v4
	v_mul_f32_e32 v19, 0x3fb8aa3b, v19
	v_exp_f32_e32 v19, v19
	ds_write_b32 v11, v19
	v_add_f32_e32 v10, v10, v19
	v_add_u32_e32 v11, 0x200, v11
	s_andn2_b64 exec, exec, s[36:37]
	s_cbranch_execnz .LBB36_19
; %bb.20:
	s_or_b64 exec, exec, s[36:37]
.LBB36_21:
	s_or_b64 exec, exec, s[34:35]
	ds_bpermute_b32 v2, v2, v10
	s_waitcnt lgkmcnt(0)
	v_add_f32_e32 v2, v10, v2
	ds_bpermute_b32 v3, v3, v2
	s_waitcnt lgkmcnt(0)
	v_add_f32_e32 v2, v2, v3
	ds_bpermute_b32 v3, v7, v2
	v_xor_b32_e32 v7, 2, v16
	v_cmp_lt_i32_e64 s[10:11], v7, v17
	v_cndmask_b32_e64 v7, v16, v7, s[10:11]
	v_lshlrev_b32_e32 v24, 2, v7
	s_waitcnt lgkmcnt(0)
	v_add_f32_e32 v2, v2, v3
	ds_bpermute_b32 v3, v8, v2
	s_waitcnt lgkmcnt(0)
	v_add_f32_e32 v2, v2, v3
	ds_bpermute_b32 v3, v24, v2
	;; [unrolled: 3-line block ×3, first 2 shown]
	s_waitcnt lgkmcnt(0)
	v_add_f32_e32 v2, v2, v3
	s_and_saveexec_b64 s[10:11], vcc
	s_cbranch_execz .LBB36_23
; %bb.22:
	ds_write_b32 v5, v2 offset:136
.LBB36_23:
	s_or_b64 exec, exec, s[10:11]
	s_waitcnt lgkmcnt(0)
	s_barrier
	s_and_saveexec_b64 s[10:11], s[2:3]
	s_cbranch_execz .LBB36_25
; %bb.24:
	ds_read_b32 v2, v6 offset:136
.LBB36_25:
	s_or_b64 exec, exec, s[10:11]
	s_waitcnt lgkmcnt(0)
	ds_bpermute_b32 v3, v23, v2
	s_waitcnt lgkmcnt(0)
	v_add_f32_e32 v2, v2, v3
	ds_bpermute_b32 v5, v9, v2
	s_and_saveexec_b64 s[2:3], s[4:5]
	s_cbranch_execz .LBB36_38
; %bb.26:
	s_waitcnt lgkmcnt(0)
	v_add_f32_e32 v2, 0x358637bd, v5
	v_div_scale_f32 v3, s[4:5], v2, v2, 1.0
	v_rcp_f32_e32 v6, v3
	v_div_scale_f32 v7, vcc, 1.0, v2, 1.0
	s_movk_i32 s4, 0x7f
	v_fma_f32 v8, -v3, v6, 1.0
	v_fmac_f32_e32 v6, v8, v6
	v_mul_f32_e32 v8, v7, v6
	v_fma_f32 v9, -v3, v8, v7
	v_fmac_f32_e32 v8, v9, v6
	v_fma_f32 v3, -v3, v8, v7
	v_div_fmas_f32 v3, v3, v6, v8
	v_div_fixup_f32 v2, v3, v2, 1.0
	v_xad_u32 v3, v0, -1, s38
	v_subrev_u32_e32 v6, s40, v3
	v_cmp_lt_u32_e32 vcc, s4, v6
	s_mov_b64 s[10:11], -1
	v_mov_b32_e32 v3, v0
	s_and_saveexec_b64 s[4:5], vcc
	s_cbranch_execz .LBB36_35
; %bb.27:
	v_lshrrev_b32_e32 v6, 7, v6
	v_add_u32_e32 v8, -1, v6
	v_lshrrev_b32_e32 v7, 1, v8
	v_mov_b32_e32 v3, v2
	v_add_u32_e32 v7, 1, v7
	v_cmp_lt_u32_e32 vcc, 13, v8
	v_mov_b32_e32 v10, 0
	s_and_saveexec_b64 s[10:11], vcc
	s_cbranch_execz .LBB36_31
; %bb.28:
	v_mov_b32_e32 v9, 0x90
	v_and_b32_e32 v8, -8, v7
	v_lshl_add_u32 v9, v0, 2, v9
	s_mov_b32 s36, 0
	s_mov_b64 s[34:35], 0
.LBB36_29:                              ; =>This Inner Loop Header: Depth=1
	ds_read2st64_b32 v[10:11], v9 offset1:2
	ds_read2st64_b32 v[16:17], v9 offset0:4 offset1:6
	ds_read2st64_b32 v[18:19], v9 offset0:8 offset1:10
	;; [unrolled: 1-line block ×3, first 2 shown]
	v_add_u32_e32 v8, -8, v8
	s_waitcnt lgkmcnt(3)
	v_pk_mul_f32 v[10:11], v[2:3], v[10:11]
	s_waitcnt lgkmcnt(2)
	v_pk_mul_f32 v[16:17], v[2:3], v[16:17]
	ds_write2st64_b32 v9, v10, v11 offset1:2
	ds_write2st64_b32 v9, v16, v17 offset0:4 offset1:6
	ds_read2st64_b32 v[16:17], v9 offset0:16 offset1:18
	s_waitcnt lgkmcnt(4)
	v_pk_mul_f32 v[10:11], v[2:3], v[18:19]
	ds_write2st64_b32 v9, v10, v11 offset0:8 offset1:10
	s_waitcnt lgkmcnt(4)
	v_pk_mul_f32 v[10:11], v[2:3], v[26:27]
	ds_write2st64_b32 v9, v10, v11 offset0:12 offset1:14
	ds_read2st64_b32 v[10:11], v9 offset0:20 offset1:22
	s_waitcnt lgkmcnt(3)
	v_pk_mul_f32 v[16:17], v[2:3], v[16:17]
	ds_read2st64_b32 v[18:19], v9 offset0:24 offset1:26
	ds_write2st64_b32 v9, v16, v17 offset0:16 offset1:18
	ds_read2st64_b32 v[16:17], v9 offset0:28 offset1:30
	s_waitcnt lgkmcnt(3)
	v_pk_mul_f32 v[10:11], v[2:3], v[10:11]
	ds_write2st64_b32 v9, v10, v11 offset0:20 offset1:22
	s_waitcnt lgkmcnt(3)
	v_pk_mul_f32 v[10:11], v[2:3], v[18:19]
	ds_write2st64_b32 v9, v10, v11 offset0:24 offset1:26
	s_waitcnt lgkmcnt(2)
	v_pk_mul_f32 v[10:11], v[2:3], v[16:17]
	s_add_i32 s36, s36, 16
	v_cmp_eq_u32_e32 vcc, 0, v8
	ds_write2st64_b32 v9, v10, v11 offset0:28 offset1:30
	v_add_u32_e32 v9, 0x2000, v9
	s_or_b64 s[34:35], vcc, s[34:35]
	v_mov_b32_e32 v10, s36
	s_andn2_b64 exec, exec, s[34:35]
	s_cbranch_execnz .LBB36_29
; %bb.30:
	s_or_b64 exec, exec, s[34:35]
.LBB36_31:
	s_or_b64 exec, exec, s[10:11]
	v_and_b32_e32 v7, 7, v7
	v_cmp_ne_u32_e32 vcc, 0, v7
	s_and_saveexec_b64 s[10:11], vcc
	s_cbranch_execz .LBB36_34
; %bb.32:
	v_lshlrev_b32_e32 v8, 9, v10
	s_movk_i32 s34, 0x90
	v_add3_u32 v8, v8, v12, s34
	s_mov_b64 s[34:35], 0
.LBB36_33:                              ; =>This Inner Loop Header: Depth=1
	ds_read2st64_b32 v[10:11], v8 offset1:2
	v_add_u32_e32 v7, -1, v7
	v_cmp_eq_u32_e32 vcc, 0, v7
	s_or_b64 s[34:35], vcc, s[34:35]
	s_waitcnt lgkmcnt(0)
	v_pk_mul_f32 v[10:11], v[2:3], v[10:11]
	ds_write2st64_b32 v8, v10, v11 offset1:2
	v_add_u32_e32 v8, 0x400, v8
	s_andn2_b64 exec, exec, s[34:35]
	s_cbranch_execnz .LBB36_33
.LBB36_34:
	s_or_b64 exec, exec, s[10:11]
	v_add_u32_e32 v6, 1, v6
	v_and_b32_e32 v7, 0x3fffffe, v6
	v_cmp_ne_u32_e32 vcc, v6, v7
	v_lshl_add_u32 v3, v7, 7, v0
	s_orn2_b64 s[10:11], vcc, exec
.LBB36_35:
	s_or_b64 exec, exec, s[4:5]
	s_and_b64 exec, exec, s[10:11]
	s_cbranch_execz .LBB36_38
; %bb.36:
	v_mov_b32_e32 v6, 0x90
	v_lshl_add_u32 v6, v3, 2, v6
	s_mov_b64 s[4:5], 0
.LBB36_37:                              ; =>This Inner Loop Header: Depth=1
	ds_read_b32 v7, v6
	v_add_u32_e32 v3, 0x80, v3
	v_cmp_le_i32_e32 vcc, s15, v3
	s_or_b64 s[4:5], vcc, s[4:5]
	s_waitcnt lgkmcnt(0)
	v_mul_f32_e32 v7, v2, v7
	ds_write_b32 v6, v7
	v_add_u32_e32 v6, 0x200, v6
	s_andn2_b64 exec, exec, s[4:5]
	s_cbranch_execnz .LBB36_37
.LBB36_38:
	s_or_b64 exec, exec, s[2:3]
	s_mul_i32 s2, s21, s24
	v_cmp_eq_u32_e32 vcc, 0, v0
	s_mul_i32 s2, s2, s9
	s_waitcnt lgkmcnt(0)
	s_barrier
	s_and_saveexec_b64 s[4:5], vcc
	s_cbranch_execz .LBB36_40
; %bb.39:
	s_ashr_i32 s3, s2, 31
	s_lshl_b64 s[10:11], s[2:3], 2
	s_add_u32 s3, s18, s10
	s_mul_i32 s18, s21, s6
	s_addc_u32 s9, s19, s11
	s_ashr_i32 s19, s18, 31
	s_lshl_b64 s[18:19], s[18:19], 2
	s_add_u32 s3, s3, s18
	s_addc_u32 s6, s9, s19
	s_ashr_i32 s9, s8, 31
	s_lshl_b64 s[8:9], s[8:9], 2
	s_add_u32 s34, s3, s8
	s_addc_u32 s35, s6, s9
	s_add_u32 s3, s16, s10
	s_addc_u32 s6, s17, s11
	;; [unrolled: 2-line block ×3, first 2 shown]
	s_add_u32 s8, s3, s8
	v_mov_b32_e32 v2, 0
	s_addc_u32 s9, s6, s9
	global_store_dword v2, v4, s[34:35]
	global_store_dword v2, v5, s[8:9]
.LBB36_40:
	s_or_b64 exec, exec, s[4:5]
	v_mov_b32_e32 v17, 0
	v_mov_b32_e32 v16, 0
	s_and_saveexec_b64 s[4:5], s[0:1]
	s_cbranch_execz .LBB36_48
; %bb.41:
	s_ashr_i32 s15, s14, 31
	s_lshl_b64 s[0:1], s[14:15], 2
	v_lshlrev_b32_e32 v3, 4, v0
	s_add_u32 s0, s30, s0
	v_and_b32_e32 v3, 0x3f0, v3
	v_and_b32_e32 v2, 12, v12
	s_addc_u32 s1, s31, s1
	v_add_co_u32_e32 v25, vcc, s0, v3
	v_lshl_add_u32 v3, v13, 4, s40
	s_add_i32 s10, s7, -1
	v_mov_b32_e32 v4, s1
	v_add3_u32 v27, v3, v2, 3
	v_lshlrev_b32_e32 v2, 4, v21
	s_lshl_b64 s[0:1], s[28:29], 2
	v_lshl_or_b32 v2, v13, 6, v2
	s_add_u32 s0, s26, s0
	v_addc_co_u32_e32 v26, vcc, 0, v4, vcc
	v_add_u32_e32 v28, 0x90, v2
	v_lshlrev_b64 v[2:3], 2, v[14:15]
	s_addc_u32 s1, s27, s1
	v_mov_b32_e32 v4, s1
	v_add_co_u32_e32 v18, vcc, s0, v2
	v_mov_b32_e32 v17, 0
	s_mov_b32 s3, s13
	v_addc_co_u32_e32 v19, vcc, v4, v3, vcc
	s_mov_b64 s[6:7], 0
	v_mov_b32_e32 v16, v17
	s_branch .LBB36_43
.LBB36_42:                              ;   in Loop: Header=BB36_43 Depth=1
	s_or_b64 exec, exec, s[0:1]
	s_waitcnt vmcnt(1) lgkmcnt(0)
	v_mul_f32_e32 v7, v3, v7
	s_waitcnt vmcnt(0)
	v_mul_f32_e32 v3, v3, v11
	v_fmac_f32_e32 v7, v2, v6
	v_fmac_f32_e32 v3, v2, v10
	v_add_u32_e32 v14, 2, v14
	v_fmac_f32_e32 v7, v4, v8
	v_fmac_f32_e32 v3, v4, v12
	v_cmp_le_i32_e32 vcc, s33, v14
	v_fmac_f32_e32 v7, v5, v9
	v_fmac_f32_e32 v3, v5, v13
	s_or_b64 s[6:7], vcc, s[6:7]
	v_add_co_u32_e32 v18, vcc, 8, v18
	v_add_f32_e32 v16, v16, v7
	v_add_f32_e32 v17, v17, v3
	v_add_u32_e32 v27, 32, v27
	v_add_u32_e32 v28, 0x80, v28
	v_addc_co_u32_e32 v19, vcc, 0, v19, vcc
	s_andn2_b64 exec, exec, s[6:7]
	s_cbranch_execz .LBB36_47
.LBB36_43:                              ; =>This Inner Loop Header: Depth=1
	global_load_dword v2, v[18:19], off
	v_add_u32_e32 v15, -3, v27
	v_add_u32_e32 v30, -2, v27
	;; [unrolled: 1-line block ×3, first 2 shown]
	s_waitcnt vmcnt(0)
	v_mad_i64_i32 v[2:3], s[0:1], v2, s3, 0
	v_lshlrev_b64 v[2:3], 2, v[2:3]
	v_add_co_u32_e32 v10, vcc, v25, v2
	v_addc_co_u32_e32 v11, vcc, v26, v3, vcc
	global_load_dwordx4 v[6:9], v[10:11], off
	ds_read_b128 v[2:5], v28
	v_cmp_eq_u32_e32 vcc, s10, v14
	s_and_saveexec_b64 s[8:9], vcc
	s_cbranch_execz .LBB36_45
; %bb.44:                               ;   in Loop: Header=BB36_43 Depth=1
	v_cmp_gt_i32_e64 s[0:1], s25, v15
	s_waitcnt vmcnt(0)
	v_cndmask_b32_e64 v6, 0, v6, s[0:1]
	v_cmp_gt_i32_e64 s[0:1], s25, v30
	v_cndmask_b32_e64 v7, 0, v7, s[0:1]
	v_cmp_gt_i32_e64 s[0:1], s25, v29
	;; [unrolled: 2-line block ×3, first 2 shown]
	v_cndmask_b32_e64 v9, 0, v9, s[0:1]
.LBB36_45:                              ;   in Loop: Header=BB36_43 Depth=1
	s_or_b64 exec, exec, s[8:9]
	global_load_dwordx4 v[10:13], v[10:11], off offset:1024
	s_and_saveexec_b64 s[0:1], vcc
	s_cbranch_execz .LBB36_42
; %bb.46:                               ;   in Loop: Header=BB36_43 Depth=1
	v_cmp_gt_i32_e32 vcc, s25, v15
	s_waitcnt vmcnt(0)
	v_cndmask_b32_e32 v10, 0, v10, vcc
	v_cmp_gt_i32_e32 vcc, s25, v30
	v_cndmask_b32_e32 v11, 0, v11, vcc
	v_cmp_gt_i32_e32 vcc, s25, v29
	;; [unrolled: 2-line block ×3, first 2 shown]
	v_cndmask_b32_e32 v13, 0, v13, vcc
	s_branch .LBB36_42
.LBB36_47:
	s_or_b64 exec, exec, s[6:7]
.LBB36_48:
	s_or_b64 exec, exec, s[4:5]
	ds_bpermute_b32 v2, v24, v16
	ds_bpermute_b32 v3, v24, v17
	v_and_b32_e32 v4, 0x3c3, v0
	v_cmp_eq_u32_e32 vcc, 64, v4
	s_waitcnt lgkmcnt(0)
	s_barrier
	v_pk_add_f32 v[2:3], v[16:17], v[2:3]
	ds_bpermute_b32 v6, v23, v2
	ds_bpermute_b32 v7, v23, v3
	s_waitcnt lgkmcnt(0)
	v_pk_add_f32 v[2:3], v[2:3], v[6:7]
	s_and_saveexec_b64 s[0:1], vcc
	s_cbranch_execz .LBB36_50
; %bb.49:
	v_add_u32_e32 v6, 0x90, v22
	v_add_u32_e32 v5, 0x90, v0
	ds_write_b32 v6, v2
	ds_write_b32 v5, v3
.LBB36_50:
	s_or_b64 exec, exec, s[0:1]
	v_cmp_gt_u32_e32 vcc, 64, v0
	s_waitcnt lgkmcnt(0)
	s_barrier
	s_and_saveexec_b64 s[0:1], vcc
	s_cbranch_execz .LBB36_56
; %bb.51:
	v_cmp_eq_u32_e32 vcc, 0, v21
	s_and_saveexec_b64 s[4:5], vcc
	s_cbranch_execz .LBB36_53
; %bb.52:
	v_mov_b32_e32 v0, 0x90
	v_lshl_add_u32 v0, v20, 2, v0
	ds_read_b32 v0, v0
	s_waitcnt lgkmcnt(0)
	v_add_f32_e32 v2, v2, v0
.LBB36_53:
	s_or_b64 exec, exec, s[4:5]
	s_and_saveexec_b64 s[4:5], vcc
	s_cbranch_execz .LBB36_55
; %bb.54:
	v_mov_b32_e32 v0, 0x90
	v_lshl_add_u32 v0, v20, 2, v0
	ds_read_b32 v0, v0 offset:64
	s_waitcnt lgkmcnt(0)
	v_add_f32_e32 v3, v3, v0
.LBB36_55:
	s_or_b64 exec, exec, s[4:5]
.LBB36_56:
	s_or_b64 exec, exec, s[0:1]
	v_cmp_eq_u32_e32 vcc, 0, v4
	s_barrier
	s_and_saveexec_b64 s[0:1], vcc
	s_cbranch_execz .LBB36_58
; %bb.57:
	s_lshl_b32 s0, s2, 5
	s_ashr_i32 s1, s0, 31
	s_lshl_b64 s[0:1], s[0:1], 2
	s_add_u32 s2, s22, s0
	s_mul_i32 s0, s21, s20
	s_addc_u32 s3, s23, s1
	s_ashr_i32 s1, s0, 31
	s_lshl_b64 s[0:1], s[0:1], 2
	s_add_u32 s2, s2, s0
	s_addc_u32 s3, s3, s1
	s_ashr_i32 s13, s12, 31
	s_lshl_b64 s[0:1], s[12:13], 2
	s_add_u32 s0, s2, s0
	s_addc_u32 s1, s3, s1
	global_store_dword v1, v2, s[0:1]
	global_store_dword v1, v3, s[0:1] offset:64
.LBB36_58:
	s_endpgm
	.section	.rodata,"a",@progbits
	.p2align	6, 0x0
	.amdhsa_kernel _ZN4vllm25paged_attention_v2_kernelIffLi32ELi16ELi128ELNS_18Fp8KVCacheDataTypeE0ELb0ELi512EEEvPfS2_PT_PKS3_PKT0_S9_ifPKiSB_iPKfiiiSD_SD_iiiii
		.amdhsa_group_segment_fixed_size 144
		.amdhsa_private_segment_fixed_size 0
		.amdhsa_kernarg_size 400
		.amdhsa_user_sgpr_count 6
		.amdhsa_user_sgpr_private_segment_buffer 1
		.amdhsa_user_sgpr_dispatch_ptr 0
		.amdhsa_user_sgpr_queue_ptr 0
		.amdhsa_user_sgpr_kernarg_segment_ptr 1
		.amdhsa_user_sgpr_dispatch_id 0
		.amdhsa_user_sgpr_flat_scratch_init 0
		.amdhsa_user_sgpr_kernarg_preload_length 0
		.amdhsa_user_sgpr_kernarg_preload_offset 0
		.amdhsa_user_sgpr_private_segment_size 0
		.amdhsa_uses_dynamic_stack 0
		.amdhsa_system_sgpr_private_segment_wavefront_offset 0
		.amdhsa_system_sgpr_workgroup_id_x 1
		.amdhsa_system_sgpr_workgroup_id_y 1
		.amdhsa_system_sgpr_workgroup_id_z 1
		.amdhsa_system_sgpr_workgroup_info 0
		.amdhsa_system_vgpr_workitem_id 0
		.amdhsa_next_free_vgpr 38
		.amdhsa_next_free_sgpr 42
		.amdhsa_accum_offset 40
		.amdhsa_reserve_vcc 1
		.amdhsa_reserve_flat_scratch 0
		.amdhsa_float_round_mode_32 0
		.amdhsa_float_round_mode_16_64 0
		.amdhsa_float_denorm_mode_32 3
		.amdhsa_float_denorm_mode_16_64 3
		.amdhsa_dx10_clamp 1
		.amdhsa_ieee_mode 1
		.amdhsa_fp16_overflow 0
		.amdhsa_tg_split 0
		.amdhsa_exception_fp_ieee_invalid_op 0
		.amdhsa_exception_fp_denorm_src 0
		.amdhsa_exception_fp_ieee_div_zero 0
		.amdhsa_exception_fp_ieee_overflow 0
		.amdhsa_exception_fp_ieee_underflow 0
		.amdhsa_exception_fp_ieee_inexact 0
		.amdhsa_exception_int_div_zero 0
	.end_amdhsa_kernel
	.section	.text._ZN4vllm25paged_attention_v2_kernelIffLi32ELi16ELi128ELNS_18Fp8KVCacheDataTypeE0ELb0ELi512EEEvPfS2_PT_PKS3_PKT0_S9_ifPKiSB_iPKfiiiSD_SD_iiiii,"axG",@progbits,_ZN4vllm25paged_attention_v2_kernelIffLi32ELi16ELi128ELNS_18Fp8KVCacheDataTypeE0ELb0ELi512EEEvPfS2_PT_PKS3_PKT0_S9_ifPKiSB_iPKfiiiSD_SD_iiiii,comdat
.Lfunc_end36:
	.size	_ZN4vllm25paged_attention_v2_kernelIffLi32ELi16ELi128ELNS_18Fp8KVCacheDataTypeE0ELb0ELi512EEEvPfS2_PT_PKS3_PKT0_S9_ifPKiSB_iPKfiiiSD_SD_iiiii, .Lfunc_end36-_ZN4vllm25paged_attention_v2_kernelIffLi32ELi16ELi128ELNS_18Fp8KVCacheDataTypeE0ELb0ELi512EEEvPfS2_PT_PKS3_PKT0_S9_ifPKiSB_iPKfiiiSD_SD_iiiii
                                        ; -- End function
	.section	.AMDGPU.csdata,"",@progbits
; Kernel info:
; codeLenInByte = 3476
; NumSgprs: 46
; NumVgprs: 38
; NumAgprs: 0
; TotalNumVgprs: 38
; ScratchSize: 0
; MemoryBound: 0
; FloatMode: 240
; IeeeMode: 1
; LDSByteSize: 144 bytes/workgroup (compile time only)
; SGPRBlocks: 5
; VGPRBlocks: 4
; NumSGPRsForWavesPerEU: 46
; NumVGPRsForWavesPerEU: 38
; AccumOffset: 40
; Occupancy: 8
; WaveLimiterHint : 1
; COMPUTE_PGM_RSRC2:SCRATCH_EN: 0
; COMPUTE_PGM_RSRC2:USER_SGPR: 6
; COMPUTE_PGM_RSRC2:TRAP_HANDLER: 0
; COMPUTE_PGM_RSRC2:TGID_X_EN: 1
; COMPUTE_PGM_RSRC2:TGID_Y_EN: 1
; COMPUTE_PGM_RSRC2:TGID_Z_EN: 1
; COMPUTE_PGM_RSRC2:TIDIG_COMP_CNT: 0
; COMPUTE_PGM_RSRC3_GFX90A:ACCUM_OFFSET: 9
; COMPUTE_PGM_RSRC3_GFX90A:TG_SPLIT: 0
	.section	.text._ZN4vllm25paged_attention_v2_kernelIffLi64ELi16ELi128ELNS_18Fp8KVCacheDataTypeE0ELb0ELi512EEEvPfS2_PT_PKS3_PKT0_S9_ifPKiSB_iPKfiiiSD_SD_iiiii,"axG",@progbits,_ZN4vllm25paged_attention_v2_kernelIffLi64ELi16ELi128ELNS_18Fp8KVCacheDataTypeE0ELb0ELi512EEEvPfS2_PT_PKS3_PKT0_S9_ifPKiSB_iPKfiiiSD_SD_iiiii,comdat
	.protected	_ZN4vllm25paged_attention_v2_kernelIffLi64ELi16ELi128ELNS_18Fp8KVCacheDataTypeE0ELb0ELi512EEEvPfS2_PT_PKS3_PKT0_S9_ifPKiSB_iPKfiiiSD_SD_iiiii ; -- Begin function _ZN4vllm25paged_attention_v2_kernelIffLi64ELi16ELi128ELNS_18Fp8KVCacheDataTypeE0ELb0ELi512EEEvPfS2_PT_PKS3_PKT0_S9_ifPKiSB_iPKfiiiSD_SD_iiiii
	.globl	_ZN4vllm25paged_attention_v2_kernelIffLi64ELi16ELi128ELNS_18Fp8KVCacheDataTypeE0ELb0ELi512EEEvPfS2_PT_PKS3_PKT0_S9_ifPKiSB_iPKfiiiSD_SD_iiiii
	.p2align	8
	.type	_ZN4vllm25paged_attention_v2_kernelIffLi64ELi16ELi128ELNS_18Fp8KVCacheDataTypeE0ELb0ELi512EEEvPfS2_PT_PKS3_PKT0_S9_ifPKiSB_iPKfiiiSD_SD_iiiii,@function
_ZN4vllm25paged_attention_v2_kernelIffLi64ELi16ELi128ELNS_18Fp8KVCacheDataTypeE0ELb0ELi512EEEvPfS2_PT_PKS3_PKT0_S9_ifPKiSB_iPKfiiiSD_SD_iiiii: ; @_ZN4vllm25paged_attention_v2_kernelIffLi64ELi16ELi128ELNS_18Fp8KVCacheDataTypeE0ELb0ELi512EEEvPfS2_PT_PKS3_PKT0_S9_ifPKiSB_iPKfiiiSD_SD_iiiii
; %bb.0:
	s_load_dwordx2 s[0:1], s[4:5], 0x40
	s_mov_b32 s26, s7
	s_ashr_i32 s27, s7, 31
	s_lshl_b64 s[2:3], s[26:27], 2
	s_waitcnt lgkmcnt(0)
	s_add_u32 s0, s0, s2
	s_addc_u32 s1, s1, s3
	s_load_dword s27, s[0:1], 0x0
	s_lshl_b32 s33, s8, 9
	s_waitcnt lgkmcnt(0)
	s_cmp_ge_i32 s33, s27
	s_cbranch_scc1 .LBB37_63
; %bb.1:
	s_load_dword s9, s[4:5], 0x90
	s_load_dwordx2 s[12:13], s[4:5], 0x30
	s_waitcnt lgkmcnt(0)
	s_abs_i32 s2, s9
	s_abs_i32 s0, s12
	v_cvt_f32_u32_e32 v1, s0
	s_sub_i32 s3, 0, s0
	s_xor_b32 s1, s9, s12
	s_ashr_i32 s1, s1, 31
	v_rcp_iflag_f32_e32 v1, v1
	s_mov_b32 s12, 0
	v_mul_f32_e32 v1, 0x4f7ffffe, v1
	v_cvt_u32_f32_e32 v1, v1
	v_readfirstlane_b32 s7, v1
	s_mul_i32 s3, s3, s7
	s_mul_hi_u32 s3, s7, s3
	s_add_i32 s7, s7, s3
	s_mul_hi_u32 s3, s2, s7
	s_mul_i32 s7, s3, s0
	s_sub_i32 s2, s2, s7
	s_add_i32 s10, s3, 1
	s_sub_i32 s7, s2, s0
	s_cmp_ge_u32 s2, s0
	s_cselect_b32 s3, s10, s3
	s_cselect_b32 s2, s7, s2
	s_add_i32 s7, s3, 1
	s_cmp_ge_u32 s2, s0
	s_cselect_b32 s0, s7, s3
	s_xor_b32 s0, s0, s1
	s_sub_i32 s2, s0, s1
	s_abs_i32 s10, s2
	v_cvt_f32_u32_e32 v1, s10
	s_load_dwordx2 s[0:1], s[4:5], 0x50
	s_sub_i32 s3, 0, s10
	s_abs_i32 s11, s6
	v_rcp_iflag_f32_e32 v1, v1
	v_mul_f32_e32 v1, 0x4f7ffffe, v1
	v_cvt_u32_f32_e32 v1, v1
	v_readfirstlane_b32 s7, v1
	s_mul_i32 s3, s3, s7
	s_mul_hi_u32 s3, s7, s3
	s_add_i32 s7, s7, s3
	s_waitcnt lgkmcnt(0)
	s_cmp_eq_u64 s[0:1], 0
	s_mul_hi_u32 s20, s11, s7
	s_cbranch_scc1 .LBB37_3
; %bb.2:
	s_ashr_i32 s7, s6, 31
	s_lshl_b64 s[14:15], s[6:7], 2
	s_add_u32 s0, s0, s14
	s_addc_u32 s1, s1, s15
	s_load_dword s12, s[0:1], 0x0
.LBB37_3:
	s_load_dwordx4 s[16:19], s[4:5], 0x58
	v_lshrrev_b32_e32 v30, 2, v0
	s_ashr_i32 s21, s6, 31
	s_ashr_i32 s22, s2, 31
	v_and_b32_e32 v31, 3, v0
	s_lshl_b32 s14, s6, 6
	v_cmp_gt_u32_e64 s[0:1], 64, v0
	v_lshlrev_b32_e32 v20, 2, v0
	v_lshlrev_b32_e32 v1, 2, v30
	s_and_saveexec_b64 s[2:3], s[0:1]
	s_cbranch_execz .LBB37_5
; %bb.4:
	s_load_dwordx2 s[24:25], s[4:5], 0x18
	s_waitcnt lgkmcnt(0)
	s_mul_i32 s28, s26, s16
	s_ashr_i32 s29, s28, 31
	s_lshl_b64 s[28:29], s[28:29], 2
	v_lshl_add_u32 v3, v31, 6, v1
	s_add_u32 s7, s24, s28
	s_addc_u32 s16, s25, s29
	s_ashr_i32 s15, s14, 31
	s_lshl_b64 s[24:25], s[14:15], 2
	s_add_u32 s24, s7, s24
	s_addc_u32 s25, s16, s25
	global_load_dword v2, v20, s[24:25]
	s_waitcnt vmcnt(0)
	ds_write_b32 v3, v2
.LBB37_5:
	s_or_b64 exec, exec, s[2:3]
	s_add_i32 s2, s27, 15
	s_ashr_i32 s3, s2, 31
	s_lshr_b32 s3, s3, 28
	s_add_i32 s2, s2, s3
	s_lshl_b32 s7, s8, 5
	s_mul_i32 s3, s20, s10
	s_ashr_i32 s42, s2, 4
	s_add_i32 s2, s7, 32
	s_sub_i32 s3, s11, s3
	s_waitcnt lgkmcnt(0)
	s_min_i32 s16, s2, s42
	s_xor_b32 s2, s21, s22
	s_add_i32 s11, s20, 1
	s_sub_i32 s15, s3, s10
	s_cmp_ge_u32 s3, s10
	s_cselect_b32 s11, s11, s20
	s_cselect_b32 s3, s15, s3
	s_add_i32 s15, s11, 1
	s_cmp_ge_u32 s3, s10
	s_load_dwordx2 s[28:29], s[4:5], 0x38
	s_load_dword s10, s[4:5], 0x48
	v_lshrrev_b32_e32 v21, 6, v0
	s_cselect_b32 s3, s15, s11
	s_xor_b32 s3, s3, s2
	v_or_b32_e32 v22, s7, v21
	s_waitcnt lgkmcnt(0)
	s_mul_i32 s30, s26, s10
	s_sub_i32 s19, s3, s2
	s_ashr_i32 s31, s30, 31
	v_cmp_gt_i32_e64 s[2:3], s16, v22
	v_cmp_le_i32_e32 vcc, s16, v22
	v_mbcnt_lo_u32_b32 v18, -1, 0
	s_barrier
	s_waitcnt lgkmcnt(0)
                                        ; implicit-def: $sgpr38
                                        ; implicit-def: $vgpr24
                                        ; implicit-def: $vgpr25
	s_and_saveexec_b64 s[10:11], vcc
	s_xor_b64 s[10:11], exec, s[10:11]
; %bb.6:
	v_mbcnt_hi_u32_b32 v24, -1, v18
	v_and_b32_e32 v2, 64, v24
	v_add_u32_e32 v25, 64, v2
	s_mov_b32 s38, 0xff7fffff
                                        ; implicit-def: $vgpr18
; %bb.7:
	s_or_saveexec_b64 s[36:37], s[10:11]
	s_load_dwordx4 s[20:23], s[4:5], 0x0
	s_load_dwordx2 s[24:25], s[4:5], 0x10
	s_load_dwordx2 s[34:35], s[4:5], 0x28
	s_load_dword s15, s[4:5], 0x98
	v_mov_b32_e32 v28, s38
	s_mul_i32 s18, s19, s18
	v_ashrrev_i32_e32 v23, 31, v22
	s_xor_b64 exec, exec, s[36:37]
	s_cbranch_execz .LBB37_13
; %bb.8:
	s_load_dwordx2 s[4:5], s[4:5], 0x20
	s_ashr_i32 s19, s18, 31
	s_lshl_b64 s[10:11], s[18:19], 2
	v_bfe_u32 v19, v0, 2, 4
	v_lshlrev_b32_e32 v2, 4, v19
	s_waitcnt lgkmcnt(0)
	s_add_u32 s4, s4, s10
	s_addc_u32 s5, s5, s11
	v_mov_b32_e32 v3, s5
	v_add_co_u32_e32 v2, vcc, s4, v2
	v_addc_co_u32_e32 v3, vcc, 0, v3, vcc
	v_lshlrev_b32_e32 v4, 2, v31
	v_mbcnt_hi_u32_b32 v24, -1, v18
	v_add_co_u32_e32 v26, vcc, v2, v4
	v_and_b32_e32 v18, 64, v24
	v_addc_co_u32_e32 v27, vcc, 0, v3, vcc
	v_add_u32_e32 v25, 64, v18
	v_xor_b32_e32 v18, 2, v24
	v_cmp_lt_i32_e32 vcc, v18, v25
	v_cndmask_b32_e32 v18, v24, v18, vcc
	v_lshlrev_b32_e32 v14, 6, v31
	v_lshlrev_b32_e32 v29, 2, v18
	v_xor_b32_e32 v18, 1, v24
	ds_read_b128 v[2:5], v14
	ds_read_b128 v[6:9], v14 offset:16
	ds_read_b128 v[10:13], v14 offset:32
	;; [unrolled: 1-line block ×3, first 2 shown]
	v_cmp_lt_i32_e32 vcc, v18, v25
	v_cndmask_b32_e32 v18, v24, v18, vcc
	v_lshlrev_b32_e32 v28, 2, v19
	v_lshlrev_b32_e32 v32, 2, v18
	s_sub_i32 s19, 1, s27
	v_lshlrev_b32_e32 v18, 4, v21
	s_lshl_b64 s[10:11], s[30:31], 2
	v_add3_u32 v33, s33, v18, v19
	v_lshl_or_b32 v18, v21, 6, v28
	s_add_u32 s10, s28, s10
	v_add_u32_e32 v34, 0x110, v18
	v_lshlrev_b64 v[18:19], 2, v[22:23]
	s_addc_u32 s11, s29, s11
	v_mov_b32_e32 v28, s11
	v_add_co_u32_e64 v18, s[10:11], s10, v18
	s_mov_b32 s43, s17
	v_cmp_eq_u32_e32 vcc, 0, v31
	v_cmp_neq_f32_e64 s[4:5], s12, 0
	v_addc_co_u32_e64 v19, s[10:11], v28, v19, s[10:11]
	s_mov_b64 s[38:39], 0
	v_mov_b32_e32 v28, 0xff7fffff
	v_mov_b32_e32 v35, v22
	s_branch .LBB37_10
.LBB37_9:                               ;   in Loop: Header=BB37_10 Depth=1
	s_or_b64 exec, exec, s[40:41]
	v_add_u32_e32 v35, 2, v35
	v_cmp_le_i32_e64 s[10:11], s16, v35
	s_or_b64 s[38:39], s[10:11], s[38:39]
	v_add_co_u32_e64 v18, s[10:11], 8, v18
	v_add_u32_e32 v33, 32, v33
	v_add_u32_e32 v34, 0x80, v34
	v_addc_co_u32_e64 v19, s[10:11], 0, v19, s[10:11]
	s_andn2_b64 exec, exec, s[38:39]
	s_cbranch_execz .LBB37_12
.LBB37_10:                              ; =>This Inner Loop Header: Depth=1
	global_load_dword v36, v[18:19], off
	s_waitcnt vmcnt(0) lgkmcnt(0)
	v_mad_i64_i32 v[36:37], s[10:11], v36, s43, 0
	v_lshlrev_b64 v[36:37], 2, v[36:37]
	v_add_co_u32_e64 v36, s[10:11], v26, v36
	v_addc_co_u32_e64 v37, s[10:11], v27, v37, s[10:11]
	global_load_dword v38, v[36:37], off offset:256
	global_load_dword v39, v[36:37], off
	global_load_dword v40, v[36:37], off offset:512
	global_load_dword v41, v[36:37], off offset:768
	;; [unrolled: 1-line block ×13, first 2 shown]
	s_nop 0
	global_load_dword v36, v[36:37], off offset:3840
	s_waitcnt vmcnt(15) lgkmcnt(3)
	v_mul_f32_e32 v37, v3, v38
	s_waitcnt vmcnt(14)
	v_fmac_f32_e32 v37, v2, v39
	s_waitcnt vmcnt(13)
	v_fmac_f32_e32 v37, v4, v40
	s_waitcnt vmcnt(12)
	v_fmac_f32_e32 v37, v5, v41
	s_waitcnt vmcnt(11) lgkmcnt(2)
	v_fmac_f32_e32 v37, v6, v42
	s_waitcnt vmcnt(10)
	v_fmac_f32_e32 v37, v7, v43
	s_waitcnt vmcnt(9)
	v_fmac_f32_e32 v37, v8, v44
	s_waitcnt vmcnt(8)
	v_fmac_f32_e32 v37, v9, v45
	s_waitcnt vmcnt(7) lgkmcnt(1)
	v_fmac_f32_e32 v37, v10, v46
	;; [unrolled: 8-line block ×3, first 2 shown]
	s_waitcnt vmcnt(2)
	v_fmac_f32_e32 v37, v15, v51
	s_waitcnt vmcnt(1)
	v_fmac_f32_e32 v37, v16, v52
	;; [unrolled: 2-line block ×3, first 2 shown]
	ds_bpermute_b32 v36, v29, v37
	s_waitcnt lgkmcnt(0)
	v_add_f32_e32 v36, v37, v36
	ds_bpermute_b32 v37, v32, v36
	s_and_saveexec_b64 s[40:41], vcc
	s_cbranch_execz .LBB37_9
; %bb.11:                               ;   in Loop: Header=BB37_10 Depth=1
	v_add_u32_e32 v38, s19, v33
	v_cvt_f32_i32_e32 v38, v38
	s_waitcnt lgkmcnt(0)
	v_add_f32_e32 v36, v36, v37
	v_cmp_gt_i32_e64 s[10:11], s27, v33
	v_max_f32_e32 v37, v28, v28
	v_mul_f32_e32 v38, s12, v38
	v_cndmask_b32_e64 v38, 0, v38, s[4:5]
	v_fmac_f32_e32 v38, s13, v36
	v_cndmask_b32_e64 v36, 0, v38, s[10:11]
	ds_write_b32 v34, v36
	v_max_f32_e32 v36, v37, v38
	v_cndmask_b32_e64 v28, v28, v36, s[10:11]
	s_branch .LBB37_9
.LBB37_12:
	s_or_b64 exec, exec, s[38:39]
.LBB37_13:
	s_or_b64 exec, exec, s[36:37]
	v_xor_b32_e32 v2, 32, v24
	v_cmp_lt_i32_e32 vcc, v2, v25
	v_cndmask_b32_e32 v2, v24, v2, vcc
	v_lshlrev_b32_e32 v2, 2, v2
	ds_bpermute_b32 v3, v2, v28
	v_xor_b32_e32 v5, 16, v24
	v_max_f32_e32 v4, v28, v28
	v_cmp_lt_i32_e32 vcc, v5, v25
	v_xor_b32_e32 v6, 8, v24
	s_waitcnt lgkmcnt(0)
	v_max_f32_e32 v3, v3, v3
	v_max_f32_e32 v4, v4, v3
	v_cndmask_b32_e32 v3, v24, v5, vcc
	v_lshlrev_b32_e32 v3, 2, v3
	ds_bpermute_b32 v5, v3, v4
	v_cmp_lt_i32_e32 vcc, v6, v25
	v_and_b32_e32 v32, 63, v0
	s_waitcnt lgkmcnt(0)
	v_max_f32_e32 v5, v5, v5
	v_max_f32_e32 v4, v4, v5
	v_cndmask_b32_e32 v5, v24, v6, vcc
	v_lshlrev_b32_e32 v7, 2, v5
	ds_bpermute_b32 v5, v7, v4
	v_xor_b32_e32 v6, 4, v24
	v_cmp_lt_i32_e32 vcc, v6, v25
	s_waitcnt lgkmcnt(0)
	v_max_f32_e32 v5, v5, v5
	v_max_f32_e32 v4, v4, v5
	v_cndmask_b32_e32 v5, v24, v6, vcc
	v_lshlrev_b32_e32 v8, 2, v5
	ds_bpermute_b32 v6, v8, v4
	v_cmp_eq_u32_e32 vcc, 0, v32
	v_lshlrev_b32_e32 v5, 2, v21
	s_and_saveexec_b64 s[4:5], vcc
	s_cbranch_execz .LBB37_15
; %bb.14:
	s_waitcnt lgkmcnt(0)
	v_max_f32_e32 v6, v6, v6
	v_max_f32_e32 v4, v4, v4
	;; [unrolled: 1-line block ×3, first 2 shown]
	ds_write_b32 v5, v4 offset:256
.LBB37_15:
	s_or_b64 exec, exec, s[4:5]
	v_cmp_gt_u32_e64 s[4:5], 2, v32
	v_mov_b32_e32 v4, 0xff7fffff
	s_waitcnt lgkmcnt(0)
	v_lshlrev_b32_e32 v6, 2, v32
	s_barrier
	s_and_saveexec_b64 s[10:11], s[4:5]
	s_cbranch_execz .LBB37_17
; %bb.16:
	ds_read_b32 v4, v6 offset:256
.LBB37_17:
	s_or_b64 exec, exec, s[10:11]
	v_xor_b32_e32 v9, 1, v24
	v_cmp_lt_i32_e64 s[10:11], v9, v25
	v_cndmask_b32_e64 v9, v24, v9, s[10:11]
	v_lshlrev_b32_e32 v33, 2, v9
	s_waitcnt lgkmcnt(0)
	ds_bpermute_b32 v9, v33, v4
	v_max_f32_e32 v4, v4, v4
	s_sub_i32 s7, s16, s7
	s_lshl_b32 s7, s7, 4
	s_add_i32 s7, s7, s33
	s_waitcnt lgkmcnt(0)
	v_max_f32_e32 v9, v9, v9
	v_max_f32_e32 v4, v4, v9
	v_lshlrev_b32_e32 v9, 2, v24
	v_and_b32_e32 v9, 0xffffff00, v9
	ds_bpermute_b32 v4, v9, v4
	s_min_i32 s19, s7, s27
	s_sub_i32 s7, s19, s33
	v_cmp_gt_i32_e64 s[10:11], s7, v0
	v_mov_b32_e32 v10, 0
	s_and_saveexec_b64 s[36:37], s[10:11]
	s_cbranch_execz .LBB37_21
; %bb.18:
	v_mov_b32_e32 v10, 0x110
	v_lshl_add_u32 v11, v0, 2, v10
	s_mov_b64 s[38:39], 0
	v_mov_b32_e32 v10, 0
	v_mov_b32_e32 v12, v0
.LBB37_19:                              ; =>This Inner Loop Header: Depth=1
	ds_read_b32 v13, v11
	v_add_u32_e32 v12, 0x80, v12
	v_cmp_le_i32_e64 s[12:13], s7, v12
	s_or_b64 s[38:39], s[12:13], s[38:39]
	s_waitcnt lgkmcnt(0)
	v_sub_f32_e32 v13, v13, v4
	v_mul_f32_e32 v13, 0x3fb8aa3b, v13
	v_exp_f32_e32 v13, v13
	ds_write_b32 v11, v13
	v_add_f32_e32 v10, v10, v13
	v_add_u32_e32 v11, 0x200, v11
	s_andn2_b64 exec, exec, s[38:39]
	s_cbranch_execnz .LBB37_19
; %bb.20:
	s_or_b64 exec, exec, s[38:39]
.LBB37_21:
	s_or_b64 exec, exec, s[36:37]
	ds_bpermute_b32 v2, v2, v10
	s_waitcnt lgkmcnt(0)
	v_add_f32_e32 v2, v10, v2
	ds_bpermute_b32 v3, v3, v2
	s_waitcnt lgkmcnt(0)
	v_add_f32_e32 v2, v2, v3
	ds_bpermute_b32 v3, v7, v2
	v_xor_b32_e32 v7, 2, v24
	v_cmp_lt_i32_e64 s[12:13], v7, v25
	v_cndmask_b32_e64 v7, v24, v7, s[12:13]
	v_lshlrev_b32_e32 v34, 2, v7
	s_waitcnt lgkmcnt(0)
	v_add_f32_e32 v2, v2, v3
	ds_bpermute_b32 v3, v8, v2
	s_waitcnt lgkmcnt(0)
	v_add_f32_e32 v2, v2, v3
	ds_bpermute_b32 v3, v34, v2
	;; [unrolled: 3-line block ×3, first 2 shown]
	s_waitcnt lgkmcnt(0)
	v_add_f32_e32 v2, v2, v3
	s_and_saveexec_b64 s[12:13], vcc
	s_cbranch_execz .LBB37_23
; %bb.22:
	ds_write_b32 v5, v2 offset:264
.LBB37_23:
	s_or_b64 exec, exec, s[12:13]
	s_waitcnt lgkmcnt(0)
	s_barrier
	s_and_saveexec_b64 s[12:13], s[4:5]
	s_cbranch_execz .LBB37_25
; %bb.24:
	ds_read_b32 v2, v6 offset:264
.LBB37_25:
	s_or_b64 exec, exec, s[12:13]
	s_waitcnt lgkmcnt(0)
	ds_bpermute_b32 v3, v33, v2
	s_waitcnt lgkmcnt(0)
	v_add_f32_e32 v2, v2, v3
	ds_bpermute_b32 v5, v9, v2
	s_and_saveexec_b64 s[4:5], s[10:11]
	s_cbranch_execz .LBB37_38
; %bb.26:
	s_waitcnt lgkmcnt(0)
	v_add_f32_e32 v2, 0x358637bd, v5
	v_div_scale_f32 v3, s[10:11], v2, v2, 1.0
	v_rcp_f32_e32 v6, v3
	v_div_scale_f32 v7, vcc, 1.0, v2, 1.0
	s_movk_i32 s10, 0x7f
	v_fma_f32 v8, -v3, v6, 1.0
	v_fmac_f32_e32 v6, v8, v6
	v_mul_f32_e32 v8, v7, v6
	v_fma_f32 v9, -v3, v8, v7
	v_fmac_f32_e32 v8, v9, v6
	v_fma_f32 v3, -v3, v8, v7
	v_div_fmas_f32 v3, v3, v6, v8
	v_div_fixup_f32 v2, v3, v2, 1.0
	v_xad_u32 v3, v0, -1, s19
	v_subrev_u32_e32 v6, s33, v3
	v_cmp_lt_u32_e32 vcc, s10, v6
	s_mov_b64 s[12:13], -1
	v_mov_b32_e32 v3, v0
	s_and_saveexec_b64 s[10:11], vcc
	s_cbranch_execz .LBB37_35
; %bb.27:
	v_lshrrev_b32_e32 v6, 7, v6
	v_add_u32_e32 v8, -1, v6
	v_lshrrev_b32_e32 v7, 1, v8
	v_mov_b32_e32 v3, v2
	v_add_u32_e32 v7, 1, v7
	v_cmp_lt_u32_e32 vcc, 13, v8
	v_mov_b32_e32 v10, 0
	s_and_saveexec_b64 s[12:13], vcc
	s_cbranch_execz .LBB37_31
; %bb.28:
	v_mov_b32_e32 v9, 0x110
	v_and_b32_e32 v8, -8, v7
	v_lshl_add_u32 v9, v0, 2, v9
	s_mov_b32 s19, 0
	s_mov_b64 s[36:37], 0
.LBB37_29:                              ; =>This Inner Loop Header: Depth=1
	ds_read2st64_b32 v[10:11], v9 offset1:2
	ds_read2st64_b32 v[12:13], v9 offset0:4 offset1:6
	ds_read2st64_b32 v[14:15], v9 offset0:8 offset1:10
	;; [unrolled: 1-line block ×3, first 2 shown]
	v_add_u32_e32 v8, -8, v8
	s_waitcnt lgkmcnt(3)
	v_pk_mul_f32 v[10:11], v[2:3], v[10:11]
	s_waitcnt lgkmcnt(2)
	v_pk_mul_f32 v[12:13], v[2:3], v[12:13]
	ds_write2st64_b32 v9, v10, v11 offset1:2
	ds_write2st64_b32 v9, v12, v13 offset0:4 offset1:6
	ds_read2st64_b32 v[12:13], v9 offset0:16 offset1:18
	s_waitcnt lgkmcnt(4)
	v_pk_mul_f32 v[10:11], v[2:3], v[14:15]
	ds_write2st64_b32 v9, v10, v11 offset0:8 offset1:10
	s_waitcnt lgkmcnt(4)
	v_pk_mul_f32 v[10:11], v[2:3], v[16:17]
	ds_write2st64_b32 v9, v10, v11 offset0:12 offset1:14
	ds_read2st64_b32 v[10:11], v9 offset0:20 offset1:22
	s_waitcnt lgkmcnt(3)
	v_pk_mul_f32 v[12:13], v[2:3], v[12:13]
	ds_read2st64_b32 v[14:15], v9 offset0:24 offset1:26
	ds_write2st64_b32 v9, v12, v13 offset0:16 offset1:18
	ds_read2st64_b32 v[12:13], v9 offset0:28 offset1:30
	s_waitcnt lgkmcnt(3)
	v_pk_mul_f32 v[10:11], v[2:3], v[10:11]
	ds_write2st64_b32 v9, v10, v11 offset0:20 offset1:22
	s_waitcnt lgkmcnt(3)
	v_pk_mul_f32 v[10:11], v[2:3], v[14:15]
	ds_write2st64_b32 v9, v10, v11 offset0:24 offset1:26
	s_waitcnt lgkmcnt(2)
	v_pk_mul_f32 v[10:11], v[2:3], v[12:13]
	s_add_i32 s19, s19, 16
	v_cmp_eq_u32_e32 vcc, 0, v8
	ds_write2st64_b32 v9, v10, v11 offset0:28 offset1:30
	v_add_u32_e32 v9, 0x2000, v9
	s_or_b64 s[36:37], vcc, s[36:37]
	v_mov_b32_e32 v10, s19
	s_andn2_b64 exec, exec, s[36:37]
	s_cbranch_execnz .LBB37_29
; %bb.30:
	s_or_b64 exec, exec, s[36:37]
.LBB37_31:
	s_or_b64 exec, exec, s[12:13]
	v_and_b32_e32 v7, 7, v7
	v_cmp_ne_u32_e32 vcc, 0, v7
	s_and_saveexec_b64 s[12:13], vcc
	s_cbranch_execz .LBB37_34
; %bb.32:
	v_lshlrev_b32_e32 v8, 9, v10
	s_movk_i32 s19, 0x110
	v_add3_u32 v8, v8, v20, s19
	s_mov_b64 s[36:37], 0
.LBB37_33:                              ; =>This Inner Loop Header: Depth=1
	ds_read2st64_b32 v[10:11], v8 offset1:2
	v_add_u32_e32 v7, -1, v7
	v_cmp_eq_u32_e32 vcc, 0, v7
	s_or_b64 s[36:37], vcc, s[36:37]
	s_waitcnt lgkmcnt(0)
	v_pk_mul_f32 v[10:11], v[2:3], v[10:11]
	ds_write2st64_b32 v8, v10, v11 offset1:2
	v_add_u32_e32 v8, 0x400, v8
	s_andn2_b64 exec, exec, s[36:37]
	s_cbranch_execnz .LBB37_33
.LBB37_34:
	s_or_b64 exec, exec, s[12:13]
	v_add_u32_e32 v6, 1, v6
	v_and_b32_e32 v7, 0x3fffffe, v6
	v_cmp_ne_u32_e32 vcc, v6, v7
	v_lshl_add_u32 v3, v7, 7, v0
	s_orn2_b64 s[12:13], vcc, exec
.LBB37_35:
	s_or_b64 exec, exec, s[10:11]
	s_and_b64 exec, exec, s[12:13]
	s_cbranch_execz .LBB37_38
; %bb.36:
	v_mov_b32_e32 v6, 0x110
	v_lshl_add_u32 v6, v3, 2, v6
	s_mov_b64 s[10:11], 0
.LBB37_37:                              ; =>This Inner Loop Header: Depth=1
	ds_read_b32 v7, v6
	v_add_u32_e32 v3, 0x80, v3
	v_cmp_le_i32_e32 vcc, s7, v3
	s_or_b64 s[10:11], vcc, s[10:11]
	s_waitcnt lgkmcnt(0)
	v_mul_f32_e32 v7, v2, v7
	ds_write_b32 v6, v7
	v_add_u32_e32 v6, 0x200, v6
	s_andn2_b64 exec, exec, s[10:11]
	s_cbranch_execnz .LBB37_37
.LBB37_38:
	s_or_b64 exec, exec, s[4:5]
	s_mul_i32 s4, s15, s26
	v_cmp_eq_u32_e32 vcc, 0, v0
	s_mul_i32 s4, s4, s9
	s_waitcnt lgkmcnt(0)
	s_barrier
	s_and_saveexec_b64 s[10:11], vcc
	s_cbranch_execz .LBB37_40
; %bb.39:
	s_ashr_i32 s5, s4, 31
	s_lshl_b64 s[12:13], s[4:5], 2
	s_add_u32 s5, s22, s12
	s_mul_i32 s6, s15, s6
	s_addc_u32 s9, s23, s13
	s_ashr_i32 s7, s6, 31
	s_lshl_b64 s[6:7], s[6:7], 2
	s_add_u32 s5, s5, s6
	s_addc_u32 s19, s9, s7
	s_ashr_i32 s9, s8, 31
	s_lshl_b64 s[22:23], s[8:9], 2
	s_add_u32 s36, s5, s22
	s_addc_u32 s37, s19, s23
	s_add_u32 s5, s20, s12
	s_addc_u32 s9, s21, s13
	;; [unrolled: 2-line block ×3, first 2 shown]
	s_add_u32 s6, s5, s22
	v_mov_b32_e32 v2, 0
	s_addc_u32 s7, s7, s23
	global_store_dword v2, v4, s[36:37]
	global_store_dword v2, v5, s[6:7]
.LBB37_40:
	s_or_b64 exec, exec, s[10:11]
	v_mov_b32_e32 v25, 0
	v_mov_b32_e32 v24, 0
	v_mov_b32_e32 v27, 0
	v_mov_b32_e32 v26, 0
	s_and_saveexec_b64 s[6:7], s[2:3]
	s_cbranch_execz .LBB37_52
; %bb.41:
	s_ashr_i32 s19, s18, 31
	s_lshl_b64 s[2:3], s[18:19], 2
	v_lshlrev_b32_e32 v3, 4, v0
	s_add_u32 s2, s34, s2
	v_and_b32_e32 v3, 0x3f0, v3
	v_and_b32_e32 v2, 12, v20
	s_addc_u32 s3, s35, s3
	v_add_co_u32_e32 v35, vcc, s2, v3
	v_lshl_add_u32 v3, v21, 4, s33
	s_add_i32 s42, s42, -1
	v_mov_b32_e32 v4, s3
	v_add3_u32 v37, v3, v2, 3
	v_lshlrev_b32_e32 v2, 4, v31
	s_lshl_b64 s[2:3], s[30:31], 2
	v_lshl_or_b32 v2, v21, 6, v2
	s_add_u32 s2, s28, s2
	v_addc_co_u32_e32 v36, vcc, 0, v4, vcc
	v_add_u32_e32 v38, 0x110, v2
	v_lshlrev_b64 v[2:3], 2, v[22:23]
	s_addc_u32 s3, s29, s3
	v_mov_b32_e32 v4, s3
	v_add_co_u32_e32 v28, vcc, s2, v2
	v_mov_b32_e32 v26, 0
	s_mov_b32 s5, s17
	v_addc_co_u32_e32 v29, vcc, v4, v3, vcc
	s_mov_b64 s[10:11], 0
	v_mov_b32_e32 v27, v26
	v_mov_b32_e32 v24, v26
	;; [unrolled: 1-line block ×3, first 2 shown]
	s_branch .LBB37_43
.LBB37_42:                              ;   in Loop: Header=BB37_43 Depth=1
	s_or_b64 exec, exec, s[2:3]
	s_waitcnt vmcnt(3) lgkmcnt(0)
	v_mul_f32_e32 v7, v3, v7
	v_fmac_f32_e32 v7, v2, v6
	s_waitcnt vmcnt(2)
	v_mul_f32_e32 v6, v3, v11
	v_fmac_f32_e32 v6, v2, v10
	v_fmac_f32_e32 v6, v4, v12
	;; [unrolled: 1-line block ×3, first 2 shown]
	v_add_f32_e32 v27, v27, v6
	s_waitcnt vmcnt(1)
	v_mul_f32_e32 v6, v3, v15
	s_waitcnt vmcnt(0)
	v_mul_f32_e32 v3, v3, v19
	v_fmac_f32_e32 v6, v2, v14
	v_fmac_f32_e32 v3, v2, v18
	v_add_u32_e32 v22, 2, v22
	v_fmac_f32_e32 v7, v4, v8
	v_fmac_f32_e32 v6, v4, v16
	;; [unrolled: 1-line block ×3, first 2 shown]
	v_cmp_le_i32_e32 vcc, s16, v22
	v_fmac_f32_e32 v7, v5, v9
	v_fmac_f32_e32 v6, v5, v17
	;; [unrolled: 1-line block ×3, first 2 shown]
	s_or_b64 s[10:11], vcc, s[10:11]
	v_add_co_u32_e32 v28, vcc, 8, v28
	v_add_f32_e32 v26, v26, v7
	v_add_f32_e32 v24, v24, v6
	;; [unrolled: 1-line block ×3, first 2 shown]
	v_add_u32_e32 v37, 32, v37
	v_add_u32_e32 v38, 0x80, v38
	v_addc_co_u32_e32 v29, vcc, 0, v29, vcc
	s_andn2_b64 exec, exec, s[10:11]
	s_cbranch_execz .LBB37_51
.LBB37_43:                              ; =>This Inner Loop Header: Depth=1
	global_load_dword v2, v[28:29], off
	v_add_u32_e32 v23, -3, v37
	v_add_u32_e32 v40, -2, v37
	;; [unrolled: 1-line block ×3, first 2 shown]
	s_waitcnt vmcnt(0)
	v_mad_i64_i32 v[2:3], s[2:3], v2, s5, 0
	v_lshlrev_b64 v[2:3], 2, v[2:3]
	v_add_co_u32_e32 v18, vcc, v35, v2
	v_addc_co_u32_e32 v19, vcc, v36, v3, vcc
	global_load_dwordx4 v[6:9], v[18:19], off
	ds_read_b128 v[2:5], v38
	v_cmp_eq_u32_e32 vcc, s42, v22
	s_and_saveexec_b64 s[12:13], vcc
	s_cbranch_execnz .LBB37_47
; %bb.44:                               ;   in Loop: Header=BB37_43 Depth=1
	s_or_b64 exec, exec, s[12:13]
	global_load_dwordx4 v[10:13], v[18:19], off offset:1024
	s_and_saveexec_b64 s[12:13], vcc
	s_cbranch_execnz .LBB37_48
.LBB37_45:                              ;   in Loop: Header=BB37_43 Depth=1
	s_or_b64 exec, exec, s[12:13]
	global_load_dwordx4 v[14:17], v[18:19], off offset:2048
	s_and_saveexec_b64 s[12:13], vcc
	s_cbranch_execnz .LBB37_49
.LBB37_46:                              ;   in Loop: Header=BB37_43 Depth=1
	s_or_b64 exec, exec, s[12:13]
	global_load_dwordx4 v[18:21], v[18:19], off offset:3072
	s_and_saveexec_b64 s[2:3], vcc
	s_cbranch_execz .LBB37_42
	s_branch .LBB37_50
.LBB37_47:                              ;   in Loop: Header=BB37_43 Depth=1
	v_cmp_gt_i32_e64 s[2:3], s27, v23
	s_waitcnt vmcnt(0)
	v_cndmask_b32_e64 v6, 0, v6, s[2:3]
	v_cmp_gt_i32_e64 s[2:3], s27, v40
	v_cndmask_b32_e64 v7, 0, v7, s[2:3]
	v_cmp_gt_i32_e64 s[2:3], s27, v39
	;; [unrolled: 2-line block ×3, first 2 shown]
	v_cndmask_b32_e64 v9, 0, v9, s[2:3]
	s_or_b64 exec, exec, s[12:13]
	global_load_dwordx4 v[10:13], v[18:19], off offset:1024
	s_and_saveexec_b64 s[12:13], vcc
	s_cbranch_execz .LBB37_45
.LBB37_48:                              ;   in Loop: Header=BB37_43 Depth=1
	v_cmp_gt_i32_e64 s[2:3], s27, v23
	s_waitcnt vmcnt(0)
	v_cndmask_b32_e64 v10, 0, v10, s[2:3]
	v_cmp_gt_i32_e64 s[2:3], s27, v40
	v_cndmask_b32_e64 v11, 0, v11, s[2:3]
	v_cmp_gt_i32_e64 s[2:3], s27, v39
	;; [unrolled: 2-line block ×3, first 2 shown]
	v_cndmask_b32_e64 v13, 0, v13, s[2:3]
	s_or_b64 exec, exec, s[12:13]
	global_load_dwordx4 v[14:17], v[18:19], off offset:2048
	s_and_saveexec_b64 s[12:13], vcc
	s_cbranch_execz .LBB37_46
.LBB37_49:                              ;   in Loop: Header=BB37_43 Depth=1
	v_cmp_gt_i32_e64 s[2:3], s27, v23
	s_waitcnt vmcnt(0)
	v_cndmask_b32_e64 v14, 0, v14, s[2:3]
	v_cmp_gt_i32_e64 s[2:3], s27, v40
	v_cndmask_b32_e64 v15, 0, v15, s[2:3]
	v_cmp_gt_i32_e64 s[2:3], s27, v39
	v_cndmask_b32_e64 v16, 0, v16, s[2:3]
	v_cmp_gt_i32_e64 s[2:3], s27, v37
	v_cndmask_b32_e64 v17, 0, v17, s[2:3]
	s_or_b64 exec, exec, s[12:13]
	global_load_dwordx4 v[18:21], v[18:19], off offset:3072
	s_and_saveexec_b64 s[2:3], vcc
	s_cbranch_execz .LBB37_42
.LBB37_50:                              ;   in Loop: Header=BB37_43 Depth=1
	v_cmp_gt_i32_e32 vcc, s27, v23
	s_waitcnt vmcnt(0)
	v_cndmask_b32_e32 v18, 0, v18, vcc
	v_cmp_gt_i32_e32 vcc, s27, v40
	v_cndmask_b32_e32 v19, 0, v19, vcc
	v_cmp_gt_i32_e32 vcc, s27, v39
	;; [unrolled: 2-line block ×3, first 2 shown]
	v_cndmask_b32_e32 v21, 0, v21, vcc
	s_branch .LBB37_42
.LBB37_51:
	s_or_b64 exec, exec, s[10:11]
.LBB37_52:
	s_or_b64 exec, exec, s[6:7]
	ds_bpermute_b32 v2, v34, v26
	ds_bpermute_b32 v3, v34, v27
	;; [unrolled: 1-line block ×4, first 2 shown]
	v_and_b32_e32 v0, 0x3c3, v0
	v_cmp_eq_u32_e32 vcc, 64, v0
	s_waitcnt lgkmcnt(2)
	v_pk_add_f32 v[2:3], v[26:27], v[2:3]
	ds_bpermute_b32 v6, v33, v2
	s_waitcnt lgkmcnt(1)
	v_pk_add_f32 v[4:5], v[24:25], v[4:5]
	ds_bpermute_b32 v7, v33, v3
	ds_bpermute_b32 v8, v33, v4
	;; [unrolled: 1-line block ×3, first 2 shown]
	s_waitcnt lgkmcnt(0)
	s_barrier
	v_pk_add_f32 v[2:3], v[2:3], v[6:7]
	v_pk_add_f32 v[4:5], v[4:5], v[8:9]
	s_and_saveexec_b64 s[2:3], vcc
	s_cbranch_execz .LBB37_54
; %bb.53:
	v_add_u32_e32 v6, 0x110, v32
	ds_write2_b32 v6, v2, v3 offset1:16
	ds_write2_b32 v6, v4, v5 offset0:32 offset1:48
.LBB37_54:
	s_or_b64 exec, exec, s[2:3]
	s_waitcnt lgkmcnt(0)
	s_barrier
	s_and_saveexec_b64 s[2:3], s[0:1]
	s_cbranch_execz .LBB37_61
; %bb.55:
	v_cmp_eq_u32_e32 vcc, 0, v31
	s_and_saveexec_b64 s[0:1], vcc
	s_cbranch_execnz .LBB37_64
; %bb.56:
	s_or_b64 exec, exec, s[0:1]
	s_and_saveexec_b64 s[0:1], vcc
	s_cbranch_execnz .LBB37_65
.LBB37_57:
	s_or_b64 exec, exec, s[0:1]
	s_and_saveexec_b64 s[0:1], vcc
	s_cbranch_execnz .LBB37_66
.LBB37_58:
	s_or_b64 exec, exec, s[0:1]
	s_and_saveexec_b64 s[0:1], vcc
	s_cbranch_execz .LBB37_60
.LBB37_59:
	v_mov_b32_e32 v6, 0x110
	v_lshl_add_u32 v6, v30, 2, v6
	ds_read_b32 v6, v6 offset:192
	s_waitcnt lgkmcnt(0)
	v_add_f32_e32 v5, v5, v6
.LBB37_60:
	s_or_b64 exec, exec, s[0:1]
.LBB37_61:
	s_or_b64 exec, exec, s[2:3]
	v_cmp_eq_u32_e32 vcc, 0, v0
	s_barrier
	s_and_saveexec_b64 s[0:1], vcc
	s_cbranch_execz .LBB37_63
; %bb.62:
	s_lshl_b32 s0, s4, 6
	s_ashr_i32 s1, s0, 31
	s_lshl_b64 s[0:1], s[0:1], 2
	s_add_u32 s2, s24, s0
	s_mul_i32 s0, s15, s14
	s_addc_u32 s3, s25, s1
	s_ashr_i32 s1, s0, 31
	s_lshl_b64 s[0:1], s[0:1], 2
	s_add_u32 s2, s2, s0
	s_addc_u32 s3, s3, s1
	s_lshl_b32 s0, s8, 6
	s_ashr_i32 s1, s0, 31
	s_lshl_b64 s[0:1], s[0:1], 2
	s_add_u32 s0, s2, s0
	s_addc_u32 s1, s3, s1
	global_store_dword v1, v2, s[0:1]
	global_store_dword v1, v3, s[0:1] offset:64
	global_store_dword v1, v4, s[0:1] offset:128
	;; [unrolled: 1-line block ×3, first 2 shown]
.LBB37_63:
	s_endpgm
.LBB37_64:
	v_mov_b32_e32 v6, 0x110
	v_lshl_add_u32 v6, v30, 2, v6
	ds_read_b32 v6, v6
	s_waitcnt lgkmcnt(0)
	v_add_f32_e32 v2, v2, v6
	s_or_b64 exec, exec, s[0:1]
	s_and_saveexec_b64 s[0:1], vcc
	s_cbranch_execz .LBB37_57
.LBB37_65:
	v_mov_b32_e32 v6, 0x110
	v_lshl_add_u32 v6, v30, 2, v6
	ds_read_b32 v6, v6 offset:64
	s_waitcnt lgkmcnt(0)
	v_add_f32_e32 v3, v3, v6
	s_or_b64 exec, exec, s[0:1]
	s_and_saveexec_b64 s[0:1], vcc
	s_cbranch_execz .LBB37_58
.LBB37_66:
	v_mov_b32_e32 v6, 0x110
	v_lshl_add_u32 v6, v30, 2, v6
	ds_read_b32 v6, v6 offset:128
	s_waitcnt lgkmcnt(0)
	v_add_f32_e32 v4, v4, v6
	s_or_b64 exec, exec, s[0:1]
	s_and_saveexec_b64 s[0:1], vcc
	s_cbranch_execnz .LBB37_59
	s_branch .LBB37_60
	.section	.rodata,"a",@progbits
	.p2align	6, 0x0
	.amdhsa_kernel _ZN4vllm25paged_attention_v2_kernelIffLi64ELi16ELi128ELNS_18Fp8KVCacheDataTypeE0ELb0ELi512EEEvPfS2_PT_PKS3_PKT0_S9_ifPKiSB_iPKfiiiSD_SD_iiiii
		.amdhsa_group_segment_fixed_size 272
		.amdhsa_private_segment_fixed_size 0
		.amdhsa_kernarg_size 400
		.amdhsa_user_sgpr_count 6
		.amdhsa_user_sgpr_private_segment_buffer 1
		.amdhsa_user_sgpr_dispatch_ptr 0
		.amdhsa_user_sgpr_queue_ptr 0
		.amdhsa_user_sgpr_kernarg_segment_ptr 1
		.amdhsa_user_sgpr_dispatch_id 0
		.amdhsa_user_sgpr_flat_scratch_init 0
		.amdhsa_user_sgpr_kernarg_preload_length 0
		.amdhsa_user_sgpr_kernarg_preload_offset 0
		.amdhsa_user_sgpr_private_segment_size 0
		.amdhsa_uses_dynamic_stack 0
		.amdhsa_system_sgpr_private_segment_wavefront_offset 0
		.amdhsa_system_sgpr_workgroup_id_x 1
		.amdhsa_system_sgpr_workgroup_id_y 1
		.amdhsa_system_sgpr_workgroup_id_z 1
		.amdhsa_system_sgpr_workgroup_info 0
		.amdhsa_system_vgpr_workitem_id 0
		.amdhsa_next_free_vgpr 53
		.amdhsa_next_free_sgpr 44
		.amdhsa_accum_offset 56
		.amdhsa_reserve_vcc 1
		.amdhsa_reserve_flat_scratch 0
		.amdhsa_float_round_mode_32 0
		.amdhsa_float_round_mode_16_64 0
		.amdhsa_float_denorm_mode_32 3
		.amdhsa_float_denorm_mode_16_64 3
		.amdhsa_dx10_clamp 1
		.amdhsa_ieee_mode 1
		.amdhsa_fp16_overflow 0
		.amdhsa_tg_split 0
		.amdhsa_exception_fp_ieee_invalid_op 0
		.amdhsa_exception_fp_denorm_src 0
		.amdhsa_exception_fp_ieee_div_zero 0
		.amdhsa_exception_fp_ieee_overflow 0
		.amdhsa_exception_fp_ieee_underflow 0
		.amdhsa_exception_fp_ieee_inexact 0
		.amdhsa_exception_int_div_zero 0
	.end_amdhsa_kernel
	.section	.text._ZN4vllm25paged_attention_v2_kernelIffLi64ELi16ELi128ELNS_18Fp8KVCacheDataTypeE0ELb0ELi512EEEvPfS2_PT_PKS3_PKT0_S9_ifPKiSB_iPKfiiiSD_SD_iiiii,"axG",@progbits,_ZN4vllm25paged_attention_v2_kernelIffLi64ELi16ELi128ELNS_18Fp8KVCacheDataTypeE0ELb0ELi512EEEvPfS2_PT_PKS3_PKT0_S9_ifPKiSB_iPKfiiiSD_SD_iiiii,comdat
.Lfunc_end37:
	.size	_ZN4vllm25paged_attention_v2_kernelIffLi64ELi16ELi128ELNS_18Fp8KVCacheDataTypeE0ELb0ELi512EEEvPfS2_PT_PKS3_PKT0_S9_ifPKiSB_iPKfiiiSD_SD_iiiii, .Lfunc_end37-_ZN4vllm25paged_attention_v2_kernelIffLi64ELi16ELi128ELNS_18Fp8KVCacheDataTypeE0ELb0ELi512EEEvPfS2_PT_PKS3_PKT0_S9_ifPKiSB_iPKfiiiSD_SD_iiiii
                                        ; -- End function
	.section	.AMDGPU.csdata,"",@progbits
; Kernel info:
; codeLenInByte = 4120
; NumSgprs: 48
; NumVgprs: 53
; NumAgprs: 0
; TotalNumVgprs: 53
; ScratchSize: 0
; MemoryBound: 0
; FloatMode: 240
; IeeeMode: 1
; LDSByteSize: 272 bytes/workgroup (compile time only)
; SGPRBlocks: 5
; VGPRBlocks: 6
; NumSGPRsForWavesPerEU: 48
; NumVGPRsForWavesPerEU: 53
; AccumOffset: 56
; Occupancy: 8
; WaveLimiterHint : 1
; COMPUTE_PGM_RSRC2:SCRATCH_EN: 0
; COMPUTE_PGM_RSRC2:USER_SGPR: 6
; COMPUTE_PGM_RSRC2:TRAP_HANDLER: 0
; COMPUTE_PGM_RSRC2:TGID_X_EN: 1
; COMPUTE_PGM_RSRC2:TGID_Y_EN: 1
; COMPUTE_PGM_RSRC2:TGID_Z_EN: 1
; COMPUTE_PGM_RSRC2:TIDIG_COMP_CNT: 0
; COMPUTE_PGM_RSRC3_GFX90A:ACCUM_OFFSET: 13
; COMPUTE_PGM_RSRC3_GFX90A:TG_SPLIT: 0
	.section	.text._ZN4vllm25paged_attention_v2_kernelIffLi80ELi16ELi128ELNS_18Fp8KVCacheDataTypeE0ELb0ELi512EEEvPfS2_PT_PKS3_PKT0_S9_ifPKiSB_iPKfiiiSD_SD_iiiii,"axG",@progbits,_ZN4vllm25paged_attention_v2_kernelIffLi80ELi16ELi128ELNS_18Fp8KVCacheDataTypeE0ELb0ELi512EEEvPfS2_PT_PKS3_PKT0_S9_ifPKiSB_iPKfiiiSD_SD_iiiii,comdat
	.protected	_ZN4vllm25paged_attention_v2_kernelIffLi80ELi16ELi128ELNS_18Fp8KVCacheDataTypeE0ELb0ELi512EEEvPfS2_PT_PKS3_PKT0_S9_ifPKiSB_iPKfiiiSD_SD_iiiii ; -- Begin function _ZN4vllm25paged_attention_v2_kernelIffLi80ELi16ELi128ELNS_18Fp8KVCacheDataTypeE0ELb0ELi512EEEvPfS2_PT_PKS3_PKT0_S9_ifPKiSB_iPKfiiiSD_SD_iiiii
	.globl	_ZN4vllm25paged_attention_v2_kernelIffLi80ELi16ELi128ELNS_18Fp8KVCacheDataTypeE0ELb0ELi512EEEvPfS2_PT_PKS3_PKT0_S9_ifPKiSB_iPKfiiiSD_SD_iiiii
	.p2align	8
	.type	_ZN4vllm25paged_attention_v2_kernelIffLi80ELi16ELi128ELNS_18Fp8KVCacheDataTypeE0ELb0ELi512EEEvPfS2_PT_PKS3_PKT0_S9_ifPKiSB_iPKfiiiSD_SD_iiiii,@function
_ZN4vllm25paged_attention_v2_kernelIffLi80ELi16ELi128ELNS_18Fp8KVCacheDataTypeE0ELb0ELi512EEEvPfS2_PT_PKS3_PKT0_S9_ifPKiSB_iPKfiiiSD_SD_iiiii: ; @_ZN4vllm25paged_attention_v2_kernelIffLi80ELi16ELi128ELNS_18Fp8KVCacheDataTypeE0ELb0ELi512EEEvPfS2_PT_PKS3_PKT0_S9_ifPKiSB_iPKfiiiSD_SD_iiiii
; %bb.0:
	s_load_dwordx2 s[0:1], s[4:5], 0x40
	s_mov_b32 s24, s7
	s_ashr_i32 s25, s7, 31
	s_lshl_b64 s[2:3], s[24:25], 2
	s_waitcnt lgkmcnt(0)
	s_add_u32 s0, s0, s2
	s_addc_u32 s1, s1, s3
	s_load_dword s25, s[0:1], 0x0
	s_lshl_b32 s33, s8, 9
	s_waitcnt lgkmcnt(0)
	s_cmp_ge_i32 s33, s25
	s_cbranch_scc1 .LBB38_66
; %bb.1:
	s_load_dword s9, s[4:5], 0x90
	s_load_dwordx2 s[10:11], s[4:5], 0x30
	s_mov_b32 s40, 0
	s_waitcnt lgkmcnt(0)
	s_abs_i32 s2, s9
	s_abs_i32 s0, s10
	v_cvt_f32_u32_e32 v1, s0
	s_sub_i32 s3, 0, s0
	s_xor_b32 s1, s9, s10
	s_ashr_i32 s1, s1, 31
	v_rcp_iflag_f32_e32 v1, v1
	v_mul_f32_e32 v1, 0x4f7ffffe, v1
	v_cvt_u32_f32_e32 v1, v1
	v_readfirstlane_b32 s7, v1
	s_mul_i32 s3, s3, s7
	s_mul_hi_u32 s3, s7, s3
	s_add_i32 s7, s7, s3
	s_mul_hi_u32 s3, s2, s7
	s_mul_i32 s7, s3, s0
	s_sub_i32 s2, s2, s7
	s_add_i32 s10, s3, 1
	s_sub_i32 s7, s2, s0
	s_cmp_ge_u32 s2, s0
	s_cselect_b32 s3, s10, s3
	s_cselect_b32 s2, s7, s2
	s_add_i32 s7, s3, 1
	s_cmp_ge_u32 s2, s0
	s_cselect_b32 s0, s7, s3
	s_xor_b32 s0, s0, s1
	s_sub_i32 s10, s0, s1
	s_abs_i32 s2, s10
	v_cvt_f32_u32_e32 v1, s2
	s_load_dwordx2 s[0:1], s[4:5], 0x50
	s_sub_i32 s7, 0, s2
	s_abs_i32 s3, s6
	v_rcp_iflag_f32_e32 v1, v1
	v_mul_f32_e32 v1, 0x4f7ffffe, v1
	v_cvt_u32_f32_e32 v1, v1
	v_readfirstlane_b32 s12, v1
	s_mul_i32 s7, s7, s12
	s_mul_hi_u32 s7, s12, s7
	s_add_i32 s12, s12, s7
	s_waitcnt lgkmcnt(0)
	s_cmp_eq_u64 s[0:1], 0
	s_mul_hi_u32 s16, s3, s12
	s_cbranch_scc1 .LBB38_3
; %bb.2:
	s_ashr_i32 s7, s6, 31
	s_lshl_b64 s[12:13], s[6:7], 2
	s_add_u32 s0, s0, s12
	s_addc_u32 s1, s1, s13
	s_load_dword s40, s[0:1], 0x0
.LBB38_3:
	s_load_dwordx4 s[12:15], s[4:5], 0x58
	v_lshrrev_b32_e32 v34, 2, v0
	s_movk_i32 s7, 0x50
	s_ashr_i32 s17, s6, 31
	s_ashr_i32 s18, s10, 31
	v_and_b32_e32 v35, 3, v0
	s_mul_i32 s20, s6, 0x50
	v_cmp_gt_u32_e32 vcc, s7, v0
	v_lshlrev_b32_e32 v24, 2, v0
	v_lshlrev_b32_e32 v1, 2, v34
	s_and_saveexec_b64 s[0:1], vcc
	s_cbranch_execz .LBB38_5
; %bb.4:
	s_load_dwordx2 s[22:23], s[4:5], 0x18
	s_waitcnt lgkmcnt(0)
	s_mul_i32 s26, s24, s12
	s_ashr_i32 s27, s26, 31
	s_lshl_b64 s[26:27], s[26:27], 2
	v_mad_u32_u24 v3, v35, s7, v1
	s_add_u32 s10, s22, s26
	s_addc_u32 s12, s23, s27
	s_ashr_i32 s21, s20, 31
	s_lshl_b64 s[22:23], s[20:21], 2
	s_add_u32 s22, s10, s22
	s_addc_u32 s23, s12, s23
	global_load_dword v2, v24, s[22:23]
	s_waitcnt vmcnt(0)
	ds_write_b32 v3, v2
.LBB38_5:
	s_or_b64 exec, exec, s[0:1]
	s_add_i32 s0, s25, 15
	s_ashr_i32 s1, s0, 31
	s_lshr_b32 s1, s1, 28
	s_add_i32 s0, s0, s1
	s_lshl_b32 s10, s8, 5
	s_mul_i32 s1, s16, s2
	s_ashr_i32 s7, s0, 4
	s_add_i32 s0, s10, 32
	s_sub_i32 s1, s3, s1
	s_min_i32 s21, s0, s7
	s_xor_b32 s0, s17, s18
	s_add_i32 s3, s16, 1
	s_waitcnt lgkmcnt(0)
	s_sub_i32 s12, s1, s2
	s_cmp_ge_u32 s1, s2
	s_cselect_b32 s3, s3, s16
	s_cselect_b32 s1, s12, s1
	s_add_i32 s12, s3, 1
	s_cmp_ge_u32 s1, s2
	s_load_dwordx2 s[26:27], s[4:5], 0x38
	s_load_dword s2, s[4:5], 0x48
	v_lshrrev_b32_e32 v25, 6, v0
	s_cselect_b32 s1, s12, s3
	s_xor_b32 s1, s1, s0
	v_or_b32_e32 v26, s10, v25
	s_waitcnt lgkmcnt(0)
	s_mul_i32 s28, s24, s2
	s_sub_i32 s15, s1, s0
	s_ashr_i32 s29, s28, 31
	v_cmp_gt_i32_e64 s[0:1], s21, v26
	v_cmp_le_i32_e32 vcc, s21, v26
	v_mbcnt_lo_u32_b32 v22, -1, 0
	s_barrier
	s_waitcnt lgkmcnt(0)
                                        ; implicit-def: $sgpr36
                                        ; implicit-def: $vgpr28
                                        ; implicit-def: $vgpr29
	s_and_saveexec_b64 s[2:3], vcc
	s_xor_b64 s[2:3], exec, s[2:3]
; %bb.6:
	v_mbcnt_hi_u32_b32 v28, -1, v22
	v_and_b32_e32 v2, 64, v28
	v_add_u32_e32 v29, 64, v2
	s_mov_b32 s36, 0xff7fffff
                                        ; implicit-def: $vgpr22
; %bb.7:
	s_or_saveexec_b64 s[34:35], s[2:3]
	s_load_dwordx4 s[16:19], s[4:5], 0x0
	s_load_dwordx2 s[22:23], s[4:5], 0x10
	s_load_dwordx2 s[30:31], s[4:5], 0x28
	s_load_dword s12, s[4:5], 0x98
	v_mov_b32_e32 v32, s36
	s_mul_i32 s14, s15, s14
	v_ashrrev_i32_e32 v27, 31, v26
	s_xor_b64 exec, exec, s[34:35]
	s_cbranch_execz .LBB38_13
; %bb.8:
	s_load_dwordx2 s[2:3], s[4:5], 0x20
	s_ashr_i32 s15, s14, 31
	s_lshl_b64 s[4:5], s[14:15], 2
	v_bfe_u32 v23, v0, 2, 4
	v_lshlrev_b32_e32 v2, 4, v23
	s_waitcnt lgkmcnt(0)
	s_add_u32 s2, s2, s4
	s_addc_u32 s3, s3, s5
	v_mov_b32_e32 v3, s3
	v_add_co_u32_e32 v2, vcc, s2, v2
	v_addc_co_u32_e32 v3, vcc, 0, v3, vcc
	v_lshlrev_b32_e32 v4, 2, v35
	v_mbcnt_hi_u32_b32 v28, -1, v22
	v_add_co_u32_e32 v30, vcc, v2, v4
	v_and_b32_e32 v22, 64, v28
	v_addc_co_u32_e32 v31, vcc, 0, v3, vcc
	v_add_u32_e32 v29, 64, v22
	v_xor_b32_e32 v22, 2, v28
	v_cmp_lt_i32_e32 vcc, v22, v29
	v_mul_u32_u24_e32 v18, 0x50, v35
	v_cndmask_b32_e32 v22, v28, v22, vcc
	ds_read_b128 v[2:5], v18
	ds_read_b128 v[6:9], v18 offset:16
	ds_read_b128 v[10:13], v18 offset:32
	ds_read_b128 v[14:17], v18 offset:48
	ds_read_b128 v[18:21], v18 offset:64
	v_lshlrev_b32_e32 v33, 2, v22
	v_xor_b32_e32 v22, 1, v28
	v_cmp_lt_i32_e32 vcc, v22, v29
	v_cndmask_b32_e32 v22, v28, v22, vcc
	v_lshlrev_b32_e32 v32, 2, v23
	v_lshlrev_b32_e32 v36, 2, v22
	s_sub_i32 s15, 1, s25
	v_lshlrev_b32_e32 v22, 4, v25
	s_lshl_b64 s[4:5], s[28:29], 2
	v_add3_u32 v37, s33, v22, v23
	v_lshl_or_b32 v22, v25, 6, v32
	s_add_u32 s4, s26, s4
	v_add_u32_e32 v38, 0x150, v22
	v_lshlrev_b64 v[22:23], 2, v[26:27]
	s_addc_u32 s5, s27, s5
	v_mov_b32_e32 v32, s5
	v_add_co_u32_e64 v22, s[4:5], s4, v22
	s_mov_b32 s41, s13
	v_cmp_eq_u32_e32 vcc, 0, v35
	v_cmp_neq_f32_e64 s[2:3], s40, 0
	v_addc_co_u32_e64 v23, s[4:5], v32, v23, s[4:5]
	s_mov_b64 s[36:37], 0
	v_mov_b32_e32 v32, 0xff7fffff
	s_movk_i32 s42, 0x1000
	v_mov_b32_e32 v39, v26
	s_branch .LBB38_10
.LBB38_9:                               ;   in Loop: Header=BB38_10 Depth=1
	s_or_b64 exec, exec, s[38:39]
	v_add_u32_e32 v39, 2, v39
	v_cmp_le_i32_e64 s[4:5], s21, v39
	s_or_b64 s[36:37], s[4:5], s[36:37]
	v_add_co_u32_e64 v22, s[4:5], 8, v22
	v_add_u32_e32 v37, 32, v37
	v_add_u32_e32 v38, 0x80, v38
	v_addc_co_u32_e64 v23, s[4:5], 0, v23, s[4:5]
	s_andn2_b64 exec, exec, s[36:37]
	s_cbranch_execz .LBB38_12
.LBB38_10:                              ; =>This Inner Loop Header: Depth=1
	global_load_dword v40, v[22:23], off
	s_waitcnt vmcnt(0) lgkmcnt(0)
	v_mad_i64_i32 v[40:41], s[4:5], v40, s41, 0
	v_lshlrev_b64 v[40:41], 2, v[40:41]
	v_add_co_u32_e64 v40, s[4:5], v30, v40
	v_addc_co_u32_e64 v41, s[4:5], v31, v41, s[4:5]
	global_load_dword v42, v[40:41], off
	global_load_dword v43, v[40:41], off offset:256
	global_load_dword v44, v[40:41], off offset:512
	;; [unrolled: 1-line block ×15, first 2 shown]
	v_add_co_u32_e64 v40, s[4:5], s42, v40
	v_addc_co_u32_e64 v41, s[4:5], 0, v41, s[4:5]
	global_load_dword v58, v[40:41], off
	global_load_dword v59, v[40:41], off offset:256
	global_load_dword v60, v[40:41], off offset:512
	;; [unrolled: 1-line block ×3, first 2 shown]
	s_waitcnt vmcnt(18) lgkmcnt(4)
	v_mul_f32_e32 v40, v3, v43
	v_fmac_f32_e32 v40, v2, v42
	s_waitcnt vmcnt(17)
	v_fmac_f32_e32 v40, v4, v44
	s_waitcnt vmcnt(16)
	v_fmac_f32_e32 v40, v5, v45
	s_waitcnt vmcnt(15) lgkmcnt(3)
	v_fmac_f32_e32 v40, v6, v46
	s_waitcnt vmcnt(14)
	v_fmac_f32_e32 v40, v7, v47
	s_waitcnt vmcnt(13)
	v_fmac_f32_e32 v40, v8, v48
	s_waitcnt vmcnt(12)
	v_fmac_f32_e32 v40, v9, v49
	s_waitcnt vmcnt(11) lgkmcnt(2)
	v_fmac_f32_e32 v40, v10, v50
	s_waitcnt vmcnt(10)
	;; [unrolled: 8-line block ×4, first 2 shown]
	v_fmac_f32_e32 v40, v19, v59
	s_waitcnt vmcnt(1)
	v_fmac_f32_e32 v40, v20, v60
	s_waitcnt vmcnt(0)
	v_fmac_f32_e32 v40, v21, v61
	ds_bpermute_b32 v41, v33, v40
	s_waitcnt lgkmcnt(0)
	v_add_f32_e32 v40, v40, v41
	ds_bpermute_b32 v41, v36, v40
	s_and_saveexec_b64 s[38:39], vcc
	s_cbranch_execz .LBB38_9
; %bb.11:                               ;   in Loop: Header=BB38_10 Depth=1
	v_add_u32_e32 v42, s15, v37
	v_cvt_f32_i32_e32 v42, v42
	s_waitcnt lgkmcnt(0)
	v_add_f32_e32 v40, v40, v41
	v_cmp_gt_i32_e64 s[4:5], s25, v37
	v_max_f32_e32 v41, v32, v32
	v_mul_f32_e32 v42, s40, v42
	v_cndmask_b32_e64 v42, 0, v42, s[2:3]
	v_fmac_f32_e32 v42, s11, v40
	v_cndmask_b32_e64 v40, 0, v42, s[4:5]
	ds_write_b32 v38, v40
	v_max_f32_e32 v40, v41, v42
	v_cndmask_b32_e64 v32, v32, v40, s[4:5]
	s_branch .LBB38_9
.LBB38_12:
	s_or_b64 exec, exec, s[36:37]
.LBB38_13:
	s_or_b64 exec, exec, s[34:35]
	v_xor_b32_e32 v2, 32, v28
	v_cmp_lt_i32_e32 vcc, v2, v29
	v_cndmask_b32_e32 v2, v28, v2, vcc
	v_lshlrev_b32_e32 v2, 2, v2
	ds_bpermute_b32 v3, v2, v32
	v_xor_b32_e32 v5, 16, v28
	v_max_f32_e32 v4, v32, v32
	v_cmp_lt_i32_e32 vcc, v5, v29
	v_xor_b32_e32 v6, 8, v28
	s_waitcnt lgkmcnt(0)
	v_max_f32_e32 v3, v3, v3
	v_max_f32_e32 v4, v4, v3
	v_cndmask_b32_e32 v3, v28, v5, vcc
	v_lshlrev_b32_e32 v3, 2, v3
	ds_bpermute_b32 v5, v3, v4
	v_cmp_lt_i32_e32 vcc, v6, v29
	v_and_b32_e32 v36, 63, v0
	s_waitcnt lgkmcnt(0)
	v_max_f32_e32 v5, v5, v5
	v_max_f32_e32 v4, v4, v5
	v_cndmask_b32_e32 v5, v28, v6, vcc
	v_lshlrev_b32_e32 v7, 2, v5
	ds_bpermute_b32 v5, v7, v4
	v_xor_b32_e32 v6, 4, v28
	v_cmp_lt_i32_e32 vcc, v6, v29
	s_waitcnt lgkmcnt(0)
	v_max_f32_e32 v5, v5, v5
	v_max_f32_e32 v4, v4, v5
	v_cndmask_b32_e32 v5, v28, v6, vcc
	v_lshlrev_b32_e32 v8, 2, v5
	ds_bpermute_b32 v6, v8, v4
	v_cmp_eq_u32_e32 vcc, 0, v36
	v_lshlrev_b32_e32 v5, 2, v25
	s_and_saveexec_b64 s[2:3], vcc
	s_cbranch_execz .LBB38_15
; %bb.14:
	s_waitcnt lgkmcnt(0)
	v_max_f32_e32 v6, v6, v6
	v_max_f32_e32 v4, v4, v4
	v_max_f32_e32 v4, v4, v6
	ds_write_b32 v5, v4 offset:320
.LBB38_15:
	s_or_b64 exec, exec, s[2:3]
	v_cmp_gt_u32_e64 s[2:3], 2, v36
	v_mov_b32_e32 v4, 0xff7fffff
	s_waitcnt lgkmcnt(0)
	v_lshlrev_b32_e32 v6, 2, v36
	s_barrier
	s_and_saveexec_b64 s[4:5], s[2:3]
	s_cbranch_execz .LBB38_17
; %bb.16:
	ds_read_b32 v4, v6 offset:320
.LBB38_17:
	s_or_b64 exec, exec, s[4:5]
	v_xor_b32_e32 v9, 1, v28
	v_cmp_lt_i32_e64 s[4:5], v9, v29
	v_cndmask_b32_e64 v9, v28, v9, s[4:5]
	v_lshlrev_b32_e32 v37, 2, v9
	s_waitcnt lgkmcnt(0)
	ds_bpermute_b32 v9, v37, v4
	v_max_f32_e32 v4, v4, v4
	s_sub_i32 s4, s21, s10
	s_lshl_b32 s4, s4, 4
	s_add_i32 s4, s4, s33
	s_waitcnt lgkmcnt(0)
	v_max_f32_e32 v9, v9, v9
	v_max_f32_e32 v4, v4, v9
	v_lshlrev_b32_e32 v9, 2, v28
	v_and_b32_e32 v9, 0xffffff00, v9
	ds_bpermute_b32 v4, v9, v4
	s_min_i32 s38, s4, s25
	s_sub_i32 s15, s38, s33
	v_cmp_gt_i32_e64 s[4:5], s15, v0
	v_mov_b32_e32 v10, 0
	s_and_saveexec_b64 s[34:35], s[4:5]
	s_cbranch_execz .LBB38_21
; %bb.18:
	v_mov_b32_e32 v10, 0x150
	v_lshl_add_u32 v11, v0, 2, v10
	s_mov_b64 s[36:37], 0
	v_mov_b32_e32 v10, 0
	v_mov_b32_e32 v12, v0
.LBB38_19:                              ; =>This Inner Loop Header: Depth=1
	ds_read_b32 v13, v11
	v_add_u32_e32 v12, 0x80, v12
	v_cmp_le_i32_e64 s[10:11], s15, v12
	s_or_b64 s[36:37], s[10:11], s[36:37]
	s_waitcnt lgkmcnt(0)
	v_sub_f32_e32 v13, v13, v4
	v_mul_f32_e32 v13, 0x3fb8aa3b, v13
	v_exp_f32_e32 v13, v13
	ds_write_b32 v11, v13
	v_add_f32_e32 v10, v10, v13
	v_add_u32_e32 v11, 0x200, v11
	s_andn2_b64 exec, exec, s[36:37]
	s_cbranch_execnz .LBB38_19
; %bb.20:
	s_or_b64 exec, exec, s[36:37]
.LBB38_21:
	s_or_b64 exec, exec, s[34:35]
	ds_bpermute_b32 v2, v2, v10
	s_waitcnt lgkmcnt(0)
	v_add_f32_e32 v2, v10, v2
	ds_bpermute_b32 v3, v3, v2
	s_waitcnt lgkmcnt(0)
	v_add_f32_e32 v2, v2, v3
	ds_bpermute_b32 v3, v7, v2
	v_xor_b32_e32 v7, 2, v28
	v_cmp_lt_i32_e64 s[10:11], v7, v29
	v_cndmask_b32_e64 v7, v28, v7, s[10:11]
	v_lshlrev_b32_e32 v38, 2, v7
	s_waitcnt lgkmcnt(0)
	v_add_f32_e32 v2, v2, v3
	ds_bpermute_b32 v3, v8, v2
	s_waitcnt lgkmcnt(0)
	v_add_f32_e32 v2, v2, v3
	ds_bpermute_b32 v3, v38, v2
	;; [unrolled: 3-line block ×3, first 2 shown]
	s_waitcnt lgkmcnt(0)
	v_add_f32_e32 v2, v2, v3
	s_and_saveexec_b64 s[10:11], vcc
	s_cbranch_execz .LBB38_23
; %bb.22:
	ds_write_b32 v5, v2 offset:328
.LBB38_23:
	s_or_b64 exec, exec, s[10:11]
	s_waitcnt lgkmcnt(0)
	s_barrier
	s_and_saveexec_b64 s[10:11], s[2:3]
	s_cbranch_execz .LBB38_25
; %bb.24:
	ds_read_b32 v2, v6 offset:328
.LBB38_25:
	s_or_b64 exec, exec, s[10:11]
	s_waitcnt lgkmcnt(0)
	ds_bpermute_b32 v3, v37, v2
	s_waitcnt lgkmcnt(0)
	v_add_f32_e32 v2, v2, v3
	ds_bpermute_b32 v5, v9, v2
	s_and_saveexec_b64 s[2:3], s[4:5]
	s_cbranch_execz .LBB38_38
; %bb.26:
	s_waitcnt lgkmcnt(0)
	v_add_f32_e32 v2, 0x358637bd, v5
	v_div_scale_f32 v3, s[4:5], v2, v2, 1.0
	v_rcp_f32_e32 v6, v3
	v_div_scale_f32 v7, vcc, 1.0, v2, 1.0
	s_movk_i32 s4, 0x7f
	v_fma_f32 v8, -v3, v6, 1.0
	v_fmac_f32_e32 v6, v8, v6
	v_mul_f32_e32 v8, v7, v6
	v_fma_f32 v9, -v3, v8, v7
	v_fmac_f32_e32 v8, v9, v6
	v_fma_f32 v3, -v3, v8, v7
	v_div_fmas_f32 v3, v3, v6, v8
	v_div_fixup_f32 v2, v3, v2, 1.0
	v_xad_u32 v3, v0, -1, s38
	v_subrev_u32_e32 v6, s33, v3
	v_cmp_lt_u32_e32 vcc, s4, v6
	s_mov_b64 s[10:11], -1
	v_mov_b32_e32 v3, v0
	s_and_saveexec_b64 s[4:5], vcc
	s_cbranch_execz .LBB38_35
; %bb.27:
	v_lshrrev_b32_e32 v6, 7, v6
	v_add_u32_e32 v8, -1, v6
	v_lshrrev_b32_e32 v7, 1, v8
	v_mov_b32_e32 v3, v2
	v_add_u32_e32 v7, 1, v7
	v_cmp_lt_u32_e32 vcc, 13, v8
	v_mov_b32_e32 v10, 0
	s_and_saveexec_b64 s[10:11], vcc
	s_cbranch_execz .LBB38_31
; %bb.28:
	v_mov_b32_e32 v9, 0x150
	v_and_b32_e32 v8, -8, v7
	v_lshl_add_u32 v9, v0, 2, v9
	s_mov_b32 s36, 0
	s_mov_b64 s[34:35], 0
.LBB38_29:                              ; =>This Inner Loop Header: Depth=1
	ds_read2st64_b32 v[10:11], v9 offset1:2
	ds_read2st64_b32 v[12:13], v9 offset0:4 offset1:6
	ds_read2st64_b32 v[14:15], v9 offset0:8 offset1:10
	;; [unrolled: 1-line block ×3, first 2 shown]
	v_add_u32_e32 v8, -8, v8
	s_waitcnt lgkmcnt(3)
	v_pk_mul_f32 v[10:11], v[2:3], v[10:11]
	s_waitcnt lgkmcnt(2)
	v_pk_mul_f32 v[12:13], v[2:3], v[12:13]
	ds_write2st64_b32 v9, v10, v11 offset1:2
	ds_write2st64_b32 v9, v12, v13 offset0:4 offset1:6
	ds_read2st64_b32 v[12:13], v9 offset0:16 offset1:18
	s_waitcnt lgkmcnt(4)
	v_pk_mul_f32 v[10:11], v[2:3], v[14:15]
	ds_write2st64_b32 v9, v10, v11 offset0:8 offset1:10
	s_waitcnt lgkmcnt(4)
	v_pk_mul_f32 v[10:11], v[2:3], v[16:17]
	ds_write2st64_b32 v9, v10, v11 offset0:12 offset1:14
	ds_read2st64_b32 v[10:11], v9 offset0:20 offset1:22
	s_waitcnt lgkmcnt(3)
	v_pk_mul_f32 v[12:13], v[2:3], v[12:13]
	ds_read2st64_b32 v[14:15], v9 offset0:24 offset1:26
	ds_write2st64_b32 v9, v12, v13 offset0:16 offset1:18
	ds_read2st64_b32 v[12:13], v9 offset0:28 offset1:30
	s_waitcnt lgkmcnt(3)
	v_pk_mul_f32 v[10:11], v[2:3], v[10:11]
	ds_write2st64_b32 v9, v10, v11 offset0:20 offset1:22
	s_waitcnt lgkmcnt(3)
	v_pk_mul_f32 v[10:11], v[2:3], v[14:15]
	ds_write2st64_b32 v9, v10, v11 offset0:24 offset1:26
	s_waitcnt lgkmcnt(2)
	v_pk_mul_f32 v[10:11], v[2:3], v[12:13]
	s_add_i32 s36, s36, 16
	v_cmp_eq_u32_e32 vcc, 0, v8
	ds_write2st64_b32 v9, v10, v11 offset0:28 offset1:30
	v_add_u32_e32 v9, 0x2000, v9
	s_or_b64 s[34:35], vcc, s[34:35]
	v_mov_b32_e32 v10, s36
	s_andn2_b64 exec, exec, s[34:35]
	s_cbranch_execnz .LBB38_29
; %bb.30:
	s_or_b64 exec, exec, s[34:35]
.LBB38_31:
	s_or_b64 exec, exec, s[10:11]
	v_and_b32_e32 v7, 7, v7
	v_cmp_ne_u32_e32 vcc, 0, v7
	s_and_saveexec_b64 s[10:11], vcc
	s_cbranch_execz .LBB38_34
; %bb.32:
	v_lshlrev_b32_e32 v8, 9, v10
	s_movk_i32 s34, 0x150
	v_add3_u32 v8, v8, v24, s34
	s_mov_b64 s[34:35], 0
.LBB38_33:                              ; =>This Inner Loop Header: Depth=1
	ds_read2st64_b32 v[10:11], v8 offset1:2
	v_add_u32_e32 v7, -1, v7
	v_cmp_eq_u32_e32 vcc, 0, v7
	s_or_b64 s[34:35], vcc, s[34:35]
	s_waitcnt lgkmcnt(0)
	v_pk_mul_f32 v[10:11], v[2:3], v[10:11]
	ds_write2st64_b32 v8, v10, v11 offset1:2
	v_add_u32_e32 v8, 0x400, v8
	s_andn2_b64 exec, exec, s[34:35]
	s_cbranch_execnz .LBB38_33
.LBB38_34:
	s_or_b64 exec, exec, s[10:11]
	v_add_u32_e32 v6, 1, v6
	v_and_b32_e32 v7, 0x3fffffe, v6
	v_cmp_ne_u32_e32 vcc, v6, v7
	v_lshl_add_u32 v3, v7, 7, v0
	s_orn2_b64 s[10:11], vcc, exec
.LBB38_35:
	s_or_b64 exec, exec, s[4:5]
	s_and_b64 exec, exec, s[10:11]
	s_cbranch_execz .LBB38_38
; %bb.36:
	v_mov_b32_e32 v6, 0x150
	v_lshl_add_u32 v6, v3, 2, v6
	s_mov_b64 s[4:5], 0
.LBB38_37:                              ; =>This Inner Loop Header: Depth=1
	ds_read_b32 v7, v6
	v_add_u32_e32 v3, 0x80, v3
	v_cmp_le_i32_e32 vcc, s15, v3
	s_or_b64 s[4:5], vcc, s[4:5]
	s_waitcnt lgkmcnt(0)
	v_mul_f32_e32 v7, v2, v7
	ds_write_b32 v6, v7
	v_add_u32_e32 v6, 0x200, v6
	s_andn2_b64 exec, exec, s[4:5]
	s_cbranch_execnz .LBB38_37
.LBB38_38:
	s_or_b64 exec, exec, s[2:3]
	s_mul_i32 s2, s12, s24
	v_cmp_eq_u32_e32 vcc, 0, v0
	s_mul_i32 s2, s2, s9
	s_waitcnt lgkmcnt(0)
	s_barrier
	s_and_saveexec_b64 s[4:5], vcc
	s_cbranch_execz .LBB38_40
; %bb.39:
	s_ashr_i32 s3, s2, 31
	s_lshl_b64 s[10:11], s[2:3], 2
	s_add_u32 s3, s18, s10
	s_mul_i32 s18, s12, s6
	s_addc_u32 s9, s19, s11
	s_ashr_i32 s19, s18, 31
	s_lshl_b64 s[18:19], s[18:19], 2
	s_add_u32 s3, s3, s18
	s_addc_u32 s6, s9, s19
	s_ashr_i32 s9, s8, 31
	s_lshl_b64 s[34:35], s[8:9], 2
	s_add_u32 s36, s3, s34
	s_addc_u32 s37, s6, s35
	s_add_u32 s3, s16, s10
	s_addc_u32 s6, s17, s11
	;; [unrolled: 2-line block ×3, first 2 shown]
	s_add_u32 s10, s3, s34
	v_mov_b32_e32 v2, 0
	s_addc_u32 s11, s6, s35
	global_store_dword v2, v4, s[36:37]
	global_store_dword v2, v5, s[10:11]
.LBB38_40:
	s_or_b64 exec, exec, s[4:5]
	v_mov_b32_e32 v39, 0
	v_mov_b32_e32 v31, 0
	;; [unrolled: 1-line block ×5, first 2 shown]
	s_and_saveexec_b64 s[4:5], s[0:1]
	s_cbranch_execz .LBB38_54
; %bb.41:
	s_ashr_i32 s15, s14, 31
	s_lshl_b64 s[0:1], s[14:15], 2
	s_add_u32 s9, s30, s0
	v_and_b32_e32 v3, 12, v24
	s_mov_b32 s3, s13
	s_addc_u32 s10, s31, s1
	s_add_i32 s13, s7, -1
	v_lshl_add_u32 v5, v25, 4, s33
	s_lshl_b64 s[0:1], s[28:29], 2
	v_add3_u32 v40, v5, v3, 3
	v_lshlrev_b32_e32 v3, 4, v35
	s_add_u32 s0, s26, s0
	v_and_b32_e32 v2, 0xfc, v24
	v_lshl_or_b32 v3, v25, 6, v3
	v_lshlrev_b64 v[6:7], 2, v[26:27]
	s_addc_u32 s1, s27, s1
	v_mov_b32_e32 v28, 0
	v_or_b32_e32 v4, 0x400, v2
	v_add_u32_e32 v41, 0x150, v3
	v_mov_b32_e32 v3, s1
	v_add_co_u32_e32 v32, vcc, s0, v6
	v_addc_co_u32_e32 v33, vcc, v3, v7, vcc
	s_mov_b64 s[6:7], 0
	v_mov_b32_e32 v27, s10
	v_lshlrev_b32_e32 v42, 2, v2
	v_lshlrev_b32_e32 v43, 2, v4
	v_mov_b32_e32 v29, v28
	v_mov_b32_e32 v30, v28
	;; [unrolled: 1-line block ×4, first 2 shown]
	s_branch .LBB38_43
.LBB38_42:                              ;   in Loop: Header=BB38_43 Depth=1
	s_or_b64 exec, exec, s[0:1]
	s_waitcnt vmcnt(4) lgkmcnt(0)
	v_mul_f32_e32 v7, v3, v7
	v_fmac_f32_e32 v7, v2, v6
	s_waitcnt vmcnt(3)
	v_mul_f32_e32 v6, v3, v11
	v_fmac_f32_e32 v6, v2, v10
	v_fmac_f32_e32 v6, v4, v12
	;; [unrolled: 1-line block ×3, first 2 shown]
	v_add_f32_e32 v29, v29, v6
	s_waitcnt vmcnt(2)
	v_mul_f32_e32 v6, v3, v15
	v_fmac_f32_e32 v6, v2, v14
	v_fmac_f32_e32 v6, v4, v16
	;; [unrolled: 1-line block ×3, first 2 shown]
	v_add_f32_e32 v30, v30, v6
	s_waitcnt vmcnt(1)
	v_mul_f32_e32 v6, v3, v19
	s_waitcnt vmcnt(0)
	v_mul_f32_e32 v3, v3, v23
	v_fmac_f32_e32 v6, v2, v18
	v_fmac_f32_e32 v3, v2, v22
	v_add_u32_e32 v26, 2, v26
	v_fmac_f32_e32 v7, v4, v8
	v_fmac_f32_e32 v6, v4, v20
	;; [unrolled: 1-line block ×3, first 2 shown]
	v_cmp_le_i32_e32 vcc, s21, v26
	v_fmac_f32_e32 v7, v5, v9
	v_fmac_f32_e32 v6, v5, v21
	;; [unrolled: 1-line block ×3, first 2 shown]
	s_or_b64 s[6:7], vcc, s[6:7]
	v_add_co_u32_e32 v32, vcc, 8, v32
	v_add_f32_e32 v28, v28, v7
	v_add_f32_e32 v31, v31, v6
	v_add_f32_e32 v39, v39, v3
	v_add_u32_e32 v40, 32, v40
	v_add_u32_e32 v41, 0x80, v41
	v_addc_co_u32_e32 v33, vcc, 0, v33, vcc
	s_andn2_b64 exec, exec, s[6:7]
	s_cbranch_execz .LBB38_53
.LBB38_43:                              ; =>This Inner Loop Header: Depth=1
	global_load_dword v2, v[32:33], off
	v_add_u32_e32 v44, -3, v40
	v_add_u32_e32 v46, -2, v40
	;; [unrolled: 1-line block ×3, first 2 shown]
	s_waitcnt vmcnt(0)
	v_mad_i64_i32 v[2:3], s[0:1], v2, s3, 0
	v_lshlrev_b64 v[2:3], 2, v[2:3]
	v_add_co_u32_e32 v22, vcc, s9, v2
	v_addc_co_u32_e32 v23, vcc, v27, v3, vcc
	v_add_co_u32_e32 v18, vcc, v22, v42
	v_addc_co_u32_e32 v19, vcc, 0, v23, vcc
	global_load_dwordx4 v[6:9], v[18:19], off
	ds_read_b128 v[2:5], v41
	v_cmp_eq_u32_e32 vcc, s13, v26
	s_and_saveexec_b64 s[10:11], vcc
	s_cbranch_execnz .LBB38_50
; %bb.44:                               ;   in Loop: Header=BB38_43 Depth=1
	s_or_b64 exec, exec, s[10:11]
	global_load_dwordx4 v[10:13], v[18:19], off offset:1024
	s_and_saveexec_b64 s[10:11], vcc
	s_cbranch_execnz .LBB38_51
.LBB38_45:                              ;   in Loop: Header=BB38_43 Depth=1
	s_or_b64 exec, exec, s[10:11]
	global_load_dwordx4 v[14:17], v[18:19], off offset:2048
	s_and_saveexec_b64 s[10:11], vcc
	s_cbranch_execnz .LBB38_52
.LBB38_46:                              ;   in Loop: Header=BB38_43 Depth=1
	s_or_b64 exec, exec, s[10:11]
	global_load_dwordx4 v[18:21], v[18:19], off offset:3072
	s_and_saveexec_b64 s[10:11], vcc
	s_cbranch_execz .LBB38_48
.LBB38_47:                              ;   in Loop: Header=BB38_43 Depth=1
	v_cmp_gt_i32_e64 s[0:1], s25, v44
	s_waitcnt vmcnt(0)
	v_cndmask_b32_e64 v18, 0, v18, s[0:1]
	v_cmp_gt_i32_e64 s[0:1], s25, v46
	v_cndmask_b32_e64 v19, 0, v19, s[0:1]
	v_cmp_gt_i32_e64 s[0:1], s25, v45
	;; [unrolled: 2-line block ×3, first 2 shown]
	v_cndmask_b32_e64 v21, 0, v21, s[0:1]
.LBB38_48:                              ;   in Loop: Header=BB38_43 Depth=1
	s_or_b64 exec, exec, s[10:11]
	v_add_co_u32_e64 v22, s[0:1], v22, v43
	v_addc_co_u32_e64 v23, s[0:1], 0, v23, s[0:1]
	global_load_dwordx4 v[22:25], v[22:23], off
	s_and_saveexec_b64 s[0:1], vcc
	s_cbranch_execz .LBB38_42
; %bb.49:                               ;   in Loop: Header=BB38_43 Depth=1
	v_cmp_gt_i32_e32 vcc, s25, v44
	s_waitcnt vmcnt(0)
	v_cndmask_b32_e32 v22, 0, v22, vcc
	v_cmp_gt_i32_e32 vcc, s25, v46
	v_cndmask_b32_e32 v23, 0, v23, vcc
	v_cmp_gt_i32_e32 vcc, s25, v45
	;; [unrolled: 2-line block ×3, first 2 shown]
	v_cndmask_b32_e32 v25, 0, v25, vcc
	s_branch .LBB38_42
.LBB38_50:                              ;   in Loop: Header=BB38_43 Depth=1
	v_cmp_gt_i32_e64 s[0:1], s25, v44
	s_waitcnt vmcnt(0)
	v_cndmask_b32_e64 v6, 0, v6, s[0:1]
	v_cmp_gt_i32_e64 s[0:1], s25, v46
	v_cndmask_b32_e64 v7, 0, v7, s[0:1]
	v_cmp_gt_i32_e64 s[0:1], s25, v45
	;; [unrolled: 2-line block ×3, first 2 shown]
	v_cndmask_b32_e64 v9, 0, v9, s[0:1]
	s_or_b64 exec, exec, s[10:11]
	global_load_dwordx4 v[10:13], v[18:19], off offset:1024
	s_and_saveexec_b64 s[10:11], vcc
	s_cbranch_execz .LBB38_45
.LBB38_51:                              ;   in Loop: Header=BB38_43 Depth=1
	v_cmp_gt_i32_e64 s[0:1], s25, v44
	s_waitcnt vmcnt(0)
	v_cndmask_b32_e64 v10, 0, v10, s[0:1]
	v_cmp_gt_i32_e64 s[0:1], s25, v46
	v_cndmask_b32_e64 v11, 0, v11, s[0:1]
	v_cmp_gt_i32_e64 s[0:1], s25, v45
	;; [unrolled: 2-line block ×3, first 2 shown]
	v_cndmask_b32_e64 v13, 0, v13, s[0:1]
	s_or_b64 exec, exec, s[10:11]
	global_load_dwordx4 v[14:17], v[18:19], off offset:2048
	s_and_saveexec_b64 s[10:11], vcc
	s_cbranch_execz .LBB38_46
.LBB38_52:                              ;   in Loop: Header=BB38_43 Depth=1
	v_cmp_gt_i32_e64 s[0:1], s25, v44
	s_waitcnt vmcnt(0)
	v_cndmask_b32_e64 v14, 0, v14, s[0:1]
	v_cmp_gt_i32_e64 s[0:1], s25, v46
	v_cndmask_b32_e64 v15, 0, v15, s[0:1]
	v_cmp_gt_i32_e64 s[0:1], s25, v45
	v_cndmask_b32_e64 v16, 0, v16, s[0:1]
	v_cmp_gt_i32_e64 s[0:1], s25, v40
	v_cndmask_b32_e64 v17, 0, v17, s[0:1]
	s_or_b64 exec, exec, s[10:11]
	global_load_dwordx4 v[18:21], v[18:19], off offset:3072
	s_and_saveexec_b64 s[10:11], vcc
	s_cbranch_execnz .LBB38_47
	s_branch .LBB38_48
.LBB38_53:
	s_or_b64 exec, exec, s[6:7]
.LBB38_54:
	s_or_b64 exec, exec, s[4:5]
	ds_bpermute_b32 v2, v38, v28
	ds_bpermute_b32 v3, v38, v29
	;; [unrolled: 1-line block ×5, first 2 shown]
	s_waitcnt lgkmcnt(0)
	v_pk_add_f32 v[2:3], v[28:29], v[2:3]
	ds_bpermute_b32 v6, v37, v2
	v_pk_add_f32 v[4:5], v[30:31], v[4:5]
	ds_bpermute_b32 v7, v37, v3
	ds_bpermute_b32 v8, v37, v4
	;; [unrolled: 1-line block ×3, first 2 shown]
	v_add_f32_e32 v10, v39, v10
	ds_bpermute_b32 v11, v37, v10
	s_waitcnt lgkmcnt(3)
	v_pk_add_f32 v[6:7], v[2:3], v[6:7]
	s_barrier
	s_waitcnt lgkmcnt(1)
	v_pk_add_f32 v[2:3], v[4:5], v[8:9]
	v_and_b32_e32 v5, 0x3c3, v0
	s_waitcnt lgkmcnt(0)
	v_add_f32_e32 v4, v10, v11
	v_cmp_eq_u32_e32 vcc, 64, v5
	s_and_saveexec_b64 s[0:1], vcc
	s_cbranch_execz .LBB38_56
; %bb.55:
	v_add_u32_e32 v8, 0x150, v36
	ds_write2_b32 v8, v6, v7 offset1:16
	ds_write2_b32 v8, v2, v3 offset0:32 offset1:48
	ds_write_b32 v8, v4 offset:256
.LBB38_56:
	s_or_b64 exec, exec, s[0:1]
	v_cmp_gt_u32_e32 vcc, 64, v0
	s_waitcnt lgkmcnt(0)
	s_barrier
	s_and_saveexec_b64 s[0:1], vcc
	s_cbranch_execz .LBB38_64
; %bb.57:
	v_cmp_eq_u32_e32 vcc, 0, v35
	s_and_saveexec_b64 s[4:5], vcc
	s_cbranch_execnz .LBB38_67
; %bb.58:
	s_or_b64 exec, exec, s[4:5]
	s_and_saveexec_b64 s[4:5], vcc
	s_cbranch_execnz .LBB38_68
.LBB38_59:
	s_or_b64 exec, exec, s[4:5]
	s_and_saveexec_b64 s[4:5], vcc
	s_cbranch_execnz .LBB38_69
.LBB38_60:
	s_or_b64 exec, exec, s[4:5]
	s_and_saveexec_b64 s[4:5], vcc
	s_cbranch_execnz .LBB38_70
.LBB38_61:
	s_or_b64 exec, exec, s[4:5]
	s_and_saveexec_b64 s[4:5], vcc
	s_cbranch_execz .LBB38_63
.LBB38_62:
	v_mov_b32_e32 v0, 0x150
	v_lshl_add_u32 v0, v34, 2, v0
	ds_read_b32 v0, v0 offset:256
	s_waitcnt lgkmcnt(0)
	v_add_f32_e32 v4, v4, v0
.LBB38_63:
	s_or_b64 exec, exec, s[4:5]
.LBB38_64:
	s_or_b64 exec, exec, s[0:1]
	v_cmp_eq_u32_e32 vcc, 0, v5
	s_barrier
	s_and_saveexec_b64 s[0:1], vcc
	s_cbranch_execz .LBB38_66
; %bb.65:
	s_mul_i32 s0, s2, 0x50
	s_ashr_i32 s1, s0, 31
	s_lshl_b64 s[0:1], s[0:1], 2
	s_add_u32 s2, s22, s0
	s_mul_i32 s0, s12, s20
	s_addc_u32 s3, s23, s1
	s_ashr_i32 s1, s0, 31
	s_lshl_b64 s[0:1], s[0:1], 2
	s_add_u32 s2, s2, s0
	s_mul_i32 s0, s8, 0x50
	s_addc_u32 s3, s3, s1
	s_ashr_i32 s1, s0, 31
	s_lshl_b64 s[0:1], s[0:1], 2
	s_add_u32 s0, s2, s0
	s_addc_u32 s1, s3, s1
	global_store_dword v1, v6, s[0:1]
	global_store_dword v1, v7, s[0:1] offset:64
	global_store_dword v1, v2, s[0:1] offset:128
	;; [unrolled: 1-line block ×4, first 2 shown]
.LBB38_66:
	s_endpgm
.LBB38_67:
	v_mov_b32_e32 v0, 0x150
	v_lshl_add_u32 v0, v34, 2, v0
	ds_read_b32 v0, v0
	s_waitcnt lgkmcnt(0)
	v_add_f32_e32 v6, v6, v0
	s_or_b64 exec, exec, s[4:5]
	s_and_saveexec_b64 s[4:5], vcc
	s_cbranch_execz .LBB38_59
.LBB38_68:
	v_mov_b32_e32 v0, 0x150
	v_lshl_add_u32 v0, v34, 2, v0
	ds_read_b32 v0, v0 offset:64
	s_waitcnt lgkmcnt(0)
	v_add_f32_e32 v7, v7, v0
	s_or_b64 exec, exec, s[4:5]
	s_and_saveexec_b64 s[4:5], vcc
	s_cbranch_execz .LBB38_60
.LBB38_69:
	v_mov_b32_e32 v0, 0x150
	v_lshl_add_u32 v0, v34, 2, v0
	ds_read_b32 v0, v0 offset:128
	s_waitcnt lgkmcnt(0)
	v_add_f32_e32 v2, v2, v0
	s_or_b64 exec, exec, s[4:5]
	s_and_saveexec_b64 s[4:5], vcc
	s_cbranch_execz .LBB38_61
.LBB38_70:
	v_mov_b32_e32 v0, 0x150
	v_lshl_add_u32 v0, v34, 2, v0
	ds_read_b32 v0, v0 offset:192
	s_waitcnt lgkmcnt(0)
	v_add_f32_e32 v3, v3, v0
	s_or_b64 exec, exec, s[4:5]
	s_and_saveexec_b64 s[4:5], vcc
	s_cbranch_execnz .LBB38_62
	s_branch .LBB38_63
	.section	.rodata,"a",@progbits
	.p2align	6, 0x0
	.amdhsa_kernel _ZN4vllm25paged_attention_v2_kernelIffLi80ELi16ELi128ELNS_18Fp8KVCacheDataTypeE0ELb0ELi512EEEvPfS2_PT_PKS3_PKT0_S9_ifPKiSB_iPKfiiiSD_SD_iiiii
		.amdhsa_group_segment_fixed_size 336
		.amdhsa_private_segment_fixed_size 0
		.amdhsa_kernarg_size 400
		.amdhsa_user_sgpr_count 6
		.amdhsa_user_sgpr_private_segment_buffer 1
		.amdhsa_user_sgpr_dispatch_ptr 0
		.amdhsa_user_sgpr_queue_ptr 0
		.amdhsa_user_sgpr_kernarg_segment_ptr 1
		.amdhsa_user_sgpr_dispatch_id 0
		.amdhsa_user_sgpr_flat_scratch_init 0
		.amdhsa_user_sgpr_kernarg_preload_length 0
		.amdhsa_user_sgpr_kernarg_preload_offset 0
		.amdhsa_user_sgpr_private_segment_size 0
		.amdhsa_uses_dynamic_stack 0
		.amdhsa_system_sgpr_private_segment_wavefront_offset 0
		.amdhsa_system_sgpr_workgroup_id_x 1
		.amdhsa_system_sgpr_workgroup_id_y 1
		.amdhsa_system_sgpr_workgroup_id_z 1
		.amdhsa_system_sgpr_workgroup_info 0
		.amdhsa_system_vgpr_workitem_id 0
		.amdhsa_next_free_vgpr 62
		.amdhsa_next_free_sgpr 43
		.amdhsa_accum_offset 64
		.amdhsa_reserve_vcc 1
		.amdhsa_reserve_flat_scratch 0
		.amdhsa_float_round_mode_32 0
		.amdhsa_float_round_mode_16_64 0
		.amdhsa_float_denorm_mode_32 3
		.amdhsa_float_denorm_mode_16_64 3
		.amdhsa_dx10_clamp 1
		.amdhsa_ieee_mode 1
		.amdhsa_fp16_overflow 0
		.amdhsa_tg_split 0
		.amdhsa_exception_fp_ieee_invalid_op 0
		.amdhsa_exception_fp_denorm_src 0
		.amdhsa_exception_fp_ieee_div_zero 0
		.amdhsa_exception_fp_ieee_overflow 0
		.amdhsa_exception_fp_ieee_underflow 0
		.amdhsa_exception_fp_ieee_inexact 0
		.amdhsa_exception_int_div_zero 0
	.end_amdhsa_kernel
	.section	.text._ZN4vllm25paged_attention_v2_kernelIffLi80ELi16ELi128ELNS_18Fp8KVCacheDataTypeE0ELb0ELi512EEEvPfS2_PT_PKS3_PKT0_S9_ifPKiSB_iPKfiiiSD_SD_iiiii,"axG",@progbits,_ZN4vllm25paged_attention_v2_kernelIffLi80ELi16ELi128ELNS_18Fp8KVCacheDataTypeE0ELb0ELi512EEEvPfS2_PT_PKS3_PKT0_S9_ifPKiSB_iPKfiiiSD_SD_iiiii,comdat
.Lfunc_end38:
	.size	_ZN4vllm25paged_attention_v2_kernelIffLi80ELi16ELi128ELNS_18Fp8KVCacheDataTypeE0ELb0ELi512EEEvPfS2_PT_PKS3_PKT0_S9_ifPKiSB_iPKfiiiSD_SD_iiiii, .Lfunc_end38-_ZN4vllm25paged_attention_v2_kernelIffLi80ELi16ELi128ELNS_18Fp8KVCacheDataTypeE0ELb0ELi512EEEvPfS2_PT_PKS3_PKT0_S9_ifPKiSB_iPKfiiiSD_SD_iiiii
                                        ; -- End function
	.section	.AMDGPU.csdata,"",@progbits
; Kernel info:
; codeLenInByte = 4472
; NumSgprs: 47
; NumVgprs: 62
; NumAgprs: 0
; TotalNumVgprs: 62
; ScratchSize: 0
; MemoryBound: 0
; FloatMode: 240
; IeeeMode: 1
; LDSByteSize: 336 bytes/workgroup (compile time only)
; SGPRBlocks: 5
; VGPRBlocks: 7
; NumSGPRsForWavesPerEU: 47
; NumVGPRsForWavesPerEU: 62
; AccumOffset: 64
; Occupancy: 8
; WaveLimiterHint : 1
; COMPUTE_PGM_RSRC2:SCRATCH_EN: 0
; COMPUTE_PGM_RSRC2:USER_SGPR: 6
; COMPUTE_PGM_RSRC2:TRAP_HANDLER: 0
; COMPUTE_PGM_RSRC2:TGID_X_EN: 1
; COMPUTE_PGM_RSRC2:TGID_Y_EN: 1
; COMPUTE_PGM_RSRC2:TGID_Z_EN: 1
; COMPUTE_PGM_RSRC2:TIDIG_COMP_CNT: 0
; COMPUTE_PGM_RSRC3_GFX90A:ACCUM_OFFSET: 15
; COMPUTE_PGM_RSRC3_GFX90A:TG_SPLIT: 0
	.section	.text._ZN4vllm25paged_attention_v2_kernelIffLi96ELi16ELi128ELNS_18Fp8KVCacheDataTypeE0ELb0ELi512EEEvPfS2_PT_PKS3_PKT0_S9_ifPKiSB_iPKfiiiSD_SD_iiiii,"axG",@progbits,_ZN4vllm25paged_attention_v2_kernelIffLi96ELi16ELi128ELNS_18Fp8KVCacheDataTypeE0ELb0ELi512EEEvPfS2_PT_PKS3_PKT0_S9_ifPKiSB_iPKfiiiSD_SD_iiiii,comdat
	.protected	_ZN4vllm25paged_attention_v2_kernelIffLi96ELi16ELi128ELNS_18Fp8KVCacheDataTypeE0ELb0ELi512EEEvPfS2_PT_PKS3_PKT0_S9_ifPKiSB_iPKfiiiSD_SD_iiiii ; -- Begin function _ZN4vllm25paged_attention_v2_kernelIffLi96ELi16ELi128ELNS_18Fp8KVCacheDataTypeE0ELb0ELi512EEEvPfS2_PT_PKS3_PKT0_S9_ifPKiSB_iPKfiiiSD_SD_iiiii
	.globl	_ZN4vllm25paged_attention_v2_kernelIffLi96ELi16ELi128ELNS_18Fp8KVCacheDataTypeE0ELb0ELi512EEEvPfS2_PT_PKS3_PKT0_S9_ifPKiSB_iPKfiiiSD_SD_iiiii
	.p2align	8
	.type	_ZN4vllm25paged_attention_v2_kernelIffLi96ELi16ELi128ELNS_18Fp8KVCacheDataTypeE0ELb0ELi512EEEvPfS2_PT_PKS3_PKT0_S9_ifPKiSB_iPKfiiiSD_SD_iiiii,@function
_ZN4vllm25paged_attention_v2_kernelIffLi96ELi16ELi128ELNS_18Fp8KVCacheDataTypeE0ELb0ELi512EEEvPfS2_PT_PKS3_PKT0_S9_ifPKiSB_iPKfiiiSD_SD_iiiii: ; @_ZN4vllm25paged_attention_v2_kernelIffLi96ELi16ELi128ELNS_18Fp8KVCacheDataTypeE0ELb0ELi512EEEvPfS2_PT_PKS3_PKT0_S9_ifPKiSB_iPKfiiiSD_SD_iiiii
; %bb.0:
	s_load_dwordx2 s[0:1], s[4:5], 0x40
	s_mov_b32 s24, s7
	s_ashr_i32 s25, s7, 31
	s_lshl_b64 s[2:3], s[24:25], 2
	s_waitcnt lgkmcnt(0)
	s_add_u32 s0, s0, s2
	s_addc_u32 s1, s1, s3
	s_load_dword s25, s[0:1], 0x0
	s_lshl_b32 s33, s8, 9
	s_waitcnt lgkmcnt(0)
	s_cmp_ge_i32 s33, s25
	s_cbranch_scc1 .LBB39_69
; %bb.1:
	s_load_dword s9, s[4:5], 0x90
	s_load_dwordx2 s[10:11], s[4:5], 0x30
	s_mov_b32 s40, 0
	s_waitcnt lgkmcnt(0)
	s_abs_i32 s2, s9
	s_abs_i32 s0, s10
	v_cvt_f32_u32_e32 v1, s0
	s_sub_i32 s3, 0, s0
	s_xor_b32 s1, s9, s10
	s_ashr_i32 s1, s1, 31
	v_rcp_iflag_f32_e32 v1, v1
	v_mul_f32_e32 v1, 0x4f7ffffe, v1
	v_cvt_u32_f32_e32 v1, v1
	v_readfirstlane_b32 s7, v1
	s_mul_i32 s3, s3, s7
	s_mul_hi_u32 s3, s7, s3
	s_add_i32 s7, s7, s3
	s_mul_hi_u32 s3, s2, s7
	s_mul_i32 s7, s3, s0
	s_sub_i32 s2, s2, s7
	s_add_i32 s10, s3, 1
	s_sub_i32 s7, s2, s0
	s_cmp_ge_u32 s2, s0
	s_cselect_b32 s3, s10, s3
	s_cselect_b32 s2, s7, s2
	s_add_i32 s7, s3, 1
	s_cmp_ge_u32 s2, s0
	s_cselect_b32 s0, s7, s3
	s_xor_b32 s0, s0, s1
	s_sub_i32 s10, s0, s1
	s_abs_i32 s2, s10
	v_cvt_f32_u32_e32 v1, s2
	s_load_dwordx2 s[0:1], s[4:5], 0x50
	s_sub_i32 s7, 0, s2
	s_abs_i32 s3, s6
	v_rcp_iflag_f32_e32 v1, v1
	v_mul_f32_e32 v1, 0x4f7ffffe, v1
	v_cvt_u32_f32_e32 v1, v1
	v_readfirstlane_b32 s12, v1
	s_mul_i32 s7, s7, s12
	s_mul_hi_u32 s7, s12, s7
	s_add_i32 s12, s12, s7
	s_waitcnt lgkmcnt(0)
	s_cmp_eq_u64 s[0:1], 0
	s_mul_hi_u32 s16, s3, s12
	s_cbranch_scc1 .LBB39_3
; %bb.2:
	s_ashr_i32 s7, s6, 31
	s_lshl_b64 s[12:13], s[6:7], 2
	s_add_u32 s0, s0, s12
	s_addc_u32 s1, s1, s13
	s_load_dword s40, s[0:1], 0x0
.LBB39_3:
	s_load_dwordx4 s[12:15], s[4:5], 0x58
	v_lshrrev_b32_e32 v40, 2, v0
	s_movk_i32 s7, 0x60
	s_ashr_i32 s17, s6, 31
	s_ashr_i32 s18, s10, 31
	v_and_b32_e32 v41, 3, v0
	s_mul_i32 s20, s6, 0x60
	v_cmp_gt_u32_e32 vcc, s7, v0
	v_lshlrev_b32_e32 v28, 2, v0
	v_lshlrev_b32_e32 v1, 2, v40
	s_and_saveexec_b64 s[0:1], vcc
	s_cbranch_execz .LBB39_5
; %bb.4:
	s_load_dwordx2 s[22:23], s[4:5], 0x18
	s_waitcnt lgkmcnt(0)
	s_mul_i32 s26, s24, s12
	s_ashr_i32 s27, s26, 31
	s_lshl_b64 s[26:27], s[26:27], 2
	v_mad_u32_u24 v3, v41, s7, v1
	s_add_u32 s10, s22, s26
	s_addc_u32 s12, s23, s27
	s_ashr_i32 s21, s20, 31
	s_lshl_b64 s[22:23], s[20:21], 2
	s_add_u32 s22, s10, s22
	s_addc_u32 s23, s12, s23
	global_load_dword v2, v28, s[22:23]
	s_waitcnt vmcnt(0)
	ds_write_b32 v3, v2
.LBB39_5:
	s_or_b64 exec, exec, s[0:1]
	s_add_i32 s0, s25, 15
	s_ashr_i32 s1, s0, 31
	s_lshr_b32 s1, s1, 28
	s_add_i32 s0, s0, s1
	s_lshl_b32 s10, s8, 5
	s_mul_i32 s1, s16, s2
	s_ashr_i32 s7, s0, 4
	s_add_i32 s0, s10, 32
	s_sub_i32 s1, s3, s1
	s_min_i32 s21, s0, s7
	s_xor_b32 s0, s17, s18
	s_add_i32 s3, s16, 1
	s_waitcnt lgkmcnt(0)
	s_sub_i32 s12, s1, s2
	s_cmp_ge_u32 s1, s2
	s_cselect_b32 s3, s3, s16
	s_cselect_b32 s1, s12, s1
	s_add_i32 s12, s3, 1
	s_cmp_ge_u32 s1, s2
	s_load_dwordx2 s[26:27], s[4:5], 0x38
	s_load_dword s2, s[4:5], 0x48
	v_lshrrev_b32_e32 v29, 6, v0
	s_cselect_b32 s1, s12, s3
	s_xor_b32 s1, s1, s0
	v_or_b32_e32 v30, s10, v29
	s_waitcnt lgkmcnt(0)
	s_mul_i32 s28, s24, s2
	s_sub_i32 s15, s1, s0
	s_ashr_i32 s29, s28, 31
	v_cmp_gt_i32_e64 s[0:1], s21, v30
	v_cmp_le_i32_e32 vcc, s21, v30
	v_mbcnt_lo_u32_b32 v26, -1, 0
	s_barrier
	s_waitcnt lgkmcnt(0)
                                        ; implicit-def: $sgpr36
                                        ; implicit-def: $vgpr32
                                        ; implicit-def: $vgpr33
	s_and_saveexec_b64 s[2:3], vcc
	s_xor_b64 s[2:3], exec, s[2:3]
; %bb.6:
	v_mbcnt_hi_u32_b32 v32, -1, v26
	v_and_b32_e32 v2, 64, v32
	v_add_u32_e32 v33, 64, v2
	s_mov_b32 s36, 0xff7fffff
                                        ; implicit-def: $vgpr26
; %bb.7:
	s_or_saveexec_b64 s[34:35], s[2:3]
	s_load_dwordx4 s[16:19], s[4:5], 0x0
	s_load_dwordx2 s[22:23], s[4:5], 0x10
	s_load_dwordx2 s[30:31], s[4:5], 0x28
	s_load_dword s12, s[4:5], 0x98
	v_mov_b32_e32 v36, s36
	s_mul_i32 s14, s15, s14
	v_ashrrev_i32_e32 v31, 31, v30
	s_xor_b64 exec, exec, s[34:35]
	s_cbranch_execz .LBB39_13
; %bb.8:
	s_load_dwordx2 s[2:3], s[4:5], 0x20
	s_ashr_i32 s15, s14, 31
	s_lshl_b64 s[4:5], s[14:15], 2
	v_bfe_u32 v27, v0, 2, 4
	v_lshlrev_b32_e32 v2, 4, v27
	s_waitcnt lgkmcnt(0)
	s_add_u32 s2, s2, s4
	s_addc_u32 s3, s3, s5
	v_mov_b32_e32 v3, s3
	v_add_co_u32_e32 v2, vcc, s2, v2
	v_addc_co_u32_e32 v3, vcc, 0, v3, vcc
	v_lshlrev_b32_e32 v4, 2, v41
	v_mbcnt_hi_u32_b32 v32, -1, v26
	v_add_co_u32_e32 v34, vcc, v2, v4
	v_and_b32_e32 v26, 64, v32
	v_addc_co_u32_e32 v35, vcc, 0, v3, vcc
	v_add_u32_e32 v33, 64, v26
	v_xor_b32_e32 v26, 2, v32
	v_mul_u32_u24_e32 v22, 0x60, v41
	v_cmp_lt_i32_e32 vcc, v26, v33
	ds_read_b128 v[2:5], v22
	ds_read_b128 v[6:9], v22 offset:16
	ds_read_b128 v[10:13], v22 offset:32
	;; [unrolled: 1-line block ×5, first 2 shown]
	v_cndmask_b32_e32 v26, v32, v26, vcc
	v_lshlrev_b32_e32 v37, 2, v26
	v_xor_b32_e32 v26, 1, v32
	v_cmp_lt_i32_e32 vcc, v26, v33
	v_cndmask_b32_e32 v26, v32, v26, vcc
	v_lshlrev_b32_e32 v36, 2, v27
	v_lshlrev_b32_e32 v38, 2, v26
	s_sub_i32 s15, 1, s25
	v_lshlrev_b32_e32 v26, 4, v29
	s_lshl_b64 s[4:5], s[28:29], 2
	v_add3_u32 v39, s33, v26, v27
	v_lshl_or_b32 v26, v29, 6, v36
	s_add_u32 s4, s26, s4
	v_add_u32_e32 v42, 0x190, v26
	v_lshlrev_b64 v[26:27], 2, v[30:31]
	s_addc_u32 s5, s27, s5
	v_mov_b32_e32 v36, s5
	v_add_co_u32_e64 v26, s[4:5], s4, v26
	s_mov_b32 s41, s13
	v_cmp_eq_u32_e32 vcc, 0, v41
	v_cmp_neq_f32_e64 s[2:3], s40, 0
	v_addc_co_u32_e64 v27, s[4:5], v36, v27, s[4:5]
	s_mov_b64 s[36:37], 0
	v_mov_b32_e32 v36, 0xff7fffff
	s_movk_i32 s42, 0x1000
	v_mov_b32_e32 v43, v30
	s_branch .LBB39_10
.LBB39_9:                               ;   in Loop: Header=BB39_10 Depth=1
	s_or_b64 exec, exec, s[38:39]
	v_add_u32_e32 v43, 2, v43
	v_cmp_le_i32_e64 s[4:5], s21, v43
	s_or_b64 s[36:37], s[4:5], s[36:37]
	v_add_co_u32_e64 v26, s[4:5], 8, v26
	v_add_u32_e32 v39, 32, v39
	v_add_u32_e32 v42, 0x80, v42
	v_addc_co_u32_e64 v27, s[4:5], 0, v27, s[4:5]
	s_andn2_b64 exec, exec, s[36:37]
	s_cbranch_execz .LBB39_12
.LBB39_10:                              ; =>This Inner Loop Header: Depth=1
	global_load_dword v44, v[26:27], off
	s_waitcnt vmcnt(0) lgkmcnt(0)
	v_mad_i64_i32 v[44:45], s[4:5], v44, s41, 0
	v_lshlrev_b64 v[44:45], 2, v[44:45]
	v_add_co_u32_e64 v44, s[4:5], v34, v44
	v_addc_co_u32_e64 v45, s[4:5], v35, v45, s[4:5]
	global_load_dword v46, v[44:45], off
	global_load_dword v47, v[44:45], off offset:256
	global_load_dword v48, v[44:45], off offset:512
	;; [unrolled: 1-line block ×15, first 2 shown]
	v_add_co_u32_e64 v44, s[4:5], s42, v44
	v_addc_co_u32_e64 v45, s[4:5], 0, v45, s[4:5]
	global_load_dword v62, v[44:45], off
	global_load_dword v63, v[44:45], off offset:256
	global_load_dword v64, v[44:45], off offset:512
	;; [unrolled: 1-line block ×6, first 2 shown]
	s_nop 0
	global_load_dword v44, v[44:45], off offset:1792
	s_waitcnt vmcnt(22) lgkmcnt(5)
	v_mul_f32_e32 v45, v3, v47
	v_fmac_f32_e32 v45, v2, v46
	s_waitcnt vmcnt(21)
	v_fmac_f32_e32 v45, v4, v48
	s_waitcnt vmcnt(20)
	v_fmac_f32_e32 v45, v5, v49
	s_waitcnt vmcnt(19) lgkmcnt(4)
	v_fmac_f32_e32 v45, v6, v50
	s_waitcnt vmcnt(18)
	v_fmac_f32_e32 v45, v7, v51
	s_waitcnt vmcnt(17)
	v_fmac_f32_e32 v45, v8, v52
	s_waitcnt vmcnt(16)
	v_fmac_f32_e32 v45, v9, v53
	s_waitcnt vmcnt(15) lgkmcnt(3)
	v_fmac_f32_e32 v45, v10, v54
	s_waitcnt vmcnt(14)
	;; [unrolled: 8-line block ×5, first 2 shown]
	v_fmac_f32_e32 v45, v23, v67
	s_waitcnt vmcnt(1)
	v_fmac_f32_e32 v45, v24, v68
	s_waitcnt vmcnt(0)
	v_fmac_f32_e32 v45, v25, v44
	ds_bpermute_b32 v44, v37, v45
	s_waitcnt lgkmcnt(0)
	v_add_f32_e32 v44, v45, v44
	ds_bpermute_b32 v45, v38, v44
	s_and_saveexec_b64 s[38:39], vcc
	s_cbranch_execz .LBB39_9
; %bb.11:                               ;   in Loop: Header=BB39_10 Depth=1
	v_add_u32_e32 v46, s15, v39
	v_cvt_f32_i32_e32 v46, v46
	s_waitcnt lgkmcnt(0)
	v_add_f32_e32 v44, v44, v45
	v_cmp_gt_i32_e64 s[4:5], s25, v39
	v_max_f32_e32 v45, v36, v36
	v_mul_f32_e32 v46, s40, v46
	v_cndmask_b32_e64 v46, 0, v46, s[2:3]
	v_fmac_f32_e32 v46, s11, v44
	v_cndmask_b32_e64 v44, 0, v46, s[4:5]
	ds_write_b32 v42, v44
	v_max_f32_e32 v44, v45, v46
	v_cndmask_b32_e64 v36, v36, v44, s[4:5]
	s_branch .LBB39_9
.LBB39_12:
	s_or_b64 exec, exec, s[36:37]
.LBB39_13:
	s_or_b64 exec, exec, s[34:35]
	v_xor_b32_e32 v2, 32, v32
	v_cmp_lt_i32_e32 vcc, v2, v33
	v_cndmask_b32_e32 v2, v32, v2, vcc
	v_lshlrev_b32_e32 v2, 2, v2
	ds_bpermute_b32 v3, v2, v36
	v_xor_b32_e32 v5, 16, v32
	v_max_f32_e32 v4, v36, v36
	v_cmp_lt_i32_e32 vcc, v5, v33
	v_xor_b32_e32 v6, 8, v32
	s_waitcnt lgkmcnt(0)
	v_max_f32_e32 v3, v3, v3
	v_max_f32_e32 v4, v4, v3
	v_cndmask_b32_e32 v3, v32, v5, vcc
	v_lshlrev_b32_e32 v3, 2, v3
	ds_bpermute_b32 v5, v3, v4
	v_cmp_lt_i32_e32 vcc, v6, v33
	v_and_b32_e32 v42, 63, v0
	s_waitcnt lgkmcnt(0)
	v_max_f32_e32 v5, v5, v5
	v_max_f32_e32 v4, v4, v5
	v_cndmask_b32_e32 v5, v32, v6, vcc
	v_lshlrev_b32_e32 v7, 2, v5
	ds_bpermute_b32 v5, v7, v4
	v_xor_b32_e32 v6, 4, v32
	v_cmp_lt_i32_e32 vcc, v6, v33
	s_waitcnt lgkmcnt(0)
	v_max_f32_e32 v5, v5, v5
	v_max_f32_e32 v4, v4, v5
	v_cndmask_b32_e32 v5, v32, v6, vcc
	v_lshlrev_b32_e32 v8, 2, v5
	ds_bpermute_b32 v6, v8, v4
	v_cmp_eq_u32_e32 vcc, 0, v42
	v_lshlrev_b32_e32 v5, 2, v29
	s_and_saveexec_b64 s[2:3], vcc
	s_cbranch_execz .LBB39_15
; %bb.14:
	s_waitcnt lgkmcnt(0)
	v_max_f32_e32 v6, v6, v6
	v_max_f32_e32 v4, v4, v4
	;; [unrolled: 1-line block ×3, first 2 shown]
	ds_write_b32 v5, v4 offset:384
.LBB39_15:
	s_or_b64 exec, exec, s[2:3]
	v_cmp_gt_u32_e64 s[2:3], 2, v42
	v_mov_b32_e32 v4, 0xff7fffff
	s_waitcnt lgkmcnt(0)
	v_lshlrev_b32_e32 v6, 2, v42
	s_barrier
	s_and_saveexec_b64 s[4:5], s[2:3]
	s_cbranch_execz .LBB39_17
; %bb.16:
	ds_read_b32 v4, v6 offset:384
.LBB39_17:
	s_or_b64 exec, exec, s[4:5]
	v_xor_b32_e32 v9, 1, v32
	v_cmp_lt_i32_e64 s[4:5], v9, v33
	v_cndmask_b32_e64 v9, v32, v9, s[4:5]
	v_lshlrev_b32_e32 v43, 2, v9
	s_waitcnt lgkmcnt(0)
	ds_bpermute_b32 v9, v43, v4
	v_max_f32_e32 v4, v4, v4
	s_sub_i32 s4, s21, s10
	s_lshl_b32 s4, s4, 4
	s_add_i32 s4, s4, s33
	s_waitcnt lgkmcnt(0)
	v_max_f32_e32 v9, v9, v9
	v_max_f32_e32 v4, v4, v9
	v_lshlrev_b32_e32 v9, 2, v32
	v_and_b32_e32 v9, 0xffffff00, v9
	ds_bpermute_b32 v4, v9, v4
	s_min_i32 s38, s4, s25
	s_sub_i32 s15, s38, s33
	v_cmp_gt_i32_e64 s[4:5], s15, v0
	v_mov_b32_e32 v10, 0
	s_and_saveexec_b64 s[34:35], s[4:5]
	s_cbranch_execz .LBB39_21
; %bb.18:
	v_mov_b32_e32 v10, 0x190
	v_lshl_add_u32 v11, v0, 2, v10
	s_mov_b64 s[36:37], 0
	v_mov_b32_e32 v10, 0
	v_mov_b32_e32 v12, v0
.LBB39_19:                              ; =>This Inner Loop Header: Depth=1
	ds_read_b32 v13, v11
	v_add_u32_e32 v12, 0x80, v12
	v_cmp_le_i32_e64 s[10:11], s15, v12
	s_or_b64 s[36:37], s[10:11], s[36:37]
	s_waitcnt lgkmcnt(0)
	v_sub_f32_e32 v13, v13, v4
	v_mul_f32_e32 v13, 0x3fb8aa3b, v13
	v_exp_f32_e32 v13, v13
	ds_write_b32 v11, v13
	v_add_f32_e32 v10, v10, v13
	v_add_u32_e32 v11, 0x200, v11
	s_andn2_b64 exec, exec, s[36:37]
	s_cbranch_execnz .LBB39_19
; %bb.20:
	s_or_b64 exec, exec, s[36:37]
.LBB39_21:
	s_or_b64 exec, exec, s[34:35]
	ds_bpermute_b32 v2, v2, v10
	s_waitcnt lgkmcnt(0)
	v_add_f32_e32 v2, v10, v2
	ds_bpermute_b32 v3, v3, v2
	s_waitcnt lgkmcnt(0)
	v_add_f32_e32 v2, v2, v3
	ds_bpermute_b32 v3, v7, v2
	v_xor_b32_e32 v7, 2, v32
	v_cmp_lt_i32_e64 s[10:11], v7, v33
	v_cndmask_b32_e64 v7, v32, v7, s[10:11]
	v_lshlrev_b32_e32 v44, 2, v7
	s_waitcnt lgkmcnt(0)
	v_add_f32_e32 v2, v2, v3
	ds_bpermute_b32 v3, v8, v2
	s_waitcnt lgkmcnt(0)
	v_add_f32_e32 v2, v2, v3
	ds_bpermute_b32 v3, v44, v2
	;; [unrolled: 3-line block ×3, first 2 shown]
	s_waitcnt lgkmcnt(0)
	v_add_f32_e32 v2, v2, v3
	s_and_saveexec_b64 s[10:11], vcc
	s_cbranch_execz .LBB39_23
; %bb.22:
	ds_write_b32 v5, v2 offset:392
.LBB39_23:
	s_or_b64 exec, exec, s[10:11]
	s_waitcnt lgkmcnt(0)
	s_barrier
	s_and_saveexec_b64 s[10:11], s[2:3]
	s_cbranch_execz .LBB39_25
; %bb.24:
	ds_read_b32 v2, v6 offset:392
.LBB39_25:
	s_or_b64 exec, exec, s[10:11]
	s_waitcnt lgkmcnt(0)
	ds_bpermute_b32 v3, v43, v2
	s_waitcnt lgkmcnt(0)
	v_add_f32_e32 v2, v2, v3
	ds_bpermute_b32 v5, v9, v2
	s_and_saveexec_b64 s[2:3], s[4:5]
	s_cbranch_execz .LBB39_38
; %bb.26:
	s_waitcnt lgkmcnt(0)
	v_add_f32_e32 v2, 0x358637bd, v5
	v_div_scale_f32 v3, s[4:5], v2, v2, 1.0
	v_rcp_f32_e32 v6, v3
	v_div_scale_f32 v7, vcc, 1.0, v2, 1.0
	s_movk_i32 s4, 0x7f
	v_fma_f32 v8, -v3, v6, 1.0
	v_fmac_f32_e32 v6, v8, v6
	v_mul_f32_e32 v8, v7, v6
	v_fma_f32 v9, -v3, v8, v7
	v_fmac_f32_e32 v8, v9, v6
	v_fma_f32 v3, -v3, v8, v7
	v_div_fmas_f32 v3, v3, v6, v8
	v_div_fixup_f32 v2, v3, v2, 1.0
	v_xad_u32 v3, v0, -1, s38
	v_subrev_u32_e32 v6, s33, v3
	v_cmp_lt_u32_e32 vcc, s4, v6
	s_mov_b64 s[10:11], -1
	v_mov_b32_e32 v3, v0
	s_and_saveexec_b64 s[4:5], vcc
	s_cbranch_execz .LBB39_35
; %bb.27:
	v_lshrrev_b32_e32 v6, 7, v6
	v_add_u32_e32 v8, -1, v6
	v_lshrrev_b32_e32 v7, 1, v8
	v_mov_b32_e32 v3, v2
	v_add_u32_e32 v7, 1, v7
	v_cmp_lt_u32_e32 vcc, 13, v8
	v_mov_b32_e32 v10, 0
	s_and_saveexec_b64 s[10:11], vcc
	s_cbranch_execz .LBB39_31
; %bb.28:
	v_mov_b32_e32 v9, 0x190
	v_and_b32_e32 v8, -8, v7
	v_lshl_add_u32 v9, v0, 2, v9
	s_mov_b32 s36, 0
	s_mov_b64 s[34:35], 0
.LBB39_29:                              ; =>This Inner Loop Header: Depth=1
	ds_read2st64_b32 v[10:11], v9 offset1:2
	ds_read2st64_b32 v[12:13], v9 offset0:4 offset1:6
	ds_read2st64_b32 v[14:15], v9 offset0:8 offset1:10
	;; [unrolled: 1-line block ×3, first 2 shown]
	v_add_u32_e32 v8, -8, v8
	s_waitcnt lgkmcnt(3)
	v_pk_mul_f32 v[10:11], v[2:3], v[10:11]
	s_waitcnt lgkmcnt(2)
	v_pk_mul_f32 v[12:13], v[2:3], v[12:13]
	ds_write2st64_b32 v9, v10, v11 offset1:2
	ds_write2st64_b32 v9, v12, v13 offset0:4 offset1:6
	ds_read2st64_b32 v[12:13], v9 offset0:16 offset1:18
	s_waitcnt lgkmcnt(4)
	v_pk_mul_f32 v[10:11], v[2:3], v[14:15]
	ds_write2st64_b32 v9, v10, v11 offset0:8 offset1:10
	s_waitcnt lgkmcnt(4)
	v_pk_mul_f32 v[10:11], v[2:3], v[16:17]
	ds_write2st64_b32 v9, v10, v11 offset0:12 offset1:14
	ds_read2st64_b32 v[10:11], v9 offset0:20 offset1:22
	s_waitcnt lgkmcnt(3)
	v_pk_mul_f32 v[12:13], v[2:3], v[12:13]
	ds_read2st64_b32 v[14:15], v9 offset0:24 offset1:26
	ds_write2st64_b32 v9, v12, v13 offset0:16 offset1:18
	ds_read2st64_b32 v[12:13], v9 offset0:28 offset1:30
	s_waitcnt lgkmcnt(3)
	v_pk_mul_f32 v[10:11], v[2:3], v[10:11]
	ds_write2st64_b32 v9, v10, v11 offset0:20 offset1:22
	s_waitcnt lgkmcnt(3)
	v_pk_mul_f32 v[10:11], v[2:3], v[14:15]
	ds_write2st64_b32 v9, v10, v11 offset0:24 offset1:26
	s_waitcnt lgkmcnt(2)
	v_pk_mul_f32 v[10:11], v[2:3], v[12:13]
	s_add_i32 s36, s36, 16
	v_cmp_eq_u32_e32 vcc, 0, v8
	ds_write2st64_b32 v9, v10, v11 offset0:28 offset1:30
	v_add_u32_e32 v9, 0x2000, v9
	s_or_b64 s[34:35], vcc, s[34:35]
	v_mov_b32_e32 v10, s36
	s_andn2_b64 exec, exec, s[34:35]
	s_cbranch_execnz .LBB39_29
; %bb.30:
	s_or_b64 exec, exec, s[34:35]
.LBB39_31:
	s_or_b64 exec, exec, s[10:11]
	v_and_b32_e32 v7, 7, v7
	v_cmp_ne_u32_e32 vcc, 0, v7
	s_and_saveexec_b64 s[10:11], vcc
	s_cbranch_execz .LBB39_34
; %bb.32:
	v_lshlrev_b32_e32 v8, 9, v10
	s_movk_i32 s34, 0x190
	v_add3_u32 v8, v8, v28, s34
	s_mov_b64 s[34:35], 0
.LBB39_33:                              ; =>This Inner Loop Header: Depth=1
	ds_read2st64_b32 v[10:11], v8 offset1:2
	v_add_u32_e32 v7, -1, v7
	v_cmp_eq_u32_e32 vcc, 0, v7
	s_or_b64 s[34:35], vcc, s[34:35]
	s_waitcnt lgkmcnt(0)
	v_pk_mul_f32 v[10:11], v[2:3], v[10:11]
	ds_write2st64_b32 v8, v10, v11 offset1:2
	v_add_u32_e32 v8, 0x400, v8
	s_andn2_b64 exec, exec, s[34:35]
	s_cbranch_execnz .LBB39_33
.LBB39_34:
	s_or_b64 exec, exec, s[10:11]
	v_add_u32_e32 v6, 1, v6
	v_and_b32_e32 v7, 0x3fffffe, v6
	v_cmp_ne_u32_e32 vcc, v6, v7
	v_lshl_add_u32 v3, v7, 7, v0
	s_orn2_b64 s[10:11], vcc, exec
.LBB39_35:
	s_or_b64 exec, exec, s[4:5]
	s_and_b64 exec, exec, s[10:11]
	s_cbranch_execz .LBB39_38
; %bb.36:
	v_mov_b32_e32 v6, 0x190
	v_lshl_add_u32 v6, v3, 2, v6
	s_mov_b64 s[4:5], 0
.LBB39_37:                              ; =>This Inner Loop Header: Depth=1
	ds_read_b32 v7, v6
	v_add_u32_e32 v3, 0x80, v3
	v_cmp_le_i32_e32 vcc, s15, v3
	s_or_b64 s[4:5], vcc, s[4:5]
	s_waitcnt lgkmcnt(0)
	v_mul_f32_e32 v7, v2, v7
	ds_write_b32 v6, v7
	v_add_u32_e32 v6, 0x200, v6
	s_andn2_b64 exec, exec, s[4:5]
	s_cbranch_execnz .LBB39_37
.LBB39_38:
	s_or_b64 exec, exec, s[2:3]
	s_mul_i32 s2, s12, s24
	v_cmp_eq_u32_e32 vcc, 0, v0
	s_mul_i32 s2, s2, s9
	s_waitcnt lgkmcnt(0)
	s_barrier
	s_and_saveexec_b64 s[4:5], vcc
	s_cbranch_execz .LBB39_40
; %bb.39:
	s_ashr_i32 s3, s2, 31
	s_lshl_b64 s[10:11], s[2:3], 2
	s_add_u32 s3, s18, s10
	s_mul_i32 s18, s12, s6
	s_addc_u32 s9, s19, s11
	s_ashr_i32 s19, s18, 31
	s_lshl_b64 s[18:19], s[18:19], 2
	s_add_u32 s3, s3, s18
	s_addc_u32 s6, s9, s19
	s_ashr_i32 s9, s8, 31
	s_lshl_b64 s[34:35], s[8:9], 2
	s_add_u32 s36, s3, s34
	s_addc_u32 s37, s6, s35
	s_add_u32 s3, s16, s10
	s_addc_u32 s6, s17, s11
	;; [unrolled: 2-line block ×3, first 2 shown]
	s_add_u32 s10, s3, s34
	v_mov_b32_e32 v2, 0
	s_addc_u32 s11, s6, s35
	global_store_dword v2, v4, s[36:37]
	global_store_dword v2, v5, s[10:11]
.LBB39_40:
	s_or_b64 exec, exec, s[4:5]
	v_mov_b32_e32 v35, 0
	v_mov_b32_e32 v34, 0
	;; [unrolled: 1-line block ×6, first 2 shown]
	s_and_saveexec_b64 s[4:5], s[0:1]
	s_cbranch_execz .LBB39_56
; %bb.41:
	s_ashr_i32 s15, s14, 31
	s_lshl_b64 s[0:1], s[14:15], 2
	s_add_u32 s9, s30, s0
	v_and_b32_e32 v3, 12, v28
	s_mov_b32 s3, s13
	s_addc_u32 s10, s31, s1
	s_add_i32 s13, s7, -1
	v_lshl_add_u32 v5, v29, 4, s33
	s_lshl_b64 s[0:1], s[28:29], 2
	v_add3_u32 v45, v5, v3, 3
	v_lshlrev_b32_e32 v3, 4, v41
	s_add_u32 s0, s26, s0
	v_and_b32_e32 v2, 0xfc, v28
	v_lshl_or_b32 v3, v29, 6, v3
	v_lshlrev_b64 v[8:9], 2, v[30:31]
	s_addc_u32 s1, s27, s1
	v_mov_b32_e32 v32, 0
	v_or_b32_e32 v4, 0x400, v2
	v_or_b32_e32 v6, 0x500, v2
	v_add_u32_e32 v46, 0x190, v3
	v_mov_b32_e32 v3, s1
	v_add_co_u32_e32 v38, vcc, s0, v8
	v_addc_co_u32_e32 v39, vcc, v3, v9, vcc
	s_mov_b64 s[6:7], 0
	v_mov_b32_e32 v31, s10
	v_lshlrev_b32_e32 v47, 2, v2
	v_lshlrev_b32_e32 v48, 2, v4
	;; [unrolled: 1-line block ×3, first 2 shown]
	v_mov_b32_e32 v33, v32
	v_mov_b32_e32 v36, v32
	;; [unrolled: 1-line block ×5, first 2 shown]
	s_branch .LBB39_43
.LBB39_42:                              ;   in Loop: Header=BB39_43 Depth=1
	s_or_b64 exec, exec, s[0:1]
	s_waitcnt vmcnt(5) lgkmcnt(0)
	v_mul_f32_e32 v7, v3, v7
	v_fmac_f32_e32 v7, v2, v6
	s_waitcnt vmcnt(4)
	v_mul_f32_e32 v6, v3, v11
	v_fmac_f32_e32 v6, v2, v10
	v_fmac_f32_e32 v6, v4, v12
	v_fmac_f32_e32 v6, v5, v13
	v_add_f32_e32 v33, v33, v6
	s_waitcnt vmcnt(3)
	v_mul_f32_e32 v6, v3, v15
	v_fmac_f32_e32 v6, v2, v14
	v_fmac_f32_e32 v6, v4, v16
	v_fmac_f32_e32 v6, v5, v17
	v_add_f32_e32 v36, v36, v6
	;; [unrolled: 6-line block ×3, first 2 shown]
	s_waitcnt vmcnt(1)
	v_mul_f32_e32 v6, v3, v23
	s_waitcnt vmcnt(0)
	v_mul_f32_e32 v3, v3, v27
	v_fmac_f32_e32 v6, v2, v22
	v_fmac_f32_e32 v3, v2, v26
	v_add_u32_e32 v30, 2, v30
	v_fmac_f32_e32 v7, v4, v8
	v_fmac_f32_e32 v6, v4, v24
	;; [unrolled: 1-line block ×3, first 2 shown]
	v_cmp_le_i32_e32 vcc, s21, v30
	v_fmac_f32_e32 v7, v5, v9
	v_fmac_f32_e32 v6, v5, v25
	;; [unrolled: 1-line block ×3, first 2 shown]
	s_or_b64 s[6:7], vcc, s[6:7]
	v_add_co_u32_e32 v38, vcc, 8, v38
	v_add_f32_e32 v32, v32, v7
	v_add_f32_e32 v34, v34, v6
	;; [unrolled: 1-line block ×3, first 2 shown]
	v_add_u32_e32 v45, 32, v45
	v_add_u32_e32 v46, 0x80, v46
	v_addc_co_u32_e32 v39, vcc, 0, v39, vcc
	s_andn2_b64 exec, exec, s[6:7]
	s_cbranch_execz .LBB39_55
.LBB39_43:                              ; =>This Inner Loop Header: Depth=1
	global_load_dword v2, v[38:39], off
	v_add_u32_e32 v50, -3, v45
	v_add_u32_e32 v52, -2, v45
	;; [unrolled: 1-line block ×3, first 2 shown]
	s_waitcnt vmcnt(0)
	v_mad_i64_i32 v[2:3], s[0:1], v2, s3, 0
	v_lshlrev_b64 v[2:3], 2, v[2:3]
	v_add_co_u32_e32 v26, vcc, s9, v2
	v_addc_co_u32_e32 v27, vcc, v31, v3, vcc
	v_add_co_u32_e32 v18, vcc, v26, v47
	v_addc_co_u32_e32 v19, vcc, 0, v27, vcc
	global_load_dwordx4 v[6:9], v[18:19], off
	ds_read_b128 v[2:5], v46
	v_cmp_eq_u32_e32 vcc, s13, v30
	s_and_saveexec_b64 s[10:11], vcc
	s_cbranch_execnz .LBB39_52
; %bb.44:                               ;   in Loop: Header=BB39_43 Depth=1
	s_or_b64 exec, exec, s[10:11]
	global_load_dwordx4 v[10:13], v[18:19], off offset:1024
	s_and_saveexec_b64 s[10:11], vcc
	s_cbranch_execnz .LBB39_53
.LBB39_45:                              ;   in Loop: Header=BB39_43 Depth=1
	s_or_b64 exec, exec, s[10:11]
	global_load_dwordx4 v[14:17], v[18:19], off offset:2048
	s_and_saveexec_b64 s[10:11], vcc
	s_cbranch_execnz .LBB39_54
.LBB39_46:                              ;   in Loop: Header=BB39_43 Depth=1
	s_or_b64 exec, exec, s[10:11]
	global_load_dwordx4 v[18:21], v[18:19], off offset:3072
	s_and_saveexec_b64 s[10:11], vcc
	s_cbranch_execz .LBB39_48
.LBB39_47:                              ;   in Loop: Header=BB39_43 Depth=1
	v_cmp_gt_i32_e64 s[0:1], s25, v50
	s_waitcnt vmcnt(0)
	v_cndmask_b32_e64 v18, 0, v18, s[0:1]
	v_cmp_gt_i32_e64 s[0:1], s25, v52
	v_cndmask_b32_e64 v19, 0, v19, s[0:1]
	v_cmp_gt_i32_e64 s[0:1], s25, v51
	;; [unrolled: 2-line block ×3, first 2 shown]
	v_cndmask_b32_e64 v21, 0, v21, s[0:1]
.LBB39_48:                              ;   in Loop: Header=BB39_43 Depth=1
	s_or_b64 exec, exec, s[10:11]
	v_add_co_u32_e64 v22, s[0:1], v26, v48
	v_addc_co_u32_e64 v23, s[0:1], 0, v27, s[0:1]
	global_load_dwordx4 v[22:25], v[22:23], off
	s_and_saveexec_b64 s[10:11], vcc
	s_cbranch_execz .LBB39_50
; %bb.49:                               ;   in Loop: Header=BB39_43 Depth=1
	v_cmp_gt_i32_e64 s[0:1], s25, v50
	s_waitcnt vmcnt(0)
	v_cndmask_b32_e64 v22, 0, v22, s[0:1]
	v_cmp_gt_i32_e64 s[0:1], s25, v52
	v_cndmask_b32_e64 v23, 0, v23, s[0:1]
	v_cmp_gt_i32_e64 s[0:1], s25, v51
	;; [unrolled: 2-line block ×3, first 2 shown]
	v_cndmask_b32_e64 v25, 0, v25, s[0:1]
.LBB39_50:                              ;   in Loop: Header=BB39_43 Depth=1
	s_or_b64 exec, exec, s[10:11]
	v_add_co_u32_e64 v26, s[0:1], v26, v49
	v_addc_co_u32_e64 v27, s[0:1], 0, v27, s[0:1]
	global_load_dwordx4 v[26:29], v[26:27], off
	s_and_saveexec_b64 s[0:1], vcc
	s_cbranch_execz .LBB39_42
; %bb.51:                               ;   in Loop: Header=BB39_43 Depth=1
	v_cmp_gt_i32_e32 vcc, s25, v50
	s_waitcnt vmcnt(0)
	v_cndmask_b32_e32 v26, 0, v26, vcc
	v_cmp_gt_i32_e32 vcc, s25, v52
	v_cndmask_b32_e32 v27, 0, v27, vcc
	v_cmp_gt_i32_e32 vcc, s25, v51
	;; [unrolled: 2-line block ×3, first 2 shown]
	v_cndmask_b32_e32 v29, 0, v29, vcc
	s_branch .LBB39_42
.LBB39_52:                              ;   in Loop: Header=BB39_43 Depth=1
	v_cmp_gt_i32_e64 s[0:1], s25, v50
	s_waitcnt vmcnt(0)
	v_cndmask_b32_e64 v6, 0, v6, s[0:1]
	v_cmp_gt_i32_e64 s[0:1], s25, v52
	v_cndmask_b32_e64 v7, 0, v7, s[0:1]
	v_cmp_gt_i32_e64 s[0:1], s25, v51
	;; [unrolled: 2-line block ×3, first 2 shown]
	v_cndmask_b32_e64 v9, 0, v9, s[0:1]
	s_or_b64 exec, exec, s[10:11]
	global_load_dwordx4 v[10:13], v[18:19], off offset:1024
	s_and_saveexec_b64 s[10:11], vcc
	s_cbranch_execz .LBB39_45
.LBB39_53:                              ;   in Loop: Header=BB39_43 Depth=1
	v_cmp_gt_i32_e64 s[0:1], s25, v50
	s_waitcnt vmcnt(0)
	v_cndmask_b32_e64 v10, 0, v10, s[0:1]
	v_cmp_gt_i32_e64 s[0:1], s25, v52
	v_cndmask_b32_e64 v11, 0, v11, s[0:1]
	v_cmp_gt_i32_e64 s[0:1], s25, v51
	;; [unrolled: 2-line block ×3, first 2 shown]
	v_cndmask_b32_e64 v13, 0, v13, s[0:1]
	s_or_b64 exec, exec, s[10:11]
	global_load_dwordx4 v[14:17], v[18:19], off offset:2048
	s_and_saveexec_b64 s[10:11], vcc
	s_cbranch_execz .LBB39_46
.LBB39_54:                              ;   in Loop: Header=BB39_43 Depth=1
	v_cmp_gt_i32_e64 s[0:1], s25, v50
	s_waitcnt vmcnt(0)
	v_cndmask_b32_e64 v14, 0, v14, s[0:1]
	v_cmp_gt_i32_e64 s[0:1], s25, v52
	v_cndmask_b32_e64 v15, 0, v15, s[0:1]
	v_cmp_gt_i32_e64 s[0:1], s25, v51
	;; [unrolled: 2-line block ×3, first 2 shown]
	v_cndmask_b32_e64 v17, 0, v17, s[0:1]
	s_or_b64 exec, exec, s[10:11]
	global_load_dwordx4 v[18:21], v[18:19], off offset:3072
	s_and_saveexec_b64 s[10:11], vcc
	s_cbranch_execnz .LBB39_47
	s_branch .LBB39_48
.LBB39_55:
	s_or_b64 exec, exec, s[6:7]
.LBB39_56:
	s_or_b64 exec, exec, s[4:5]
	ds_bpermute_b32 v2, v44, v32
	ds_bpermute_b32 v3, v44, v33
	;; [unrolled: 1-line block ×6, first 2 shown]
	s_waitcnt lgkmcnt(4)
	v_pk_add_f32 v[2:3], v[32:33], v[2:3]
	ds_bpermute_b32 v8, v43, v2
	ds_bpermute_b32 v9, v43, v3
	s_waitcnt lgkmcnt(4)
	v_pk_add_f32 v[4:5], v[36:37], v[4:5]
	s_waitcnt lgkmcnt(2)
	v_pk_add_f32 v[12:13], v[34:35], v[6:7]
	ds_bpermute_b32 v10, v43, v4
	ds_bpermute_b32 v11, v43, v5
	ds_bpermute_b32 v14, v43, v12
	ds_bpermute_b32 v15, v43, v13
	s_waitcnt lgkmcnt(4)
	v_pk_add_f32 v[6:7], v[2:3], v[8:9]
	v_and_b32_e32 v8, 0x3c3, v0
	s_waitcnt lgkmcnt(2)
	v_pk_add_f32 v[2:3], v[4:5], v[10:11]
	v_cmp_eq_u32_e32 vcc, 64, v8
	s_waitcnt lgkmcnt(0)
	v_pk_add_f32 v[4:5], v[12:13], v[14:15]
	s_barrier
	s_and_saveexec_b64 s[0:1], vcc
	s_cbranch_execz .LBB39_58
; %bb.57:
	v_add_u32_e32 v9, 0x190, v42
	ds_write2_b32 v9, v6, v7 offset1:16
	ds_write2_b32 v9, v2, v3 offset0:32 offset1:48
	ds_write2_b32 v9, v4, v5 offset0:64 offset1:80
.LBB39_58:
	s_or_b64 exec, exec, s[0:1]
	v_cmp_gt_u32_e32 vcc, 64, v0
	s_waitcnt lgkmcnt(0)
	s_barrier
	s_and_saveexec_b64 s[0:1], vcc
	s_cbranch_execz .LBB39_67
; %bb.59:
	v_cmp_eq_u32_e32 vcc, 0, v41
	s_and_saveexec_b64 s[4:5], vcc
	s_cbranch_execnz .LBB39_70
; %bb.60:
	s_or_b64 exec, exec, s[4:5]
	s_and_saveexec_b64 s[4:5], vcc
	s_cbranch_execnz .LBB39_71
.LBB39_61:
	s_or_b64 exec, exec, s[4:5]
	s_and_saveexec_b64 s[4:5], vcc
	s_cbranch_execnz .LBB39_72
.LBB39_62:
	s_or_b64 exec, exec, s[4:5]
	s_and_saveexec_b64 s[4:5], vcc
	s_cbranch_execnz .LBB39_73
.LBB39_63:
	s_or_b64 exec, exec, s[4:5]
	s_and_saveexec_b64 s[4:5], vcc
	s_cbranch_execnz .LBB39_74
.LBB39_64:
	s_or_b64 exec, exec, s[4:5]
	s_and_saveexec_b64 s[4:5], vcc
	s_cbranch_execz .LBB39_66
.LBB39_65:
	v_mov_b32_e32 v0, 0x190
	v_lshl_add_u32 v0, v40, 2, v0
	ds_read_b32 v0, v0 offset:320
	s_waitcnt lgkmcnt(0)
	v_add_f32_e32 v5, v5, v0
.LBB39_66:
	s_or_b64 exec, exec, s[4:5]
.LBB39_67:
	s_or_b64 exec, exec, s[0:1]
	v_cmp_eq_u32_e32 vcc, 0, v8
	s_barrier
	s_and_saveexec_b64 s[0:1], vcc
	s_cbranch_execz .LBB39_69
; %bb.68:
	s_mul_i32 s0, s2, 0x60
	s_ashr_i32 s1, s0, 31
	s_lshl_b64 s[0:1], s[0:1], 2
	s_add_u32 s2, s22, s0
	s_mul_i32 s0, s12, s20
	s_addc_u32 s3, s23, s1
	s_ashr_i32 s1, s0, 31
	s_lshl_b64 s[0:1], s[0:1], 2
	s_add_u32 s2, s2, s0
	s_mul_i32 s0, s8, 0x60
	s_addc_u32 s3, s3, s1
	s_ashr_i32 s1, s0, 31
	s_lshl_b64 s[0:1], s[0:1], 2
	s_add_u32 s0, s2, s0
	s_addc_u32 s1, s3, s1
	global_store_dword v1, v6, s[0:1]
	global_store_dword v1, v7, s[0:1] offset:64
	global_store_dword v1, v2, s[0:1] offset:128
	;; [unrolled: 1-line block ×5, first 2 shown]
.LBB39_69:
	s_endpgm
.LBB39_70:
	v_mov_b32_e32 v0, 0x190
	v_lshl_add_u32 v0, v40, 2, v0
	ds_read_b32 v0, v0
	s_waitcnt lgkmcnt(0)
	v_add_f32_e32 v6, v6, v0
	s_or_b64 exec, exec, s[4:5]
	s_and_saveexec_b64 s[4:5], vcc
	s_cbranch_execz .LBB39_61
.LBB39_71:
	v_mov_b32_e32 v0, 0x190
	v_lshl_add_u32 v0, v40, 2, v0
	ds_read_b32 v0, v0 offset:64
	s_waitcnt lgkmcnt(0)
	v_add_f32_e32 v7, v7, v0
	s_or_b64 exec, exec, s[4:5]
	s_and_saveexec_b64 s[4:5], vcc
	s_cbranch_execz .LBB39_62
.LBB39_72:
	v_mov_b32_e32 v0, 0x190
	v_lshl_add_u32 v0, v40, 2, v0
	ds_read_b32 v0, v0 offset:128
	s_waitcnt lgkmcnt(0)
	v_add_f32_e32 v2, v2, v0
	s_or_b64 exec, exec, s[4:5]
	s_and_saveexec_b64 s[4:5], vcc
	s_cbranch_execz .LBB39_63
.LBB39_73:
	v_mov_b32_e32 v0, 0x190
	v_lshl_add_u32 v0, v40, 2, v0
	ds_read_b32 v0, v0 offset:192
	s_waitcnt lgkmcnt(0)
	v_add_f32_e32 v3, v3, v0
	s_or_b64 exec, exec, s[4:5]
	s_and_saveexec_b64 s[4:5], vcc
	s_cbranch_execz .LBB39_64
.LBB39_74:
	v_mov_b32_e32 v0, 0x190
	v_lshl_add_u32 v0, v40, 2, v0
	ds_read_b32 v0, v0 offset:256
	s_waitcnt lgkmcnt(0)
	v_add_f32_e32 v4, v4, v0
	s_or_b64 exec, exec, s[4:5]
	s_and_saveexec_b64 s[4:5], vcc
	s_cbranch_execnz .LBB39_65
	s_branch .LBB39_66
	.section	.rodata,"a",@progbits
	.p2align	6, 0x0
	.amdhsa_kernel _ZN4vllm25paged_attention_v2_kernelIffLi96ELi16ELi128ELNS_18Fp8KVCacheDataTypeE0ELb0ELi512EEEvPfS2_PT_PKS3_PKT0_S9_ifPKiSB_iPKfiiiSD_SD_iiiii
		.amdhsa_group_segment_fixed_size 400
		.amdhsa_private_segment_fixed_size 0
		.amdhsa_kernarg_size 400
		.amdhsa_user_sgpr_count 6
		.amdhsa_user_sgpr_private_segment_buffer 1
		.amdhsa_user_sgpr_dispatch_ptr 0
		.amdhsa_user_sgpr_queue_ptr 0
		.amdhsa_user_sgpr_kernarg_segment_ptr 1
		.amdhsa_user_sgpr_dispatch_id 0
		.amdhsa_user_sgpr_flat_scratch_init 0
		.amdhsa_user_sgpr_kernarg_preload_length 0
		.amdhsa_user_sgpr_kernarg_preload_offset 0
		.amdhsa_user_sgpr_private_segment_size 0
		.amdhsa_uses_dynamic_stack 0
		.amdhsa_system_sgpr_private_segment_wavefront_offset 0
		.amdhsa_system_sgpr_workgroup_id_x 1
		.amdhsa_system_sgpr_workgroup_id_y 1
		.amdhsa_system_sgpr_workgroup_id_z 1
		.amdhsa_system_sgpr_workgroup_info 0
		.amdhsa_system_vgpr_workitem_id 0
		.amdhsa_next_free_vgpr 69
		.amdhsa_next_free_sgpr 43
		.amdhsa_accum_offset 72
		.amdhsa_reserve_vcc 1
		.amdhsa_reserve_flat_scratch 0
		.amdhsa_float_round_mode_32 0
		.amdhsa_float_round_mode_16_64 0
		.amdhsa_float_denorm_mode_32 3
		.amdhsa_float_denorm_mode_16_64 3
		.amdhsa_dx10_clamp 1
		.amdhsa_ieee_mode 1
		.amdhsa_fp16_overflow 0
		.amdhsa_tg_split 0
		.amdhsa_exception_fp_ieee_invalid_op 0
		.amdhsa_exception_fp_denorm_src 0
		.amdhsa_exception_fp_ieee_div_zero 0
		.amdhsa_exception_fp_ieee_overflow 0
		.amdhsa_exception_fp_ieee_underflow 0
		.amdhsa_exception_fp_ieee_inexact 0
		.amdhsa_exception_int_div_zero 0
	.end_amdhsa_kernel
	.section	.text._ZN4vllm25paged_attention_v2_kernelIffLi96ELi16ELi128ELNS_18Fp8KVCacheDataTypeE0ELb0ELi512EEEvPfS2_PT_PKS3_PKT0_S9_ifPKiSB_iPKfiiiSD_SD_iiiii,"axG",@progbits,_ZN4vllm25paged_attention_v2_kernelIffLi96ELi16ELi128ELNS_18Fp8KVCacheDataTypeE0ELb0ELi512EEEvPfS2_PT_PKS3_PKT0_S9_ifPKiSB_iPKfiiiSD_SD_iiiii,comdat
.Lfunc_end39:
	.size	_ZN4vllm25paged_attention_v2_kernelIffLi96ELi16ELi128ELNS_18Fp8KVCacheDataTypeE0ELb0ELi512EEEvPfS2_PT_PKS3_PKT0_S9_ifPKiSB_iPKfiiiSD_SD_iiiii, .Lfunc_end39-_ZN4vllm25paged_attention_v2_kernelIffLi96ELi16ELi128ELNS_18Fp8KVCacheDataTypeE0ELb0ELi512EEEvPfS2_PT_PKS3_PKT0_S9_ifPKiSB_iPKfiiiSD_SD_iiiii
                                        ; -- End function
	.section	.AMDGPU.csdata,"",@progbits
; Kernel info:
; codeLenInByte = 4792
; NumSgprs: 47
; NumVgprs: 69
; NumAgprs: 0
; TotalNumVgprs: 69
; ScratchSize: 0
; MemoryBound: 0
; FloatMode: 240
; IeeeMode: 1
; LDSByteSize: 400 bytes/workgroup (compile time only)
; SGPRBlocks: 5
; VGPRBlocks: 8
; NumSGPRsForWavesPerEU: 47
; NumVGPRsForWavesPerEU: 69
; AccumOffset: 72
; Occupancy: 7
; WaveLimiterHint : 1
; COMPUTE_PGM_RSRC2:SCRATCH_EN: 0
; COMPUTE_PGM_RSRC2:USER_SGPR: 6
; COMPUTE_PGM_RSRC2:TRAP_HANDLER: 0
; COMPUTE_PGM_RSRC2:TGID_X_EN: 1
; COMPUTE_PGM_RSRC2:TGID_Y_EN: 1
; COMPUTE_PGM_RSRC2:TGID_Z_EN: 1
; COMPUTE_PGM_RSRC2:TIDIG_COMP_CNT: 0
; COMPUTE_PGM_RSRC3_GFX90A:ACCUM_OFFSET: 17
; COMPUTE_PGM_RSRC3_GFX90A:TG_SPLIT: 0
	.section	.text._ZN4vllm25paged_attention_v2_kernelIffLi112ELi16ELi128ELNS_18Fp8KVCacheDataTypeE0ELb0ELi512EEEvPfS2_PT_PKS3_PKT0_S9_ifPKiSB_iPKfiiiSD_SD_iiiii,"axG",@progbits,_ZN4vllm25paged_attention_v2_kernelIffLi112ELi16ELi128ELNS_18Fp8KVCacheDataTypeE0ELb0ELi512EEEvPfS2_PT_PKS3_PKT0_S9_ifPKiSB_iPKfiiiSD_SD_iiiii,comdat
	.protected	_ZN4vllm25paged_attention_v2_kernelIffLi112ELi16ELi128ELNS_18Fp8KVCacheDataTypeE0ELb0ELi512EEEvPfS2_PT_PKS3_PKT0_S9_ifPKiSB_iPKfiiiSD_SD_iiiii ; -- Begin function _ZN4vllm25paged_attention_v2_kernelIffLi112ELi16ELi128ELNS_18Fp8KVCacheDataTypeE0ELb0ELi512EEEvPfS2_PT_PKS3_PKT0_S9_ifPKiSB_iPKfiiiSD_SD_iiiii
	.globl	_ZN4vllm25paged_attention_v2_kernelIffLi112ELi16ELi128ELNS_18Fp8KVCacheDataTypeE0ELb0ELi512EEEvPfS2_PT_PKS3_PKT0_S9_ifPKiSB_iPKfiiiSD_SD_iiiii
	.p2align	8
	.type	_ZN4vllm25paged_attention_v2_kernelIffLi112ELi16ELi128ELNS_18Fp8KVCacheDataTypeE0ELb0ELi512EEEvPfS2_PT_PKS3_PKT0_S9_ifPKiSB_iPKfiiiSD_SD_iiiii,@function
_ZN4vllm25paged_attention_v2_kernelIffLi112ELi16ELi128ELNS_18Fp8KVCacheDataTypeE0ELb0ELi512EEEvPfS2_PT_PKS3_PKT0_S9_ifPKiSB_iPKfiiiSD_SD_iiiii: ; @_ZN4vllm25paged_attention_v2_kernelIffLi112ELi16ELi128ELNS_18Fp8KVCacheDataTypeE0ELb0ELi512EEEvPfS2_PT_PKS3_PKT0_S9_ifPKiSB_iPKfiiiSD_SD_iiiii
; %bb.0:
	s_load_dwordx2 s[0:1], s[4:5], 0x40
	s_mov_b32 s24, s7
	s_ashr_i32 s25, s7, 31
	s_lshl_b64 s[2:3], s[24:25], 2
	s_waitcnt lgkmcnt(0)
	s_add_u32 s0, s0, s2
	s_addc_u32 s1, s1, s3
	s_load_dword s25, s[0:1], 0x0
	s_lshl_b32 s33, s8, 9
	s_waitcnt lgkmcnt(0)
	s_cmp_ge_i32 s33, s25
	s_cbranch_scc1 .LBB40_72
; %bb.1:
	s_load_dword s9, s[4:5], 0x90
	s_load_dwordx2 s[10:11], s[4:5], 0x30
	s_mov_b32 s40, 0
	s_waitcnt lgkmcnt(0)
	s_abs_i32 s2, s9
	s_abs_i32 s0, s10
	v_cvt_f32_u32_e32 v1, s0
	s_sub_i32 s3, 0, s0
	s_xor_b32 s1, s9, s10
	s_ashr_i32 s1, s1, 31
	v_rcp_iflag_f32_e32 v1, v1
	v_mul_f32_e32 v1, 0x4f7ffffe, v1
	v_cvt_u32_f32_e32 v1, v1
	v_readfirstlane_b32 s7, v1
	s_mul_i32 s3, s3, s7
	s_mul_hi_u32 s3, s7, s3
	s_add_i32 s7, s7, s3
	s_mul_hi_u32 s3, s2, s7
	s_mul_i32 s7, s3, s0
	s_sub_i32 s2, s2, s7
	s_add_i32 s10, s3, 1
	s_sub_i32 s7, s2, s0
	s_cmp_ge_u32 s2, s0
	s_cselect_b32 s3, s10, s3
	s_cselect_b32 s2, s7, s2
	s_add_i32 s7, s3, 1
	s_cmp_ge_u32 s2, s0
	s_cselect_b32 s0, s7, s3
	s_xor_b32 s0, s0, s1
	s_sub_i32 s10, s0, s1
	s_abs_i32 s2, s10
	v_cvt_f32_u32_e32 v1, s2
	s_load_dwordx2 s[0:1], s[4:5], 0x50
	s_sub_i32 s7, 0, s2
	s_abs_i32 s3, s6
	v_rcp_iflag_f32_e32 v1, v1
	v_mul_f32_e32 v1, 0x4f7ffffe, v1
	v_cvt_u32_f32_e32 v1, v1
	v_readfirstlane_b32 s12, v1
	s_mul_i32 s7, s7, s12
	s_mul_hi_u32 s7, s12, s7
	s_add_i32 s12, s12, s7
	s_waitcnt lgkmcnt(0)
	s_cmp_eq_u64 s[0:1], 0
	s_mul_hi_u32 s16, s3, s12
	s_cbranch_scc1 .LBB40_3
; %bb.2:
	s_ashr_i32 s7, s6, 31
	s_lshl_b64 s[12:13], s[6:7], 2
	s_add_u32 s0, s0, s12
	s_addc_u32 s1, s1, s13
	s_load_dword s40, s[0:1], 0x0
.LBB40_3:
	s_load_dwordx4 s[12:15], s[4:5], 0x58
	v_lshrrev_b32_e32 v44, 2, v0
	s_movk_i32 s7, 0x70
	s_ashr_i32 s17, s6, 31
	s_ashr_i32 s18, s10, 31
	v_and_b32_e32 v45, 3, v0
	s_mul_i32 s20, s6, 0x70
	v_cmp_gt_u32_e32 vcc, s7, v0
	v_lshlrev_b32_e32 v32, 2, v0
	v_lshlrev_b32_e32 v1, 2, v44
	s_and_saveexec_b64 s[0:1], vcc
	s_cbranch_execz .LBB40_5
; %bb.4:
	s_load_dwordx2 s[22:23], s[4:5], 0x18
	s_waitcnt lgkmcnt(0)
	s_mul_i32 s26, s24, s12
	s_ashr_i32 s27, s26, 31
	s_lshl_b64 s[26:27], s[26:27], 2
	v_mad_u32_u24 v3, v45, s7, v1
	s_add_u32 s10, s22, s26
	s_addc_u32 s12, s23, s27
	s_ashr_i32 s21, s20, 31
	s_lshl_b64 s[22:23], s[20:21], 2
	s_add_u32 s22, s10, s22
	s_addc_u32 s23, s12, s23
	global_load_dword v2, v32, s[22:23]
	s_waitcnt vmcnt(0)
	ds_write_b32 v3, v2
.LBB40_5:
	s_or_b64 exec, exec, s[0:1]
	s_add_i32 s0, s25, 15
	s_ashr_i32 s1, s0, 31
	s_lshr_b32 s1, s1, 28
	s_add_i32 s0, s0, s1
	s_lshl_b32 s10, s8, 5
	s_mul_i32 s1, s16, s2
	s_ashr_i32 s7, s0, 4
	s_add_i32 s0, s10, 32
	s_sub_i32 s1, s3, s1
	s_min_i32 s21, s0, s7
	s_xor_b32 s0, s17, s18
	s_add_i32 s3, s16, 1
	s_waitcnt lgkmcnt(0)
	s_sub_i32 s12, s1, s2
	s_cmp_ge_u32 s1, s2
	s_cselect_b32 s3, s3, s16
	s_cselect_b32 s1, s12, s1
	s_add_i32 s12, s3, 1
	s_cmp_ge_u32 s1, s2
	s_load_dwordx2 s[26:27], s[4:5], 0x38
	s_load_dword s2, s[4:5], 0x48
	v_lshrrev_b32_e32 v33, 6, v0
	s_cselect_b32 s1, s12, s3
	s_xor_b32 s1, s1, s0
	v_or_b32_e32 v34, s10, v33
	s_waitcnt lgkmcnt(0)
	s_mul_i32 s28, s24, s2
	s_sub_i32 s15, s1, s0
	s_ashr_i32 s29, s28, 31
	v_cmp_gt_i32_e64 s[0:1], s21, v34
	v_cmp_le_i32_e32 vcc, s21, v34
	v_mbcnt_lo_u32_b32 v30, -1, 0
	s_barrier
	s_waitcnt lgkmcnt(0)
                                        ; implicit-def: $sgpr36
                                        ; implicit-def: $vgpr36
                                        ; implicit-def: $vgpr37
	s_and_saveexec_b64 s[2:3], vcc
	s_xor_b64 s[2:3], exec, s[2:3]
; %bb.6:
	v_mbcnt_hi_u32_b32 v36, -1, v30
	v_and_b32_e32 v2, 64, v36
	v_add_u32_e32 v37, 64, v2
	s_mov_b32 s36, 0xff7fffff
                                        ; implicit-def: $vgpr30
; %bb.7:
	s_or_saveexec_b64 s[34:35], s[2:3]
	s_load_dwordx4 s[16:19], s[4:5], 0x0
	s_load_dwordx2 s[22:23], s[4:5], 0x10
	s_load_dwordx2 s[30:31], s[4:5], 0x28
	s_load_dword s12, s[4:5], 0x98
	v_mov_b32_e32 v40, s36
	s_mul_i32 s14, s15, s14
	v_ashrrev_i32_e32 v35, 31, v34
	s_xor_b64 exec, exec, s[34:35]
	s_cbranch_execz .LBB40_13
; %bb.8:
	s_load_dwordx2 s[2:3], s[4:5], 0x20
	s_ashr_i32 s15, s14, 31
	s_lshl_b64 s[4:5], s[14:15], 2
	v_bfe_u32 v31, v0, 2, 4
	v_lshlrev_b32_e32 v2, 4, v31
	s_waitcnt lgkmcnt(0)
	s_add_u32 s2, s2, s4
	s_addc_u32 s3, s3, s5
	v_mov_b32_e32 v3, s3
	v_add_co_u32_e32 v2, vcc, s2, v2
	v_addc_co_u32_e32 v3, vcc, 0, v3, vcc
	v_lshlrev_b32_e32 v4, 2, v45
	v_mbcnt_hi_u32_b32 v36, -1, v30
	v_add_co_u32_e32 v38, vcc, v2, v4
	v_and_b32_e32 v30, 64, v36
	v_addc_co_u32_e32 v39, vcc, 0, v3, vcc
	v_mul_u32_u24_e32 v26, 0x70, v45
	v_add_u32_e32 v37, 64, v30
	v_xor_b32_e32 v30, 2, v36
	ds_read_b128 v[2:5], v26
	ds_read_b128 v[6:9], v26 offset:16
	ds_read_b128 v[10:13], v26 offset:32
	ds_read_b128 v[14:17], v26 offset:48
	ds_read_b128 v[18:21], v26 offset:64
	ds_read_b128 v[22:25], v26 offset:80
	ds_read_b128 v[26:29], v26 offset:96
	v_cmp_lt_i32_e32 vcc, v30, v37
	v_cndmask_b32_e32 v30, v36, v30, vcc
	v_lshlrev_b32_e32 v41, 2, v30
	v_xor_b32_e32 v30, 1, v36
	v_cmp_lt_i32_e32 vcc, v30, v37
	v_cndmask_b32_e32 v30, v36, v30, vcc
	v_lshlrev_b32_e32 v40, 2, v31
	v_lshlrev_b32_e32 v42, 2, v30
	s_sub_i32 s15, 1, s25
	v_lshlrev_b32_e32 v30, 4, v33
	s_lshl_b64 s[4:5], s[28:29], 2
	v_add3_u32 v43, s33, v30, v31
	v_lshl_or_b32 v30, v33, 6, v40
	s_add_u32 s4, s26, s4
	v_add_u32_e32 v46, 0x1d0, v30
	v_lshlrev_b64 v[30:31], 2, v[34:35]
	s_addc_u32 s5, s27, s5
	v_mov_b32_e32 v40, s5
	v_add_co_u32_e64 v30, s[4:5], s4, v30
	s_mov_b32 s41, s13
	v_cmp_eq_u32_e32 vcc, 0, v45
	v_cmp_neq_f32_e64 s[2:3], s40, 0
	v_addc_co_u32_e64 v31, s[4:5], v40, v31, s[4:5]
	s_mov_b64 s[36:37], 0
	v_mov_b32_e32 v40, 0xff7fffff
	s_movk_i32 s42, 0x1000
	v_mov_b32_e32 v47, v34
	s_branch .LBB40_10
.LBB40_9:                               ;   in Loop: Header=BB40_10 Depth=1
	s_or_b64 exec, exec, s[38:39]
	v_add_u32_e32 v47, 2, v47
	v_cmp_le_i32_e64 s[4:5], s21, v47
	s_or_b64 s[36:37], s[4:5], s[36:37]
	v_add_co_u32_e64 v30, s[4:5], 8, v30
	v_add_u32_e32 v43, 32, v43
	v_add_u32_e32 v46, 0x80, v46
	v_addc_co_u32_e64 v31, s[4:5], 0, v31, s[4:5]
	s_andn2_b64 exec, exec, s[36:37]
	s_cbranch_execz .LBB40_12
.LBB40_10:                              ; =>This Inner Loop Header: Depth=1
	global_load_dword v48, v[30:31], off
	s_waitcnt vmcnt(0) lgkmcnt(0)
	v_mad_i64_i32 v[48:49], s[4:5], v48, s41, 0
	v_lshlrev_b64 v[48:49], 2, v[48:49]
	v_add_co_u32_e64 v48, s[4:5], v38, v48
	v_addc_co_u32_e64 v49, s[4:5], v39, v49, s[4:5]
	global_load_dword v50, v[48:49], off
	global_load_dword v51, v[48:49], off offset:256
	global_load_dword v52, v[48:49], off offset:512
	;; [unrolled: 1-line block ×15, first 2 shown]
	v_add_co_u32_e64 v48, s[4:5], s42, v48
	v_addc_co_u32_e64 v49, s[4:5], 0, v49, s[4:5]
	global_load_dword v66, v[48:49], off
	global_load_dword v67, v[48:49], off offset:256
	global_load_dword v68, v[48:49], off offset:512
	;; [unrolled: 1-line block ×10, first 2 shown]
	s_nop 0
	global_load_dword v48, v[48:49], off offset:2816
	s_waitcnt vmcnt(26) lgkmcnt(6)
	v_mul_f32_e32 v49, v3, v51
	v_fmac_f32_e32 v49, v2, v50
	s_waitcnt vmcnt(25)
	v_fmac_f32_e32 v49, v4, v52
	s_waitcnt vmcnt(24)
	v_fmac_f32_e32 v49, v5, v53
	s_waitcnt vmcnt(23) lgkmcnt(5)
	v_fmac_f32_e32 v49, v6, v54
	s_waitcnt vmcnt(22)
	v_fmac_f32_e32 v49, v7, v55
	s_waitcnt vmcnt(21)
	v_fmac_f32_e32 v49, v8, v56
	s_waitcnt vmcnt(20)
	v_fmac_f32_e32 v49, v9, v57
	s_waitcnt vmcnt(19) lgkmcnt(4)
	v_fmac_f32_e32 v49, v10, v58
	s_waitcnt vmcnt(18)
	;; [unrolled: 8-line block ×6, first 2 shown]
	v_fmac_f32_e32 v49, v27, v75
	s_waitcnt vmcnt(1)
	v_fmac_f32_e32 v49, v28, v76
	s_waitcnt vmcnt(0)
	v_fmac_f32_e32 v49, v29, v48
	ds_bpermute_b32 v48, v41, v49
	s_waitcnt lgkmcnt(0)
	v_add_f32_e32 v48, v49, v48
	ds_bpermute_b32 v49, v42, v48
	s_and_saveexec_b64 s[38:39], vcc
	s_cbranch_execz .LBB40_9
; %bb.11:                               ;   in Loop: Header=BB40_10 Depth=1
	v_add_u32_e32 v50, s15, v43
	v_cvt_f32_i32_e32 v50, v50
	s_waitcnt lgkmcnt(0)
	v_add_f32_e32 v48, v48, v49
	v_cmp_gt_i32_e64 s[4:5], s25, v43
	v_max_f32_e32 v49, v40, v40
	v_mul_f32_e32 v50, s40, v50
	v_cndmask_b32_e64 v50, 0, v50, s[2:3]
	v_fmac_f32_e32 v50, s11, v48
	v_cndmask_b32_e64 v48, 0, v50, s[4:5]
	ds_write_b32 v46, v48
	v_max_f32_e32 v48, v49, v50
	v_cndmask_b32_e64 v40, v40, v48, s[4:5]
	s_branch .LBB40_9
.LBB40_12:
	s_or_b64 exec, exec, s[36:37]
.LBB40_13:
	s_or_b64 exec, exec, s[34:35]
	v_xor_b32_e32 v2, 32, v36
	v_cmp_lt_i32_e32 vcc, v2, v37
	v_cndmask_b32_e32 v2, v36, v2, vcc
	v_lshlrev_b32_e32 v2, 2, v2
	ds_bpermute_b32 v3, v2, v40
	v_xor_b32_e32 v5, 16, v36
	v_max_f32_e32 v4, v40, v40
	v_cmp_lt_i32_e32 vcc, v5, v37
	v_xor_b32_e32 v6, 8, v36
	s_waitcnt lgkmcnt(0)
	v_max_f32_e32 v3, v3, v3
	v_max_f32_e32 v4, v4, v3
	v_cndmask_b32_e32 v3, v36, v5, vcc
	v_lshlrev_b32_e32 v3, 2, v3
	ds_bpermute_b32 v5, v3, v4
	v_cmp_lt_i32_e32 vcc, v6, v37
	v_and_b32_e32 v46, 63, v0
	s_waitcnt lgkmcnt(0)
	v_max_f32_e32 v5, v5, v5
	v_max_f32_e32 v4, v4, v5
	v_cndmask_b32_e32 v5, v36, v6, vcc
	v_lshlrev_b32_e32 v7, 2, v5
	ds_bpermute_b32 v5, v7, v4
	v_xor_b32_e32 v6, 4, v36
	v_cmp_lt_i32_e32 vcc, v6, v37
	s_waitcnt lgkmcnt(0)
	v_max_f32_e32 v5, v5, v5
	v_max_f32_e32 v4, v4, v5
	v_cndmask_b32_e32 v5, v36, v6, vcc
	v_lshlrev_b32_e32 v8, 2, v5
	ds_bpermute_b32 v6, v8, v4
	v_cmp_eq_u32_e32 vcc, 0, v46
	v_lshlrev_b32_e32 v5, 2, v33
	s_and_saveexec_b64 s[2:3], vcc
	s_cbranch_execz .LBB40_15
; %bb.14:
	s_waitcnt lgkmcnt(0)
	v_max_f32_e32 v6, v6, v6
	v_max_f32_e32 v4, v4, v4
	;; [unrolled: 1-line block ×3, first 2 shown]
	ds_write_b32 v5, v4 offset:448
.LBB40_15:
	s_or_b64 exec, exec, s[2:3]
	v_cmp_gt_u32_e64 s[2:3], 2, v46
	v_mov_b32_e32 v4, 0xff7fffff
	s_waitcnt lgkmcnt(0)
	v_lshlrev_b32_e32 v6, 2, v46
	s_barrier
	s_and_saveexec_b64 s[4:5], s[2:3]
	s_cbranch_execz .LBB40_17
; %bb.16:
	ds_read_b32 v4, v6 offset:448
.LBB40_17:
	s_or_b64 exec, exec, s[4:5]
	v_xor_b32_e32 v9, 1, v36
	v_cmp_lt_i32_e64 s[4:5], v9, v37
	v_cndmask_b32_e64 v9, v36, v9, s[4:5]
	v_lshlrev_b32_e32 v47, 2, v9
	s_waitcnt lgkmcnt(0)
	ds_bpermute_b32 v9, v47, v4
	v_max_f32_e32 v4, v4, v4
	s_sub_i32 s4, s21, s10
	s_lshl_b32 s4, s4, 4
	s_add_i32 s4, s4, s33
	s_waitcnt lgkmcnt(0)
	v_max_f32_e32 v9, v9, v9
	v_max_f32_e32 v4, v4, v9
	v_lshlrev_b32_e32 v9, 2, v36
	v_and_b32_e32 v9, 0xffffff00, v9
	ds_bpermute_b32 v4, v9, v4
	s_min_i32 s38, s4, s25
	s_sub_i32 s15, s38, s33
	v_cmp_gt_i32_e64 s[4:5], s15, v0
	v_mov_b32_e32 v10, 0
	s_and_saveexec_b64 s[34:35], s[4:5]
	s_cbranch_execz .LBB40_21
; %bb.18:
	v_mov_b32_e32 v10, 0x1d0
	v_lshl_add_u32 v11, v0, 2, v10
	s_mov_b64 s[36:37], 0
	v_mov_b32_e32 v10, 0
	v_mov_b32_e32 v12, v0
.LBB40_19:                              ; =>This Inner Loop Header: Depth=1
	ds_read_b32 v13, v11
	v_add_u32_e32 v12, 0x80, v12
	v_cmp_le_i32_e64 s[10:11], s15, v12
	s_or_b64 s[36:37], s[10:11], s[36:37]
	s_waitcnt lgkmcnt(0)
	v_sub_f32_e32 v13, v13, v4
	v_mul_f32_e32 v13, 0x3fb8aa3b, v13
	v_exp_f32_e32 v13, v13
	ds_write_b32 v11, v13
	v_add_f32_e32 v10, v10, v13
	v_add_u32_e32 v11, 0x200, v11
	s_andn2_b64 exec, exec, s[36:37]
	s_cbranch_execnz .LBB40_19
; %bb.20:
	s_or_b64 exec, exec, s[36:37]
.LBB40_21:
	s_or_b64 exec, exec, s[34:35]
	ds_bpermute_b32 v2, v2, v10
	s_waitcnt lgkmcnt(0)
	v_add_f32_e32 v2, v10, v2
	ds_bpermute_b32 v3, v3, v2
	s_waitcnt lgkmcnt(0)
	v_add_f32_e32 v2, v2, v3
	ds_bpermute_b32 v3, v7, v2
	v_xor_b32_e32 v7, 2, v36
	v_cmp_lt_i32_e64 s[10:11], v7, v37
	v_cndmask_b32_e64 v7, v36, v7, s[10:11]
	v_lshlrev_b32_e32 v48, 2, v7
	s_waitcnt lgkmcnt(0)
	v_add_f32_e32 v2, v2, v3
	ds_bpermute_b32 v3, v8, v2
	s_waitcnt lgkmcnt(0)
	v_add_f32_e32 v2, v2, v3
	ds_bpermute_b32 v3, v48, v2
	;; [unrolled: 3-line block ×3, first 2 shown]
	s_waitcnt lgkmcnt(0)
	v_add_f32_e32 v2, v2, v3
	s_and_saveexec_b64 s[10:11], vcc
	s_cbranch_execz .LBB40_23
; %bb.22:
	ds_write_b32 v5, v2 offset:456
.LBB40_23:
	s_or_b64 exec, exec, s[10:11]
	s_waitcnt lgkmcnt(0)
	s_barrier
	s_and_saveexec_b64 s[10:11], s[2:3]
	s_cbranch_execz .LBB40_25
; %bb.24:
	ds_read_b32 v2, v6 offset:456
.LBB40_25:
	s_or_b64 exec, exec, s[10:11]
	s_waitcnt lgkmcnt(0)
	ds_bpermute_b32 v3, v47, v2
	s_waitcnt lgkmcnt(0)
	v_add_f32_e32 v2, v2, v3
	ds_bpermute_b32 v5, v9, v2
	s_and_saveexec_b64 s[2:3], s[4:5]
	s_cbranch_execz .LBB40_38
; %bb.26:
	s_waitcnt lgkmcnt(0)
	v_add_f32_e32 v2, 0x358637bd, v5
	v_div_scale_f32 v3, s[4:5], v2, v2, 1.0
	v_rcp_f32_e32 v6, v3
	v_div_scale_f32 v7, vcc, 1.0, v2, 1.0
	s_movk_i32 s4, 0x7f
	v_fma_f32 v8, -v3, v6, 1.0
	v_fmac_f32_e32 v6, v8, v6
	v_mul_f32_e32 v8, v7, v6
	v_fma_f32 v9, -v3, v8, v7
	v_fmac_f32_e32 v8, v9, v6
	v_fma_f32 v3, -v3, v8, v7
	v_div_fmas_f32 v3, v3, v6, v8
	v_div_fixup_f32 v2, v3, v2, 1.0
	v_xad_u32 v3, v0, -1, s38
	v_subrev_u32_e32 v6, s33, v3
	v_cmp_lt_u32_e32 vcc, s4, v6
	s_mov_b64 s[10:11], -1
	v_mov_b32_e32 v3, v0
	s_and_saveexec_b64 s[4:5], vcc
	s_cbranch_execz .LBB40_35
; %bb.27:
	v_lshrrev_b32_e32 v6, 7, v6
	v_add_u32_e32 v8, -1, v6
	v_lshrrev_b32_e32 v7, 1, v8
	v_mov_b32_e32 v3, v2
	v_add_u32_e32 v7, 1, v7
	v_cmp_lt_u32_e32 vcc, 13, v8
	v_mov_b32_e32 v10, 0
	s_and_saveexec_b64 s[10:11], vcc
	s_cbranch_execz .LBB40_31
; %bb.28:
	v_mov_b32_e32 v9, 0x1d0
	v_and_b32_e32 v8, -8, v7
	v_lshl_add_u32 v9, v0, 2, v9
	s_mov_b32 s36, 0
	s_mov_b64 s[34:35], 0
.LBB40_29:                              ; =>This Inner Loop Header: Depth=1
	ds_read2st64_b32 v[10:11], v9 offset1:2
	ds_read2st64_b32 v[12:13], v9 offset0:4 offset1:6
	ds_read2st64_b32 v[14:15], v9 offset0:8 offset1:10
	;; [unrolled: 1-line block ×3, first 2 shown]
	v_add_u32_e32 v8, -8, v8
	s_waitcnt lgkmcnt(3)
	v_pk_mul_f32 v[10:11], v[2:3], v[10:11]
	s_waitcnt lgkmcnt(2)
	v_pk_mul_f32 v[12:13], v[2:3], v[12:13]
	ds_write2st64_b32 v9, v10, v11 offset1:2
	ds_write2st64_b32 v9, v12, v13 offset0:4 offset1:6
	ds_read2st64_b32 v[12:13], v9 offset0:16 offset1:18
	s_waitcnt lgkmcnt(4)
	v_pk_mul_f32 v[10:11], v[2:3], v[14:15]
	ds_write2st64_b32 v9, v10, v11 offset0:8 offset1:10
	s_waitcnt lgkmcnt(4)
	v_pk_mul_f32 v[10:11], v[2:3], v[16:17]
	ds_write2st64_b32 v9, v10, v11 offset0:12 offset1:14
	ds_read2st64_b32 v[10:11], v9 offset0:20 offset1:22
	s_waitcnt lgkmcnt(3)
	v_pk_mul_f32 v[12:13], v[2:3], v[12:13]
	ds_read2st64_b32 v[14:15], v9 offset0:24 offset1:26
	ds_write2st64_b32 v9, v12, v13 offset0:16 offset1:18
	ds_read2st64_b32 v[12:13], v9 offset0:28 offset1:30
	s_waitcnt lgkmcnt(3)
	v_pk_mul_f32 v[10:11], v[2:3], v[10:11]
	ds_write2st64_b32 v9, v10, v11 offset0:20 offset1:22
	s_waitcnt lgkmcnt(3)
	v_pk_mul_f32 v[10:11], v[2:3], v[14:15]
	ds_write2st64_b32 v9, v10, v11 offset0:24 offset1:26
	s_waitcnt lgkmcnt(2)
	v_pk_mul_f32 v[10:11], v[2:3], v[12:13]
	s_add_i32 s36, s36, 16
	v_cmp_eq_u32_e32 vcc, 0, v8
	ds_write2st64_b32 v9, v10, v11 offset0:28 offset1:30
	v_add_u32_e32 v9, 0x2000, v9
	s_or_b64 s[34:35], vcc, s[34:35]
	v_mov_b32_e32 v10, s36
	s_andn2_b64 exec, exec, s[34:35]
	s_cbranch_execnz .LBB40_29
; %bb.30:
	s_or_b64 exec, exec, s[34:35]
.LBB40_31:
	s_or_b64 exec, exec, s[10:11]
	v_and_b32_e32 v7, 7, v7
	v_cmp_ne_u32_e32 vcc, 0, v7
	s_and_saveexec_b64 s[10:11], vcc
	s_cbranch_execz .LBB40_34
; %bb.32:
	v_lshlrev_b32_e32 v8, 9, v10
	s_movk_i32 s34, 0x1d0
	v_add3_u32 v8, v8, v32, s34
	s_mov_b64 s[34:35], 0
.LBB40_33:                              ; =>This Inner Loop Header: Depth=1
	ds_read2st64_b32 v[10:11], v8 offset1:2
	v_add_u32_e32 v7, -1, v7
	v_cmp_eq_u32_e32 vcc, 0, v7
	s_or_b64 s[34:35], vcc, s[34:35]
	s_waitcnt lgkmcnt(0)
	v_pk_mul_f32 v[10:11], v[2:3], v[10:11]
	ds_write2st64_b32 v8, v10, v11 offset1:2
	v_add_u32_e32 v8, 0x400, v8
	s_andn2_b64 exec, exec, s[34:35]
	s_cbranch_execnz .LBB40_33
.LBB40_34:
	s_or_b64 exec, exec, s[10:11]
	v_add_u32_e32 v6, 1, v6
	v_and_b32_e32 v7, 0x3fffffe, v6
	v_cmp_ne_u32_e32 vcc, v6, v7
	v_lshl_add_u32 v3, v7, 7, v0
	s_orn2_b64 s[10:11], vcc, exec
.LBB40_35:
	s_or_b64 exec, exec, s[4:5]
	s_and_b64 exec, exec, s[10:11]
	s_cbranch_execz .LBB40_38
; %bb.36:
	v_mov_b32_e32 v6, 0x1d0
	v_lshl_add_u32 v6, v3, 2, v6
	s_mov_b64 s[4:5], 0
.LBB40_37:                              ; =>This Inner Loop Header: Depth=1
	ds_read_b32 v7, v6
	v_add_u32_e32 v3, 0x80, v3
	v_cmp_le_i32_e32 vcc, s15, v3
	s_or_b64 s[4:5], vcc, s[4:5]
	s_waitcnt lgkmcnt(0)
	v_mul_f32_e32 v7, v2, v7
	ds_write_b32 v6, v7
	v_add_u32_e32 v6, 0x200, v6
	s_andn2_b64 exec, exec, s[4:5]
	s_cbranch_execnz .LBB40_37
.LBB40_38:
	s_or_b64 exec, exec, s[2:3]
	s_mul_i32 s2, s12, s24
	v_cmp_eq_u32_e32 vcc, 0, v0
	s_mul_i32 s2, s2, s9
	s_waitcnt lgkmcnt(0)
	s_barrier
	s_and_saveexec_b64 s[4:5], vcc
	s_cbranch_execz .LBB40_40
; %bb.39:
	s_ashr_i32 s3, s2, 31
	s_lshl_b64 s[10:11], s[2:3], 2
	s_add_u32 s3, s18, s10
	s_mul_i32 s18, s12, s6
	s_addc_u32 s9, s19, s11
	s_ashr_i32 s19, s18, 31
	s_lshl_b64 s[18:19], s[18:19], 2
	s_add_u32 s3, s3, s18
	s_addc_u32 s6, s9, s19
	s_ashr_i32 s9, s8, 31
	s_lshl_b64 s[34:35], s[8:9], 2
	s_add_u32 s36, s3, s34
	s_addc_u32 s37, s6, s35
	s_add_u32 s3, s16, s10
	s_addc_u32 s6, s17, s11
	;; [unrolled: 2-line block ×3, first 2 shown]
	s_add_u32 s10, s3, s34
	v_mov_b32_e32 v2, 0
	s_addc_u32 s11, s6, s35
	global_store_dword v2, v4, s[36:37]
	global_store_dword v2, v5, s[10:11]
.LBB40_40:
	s_or_b64 exec, exec, s[4:5]
	v_mov_b32_e32 v49, 0
	v_mov_b32_e32 v39, 0
	;; [unrolled: 1-line block ×7, first 2 shown]
	s_and_saveexec_b64 s[4:5], s[0:1]
	s_cbranch_execz .LBB40_58
; %bb.41:
	s_ashr_i32 s15, s14, 31
	s_lshl_b64 s[0:1], s[14:15], 2
	s_add_u32 s9, s30, s0
	v_and_b32_e32 v3, 12, v32
	s_mov_b32 s3, s13
	s_addc_u32 s10, s31, s1
	s_add_i32 s13, s7, -1
	v_lshl_add_u32 v5, v33, 4, s33
	s_lshl_b64 s[0:1], s[28:29], 2
	v_add3_u32 v50, v5, v3, 3
	v_lshlrev_b32_e32 v3, 4, v45
	s_add_u32 s0, s26, s0
	v_and_b32_e32 v2, 0xfc, v32
	v_lshl_or_b32 v3, v33, 6, v3
	v_lshlrev_b64 v[10:11], 2, v[34:35]
	s_addc_u32 s1, s27, s1
	v_mov_b32_e32 v36, 0
	v_or_b32_e32 v4, 0x400, v2
	v_or_b32_e32 v6, 0x500, v2
	v_or_b32_e32 v8, 0x600, v2
	v_add_u32_e32 v51, 0x1d0, v3
	v_mov_b32_e32 v3, s1
	v_add_co_u32_e32 v42, vcc, s0, v10
	v_addc_co_u32_e32 v43, vcc, v3, v11, vcc
	s_mov_b64 s[6:7], 0
	v_mov_b32_e32 v35, s10
	v_lshlrev_b32_e32 v52, 2, v2
	v_lshlrev_b32_e32 v53, 2, v4
	;; [unrolled: 1-line block ×4, first 2 shown]
	v_mov_b32_e32 v37, v36
	v_mov_b32_e32 v40, v36
	;; [unrolled: 1-line block ×6, first 2 shown]
	s_branch .LBB40_43
.LBB40_42:                              ;   in Loop: Header=BB40_43 Depth=1
	s_or_b64 exec, exec, s[0:1]
	s_waitcnt vmcnt(6) lgkmcnt(0)
	v_mul_f32_e32 v7, v3, v7
	v_fmac_f32_e32 v7, v2, v6
	s_waitcnt vmcnt(5)
	v_mul_f32_e32 v6, v3, v11
	v_fmac_f32_e32 v6, v2, v10
	v_fmac_f32_e32 v6, v4, v12
	v_fmac_f32_e32 v6, v5, v13
	v_add_f32_e32 v37, v37, v6
	s_waitcnt vmcnt(4)
	v_mul_f32_e32 v6, v3, v15
	v_fmac_f32_e32 v6, v2, v14
	v_fmac_f32_e32 v6, v4, v16
	v_fmac_f32_e32 v6, v5, v17
	v_add_f32_e32 v40, v40, v6
	;; [unrolled: 6-line block ×4, first 2 shown]
	s_waitcnt vmcnt(1)
	v_mul_f32_e32 v6, v3, v27
	s_waitcnt vmcnt(0)
	v_mul_f32_e32 v3, v3, v31
	v_fmac_f32_e32 v6, v2, v26
	v_fmac_f32_e32 v3, v2, v30
	v_add_u32_e32 v34, 2, v34
	v_fmac_f32_e32 v7, v4, v8
	v_fmac_f32_e32 v6, v4, v28
	;; [unrolled: 1-line block ×3, first 2 shown]
	v_cmp_le_i32_e32 vcc, s21, v34
	v_fmac_f32_e32 v7, v5, v9
	v_fmac_f32_e32 v6, v5, v29
	;; [unrolled: 1-line block ×3, first 2 shown]
	s_or_b64 s[6:7], vcc, s[6:7]
	v_add_co_u32_e32 v42, vcc, 8, v42
	v_add_f32_e32 v36, v36, v7
	v_add_f32_e32 v39, v39, v6
	;; [unrolled: 1-line block ×3, first 2 shown]
	v_add_u32_e32 v50, 32, v50
	v_add_u32_e32 v51, 0x80, v51
	v_addc_co_u32_e32 v43, vcc, 0, v43, vcc
	s_andn2_b64 exec, exec, s[6:7]
	s_cbranch_execz .LBB40_57
.LBB40_43:                              ; =>This Inner Loop Header: Depth=1
	global_load_dword v2, v[42:43], off
	v_add_u32_e32 v56, -3, v50
	v_add_u32_e32 v58, -2, v50
	;; [unrolled: 1-line block ×3, first 2 shown]
	s_waitcnt vmcnt(0)
	v_mad_i64_i32 v[2:3], s[0:1], v2, s3, 0
	v_lshlrev_b64 v[2:3], 2, v[2:3]
	v_add_co_u32_e32 v30, vcc, s9, v2
	v_addc_co_u32_e32 v31, vcc, v35, v3, vcc
	v_add_co_u32_e32 v18, vcc, v30, v52
	v_addc_co_u32_e32 v19, vcc, 0, v31, vcc
	global_load_dwordx4 v[6:9], v[18:19], off
	ds_read_b128 v[2:5], v51
	v_cmp_eq_u32_e32 vcc, s13, v34
	s_and_saveexec_b64 s[10:11], vcc
	s_cbranch_execnz .LBB40_54
; %bb.44:                               ;   in Loop: Header=BB40_43 Depth=1
	s_or_b64 exec, exec, s[10:11]
	global_load_dwordx4 v[10:13], v[18:19], off offset:1024
	s_and_saveexec_b64 s[10:11], vcc
	s_cbranch_execnz .LBB40_55
.LBB40_45:                              ;   in Loop: Header=BB40_43 Depth=1
	s_or_b64 exec, exec, s[10:11]
	global_load_dwordx4 v[14:17], v[18:19], off offset:2048
	s_and_saveexec_b64 s[10:11], vcc
	s_cbranch_execnz .LBB40_56
.LBB40_46:                              ;   in Loop: Header=BB40_43 Depth=1
	s_or_b64 exec, exec, s[10:11]
	global_load_dwordx4 v[18:21], v[18:19], off offset:3072
	s_and_saveexec_b64 s[10:11], vcc
	s_cbranch_execz .LBB40_48
.LBB40_47:                              ;   in Loop: Header=BB40_43 Depth=1
	v_cmp_gt_i32_e64 s[0:1], s25, v56
	s_waitcnt vmcnt(0)
	v_cndmask_b32_e64 v18, 0, v18, s[0:1]
	v_cmp_gt_i32_e64 s[0:1], s25, v58
	v_cndmask_b32_e64 v19, 0, v19, s[0:1]
	v_cmp_gt_i32_e64 s[0:1], s25, v57
	;; [unrolled: 2-line block ×3, first 2 shown]
	v_cndmask_b32_e64 v21, 0, v21, s[0:1]
.LBB40_48:                              ;   in Loop: Header=BB40_43 Depth=1
	s_or_b64 exec, exec, s[10:11]
	v_add_co_u32_e64 v22, s[0:1], v30, v53
	v_addc_co_u32_e64 v23, s[0:1], 0, v31, s[0:1]
	global_load_dwordx4 v[22:25], v[22:23], off
	s_and_saveexec_b64 s[10:11], vcc
	s_cbranch_execz .LBB40_50
; %bb.49:                               ;   in Loop: Header=BB40_43 Depth=1
	v_cmp_gt_i32_e64 s[0:1], s25, v56
	s_waitcnt vmcnt(0)
	v_cndmask_b32_e64 v22, 0, v22, s[0:1]
	v_cmp_gt_i32_e64 s[0:1], s25, v58
	v_cndmask_b32_e64 v23, 0, v23, s[0:1]
	v_cmp_gt_i32_e64 s[0:1], s25, v57
	;; [unrolled: 2-line block ×3, first 2 shown]
	v_cndmask_b32_e64 v25, 0, v25, s[0:1]
.LBB40_50:                              ;   in Loop: Header=BB40_43 Depth=1
	s_or_b64 exec, exec, s[10:11]
	v_add_co_u32_e64 v26, s[0:1], v30, v54
	v_addc_co_u32_e64 v27, s[0:1], 0, v31, s[0:1]
	global_load_dwordx4 v[26:29], v[26:27], off
	s_and_saveexec_b64 s[10:11], vcc
	s_cbranch_execz .LBB40_52
; %bb.51:                               ;   in Loop: Header=BB40_43 Depth=1
	v_cmp_gt_i32_e64 s[0:1], s25, v56
	s_waitcnt vmcnt(0)
	v_cndmask_b32_e64 v26, 0, v26, s[0:1]
	v_cmp_gt_i32_e64 s[0:1], s25, v58
	v_cndmask_b32_e64 v27, 0, v27, s[0:1]
	v_cmp_gt_i32_e64 s[0:1], s25, v57
	;; [unrolled: 2-line block ×3, first 2 shown]
	v_cndmask_b32_e64 v29, 0, v29, s[0:1]
.LBB40_52:                              ;   in Loop: Header=BB40_43 Depth=1
	s_or_b64 exec, exec, s[10:11]
	v_add_co_u32_e64 v30, s[0:1], v30, v55
	v_addc_co_u32_e64 v31, s[0:1], 0, v31, s[0:1]
	global_load_dwordx4 v[30:33], v[30:31], off
	s_and_saveexec_b64 s[0:1], vcc
	s_cbranch_execz .LBB40_42
; %bb.53:                               ;   in Loop: Header=BB40_43 Depth=1
	v_cmp_gt_i32_e32 vcc, s25, v56
	s_waitcnt vmcnt(0)
	v_cndmask_b32_e32 v30, 0, v30, vcc
	v_cmp_gt_i32_e32 vcc, s25, v58
	v_cndmask_b32_e32 v31, 0, v31, vcc
	v_cmp_gt_i32_e32 vcc, s25, v57
	;; [unrolled: 2-line block ×3, first 2 shown]
	v_cndmask_b32_e32 v33, 0, v33, vcc
	s_branch .LBB40_42
.LBB40_54:                              ;   in Loop: Header=BB40_43 Depth=1
	v_cmp_gt_i32_e64 s[0:1], s25, v56
	s_waitcnt vmcnt(0)
	v_cndmask_b32_e64 v6, 0, v6, s[0:1]
	v_cmp_gt_i32_e64 s[0:1], s25, v58
	v_cndmask_b32_e64 v7, 0, v7, s[0:1]
	v_cmp_gt_i32_e64 s[0:1], s25, v57
	;; [unrolled: 2-line block ×3, first 2 shown]
	v_cndmask_b32_e64 v9, 0, v9, s[0:1]
	s_or_b64 exec, exec, s[10:11]
	global_load_dwordx4 v[10:13], v[18:19], off offset:1024
	s_and_saveexec_b64 s[10:11], vcc
	s_cbranch_execz .LBB40_45
.LBB40_55:                              ;   in Loop: Header=BB40_43 Depth=1
	v_cmp_gt_i32_e64 s[0:1], s25, v56
	s_waitcnt vmcnt(0)
	v_cndmask_b32_e64 v10, 0, v10, s[0:1]
	v_cmp_gt_i32_e64 s[0:1], s25, v58
	v_cndmask_b32_e64 v11, 0, v11, s[0:1]
	v_cmp_gt_i32_e64 s[0:1], s25, v57
	;; [unrolled: 2-line block ×3, first 2 shown]
	v_cndmask_b32_e64 v13, 0, v13, s[0:1]
	s_or_b64 exec, exec, s[10:11]
	global_load_dwordx4 v[14:17], v[18:19], off offset:2048
	s_and_saveexec_b64 s[10:11], vcc
	s_cbranch_execz .LBB40_46
.LBB40_56:                              ;   in Loop: Header=BB40_43 Depth=1
	v_cmp_gt_i32_e64 s[0:1], s25, v56
	s_waitcnt vmcnt(0)
	v_cndmask_b32_e64 v14, 0, v14, s[0:1]
	v_cmp_gt_i32_e64 s[0:1], s25, v58
	v_cndmask_b32_e64 v15, 0, v15, s[0:1]
	v_cmp_gt_i32_e64 s[0:1], s25, v57
	;; [unrolled: 2-line block ×3, first 2 shown]
	v_cndmask_b32_e64 v17, 0, v17, s[0:1]
	s_or_b64 exec, exec, s[10:11]
	global_load_dwordx4 v[18:21], v[18:19], off offset:3072
	s_and_saveexec_b64 s[10:11], vcc
	s_cbranch_execnz .LBB40_47
	s_branch .LBB40_48
.LBB40_57:
	s_or_b64 exec, exec, s[6:7]
.LBB40_58:
	s_or_b64 exec, exec, s[4:5]
	ds_bpermute_b32 v2, v48, v36
	ds_bpermute_b32 v3, v48, v37
	;; [unrolled: 1-line block ×7, first 2 shown]
	s_waitcnt lgkmcnt(5)
	v_pk_add_f32 v[2:3], v[36:37], v[2:3]
	ds_bpermute_b32 v6, v47, v2
	ds_bpermute_b32 v7, v47, v3
	s_waitcnt lgkmcnt(5)
	v_pk_add_f32 v[4:5], v[40:41], v[4:5]
	s_waitcnt lgkmcnt(3)
	v_pk_add_f32 v[12:13], v[38:39], v[8:9]
	s_waitcnt lgkmcnt(2)
	v_add_f32_e32 v16, v49, v16
	ds_bpermute_b32 v10, v47, v4
	ds_bpermute_b32 v11, v47, v5
	;; [unrolled: 1-line block ×5, first 2 shown]
	s_waitcnt lgkmcnt(5)
	v_pk_add_f32 v[8:9], v[2:3], v[6:7]
	v_and_b32_e32 v7, 0x3c3, v0
	s_waitcnt lgkmcnt(3)
	v_pk_add_f32 v[4:5], v[4:5], v[10:11]
	s_waitcnt lgkmcnt(1)
	v_pk_add_f32 v[2:3], v[12:13], v[14:15]
	s_waitcnt lgkmcnt(0)
	v_add_f32_e32 v6, v16, v17
	v_cmp_eq_u32_e32 vcc, 64, v7
	s_barrier
	s_and_saveexec_b64 s[0:1], vcc
	s_cbranch_execz .LBB40_60
; %bb.59:
	v_add_u32_e32 v10, 0x1d0, v46
	ds_write2_b32 v10, v8, v9 offset1:16
	ds_write2_b32 v10, v4, v5 offset0:32 offset1:48
	ds_write2_b32 v10, v2, v3 offset0:64 offset1:80
	ds_write_b32 v10, v6 offset:384
.LBB40_60:
	s_or_b64 exec, exec, s[0:1]
	v_cmp_gt_u32_e32 vcc, 64, v0
	s_waitcnt lgkmcnt(0)
	s_barrier
	s_and_saveexec_b64 s[0:1], vcc
	s_cbranch_execz .LBB40_70
; %bb.61:
	v_cmp_eq_u32_e32 vcc, 0, v45
	s_and_saveexec_b64 s[4:5], vcc
	s_cbranch_execnz .LBB40_73
; %bb.62:
	s_or_b64 exec, exec, s[4:5]
	s_and_saveexec_b64 s[4:5], vcc
	s_cbranch_execnz .LBB40_74
.LBB40_63:
	s_or_b64 exec, exec, s[4:5]
	s_and_saveexec_b64 s[4:5], vcc
	s_cbranch_execnz .LBB40_75
.LBB40_64:
	s_or_b64 exec, exec, s[4:5]
	s_and_saveexec_b64 s[4:5], vcc
	s_cbranch_execnz .LBB40_76
.LBB40_65:
	s_or_b64 exec, exec, s[4:5]
	s_and_saveexec_b64 s[4:5], vcc
	s_cbranch_execnz .LBB40_77
.LBB40_66:
	s_or_b64 exec, exec, s[4:5]
	s_and_saveexec_b64 s[4:5], vcc
	s_cbranch_execnz .LBB40_78
.LBB40_67:
	s_or_b64 exec, exec, s[4:5]
	s_and_saveexec_b64 s[4:5], vcc
	s_cbranch_execz .LBB40_69
.LBB40_68:
	v_mov_b32_e32 v0, 0x1d0
	v_lshl_add_u32 v0, v44, 2, v0
	ds_read_b32 v0, v0 offset:384
	s_waitcnt lgkmcnt(0)
	v_add_f32_e32 v6, v6, v0
.LBB40_69:
	s_or_b64 exec, exec, s[4:5]
.LBB40_70:
	s_or_b64 exec, exec, s[0:1]
	v_cmp_eq_u32_e32 vcc, 0, v7
	s_barrier
	s_and_saveexec_b64 s[0:1], vcc
	s_cbranch_execz .LBB40_72
; %bb.71:
	s_mul_i32 s0, s2, 0x70
	s_ashr_i32 s1, s0, 31
	s_lshl_b64 s[0:1], s[0:1], 2
	s_add_u32 s2, s22, s0
	s_mul_i32 s0, s12, s20
	s_addc_u32 s3, s23, s1
	s_ashr_i32 s1, s0, 31
	s_lshl_b64 s[0:1], s[0:1], 2
	s_add_u32 s2, s2, s0
	s_mul_i32 s0, s8, 0x70
	s_addc_u32 s3, s3, s1
	s_ashr_i32 s1, s0, 31
	s_lshl_b64 s[0:1], s[0:1], 2
	s_add_u32 s0, s2, s0
	s_addc_u32 s1, s3, s1
	global_store_dword v1, v8, s[0:1]
	global_store_dword v1, v9, s[0:1] offset:64
	global_store_dword v1, v4, s[0:1] offset:128
	global_store_dword v1, v5, s[0:1] offset:192
	global_store_dword v1, v2, s[0:1] offset:256
	global_store_dword v1, v3, s[0:1] offset:320
	global_store_dword v1, v6, s[0:1] offset:384
.LBB40_72:
	s_endpgm
.LBB40_73:
	v_mov_b32_e32 v0, 0x1d0
	v_lshl_add_u32 v0, v44, 2, v0
	ds_read_b32 v0, v0
	s_waitcnt lgkmcnt(0)
	v_add_f32_e32 v8, v8, v0
	s_or_b64 exec, exec, s[4:5]
	s_and_saveexec_b64 s[4:5], vcc
	s_cbranch_execz .LBB40_63
.LBB40_74:
	v_mov_b32_e32 v0, 0x1d0
	v_lshl_add_u32 v0, v44, 2, v0
	ds_read_b32 v0, v0 offset:64
	s_waitcnt lgkmcnt(0)
	v_add_f32_e32 v9, v9, v0
	s_or_b64 exec, exec, s[4:5]
	s_and_saveexec_b64 s[4:5], vcc
	s_cbranch_execz .LBB40_64
.LBB40_75:
	v_mov_b32_e32 v0, 0x1d0
	v_lshl_add_u32 v0, v44, 2, v0
	ds_read_b32 v0, v0 offset:128
	s_waitcnt lgkmcnt(0)
	v_add_f32_e32 v4, v4, v0
	s_or_b64 exec, exec, s[4:5]
	s_and_saveexec_b64 s[4:5], vcc
	s_cbranch_execz .LBB40_65
.LBB40_76:
	v_mov_b32_e32 v0, 0x1d0
	v_lshl_add_u32 v0, v44, 2, v0
	ds_read_b32 v0, v0 offset:192
	s_waitcnt lgkmcnt(0)
	v_add_f32_e32 v5, v5, v0
	s_or_b64 exec, exec, s[4:5]
	s_and_saveexec_b64 s[4:5], vcc
	s_cbranch_execz .LBB40_66
.LBB40_77:
	v_mov_b32_e32 v0, 0x1d0
	v_lshl_add_u32 v0, v44, 2, v0
	ds_read_b32 v0, v0 offset:256
	s_waitcnt lgkmcnt(0)
	v_add_f32_e32 v2, v2, v0
	s_or_b64 exec, exec, s[4:5]
	s_and_saveexec_b64 s[4:5], vcc
	s_cbranch_execz .LBB40_67
.LBB40_78:
	v_mov_b32_e32 v0, 0x1d0
	v_lshl_add_u32 v0, v44, 2, v0
	ds_read_b32 v0, v0 offset:320
	s_waitcnt lgkmcnt(0)
	v_add_f32_e32 v3, v3, v0
	s_or_b64 exec, exec, s[4:5]
	s_and_saveexec_b64 s[4:5], vcc
	s_cbranch_execnz .LBB40_68
	s_branch .LBB40_69
	.section	.rodata,"a",@progbits
	.p2align	6, 0x0
	.amdhsa_kernel _ZN4vllm25paged_attention_v2_kernelIffLi112ELi16ELi128ELNS_18Fp8KVCacheDataTypeE0ELb0ELi512EEEvPfS2_PT_PKS3_PKT0_S9_ifPKiSB_iPKfiiiSD_SD_iiiii
		.amdhsa_group_segment_fixed_size 464
		.amdhsa_private_segment_fixed_size 0
		.amdhsa_kernarg_size 400
		.amdhsa_user_sgpr_count 6
		.amdhsa_user_sgpr_private_segment_buffer 1
		.amdhsa_user_sgpr_dispatch_ptr 0
		.amdhsa_user_sgpr_queue_ptr 0
		.amdhsa_user_sgpr_kernarg_segment_ptr 1
		.amdhsa_user_sgpr_dispatch_id 0
		.amdhsa_user_sgpr_flat_scratch_init 0
		.amdhsa_user_sgpr_kernarg_preload_length 0
		.amdhsa_user_sgpr_kernarg_preload_offset 0
		.amdhsa_user_sgpr_private_segment_size 0
		.amdhsa_uses_dynamic_stack 0
		.amdhsa_system_sgpr_private_segment_wavefront_offset 0
		.amdhsa_system_sgpr_workgroup_id_x 1
		.amdhsa_system_sgpr_workgroup_id_y 1
		.amdhsa_system_sgpr_workgroup_id_z 1
		.amdhsa_system_sgpr_workgroup_info 0
		.amdhsa_system_vgpr_workitem_id 0
		.amdhsa_next_free_vgpr 77
		.amdhsa_next_free_sgpr 43
		.amdhsa_accum_offset 80
		.amdhsa_reserve_vcc 1
		.amdhsa_reserve_flat_scratch 0
		.amdhsa_float_round_mode_32 0
		.amdhsa_float_round_mode_16_64 0
		.amdhsa_float_denorm_mode_32 3
		.amdhsa_float_denorm_mode_16_64 3
		.amdhsa_dx10_clamp 1
		.amdhsa_ieee_mode 1
		.amdhsa_fp16_overflow 0
		.amdhsa_tg_split 0
		.amdhsa_exception_fp_ieee_invalid_op 0
		.amdhsa_exception_fp_denorm_src 0
		.amdhsa_exception_fp_ieee_div_zero 0
		.amdhsa_exception_fp_ieee_overflow 0
		.amdhsa_exception_fp_ieee_underflow 0
		.amdhsa_exception_fp_ieee_inexact 0
		.amdhsa_exception_int_div_zero 0
	.end_amdhsa_kernel
	.section	.text._ZN4vllm25paged_attention_v2_kernelIffLi112ELi16ELi128ELNS_18Fp8KVCacheDataTypeE0ELb0ELi512EEEvPfS2_PT_PKS3_PKT0_S9_ifPKiSB_iPKfiiiSD_SD_iiiii,"axG",@progbits,_ZN4vllm25paged_attention_v2_kernelIffLi112ELi16ELi128ELNS_18Fp8KVCacheDataTypeE0ELb0ELi512EEEvPfS2_PT_PKS3_PKT0_S9_ifPKiSB_iPKfiiiSD_SD_iiiii,comdat
.Lfunc_end40:
	.size	_ZN4vllm25paged_attention_v2_kernelIffLi112ELi16ELi128ELNS_18Fp8KVCacheDataTypeE0ELb0ELi512EEEvPfS2_PT_PKS3_PKT0_S9_ifPKiSB_iPKfiiiSD_SD_iiiii, .Lfunc_end40-_ZN4vllm25paged_attention_v2_kernelIffLi112ELi16ELi128ELNS_18Fp8KVCacheDataTypeE0ELb0ELi512EEEvPfS2_PT_PKS3_PKT0_S9_ifPKiSB_iPKfiiiSD_SD_iiiii
                                        ; -- End function
	.section	.AMDGPU.csdata,"",@progbits
; Kernel info:
; codeLenInByte = 5116
; NumSgprs: 47
; NumVgprs: 77
; NumAgprs: 0
; TotalNumVgprs: 77
; ScratchSize: 0
; MemoryBound: 0
; FloatMode: 240
; IeeeMode: 1
; LDSByteSize: 464 bytes/workgroup (compile time only)
; SGPRBlocks: 5
; VGPRBlocks: 9
; NumSGPRsForWavesPerEU: 47
; NumVGPRsForWavesPerEU: 77
; AccumOffset: 80
; Occupancy: 6
; WaveLimiterHint : 1
; COMPUTE_PGM_RSRC2:SCRATCH_EN: 0
; COMPUTE_PGM_RSRC2:USER_SGPR: 6
; COMPUTE_PGM_RSRC2:TRAP_HANDLER: 0
; COMPUTE_PGM_RSRC2:TGID_X_EN: 1
; COMPUTE_PGM_RSRC2:TGID_Y_EN: 1
; COMPUTE_PGM_RSRC2:TGID_Z_EN: 1
; COMPUTE_PGM_RSRC2:TIDIG_COMP_CNT: 0
; COMPUTE_PGM_RSRC3_GFX90A:ACCUM_OFFSET: 19
; COMPUTE_PGM_RSRC3_GFX90A:TG_SPLIT: 0
	.section	.text._ZN4vllm25paged_attention_v2_kernelIffLi120ELi16ELi128ELNS_18Fp8KVCacheDataTypeE0ELb0ELi512EEEvPfS2_PT_PKS3_PKT0_S9_ifPKiSB_iPKfiiiSD_SD_iiiii,"axG",@progbits,_ZN4vllm25paged_attention_v2_kernelIffLi120ELi16ELi128ELNS_18Fp8KVCacheDataTypeE0ELb0ELi512EEEvPfS2_PT_PKS3_PKT0_S9_ifPKiSB_iPKfiiiSD_SD_iiiii,comdat
	.protected	_ZN4vllm25paged_attention_v2_kernelIffLi120ELi16ELi128ELNS_18Fp8KVCacheDataTypeE0ELb0ELi512EEEvPfS2_PT_PKS3_PKT0_S9_ifPKiSB_iPKfiiiSD_SD_iiiii ; -- Begin function _ZN4vllm25paged_attention_v2_kernelIffLi120ELi16ELi128ELNS_18Fp8KVCacheDataTypeE0ELb0ELi512EEEvPfS2_PT_PKS3_PKT0_S9_ifPKiSB_iPKfiiiSD_SD_iiiii
	.globl	_ZN4vllm25paged_attention_v2_kernelIffLi120ELi16ELi128ELNS_18Fp8KVCacheDataTypeE0ELb0ELi512EEEvPfS2_PT_PKS3_PKT0_S9_ifPKiSB_iPKfiiiSD_SD_iiiii
	.p2align	8
	.type	_ZN4vllm25paged_attention_v2_kernelIffLi120ELi16ELi128ELNS_18Fp8KVCacheDataTypeE0ELb0ELi512EEEvPfS2_PT_PKS3_PKT0_S9_ifPKiSB_iPKfiiiSD_SD_iiiii,@function
_ZN4vllm25paged_attention_v2_kernelIffLi120ELi16ELi128ELNS_18Fp8KVCacheDataTypeE0ELb0ELi512EEEvPfS2_PT_PKS3_PKT0_S9_ifPKiSB_iPKfiiiSD_SD_iiiii: ; @_ZN4vllm25paged_attention_v2_kernelIffLi120ELi16ELi128ELNS_18Fp8KVCacheDataTypeE0ELb0ELi512EEEvPfS2_PT_PKS3_PKT0_S9_ifPKiSB_iPKfiiiSD_SD_iiiii
; %bb.0:
	s_load_dwordx2 s[0:1], s[4:5], 0x40
	s_mov_b32 s24, s7
	s_ashr_i32 s25, s7, 31
	s_lshl_b64 s[2:3], s[24:25], 2
	s_waitcnt lgkmcnt(0)
	s_add_u32 s0, s0, s2
	s_addc_u32 s1, s1, s3
	s_load_dword s25, s[0:1], 0x0
	s_lshl_b32 s40, s8, 9
	s_waitcnt lgkmcnt(0)
	s_cmp_ge_i32 s40, s25
	s_cbranch_scc1 .LBB41_102
; %bb.1:
	s_load_dword s9, s[4:5], 0x90
	s_load_dwordx2 s[10:11], s[4:5], 0x30
	s_waitcnt lgkmcnt(0)
	s_abs_i32 s2, s9
	s_abs_i32 s0, s10
	v_cvt_f32_u32_e32 v1, s0
	s_sub_i32 s3, 0, s0
	s_xor_b32 s1, s9, s10
	s_ashr_i32 s1, s1, 31
	v_rcp_iflag_f32_e32 v1, v1
	v_mul_f32_e32 v1, 0x4f7ffffe, v1
	v_cvt_u32_f32_e32 v1, v1
	v_readfirstlane_b32 s7, v1
	s_mul_i32 s3, s3, s7
	s_mul_hi_u32 s3, s7, s3
	s_add_i32 s7, s7, s3
	s_mul_hi_u32 s3, s2, s7
	s_mul_i32 s7, s3, s0
	s_sub_i32 s2, s2, s7
	s_add_i32 s10, s3, 1
	s_sub_i32 s7, s2, s0
	s_cmp_ge_u32 s2, s0
	s_cselect_b32 s3, s10, s3
	s_cselect_b32 s2, s7, s2
	s_add_i32 s7, s3, 1
	s_cmp_ge_u32 s2, s0
	s_cselect_b32 s0, s7, s3
	s_xor_b32 s0, s0, s1
	s_sub_i32 s12, s0, s1
	s_abs_i32 s2, s12
	v_cvt_f32_u32_e32 v1, s2
	s_load_dwordx2 s[0:1], s[4:5], 0x50
	s_sub_i32 s7, 0, s2
	s_abs_i32 s3, s6
	v_rcp_iflag_f32_e32 v1, v1
	s_mov_b32 s10, 0
	v_mul_f32_e32 v1, 0x4f7ffffe, v1
	v_cvt_u32_f32_e32 v1, v1
	v_readfirstlane_b32 s13, v1
	s_mul_i32 s7, s7, s13
	s_mul_hi_u32 s7, s13, s7
	s_add_i32 s13, s13, s7
	s_waitcnt lgkmcnt(0)
	s_cmp_eq_u64 s[0:1], 0
	s_mul_hi_u32 s16, s3, s13
	s_cbranch_scc1 .LBB41_3
; %bb.2:
	s_ashr_i32 s7, s6, 31
	s_lshl_b64 s[14:15], s[6:7], 2
	s_add_u32 s0, s0, s14
	s_addc_u32 s1, s1, s15
	s_load_dword s10, s[0:1], 0x0
.LBB41_3:
	s_ashr_i32 s18, s12, 31
	s_load_dwordx4 s[12:15], s[4:5], 0x58
	v_lshrrev_b32_e32 v50, 2, v0
	s_movk_i32 s7, 0x78
	s_ashr_i32 s17, s6, 31
	v_and_b32_e32 v51, 3, v0
	s_mul_i32 s20, s6, 0x78
	v_cmp_gt_u32_e32 vcc, s7, v0
	v_lshlrev_b32_e32 v34, 2, v0
	v_lshlrev_b32_e32 v1, 2, v50
	s_and_saveexec_b64 s[0:1], vcc
	s_cbranch_execz .LBB41_5
; %bb.4:
	s_load_dwordx2 s[22:23], s[4:5], 0x18
	s_waitcnt lgkmcnt(0)
	s_mul_i32 s26, s24, s12
	s_ashr_i32 s27, s26, 31
	s_lshl_b64 s[26:27], s[26:27], 2
	v_mad_u32_u24 v3, v51, s7, v1
	s_add_u32 s12, s22, s26
	s_addc_u32 s15, s23, s27
	s_ashr_i32 s21, s20, 31
	s_lshl_b64 s[22:23], s[20:21], 2
	s_add_u32 s22, s12, s22
	s_addc_u32 s23, s15, s23
	global_load_dword v2, v34, s[22:23]
	s_waitcnt vmcnt(0)
	ds_write_b32 v3, v2
.LBB41_5:
	s_or_b64 exec, exec, s[0:1]
	s_add_i32 s0, s25, 15
	s_ashr_i32 s1, s0, 31
	s_lshr_b32 s1, s1, 28
	s_add_i32 s0, s0, s1
	s_lshl_b32 s7, s8, 5
	s_mul_i32 s1, s16, s2
	s_waitcnt lgkmcnt(0)
	s_ashr_i32 s12, s0, 4
	s_add_i32 s0, s7, 32
	s_sub_i32 s1, s3, s1
	s_min_i32 s33, s0, s12
	s_xor_b32 s0, s17, s18
	s_add_i32 s3, s16, 1
	s_sub_i32 s15, s1, s2
	s_cmp_ge_u32 s1, s2
	s_cselect_b32 s3, s3, s16
	s_cselect_b32 s1, s15, s1
	s_add_i32 s15, s3, 1
	s_cmp_ge_u32 s1, s2
	s_load_dwordx2 s[26:27], s[4:5], 0x38
	s_load_dword s2, s[4:5], 0x48
	v_lshrrev_b32_e32 v35, 6, v0
	s_cselect_b32 s1, s15, s3
	s_xor_b32 s1, s1, s0
	v_or_b32_e32 v38, s7, v35
	s_waitcnt lgkmcnt(0)
	s_mul_i32 s28, s24, s2
	s_sub_i32 s15, s1, s0
	s_ashr_i32 s29, s28, 31
	v_cmp_gt_i32_e64 s[0:1], s33, v38
	v_cmp_le_i32_e32 vcc, s33, v38
	v_mbcnt_lo_u32_b32 v32, -1, 0
	s_barrier
	s_waitcnt lgkmcnt(0)
                                        ; implicit-def: $sgpr36
                                        ; implicit-def: $vgpr36
                                        ; implicit-def: $vgpr37
	s_and_saveexec_b64 s[2:3], vcc
	s_xor_b64 s[2:3], exec, s[2:3]
; %bb.6:
	v_mbcnt_hi_u32_b32 v36, -1, v32
	v_and_b32_e32 v2, 64, v36
	v_add_u32_e32 v37, 64, v2
	s_mov_b32 s36, 0xff7fffff
                                        ; implicit-def: $vgpr32
; %bb.7:
	s_or_saveexec_b64 s[34:35], s[2:3]
	s_load_dwordx4 s[16:19], s[4:5], 0x0
	s_load_dwordx2 s[22:23], s[4:5], 0x10
	s_load_dwordx2 s[30:31], s[4:5], 0x28
	s_load_dword s21, s[4:5], 0x98
	v_mov_b32_e32 v42, s36
	s_mul_i32 s14, s15, s14
	v_ashrrev_i32_e32 v39, 31, v38
	s_xor_b64 exec, exec, s[34:35]
	s_cbranch_execz .LBB41_13
; %bb.8:
	s_load_dwordx2 s[2:3], s[4:5], 0x20
	s_ashr_i32 s15, s14, 31
	s_lshl_b64 s[4:5], s[14:15], 2
	v_bfe_u32 v33, v0, 2, 4
	v_lshlrev_b32_e32 v2, 4, v33
	s_waitcnt lgkmcnt(0)
	s_add_u32 s2, s2, s4
	s_addc_u32 s3, s3, s5
	v_mov_b32_e32 v3, s3
	v_add_co_u32_e32 v2, vcc, s2, v2
	v_addc_co_u32_e32 v3, vcc, 0, v3, vcc
	v_lshlrev_b32_e32 v4, 2, v51
	v_mbcnt_hi_u32_b32 v36, -1, v32
	v_add_co_u32_e32 v40, vcc, v2, v4
	v_mul_u32_u24_e32 v30, 0x78, v51
	v_and_b32_e32 v32, 64, v36
	v_addc_co_u32_e32 v41, vcc, 0, v3, vcc
	ds_read2_b64 v[2:5], v30 offset1:1
	ds_read2_b64 v[6:9], v30 offset0:2 offset1:3
	ds_read2_b64 v[10:13], v30 offset0:4 offset1:5
	;; [unrolled: 1-line block ×6, first 2 shown]
	ds_read_b64 v[30:31], v30 offset:112
	v_add_u32_e32 v37, 64, v32
	v_xor_b32_e32 v32, 2, v36
	v_cmp_lt_i32_e32 vcc, v32, v37
	v_cndmask_b32_e32 v32, v36, v32, vcc
	v_lshlrev_b32_e32 v43, 2, v32
	v_xor_b32_e32 v32, 1, v36
	v_cmp_lt_i32_e32 vcc, v32, v37
	v_cndmask_b32_e32 v32, v36, v32, vcc
	v_lshlrev_b32_e32 v42, 2, v33
	v_lshlrev_b32_e32 v44, 2, v32
	s_sub_i32 s15, 1, s25
	v_lshlrev_b32_e32 v32, 4, v35
	s_lshl_b64 s[4:5], s[28:29], 2
	v_add3_u32 v45, s40, v32, v33
	v_lshl_or_b32 v32, v35, 6, v42
	s_add_u32 s4, s26, s4
	v_add_u32_e32 v46, 0x1f0, v32
	v_lshlrev_b64 v[32:33], 2, v[38:39]
	s_addc_u32 s5, s27, s5
	v_mov_b32_e32 v42, s5
	v_add_co_u32_e64 v32, s[4:5], s4, v32
	s_mov_b32 s41, s13
	v_cmp_eq_u32_e32 vcc, 0, v51
	v_cmp_neq_f32_e64 s[2:3], s10, 0
	v_addc_co_u32_e64 v33, s[4:5], v42, v33, s[4:5]
	s_mov_b64 s[36:37], 0
	v_mov_b32_e32 v42, 0xff7fffff
	s_movk_i32 s42, 0x1000
	v_mov_b32_e32 v47, v38
	s_branch .LBB41_10
.LBB41_9:                               ;   in Loop: Header=BB41_10 Depth=1
	s_or_b64 exec, exec, s[38:39]
	v_add_u32_e32 v47, 2, v47
	v_cmp_le_i32_e64 s[4:5], s33, v47
	s_or_b64 s[36:37], s[4:5], s[36:37]
	v_add_co_u32_e64 v32, s[4:5], 8, v32
	v_add_u32_e32 v45, 32, v45
	v_add_u32_e32 v46, 0x80, v46
	v_addc_co_u32_e64 v33, s[4:5], 0, v33, s[4:5]
	s_andn2_b64 exec, exec, s[36:37]
	s_cbranch_execz .LBB41_12
.LBB41_10:                              ; =>This Inner Loop Header: Depth=1
	global_load_dword v48, v[32:33], off
	s_waitcnt vmcnt(0) lgkmcnt(0)
	v_mad_i64_i32 v[48:49], s[4:5], v48, s41, 0
	v_lshlrev_b64 v[48:49], 2, v[48:49]
	v_add_co_u32_e64 v48, s[4:5], v40, v48
	v_addc_co_u32_e64 v49, s[4:5], v41, v49, s[4:5]
	global_load_dword v52, v[48:49], off
	global_load_dword v53, v[48:49], off offset:256
	global_load_dword v54, v[48:49], off offset:512
	;; [unrolled: 1-line block ×15, first 2 shown]
	v_add_co_u32_e64 v48, s[4:5], s42, v48
	v_addc_co_u32_e64 v49, s[4:5], 0, v49, s[4:5]
	global_load_dword v68, v[48:49], off
	global_load_dword v69, v[48:49], off offset:256
	global_load_dword v70, v[48:49], off offset:512
	global_load_dword v71, v[48:49], off offset:768
	global_load_dword v72, v[48:49], off offset:1024
	global_load_dword v73, v[48:49], off offset:1280
	global_load_dword v74, v[48:49], off offset:1536
	global_load_dword v75, v[48:49], off offset:1792
	global_load_dword v76, v[48:49], off offset:2048
	global_load_dword v77, v[48:49], off offset:2304
	global_load_dword v78, v[48:49], off offset:2560
	global_load_dword v79, v[48:49], off offset:2816
	global_load_dword v80, v[48:49], off offset:3072
	s_nop 0
	global_load_dword v48, v[48:49], off offset:3328
	s_waitcnt vmcnt(28) lgkmcnt(7)
	v_mul_f32_e32 v49, v3, v53
	v_fmac_f32_e32 v49, v2, v52
	s_waitcnt vmcnt(27)
	v_fmac_f32_e32 v49, v4, v54
	s_waitcnt vmcnt(26)
	v_fmac_f32_e32 v49, v5, v55
	s_waitcnt vmcnt(25) lgkmcnt(6)
	v_fmac_f32_e32 v49, v6, v56
	s_waitcnt vmcnt(24)
	v_fmac_f32_e32 v49, v7, v57
	s_waitcnt vmcnt(23)
	v_fmac_f32_e32 v49, v8, v58
	s_waitcnt vmcnt(22)
	v_fmac_f32_e32 v49, v9, v59
	s_waitcnt vmcnt(21) lgkmcnt(5)
	v_fmac_f32_e32 v49, v10, v60
	s_waitcnt vmcnt(20)
	;; [unrolled: 8-line block ×7, first 2 shown]
	v_fmac_f32_e32 v49, v31, v48
	ds_bpermute_b32 v48, v43, v49
	s_waitcnt lgkmcnt(0)
	v_add_f32_e32 v48, v49, v48
	ds_bpermute_b32 v49, v44, v48
	s_and_saveexec_b64 s[38:39], vcc
	s_cbranch_execz .LBB41_9
; %bb.11:                               ;   in Loop: Header=BB41_10 Depth=1
	v_add_u32_e32 v52, s15, v45
	v_cvt_f32_i32_e32 v52, v52
	s_waitcnt lgkmcnt(0)
	v_add_f32_e32 v48, v48, v49
	v_cmp_gt_i32_e64 s[4:5], s25, v45
	v_max_f32_e32 v49, v42, v42
	v_mul_f32_e32 v52, s10, v52
	v_cndmask_b32_e64 v52, 0, v52, s[2:3]
	v_fmac_f32_e32 v52, s11, v48
	v_cndmask_b32_e64 v48, 0, v52, s[4:5]
	ds_write_b32 v46, v48
	v_max_f32_e32 v48, v49, v52
	v_cndmask_b32_e64 v42, v42, v48, s[4:5]
	s_branch .LBB41_9
.LBB41_12:
	s_or_b64 exec, exec, s[36:37]
.LBB41_13:
	s_or_b64 exec, exec, s[34:35]
	v_xor_b32_e32 v2, 32, v36
	v_cmp_lt_i32_e32 vcc, v2, v37
	v_cndmask_b32_e32 v2, v36, v2, vcc
	v_lshlrev_b32_e32 v2, 2, v2
	ds_bpermute_b32 v3, v2, v42
	v_xor_b32_e32 v5, 16, v36
	v_max_f32_e32 v4, v42, v42
	v_cmp_lt_i32_e32 vcc, v5, v37
	v_xor_b32_e32 v6, 8, v36
	s_waitcnt lgkmcnt(0)
	v_max_f32_e32 v3, v3, v3
	v_max_f32_e32 v4, v4, v3
	v_cndmask_b32_e32 v3, v36, v5, vcc
	v_lshlrev_b32_e32 v3, 2, v3
	ds_bpermute_b32 v5, v3, v4
	v_cmp_lt_i32_e32 vcc, v6, v37
	s_waitcnt lgkmcnt(0)
	v_max_f32_e32 v5, v5, v5
	v_max_f32_e32 v4, v4, v5
	v_cndmask_b32_e32 v5, v36, v6, vcc
	v_lshlrev_b32_e32 v8, 2, v5
	ds_bpermute_b32 v5, v8, v4
	v_xor_b32_e32 v6, 4, v36
	v_cmp_lt_i32_e32 vcc, v6, v37
	s_waitcnt lgkmcnt(0)
	v_max_f32_e32 v5, v5, v5
	v_max_f32_e32 v5, v4, v5
	v_cndmask_b32_e32 v4, v36, v6, vcc
	v_lshlrev_b32_e32 v9, 2, v4
	ds_bpermute_b32 v7, v9, v5
	v_and_b32_e32 v4, 63, v0
	v_cmp_eq_u32_e32 vcc, 0, v4
	v_lshlrev_b32_e32 v6, 2, v35
	s_and_saveexec_b64 s[2:3], vcc
	s_cbranch_execz .LBB41_15
; %bb.14:
	s_waitcnt lgkmcnt(0)
	v_max_f32_e32 v7, v7, v7
	v_max_f32_e32 v5, v5, v5
	;; [unrolled: 1-line block ×3, first 2 shown]
	ds_write_b32 v6, v5 offset:480
.LBB41_15:
	s_or_b64 exec, exec, s[2:3]
	v_cmp_gt_u32_e64 s[2:3], 2, v4
	v_mov_b32_e32 v5, 0xff7fffff
	s_waitcnt lgkmcnt(0)
	v_lshlrev_b32_e32 v7, 2, v4
	s_barrier
	s_and_saveexec_b64 s[4:5], s[2:3]
	s_cbranch_execz .LBB41_17
; %bb.16:
	ds_read_b32 v5, v7 offset:480
.LBB41_17:
	s_or_b64 exec, exec, s[4:5]
	v_xor_b32_e32 v10, 1, v36
	v_cmp_lt_i32_e64 s[4:5], v10, v37
	v_cndmask_b32_e64 v10, v36, v10, s[4:5]
	v_lshlrev_b32_e32 v52, 2, v10
	s_waitcnt lgkmcnt(0)
	ds_bpermute_b32 v10, v52, v5
	v_max_f32_e32 v5, v5, v5
	s_sub_i32 s4, s33, s7
	s_lshl_b32 s4, s4, 4
	s_add_i32 s4, s4, s40
	s_waitcnt lgkmcnt(0)
	v_max_f32_e32 v10, v10, v10
	v_max_f32_e32 v5, v5, v10
	v_lshlrev_b32_e32 v10, 2, v36
	v_and_b32_e32 v10, 0xffffff00, v10
	ds_bpermute_b32 v5, v10, v5
	s_min_i32 s15, s4, s25
	s_sub_i32 s7, s15, s40
	v_cmp_gt_i32_e64 s[4:5], s7, v0
	v_mov_b32_e32 v11, 0
	s_and_saveexec_b64 s[34:35], s[4:5]
	s_cbranch_execz .LBB41_21
; %bb.18:
	v_mov_b32_e32 v11, 0x1f0
	v_lshl_add_u32 v12, v0, 2, v11
	s_mov_b64 s[36:37], 0
	v_mov_b32_e32 v11, 0
	v_mov_b32_e32 v13, v0
.LBB41_19:                              ; =>This Inner Loop Header: Depth=1
	ds_read_b32 v14, v12
	v_add_u32_e32 v13, 0x80, v13
	v_cmp_le_i32_e64 s[10:11], s7, v13
	s_or_b64 s[36:37], s[10:11], s[36:37]
	s_waitcnt lgkmcnt(0)
	v_sub_f32_e32 v14, v14, v5
	v_mul_f32_e32 v14, 0x3fb8aa3b, v14
	v_exp_f32_e32 v14, v14
	ds_write_b32 v12, v14
	v_add_f32_e32 v11, v11, v14
	v_add_u32_e32 v12, 0x200, v12
	s_andn2_b64 exec, exec, s[36:37]
	s_cbranch_execnz .LBB41_19
; %bb.20:
	s_or_b64 exec, exec, s[36:37]
.LBB41_21:
	s_or_b64 exec, exec, s[34:35]
	ds_bpermute_b32 v2, v2, v11
	s_waitcnt lgkmcnt(0)
	v_add_f32_e32 v2, v11, v2
	ds_bpermute_b32 v3, v3, v2
	s_waitcnt lgkmcnt(0)
	v_add_f32_e32 v2, v2, v3
	ds_bpermute_b32 v3, v8, v2
	v_xor_b32_e32 v8, 2, v36
	v_cmp_lt_i32_e64 s[10:11], v8, v37
	v_cndmask_b32_e64 v8, v36, v8, s[10:11]
	v_lshlrev_b32_e32 v53, 2, v8
	s_waitcnt lgkmcnt(0)
	v_add_f32_e32 v2, v2, v3
	ds_bpermute_b32 v3, v9, v2
	s_waitcnt lgkmcnt(0)
	v_add_f32_e32 v2, v2, v3
	ds_bpermute_b32 v3, v53, v2
	;; [unrolled: 3-line block ×3, first 2 shown]
	s_waitcnt lgkmcnt(0)
	v_add_f32_e32 v2, v2, v3
	s_and_saveexec_b64 s[10:11], vcc
	s_cbranch_execz .LBB41_23
; %bb.22:
	ds_write_b32 v6, v2 offset:488
.LBB41_23:
	s_or_b64 exec, exec, s[10:11]
	s_waitcnt lgkmcnt(0)
	s_barrier
	s_and_saveexec_b64 s[10:11], s[2:3]
	s_cbranch_execz .LBB41_25
; %bb.24:
	ds_read_b32 v2, v7 offset:488
.LBB41_25:
	s_or_b64 exec, exec, s[10:11]
	s_waitcnt lgkmcnt(0)
	ds_bpermute_b32 v3, v52, v2
	s_waitcnt lgkmcnt(0)
	v_add_f32_e32 v2, v2, v3
	ds_bpermute_b32 v6, v10, v2
	s_and_saveexec_b64 s[2:3], s[4:5]
	s_cbranch_execz .LBB41_38
; %bb.26:
	s_waitcnt lgkmcnt(0)
	v_add_f32_e32 v2, 0x358637bd, v6
	v_div_scale_f32 v3, s[4:5], v2, v2, 1.0
	v_rcp_f32_e32 v7, v3
	v_div_scale_f32 v8, vcc, 1.0, v2, 1.0
	s_movk_i32 s4, 0x7f
	v_fma_f32 v9, -v3, v7, 1.0
	v_fmac_f32_e32 v7, v9, v7
	v_mul_f32_e32 v9, v8, v7
	v_fma_f32 v10, -v3, v9, v8
	v_fmac_f32_e32 v9, v10, v7
	v_fma_f32 v3, -v3, v9, v8
	v_div_fmas_f32 v3, v3, v7, v9
	v_div_fixup_f32 v2, v3, v2, 1.0
	v_xad_u32 v3, v0, -1, s15
	v_subrev_u32_e32 v7, s40, v3
	v_cmp_lt_u32_e32 vcc, s4, v7
	s_mov_b64 s[10:11], -1
	v_mov_b32_e32 v3, v0
	s_and_saveexec_b64 s[4:5], vcc
	s_cbranch_execz .LBB41_35
; %bb.27:
	v_lshrrev_b32_e32 v7, 7, v7
	v_add_u32_e32 v9, -1, v7
	v_lshrrev_b32_e32 v8, 1, v9
	v_mov_b32_e32 v3, v2
	v_add_u32_e32 v8, 1, v8
	v_cmp_lt_u32_e32 vcc, 13, v9
	v_mov_b32_e32 v11, 0
	s_and_saveexec_b64 s[10:11], vcc
	s_cbranch_execz .LBB41_31
; %bb.28:
	v_mov_b32_e32 v10, 0x1f0
	v_and_b32_e32 v9, -8, v8
	v_lshl_add_u32 v10, v0, 2, v10
	s_mov_b32 s15, 0
	s_mov_b64 s[34:35], 0
.LBB41_29:                              ; =>This Inner Loop Header: Depth=1
	ds_read2st64_b32 v[12:13], v10 offset1:2
	ds_read2st64_b32 v[14:15], v10 offset0:4 offset1:6
	ds_read2st64_b32 v[16:17], v10 offset0:8 offset1:10
	;; [unrolled: 1-line block ×3, first 2 shown]
	v_add_u32_e32 v9, -8, v9
	s_waitcnt lgkmcnt(3)
	v_pk_mul_f32 v[12:13], v[2:3], v[12:13]
	s_waitcnt lgkmcnt(2)
	v_pk_mul_f32 v[14:15], v[2:3], v[14:15]
	ds_write2st64_b32 v10, v12, v13 offset1:2
	ds_write2st64_b32 v10, v14, v15 offset0:4 offset1:6
	ds_read2st64_b32 v[14:15], v10 offset0:16 offset1:18
	s_waitcnt lgkmcnt(4)
	v_pk_mul_f32 v[12:13], v[2:3], v[16:17]
	ds_write2st64_b32 v10, v12, v13 offset0:8 offset1:10
	s_waitcnt lgkmcnt(4)
	v_pk_mul_f32 v[12:13], v[2:3], v[18:19]
	ds_write2st64_b32 v10, v12, v13 offset0:12 offset1:14
	ds_read2st64_b32 v[12:13], v10 offset0:20 offset1:22
	s_waitcnt lgkmcnt(3)
	v_pk_mul_f32 v[14:15], v[2:3], v[14:15]
	ds_read2st64_b32 v[16:17], v10 offset0:24 offset1:26
	ds_write2st64_b32 v10, v14, v15 offset0:16 offset1:18
	ds_read2st64_b32 v[14:15], v10 offset0:28 offset1:30
	s_waitcnt lgkmcnt(3)
	v_pk_mul_f32 v[12:13], v[2:3], v[12:13]
	ds_write2st64_b32 v10, v12, v13 offset0:20 offset1:22
	s_waitcnt lgkmcnt(3)
	v_pk_mul_f32 v[12:13], v[2:3], v[16:17]
	ds_write2st64_b32 v10, v12, v13 offset0:24 offset1:26
	s_waitcnt lgkmcnt(2)
	v_pk_mul_f32 v[12:13], v[2:3], v[14:15]
	s_add_i32 s15, s15, 16
	v_cmp_eq_u32_e32 vcc, 0, v9
	ds_write2st64_b32 v10, v12, v13 offset0:28 offset1:30
	v_add_u32_e32 v10, 0x2000, v10
	s_or_b64 s[34:35], vcc, s[34:35]
	v_mov_b32_e32 v11, s15
	s_andn2_b64 exec, exec, s[34:35]
	s_cbranch_execnz .LBB41_29
; %bb.30:
	s_or_b64 exec, exec, s[34:35]
.LBB41_31:
	s_or_b64 exec, exec, s[10:11]
	v_and_b32_e32 v8, 7, v8
	v_cmp_ne_u32_e32 vcc, 0, v8
	s_and_saveexec_b64 s[10:11], vcc
	s_cbranch_execz .LBB41_34
; %bb.32:
	v_lshlrev_b32_e32 v9, 9, v11
	s_movk_i32 s15, 0x1f0
	v_add3_u32 v9, v9, v34, s15
	s_mov_b64 s[34:35], 0
.LBB41_33:                              ; =>This Inner Loop Header: Depth=1
	ds_read2st64_b32 v[10:11], v9 offset1:2
	v_add_u32_e32 v8, -1, v8
	v_cmp_eq_u32_e32 vcc, 0, v8
	s_or_b64 s[34:35], vcc, s[34:35]
	s_waitcnt lgkmcnt(0)
	v_pk_mul_f32 v[10:11], v[2:3], v[10:11]
	ds_write2st64_b32 v9, v10, v11 offset1:2
	v_add_u32_e32 v9, 0x400, v9
	s_andn2_b64 exec, exec, s[34:35]
	s_cbranch_execnz .LBB41_33
.LBB41_34:
	s_or_b64 exec, exec, s[10:11]
	v_add_u32_e32 v7, 1, v7
	v_and_b32_e32 v8, 0x3fffffe, v7
	v_cmp_ne_u32_e32 vcc, v7, v8
	v_lshl_add_u32 v3, v8, 7, v0
	s_orn2_b64 s[10:11], vcc, exec
.LBB41_35:
	s_or_b64 exec, exec, s[4:5]
	s_and_b64 exec, exec, s[10:11]
	s_cbranch_execz .LBB41_38
; %bb.36:
	v_mov_b32_e32 v7, 0x1f0
	v_lshl_add_u32 v7, v3, 2, v7
	s_mov_b64 s[4:5], 0
.LBB41_37:                              ; =>This Inner Loop Header: Depth=1
	ds_read_b32 v8, v7
	v_add_u32_e32 v3, 0x80, v3
	v_cmp_le_i32_e32 vcc, s7, v3
	s_or_b64 s[4:5], vcc, s[4:5]
	s_waitcnt lgkmcnt(0)
	v_mul_f32_e32 v8, v2, v8
	ds_write_b32 v7, v8
	v_add_u32_e32 v7, 0x200, v7
	s_andn2_b64 exec, exec, s[4:5]
	s_cbranch_execnz .LBB41_37
.LBB41_38:
	s_or_b64 exec, exec, s[2:3]
	s_mul_i32 s2, s21, s24
	v_cmp_eq_u32_e32 vcc, 0, v0
	s_mul_i32 s4, s2, s9
	s_waitcnt lgkmcnt(0)
	s_barrier
	s_and_saveexec_b64 s[2:3], vcc
	s_cbranch_execz .LBB41_40
; %bb.39:
	s_ashr_i32 s5, s4, 31
	s_lshl_b64 s[10:11], s[4:5], 2
	s_add_u32 s5, s18, s10
	s_mul_i32 s6, s21, s6
	s_addc_u32 s9, s19, s11
	s_ashr_i32 s7, s6, 31
	s_lshl_b64 s[6:7], s[6:7], 2
	s_add_u32 s5, s5, s6
	s_addc_u32 s15, s9, s7
	s_ashr_i32 s9, s8, 31
	s_lshl_b64 s[18:19], s[8:9], 2
	s_add_u32 s34, s5, s18
	s_addc_u32 s35, s15, s19
	s_add_u32 s5, s16, s10
	s_addc_u32 s9, s17, s11
	;; [unrolled: 2-line block ×3, first 2 shown]
	s_add_u32 s6, s5, s18
	v_mov_b32_e32 v2, 0
	s_addc_u32 s7, s7, s19
	global_store_dword v2, v5, s[34:35]
	global_store_dword v2, v6, s[6:7]
.LBB41_40:
	s_or_b64 exec, exec, s[2:3]
	v_mov_b32_e32 v43, 0
	v_lshrrev_b32_e32 v54, 2, v4
	v_mov_b32_e32 v42, 0
	v_mov_b32_e32 v45, 0
	;; [unrolled: 1-line block ×7, first 2 shown]
	s_and_saveexec_b64 s[6:7], s[0:1]
	s_cbranch_execz .LBB41_62
; %bb.41:
	s_ashr_i32 s15, s14, 31
	s_lshl_b64 s[0:1], s[14:15], 2
	v_and_b32_e32 v3, 12, v34
	s_add_u32 s9, s30, s0
	v_or_b32_e32 v5, 0x70, v54
	s_movk_i32 s0, 0x78
	s_addc_u32 s2, s31, s1
	s_add_i32 s14, s12, -1
	v_cmp_gt_u32_e32 vcc, s0, v5
	v_lshl_or_b32 v10, v5, 4, v3
	v_lshl_add_u32 v5, v35, 4, s40
	s_lshl_b64 s[0:1], s[28:29], 2
	v_lshl_or_b32 v2, v54, 4, v3
	v_add3_u32 v55, v5, v3, 3
	v_lshlrev_b32_e32 v3, 4, v51
	s_add_u32 s0, s26, s0
	v_lshl_or_b32 v3, v35, 6, v3
	v_lshlrev_b64 v[12:13], 2, v[38:39]
	s_addc_u32 s1, s27, s1
	v_mov_b32_e32 v40, 0
	v_or_b32_e32 v4, 0x400, v2
	v_or_b32_e32 v6, 0x500, v2
	;; [unrolled: 1-line block ×3, first 2 shown]
	v_add_u32_e32 v56, 0x1f0, v3
	v_mov_b32_e32 v3, s1
	v_add_co_u32_e64 v48, s[0:1], s0, v12
	s_mov_b32 s5, s13
	v_addc_co_u32_e64 v49, s[0:1], v3, v13, s[0:1]
	s_mov_b64 s[10:11], 0
	v_mov_b32_e32 v39, s2
	v_lshlrev_b32_e32 v57, 2, v2
	v_lshlrev_b32_e32 v58, 2, v4
	;; [unrolled: 1-line block ×5, first 2 shown]
	v_mov_b32_e32 v41, v40
	v_mov_b32_e32 v46, v40
	;; [unrolled: 1-line block ×7, first 2 shown]
	s_branch .LBB41_44
.LBB41_42:                              ;   in Loop: Header=BB41_44 Depth=1
	s_or_b64 exec, exec, s[2:3]
	s_waitcnt vmcnt(0) lgkmcnt(0)
	v_mul_f32_e32 v35, v3, v35
	v_fmac_f32_e32 v35, v2, v34
	v_fmac_f32_e32 v35, v4, v36
	;; [unrolled: 1-line block ×3, first 2 shown]
	v_add_f32_e32 v43, v43, v35
.LBB41_43:                              ;   in Loop: Header=BB41_44 Depth=1
	s_or_b64 exec, exec, s[12:13]
	s_waitcnt vmcnt(6) lgkmcnt(0)
	v_mul_f32_e32 v7, v3, v7
	v_fmac_f32_e32 v7, v2, v6
	s_waitcnt vmcnt(5)
	v_mul_f32_e32 v6, v3, v11
	v_fmac_f32_e32 v6, v2, v10
	v_fmac_f32_e32 v6, v4, v12
	v_fmac_f32_e32 v6, v5, v13
	v_add_f32_e32 v41, v41, v6
	s_waitcnt vmcnt(4)
	v_mul_f32_e32 v6, v3, v15
	v_fmac_f32_e32 v6, v2, v14
	v_fmac_f32_e32 v6, v4, v16
	v_fmac_f32_e32 v6, v5, v17
	v_add_f32_e32 v46, v46, v6
	;; [unrolled: 6-line block ×4, first 2 shown]
	s_waitcnt vmcnt(1)
	v_mul_f32_e32 v6, v3, v27
	s_waitcnt vmcnt(0)
	v_mul_f32_e32 v3, v3, v31
	v_fmac_f32_e32 v6, v2, v26
	v_fmac_f32_e32 v3, v2, v30
	v_add_u32_e32 v38, 2, v38
	v_fmac_f32_e32 v7, v4, v8
	v_fmac_f32_e32 v6, v4, v28
	;; [unrolled: 1-line block ×3, first 2 shown]
	v_cmp_le_i32_e64 s[0:1], s33, v38
	v_fmac_f32_e32 v7, v5, v9
	v_fmac_f32_e32 v6, v5, v29
	;; [unrolled: 1-line block ×3, first 2 shown]
	s_or_b64 s[10:11], s[0:1], s[10:11]
	v_add_co_u32_e64 v48, s[0:1], 8, v48
	v_add_f32_e32 v40, v40, v7
	v_add_f32_e32 v45, v45, v6
	;; [unrolled: 1-line block ×3, first 2 shown]
	v_add_u32_e32 v55, 32, v55
	v_add_u32_e32 v56, 0x80, v56
	v_addc_co_u32_e64 v49, s[0:1], 0, v49, s[0:1]
	s_andn2_b64 exec, exec, s[10:11]
	s_cbranch_execz .LBB41_61
.LBB41_44:                              ; =>This Inner Loop Header: Depth=1
	global_load_dword v2, v[48:49], off
	v_add_u32_e32 v62, -3, v55
	s_waitcnt vmcnt(0)
	v_mad_i64_i32 v[2:3], s[0:1], v2, s5, 0
	v_lshlrev_b64 v[2:3], 2, v[2:3]
	v_add_co_u32_e64 v34, s[0:1], s9, v2
	v_addc_co_u32_e64 v35, s[0:1], v39, v3, s[0:1]
	v_add_co_u32_e64 v18, s[0:1], v34, v57
	v_addc_co_u32_e64 v19, s[0:1], 0, v35, s[0:1]
	global_load_dwordx4 v[6:9], v[18:19], off
	ds_read_b128 v[2:5], v56
	v_cmp_eq_u32_e64 s[0:1], s14, v38
	s_and_saveexec_b64 s[12:13], s[0:1]
	s_cbranch_execnz .LBB41_58
; %bb.45:                               ;   in Loop: Header=BB41_44 Depth=1
	s_or_b64 exec, exec, s[12:13]
	global_load_dwordx4 v[10:13], v[18:19], off offset:1024
	s_and_saveexec_b64 s[12:13], s[0:1]
	s_cbranch_execnz .LBB41_59
.LBB41_46:                              ;   in Loop: Header=BB41_44 Depth=1
	s_or_b64 exec, exec, s[12:13]
	global_load_dwordx4 v[14:17], v[18:19], off offset:2048
	s_and_saveexec_b64 s[12:13], s[0:1]
	s_cbranch_execnz .LBB41_60
.LBB41_47:                              ;   in Loop: Header=BB41_44 Depth=1
	s_or_b64 exec, exec, s[12:13]
	global_load_dwordx4 v[18:21], v[18:19], off offset:3072
	s_and_saveexec_b64 s[12:13], s[0:1]
	s_cbranch_execz .LBB41_49
.LBB41_48:                              ;   in Loop: Header=BB41_44 Depth=1
	v_cmp_gt_i32_e64 s[2:3], s25, v62
	v_add_u32_e32 v22, -2, v55
	s_waitcnt vmcnt(0)
	v_cndmask_b32_e64 v18, 0, v18, s[2:3]
	v_cmp_gt_i32_e64 s[2:3], s25, v22
	v_add_u32_e32 v22, -1, v55
	v_cndmask_b32_e64 v19, 0, v19, s[2:3]
	v_cmp_gt_i32_e64 s[2:3], s25, v22
	v_cndmask_b32_e64 v20, 0, v20, s[2:3]
	v_cmp_gt_i32_e64 s[2:3], s25, v55
	v_cndmask_b32_e64 v21, 0, v21, s[2:3]
.LBB41_49:                              ;   in Loop: Header=BB41_44 Depth=1
	s_or_b64 exec, exec, s[12:13]
	v_add_co_u32_e64 v22, s[2:3], v34, v58
	v_addc_co_u32_e64 v23, s[2:3], 0, v35, s[2:3]
	global_load_dwordx4 v[22:25], v[22:23], off
	s_and_saveexec_b64 s[12:13], s[0:1]
	s_cbranch_execz .LBB41_51
; %bb.50:                               ;   in Loop: Header=BB41_44 Depth=1
	v_cmp_gt_i32_e64 s[2:3], s25, v62
	v_add_u32_e32 v26, -2, v55
	s_waitcnt vmcnt(0)
	v_cndmask_b32_e64 v22, 0, v22, s[2:3]
	v_cmp_gt_i32_e64 s[2:3], s25, v26
	v_add_u32_e32 v26, -1, v55
	v_cndmask_b32_e64 v23, 0, v23, s[2:3]
	v_cmp_gt_i32_e64 s[2:3], s25, v26
	v_cndmask_b32_e64 v24, 0, v24, s[2:3]
	v_cmp_gt_i32_e64 s[2:3], s25, v55
	v_cndmask_b32_e64 v25, 0, v25, s[2:3]
.LBB41_51:                              ;   in Loop: Header=BB41_44 Depth=1
	s_or_b64 exec, exec, s[12:13]
	v_add_co_u32_e64 v26, s[2:3], v34, v59
	v_addc_co_u32_e64 v27, s[2:3], 0, v35, s[2:3]
	global_load_dwordx4 v[26:29], v[26:27], off
	s_and_saveexec_b64 s[12:13], s[0:1]
	s_cbranch_execz .LBB41_53
; %bb.52:                               ;   in Loop: Header=BB41_44 Depth=1
	v_cmp_gt_i32_e64 s[2:3], s25, v62
	v_add_u32_e32 v30, -2, v55
	s_waitcnt vmcnt(0)
	v_cndmask_b32_e64 v26, 0, v26, s[2:3]
	v_cmp_gt_i32_e64 s[2:3], s25, v30
	v_add_u32_e32 v30, -1, v55
	v_cndmask_b32_e64 v27, 0, v27, s[2:3]
	v_cmp_gt_i32_e64 s[2:3], s25, v30
	v_cndmask_b32_e64 v28, 0, v28, s[2:3]
	v_cmp_gt_i32_e64 s[2:3], s25, v55
	v_cndmask_b32_e64 v29, 0, v29, s[2:3]
.LBB41_53:                              ;   in Loop: Header=BB41_44 Depth=1
	s_or_b64 exec, exec, s[12:13]
	v_add_co_u32_e64 v30, s[2:3], v34, v60
	v_addc_co_u32_e64 v31, s[2:3], 0, v35, s[2:3]
	global_load_dwordx4 v[30:33], v[30:31], off
	s_and_saveexec_b64 s[12:13], s[0:1]
	s_cbranch_execz .LBB41_55
; %bb.54:                               ;   in Loop: Header=BB41_44 Depth=1
	v_cmp_gt_i32_e64 s[2:3], s25, v62
	v_add_u32_e32 v36, -2, v55
	s_waitcnt vmcnt(0)
	v_cndmask_b32_e64 v30, 0, v30, s[2:3]
	v_cmp_gt_i32_e64 s[2:3], s25, v36
	v_add_u32_e32 v36, -1, v55
	v_cndmask_b32_e64 v31, 0, v31, s[2:3]
	v_cmp_gt_i32_e64 s[2:3], s25, v36
	v_cndmask_b32_e64 v32, 0, v32, s[2:3]
	v_cmp_gt_i32_e64 s[2:3], s25, v55
	v_cndmask_b32_e64 v33, 0, v33, s[2:3]
.LBB41_55:                              ;   in Loop: Header=BB41_44 Depth=1
	s_or_b64 exec, exec, s[12:13]
	s_and_saveexec_b64 s[12:13], vcc
	s_cbranch_execz .LBB41_43
; %bb.56:                               ;   in Loop: Header=BB41_44 Depth=1
	v_add_co_u32_e64 v34, s[2:3], v34, v61
	v_addc_co_u32_e64 v35, s[2:3], 0, v35, s[2:3]
	global_load_dwordx4 v[34:37], v[34:35], off
	s_and_saveexec_b64 s[2:3], s[0:1]
	s_cbranch_execz .LBB41_42
; %bb.57:                               ;   in Loop: Header=BB41_44 Depth=1
	v_cmp_gt_i32_e64 s[0:1], s25, v62
	v_add_u32_e32 v62, -2, v55
	s_waitcnt vmcnt(0)
	v_cndmask_b32_e64 v34, 0, v34, s[0:1]
	v_cmp_gt_i32_e64 s[0:1], s25, v62
	v_add_u32_e32 v62, -1, v55
	v_cndmask_b32_e64 v35, 0, v35, s[0:1]
	v_cmp_gt_i32_e64 s[0:1], s25, v62
	v_cndmask_b32_e64 v36, 0, v36, s[0:1]
	v_cmp_gt_i32_e64 s[0:1], s25, v55
	v_cndmask_b32_e64 v37, 0, v37, s[0:1]
	s_branch .LBB41_42
.LBB41_58:                              ;   in Loop: Header=BB41_44 Depth=1
	v_cmp_gt_i32_e64 s[2:3], s25, v62
	v_add_u32_e32 v10, -2, v55
	s_waitcnt vmcnt(0)
	v_cndmask_b32_e64 v6, 0, v6, s[2:3]
	v_cmp_gt_i32_e64 s[2:3], s25, v10
	v_add_u32_e32 v10, -1, v55
	v_cndmask_b32_e64 v7, 0, v7, s[2:3]
	v_cmp_gt_i32_e64 s[2:3], s25, v10
	v_cndmask_b32_e64 v8, 0, v8, s[2:3]
	v_cmp_gt_i32_e64 s[2:3], s25, v55
	v_cndmask_b32_e64 v9, 0, v9, s[2:3]
	s_or_b64 exec, exec, s[12:13]
	global_load_dwordx4 v[10:13], v[18:19], off offset:1024
	s_and_saveexec_b64 s[12:13], s[0:1]
	s_cbranch_execz .LBB41_46
.LBB41_59:                              ;   in Loop: Header=BB41_44 Depth=1
	v_cmp_gt_i32_e64 s[2:3], s25, v62
	v_add_u32_e32 v14, -2, v55
	s_waitcnt vmcnt(0)
	v_cndmask_b32_e64 v10, 0, v10, s[2:3]
	v_cmp_gt_i32_e64 s[2:3], s25, v14
	v_add_u32_e32 v14, -1, v55
	v_cndmask_b32_e64 v11, 0, v11, s[2:3]
	v_cmp_gt_i32_e64 s[2:3], s25, v14
	v_cndmask_b32_e64 v12, 0, v12, s[2:3]
	v_cmp_gt_i32_e64 s[2:3], s25, v55
	v_cndmask_b32_e64 v13, 0, v13, s[2:3]
	s_or_b64 exec, exec, s[12:13]
	global_load_dwordx4 v[14:17], v[18:19], off offset:2048
	s_and_saveexec_b64 s[12:13], s[0:1]
	s_cbranch_execz .LBB41_47
.LBB41_60:                              ;   in Loop: Header=BB41_44 Depth=1
	v_cmp_gt_i32_e64 s[2:3], s25, v62
	v_add_u32_e32 v20, -2, v55
	s_waitcnt vmcnt(0)
	v_cndmask_b32_e64 v14, 0, v14, s[2:3]
	v_cmp_gt_i32_e64 s[2:3], s25, v20
	v_add_u32_e32 v20, -1, v55
	v_cndmask_b32_e64 v15, 0, v15, s[2:3]
	v_cmp_gt_i32_e64 s[2:3], s25, v20
	v_cndmask_b32_e64 v16, 0, v16, s[2:3]
	v_cmp_gt_i32_e64 s[2:3], s25, v55
	v_cndmask_b32_e64 v17, 0, v17, s[2:3]
	s_or_b64 exec, exec, s[12:13]
	global_load_dwordx4 v[18:21], v[18:19], off offset:3072
	s_and_saveexec_b64 s[12:13], s[0:1]
	s_cbranch_execnz .LBB41_48
	s_branch .LBB41_49
.LBB41_61:
	s_or_b64 exec, exec, s[10:11]
.LBB41_62:
	s_or_b64 exec, exec, s[6:7]
	ds_bpermute_b32 v2, v53, v40
	ds_bpermute_b32 v3, v53, v41
	;; [unrolled: 1-line block ×8, first 2 shown]
	s_waitcnt lgkmcnt(6)
	v_pk_add_f32 v[2:3], v[40:41], v[2:3]
	s_waitcnt lgkmcnt(4)
	v_pk_add_f32 v[4:5], v[46:47], v[4:5]
	ds_bpermute_b32 v6, v52, v2
	ds_bpermute_b32 v7, v52, v3
	;; [unrolled: 1-line block ×4, first 2 shown]
	s_waitcnt lgkmcnt(6)
	v_pk_add_f32 v[14:15], v[44:45], v[8:9]
	s_waitcnt lgkmcnt(4)
	v_pk_add_f32 v[12:13], v[42:43], v[12:13]
	ds_bpermute_b32 v16, v52, v14
	ds_bpermute_b32 v17, v52, v15
	;; [unrolled: 1-line block ×4, first 2 shown]
	s_waitcnt lgkmcnt(6)
	v_pk_add_f32 v[8:9], v[2:3], v[6:7]
	s_waitcnt lgkmcnt(4)
	v_pk_add_f32 v[6:7], v[4:5], v[10:11]
	v_and_b32_e32 v10, 0x3c0, v0
	s_waitcnt lgkmcnt(2)
	v_pk_add_f32 v[4:5], v[14:15], v[16:17]
	s_waitcnt lgkmcnt(0)
	v_pk_add_f32 v[2:3], v[12:13], v[18:19]
	v_cmp_eq_u32_e32 vcc, 64, v10
	s_barrier
	s_and_saveexec_b64 s[2:3], vcc
	s_cbranch_execz .LBB41_67
; %bb.63:
	v_cmp_eq_u32_e32 vcc, 0, v51
	s_and_saveexec_b64 s[0:1], vcc
	s_cbranch_execz .LBB41_65
; %bb.64:
	v_mov_b32_e32 v10, 0x1f0
	v_lshl_add_u32 v10, v54, 2, v10
	ds_write2_b32 v10, v8, v9 offset1:16
	ds_write2_b32 v10, v6, v7 offset0:32 offset1:48
	ds_write2_b32 v10, v4, v5 offset0:64 offset1:80
	ds_write_b32 v10, v2 offset:384
.LBB41_65:
	s_or_b64 exec, exec, s[0:1]
	v_or_b32_e32 v10, 0x70, v54
	s_movk_i32 s0, 0x78
	v_cmp_gt_u32_e64 s[0:1], s0, v10
	s_and_b64 s[0:1], vcc, s[0:1]
	s_and_b64 exec, exec, s[0:1]
	s_cbranch_execz .LBB41_67
; %bb.66:
	v_mov_b32_e32 v10, 0x1f0
	v_lshl_add_u32 v10, v54, 2, v10
	ds_write_b32 v10, v3 offset:448
.LBB41_67:
	s_or_b64 exec, exec, s[2:3]
	v_cmp_gt_u32_e32 vcc, 64, v0
	s_waitcnt lgkmcnt(0)
	s_barrier
	s_and_saveexec_b64 s[6:7], vcc
	s_cbranch_execz .LBB41_85
; %bb.68:
	v_cmp_eq_u32_e64 s[0:1], 0, v51
	s_and_saveexec_b64 s[2:3], s[0:1]
	s_cbranch_execz .LBB41_70
; %bb.69:
	v_mov_b32_e32 v0, 0x1f0
	v_lshl_add_u32 v0, v50, 2, v0
	ds_read_b32 v0, v0
	s_waitcnt lgkmcnt(0)
	v_add_f32_e32 v8, v8, v0
.LBB41_70:
	s_or_b64 exec, exec, s[2:3]
	v_or_b32_e32 v0, 16, v50
	s_movk_i32 s5, 0x78
	v_cmp_gt_u32_e64 s[2:3], s5, v0
	s_and_b64 s[10:11], s[0:1], s[2:3]
	s_and_saveexec_b64 s[2:3], s[10:11]
	s_cbranch_execz .LBB41_72
; %bb.71:
	v_mov_b32_e32 v0, 0x1f0
	v_lshl_add_u32 v0, v50, 2, v0
	ds_read_b32 v0, v0 offset:64
	s_waitcnt lgkmcnt(0)
	v_add_f32_e32 v9, v9, v0
.LBB41_72:
	s_or_b64 exec, exec, s[2:3]
	v_or_b32_e32 v0, 32, v50
	v_cmp_gt_u32_e64 s[2:3], s5, v0
	s_and_b64 s[10:11], s[0:1], s[2:3]
	s_and_saveexec_b64 s[2:3], s[10:11]
	s_cbranch_execz .LBB41_74
; %bb.73:
	v_mov_b32_e32 v0, 0x1f0
	v_lshl_add_u32 v0, v50, 2, v0
	ds_read_b32 v0, v0 offset:128
	s_waitcnt lgkmcnt(0)
	v_add_f32_e32 v6, v6, v0
.LBB41_74:
	s_or_b64 exec, exec, s[2:3]
	v_or_b32_e32 v0, 48, v50
	;; [unrolled: 13-line block ×6, first 2 shown]
	s_movk_i32 s2, 0x78
	v_cmp_gt_u32_e64 s[2:3], s2, v0
	s_and_b64 s[2:3], s[0:1], s[2:3]
	s_and_saveexec_b64 s[0:1], s[2:3]
	s_cbranch_execz .LBB41_84
; %bb.83:
	v_mov_b32_e32 v0, 0x1f0
	v_lshl_add_u32 v0, v50, 2, v0
	ds_read_b32 v0, v0 offset:448
	s_waitcnt lgkmcnt(0)
	v_add_f32_e32 v3, v3, v0
.LBB41_84:
	s_or_b64 exec, exec, s[0:1]
.LBB41_85:
	s_or_b64 exec, exec, s[6:7]
	s_barrier
	s_and_saveexec_b64 s[0:1], vcc
	s_cbranch_execz .LBB41_102
; %bb.86:
	s_mul_i32 s0, s4, 0x78
	s_ashr_i32 s1, s0, 31
	s_lshl_b64 s[0:1], s[0:1], 2
	s_add_u32 s2, s22, s0
	s_mul_i32 s0, s21, s20
	s_addc_u32 s3, s23, s1
	s_ashr_i32 s1, s0, 31
	s_lshl_b64 s[0:1], s[0:1], 2
	s_add_u32 s2, s2, s0
	s_mul_i32 s0, s8, 0x78
	s_addc_u32 s3, s3, s1
	s_ashr_i32 s1, s0, 31
	s_lshl_b64 s[0:1], s[0:1], 2
	s_add_u32 s2, s2, s0
	s_movk_i32 s5, 0x78
	s_addc_u32 s3, s3, s1
	v_cmp_eq_u32_e32 vcc, 0, v51
	s_and_saveexec_b64 s[0:1], vcc
	s_cbranch_execz .LBB41_88
; %bb.87:
	global_store_dword v1, v8, s[2:3]
.LBB41_88:
	s_or_b64 exec, exec, s[0:1]
	v_or_b32_e32 v0, 16, v50
	v_cmp_gt_u32_e64 s[0:1], s5, v0
	s_and_b64 s[4:5], vcc, s[0:1]
	s_and_saveexec_b64 s[0:1], s[4:5]
	s_cbranch_execz .LBB41_90
; %bb.89:
	global_store_dword v1, v9, s[2:3] offset:64
.LBB41_90:
	s_or_b64 exec, exec, s[0:1]
	v_or_b32_e32 v0, 32, v50
	s_movk_i32 s4, 0x78
	v_cmp_gt_u32_e64 s[0:1], s4, v0
	s_and_b64 s[6:7], vcc, s[0:1]
	s_and_saveexec_b64 s[0:1], s[6:7]
	s_cbranch_execz .LBB41_92
; %bb.91:
	global_store_dword v1, v6, s[2:3] offset:128
.LBB41_92:
	s_or_b64 exec, exec, s[0:1]
	v_or_b32_e32 v0, 48, v50
	v_cmp_gt_u32_e64 s[0:1], s4, v0
	s_and_b64 s[4:5], vcc, s[0:1]
	s_and_saveexec_b64 s[0:1], s[4:5]
	s_cbranch_execz .LBB41_94
; %bb.93:
	global_store_dword v1, v7, s[2:3] offset:192
.LBB41_94:
	s_or_b64 exec, exec, s[0:1]
	v_or_b32_e32 v0, 64, v50
	s_movk_i32 s4, 0x78
	v_cmp_gt_u32_e64 s[0:1], s4, v0
	s_and_b64 s[6:7], vcc, s[0:1]
	s_and_saveexec_b64 s[0:1], s[6:7]
	s_cbranch_execz .LBB41_96
; %bb.95:
	global_store_dword v1, v4, s[2:3] offset:256
.LBB41_96:
	;; [unrolled: 19-line block ×3, first 2 shown]
	s_or_b64 exec, exec, s[0:1]
	v_or_b32_e32 v0, 0x70, v50
	v_cmp_gt_u32_e64 s[0:1], s4, v0
	s_and_b64 s[0:1], vcc, s[0:1]
	s_and_b64 exec, exec, s[0:1]
	s_cbranch_execz .LBB41_102
; %bb.101:
	global_store_dword v1, v3, s[2:3] offset:448
.LBB41_102:
	s_endpgm
	.section	.rodata,"a",@progbits
	.p2align	6, 0x0
	.amdhsa_kernel _ZN4vllm25paged_attention_v2_kernelIffLi120ELi16ELi128ELNS_18Fp8KVCacheDataTypeE0ELb0ELi512EEEvPfS2_PT_PKS3_PKT0_S9_ifPKiSB_iPKfiiiSD_SD_iiiii
		.amdhsa_group_segment_fixed_size 496
		.amdhsa_private_segment_fixed_size 0
		.amdhsa_kernarg_size 400
		.amdhsa_user_sgpr_count 6
		.amdhsa_user_sgpr_private_segment_buffer 1
		.amdhsa_user_sgpr_dispatch_ptr 0
		.amdhsa_user_sgpr_queue_ptr 0
		.amdhsa_user_sgpr_kernarg_segment_ptr 1
		.amdhsa_user_sgpr_dispatch_id 0
		.amdhsa_user_sgpr_flat_scratch_init 0
		.amdhsa_user_sgpr_kernarg_preload_length 0
		.amdhsa_user_sgpr_kernarg_preload_offset 0
		.amdhsa_user_sgpr_private_segment_size 0
		.amdhsa_uses_dynamic_stack 0
		.amdhsa_system_sgpr_private_segment_wavefront_offset 0
		.amdhsa_system_sgpr_workgroup_id_x 1
		.amdhsa_system_sgpr_workgroup_id_y 1
		.amdhsa_system_sgpr_workgroup_id_z 1
		.amdhsa_system_sgpr_workgroup_info 0
		.amdhsa_system_vgpr_workitem_id 0
		.amdhsa_next_free_vgpr 81
		.amdhsa_next_free_sgpr 43
		.amdhsa_accum_offset 84
		.amdhsa_reserve_vcc 1
		.amdhsa_reserve_flat_scratch 0
		.amdhsa_float_round_mode_32 0
		.amdhsa_float_round_mode_16_64 0
		.amdhsa_float_denorm_mode_32 3
		.amdhsa_float_denorm_mode_16_64 3
		.amdhsa_dx10_clamp 1
		.amdhsa_ieee_mode 1
		.amdhsa_fp16_overflow 0
		.amdhsa_tg_split 0
		.amdhsa_exception_fp_ieee_invalid_op 0
		.amdhsa_exception_fp_denorm_src 0
		.amdhsa_exception_fp_ieee_div_zero 0
		.amdhsa_exception_fp_ieee_overflow 0
		.amdhsa_exception_fp_ieee_underflow 0
		.amdhsa_exception_fp_ieee_inexact 0
		.amdhsa_exception_int_div_zero 0
	.end_amdhsa_kernel
	.section	.text._ZN4vllm25paged_attention_v2_kernelIffLi120ELi16ELi128ELNS_18Fp8KVCacheDataTypeE0ELb0ELi512EEEvPfS2_PT_PKS3_PKT0_S9_ifPKiSB_iPKfiiiSD_SD_iiiii,"axG",@progbits,_ZN4vllm25paged_attention_v2_kernelIffLi120ELi16ELi128ELNS_18Fp8KVCacheDataTypeE0ELb0ELi512EEEvPfS2_PT_PKS3_PKT0_S9_ifPKiSB_iPKfiiiSD_SD_iiiii,comdat
.Lfunc_end41:
	.size	_ZN4vllm25paged_attention_v2_kernelIffLi120ELi16ELi128ELNS_18Fp8KVCacheDataTypeE0ELb0ELi512EEEvPfS2_PT_PKS3_PKT0_S9_ifPKiSB_iPKfiiiSD_SD_iiiii, .Lfunc_end41-_ZN4vllm25paged_attention_v2_kernelIffLi120ELi16ELi128ELNS_18Fp8KVCacheDataTypeE0ELb0ELi512EEEvPfS2_PT_PKS3_PKT0_S9_ifPKiSB_iPKfiiiSD_SD_iiiii
                                        ; -- End function
	.section	.AMDGPU.csdata,"",@progbits
; Kernel info:
; codeLenInByte = 5912
; NumSgprs: 47
; NumVgprs: 81
; NumAgprs: 0
; TotalNumVgprs: 81
; ScratchSize: 0
; MemoryBound: 0
; FloatMode: 240
; IeeeMode: 1
; LDSByteSize: 496 bytes/workgroup (compile time only)
; SGPRBlocks: 5
; VGPRBlocks: 10
; NumSGPRsForWavesPerEU: 47
; NumVGPRsForWavesPerEU: 81
; AccumOffset: 84
; Occupancy: 5
; WaveLimiterHint : 1
; COMPUTE_PGM_RSRC2:SCRATCH_EN: 0
; COMPUTE_PGM_RSRC2:USER_SGPR: 6
; COMPUTE_PGM_RSRC2:TRAP_HANDLER: 0
; COMPUTE_PGM_RSRC2:TGID_X_EN: 1
; COMPUTE_PGM_RSRC2:TGID_Y_EN: 1
; COMPUTE_PGM_RSRC2:TGID_Z_EN: 1
; COMPUTE_PGM_RSRC2:TIDIG_COMP_CNT: 0
; COMPUTE_PGM_RSRC3_GFX90A:ACCUM_OFFSET: 20
; COMPUTE_PGM_RSRC3_GFX90A:TG_SPLIT: 0
	.section	.text._ZN4vllm25paged_attention_v2_kernelIffLi128ELi16ELi128ELNS_18Fp8KVCacheDataTypeE0ELb0ELi512EEEvPfS2_PT_PKS3_PKT0_S9_ifPKiSB_iPKfiiiSD_SD_iiiii,"axG",@progbits,_ZN4vllm25paged_attention_v2_kernelIffLi128ELi16ELi128ELNS_18Fp8KVCacheDataTypeE0ELb0ELi512EEEvPfS2_PT_PKS3_PKT0_S9_ifPKiSB_iPKfiiiSD_SD_iiiii,comdat
	.protected	_ZN4vllm25paged_attention_v2_kernelIffLi128ELi16ELi128ELNS_18Fp8KVCacheDataTypeE0ELb0ELi512EEEvPfS2_PT_PKS3_PKT0_S9_ifPKiSB_iPKfiiiSD_SD_iiiii ; -- Begin function _ZN4vllm25paged_attention_v2_kernelIffLi128ELi16ELi128ELNS_18Fp8KVCacheDataTypeE0ELb0ELi512EEEvPfS2_PT_PKS3_PKT0_S9_ifPKiSB_iPKfiiiSD_SD_iiiii
	.globl	_ZN4vllm25paged_attention_v2_kernelIffLi128ELi16ELi128ELNS_18Fp8KVCacheDataTypeE0ELb0ELi512EEEvPfS2_PT_PKS3_PKT0_S9_ifPKiSB_iPKfiiiSD_SD_iiiii
	.p2align	8
	.type	_ZN4vllm25paged_attention_v2_kernelIffLi128ELi16ELi128ELNS_18Fp8KVCacheDataTypeE0ELb0ELi512EEEvPfS2_PT_PKS3_PKT0_S9_ifPKiSB_iPKfiiiSD_SD_iiiii,@function
_ZN4vllm25paged_attention_v2_kernelIffLi128ELi16ELi128ELNS_18Fp8KVCacheDataTypeE0ELb0ELi512EEEvPfS2_PT_PKS3_PKT0_S9_ifPKiSB_iPKfiiiSD_SD_iiiii: ; @_ZN4vllm25paged_attention_v2_kernelIffLi128ELi16ELi128ELNS_18Fp8KVCacheDataTypeE0ELb0ELi512EEEvPfS2_PT_PKS3_PKT0_S9_ifPKiSB_iPKfiiiSD_SD_iiiii
; %bb.0:
	s_load_dwordx2 s[0:1], s[4:5], 0x40
	s_mov_b32 s24, s7
	s_ashr_i32 s25, s7, 31
	s_lshl_b64 s[2:3], s[24:25], 2
	s_waitcnt lgkmcnt(0)
	s_add_u32 s0, s0, s2
	s_addc_u32 s1, s1, s3
	s_load_dword s25, s[0:1], 0x0
	s_lshl_b32 s33, s8, 9
	s_waitcnt lgkmcnt(0)
	s_cmp_ge_i32 s33, s25
	s_cbranch_scc1 .LBB42_75
; %bb.1:
	s_load_dword s9, s[4:5], 0x90
	s_load_dwordx2 s[10:11], s[4:5], 0x30
	s_mov_b32 s40, 0
	s_waitcnt lgkmcnt(0)
	s_abs_i32 s2, s9
	s_abs_i32 s0, s10
	v_cvt_f32_u32_e32 v1, s0
	s_sub_i32 s3, 0, s0
	s_xor_b32 s1, s9, s10
	s_ashr_i32 s1, s1, 31
	v_rcp_iflag_f32_e32 v1, v1
	v_mul_f32_e32 v1, 0x4f7ffffe, v1
	v_cvt_u32_f32_e32 v1, v1
	v_readfirstlane_b32 s7, v1
	s_mul_i32 s3, s3, s7
	s_mul_hi_u32 s3, s7, s3
	s_add_i32 s7, s7, s3
	s_mul_hi_u32 s3, s2, s7
	s_mul_i32 s7, s3, s0
	s_sub_i32 s2, s2, s7
	s_add_i32 s10, s3, 1
	s_sub_i32 s7, s2, s0
	s_cmp_ge_u32 s2, s0
	s_cselect_b32 s3, s10, s3
	s_cselect_b32 s2, s7, s2
	s_add_i32 s7, s3, 1
	s_cmp_ge_u32 s2, s0
	s_cselect_b32 s0, s7, s3
	s_xor_b32 s0, s0, s1
	s_sub_i32 s10, s0, s1
	s_abs_i32 s2, s10
	v_cvt_f32_u32_e32 v1, s2
	s_load_dwordx2 s[0:1], s[4:5], 0x50
	s_sub_i32 s7, 0, s2
	s_abs_i32 s3, s6
	v_rcp_iflag_f32_e32 v1, v1
	v_mul_f32_e32 v1, 0x4f7ffffe, v1
	v_cvt_u32_f32_e32 v1, v1
	v_readfirstlane_b32 s12, v1
	s_mul_i32 s7, s7, s12
	s_mul_hi_u32 s7, s12, s7
	s_add_i32 s12, s12, s7
	s_waitcnt lgkmcnt(0)
	s_cmp_eq_u64 s[0:1], 0
	s_mul_hi_u32 s16, s3, s12
	s_cbranch_scc1 .LBB42_3
; %bb.2:
	s_ashr_i32 s7, s6, 31
	s_lshl_b64 s[12:13], s[6:7], 2
	s_add_u32 s0, s0, s12
	s_addc_u32 s1, s1, s13
	s_load_dword s40, s[0:1], 0x0
.LBB42_3:
	s_load_dwordx4 s[12:15], s[4:5], 0x58
	v_lshrrev_b32_e32 v50, 2, v0
	s_movk_i32 s0, 0x80
	s_ashr_i32 s17, s6, 31
	s_ashr_i32 s18, s10, 31
	v_and_b32_e32 v51, 3, v0
	s_lshl_b32 s20, s6, 7
	v_cmp_gt_u32_e32 vcc, s0, v0
	v_lshlrev_b32_e32 v36, 2, v0
	v_lshlrev_b32_e32 v1, 2, v50
	s_and_saveexec_b64 s[0:1], vcc
	s_cbranch_execz .LBB42_5
; %bb.4:
	s_load_dwordx2 s[22:23], s[4:5], 0x18
	s_waitcnt lgkmcnt(0)
	s_mul_i32 s26, s24, s12
	s_ashr_i32 s27, s26, 31
	s_lshl_b64 s[26:27], s[26:27], 2
	v_lshl_add_u32 v3, v51, 7, v1
	s_add_u32 s7, s22, s26
	s_addc_u32 s10, s23, s27
	s_ashr_i32 s21, s20, 31
	s_lshl_b64 s[22:23], s[20:21], 2
	s_add_u32 s22, s7, s22
	s_addc_u32 s23, s10, s23
	global_load_dword v2, v36, s[22:23]
	s_waitcnt vmcnt(0)
	ds_write_b32 v3, v2
.LBB42_5:
	s_or_b64 exec, exec, s[0:1]
	s_add_i32 s0, s25, 15
	s_ashr_i32 s1, s0, 31
	s_lshr_b32 s1, s1, 28
	s_add_i32 s0, s0, s1
	s_lshl_b32 s10, s8, 5
	s_mul_i32 s1, s16, s2
	s_ashr_i32 s7, s0, 4
	s_add_i32 s0, s10, 32
	s_sub_i32 s1, s3, s1
	s_min_i32 s21, s0, s7
	s_xor_b32 s0, s17, s18
	s_add_i32 s3, s16, 1
	s_waitcnt lgkmcnt(0)
	s_sub_i32 s12, s1, s2
	s_cmp_ge_u32 s1, s2
	s_cselect_b32 s3, s3, s16
	s_cselect_b32 s1, s12, s1
	s_add_i32 s12, s3, 1
	s_cmp_ge_u32 s1, s2
	s_load_dwordx2 s[26:27], s[4:5], 0x38
	s_load_dword s2, s[4:5], 0x48
	v_lshrrev_b32_e32 v37, 6, v0
	s_cselect_b32 s1, s12, s3
	s_xor_b32 s1, s1, s0
	v_or_b32_e32 v38, s10, v37
	s_waitcnt lgkmcnt(0)
	s_mul_i32 s28, s24, s2
	s_sub_i32 s15, s1, s0
	s_ashr_i32 s29, s28, 31
	v_cmp_gt_i32_e64 s[0:1], s21, v38
	v_cmp_le_i32_e32 vcc, s21, v38
	v_mbcnt_lo_u32_b32 v34, -1, 0
	s_barrier
	s_waitcnt lgkmcnt(0)
                                        ; implicit-def: $sgpr36
                                        ; implicit-def: $vgpr40
                                        ; implicit-def: $vgpr41
	s_and_saveexec_b64 s[2:3], vcc
	s_xor_b64 s[2:3], exec, s[2:3]
; %bb.6:
	v_mbcnt_hi_u32_b32 v40, -1, v34
	v_and_b32_e32 v2, 64, v40
	v_add_u32_e32 v41, 64, v2
	s_mov_b32 s36, 0xff7fffff
                                        ; implicit-def: $vgpr34
; %bb.7:
	s_or_saveexec_b64 s[34:35], s[2:3]
	s_load_dwordx4 s[16:19], s[4:5], 0x0
	s_load_dwordx2 s[22:23], s[4:5], 0x10
	s_load_dwordx2 s[30:31], s[4:5], 0x28
	s_load_dword s12, s[4:5], 0x98
	v_mov_b32_e32 v44, s36
	s_mul_i32 s14, s15, s14
	v_ashrrev_i32_e32 v39, 31, v38
	s_xor_b64 exec, exec, s[34:35]
	s_cbranch_execz .LBB42_13
; %bb.8:
	s_load_dwordx2 s[2:3], s[4:5], 0x20
	s_ashr_i32 s15, s14, 31
	s_lshl_b64 s[4:5], s[14:15], 2
	v_bfe_u32 v35, v0, 2, 4
	v_lshlrev_b32_e32 v2, 4, v35
	s_waitcnt lgkmcnt(0)
	s_add_u32 s2, s2, s4
	s_addc_u32 s3, s3, s5
	v_mov_b32_e32 v3, s3
	v_add_co_u32_e32 v2, vcc, s2, v2
	v_addc_co_u32_e32 v3, vcc, 0, v3, vcc
	v_lshlrev_b32_e32 v4, 2, v51
	v_mbcnt_hi_u32_b32 v40, -1, v34
	v_add_co_u32_e32 v42, vcc, v2, v4
	v_lshlrev_b32_e32 v30, 7, v51
	v_and_b32_e32 v34, 64, v40
	v_addc_co_u32_e32 v43, vcc, 0, v3, vcc
	ds_read_b128 v[2:5], v30
	ds_read_b128 v[6:9], v30 offset:16
	ds_read_b128 v[10:13], v30 offset:32
	;; [unrolled: 1-line block ×7, first 2 shown]
	v_add_u32_e32 v41, 64, v34
	v_xor_b32_e32 v34, 2, v40
	v_cmp_lt_i32_e32 vcc, v34, v41
	v_cndmask_b32_e32 v34, v40, v34, vcc
	v_lshlrev_b32_e32 v45, 2, v34
	v_xor_b32_e32 v34, 1, v40
	v_cmp_lt_i32_e32 vcc, v34, v41
	v_cndmask_b32_e32 v34, v40, v34, vcc
	v_lshlrev_b32_e32 v44, 2, v35
	v_lshlrev_b32_e32 v46, 2, v34
	s_sub_i32 s15, 1, s25
	v_lshlrev_b32_e32 v34, 4, v37
	s_lshl_b64 s[4:5], s[28:29], 2
	v_add3_u32 v47, s33, v34, v35
	v_lshl_or_b32 v34, v37, 6, v44
	s_add_u32 s4, s26, s4
	v_add_u32_e32 v48, 0x210, v34
	v_lshlrev_b64 v[34:35], 2, v[38:39]
	s_addc_u32 s5, s27, s5
	v_mov_b32_e32 v44, s5
	v_add_co_u32_e64 v34, s[4:5], s4, v34
	s_mov_b32 s41, s13
	v_cmp_eq_u32_e32 vcc, 0, v51
	v_cmp_neq_f32_e64 s[2:3], s40, 0
	v_addc_co_u32_e64 v35, s[4:5], v44, v35, s[4:5]
	s_mov_b64 s[36:37], 0
	v_mov_b32_e32 v44, 0xff7fffff
	s_movk_i32 s42, 0x1000
	v_mov_b32_e32 v49, v38
	s_branch .LBB42_10
.LBB42_9:                               ;   in Loop: Header=BB42_10 Depth=1
	s_or_b64 exec, exec, s[38:39]
	v_add_u32_e32 v49, 2, v49
	v_cmp_le_i32_e64 s[4:5], s21, v49
	s_or_b64 s[36:37], s[4:5], s[36:37]
	v_add_co_u32_e64 v34, s[4:5], 8, v34
	v_add_u32_e32 v47, 32, v47
	v_add_u32_e32 v48, 0x80, v48
	v_addc_co_u32_e64 v35, s[4:5], 0, v35, s[4:5]
	s_andn2_b64 exec, exec, s[36:37]
	s_cbranch_execz .LBB42_12
.LBB42_10:                              ; =>This Inner Loop Header: Depth=1
	global_load_dword v52, v[34:35], off
	s_waitcnt vmcnt(0) lgkmcnt(0)
	v_mad_i64_i32 v[52:53], s[4:5], v52, s41, 0
	v_lshlrev_b64 v[52:53], 2, v[52:53]
	v_add_co_u32_e64 v52, s[4:5], v42, v52
	v_addc_co_u32_e64 v53, s[4:5], v43, v53, s[4:5]
	global_load_dword v54, v[52:53], off
	global_load_dword v55, v[52:53], off offset:256
	global_load_dword v56, v[52:53], off offset:512
	global_load_dword v57, v[52:53], off offset:768
	global_load_dword v58, v[52:53], off offset:1024
	global_load_dword v59, v[52:53], off offset:1280
	global_load_dword v60, v[52:53], off offset:1536
	global_load_dword v61, v[52:53], off offset:1792
	global_load_dword v62, v[52:53], off offset:2048
	global_load_dword v63, v[52:53], off offset:2304
	global_load_dword v64, v[52:53], off offset:2560
	global_load_dword v65, v[52:53], off offset:2816
	global_load_dword v66, v[52:53], off offset:3072
	global_load_dword v67, v[52:53], off offset:3328
	global_load_dword v68, v[52:53], off offset:3584
	global_load_dword v69, v[52:53], off offset:3840
	v_add_co_u32_e64 v52, s[4:5], s42, v52
	v_addc_co_u32_e64 v53, s[4:5], 0, v53, s[4:5]
	global_load_dword v70, v[52:53], off
	global_load_dword v71, v[52:53], off offset:256
	global_load_dword v72, v[52:53], off offset:512
	;; [unrolled: 1-line block ×14, first 2 shown]
	s_nop 0
	global_load_dword v52, v[52:53], off offset:3840
	s_waitcnt vmcnt(30) lgkmcnt(7)
	v_mul_f32_e32 v53, v3, v55
	v_fmac_f32_e32 v53, v2, v54
	s_waitcnt vmcnt(29)
	v_fmac_f32_e32 v53, v4, v56
	s_waitcnt vmcnt(28)
	v_fmac_f32_e32 v53, v5, v57
	s_waitcnt vmcnt(27) lgkmcnt(6)
	v_fmac_f32_e32 v53, v6, v58
	s_waitcnt vmcnt(26)
	v_fmac_f32_e32 v53, v7, v59
	s_waitcnt vmcnt(25)
	v_fmac_f32_e32 v53, v8, v60
	s_waitcnt vmcnt(24)
	v_fmac_f32_e32 v53, v9, v61
	s_waitcnt vmcnt(23) lgkmcnt(5)
	v_fmac_f32_e32 v53, v10, v62
	s_waitcnt vmcnt(22)
	;; [unrolled: 8-line block ×7, first 2 shown]
	v_fmac_f32_e32 v53, v31, v83
	s_waitcnt vmcnt(1)
	v_fmac_f32_e32 v53, v32, v84
	s_waitcnt vmcnt(0)
	v_fmac_f32_e32 v53, v33, v52
	ds_bpermute_b32 v52, v45, v53
	s_waitcnt lgkmcnt(0)
	v_add_f32_e32 v52, v53, v52
	ds_bpermute_b32 v53, v46, v52
	s_and_saveexec_b64 s[38:39], vcc
	s_cbranch_execz .LBB42_9
; %bb.11:                               ;   in Loop: Header=BB42_10 Depth=1
	v_add_u32_e32 v54, s15, v47
	v_cvt_f32_i32_e32 v54, v54
	s_waitcnt lgkmcnt(0)
	v_add_f32_e32 v52, v52, v53
	v_cmp_gt_i32_e64 s[4:5], s25, v47
	v_max_f32_e32 v53, v44, v44
	v_mul_f32_e32 v54, s40, v54
	v_cndmask_b32_e64 v54, 0, v54, s[2:3]
	v_fmac_f32_e32 v54, s11, v52
	v_cndmask_b32_e64 v52, 0, v54, s[4:5]
	ds_write_b32 v48, v52
	v_max_f32_e32 v52, v53, v54
	v_cndmask_b32_e64 v44, v44, v52, s[4:5]
	s_branch .LBB42_9
.LBB42_12:
	s_or_b64 exec, exec, s[36:37]
.LBB42_13:
	s_or_b64 exec, exec, s[34:35]
	v_xor_b32_e32 v2, 32, v40
	v_cmp_lt_i32_e32 vcc, v2, v41
	v_cndmask_b32_e32 v2, v40, v2, vcc
	v_lshlrev_b32_e32 v2, 2, v2
	ds_bpermute_b32 v3, v2, v44
	v_xor_b32_e32 v5, 16, v40
	v_max_f32_e32 v4, v44, v44
	v_cmp_lt_i32_e32 vcc, v5, v41
	v_xor_b32_e32 v6, 8, v40
	s_waitcnt lgkmcnt(0)
	v_max_f32_e32 v3, v3, v3
	v_max_f32_e32 v4, v4, v3
	v_cndmask_b32_e32 v3, v40, v5, vcc
	v_lshlrev_b32_e32 v3, 2, v3
	ds_bpermute_b32 v5, v3, v4
	v_cmp_lt_i32_e32 vcc, v6, v41
	v_and_b32_e32 v52, 63, v0
	s_waitcnt lgkmcnt(0)
	v_max_f32_e32 v5, v5, v5
	v_max_f32_e32 v4, v4, v5
	v_cndmask_b32_e32 v5, v40, v6, vcc
	v_lshlrev_b32_e32 v7, 2, v5
	ds_bpermute_b32 v5, v7, v4
	v_xor_b32_e32 v6, 4, v40
	v_cmp_lt_i32_e32 vcc, v6, v41
	s_waitcnt lgkmcnt(0)
	v_max_f32_e32 v5, v5, v5
	v_max_f32_e32 v4, v4, v5
	v_cndmask_b32_e32 v5, v40, v6, vcc
	v_lshlrev_b32_e32 v8, 2, v5
	ds_bpermute_b32 v6, v8, v4
	v_cmp_eq_u32_e32 vcc, 0, v52
	v_lshlrev_b32_e32 v5, 2, v37
	s_and_saveexec_b64 s[2:3], vcc
	s_cbranch_execz .LBB42_15
; %bb.14:
	s_waitcnt lgkmcnt(0)
	v_max_f32_e32 v6, v6, v6
	v_max_f32_e32 v4, v4, v4
	;; [unrolled: 1-line block ×3, first 2 shown]
	ds_write_b32 v5, v4 offset:512
.LBB42_15:
	s_or_b64 exec, exec, s[2:3]
	v_cmp_gt_u32_e64 s[2:3], 2, v52
	v_mov_b32_e32 v4, 0xff7fffff
	s_waitcnt lgkmcnt(0)
	v_lshlrev_b32_e32 v6, 2, v52
	s_barrier
	s_and_saveexec_b64 s[4:5], s[2:3]
	s_cbranch_execz .LBB42_17
; %bb.16:
	ds_read_b32 v4, v6 offset:512
.LBB42_17:
	s_or_b64 exec, exec, s[4:5]
	v_xor_b32_e32 v9, 1, v40
	v_cmp_lt_i32_e64 s[4:5], v9, v41
	v_cndmask_b32_e64 v9, v40, v9, s[4:5]
	v_lshlrev_b32_e32 v53, 2, v9
	s_waitcnt lgkmcnt(0)
	ds_bpermute_b32 v9, v53, v4
	v_max_f32_e32 v4, v4, v4
	s_sub_i32 s4, s21, s10
	s_lshl_b32 s4, s4, 4
	s_add_i32 s4, s4, s33
	s_waitcnt lgkmcnt(0)
	v_max_f32_e32 v9, v9, v9
	v_max_f32_e32 v4, v4, v9
	v_lshlrev_b32_e32 v9, 2, v40
	v_and_b32_e32 v9, 0xffffff00, v9
	ds_bpermute_b32 v4, v9, v4
	s_min_i32 s38, s4, s25
	s_sub_i32 s15, s38, s33
	v_cmp_gt_i32_e64 s[4:5], s15, v0
	v_mov_b32_e32 v10, 0
	s_and_saveexec_b64 s[34:35], s[4:5]
	s_cbranch_execz .LBB42_21
; %bb.18:
	v_mov_b32_e32 v10, 0x210
	v_lshl_add_u32 v11, v0, 2, v10
	s_mov_b64 s[36:37], 0
	v_mov_b32_e32 v10, 0
	v_mov_b32_e32 v12, v0
.LBB42_19:                              ; =>This Inner Loop Header: Depth=1
	ds_read_b32 v13, v11
	v_add_u32_e32 v12, 0x80, v12
	v_cmp_le_i32_e64 s[10:11], s15, v12
	s_or_b64 s[36:37], s[10:11], s[36:37]
	s_waitcnt lgkmcnt(0)
	v_sub_f32_e32 v13, v13, v4
	v_mul_f32_e32 v13, 0x3fb8aa3b, v13
	v_exp_f32_e32 v13, v13
	ds_write_b32 v11, v13
	v_add_f32_e32 v10, v10, v13
	v_add_u32_e32 v11, 0x200, v11
	s_andn2_b64 exec, exec, s[36:37]
	s_cbranch_execnz .LBB42_19
; %bb.20:
	s_or_b64 exec, exec, s[36:37]
.LBB42_21:
	s_or_b64 exec, exec, s[34:35]
	ds_bpermute_b32 v2, v2, v10
	s_waitcnt lgkmcnt(0)
	v_add_f32_e32 v2, v10, v2
	ds_bpermute_b32 v3, v3, v2
	s_waitcnt lgkmcnt(0)
	v_add_f32_e32 v2, v2, v3
	ds_bpermute_b32 v3, v7, v2
	v_xor_b32_e32 v7, 2, v40
	v_cmp_lt_i32_e64 s[10:11], v7, v41
	v_cndmask_b32_e64 v7, v40, v7, s[10:11]
	v_lshlrev_b32_e32 v54, 2, v7
	s_waitcnt lgkmcnt(0)
	v_add_f32_e32 v2, v2, v3
	ds_bpermute_b32 v3, v8, v2
	s_waitcnt lgkmcnt(0)
	v_add_f32_e32 v2, v2, v3
	ds_bpermute_b32 v3, v54, v2
	;; [unrolled: 3-line block ×3, first 2 shown]
	s_waitcnt lgkmcnt(0)
	v_add_f32_e32 v2, v2, v3
	s_and_saveexec_b64 s[10:11], vcc
	s_cbranch_execz .LBB42_23
; %bb.22:
	ds_write_b32 v5, v2 offset:520
.LBB42_23:
	s_or_b64 exec, exec, s[10:11]
	s_waitcnt lgkmcnt(0)
	s_barrier
	s_and_saveexec_b64 s[10:11], s[2:3]
	s_cbranch_execz .LBB42_25
; %bb.24:
	ds_read_b32 v2, v6 offset:520
.LBB42_25:
	s_or_b64 exec, exec, s[10:11]
	s_waitcnt lgkmcnt(0)
	ds_bpermute_b32 v3, v53, v2
	s_waitcnt lgkmcnt(0)
	v_add_f32_e32 v2, v2, v3
	ds_bpermute_b32 v5, v9, v2
	s_and_saveexec_b64 s[2:3], s[4:5]
	s_cbranch_execz .LBB42_38
; %bb.26:
	s_waitcnt lgkmcnt(0)
	v_add_f32_e32 v2, 0x358637bd, v5
	v_div_scale_f32 v3, s[4:5], v2, v2, 1.0
	v_rcp_f32_e32 v6, v3
	v_div_scale_f32 v7, vcc, 1.0, v2, 1.0
	s_movk_i32 s4, 0x7f
	v_fma_f32 v8, -v3, v6, 1.0
	v_fmac_f32_e32 v6, v8, v6
	v_mul_f32_e32 v8, v7, v6
	v_fma_f32 v9, -v3, v8, v7
	v_fmac_f32_e32 v8, v9, v6
	v_fma_f32 v3, -v3, v8, v7
	v_div_fmas_f32 v3, v3, v6, v8
	v_div_fixup_f32 v2, v3, v2, 1.0
	v_xad_u32 v3, v0, -1, s38
	v_subrev_u32_e32 v6, s33, v3
	v_cmp_lt_u32_e32 vcc, s4, v6
	s_mov_b64 s[10:11], -1
	v_mov_b32_e32 v3, v0
	s_and_saveexec_b64 s[4:5], vcc
	s_cbranch_execz .LBB42_35
; %bb.27:
	v_lshrrev_b32_e32 v6, 7, v6
	v_add_u32_e32 v8, -1, v6
	v_lshrrev_b32_e32 v7, 1, v8
	v_mov_b32_e32 v3, v2
	v_add_u32_e32 v7, 1, v7
	v_cmp_lt_u32_e32 vcc, 13, v8
	v_mov_b32_e32 v10, 0
	s_and_saveexec_b64 s[10:11], vcc
	s_cbranch_execz .LBB42_31
; %bb.28:
	v_mov_b32_e32 v9, 0x210
	v_and_b32_e32 v8, -8, v7
	v_lshl_add_u32 v9, v0, 2, v9
	s_mov_b32 s36, 0
	s_mov_b64 s[34:35], 0
.LBB42_29:                              ; =>This Inner Loop Header: Depth=1
	ds_read2st64_b32 v[10:11], v9 offset1:2
	ds_read2st64_b32 v[12:13], v9 offset0:4 offset1:6
	ds_read2st64_b32 v[14:15], v9 offset0:8 offset1:10
	;; [unrolled: 1-line block ×3, first 2 shown]
	v_add_u32_e32 v8, -8, v8
	s_waitcnt lgkmcnt(3)
	v_pk_mul_f32 v[10:11], v[2:3], v[10:11]
	s_waitcnt lgkmcnt(2)
	v_pk_mul_f32 v[12:13], v[2:3], v[12:13]
	ds_write2st64_b32 v9, v10, v11 offset1:2
	ds_write2st64_b32 v9, v12, v13 offset0:4 offset1:6
	ds_read2st64_b32 v[12:13], v9 offset0:16 offset1:18
	s_waitcnt lgkmcnt(4)
	v_pk_mul_f32 v[10:11], v[2:3], v[14:15]
	ds_write2st64_b32 v9, v10, v11 offset0:8 offset1:10
	s_waitcnt lgkmcnt(4)
	v_pk_mul_f32 v[10:11], v[2:3], v[16:17]
	ds_write2st64_b32 v9, v10, v11 offset0:12 offset1:14
	ds_read2st64_b32 v[10:11], v9 offset0:20 offset1:22
	s_waitcnt lgkmcnt(3)
	v_pk_mul_f32 v[12:13], v[2:3], v[12:13]
	ds_read2st64_b32 v[14:15], v9 offset0:24 offset1:26
	ds_write2st64_b32 v9, v12, v13 offset0:16 offset1:18
	ds_read2st64_b32 v[12:13], v9 offset0:28 offset1:30
	s_waitcnt lgkmcnt(3)
	v_pk_mul_f32 v[10:11], v[2:3], v[10:11]
	ds_write2st64_b32 v9, v10, v11 offset0:20 offset1:22
	s_waitcnt lgkmcnt(3)
	v_pk_mul_f32 v[10:11], v[2:3], v[14:15]
	ds_write2st64_b32 v9, v10, v11 offset0:24 offset1:26
	s_waitcnt lgkmcnt(2)
	v_pk_mul_f32 v[10:11], v[2:3], v[12:13]
	s_add_i32 s36, s36, 16
	v_cmp_eq_u32_e32 vcc, 0, v8
	ds_write2st64_b32 v9, v10, v11 offset0:28 offset1:30
	v_add_u32_e32 v9, 0x2000, v9
	s_or_b64 s[34:35], vcc, s[34:35]
	v_mov_b32_e32 v10, s36
	s_andn2_b64 exec, exec, s[34:35]
	s_cbranch_execnz .LBB42_29
; %bb.30:
	s_or_b64 exec, exec, s[34:35]
.LBB42_31:
	s_or_b64 exec, exec, s[10:11]
	v_and_b32_e32 v7, 7, v7
	v_cmp_ne_u32_e32 vcc, 0, v7
	s_and_saveexec_b64 s[10:11], vcc
	s_cbranch_execz .LBB42_34
; %bb.32:
	v_lshlrev_b32_e32 v8, 9, v10
	s_movk_i32 s34, 0x210
	v_add3_u32 v8, v8, v36, s34
	s_mov_b64 s[34:35], 0
.LBB42_33:                              ; =>This Inner Loop Header: Depth=1
	ds_read2st64_b32 v[10:11], v8 offset1:2
	v_add_u32_e32 v7, -1, v7
	v_cmp_eq_u32_e32 vcc, 0, v7
	s_or_b64 s[34:35], vcc, s[34:35]
	s_waitcnt lgkmcnt(0)
	v_pk_mul_f32 v[10:11], v[2:3], v[10:11]
	ds_write2st64_b32 v8, v10, v11 offset1:2
	v_add_u32_e32 v8, 0x400, v8
	s_andn2_b64 exec, exec, s[34:35]
	s_cbranch_execnz .LBB42_33
.LBB42_34:
	s_or_b64 exec, exec, s[10:11]
	v_add_u32_e32 v6, 1, v6
	v_and_b32_e32 v7, 0x3fffffe, v6
	v_cmp_ne_u32_e32 vcc, v6, v7
	v_lshl_add_u32 v3, v7, 7, v0
	s_orn2_b64 s[10:11], vcc, exec
.LBB42_35:
	s_or_b64 exec, exec, s[4:5]
	s_and_b64 exec, exec, s[10:11]
	s_cbranch_execz .LBB42_38
; %bb.36:
	v_mov_b32_e32 v6, 0x210
	v_lshl_add_u32 v6, v3, 2, v6
	s_mov_b64 s[4:5], 0
.LBB42_37:                              ; =>This Inner Loop Header: Depth=1
	ds_read_b32 v7, v6
	v_add_u32_e32 v3, 0x80, v3
	v_cmp_le_i32_e32 vcc, s15, v3
	s_or_b64 s[4:5], vcc, s[4:5]
	s_waitcnt lgkmcnt(0)
	v_mul_f32_e32 v7, v2, v7
	ds_write_b32 v6, v7
	v_add_u32_e32 v6, 0x200, v6
	s_andn2_b64 exec, exec, s[4:5]
	s_cbranch_execnz .LBB42_37
.LBB42_38:
	s_or_b64 exec, exec, s[2:3]
	s_mul_i32 s2, s12, s24
	v_cmp_eq_u32_e32 vcc, 0, v0
	s_mul_i32 s2, s2, s9
	s_waitcnt lgkmcnt(0)
	s_barrier
	s_and_saveexec_b64 s[4:5], vcc
	s_cbranch_execz .LBB42_40
; %bb.39:
	s_ashr_i32 s3, s2, 31
	s_lshl_b64 s[10:11], s[2:3], 2
	s_add_u32 s3, s18, s10
	s_mul_i32 s18, s12, s6
	s_addc_u32 s9, s19, s11
	s_ashr_i32 s19, s18, 31
	s_lshl_b64 s[18:19], s[18:19], 2
	s_add_u32 s3, s3, s18
	s_addc_u32 s6, s9, s19
	s_ashr_i32 s9, s8, 31
	s_lshl_b64 s[34:35], s[8:9], 2
	s_add_u32 s36, s3, s34
	s_addc_u32 s37, s6, s35
	s_add_u32 s3, s16, s10
	s_addc_u32 s6, s17, s11
	;; [unrolled: 2-line block ×3, first 2 shown]
	s_add_u32 s10, s3, s34
	v_mov_b32_e32 v2, 0
	s_addc_u32 s11, s6, s35
	global_store_dword v2, v4, s[36:37]
	global_store_dword v2, v5, s[10:11]
.LBB42_40:
	s_or_b64 exec, exec, s[4:5]
	v_mov_b32_e32 v43, 0
	v_mov_b32_e32 v42, 0
	;; [unrolled: 1-line block ×8, first 2 shown]
	s_and_saveexec_b64 s[4:5], s[0:1]
	s_cbranch_execz .LBB42_60
; %bb.41:
	s_ashr_i32 s15, s14, 31
	s_lshl_b64 s[0:1], s[14:15], 2
	s_add_u32 s9, s30, s0
	v_and_b32_e32 v3, 12, v36
	s_mov_b32 s3, s13
	s_addc_u32 s10, s31, s1
	s_add_i32 s13, s7, -1
	v_lshl_add_u32 v5, v37, 4, s33
	s_lshl_b64 s[0:1], s[28:29], 2
	v_add3_u32 v55, v5, v3, 3
	v_lshlrev_b32_e32 v3, 4, v51
	s_add_u32 s0, s26, s0
	v_and_b32_e32 v2, 0xfc, v36
	v_lshl_or_b32 v3, v37, 6, v3
	v_lshlrev_b64 v[12:13], 2, v[38:39]
	s_addc_u32 s1, s27, s1
	v_mov_b32_e32 v40, 0
	v_or_b32_e32 v4, 0x400, v2
	v_or_b32_e32 v6, 0x500, v2
	;; [unrolled: 1-line block ×4, first 2 shown]
	v_add_u32_e32 v56, 0x210, v3
	v_mov_b32_e32 v3, s1
	v_add_co_u32_e32 v48, vcc, s0, v12
	v_addc_co_u32_e32 v49, vcc, v3, v13, vcc
	s_mov_b64 s[6:7], 0
	v_mov_b32_e32 v39, s10
	v_lshlrev_b32_e32 v57, 2, v2
	v_lshlrev_b32_e32 v58, 2, v4
	v_lshlrev_b32_e32 v59, 2, v6
	v_lshlrev_b32_e32 v60, 2, v8
	v_lshlrev_b32_e32 v61, 2, v10
	v_mov_b32_e32 v41, v40
	v_mov_b32_e32 v46, v40
	;; [unrolled: 1-line block ×7, first 2 shown]
	s_branch .LBB42_43
.LBB42_42:                              ;   in Loop: Header=BB42_43 Depth=1
	s_or_b64 exec, exec, s[0:1]
	s_waitcnt vmcnt(7) lgkmcnt(0)
	v_mul_f32_e32 v7, v3, v7
	v_fmac_f32_e32 v7, v2, v6
	s_waitcnt vmcnt(6)
	v_mul_f32_e32 v6, v3, v11
	v_fmac_f32_e32 v6, v2, v10
	v_fmac_f32_e32 v6, v4, v12
	v_fmac_f32_e32 v6, v5, v13
	v_add_f32_e32 v41, v41, v6
	s_waitcnt vmcnt(5)
	v_mul_f32_e32 v6, v3, v15
	v_fmac_f32_e32 v6, v2, v14
	v_fmac_f32_e32 v6, v4, v16
	v_fmac_f32_e32 v6, v5, v17
	v_add_f32_e32 v46, v46, v6
	;; [unrolled: 6-line block ×5, first 2 shown]
	s_waitcnt vmcnt(1)
	v_mul_f32_e32 v6, v3, v31
	s_waitcnt vmcnt(0)
	v_mul_f32_e32 v3, v3, v35
	v_fmac_f32_e32 v6, v2, v30
	v_fmac_f32_e32 v3, v2, v34
	v_add_u32_e32 v38, 2, v38
	v_fmac_f32_e32 v7, v4, v8
	v_fmac_f32_e32 v6, v4, v32
	;; [unrolled: 1-line block ×3, first 2 shown]
	v_cmp_le_i32_e32 vcc, s21, v38
	v_fmac_f32_e32 v7, v5, v9
	v_fmac_f32_e32 v6, v5, v33
	;; [unrolled: 1-line block ×3, first 2 shown]
	s_or_b64 s[6:7], vcc, s[6:7]
	v_add_co_u32_e32 v48, vcc, 8, v48
	v_add_f32_e32 v40, v40, v7
	v_add_f32_e32 v42, v42, v6
	;; [unrolled: 1-line block ×3, first 2 shown]
	v_add_u32_e32 v55, 32, v55
	v_add_u32_e32 v56, 0x80, v56
	v_addc_co_u32_e32 v49, vcc, 0, v49, vcc
	s_andn2_b64 exec, exec, s[6:7]
	s_cbranch_execz .LBB42_59
.LBB42_43:                              ; =>This Inner Loop Header: Depth=1
	global_load_dword v2, v[48:49], off
	v_add_u32_e32 v62, -3, v55
	v_add_u32_e32 v64, -2, v55
	;; [unrolled: 1-line block ×3, first 2 shown]
	s_waitcnt vmcnt(0)
	v_mad_i64_i32 v[2:3], s[0:1], v2, s3, 0
	v_lshlrev_b64 v[2:3], 2, v[2:3]
	v_add_co_u32_e32 v34, vcc, s9, v2
	v_addc_co_u32_e32 v35, vcc, v39, v3, vcc
	v_add_co_u32_e32 v18, vcc, v34, v57
	v_addc_co_u32_e32 v19, vcc, 0, v35, vcc
	global_load_dwordx4 v[6:9], v[18:19], off
	ds_read_b128 v[2:5], v56
	v_cmp_eq_u32_e32 vcc, s13, v38
	s_and_saveexec_b64 s[10:11], vcc
	s_cbranch_execnz .LBB42_56
; %bb.44:                               ;   in Loop: Header=BB42_43 Depth=1
	s_or_b64 exec, exec, s[10:11]
	global_load_dwordx4 v[10:13], v[18:19], off offset:1024
	s_and_saveexec_b64 s[10:11], vcc
	s_cbranch_execnz .LBB42_57
.LBB42_45:                              ;   in Loop: Header=BB42_43 Depth=1
	s_or_b64 exec, exec, s[10:11]
	global_load_dwordx4 v[14:17], v[18:19], off offset:2048
	s_and_saveexec_b64 s[10:11], vcc
	s_cbranch_execnz .LBB42_58
.LBB42_46:                              ;   in Loop: Header=BB42_43 Depth=1
	s_or_b64 exec, exec, s[10:11]
	global_load_dwordx4 v[18:21], v[18:19], off offset:3072
	s_and_saveexec_b64 s[10:11], vcc
	s_cbranch_execz .LBB42_48
.LBB42_47:                              ;   in Loop: Header=BB42_43 Depth=1
	v_cmp_gt_i32_e64 s[0:1], s25, v62
	s_waitcnt vmcnt(0)
	v_cndmask_b32_e64 v18, 0, v18, s[0:1]
	v_cmp_gt_i32_e64 s[0:1], s25, v64
	v_cndmask_b32_e64 v19, 0, v19, s[0:1]
	v_cmp_gt_i32_e64 s[0:1], s25, v63
	;; [unrolled: 2-line block ×3, first 2 shown]
	v_cndmask_b32_e64 v21, 0, v21, s[0:1]
.LBB42_48:                              ;   in Loop: Header=BB42_43 Depth=1
	s_or_b64 exec, exec, s[10:11]
	v_add_co_u32_e64 v22, s[0:1], v34, v58
	v_addc_co_u32_e64 v23, s[0:1], 0, v35, s[0:1]
	global_load_dwordx4 v[22:25], v[22:23], off
	s_and_saveexec_b64 s[10:11], vcc
	s_cbranch_execz .LBB42_50
; %bb.49:                               ;   in Loop: Header=BB42_43 Depth=1
	v_cmp_gt_i32_e64 s[0:1], s25, v62
	s_waitcnt vmcnt(0)
	v_cndmask_b32_e64 v22, 0, v22, s[0:1]
	v_cmp_gt_i32_e64 s[0:1], s25, v64
	v_cndmask_b32_e64 v23, 0, v23, s[0:1]
	v_cmp_gt_i32_e64 s[0:1], s25, v63
	v_cndmask_b32_e64 v24, 0, v24, s[0:1]
	v_cmp_gt_i32_e64 s[0:1], s25, v55
	v_cndmask_b32_e64 v25, 0, v25, s[0:1]
.LBB42_50:                              ;   in Loop: Header=BB42_43 Depth=1
	s_or_b64 exec, exec, s[10:11]
	v_add_co_u32_e64 v26, s[0:1], v34, v59
	v_addc_co_u32_e64 v27, s[0:1], 0, v35, s[0:1]
	global_load_dwordx4 v[26:29], v[26:27], off
	s_and_saveexec_b64 s[10:11], vcc
	s_cbranch_execz .LBB42_52
; %bb.51:                               ;   in Loop: Header=BB42_43 Depth=1
	v_cmp_gt_i32_e64 s[0:1], s25, v62
	s_waitcnt vmcnt(0)
	v_cndmask_b32_e64 v26, 0, v26, s[0:1]
	v_cmp_gt_i32_e64 s[0:1], s25, v64
	v_cndmask_b32_e64 v27, 0, v27, s[0:1]
	v_cmp_gt_i32_e64 s[0:1], s25, v63
	v_cndmask_b32_e64 v28, 0, v28, s[0:1]
	v_cmp_gt_i32_e64 s[0:1], s25, v55
	v_cndmask_b32_e64 v29, 0, v29, s[0:1]
.LBB42_52:                              ;   in Loop: Header=BB42_43 Depth=1
	;; [unrolled: 17-line block ×3, first 2 shown]
	s_or_b64 exec, exec, s[10:11]
	v_add_co_u32_e64 v34, s[0:1], v34, v61
	v_addc_co_u32_e64 v35, s[0:1], 0, v35, s[0:1]
	global_load_dwordx4 v[34:37], v[34:35], off
	s_and_saveexec_b64 s[0:1], vcc
	s_cbranch_execz .LBB42_42
; %bb.55:                               ;   in Loop: Header=BB42_43 Depth=1
	v_cmp_gt_i32_e32 vcc, s25, v62
	s_waitcnt vmcnt(0)
	v_cndmask_b32_e32 v34, 0, v34, vcc
	v_cmp_gt_i32_e32 vcc, s25, v64
	v_cndmask_b32_e32 v35, 0, v35, vcc
	v_cmp_gt_i32_e32 vcc, s25, v63
	;; [unrolled: 2-line block ×3, first 2 shown]
	v_cndmask_b32_e32 v37, 0, v37, vcc
	s_branch .LBB42_42
.LBB42_56:                              ;   in Loop: Header=BB42_43 Depth=1
	v_cmp_gt_i32_e64 s[0:1], s25, v62
	s_waitcnt vmcnt(0)
	v_cndmask_b32_e64 v6, 0, v6, s[0:1]
	v_cmp_gt_i32_e64 s[0:1], s25, v64
	v_cndmask_b32_e64 v7, 0, v7, s[0:1]
	v_cmp_gt_i32_e64 s[0:1], s25, v63
	;; [unrolled: 2-line block ×3, first 2 shown]
	v_cndmask_b32_e64 v9, 0, v9, s[0:1]
	s_or_b64 exec, exec, s[10:11]
	global_load_dwordx4 v[10:13], v[18:19], off offset:1024
	s_and_saveexec_b64 s[10:11], vcc
	s_cbranch_execz .LBB42_45
.LBB42_57:                              ;   in Loop: Header=BB42_43 Depth=1
	v_cmp_gt_i32_e64 s[0:1], s25, v62
	s_waitcnt vmcnt(0)
	v_cndmask_b32_e64 v10, 0, v10, s[0:1]
	v_cmp_gt_i32_e64 s[0:1], s25, v64
	v_cndmask_b32_e64 v11, 0, v11, s[0:1]
	v_cmp_gt_i32_e64 s[0:1], s25, v63
	;; [unrolled: 2-line block ×3, first 2 shown]
	v_cndmask_b32_e64 v13, 0, v13, s[0:1]
	s_or_b64 exec, exec, s[10:11]
	global_load_dwordx4 v[14:17], v[18:19], off offset:2048
	s_and_saveexec_b64 s[10:11], vcc
	s_cbranch_execz .LBB42_46
.LBB42_58:                              ;   in Loop: Header=BB42_43 Depth=1
	v_cmp_gt_i32_e64 s[0:1], s25, v62
	s_waitcnt vmcnt(0)
	v_cndmask_b32_e64 v14, 0, v14, s[0:1]
	v_cmp_gt_i32_e64 s[0:1], s25, v64
	v_cndmask_b32_e64 v15, 0, v15, s[0:1]
	v_cmp_gt_i32_e64 s[0:1], s25, v63
	;; [unrolled: 2-line block ×3, first 2 shown]
	v_cndmask_b32_e64 v17, 0, v17, s[0:1]
	s_or_b64 exec, exec, s[10:11]
	global_load_dwordx4 v[18:21], v[18:19], off offset:3072
	s_and_saveexec_b64 s[10:11], vcc
	s_cbranch_execnz .LBB42_47
	s_branch .LBB42_48
.LBB42_59:
	s_or_b64 exec, exec, s[6:7]
.LBB42_60:
	s_or_b64 exec, exec, s[4:5]
	ds_bpermute_b32 v2, v54, v40
	ds_bpermute_b32 v3, v54, v41
	;; [unrolled: 1-line block ×8, first 2 shown]
	s_waitcnt lgkmcnt(6)
	v_pk_add_f32 v[2:3], v[40:41], v[2:3]
	s_waitcnt lgkmcnt(4)
	v_pk_add_f32 v[4:5], v[46:47], v[4:5]
	ds_bpermute_b32 v6, v53, v2
	ds_bpermute_b32 v7, v53, v3
	;; [unrolled: 1-line block ×4, first 2 shown]
	s_waitcnt lgkmcnt(6)
	v_pk_add_f32 v[14:15], v[44:45], v[8:9]
	s_waitcnt lgkmcnt(4)
	v_pk_add_f32 v[12:13], v[42:43], v[12:13]
	ds_bpermute_b32 v16, v53, v14
	ds_bpermute_b32 v17, v53, v15
	;; [unrolled: 1-line block ×4, first 2 shown]
	s_waitcnt lgkmcnt(6)
	v_pk_add_f32 v[8:9], v[2:3], v[6:7]
	s_waitcnt lgkmcnt(4)
	v_pk_add_f32 v[6:7], v[4:5], v[10:11]
	v_and_b32_e32 v10, 0x3c3, v0
	s_waitcnt lgkmcnt(2)
	v_pk_add_f32 v[2:3], v[14:15], v[16:17]
	s_waitcnt lgkmcnt(0)
	v_pk_add_f32 v[4:5], v[12:13], v[18:19]
	v_cmp_eq_u32_e32 vcc, 64, v10
	s_barrier
	s_and_saveexec_b64 s[0:1], vcc
	s_cbranch_execz .LBB42_62
; %bb.61:
	v_add_u32_e32 v11, 0x210, v52
	ds_write2_b32 v11, v8, v9 offset1:16
	ds_write2_b32 v11, v6, v7 offset0:32 offset1:48
	ds_write2_b32 v11, v2, v3 offset0:64 offset1:80
	;; [unrolled: 1-line block ×3, first 2 shown]
.LBB42_62:
	s_or_b64 exec, exec, s[0:1]
	v_cmp_gt_u32_e32 vcc, 64, v0
	s_waitcnt lgkmcnt(0)
	s_barrier
	s_and_saveexec_b64 s[0:1], vcc
	s_cbranch_execz .LBB42_73
; %bb.63:
	v_cmp_eq_u32_e32 vcc, 0, v51
	s_and_saveexec_b64 s[4:5], vcc
	s_cbranch_execnz .LBB42_76
; %bb.64:
	s_or_b64 exec, exec, s[4:5]
	s_and_saveexec_b64 s[4:5], vcc
	s_cbranch_execnz .LBB42_77
.LBB42_65:
	s_or_b64 exec, exec, s[4:5]
	s_and_saveexec_b64 s[4:5], vcc
	s_cbranch_execnz .LBB42_78
.LBB42_66:
	s_or_b64 exec, exec, s[4:5]
	s_and_saveexec_b64 s[4:5], vcc
	s_cbranch_execnz .LBB42_79
.LBB42_67:
	s_or_b64 exec, exec, s[4:5]
	s_and_saveexec_b64 s[4:5], vcc
	s_cbranch_execnz .LBB42_80
.LBB42_68:
	s_or_b64 exec, exec, s[4:5]
	s_and_saveexec_b64 s[4:5], vcc
	s_cbranch_execnz .LBB42_81
.LBB42_69:
	s_or_b64 exec, exec, s[4:5]
	s_and_saveexec_b64 s[4:5], vcc
	s_cbranch_execnz .LBB42_82
.LBB42_70:
	s_or_b64 exec, exec, s[4:5]
	s_and_saveexec_b64 s[4:5], vcc
	s_cbranch_execz .LBB42_72
.LBB42_71:
	v_mov_b32_e32 v0, 0x210
	v_lshl_add_u32 v0, v50, 2, v0
	ds_read_b32 v0, v0 offset:448
	s_waitcnt lgkmcnt(0)
	v_add_f32_e32 v5, v5, v0
.LBB42_72:
	s_or_b64 exec, exec, s[4:5]
.LBB42_73:
	s_or_b64 exec, exec, s[0:1]
	v_cmp_eq_u32_e32 vcc, 0, v10
	s_barrier
	s_and_saveexec_b64 s[0:1], vcc
	s_cbranch_execz .LBB42_75
; %bb.74:
	s_lshl_b32 s0, s2, 7
	s_ashr_i32 s1, s0, 31
	s_lshl_b64 s[0:1], s[0:1], 2
	s_add_u32 s2, s22, s0
	s_mul_i32 s0, s12, s20
	s_addc_u32 s3, s23, s1
	s_ashr_i32 s1, s0, 31
	s_lshl_b64 s[0:1], s[0:1], 2
	s_add_u32 s2, s2, s0
	s_addc_u32 s3, s3, s1
	s_lshl_b32 s0, s8, 7
	s_ashr_i32 s1, s0, 31
	s_lshl_b64 s[0:1], s[0:1], 2
	s_add_u32 s0, s2, s0
	s_addc_u32 s1, s3, s1
	global_store_dword v1, v8, s[0:1]
	global_store_dword v1, v9, s[0:1] offset:64
	global_store_dword v1, v6, s[0:1] offset:128
	;; [unrolled: 1-line block ×7, first 2 shown]
.LBB42_75:
	s_endpgm
.LBB42_76:
	v_mov_b32_e32 v0, 0x210
	v_lshl_add_u32 v0, v50, 2, v0
	ds_read_b32 v0, v0
	s_waitcnt lgkmcnt(0)
	v_add_f32_e32 v8, v8, v0
	s_or_b64 exec, exec, s[4:5]
	s_and_saveexec_b64 s[4:5], vcc
	s_cbranch_execz .LBB42_65
.LBB42_77:
	v_mov_b32_e32 v0, 0x210
	v_lshl_add_u32 v0, v50, 2, v0
	ds_read_b32 v0, v0 offset:64
	s_waitcnt lgkmcnt(0)
	v_add_f32_e32 v9, v9, v0
	s_or_b64 exec, exec, s[4:5]
	s_and_saveexec_b64 s[4:5], vcc
	s_cbranch_execz .LBB42_66
.LBB42_78:
	v_mov_b32_e32 v0, 0x210
	v_lshl_add_u32 v0, v50, 2, v0
	ds_read_b32 v0, v0 offset:128
	s_waitcnt lgkmcnt(0)
	v_add_f32_e32 v6, v6, v0
	s_or_b64 exec, exec, s[4:5]
	s_and_saveexec_b64 s[4:5], vcc
	s_cbranch_execz .LBB42_67
.LBB42_79:
	v_mov_b32_e32 v0, 0x210
	v_lshl_add_u32 v0, v50, 2, v0
	ds_read_b32 v0, v0 offset:192
	s_waitcnt lgkmcnt(0)
	v_add_f32_e32 v7, v7, v0
	s_or_b64 exec, exec, s[4:5]
	s_and_saveexec_b64 s[4:5], vcc
	s_cbranch_execz .LBB42_68
.LBB42_80:
	v_mov_b32_e32 v0, 0x210
	v_lshl_add_u32 v0, v50, 2, v0
	ds_read_b32 v0, v0 offset:256
	s_waitcnt lgkmcnt(0)
	v_add_f32_e32 v2, v2, v0
	s_or_b64 exec, exec, s[4:5]
	s_and_saveexec_b64 s[4:5], vcc
	s_cbranch_execz .LBB42_69
.LBB42_81:
	v_mov_b32_e32 v0, 0x210
	v_lshl_add_u32 v0, v50, 2, v0
	ds_read_b32 v0, v0 offset:320
	s_waitcnt lgkmcnt(0)
	v_add_f32_e32 v3, v3, v0
	s_or_b64 exec, exec, s[4:5]
	s_and_saveexec_b64 s[4:5], vcc
	s_cbranch_execz .LBB42_70
.LBB42_82:
	v_mov_b32_e32 v0, 0x210
	v_lshl_add_u32 v0, v50, 2, v0
	ds_read_b32 v0, v0 offset:384
	s_waitcnt lgkmcnt(0)
	v_add_f32_e32 v4, v4, v0
	s_or_b64 exec, exec, s[4:5]
	s_and_saveexec_b64 s[4:5], vcc
	s_cbranch_execnz .LBB42_71
	s_branch .LBB42_72
	.section	.rodata,"a",@progbits
	.p2align	6, 0x0
	.amdhsa_kernel _ZN4vllm25paged_attention_v2_kernelIffLi128ELi16ELi128ELNS_18Fp8KVCacheDataTypeE0ELb0ELi512EEEvPfS2_PT_PKS3_PKT0_S9_ifPKiSB_iPKfiiiSD_SD_iiiii
		.amdhsa_group_segment_fixed_size 528
		.amdhsa_private_segment_fixed_size 0
		.amdhsa_kernarg_size 400
		.amdhsa_user_sgpr_count 6
		.amdhsa_user_sgpr_private_segment_buffer 1
		.amdhsa_user_sgpr_dispatch_ptr 0
		.amdhsa_user_sgpr_queue_ptr 0
		.amdhsa_user_sgpr_kernarg_segment_ptr 1
		.amdhsa_user_sgpr_dispatch_id 0
		.amdhsa_user_sgpr_flat_scratch_init 0
		.amdhsa_user_sgpr_kernarg_preload_length 0
		.amdhsa_user_sgpr_kernarg_preload_offset 0
		.amdhsa_user_sgpr_private_segment_size 0
		.amdhsa_uses_dynamic_stack 0
		.amdhsa_system_sgpr_private_segment_wavefront_offset 0
		.amdhsa_system_sgpr_workgroup_id_x 1
		.amdhsa_system_sgpr_workgroup_id_y 1
		.amdhsa_system_sgpr_workgroup_id_z 1
		.amdhsa_system_sgpr_workgroup_info 0
		.amdhsa_system_vgpr_workitem_id 0
		.amdhsa_next_free_vgpr 85
		.amdhsa_next_free_sgpr 43
		.amdhsa_accum_offset 88
		.amdhsa_reserve_vcc 1
		.amdhsa_reserve_flat_scratch 0
		.amdhsa_float_round_mode_32 0
		.amdhsa_float_round_mode_16_64 0
		.amdhsa_float_denorm_mode_32 3
		.amdhsa_float_denorm_mode_16_64 3
		.amdhsa_dx10_clamp 1
		.amdhsa_ieee_mode 1
		.amdhsa_fp16_overflow 0
		.amdhsa_tg_split 0
		.amdhsa_exception_fp_ieee_invalid_op 0
		.amdhsa_exception_fp_denorm_src 0
		.amdhsa_exception_fp_ieee_div_zero 0
		.amdhsa_exception_fp_ieee_overflow 0
		.amdhsa_exception_fp_ieee_underflow 0
		.amdhsa_exception_fp_ieee_inexact 0
		.amdhsa_exception_int_div_zero 0
	.end_amdhsa_kernel
	.section	.text._ZN4vllm25paged_attention_v2_kernelIffLi128ELi16ELi128ELNS_18Fp8KVCacheDataTypeE0ELb0ELi512EEEvPfS2_PT_PKS3_PKT0_S9_ifPKiSB_iPKfiiiSD_SD_iiiii,"axG",@progbits,_ZN4vllm25paged_attention_v2_kernelIffLi128ELi16ELi128ELNS_18Fp8KVCacheDataTypeE0ELb0ELi512EEEvPfS2_PT_PKS3_PKT0_S9_ifPKiSB_iPKfiiiSD_SD_iiiii,comdat
.Lfunc_end42:
	.size	_ZN4vllm25paged_attention_v2_kernelIffLi128ELi16ELi128ELNS_18Fp8KVCacheDataTypeE0ELb0ELi512EEEvPfS2_PT_PKS3_PKT0_S9_ifPKiSB_iPKfiiiSD_SD_iiiii, .Lfunc_end42-_ZN4vllm25paged_attention_v2_kernelIffLi128ELi16ELi128ELNS_18Fp8KVCacheDataTypeE0ELb0ELi512EEEvPfS2_PT_PKS3_PKT0_S9_ifPKiSB_iPKfiiiSD_SD_iiiii
                                        ; -- End function
	.section	.AMDGPU.csdata,"",@progbits
; Kernel info:
; codeLenInByte = 5408
; NumSgprs: 47
; NumVgprs: 85
; NumAgprs: 0
; TotalNumVgprs: 85
; ScratchSize: 0
; MemoryBound: 0
; FloatMode: 240
; IeeeMode: 1
; LDSByteSize: 528 bytes/workgroup (compile time only)
; SGPRBlocks: 5
; VGPRBlocks: 10
; NumSGPRsForWavesPerEU: 47
; NumVGPRsForWavesPerEU: 85
; AccumOffset: 88
; Occupancy: 5
; WaveLimiterHint : 1
; COMPUTE_PGM_RSRC2:SCRATCH_EN: 0
; COMPUTE_PGM_RSRC2:USER_SGPR: 6
; COMPUTE_PGM_RSRC2:TRAP_HANDLER: 0
; COMPUTE_PGM_RSRC2:TGID_X_EN: 1
; COMPUTE_PGM_RSRC2:TGID_Y_EN: 1
; COMPUTE_PGM_RSRC2:TGID_Z_EN: 1
; COMPUTE_PGM_RSRC2:TIDIG_COMP_CNT: 0
; COMPUTE_PGM_RSRC3_GFX90A:ACCUM_OFFSET: 21
; COMPUTE_PGM_RSRC3_GFX90A:TG_SPLIT: 0
	.section	.text._ZN4vllm25paged_attention_v2_kernelIffLi192ELi16ELi128ELNS_18Fp8KVCacheDataTypeE0ELb0ELi512EEEvPfS2_PT_PKS3_PKT0_S9_ifPKiSB_iPKfiiiSD_SD_iiiii,"axG",@progbits,_ZN4vllm25paged_attention_v2_kernelIffLi192ELi16ELi128ELNS_18Fp8KVCacheDataTypeE0ELb0ELi512EEEvPfS2_PT_PKS3_PKT0_S9_ifPKiSB_iPKfiiiSD_SD_iiiii,comdat
	.protected	_ZN4vllm25paged_attention_v2_kernelIffLi192ELi16ELi128ELNS_18Fp8KVCacheDataTypeE0ELb0ELi512EEEvPfS2_PT_PKS3_PKT0_S9_ifPKiSB_iPKfiiiSD_SD_iiiii ; -- Begin function _ZN4vllm25paged_attention_v2_kernelIffLi192ELi16ELi128ELNS_18Fp8KVCacheDataTypeE0ELb0ELi512EEEvPfS2_PT_PKS3_PKT0_S9_ifPKiSB_iPKfiiiSD_SD_iiiii
	.globl	_ZN4vllm25paged_attention_v2_kernelIffLi192ELi16ELi128ELNS_18Fp8KVCacheDataTypeE0ELb0ELi512EEEvPfS2_PT_PKS3_PKT0_S9_ifPKiSB_iPKfiiiSD_SD_iiiii
	.p2align	8
	.type	_ZN4vllm25paged_attention_v2_kernelIffLi192ELi16ELi128ELNS_18Fp8KVCacheDataTypeE0ELb0ELi512EEEvPfS2_PT_PKS3_PKT0_S9_ifPKiSB_iPKfiiiSD_SD_iiiii,@function
_ZN4vllm25paged_attention_v2_kernelIffLi192ELi16ELi128ELNS_18Fp8KVCacheDataTypeE0ELb0ELi512EEEvPfS2_PT_PKS3_PKT0_S9_ifPKiSB_iPKfiiiSD_SD_iiiii: ; @_ZN4vllm25paged_attention_v2_kernelIffLi192ELi16ELi128ELNS_18Fp8KVCacheDataTypeE0ELb0ELi512EEEvPfS2_PT_PKS3_PKT0_S9_ifPKiSB_iPKfiiiSD_SD_iiiii
; %bb.0:
	s_load_dwordx2 s[0:1], s[4:5], 0x40
	s_mov_b32 s30, s7
	s_ashr_i32 s31, s7, 31
	s_lshl_b64 s[2:3], s[30:31], 2
	s_waitcnt lgkmcnt(0)
	s_add_u32 s0, s0, s2
	s_addc_u32 s1, s1, s3
	s_load_dword s33, s[0:1], 0x0
	s_lshl_b32 s40, s8, 9
	s_waitcnt lgkmcnt(0)
	s_cmp_ge_i32 s40, s33
	s_cbranch_scc1 .LBB43_90
; %bb.1:
	s_load_dword s9, s[4:5], 0x90
	s_load_dwordx2 s[10:11], s[4:5], 0x30
	s_waitcnt lgkmcnt(0)
	s_abs_i32 s2, s9
	s_abs_i32 s0, s10
	v_cvt_f32_u32_e32 v1, s0
	s_sub_i32 s3, 0, s0
	s_xor_b32 s1, s9, s10
	s_ashr_i32 s1, s1, 31
	v_rcp_iflag_f32_e32 v1, v1
	v_mul_f32_e32 v1, 0x4f7ffffe, v1
	v_cvt_u32_f32_e32 v1, v1
	v_readfirstlane_b32 s7, v1
	s_mul_i32 s3, s3, s7
	s_mul_hi_u32 s3, s7, s3
	s_add_i32 s7, s7, s3
	s_mul_hi_u32 s3, s2, s7
	s_mul_i32 s7, s3, s0
	s_sub_i32 s2, s2, s7
	s_add_i32 s10, s3, 1
	s_sub_i32 s7, s2, s0
	s_cmp_ge_u32 s2, s0
	s_cselect_b32 s3, s10, s3
	s_cselect_b32 s2, s7, s2
	s_add_i32 s7, s3, 1
	s_cmp_ge_u32 s2, s0
	s_cselect_b32 s0, s7, s3
	s_xor_b32 s0, s0, s1
	s_sub_i32 s36, s0, s1
	s_abs_i32 s34, s36
	v_cvt_f32_u32_e32 v1, s34
	s_load_dwordx2 s[0:1], s[4:5], 0x50
	s_sub_i32 s2, 0, s34
	s_abs_i32 s35, s6
	v_rcp_iflag_f32_e32 v1, v1
	s_mov_b32 s10, 0
	v_mul_f32_e32 v1, 0x4f7ffffe, v1
	v_cvt_u32_f32_e32 v1, v1
	v_readfirstlane_b32 s3, v1
	s_mul_i32 s2, s2, s3
	s_mul_hi_u32 s2, s3, s2
	s_add_i32 s2, s3, s2
	s_waitcnt lgkmcnt(0)
	s_cmp_eq_u64 s[0:1], 0
	s_cbranch_scc1 .LBB43_3
; %bb.2:
	s_ashr_i32 s7, s6, 31
	s_lshl_b64 s[12:13], s[6:7], 2
	s_add_u32 s0, s0, s12
	s_addc_u32 s1, s1, s13
	s_load_dword s10, s[0:1], 0x0
.LBB43_3:
	s_load_dwordx4 s[20:23], s[4:5], 0x0
	s_load_dwordx2 s[24:25], s[4:5], 0x10
	s_load_dwordx4 s[12:15], s[4:5], 0x20
	s_load_dwordx2 s[28:29], s[4:5], 0x38
	s_load_dword s31, s[4:5], 0x98
	s_load_dwordx4 s[16:19], s[4:5], 0x58
	s_mul_hi_u32 s37, s35, s2
	v_lshrrev_b32_e32 v70, 2, v0
	s_movk_i32 s2, 0xc0
	s_mul_i32 s26, s6, 0xc0
	v_and_b32_e32 v71, 3, v0
	s_ashr_i32 s27, s26, 31
	v_cmp_gt_u32_e32 vcc, s2, v0
	v_lshlrev_b32_e32 v1, 2, v70
	s_and_saveexec_b64 s[0:1], vcc
	s_cbranch_execz .LBB43_6
; %bb.4:
	s_load_dwordx2 s[38:39], s[4:5], 0x18
	s_waitcnt lgkmcnt(0)
	s_mul_i32 s42, s30, s16
	s_ashr_i32 s43, s42, 31
	v_mad_u32_u24 v5, v71, s2, v1
	s_lshl_b64 s[2:3], s[42:43], 2
	s_lshl_b64 s[42:43], s[26:27], 2
	s_add_u32 s2, s2, s42
	s_addc_u32 s3, s3, s43
	v_or_b32_e32 v2, v1, v71
	s_add_u32 s2, s38, s2
	v_lshlrev_b32_e32 v2, 2, v2
	s_addc_u32 s3, s39, s3
	v_mov_b32_e32 v3, s3
	v_add_co_u32_e32 v2, vcc, s2, v2
	v_subrev_u32_e32 v4, 32, v70
	v_addc_co_u32_e32 v3, vcc, 0, v3, vcc
	s_mov_b64 s[2:3], 0
.LBB43_5:                               ; =>This Inner Loop Header: Depth=1
	global_load_dword v6, v[2:3], off
	v_add_co_u32_e32 v2, vcc, 0x200, v2
	v_add_u32_e32 v4, 32, v4
	v_addc_co_u32_e32 v3, vcc, 0, v3, vcc
	v_cmp_lt_u32_e32 vcc, 15, v4
	s_or_b64 s[2:3], vcc, s[2:3]
	s_waitcnt vmcnt(0)
	ds_write_b32 v5, v6
	v_add_u32_e32 v5, 0x80, v5
	s_andn2_b64 exec, exec, s[2:3]
	s_cbranch_execnz .LBB43_5
.LBB43_6:
	s_or_b64 exec, exec, s[0:1]
	s_add_i32 s2, s33, 15
	s_ashr_i32 s3, s2, 31
	s_ashr_i32 s0, s6, 31
	;; [unrolled: 1-line block ×3, first 2 shown]
	s_lshr_b32 s3, s3, 28
	s_add_i32 s2, s2, s3
	s_lshl_b32 s27, s8, 5
	s_xor_b32 s0, s0, s1
	s_mul_i32 s1, s37, s34
	s_ashr_i32 s7, s2, 4
	s_add_i32 s2, s27, 32
	s_sub_i32 s1, s35, s1
	s_waitcnt lgkmcnt(0)
	s_min_i32 s16, s2, s7
	s_add_i32 s2, s37, 1
	s_sub_i32 s3, s1, s34
	s_cmp_ge_u32 s1, s34
	s_cselect_b32 s2, s2, s37
	s_cselect_b32 s1, s3, s1
	s_add_i32 s3, s2, 1
	s_cmp_ge_u32 s1, s34
	s_cselect_b32 s1, s3, s2
	s_load_dword s2, s[4:5], 0x48
	v_lshrrev_b32_e32 v52, 6, v0
	s_xor_b32 s1, s1, s0
	v_or_b32_e32 v54, s27, v52
	s_sub_i32 s4, s1, s0
	s_waitcnt lgkmcnt(0)
	s_mul_i32 s34, s30, s2
	s_ashr_i32 s35, s34, 31
	v_cmp_gt_i32_e64 s[0:1], s16, v54
	v_cmp_le_i32_e32 vcc, s16, v54
	v_mbcnt_lo_u32_b32 v42, -1, 0
	s_barrier
	s_waitcnt lgkmcnt(0)
                                        ; implicit-def: $sgpr5
                                        ; implicit-def: $vgpr53
                                        ; implicit-def: $vgpr56
	s_and_saveexec_b64 s[2:3], vcc
	s_xor_b64 s[2:3], exec, s[2:3]
; %bb.7:
	v_mbcnt_hi_u32_b32 v53, -1, v42
	v_and_b32_e32 v2, 64, v53
	v_add_u32_e32 v56, 64, v2
	s_mov_b32 s5, 0xff7fffff
                                        ; implicit-def: $vgpr42
; %bb.8:
	s_or_saveexec_b64 s[36:37], s[2:3]
	v_mov_b32_e32 v61, s5
	s_mul_i32 s18, s4, s18
	v_ashrrev_i32_e32 v55, 31, v54
	s_xor_b64 exec, exec, s[36:37]
	s_cbranch_execz .LBB43_14
; %bb.9:
	s_ashr_i32 s19, s18, 31
	s_lshl_b64 s[2:3], s[18:19], 2
	v_bfe_u32 v43, v0, 2, 4
	s_add_u32 s2, s12, s2
	s_addc_u32 s3, s13, s3
	v_lshlrev_b32_e32 v2, 4, v43
	v_mov_b32_e32 v3, s3
	v_add_co_u32_e32 v2, vcc, s2, v2
	v_addc_co_u32_e32 v3, vcc, 0, v3, vcc
	v_lshlrev_b32_e32 v4, 2, v71
	v_mbcnt_hi_u32_b32 v53, -1, v42
	v_add_co_u32_e32 v57, vcc, v2, v4
	v_and_b32_e32 v42, 64, v53
	v_addc_co_u32_e32 v58, vcc, 0, v3, vcc
	v_add_u32_e32 v56, 64, v42
	v_xor_b32_e32 v42, 2, v53
	v_mul_u32_u24_e32 v46, 0xc0, v71
	v_cmp_lt_i32_e32 vcc, v42, v56
	ds_read_b128 v[2:5], v46
	ds_read_b128 v[6:9], v46 offset:16
	ds_read_b128 v[10:13], v46 offset:32
	;; [unrolled: 1-line block ×9, first 2 shown]
	v_cndmask_b32_e32 v42, v53, v42, vcc
	v_lshlrev_b32_e32 v59, 2, v42
	v_xor_b32_e32 v42, 1, v53
	v_cmp_lt_i32_e32 vcc, v42, v56
	v_cndmask_b32_e32 v42, v53, v42, vcc
	v_lshlrev_b32_e32 v44, 2, v43
	v_lshlrev_b32_e32 v60, 2, v42
	s_sub_i32 s19, 1, s33
	v_lshlrev_b32_e32 v42, 4, v52
	s_lshl_b64 s[4:5], s[34:35], 2
	v_add3_u32 v62, s40, v42, v43
	v_lshl_or_b32 v42, v52, 6, v44
	s_add_u32 s4, s28, s4
	v_add_u32_e32 v63, 0x310, v42
	v_lshlrev_b64 v[42:43], 2, v[54:55]
	s_addc_u32 s5, s29, s5
	v_mov_b32_e32 v44, s5
	v_add_co_u32_e64 v50, s[4:5], s4, v42
	v_addc_co_u32_e64 v51, s[4:5], v44, v43, s[4:5]
	ds_read_b128 v[42:45], v46 offset:160
	ds_read_b128 v[46:49], v46 offset:176
	s_mov_b32 s41, s17
	v_cmp_eq_u32_e32 vcc, 0, v71
	v_cmp_neq_f32_e64 s[2:3], s10, 0
	s_mov_b64 s[12:13], 0
	v_mov_b32_e32 v61, 0xff7fffff
	s_movk_i32 s42, 0x1000
	s_movk_i32 s43, 0x2000
	v_mov_b32_e32 v64, v54
	s_branch .LBB43_11
.LBB43_10:                              ;   in Loop: Header=BB43_11 Depth=1
	s_or_b64 exec, exec, s[38:39]
	v_add_u32_e32 v64, 2, v64
	v_cmp_le_i32_e64 s[4:5], s16, v64
	s_or_b64 s[12:13], s[4:5], s[12:13]
	v_add_co_u32_e64 v50, s[4:5], 8, v50
	v_add_u32_e32 v62, 32, v62
	v_add_u32_e32 v63, 0x80, v63
	v_addc_co_u32_e64 v51, s[4:5], 0, v51, s[4:5]
	s_andn2_b64 exec, exec, s[12:13]
	s_cbranch_execz .LBB43_13
.LBB43_11:                              ; =>This Inner Loop Header: Depth=1
	global_load_dword v65, v[50:51], off
	s_waitcnt vmcnt(0) lgkmcnt(0)
	v_mad_i64_i32 v[66:67], s[4:5], v65, s41, 0
	v_lshlrev_b64 v[66:67], 2, v[66:67]
	v_add_co_u32_e64 v66, s[4:5], v57, v66
	v_addc_co_u32_e64 v67, s[4:5], v58, v67, s[4:5]
	global_load_dword v65, v[66:67], off
	global_load_dword v74, v[66:67], off offset:256
	global_load_dword v75, v[66:67], off offset:512
	global_load_dword v76, v[66:67], off offset:768
	global_load_dword v77, v[66:67], off offset:1024
	global_load_dword v78, v[66:67], off offset:1280
	global_load_dword v79, v[66:67], off offset:1536
	global_load_dword v80, v[66:67], off offset:1792
	v_add_co_u32_e64 v68, s[4:5], s42, v66
	v_addc_co_u32_e64 v69, s[4:5], 0, v67, s[4:5]
	v_add_co_u32_e64 v72, s[4:5], s43, v66
	v_addc_co_u32_e64 v73, s[4:5], 0, v67, s[4:5]
	global_load_dword v81, v[66:67], off offset:2048
	global_load_dword v82, v[66:67], off offset:2304
	;; [unrolled: 1-line block ×7, first 2 shown]
	s_nop 0
	global_load_dword v66, v[66:67], off offset:3840
	s_nop 0
	global_load_dword v67, v[72:73], off offset:-4096
	global_load_dword v88, v[68:69], off offset:256
	global_load_dword v89, v[68:69], off offset:512
	global_load_dword v90, v[68:69], off offset:768
	global_load_dword v91, v[68:69], off offset:1024
	global_load_dword v92, v[68:69], off offset:1280
	global_load_dword v93, v[68:69], off offset:1536
	global_load_dword v94, v[68:69], off offset:1792
	global_load_dword v95, v[68:69], off offset:2048
	global_load_dword v96, v[68:69], off offset:2304
	global_load_dword v97, v[68:69], off offset:2560
	global_load_dword v98, v[68:69], off offset:2816
	global_load_dword v99, v[68:69], off offset:3072
	global_load_dword v100, v[68:69], off offset:3328
	global_load_dword v101, v[68:69], off offset:3584
	s_nop 0
	global_load_dword v68, v[68:69], off offset:3840
	s_nop 0
	global_load_dword v69, v[72:73], off
	global_load_dword v102, v[72:73], off offset:256
	global_load_dword v103, v[72:73], off offset:512
	;; [unrolled: 1-line block ×14, first 2 shown]
	s_nop 0
	global_load_dword v72, v[72:73], off offset:3840
	s_waitcnt vmcnt(46) lgkmcnt(11)
	v_mul_f32_e32 v73, v3, v74
	v_fmac_f32_e32 v73, v2, v65
	s_waitcnt vmcnt(45)
	v_fmac_f32_e32 v73, v4, v75
	s_waitcnt vmcnt(44)
	v_fmac_f32_e32 v73, v5, v76
	s_waitcnt vmcnt(43) lgkmcnt(10)
	v_fmac_f32_e32 v73, v6, v77
	s_waitcnt vmcnt(42)
	v_fmac_f32_e32 v73, v7, v78
	s_waitcnt vmcnt(41)
	v_fmac_f32_e32 v73, v8, v79
	s_waitcnt vmcnt(40)
	v_fmac_f32_e32 v73, v9, v80
	s_waitcnt vmcnt(39) lgkmcnt(9)
	v_fmac_f32_e32 v73, v10, v81
	s_waitcnt vmcnt(38)
	;; [unrolled: 8-line block ×11, first 2 shown]
	v_fmac_f32_e32 v73, v47, v114
	s_waitcnt vmcnt(1)
	v_fmac_f32_e32 v73, v48, v115
	s_waitcnt vmcnt(0)
	v_fmac_f32_e32 v73, v49, v72
	ds_bpermute_b32 v65, v59, v73
	s_waitcnt lgkmcnt(0)
	v_add_f32_e32 v65, v73, v65
	ds_bpermute_b32 v66, v60, v65
	s_and_saveexec_b64 s[38:39], vcc
	s_cbranch_execz .LBB43_10
; %bb.12:                               ;   in Loop: Header=BB43_11 Depth=1
	v_add_u32_e32 v67, s19, v62
	v_cvt_f32_i32_e32 v67, v67
	s_waitcnt lgkmcnt(0)
	v_add_f32_e32 v65, v65, v66
	v_cmp_gt_i32_e64 s[4:5], s33, v62
	v_max_f32_e32 v66, v61, v61
	v_mul_f32_e32 v67, s10, v67
	v_cndmask_b32_e64 v67, 0, v67, s[2:3]
	v_fmac_f32_e32 v67, s11, v65
	v_cndmask_b32_e64 v65, 0, v67, s[4:5]
	ds_write_b32 v63, v65
	v_max_f32_e32 v65, v66, v67
	v_cndmask_b32_e64 v61, v61, v65, s[4:5]
	s_branch .LBB43_10
.LBB43_13:
	s_or_b64 exec, exec, s[12:13]
.LBB43_14:
	s_or_b64 exec, exec, s[36:37]
	v_xor_b32_e32 v2, 32, v53
	v_cmp_lt_i32_e32 vcc, v2, v56
	v_cndmask_b32_e32 v2, v53, v2, vcc
	v_lshlrev_b32_e32 v2, 2, v2
	ds_bpermute_b32 v3, v2, v61
	v_xor_b32_e32 v5, 16, v53
	v_max_f32_e32 v4, v61, v61
	v_cmp_lt_i32_e32 vcc, v5, v56
	v_xor_b32_e32 v6, 8, v53
	s_waitcnt lgkmcnt(0)
	v_max_f32_e32 v3, v3, v3
	v_max_f32_e32 v4, v4, v3
	v_cndmask_b32_e32 v3, v53, v5, vcc
	v_lshlrev_b32_e32 v3, 2, v3
	ds_bpermute_b32 v5, v3, v4
	v_cmp_lt_i32_e32 vcc, v6, v56
	v_and_b32_e32 v72, 63, v0
	s_waitcnt lgkmcnt(0)
	v_max_f32_e32 v5, v5, v5
	v_max_f32_e32 v4, v4, v5
	v_cndmask_b32_e32 v5, v53, v6, vcc
	v_lshlrev_b32_e32 v7, 2, v5
	ds_bpermute_b32 v5, v7, v4
	v_xor_b32_e32 v6, 4, v53
	v_cmp_lt_i32_e32 vcc, v6, v56
	s_waitcnt lgkmcnt(0)
	v_max_f32_e32 v5, v5, v5
	v_max_f32_e32 v4, v4, v5
	v_cndmask_b32_e32 v5, v53, v6, vcc
	v_lshlrev_b32_e32 v8, 2, v5
	ds_bpermute_b32 v6, v8, v4
	v_cmp_eq_u32_e32 vcc, 0, v72
	v_lshlrev_b32_e32 v5, 2, v52
	s_and_saveexec_b64 s[2:3], vcc
	s_cbranch_execz .LBB43_16
; %bb.15:
	s_waitcnt lgkmcnt(0)
	v_max_f32_e32 v6, v6, v6
	v_max_f32_e32 v4, v4, v4
	;; [unrolled: 1-line block ×3, first 2 shown]
	ds_write_b32 v5, v4 offset:768
.LBB43_16:
	s_or_b64 exec, exec, s[2:3]
	v_cmp_gt_u32_e64 s[2:3], 2, v72
	v_mov_b32_e32 v4, 0xff7fffff
	s_waitcnt lgkmcnt(0)
	v_lshlrev_b32_e32 v6, 2, v72
	s_barrier
	s_and_saveexec_b64 s[4:5], s[2:3]
	s_cbranch_execz .LBB43_18
; %bb.17:
	ds_read_b32 v4, v6 offset:768
.LBB43_18:
	s_or_b64 exec, exec, s[4:5]
	v_xor_b32_e32 v9, 1, v53
	v_cmp_lt_i32_e64 s[4:5], v9, v56
	v_cndmask_b32_e64 v9, v53, v9, s[4:5]
	v_lshlrev_b32_e32 v73, 2, v9
	s_waitcnt lgkmcnt(0)
	ds_bpermute_b32 v9, v73, v4
	v_max_f32_e32 v4, v4, v4
	s_sub_i32 s4, s16, s27
	s_lshl_b32 s4, s4, 4
	s_add_i32 s4, s4, s40
	s_waitcnt lgkmcnt(0)
	v_max_f32_e32 v9, v9, v9
	v_max_f32_e32 v4, v4, v9
	v_lshlrev_b32_e32 v9, 2, v53
	v_and_b32_e32 v9, 0xffffff00, v9
	ds_bpermute_b32 v4, v9, v4
	s_min_i32 s27, s4, s33
	s_sub_i32 s19, s27, s40
	v_cmp_gt_i32_e64 s[4:5], s19, v0
	v_mov_b32_e32 v10, 0
	s_and_saveexec_b64 s[12:13], s[4:5]
	s_cbranch_execz .LBB43_22
; %bb.19:
	v_mov_b32_e32 v10, 0x310
	v_lshl_add_u32 v11, v0, 2, v10
	s_mov_b64 s[36:37], 0
	v_mov_b32_e32 v10, 0
	v_mov_b32_e32 v12, v0
.LBB43_20:                              ; =>This Inner Loop Header: Depth=1
	ds_read_b32 v13, v11
	v_add_u32_e32 v12, 0x80, v12
	v_cmp_le_i32_e64 s[10:11], s19, v12
	s_or_b64 s[36:37], s[10:11], s[36:37]
	s_waitcnt lgkmcnt(0)
	v_sub_f32_e32 v13, v13, v4
	v_mul_f32_e32 v13, 0x3fb8aa3b, v13
	v_exp_f32_e32 v13, v13
	ds_write_b32 v11, v13
	v_add_f32_e32 v10, v10, v13
	v_add_u32_e32 v11, 0x200, v11
	s_andn2_b64 exec, exec, s[36:37]
	s_cbranch_execnz .LBB43_20
; %bb.21:
	s_or_b64 exec, exec, s[36:37]
.LBB43_22:
	s_or_b64 exec, exec, s[12:13]
	ds_bpermute_b32 v2, v2, v10
	s_waitcnt lgkmcnt(0)
	v_add_f32_e32 v2, v10, v2
	ds_bpermute_b32 v3, v3, v2
	s_waitcnt lgkmcnt(0)
	v_add_f32_e32 v2, v2, v3
	ds_bpermute_b32 v3, v7, v2
	v_xor_b32_e32 v7, 2, v53
	v_cmp_lt_i32_e64 s[10:11], v7, v56
	v_cndmask_b32_e64 v7, v53, v7, s[10:11]
	v_lshlrev_b32_e32 v74, 2, v7
	s_waitcnt lgkmcnt(0)
	v_add_f32_e32 v2, v2, v3
	ds_bpermute_b32 v3, v8, v2
	s_waitcnt lgkmcnt(0)
	v_add_f32_e32 v2, v2, v3
	ds_bpermute_b32 v3, v74, v2
	;; [unrolled: 3-line block ×3, first 2 shown]
	s_waitcnt lgkmcnt(0)
	v_add_f32_e32 v2, v2, v3
	s_and_saveexec_b64 s[10:11], vcc
	s_cbranch_execz .LBB43_24
; %bb.23:
	ds_write_b32 v5, v2 offset:776
.LBB43_24:
	s_or_b64 exec, exec, s[10:11]
	s_waitcnt lgkmcnt(0)
	s_barrier
	s_and_saveexec_b64 s[10:11], s[2:3]
	s_cbranch_execz .LBB43_26
; %bb.25:
	ds_read_b32 v2, v6 offset:776
.LBB43_26:
	s_or_b64 exec, exec, s[10:11]
	s_waitcnt lgkmcnt(0)
	ds_bpermute_b32 v3, v73, v2
	s_waitcnt lgkmcnt(0)
	v_add_f32_e32 v2, v2, v3
	ds_bpermute_b32 v5, v9, v2
	s_and_saveexec_b64 s[2:3], s[4:5]
	s_cbranch_execz .LBB43_39
; %bb.27:
	s_waitcnt lgkmcnt(0)
	v_add_f32_e32 v2, 0x358637bd, v5
	v_div_scale_f32 v3, s[4:5], v2, v2, 1.0
	v_rcp_f32_e32 v6, v3
	v_div_scale_f32 v7, vcc, 1.0, v2, 1.0
	s_movk_i32 s4, 0x7f
	v_fma_f32 v8, -v3, v6, 1.0
	v_fmac_f32_e32 v6, v8, v6
	v_mul_f32_e32 v8, v7, v6
	v_fma_f32 v9, -v3, v8, v7
	v_fmac_f32_e32 v8, v9, v6
	v_fma_f32 v3, -v3, v8, v7
	v_div_fmas_f32 v3, v3, v6, v8
	v_div_fixup_f32 v2, v3, v2, 1.0
	v_xad_u32 v3, v0, -1, s27
	v_subrev_u32_e32 v6, s40, v3
	v_cmp_lt_u32_e32 vcc, s4, v6
	s_mov_b64 s[10:11], -1
	v_mov_b32_e32 v3, v0
	s_and_saveexec_b64 s[4:5], vcc
	s_cbranch_execz .LBB43_36
; %bb.28:
	v_lshrrev_b32_e32 v6, 7, v6
	v_add_u32_e32 v8, -1, v6
	v_lshrrev_b32_e32 v7, 1, v8
	v_mov_b32_e32 v3, v2
	v_add_u32_e32 v7, 1, v7
	v_cmp_lt_u32_e32 vcc, 13, v8
	v_mov_b32_e32 v10, 0
	s_and_saveexec_b64 s[10:11], vcc
	s_cbranch_execz .LBB43_32
; %bb.29:
	v_mov_b32_e32 v9, 0x310
	v_and_b32_e32 v8, -8, v7
	v_lshl_add_u32 v9, v0, 2, v9
	s_mov_b32 s27, 0
	s_mov_b64 s[12:13], 0
.LBB43_30:                              ; =>This Inner Loop Header: Depth=1
	ds_read2st64_b32 v[10:11], v9 offset1:2
	ds_read2st64_b32 v[12:13], v9 offset0:4 offset1:6
	ds_read2st64_b32 v[14:15], v9 offset0:8 offset1:10
	;; [unrolled: 1-line block ×3, first 2 shown]
	v_add_u32_e32 v8, -8, v8
	s_waitcnt lgkmcnt(3)
	v_pk_mul_f32 v[10:11], v[2:3], v[10:11]
	s_waitcnt lgkmcnt(2)
	v_pk_mul_f32 v[12:13], v[2:3], v[12:13]
	ds_write2st64_b32 v9, v10, v11 offset1:2
	ds_write2st64_b32 v9, v12, v13 offset0:4 offset1:6
	ds_read2st64_b32 v[12:13], v9 offset0:16 offset1:18
	s_waitcnt lgkmcnt(4)
	v_pk_mul_f32 v[10:11], v[2:3], v[14:15]
	ds_write2st64_b32 v9, v10, v11 offset0:8 offset1:10
	s_waitcnt lgkmcnt(4)
	v_pk_mul_f32 v[10:11], v[2:3], v[16:17]
	ds_write2st64_b32 v9, v10, v11 offset0:12 offset1:14
	ds_read2st64_b32 v[10:11], v9 offset0:20 offset1:22
	s_waitcnt lgkmcnt(3)
	v_pk_mul_f32 v[12:13], v[2:3], v[12:13]
	ds_read2st64_b32 v[14:15], v9 offset0:24 offset1:26
	ds_write2st64_b32 v9, v12, v13 offset0:16 offset1:18
	ds_read2st64_b32 v[12:13], v9 offset0:28 offset1:30
	s_waitcnt lgkmcnt(3)
	v_pk_mul_f32 v[10:11], v[2:3], v[10:11]
	ds_write2st64_b32 v9, v10, v11 offset0:20 offset1:22
	s_waitcnt lgkmcnt(3)
	v_pk_mul_f32 v[10:11], v[2:3], v[14:15]
	ds_write2st64_b32 v9, v10, v11 offset0:24 offset1:26
	s_waitcnt lgkmcnt(2)
	v_pk_mul_f32 v[10:11], v[2:3], v[12:13]
	s_add_i32 s27, s27, 16
	v_cmp_eq_u32_e32 vcc, 0, v8
	ds_write2st64_b32 v9, v10, v11 offset0:28 offset1:30
	v_add_u32_e32 v9, 0x2000, v9
	s_or_b64 s[12:13], vcc, s[12:13]
	v_mov_b32_e32 v10, s27
	s_andn2_b64 exec, exec, s[12:13]
	s_cbranch_execnz .LBB43_30
; %bb.31:
	s_or_b64 exec, exec, s[12:13]
.LBB43_32:
	s_or_b64 exec, exec, s[10:11]
	v_and_b32_e32 v7, 7, v7
	v_cmp_ne_u32_e32 vcc, 0, v7
	s_and_saveexec_b64 s[10:11], vcc
	s_cbranch_execz .LBB43_35
; %bb.33:
	v_lshlrev_b32_e32 v8, 9, v10
	v_lshlrev_b32_e32 v9, 2, v0
	s_movk_i32 s12, 0x310
	v_add3_u32 v8, v8, v9, s12
	s_mov_b64 s[12:13], 0
.LBB43_34:                              ; =>This Inner Loop Header: Depth=1
	ds_read2st64_b32 v[10:11], v8 offset1:2
	v_add_u32_e32 v7, -1, v7
	v_cmp_eq_u32_e32 vcc, 0, v7
	s_or_b64 s[12:13], vcc, s[12:13]
	s_waitcnt lgkmcnt(0)
	v_pk_mul_f32 v[10:11], v[2:3], v[10:11]
	ds_write2st64_b32 v8, v10, v11 offset1:2
	v_add_u32_e32 v8, 0x400, v8
	s_andn2_b64 exec, exec, s[12:13]
	s_cbranch_execnz .LBB43_34
.LBB43_35:
	s_or_b64 exec, exec, s[10:11]
	v_add_u32_e32 v6, 1, v6
	v_and_b32_e32 v7, 0x3fffffe, v6
	v_cmp_ne_u32_e32 vcc, v6, v7
	v_lshl_add_u32 v3, v7, 7, v0
	s_orn2_b64 s[10:11], vcc, exec
.LBB43_36:
	s_or_b64 exec, exec, s[4:5]
	s_and_b64 exec, exec, s[10:11]
	s_cbranch_execz .LBB43_39
; %bb.37:
	v_mov_b32_e32 v6, 0x310
	v_lshl_add_u32 v6, v3, 2, v6
	s_mov_b64 s[4:5], 0
.LBB43_38:                              ; =>This Inner Loop Header: Depth=1
	ds_read_b32 v7, v6
	v_add_u32_e32 v3, 0x80, v3
	v_cmp_le_i32_e32 vcc, s19, v3
	s_or_b64 s[4:5], vcc, s[4:5]
	s_waitcnt lgkmcnt(0)
	v_mul_f32_e32 v7, v2, v7
	ds_write_b32 v6, v7
	v_add_u32_e32 v6, 0x200, v6
	s_andn2_b64 exec, exec, s[4:5]
	s_cbranch_execnz .LBB43_38
.LBB43_39:
	s_or_b64 exec, exec, s[2:3]
	s_mul_i32 s2, s31, s30
	v_cmp_eq_u32_e32 vcc, 0, v0
	s_mul_i32 s2, s2, s9
	s_waitcnt lgkmcnt(0)
	s_barrier
	s_and_saveexec_b64 s[4:5], vcc
	s_cbranch_execz .LBB43_41
; %bb.40:
	s_ashr_i32 s3, s2, 31
	s_lshl_b64 s[10:11], s[2:3], 2
	s_add_u32 s3, s22, s10
	s_mul_i32 s12, s31, s6
	s_addc_u32 s9, s23, s11
	s_ashr_i32 s13, s12, 31
	s_lshl_b64 s[12:13], s[12:13], 2
	s_add_u32 s3, s3, s12
	s_addc_u32 s6, s9, s13
	s_ashr_i32 s9, s8, 31
	s_lshl_b64 s[22:23], s[8:9], 2
	s_add_u32 s36, s3, s22
	s_addc_u32 s37, s6, s23
	s_add_u32 s3, s20, s10
	s_addc_u32 s6, s21, s11
	;; [unrolled: 2-line block ×3, first 2 shown]
	s_add_u32 s10, s3, s22
	v_mov_b32_e32 v2, 0
	s_addc_u32 s11, s6, s23
	global_store_dword v2, v4, s[36:37]
	global_store_dword v2, v5, s[10:11]
.LBB43_41:
	s_or_b64 exec, exec, s[4:5]
	v_mov_b32_e32 v57, 0
	v_mov_b32_e32 v56, 0
	;; [unrolled: 1-line block ×12, first 2 shown]
	s_and_saveexec_b64 s[4:5], s[0:1]
	s_cbranch_execz .LBB43_69
; %bb.42:
	s_ashr_i32 s19, s18, 31
	s_lshl_b64 s[0:1], s[18:19], 2
	v_lshlrev_b32_e32 v2, 2, v0
	s_add_u32 s9, s14, s0
	v_and_b32_e32 v3, 12, v2
	s_addc_u32 s10, s15, s1
	s_add_i32 s12, s7, -1
	v_lshl_add_u32 v5, v52, 4, s40
	s_lshl_b64 s[0:1], s[34:35], 2
	v_add3_u32 v75, v5, v3, 3
	v_lshlrev_b32_e32 v3, 4, v71
	s_add_u32 s0, s28, s0
	v_and_b32_e32 v2, 0xfc, v2
	v_lshl_or_b32 v3, v52, 6, v3
	v_lshlrev_b64 v[20:21], 2, v[54:55]
	s_addc_u32 s1, s29, s1
	v_mov_b32_e32 v57, 0
	v_or_b32_e32 v4, 0x400, v2
	v_or_b32_e32 v6, 0x500, v2
	v_or_b32_e32 v8, 0x600, v2
	v_or_b32_e32 v10, 0x700, v2
	v_or_b32_e32 v12, 0x800, v2
	v_or_b32_e32 v14, 0x900, v2
	v_or_b32_e32 v16, 0xa00, v2
	v_or_b32_e32 v18, 0xb00, v2
	v_add_u32_e32 v76, 0x310, v3
	v_mov_b32_e32 v3, s1
	v_add_co_u32_e32 v68, vcc, s0, v20
	s_mov_b32 s3, s17
	v_addc_co_u32_e32 v69, vcc, v3, v21, vcc
	s_mov_b64 s[6:7], 0
	v_lshlrev_b32_e32 v55, 2, v2
	v_lshlrev_b32_e32 v77, 2, v4
	;; [unrolled: 1-line block ×9, first 2 shown]
	v_mov_b32_e32 v85, s10
	v_mov_b32_e32 v56, v57
	;; [unrolled: 1-line block ×12, first 2 shown]
	s_branch .LBB43_44
.LBB43_43:                              ;   in Loop: Header=BB43_44 Depth=1
	s_or_b64 exec, exec, s[0:1]
	s_waitcnt vmcnt(1) lgkmcnt(0)
	v_mul_f32_e32 v51, v3, v51
	v_mul_f32_e32 v47, v3, v47
	;; [unrolled: 1-line block ×11, first 2 shown]
	s_waitcnt vmcnt(0)
	v_mul_f32_e32 v3, v3, v43
	v_fmac_f32_e32 v51, v2, v50
	v_fmac_f32_e32 v47, v2, v46
	v_fmac_f32_e32 v39, v2, v38
	v_fmac_f32_e32 v35, v2, v34
	v_fmac_f32_e32 v31, v2, v30
	v_fmac_f32_e32 v27, v2, v26
	v_fmac_f32_e32 v23, v2, v22
	v_fmac_f32_e32 v19, v2, v18
	v_fmac_f32_e32 v15, v2, v14
	v_fmac_f32_e32 v11, v2, v10
	v_fmac_f32_e32 v7, v2, v6
	v_fmac_f32_e32 v3, v2, v42
	v_add_u32_e32 v54, 2, v54
	v_fmac_f32_e32 v51, v4, v52
	v_fmac_f32_e32 v47, v4, v48
	;; [unrolled: 1-line block ×12, first 2 shown]
	v_cmp_le_i32_e32 vcc, s16, v54
	v_fmac_f32_e32 v51, v5, v53
	v_fmac_f32_e32 v47, v5, v49
	;; [unrolled: 1-line block ×12, first 2 shown]
	s_or_b64 s[6:7], vcc, s[6:7]
	v_add_co_u32_e32 v68, vcc, 8, v68
	v_add_f32_e32 v56, v56, v51
	v_add_f32_e32 v59, v59, v47
	;; [unrolled: 1-line block ×12, first 2 shown]
	v_add_u32_e32 v75, 32, v75
	v_add_u32_e32 v76, 0x80, v76
	v_addc_co_u32_e32 v69, vcc, 0, v69, vcc
	s_andn2_b64 exec, exec, s[6:7]
	s_cbranch_execz .LBB43_68
.LBB43_44:                              ; =>This Inner Loop Header: Depth=1
	global_load_dword v2, v[68:69], off
	v_add_u32_e32 v86, -3, v75
	v_add_u32_e32 v88, -2, v75
	;; [unrolled: 1-line block ×3, first 2 shown]
	s_waitcnt vmcnt(0)
	v_mad_i64_i32 v[2:3], s[0:1], v2, s3, 0
	v_lshlrev_b64 v[2:3], 2, v[2:3]
	v_add_co_u32_e32 v42, vcc, s9, v2
	v_addc_co_u32_e32 v43, vcc, v85, v3, vcc
	v_add_co_u32_e32 v18, vcc, v42, v55
	v_addc_co_u32_e32 v19, vcc, 0, v43, vcc
	global_load_dwordx4 v[6:9], v[18:19], off
	ds_read_b128 v[2:5], v76
	v_cmp_eq_u32_e32 vcc, s12, v54
	s_and_saveexec_b64 s[10:11], vcc
	s_cbranch_execnz .LBB43_65
; %bb.45:                               ;   in Loop: Header=BB43_44 Depth=1
	s_or_b64 exec, exec, s[10:11]
	global_load_dwordx4 v[10:13], v[18:19], off offset:1024
	s_and_saveexec_b64 s[10:11], vcc
	s_cbranch_execnz .LBB43_66
.LBB43_46:                              ;   in Loop: Header=BB43_44 Depth=1
	s_or_b64 exec, exec, s[10:11]
	global_load_dwordx4 v[14:17], v[18:19], off offset:2048
	s_and_saveexec_b64 s[10:11], vcc
	s_cbranch_execnz .LBB43_67
.LBB43_47:                              ;   in Loop: Header=BB43_44 Depth=1
	s_or_b64 exec, exec, s[10:11]
	global_load_dwordx4 v[18:21], v[18:19], off offset:3072
	s_and_saveexec_b64 s[10:11], vcc
	s_cbranch_execz .LBB43_49
.LBB43_48:                              ;   in Loop: Header=BB43_44 Depth=1
	v_cmp_gt_i32_e64 s[0:1], s33, v86
	s_waitcnt vmcnt(0)
	v_cndmask_b32_e64 v18, 0, v18, s[0:1]
	v_cmp_gt_i32_e64 s[0:1], s33, v88
	v_cndmask_b32_e64 v19, 0, v19, s[0:1]
	v_cmp_gt_i32_e64 s[0:1], s33, v87
	;; [unrolled: 2-line block ×3, first 2 shown]
	v_cndmask_b32_e64 v21, 0, v21, s[0:1]
.LBB43_49:                              ;   in Loop: Header=BB43_44 Depth=1
	s_or_b64 exec, exec, s[10:11]
	v_add_co_u32_e64 v22, s[0:1], v42, v77
	v_addc_co_u32_e64 v23, s[0:1], 0, v43, s[0:1]
	global_load_dwordx4 v[22:25], v[22:23], off
	s_and_saveexec_b64 s[10:11], vcc
	s_cbranch_execz .LBB43_51
; %bb.50:                               ;   in Loop: Header=BB43_44 Depth=1
	v_cmp_gt_i32_e64 s[0:1], s33, v86
	s_waitcnt vmcnt(0)
	v_cndmask_b32_e64 v22, 0, v22, s[0:1]
	v_cmp_gt_i32_e64 s[0:1], s33, v88
	v_cndmask_b32_e64 v23, 0, v23, s[0:1]
	v_cmp_gt_i32_e64 s[0:1], s33, v87
	v_cndmask_b32_e64 v24, 0, v24, s[0:1]
	v_cmp_gt_i32_e64 s[0:1], s33, v75
	v_cndmask_b32_e64 v25, 0, v25, s[0:1]
.LBB43_51:                              ;   in Loop: Header=BB43_44 Depth=1
	s_or_b64 exec, exec, s[10:11]
	v_add_co_u32_e64 v26, s[0:1], v42, v78
	v_addc_co_u32_e64 v27, s[0:1], 0, v43, s[0:1]
	global_load_dwordx4 v[26:29], v[26:27], off
	s_and_saveexec_b64 s[10:11], vcc
	s_cbranch_execz .LBB43_53
; %bb.52:                               ;   in Loop: Header=BB43_44 Depth=1
	v_cmp_gt_i32_e64 s[0:1], s33, v86
	s_waitcnt vmcnt(0)
	v_cndmask_b32_e64 v26, 0, v26, s[0:1]
	v_cmp_gt_i32_e64 s[0:1], s33, v88
	v_cndmask_b32_e64 v27, 0, v27, s[0:1]
	v_cmp_gt_i32_e64 s[0:1], s33, v87
	v_cndmask_b32_e64 v28, 0, v28, s[0:1]
	v_cmp_gt_i32_e64 s[0:1], s33, v75
	v_cndmask_b32_e64 v29, 0, v29, s[0:1]
.LBB43_53:                              ;   in Loop: Header=BB43_44 Depth=1
	;; [unrolled: 17-line block ×7, first 2 shown]
	s_or_b64 exec, exec, s[10:11]
	v_add_co_u32_e64 v42, s[0:1], v42, v84
	v_addc_co_u32_e64 v43, s[0:1], 0, v43, s[0:1]
	global_load_dwordx4 v[42:45], v[42:43], off
	s_and_saveexec_b64 s[0:1], vcc
	s_cbranch_execz .LBB43_43
; %bb.64:                               ;   in Loop: Header=BB43_44 Depth=1
	v_cmp_gt_i32_e32 vcc, s33, v86
	s_waitcnt vmcnt(0)
	v_cndmask_b32_e32 v42, 0, v42, vcc
	v_cmp_gt_i32_e32 vcc, s33, v88
	v_cndmask_b32_e32 v43, 0, v43, vcc
	v_cmp_gt_i32_e32 vcc, s33, v87
	;; [unrolled: 2-line block ×3, first 2 shown]
	v_cndmask_b32_e32 v45, 0, v45, vcc
	s_branch .LBB43_43
.LBB43_65:                              ;   in Loop: Header=BB43_44 Depth=1
	v_cmp_gt_i32_e64 s[0:1], s33, v86
	s_waitcnt vmcnt(0)
	v_cndmask_b32_e64 v6, 0, v6, s[0:1]
	v_cmp_gt_i32_e64 s[0:1], s33, v88
	v_cndmask_b32_e64 v7, 0, v7, s[0:1]
	v_cmp_gt_i32_e64 s[0:1], s33, v87
	v_cndmask_b32_e64 v8, 0, v8, s[0:1]
	v_cmp_gt_i32_e64 s[0:1], s33, v75
	v_cndmask_b32_e64 v9, 0, v9, s[0:1]
	s_or_b64 exec, exec, s[10:11]
	global_load_dwordx4 v[10:13], v[18:19], off offset:1024
	s_and_saveexec_b64 s[10:11], vcc
	s_cbranch_execz .LBB43_46
.LBB43_66:                              ;   in Loop: Header=BB43_44 Depth=1
	v_cmp_gt_i32_e64 s[0:1], s33, v86
	s_waitcnt vmcnt(0)
	v_cndmask_b32_e64 v10, 0, v10, s[0:1]
	v_cmp_gt_i32_e64 s[0:1], s33, v88
	v_cndmask_b32_e64 v11, 0, v11, s[0:1]
	v_cmp_gt_i32_e64 s[0:1], s33, v87
	;; [unrolled: 2-line block ×3, first 2 shown]
	v_cndmask_b32_e64 v13, 0, v13, s[0:1]
	s_or_b64 exec, exec, s[10:11]
	global_load_dwordx4 v[14:17], v[18:19], off offset:2048
	s_and_saveexec_b64 s[10:11], vcc
	s_cbranch_execz .LBB43_47
.LBB43_67:                              ;   in Loop: Header=BB43_44 Depth=1
	v_cmp_gt_i32_e64 s[0:1], s33, v86
	s_waitcnt vmcnt(0)
	v_cndmask_b32_e64 v14, 0, v14, s[0:1]
	v_cmp_gt_i32_e64 s[0:1], s33, v88
	v_cndmask_b32_e64 v15, 0, v15, s[0:1]
	v_cmp_gt_i32_e64 s[0:1], s33, v87
	;; [unrolled: 2-line block ×3, first 2 shown]
	v_cndmask_b32_e64 v17, 0, v17, s[0:1]
	s_or_b64 exec, exec, s[10:11]
	global_load_dwordx4 v[18:21], v[18:19], off offset:3072
	s_and_saveexec_b64 s[10:11], vcc
	s_cbranch_execnz .LBB43_48
	s_branch .LBB43_49
.LBB43_68:
	s_or_b64 exec, exec, s[6:7]
.LBB43_69:
	s_or_b64 exec, exec, s[4:5]
	ds_bpermute_b32 v2, v74, v66
	ds_bpermute_b32 v3, v74, v67
	;; [unrolled: 1-line block ×6, first 2 shown]
	s_waitcnt lgkmcnt(4)
	v_pk_add_f32 v[2:3], v[66:67], v[2:3]
	ds_bpermute_b32 v6, v73, v2
	ds_bpermute_b32 v7, v73, v3
	;; [unrolled: 1-line block ×4, first 2 shown]
	s_waitcnt lgkmcnt(4)
	v_pk_add_f32 v[4:5], v[64:65], v[4:5]
	ds_bpermute_b32 v22, v74, v56
	s_waitcnt lgkmcnt(3)
	v_pk_add_f32 v[2:3], v[2:3], v[6:7]
	v_pk_add_f32 v[6:7], v[62:63], v[8:9]
	ds_bpermute_b32 v8, v74, v60
	ds_bpermute_b32 v9, v74, v61
	;; [unrolled: 1-line block ×4, first 2 shown]
	s_waitcnt lgkmcnt(5)
	v_pk_add_f32 v[14:15], v[58:59], v[14:15]
	ds_bpermute_b32 v23, v74, v57
	ds_bpermute_b32 v10, v73, v4
	;; [unrolled: 1-line block ×5, first 2 shown]
	s_waitcnt lgkmcnt(7)
	v_pk_add_f32 v[16:17], v[60:61], v[8:9]
	ds_bpermute_b32 v18, v73, v16
	ds_bpermute_b32 v19, v73, v17
	s_waitcnt lgkmcnt(7)
	v_pk_add_f32 v[8:9], v[6:7], v[12:13]
	s_waitcnt lgkmcnt(6)
	v_pk_add_f32 v[12:13], v[56:57], v[22:23]
	;; [unrolled: 2-line block ×4, first 2 shown]
	ds_bpermute_b32 v14, v73, v12
	ds_bpermute_b32 v15, v73, v13
	s_waitcnt lgkmcnt(2)
	v_pk_add_f32 v[6:7], v[16:17], v[18:19]
	v_and_b32_e32 v16, 0x3c3, v0
	v_cmp_ne_u32_e32 vcc, 64, v16
	s_waitcnt lgkmcnt(0)
	s_barrier
	s_and_saveexec_b64 s[0:1], vcc
	s_xor_b64 s[0:1], exec, s[0:1]
; %bb.70:
                                        ; implicit-def: $vgpr72
; %bb.71:
	s_or_saveexec_b64 s[0:1], s[0:1]
	v_pk_add_f32 v[12:13], v[12:13], v[14:15]
	s_xor_b64 exec, exec, s[0:1]
	s_cbranch_execz .LBB43_73
; %bb.72:
	v_add_u32_e32 v14, 0x310, v72
	ds_write2_b32 v14, v2, v3 offset1:16
	ds_write2_b32 v14, v10, v11 offset0:32 offset1:48
	ds_write2_b32 v14, v8, v9 offset0:64 offset1:80
	;; [unrolled: 1-line block ×5, first 2 shown]
.LBB43_73:
	s_or_b64 exec, exec, s[0:1]
	v_cmp_gt_u32_e32 vcc, 64, v0
	s_waitcnt lgkmcnt(0)
	s_barrier
	s_and_saveexec_b64 s[0:1], vcc
	s_cbranch_execz .LBB43_88
; %bb.74:
	v_cmp_eq_u32_e32 vcc, 0, v71
	s_and_saveexec_b64 s[4:5], vcc
	s_cbranch_execnz .LBB43_91
; %bb.75:
	s_or_b64 exec, exec, s[4:5]
	s_and_saveexec_b64 s[4:5], vcc
	s_cbranch_execnz .LBB43_92
.LBB43_76:
	s_or_b64 exec, exec, s[4:5]
	s_and_saveexec_b64 s[4:5], vcc
	s_cbranch_execnz .LBB43_93
.LBB43_77:
	s_or_b64 exec, exec, s[4:5]
	s_and_saveexec_b64 s[4:5], vcc
	s_cbranch_execnz .LBB43_94
.LBB43_78:
	s_or_b64 exec, exec, s[4:5]
	s_and_saveexec_b64 s[4:5], vcc
	s_cbranch_execnz .LBB43_95
.LBB43_79:
	s_or_b64 exec, exec, s[4:5]
	s_and_saveexec_b64 s[4:5], vcc
	s_cbranch_execnz .LBB43_96
.LBB43_80:
	s_or_b64 exec, exec, s[4:5]
	s_and_saveexec_b64 s[4:5], vcc
	s_cbranch_execnz .LBB43_97
.LBB43_81:
	s_or_b64 exec, exec, s[4:5]
	s_and_saveexec_b64 s[4:5], vcc
	s_cbranch_execnz .LBB43_98
.LBB43_82:
	s_or_b64 exec, exec, s[4:5]
	s_and_saveexec_b64 s[4:5], vcc
	s_cbranch_execnz .LBB43_99
.LBB43_83:
	s_or_b64 exec, exec, s[4:5]
	s_and_saveexec_b64 s[4:5], vcc
	s_cbranch_execnz .LBB43_100
.LBB43_84:
	s_or_b64 exec, exec, s[4:5]
	s_and_saveexec_b64 s[4:5], vcc
	s_cbranch_execnz .LBB43_101
.LBB43_85:
	s_or_b64 exec, exec, s[4:5]
	s_and_saveexec_b64 s[4:5], vcc
	s_cbranch_execz .LBB43_87
.LBB43_86:
	v_mov_b32_e32 v0, 0x310
	v_lshl_add_u32 v0, v70, 2, v0
	ds_read_b32 v0, v0 offset:704
	s_waitcnt lgkmcnt(0)
	v_add_f32_e32 v13, v13, v0
.LBB43_87:
	s_or_b64 exec, exec, s[4:5]
.LBB43_88:
	s_or_b64 exec, exec, s[0:1]
	v_cmp_eq_u32_e32 vcc, 0, v16
	s_barrier
	s_and_saveexec_b64 s[0:1], vcc
	s_cbranch_execz .LBB43_90
; %bb.89:
	s_mul_i32 s0, s2, 0xc0
	s_ashr_i32 s1, s0, 31
	s_lshl_b64 s[0:1], s[0:1], 2
	s_add_u32 s2, s24, s0
	s_mul_i32 s0, s31, s26
	s_addc_u32 s3, s25, s1
	s_ashr_i32 s1, s0, 31
	s_lshl_b64 s[0:1], s[0:1], 2
	s_add_u32 s2, s2, s0
	s_mul_i32 s0, s8, 0xc0
	s_addc_u32 s3, s3, s1
	s_ashr_i32 s1, s0, 31
	s_lshl_b64 s[0:1], s[0:1], 2
	s_add_u32 s0, s2, s0
	s_addc_u32 s1, s3, s1
	global_store_dword v1, v2, s[0:1]
	global_store_dword v1, v3, s[0:1] offset:64
	global_store_dword v1, v10, s[0:1] offset:128
	;; [unrolled: 1-line block ×11, first 2 shown]
.LBB43_90:
	s_endpgm
.LBB43_91:
	v_mov_b32_e32 v0, 0x310
	v_lshl_add_u32 v0, v70, 2, v0
	ds_read_b32 v0, v0
	s_waitcnt lgkmcnt(0)
	v_add_f32_e32 v2, v2, v0
	s_or_b64 exec, exec, s[4:5]
	s_and_saveexec_b64 s[4:5], vcc
	s_cbranch_execz .LBB43_76
.LBB43_92:
	v_mov_b32_e32 v0, 0x310
	v_lshl_add_u32 v0, v70, 2, v0
	ds_read_b32 v0, v0 offset:64
	s_waitcnt lgkmcnt(0)
	v_add_f32_e32 v3, v3, v0
	s_or_b64 exec, exec, s[4:5]
	s_and_saveexec_b64 s[4:5], vcc
	s_cbranch_execz .LBB43_77
.LBB43_93:
	v_mov_b32_e32 v0, 0x310
	v_lshl_add_u32 v0, v70, 2, v0
	ds_read_b32 v0, v0 offset:128
	s_waitcnt lgkmcnt(0)
	v_add_f32_e32 v10, v10, v0
	s_or_b64 exec, exec, s[4:5]
	s_and_saveexec_b64 s[4:5], vcc
	s_cbranch_execz .LBB43_78
.LBB43_94:
	v_mov_b32_e32 v0, 0x310
	v_lshl_add_u32 v0, v70, 2, v0
	ds_read_b32 v0, v0 offset:192
	s_waitcnt lgkmcnt(0)
	v_add_f32_e32 v11, v11, v0
	s_or_b64 exec, exec, s[4:5]
	s_and_saveexec_b64 s[4:5], vcc
	s_cbranch_execz .LBB43_79
.LBB43_95:
	v_mov_b32_e32 v0, 0x310
	v_lshl_add_u32 v0, v70, 2, v0
	ds_read_b32 v0, v0 offset:256
	s_waitcnt lgkmcnt(0)
	v_add_f32_e32 v8, v8, v0
	s_or_b64 exec, exec, s[4:5]
	s_and_saveexec_b64 s[4:5], vcc
	s_cbranch_execz .LBB43_80
.LBB43_96:
	v_mov_b32_e32 v0, 0x310
	v_lshl_add_u32 v0, v70, 2, v0
	ds_read_b32 v0, v0 offset:320
	s_waitcnt lgkmcnt(0)
	v_add_f32_e32 v9, v9, v0
	s_or_b64 exec, exec, s[4:5]
	s_and_saveexec_b64 s[4:5], vcc
	s_cbranch_execz .LBB43_81
.LBB43_97:
	v_mov_b32_e32 v0, 0x310
	v_lshl_add_u32 v0, v70, 2, v0
	ds_read_b32 v0, v0 offset:384
	s_waitcnt lgkmcnt(0)
	v_add_f32_e32 v6, v6, v0
	s_or_b64 exec, exec, s[4:5]
	s_and_saveexec_b64 s[4:5], vcc
	s_cbranch_execz .LBB43_82
.LBB43_98:
	v_mov_b32_e32 v0, 0x310
	v_lshl_add_u32 v0, v70, 2, v0
	ds_read_b32 v0, v0 offset:448
	s_waitcnt lgkmcnt(0)
	v_add_f32_e32 v7, v7, v0
	s_or_b64 exec, exec, s[4:5]
	s_and_saveexec_b64 s[4:5], vcc
	s_cbranch_execz .LBB43_83
.LBB43_99:
	v_mov_b32_e32 v0, 0x310
	v_lshl_add_u32 v0, v70, 2, v0
	ds_read_b32 v0, v0 offset:512
	s_waitcnt lgkmcnt(0)
	v_add_f32_e32 v4, v4, v0
	s_or_b64 exec, exec, s[4:5]
	s_and_saveexec_b64 s[4:5], vcc
	s_cbranch_execz .LBB43_84
.LBB43_100:
	v_mov_b32_e32 v0, 0x310
	v_lshl_add_u32 v0, v70, 2, v0
	ds_read_b32 v0, v0 offset:576
	s_waitcnt lgkmcnt(0)
	v_add_f32_e32 v5, v5, v0
	s_or_b64 exec, exec, s[4:5]
	s_and_saveexec_b64 s[4:5], vcc
	s_cbranch_execz .LBB43_85
.LBB43_101:
	v_mov_b32_e32 v0, 0x310
	v_lshl_add_u32 v0, v70, 2, v0
	ds_read_b32 v0, v0 offset:640
	s_waitcnt lgkmcnt(0)
	v_add_f32_e32 v12, v12, v0
	s_or_b64 exec, exec, s[4:5]
	s_and_saveexec_b64 s[4:5], vcc
	s_cbranch_execnz .LBB43_86
	s_branch .LBB43_87
	.section	.rodata,"a",@progbits
	.p2align	6, 0x0
	.amdhsa_kernel _ZN4vllm25paged_attention_v2_kernelIffLi192ELi16ELi128ELNS_18Fp8KVCacheDataTypeE0ELb0ELi512EEEvPfS2_PT_PKS3_PKT0_S9_ifPKiSB_iPKfiiiSD_SD_iiiii
		.amdhsa_group_segment_fixed_size 784
		.amdhsa_private_segment_fixed_size 0
		.amdhsa_kernarg_size 400
		.amdhsa_user_sgpr_count 6
		.amdhsa_user_sgpr_private_segment_buffer 1
		.amdhsa_user_sgpr_dispatch_ptr 0
		.amdhsa_user_sgpr_queue_ptr 0
		.amdhsa_user_sgpr_kernarg_segment_ptr 1
		.amdhsa_user_sgpr_dispatch_id 0
		.amdhsa_user_sgpr_flat_scratch_init 0
		.amdhsa_user_sgpr_kernarg_preload_length 0
		.amdhsa_user_sgpr_kernarg_preload_offset 0
		.amdhsa_user_sgpr_private_segment_size 0
		.amdhsa_uses_dynamic_stack 0
		.amdhsa_system_sgpr_private_segment_wavefront_offset 0
		.amdhsa_system_sgpr_workgroup_id_x 1
		.amdhsa_system_sgpr_workgroup_id_y 1
		.amdhsa_system_sgpr_workgroup_id_z 1
		.amdhsa_system_sgpr_workgroup_info 0
		.amdhsa_system_vgpr_workitem_id 0
		.amdhsa_next_free_vgpr 116
		.amdhsa_next_free_sgpr 44
		.amdhsa_accum_offset 116
		.amdhsa_reserve_vcc 1
		.amdhsa_reserve_flat_scratch 0
		.amdhsa_float_round_mode_32 0
		.amdhsa_float_round_mode_16_64 0
		.amdhsa_float_denorm_mode_32 3
		.amdhsa_float_denorm_mode_16_64 3
		.amdhsa_dx10_clamp 1
		.amdhsa_ieee_mode 1
		.amdhsa_fp16_overflow 0
		.amdhsa_tg_split 0
		.amdhsa_exception_fp_ieee_invalid_op 0
		.amdhsa_exception_fp_denorm_src 0
		.amdhsa_exception_fp_ieee_div_zero 0
		.amdhsa_exception_fp_ieee_overflow 0
		.amdhsa_exception_fp_ieee_underflow 0
		.amdhsa_exception_fp_ieee_inexact 0
		.amdhsa_exception_int_div_zero 0
	.end_amdhsa_kernel
	.section	.text._ZN4vllm25paged_attention_v2_kernelIffLi192ELi16ELi128ELNS_18Fp8KVCacheDataTypeE0ELb0ELi512EEEvPfS2_PT_PKS3_PKT0_S9_ifPKiSB_iPKfiiiSD_SD_iiiii,"axG",@progbits,_ZN4vllm25paged_attention_v2_kernelIffLi192ELi16ELi128ELNS_18Fp8KVCacheDataTypeE0ELb0ELi512EEEvPfS2_PT_PKS3_PKT0_S9_ifPKiSB_iPKfiiiSD_SD_iiiii,comdat
.Lfunc_end43:
	.size	_ZN4vllm25paged_attention_v2_kernelIffLi192ELi16ELi128ELNS_18Fp8KVCacheDataTypeE0ELb0ELi512EEEvPfS2_PT_PKS3_PKT0_S9_ifPKiSB_iPKfiiiSD_SD_iiiii, .Lfunc_end43-_ZN4vllm25paged_attention_v2_kernelIffLi192ELi16ELi128ELNS_18Fp8KVCacheDataTypeE0ELb0ELi512EEEvPfS2_PT_PKS3_PKT0_S9_ifPKiSB_iPKfiiiSD_SD_iiiii
                                        ; -- End function
	.section	.AMDGPU.csdata,"",@progbits
; Kernel info:
; codeLenInByte = 6752
; NumSgprs: 48
; NumVgprs: 116
; NumAgprs: 0
; TotalNumVgprs: 116
; ScratchSize: 0
; MemoryBound: 0
; FloatMode: 240
; IeeeMode: 1
; LDSByteSize: 784 bytes/workgroup (compile time only)
; SGPRBlocks: 5
; VGPRBlocks: 14
; NumSGPRsForWavesPerEU: 48
; NumVGPRsForWavesPerEU: 116
; AccumOffset: 116
; Occupancy: 4
; WaveLimiterHint : 1
; COMPUTE_PGM_RSRC2:SCRATCH_EN: 0
; COMPUTE_PGM_RSRC2:USER_SGPR: 6
; COMPUTE_PGM_RSRC2:TRAP_HANDLER: 0
; COMPUTE_PGM_RSRC2:TGID_X_EN: 1
; COMPUTE_PGM_RSRC2:TGID_Y_EN: 1
; COMPUTE_PGM_RSRC2:TGID_Z_EN: 1
; COMPUTE_PGM_RSRC2:TIDIG_COMP_CNT: 0
; COMPUTE_PGM_RSRC3_GFX90A:ACCUM_OFFSET: 28
; COMPUTE_PGM_RSRC3_GFX90A:TG_SPLIT: 0
	.section	.text._ZN4vllm25paged_attention_v2_kernelIffLi256ELi16ELi128ELNS_18Fp8KVCacheDataTypeE0ELb0ELi512EEEvPfS2_PT_PKS3_PKT0_S9_ifPKiSB_iPKfiiiSD_SD_iiiii,"axG",@progbits,_ZN4vllm25paged_attention_v2_kernelIffLi256ELi16ELi128ELNS_18Fp8KVCacheDataTypeE0ELb0ELi512EEEvPfS2_PT_PKS3_PKT0_S9_ifPKiSB_iPKfiiiSD_SD_iiiii,comdat
	.protected	_ZN4vllm25paged_attention_v2_kernelIffLi256ELi16ELi128ELNS_18Fp8KVCacheDataTypeE0ELb0ELi512EEEvPfS2_PT_PKS3_PKT0_S9_ifPKiSB_iPKfiiiSD_SD_iiiii ; -- Begin function _ZN4vllm25paged_attention_v2_kernelIffLi256ELi16ELi128ELNS_18Fp8KVCacheDataTypeE0ELb0ELi512EEEvPfS2_PT_PKS3_PKT0_S9_ifPKiSB_iPKfiiiSD_SD_iiiii
	.globl	_ZN4vllm25paged_attention_v2_kernelIffLi256ELi16ELi128ELNS_18Fp8KVCacheDataTypeE0ELb0ELi512EEEvPfS2_PT_PKS3_PKT0_S9_ifPKiSB_iPKfiiiSD_SD_iiiii
	.p2align	8
	.type	_ZN4vllm25paged_attention_v2_kernelIffLi256ELi16ELi128ELNS_18Fp8KVCacheDataTypeE0ELb0ELi512EEEvPfS2_PT_PKS3_PKT0_S9_ifPKiSB_iPKfiiiSD_SD_iiiii,@function
_ZN4vllm25paged_attention_v2_kernelIffLi256ELi16ELi128ELNS_18Fp8KVCacheDataTypeE0ELb0ELi512EEEvPfS2_PT_PKS3_PKT0_S9_ifPKiSB_iPKfiiiSD_SD_iiiii: ; @_ZN4vllm25paged_attention_v2_kernelIffLi256ELi16ELi128ELNS_18Fp8KVCacheDataTypeE0ELb0ELi512EEEvPfS2_PT_PKS3_PKT0_S9_ifPKiSB_iPKfiiiSD_SD_iiiii
; %bb.0:
	s_mov_b64 s[50:51], s[2:3]
	s_mov_b64 s[48:49], s[0:1]
	s_load_dwordx2 s[0:1], s[4:5], 0x40
	s_add_u32 s48, s48, s9
	s_addc_u32 s49, s49, 0
	s_mov_b32 s30, s7
	s_ashr_i32 s31, s7, 31
	s_lshl_b64 s[2:3], s[30:31], 2
	s_waitcnt lgkmcnt(0)
	s_add_u32 s0, s0, s2
	s_addc_u32 s1, s1, s3
	s_load_dword s33, s[0:1], 0x0
	s_lshl_b32 s40, s8, 9
	s_waitcnt lgkmcnt(0)
	s_cmp_ge_i32 s40, s33
	s_cbranch_scc1 .LBB44_102
; %bb.1:
	s_load_dword s9, s[4:5], 0x90
	s_load_dwordx2 s[10:11], s[4:5], 0x30
	v_mov_b32_e32 v91, v0
	s_waitcnt lgkmcnt(0)
	s_abs_i32 s2, s9
	s_abs_i32 s0, s10
	v_cvt_f32_u32_e32 v1, s0
	s_sub_i32 s3, 0, s0
	s_xor_b32 s1, s9, s10
	s_ashr_i32 s1, s1, 31
	v_rcp_iflag_f32_e32 v1, v1
	v_mul_f32_e32 v1, 0x4f7ffffe, v1
	v_cvt_u32_f32_e32 v1, v1
	v_readfirstlane_b32 s7, v1
	s_mul_i32 s3, s3, s7
	s_mul_hi_u32 s3, s7, s3
	s_add_i32 s7, s7, s3
	s_mul_hi_u32 s3, s2, s7
	s_mul_i32 s7, s3, s0
	s_sub_i32 s2, s2, s7
	s_add_i32 s10, s3, 1
	s_sub_i32 s7, s2, s0
	s_cmp_ge_u32 s2, s0
	s_cselect_b32 s3, s10, s3
	s_cselect_b32 s2, s7, s2
	s_add_i32 s7, s3, 1
	s_cmp_ge_u32 s2, s0
	s_cselect_b32 s0, s7, s3
	s_xor_b32 s0, s0, s1
	s_sub_i32 s38, s0, s1
	s_abs_i32 s36, s38
	v_cvt_f32_u32_e32 v1, s36
	s_load_dwordx2 s[0:1], s[4:5], 0x50
	s_sub_i32 s2, 0, s36
	s_abs_i32 s37, s6
	v_rcp_iflag_f32_e32 v1, v1
	s_mov_b32 s10, 0
	v_mul_f32_e32 v1, 0x4f7ffffe, v1
	v_cvt_u32_f32_e32 v1, v1
	v_readfirstlane_b32 s3, v1
	s_mul_i32 s2, s2, s3
	s_mul_hi_u32 s2, s3, s2
	s_add_i32 s2, s3, s2
	s_waitcnt lgkmcnt(0)
	s_cmp_eq_u64 s[0:1], 0
	s_cbranch_scc1 .LBB44_3
; %bb.2:
	s_ashr_i32 s7, s6, 31
	s_lshl_b64 s[12:13], s[6:7], 2
	s_add_u32 s0, s0, s12
	s_addc_u32 s1, s1, s13
	s_load_dword s10, s[0:1], 0x0
.LBB44_3:
	s_load_dwordx4 s[20:23], s[4:5], 0x0
	s_load_dwordx2 s[24:25], s[4:5], 0x10
	s_load_dwordx4 s[12:15], s[4:5], 0x20
	s_load_dwordx2 s[28:29], s[4:5], 0x38
	s_load_dword s31, s[4:5], 0x98
	s_load_dwordx4 s[16:19], s[4:5], 0x58
	v_lshrrev_b32_e32 v90, 2, v91
	s_lshl_b32 s26, s6, 8
	s_movk_i32 s0, 0x100
	s_mul_hi_u32 s39, s37, s2
	v_and_b32_e32 v113, 3, v91
	s_ashr_i32 s27, s26, 31
	v_cmp_gt_u32_e32 vcc, s0, v91
	v_lshlrev_b32_e32 v70, 2, v90
	s_and_saveexec_b64 s[2:3], vcc
	s_cbranch_execz .LBB44_6
; %bb.4:
	s_load_dwordx2 s[0:1], s[4:5], 0x18
	s_waitcnt lgkmcnt(0)
	s_mul_i32 s34, s30, s16
	s_ashr_i32 s35, s34, 31
	s_lshl_b64 s[34:35], s[34:35], 2
	s_lshl_b64 s[42:43], s[26:27], 2
	s_add_u32 s7, s34, s42
	s_addc_u32 s16, s35, s43
	v_or_b32_e32 v2, v70, v113
	s_add_u32 s0, s0, s7
	v_lshlrev_b32_e32 v2, 2, v2
	s_addc_u32 s1, s1, s16
	v_mov_b32_e32 v3, s1
	v_add_co_u32_e32 v2, vcc, s0, v2
	v_subrev_u32_e32 v4, 32, v90
	v_lshl_add_u32 v5, v113, 8, v70
	v_addc_co_u32_e32 v3, vcc, 0, v3, vcc
	s_mov_b64 s[34:35], 0
.LBB44_5:                               ; =>This Inner Loop Header: Depth=1
	global_load_dword v6, v[2:3], off
	v_add_co_u32_e64 v4, s[0:1], 32, v4
	s_xor_b64 s[0:1], s[0:1], -1
	v_add_co_u32_e32 v2, vcc, 0x200, v2
	s_and_b64 s[0:1], exec, s[0:1]
	v_addc_co_u32_e32 v3, vcc, 0, v3, vcc
	s_or_b64 s[34:35], s[0:1], s[34:35]
	s_waitcnt vmcnt(0)
	ds_write_b32 v5, v6
	v_add_u32_e32 v5, 0x80, v5
	s_andn2_b64 exec, exec, s[34:35]
	s_cbranch_execnz .LBB44_5
.LBB44_6:
	s_or_b64 exec, exec, s[2:3]
	s_add_i32 s2, s33, 15
	s_ashr_i32 s3, s2, 31
	s_ashr_i32 s0, s6, 31
	;; [unrolled: 1-line block ×3, first 2 shown]
	s_lshr_b32 s3, s3, 28
	s_add_i32 s2, s2, s3
	s_lshl_b32 s27, s8, 5
	s_xor_b32 s0, s0, s1
	s_mul_i32 s1, s39, s36
	s_ashr_i32 s7, s2, 4
	s_add_i32 s2, s27, 32
	s_sub_i32 s1, s37, s1
	s_waitcnt lgkmcnt(0)
	s_min_i32 s16, s2, s7
	s_add_i32 s2, s39, 1
	s_sub_i32 s3, s1, s36
	s_cmp_ge_u32 s1, s36
	s_cselect_b32 s2, s2, s39
	s_cselect_b32 s1, s3, s1
	s_add_i32 s3, s2, 1
	s_cmp_ge_u32 s1, s36
	s_cselect_b32 s1, s3, s2
	s_load_dword s2, s[4:5], 0x48
	v_lshrrev_b32_e32 v45, 6, v91
	s_xor_b32 s1, s1, s0
	v_or_b32_e32 v114, s27, v45
	s_sub_i32 s4, s1, s0
	s_waitcnt lgkmcnt(0)
	s_mul_i32 s34, s30, s2
	s_ashr_i32 s35, s34, 31
	v_cmp_gt_i32_e64 s[0:1], s16, v114
	v_cmp_le_i32_e32 vcc, s16, v114
	v_mbcnt_lo_u32_b32 v42, -1, 0
	s_barrier
	s_waitcnt lgkmcnt(0)
                                        ; implicit-def: $sgpr5
                                        ; implicit-def: $vgpr13
                                        ; implicit-def: $vgpr14
	s_and_saveexec_b64 s[2:3], vcc
	s_xor_b64 s[2:3], exec, s[2:3]
; %bb.7:
	v_mbcnt_hi_u32_b32 v13, -1, v42
	v_and_b32_e32 v2, 64, v13
	v_add_u32_e32 v14, 64, v2
	s_mov_b32 s5, 0xff7fffff
                                        ; implicit-def: $vgpr42
; %bb.8:
	s_or_saveexec_b64 s[36:37], s[2:3]
	v_mov_b32_e32 v0, s5
	s_mul_i32 s18, s4, s18
	v_ashrrev_i32_e32 v115, 31, v114
	s_xor_b64 exec, exec, s[36:37]
	s_cbranch_execz .LBB44_14
; %bb.9:
	s_ashr_i32 s19, s18, 31
	s_lshl_b64 s[2:3], s[18:19], 2
	v_bfe_u32 v43, v91, 2, 4
	s_add_u32 s2, s12, s2
	s_addc_u32 s3, s13, s3
	v_lshlrev_b32_e32 v2, 4, v43
	v_mov_b32_e32 v3, s3
	v_add_co_u32_e32 v2, vcc, s2, v2
	v_addc_co_u32_e32 v3, vcc, 0, v3, vcc
	v_lshlrev_b32_e32 v4, 2, v113
	v_add_co_u32_e32 v0, vcc, v2, v4
	buffer_store_dword v0, off, s[48:51], 0 offset:4 ; 4-byte Folded Spill
	v_addc_co_u32_e32 v0, vcc, 0, v3, vcc
	v_lshlrev_b32_e32 v62, 8, v113
	buffer_store_dword v0, off, s[48:51], 0 offset:8 ; 4-byte Folded Spill
	ds_read_b128 v[0:3], v62
	buffer_store_dword v91, off, s[48:51], 0 offset:68 ; 4-byte Folded Spill
	s_waitcnt lgkmcnt(0)
	buffer_store_dword v0, off, s[48:51], 0 offset:12 ; 4-byte Folded Spill
	s_nop 0
	buffer_store_dword v1, off, s[48:51], 0 offset:16 ; 4-byte Folded Spill
	buffer_store_dword v2, off, s[48:51], 0 offset:20 ; 4-byte Folded Spill
	;; [unrolled: 1-line block ×3, first 2 shown]
	ds_read_b128 v[0:3], v62 offset:16
	s_waitcnt lgkmcnt(0)
	buffer_store_dword v0, off, s[48:51], 0 offset:28 ; 4-byte Folded Spill
	s_nop 0
	buffer_store_dword v1, off, s[48:51], 0 offset:32 ; 4-byte Folded Spill
	buffer_store_dword v2, off, s[48:51], 0 offset:36 ; 4-byte Folded Spill
	;; [unrolled: 1-line block ×3, first 2 shown]
	ds_read_b128 v[0:3], v62 offset:32
	s_waitcnt lgkmcnt(0)
	buffer_store_dword v0, off, s[48:51], 0 offset:44 ; 4-byte Folded Spill
	s_nop 0
	buffer_store_dword v1, off, s[48:51], 0 offset:48 ; 4-byte Folded Spill
	buffer_store_dword v2, off, s[48:51], 0 offset:52 ; 4-byte Folded Spill
	;; [unrolled: 1-line block ×3, first 2 shown]
	v_mbcnt_hi_u32_b32 v0, -1, v42
	v_and_b32_e32 v42, 64, v0
	v_add_u32_e32 v1, 64, v42
	v_xor_b32_e32 v42, 2, v0
	v_cmp_lt_i32_e32 vcc, v42, v1
	v_cndmask_b32_e32 v42, v0, v42, vcc
	v_lshlrev_b32_e32 v2, 2, v42
	v_xor_b32_e32 v42, 1, v0
	v_cmp_lt_i32_e32 vcc, v42, v1
	v_cndmask_b32_e32 v42, v0, v42, vcc
	v_lshlrev_b32_e32 v44, 2, v43
	ds_read_b128 v[14:17], v62 offset:48
	ds_read_b128 v[18:21], v62 offset:64
	;; [unrolled: 1-line block ×7, first 2 shown]
	buffer_store_dword v0, off, s[48:51], 0 offset:88 ; 4-byte Folded Spill
	v_lshlrev_b32_e32 v0, 2, v42
	s_sub_i32 s19, 1, s33
	v_lshlrev_b32_e32 v42, 4, v45
	s_lshl_b64 s[4:5], s[34:35], 2
	v_add3_u32 v78, s40, v42, v43
	v_lshl_or_b32 v42, v45, 6, v44
	s_add_u32 s4, s28, s4
	buffer_store_dword v2, off, s[48:51], 0 offset:60 ; 4-byte Folded Spill
	buffer_store_dword v1, off, s[48:51], 0 offset:92 ; 4-byte Folded Spill
	;; [unrolled: 1-line block ×4, first 2 shown]
	v_add_u32_e32 v79, 0x410, v42
	v_lshlrev_b64 v[42:43], 2, v[114:115]
	s_addc_u32 s5, s29, s5
	v_mov_b32_e32 v0, 0xff7fffff
	buffer_store_dword v45, off, s[48:51], 0 offset:84 ; 4-byte Folded Spill
	v_mov_b32_e32 v44, s5
	v_add_co_u32_e64 v66, s[4:5], s4, v42
	buffer_store_dword v0, off, s[48:51], 0 ; 4-byte Folded Spill
	v_addc_co_u32_e64 v67, s[4:5], v44, v43, s[4:5]
	ds_read_b128 v[42:45], v62 offset:160
	ds_read_b128 v[46:49], v62 offset:176
	;; [unrolled: 1-line block ×6, first 2 shown]
	buffer_store_dword v114, off, s[48:51], 0 offset:76 ; 4-byte Folded Spill
	s_nop 0
	buffer_store_dword v115, off, s[48:51], 0 offset:80 ; 4-byte Folded Spill
	s_mov_b32 s41, s17
	v_cmp_eq_u32_e32 vcc, 0, v113
	v_cmp_neq_f32_e64 s[2:3], s10, 0
	s_mov_b64 s[12:13], 0
	s_movk_i32 s42, 0x1000
	s_movk_i32 s43, 0x2000
	;; [unrolled: 1-line block ×3, first 2 shown]
	v_mov_b32_e32 v80, v114
	s_branch .LBB44_11
.LBB44_10:                              ;   in Loop: Header=BB44_11 Depth=1
	s_or_b64 exec, exec, s[38:39]
	v_add_u32_e32 v80, 2, v80
	v_cmp_le_i32_e64 s[4:5], s16, v80
	s_or_b64 s[12:13], s[4:5], s[12:13]
	v_add_co_u32_e64 v66, s[4:5], 8, v66
	v_add_u32_e32 v78, 32, v78
	v_add_u32_e32 v79, 0x80, v79
	v_addc_co_u32_e64 v67, s[4:5], 0, v67, s[4:5]
	s_andn2_b64 exec, exec, s[12:13]
	s_cbranch_execz .LBB44_13
.LBB44_11:                              ; =>This Inner Loop Header: Depth=1
	global_load_dword v81, v[66:67], off
	buffer_load_dword v0, off, s[48:51], 0 offset:4 ; 4-byte Folded Reload
	s_waitcnt vmcnt(1) lgkmcnt(0)
	v_mad_i64_i32 v[82:83], s[4:5], v81, s41, 0
	v_lshlrev_b64 v[82:83], 2, v[82:83]
	s_waitcnt vmcnt(0)
	v_add_co_u32_e64 v82, s[4:5], v0, v82
	buffer_load_dword v0, off, s[48:51], 0 offset:8 ; 4-byte Folded Reload
	s_waitcnt vmcnt(0)
	v_addc_co_u32_e64 v83, s[4:5], v0, v83, s[4:5]
	v_add_co_u32_e64 v84, s[4:5], s42, v82
	v_addc_co_u32_e64 v85, s[4:5], 0, v83, s[4:5]
	v_add_co_u32_e64 v86, s[4:5], s43, v82
	v_addc_co_u32_e64 v87, s[4:5], 0, v83, s[4:5]
	global_load_dword v81, v[82:83], off
	global_load_dword v88, v[82:83], off offset:256
	global_load_dword v89, v[82:83], off offset:512
	;; [unrolled: 1-line block ×15, first 2 shown]
	v_add_co_u32_e64 v82, s[4:5], s44, v82
	v_addc_co_u32_e64 v83, s[4:5], 0, v83, s[4:5]
	global_load_dword v105, v[86:87], off offset:-4096
	global_load_dword v106, v[84:85], off offset:256
	global_load_dword v107, v[84:85], off offset:512
	;; [unrolled: 1-line block ×14, first 2 shown]
	s_nop 0
	global_load_dword v84, v[84:85], off offset:3840
	s_nop 0
	global_load_dword v85, v[86:87], off
	global_load_dword v120, v[86:87], off offset:256
	global_load_dword v121, v[86:87], off offset:512
	;; [unrolled: 1-line block ×14, first 2 shown]
	s_nop 0
	global_load_dword v86, v[86:87], off offset:3840
	s_nop 0
	global_load_dword v87, v[82:83], off
	global_load_dword v76, v[82:83], off offset:256
	global_load_dword v77, v[82:83], off offset:512
	;; [unrolled: 1-line block ×15, first 2 shown]
	buffer_load_dword v10, off, s[48:51], 0 offset:12 ; 4-byte Folded Reload
	buffer_load_dword v11, off, s[48:51], 0 offset:16 ; 4-byte Folded Reload
	;; [unrolled: 1-line block ×4, first 2 shown]
	s_waitcnt vmcnt(2)
	v_mul_f32_e32 v9, v11, v88
	v_fmac_f32_e32 v9, v10, v81
	s_waitcnt vmcnt(1)
	v_fmac_f32_e32 v9, v12, v89
	s_waitcnt vmcnt(0)
	v_fmac_f32_e32 v9, v13, v92
	buffer_load_dword v10, off, s[48:51], 0 offset:28 ; 4-byte Folded Reload
	buffer_load_dword v11, off, s[48:51], 0 offset:32 ; 4-byte Folded Reload
	;; [unrolled: 1-line block ×4, first 2 shown]
	s_waitcnt vmcnt(3)
	v_fmac_f32_e32 v9, v10, v93
	s_waitcnt vmcnt(2)
	v_fmac_f32_e32 v9, v11, v94
	s_waitcnt vmcnt(1)
	v_fmac_f32_e32 v9, v12, v95
	s_waitcnt vmcnt(0)
	v_fmac_f32_e32 v9, v13, v96
	buffer_load_dword v10, off, s[48:51], 0 offset:44 ; 4-byte Folded Reload
	buffer_load_dword v11, off, s[48:51], 0 offset:48 ; 4-byte Folded Reload
	;; [unrolled: 1-line block ×4, first 2 shown]
	s_waitcnt vmcnt(3)
	v_fmac_f32_e32 v9, v10, v97
	s_waitcnt vmcnt(2)
	v_fmac_f32_e32 v9, v11, v98
	;; [unrolled: 2-line block ×4, first 2 shown]
	s_waitcnt lgkmcnt(12)
	v_fmac_f32_e32 v9, v14, v101
	v_fmac_f32_e32 v9, v15, v102
	v_fmac_f32_e32 v9, v16, v103
	v_fmac_f32_e32 v9, v17, v104
	s_waitcnt lgkmcnt(11)
	v_fmac_f32_e32 v9, v18, v105
	v_fmac_f32_e32 v9, v19, v106
	v_fmac_f32_e32 v9, v20, v107
	v_fmac_f32_e32 v9, v21, v108
	;; [unrolled: 5-line block ×8, first 2 shown]
	s_waitcnt lgkmcnt(4)
	v_fmac_f32_e32 v9, v46, v68
	v_fmac_f32_e32 v9, v47, v72
	;; [unrolled: 1-line block ×3, first 2 shown]
	buffer_load_dword v0, off, s[48:51], 0 offset:60 ; 4-byte Folded Reload
	v_fmac_f32_e32 v9, v49, v86
	s_waitcnt lgkmcnt(3)
	v_fmac_f32_e32 v9, v50, v87
	v_fmac_f32_e32 v9, v51, v76
	v_fmac_f32_e32 v9, v52, v77
	v_fmac_f32_e32 v9, v53, v69
	s_waitcnt lgkmcnt(2)
	v_fmac_f32_e32 v9, v54, v73
	v_fmac_f32_e32 v9, v55, v74
	v_fmac_f32_e32 v9, v56, v75
	;; [unrolled: 5-line block ×4, first 2 shown]
	v_fmac_f32_e32 v9, v65, v8
	s_waitcnt vmcnt(0)
	ds_bpermute_b32 v0, v0, v9
	s_waitcnt lgkmcnt(0)
	v_add_f32_e32 v81, v9, v0
	buffer_load_dword v0, off, s[48:51], 0 offset:64 ; 4-byte Folded Reload
	s_waitcnt vmcnt(0)
	ds_bpermute_b32 v82, v0, v81
	s_and_saveexec_b64 s[38:39], vcc
	s_cbranch_execz .LBB44_10
; %bb.12:                               ;   in Loop: Header=BB44_11 Depth=1
	buffer_load_dword v3, off, s[48:51], 0  ; 4-byte Folded Reload
	v_add_u32_e32 v0, s19, v78
	v_cvt_f32_i32_e32 v0, v0
	s_waitcnt lgkmcnt(0)
	v_add_f32_e32 v1, v81, v82
	v_cmp_gt_i32_e64 s[4:5], s33, v78
	v_mul_f32_e32 v0, s10, v0
	v_cndmask_b32_e64 v0, 0, v0, s[2:3]
	v_fmac_f32_e32 v0, s11, v1
	v_cndmask_b32_e64 v1, 0, v0, s[4:5]
	ds_write_b32 v79, v1
	s_waitcnt vmcnt(0)
	v_max_f32_e32 v2, v3, v3
	v_max_f32_e32 v0, v2, v0
	v_cndmask_b32_e64 v3, v3, v0, s[4:5]
	buffer_store_dword v3, off, s[48:51], 0 ; 4-byte Folded Spill
	s_branch .LBB44_10
.LBB44_13:
	s_or_b64 exec, exec, s[12:13]
	buffer_load_dword v91, off, s[48:51], 0 offset:68 ; 4-byte Folded Reload
	buffer_load_dword v113, off, s[48:51], 0 offset:72 ; 4-byte Folded Reload
	;; [unrolled: 1-line block ×7, first 2 shown]
	buffer_load_dword v0, off, s[48:51], 0  ; 4-byte Folded Reload
	s_waitcnt vmcnt(7)
	v_lshrrev_b32_e32 v90, 2, v91
	v_lshlrev_b32_e32 v70, 2, v90
.LBB44_14:
	s_or_b64 exec, exec, s[36:37]
	s_waitcnt vmcnt(2)
	v_xor_b32_e32 v2, 32, v13
	s_waitcnt vmcnt(1)
	v_cmp_lt_i32_e32 vcc, v2, v14
	v_cndmask_b32_e32 v2, v13, v2, vcc
	v_lshlrev_b32_e32 v2, 2, v2
	s_waitcnt vmcnt(0)
	ds_bpermute_b32 v3, v2, v0
	v_xor_b32_e32 v5, 16, v13
	v_max_f32_e32 v4, v0, v0
	v_cmp_lt_i32_e32 vcc, v5, v14
	v_xor_b32_e32 v6, 8, v13
	s_waitcnt lgkmcnt(0)
	v_max_f32_e32 v3, v3, v3
	v_max_f32_e32 v4, v4, v3
	v_cndmask_b32_e32 v3, v13, v5, vcc
	v_lshlrev_b32_e32 v3, 2, v3
	ds_bpermute_b32 v5, v3, v4
	v_cmp_lt_i32_e32 vcc, v6, v14
	v_and_b32_e32 v92, 63, v91
	s_waitcnt lgkmcnt(0)
	v_max_f32_e32 v5, v5, v5
	v_max_f32_e32 v4, v4, v5
	v_cndmask_b32_e32 v5, v13, v6, vcc
	v_lshlrev_b32_e32 v7, 2, v5
	ds_bpermute_b32 v5, v7, v4
	v_xor_b32_e32 v6, 4, v13
	v_cmp_lt_i32_e32 vcc, v6, v14
	s_waitcnt lgkmcnt(0)
	v_max_f32_e32 v5, v5, v5
	v_max_f32_e32 v4, v4, v5
	v_cndmask_b32_e32 v5, v13, v6, vcc
	v_lshlrev_b32_e32 v8, 2, v5
	ds_bpermute_b32 v6, v8, v4
	v_cmp_eq_u32_e32 vcc, 0, v92
	v_lshlrev_b32_e32 v5, 2, v45
	s_and_saveexec_b64 s[2:3], vcc
	s_cbranch_execz .LBB44_16
; %bb.15:
	s_waitcnt lgkmcnt(0)
	v_max_f32_e32 v0, v6, v6
	v_max_f32_e32 v1, v4, v4
	;; [unrolled: 1-line block ×3, first 2 shown]
	ds_write_b32 v5, v0 offset:1024
.LBB44_16:
	s_or_b64 exec, exec, s[2:3]
	v_cmp_gt_u32_e64 s[2:3], 2, v92
	v_mov_b32_e32 v4, 0xff7fffff
	s_waitcnt lgkmcnt(0)
	v_lshlrev_b32_e32 v6, 2, v92
	s_barrier
	s_and_saveexec_b64 s[4:5], s[2:3]
	s_cbranch_execz .LBB44_18
; %bb.17:
	ds_read_b32 v4, v6 offset:1024
.LBB44_18:
	s_or_b64 exec, exec, s[4:5]
	v_xor_b32_e32 v0, 1, v13
	v_cmp_lt_i32_e64 s[4:5], v0, v14
	v_cndmask_b32_e64 v0, v13, v0, s[4:5]
	v_lshlrev_b32_e32 v93, 2, v0
	s_waitcnt lgkmcnt(0)
	ds_bpermute_b32 v0, v93, v4
	v_max_f32_e32 v1, v4, v4
	s_sub_i32 s4, s16, s27
	s_lshl_b32 s4, s4, 4
	s_add_i32 s4, s4, s40
	s_waitcnt lgkmcnt(0)
	v_max_f32_e32 v0, v0, v0
	v_max_f32_e32 v0, v1, v0
	v_lshlrev_b32_e32 v1, 2, v13
	v_and_b32_e32 v9, 0xffffff00, v1
	ds_bpermute_b32 v4, v9, v0
	s_min_i32 s27, s4, s33
	s_sub_i32 s19, s27, s40
	v_cmp_gt_i32_e64 s[4:5], s19, v91
	v_mov_b32_e32 v10, 0
	s_and_saveexec_b64 s[12:13], s[4:5]
	s_cbranch_execz .LBB44_22
; %bb.19:
	v_mov_b32_e32 v0, 0x410
	v_lshl_add_u32 v11, v91, 2, v0
	s_mov_b64 s[36:37], 0
	v_mov_b32_e32 v10, 0
	v_mov_b32_e32 v12, v91
.LBB44_20:                              ; =>This Inner Loop Header: Depth=1
	ds_read_b32 v0, v11
	v_add_u32_e32 v12, 0x80, v12
	v_cmp_le_i32_e64 s[10:11], s19, v12
	s_or_b64 s[36:37], s[10:11], s[36:37]
	s_waitcnt lgkmcnt(0)
	v_sub_f32_e32 v0, v0, v4
	v_mul_f32_e32 v0, 0x3fb8aa3b, v0
	v_exp_f32_e32 v0, v0
	ds_write_b32 v11, v0
	v_add_f32_e32 v10, v10, v0
	v_add_u32_e32 v11, 0x200, v11
	s_andn2_b64 exec, exec, s[36:37]
	s_cbranch_execnz .LBB44_20
; %bb.21:
	s_or_b64 exec, exec, s[36:37]
.LBB44_22:
	s_or_b64 exec, exec, s[12:13]
	ds_bpermute_b32 v0, v2, v10
	v_xor_b32_e32 v2, 2, v13
	v_cmp_lt_i32_e64 s[10:11], v2, v14
	v_cndmask_b32_e64 v2, v13, v2, s[10:11]
	v_lshlrev_b32_e32 v94, 2, v2
	s_waitcnt lgkmcnt(0)
	v_add_f32_e32 v0, v10, v0
	ds_bpermute_b32 v1, v3, v0
	s_waitcnt lgkmcnt(0)
	v_add_f32_e32 v0, v0, v1
	ds_bpermute_b32 v1, v7, v0
	;; [unrolled: 3-line block ×5, first 2 shown]
	s_waitcnt lgkmcnt(0)
	v_add_f32_e32 v2, v0, v1
	s_and_saveexec_b64 s[10:11], vcc
	s_cbranch_execz .LBB44_24
; %bb.23:
	ds_write_b32 v5, v2 offset:1032
.LBB44_24:
	s_or_b64 exec, exec, s[10:11]
	s_waitcnt lgkmcnt(0)
	s_barrier
	s_and_saveexec_b64 s[10:11], s[2:3]
	s_cbranch_execz .LBB44_26
; %bb.25:
	ds_read_b32 v2, v6 offset:1032
.LBB44_26:
	s_or_b64 exec, exec, s[10:11]
	s_waitcnt lgkmcnt(0)
	ds_bpermute_b32 v0, v93, v2
	s_waitcnt lgkmcnt(0)
	v_add_f32_e32 v0, v2, v0
	ds_bpermute_b32 v5, v9, v0
	s_and_saveexec_b64 s[2:3], s[4:5]
	s_cbranch_execz .LBB44_39
; %bb.27:
	s_waitcnt lgkmcnt(0)
	v_add_f32_e32 v0, 0x358637bd, v5
	v_div_scale_f32 v1, s[4:5], v0, v0, 1.0
	v_rcp_f32_e32 v2, v1
	v_div_scale_f32 v3, vcc, 1.0, v0, 1.0
	s_movk_i32 s4, 0x7f
	v_fma_f32 v6, -v1, v2, 1.0
	v_fmac_f32_e32 v2, v6, v2
	v_mul_f32_e32 v6, v3, v2
	v_fma_f32 v7, -v1, v6, v3
	v_fmac_f32_e32 v6, v7, v2
	v_fma_f32 v1, -v1, v6, v3
	v_div_fmas_f32 v1, v1, v2, v6
	v_div_fixup_f32 v2, v1, v0, 1.0
	v_xad_u32 v0, v91, -1, s27
	v_subrev_u32_e32 v6, s40, v0
	v_cmp_lt_u32_e32 vcc, s4, v6
	s_mov_b64 s[10:11], -1
	v_mov_b32_e32 v3, v91
	s_and_saveexec_b64 s[4:5], vcc
	s_cbranch_execz .LBB44_36
; %bb.28:
	v_lshrrev_b32_e32 v6, 7, v6
	v_add_u32_e32 v0, -1, v6
	v_lshrrev_b32_e32 v1, 1, v0
	v_mov_b32_e32 v3, v2
	v_add_u32_e32 v7, 1, v1
	v_cmp_lt_u32_e32 vcc, 13, v0
	v_mov_b32_e32 v10, 0
	s_and_saveexec_b64 s[10:11], vcc
	s_cbranch_execz .LBB44_32
; %bb.29:
	v_mov_b32_e32 v0, 0x410
	v_and_b32_e32 v8, -8, v7
	v_lshl_add_u32 v9, v91, 2, v0
	s_mov_b32 s27, 0
	s_mov_b64 s[12:13], 0
.LBB44_30:                              ; =>This Inner Loop Header: Depth=1
	ds_read2st64_b32 v[10:11], v9 offset1:2
	ds_read2st64_b32 v[12:13], v9 offset0:4 offset1:6
	ds_read2st64_b32 v[14:15], v9 offset0:8 offset1:10
	;; [unrolled: 1-line block ×3, first 2 shown]
	v_add_u32_e32 v8, -8, v8
	s_waitcnt lgkmcnt(3)
	v_pk_mul_f32 v[10:11], v[2:3], v[10:11]
	s_waitcnt lgkmcnt(2)
	v_pk_mul_f32 v[12:13], v[2:3], v[12:13]
	ds_write2st64_b32 v9, v10, v11 offset1:2
	ds_write2st64_b32 v9, v12, v13 offset0:4 offset1:6
	ds_read2st64_b32 v[12:13], v9 offset0:16 offset1:18
	s_waitcnt lgkmcnt(4)
	v_pk_mul_f32 v[10:11], v[2:3], v[14:15]
	ds_write2st64_b32 v9, v10, v11 offset0:8 offset1:10
	s_waitcnt lgkmcnt(4)
	v_pk_mul_f32 v[10:11], v[2:3], v[16:17]
	ds_write2st64_b32 v9, v10, v11 offset0:12 offset1:14
	ds_read2st64_b32 v[10:11], v9 offset0:20 offset1:22
	s_waitcnt lgkmcnt(3)
	v_pk_mul_f32 v[12:13], v[2:3], v[12:13]
	ds_read2st64_b32 v[14:15], v9 offset0:24 offset1:26
	ds_write2st64_b32 v9, v12, v13 offset0:16 offset1:18
	ds_read2st64_b32 v[12:13], v9 offset0:28 offset1:30
	s_waitcnt lgkmcnt(3)
	v_pk_mul_f32 v[10:11], v[2:3], v[10:11]
	ds_write2st64_b32 v9, v10, v11 offset0:20 offset1:22
	s_waitcnt lgkmcnt(3)
	v_pk_mul_f32 v[10:11], v[2:3], v[14:15]
	ds_write2st64_b32 v9, v10, v11 offset0:24 offset1:26
	s_waitcnt lgkmcnt(2)
	v_pk_mul_f32 v[10:11], v[2:3], v[12:13]
	s_add_i32 s27, s27, 16
	v_cmp_eq_u32_e32 vcc, 0, v8
	ds_write2st64_b32 v9, v10, v11 offset0:28 offset1:30
	v_add_u32_e32 v9, 0x2000, v9
	s_or_b64 s[12:13], vcc, s[12:13]
	v_mov_b32_e32 v10, s27
	s_andn2_b64 exec, exec, s[12:13]
	s_cbranch_execnz .LBB44_30
; %bb.31:
	s_or_b64 exec, exec, s[12:13]
.LBB44_32:
	s_or_b64 exec, exec, s[10:11]
	v_and_b32_e32 v7, 7, v7
	v_cmp_ne_u32_e32 vcc, 0, v7
	s_and_saveexec_b64 s[10:11], vcc
	s_cbranch_execz .LBB44_35
; %bb.33:
	v_lshlrev_b32_e32 v0, 9, v10
	v_lshlrev_b32_e32 v1, 2, v91
	s_movk_i32 s12, 0x410
	v_add3_u32 v8, v0, v1, s12
	s_mov_b64 s[12:13], 0
.LBB44_34:                              ; =>This Inner Loop Header: Depth=1
	ds_read2st64_b32 v[10:11], v8 offset1:2
	v_add_u32_e32 v7, -1, v7
	v_cmp_eq_u32_e32 vcc, 0, v7
	s_or_b64 s[12:13], vcc, s[12:13]
	s_waitcnt lgkmcnt(0)
	v_pk_mul_f32 v[10:11], v[2:3], v[10:11]
	ds_write2st64_b32 v8, v10, v11 offset1:2
	v_add_u32_e32 v8, 0x400, v8
	s_andn2_b64 exec, exec, s[12:13]
	s_cbranch_execnz .LBB44_34
.LBB44_35:
	s_or_b64 exec, exec, s[10:11]
	v_add_u32_e32 v0, 1, v6
	v_and_b32_e32 v1, 0x3fffffe, v0
	v_cmp_ne_u32_e32 vcc, v0, v1
	v_lshl_add_u32 v3, v1, 7, v91
	s_orn2_b64 s[10:11], vcc, exec
.LBB44_36:
	s_or_b64 exec, exec, s[4:5]
	s_and_b64 exec, exec, s[10:11]
	s_cbranch_execz .LBB44_39
; %bb.37:
	v_mov_b32_e32 v0, 0x410
	v_lshl_add_u32 v6, v3, 2, v0
	s_mov_b64 s[4:5], 0
.LBB44_38:                              ; =>This Inner Loop Header: Depth=1
	ds_read_b32 v0, v6
	v_add_u32_e32 v3, 0x80, v3
	v_cmp_le_i32_e32 vcc, s19, v3
	s_or_b64 s[4:5], vcc, s[4:5]
	s_waitcnt lgkmcnt(0)
	v_mul_f32_e32 v0, v2, v0
	ds_write_b32 v6, v0
	v_add_u32_e32 v6, 0x200, v6
	s_andn2_b64 exec, exec, s[4:5]
	s_cbranch_execnz .LBB44_38
.LBB44_39:
	s_or_b64 exec, exec, s[2:3]
	s_mul_i32 s2, s31, s30
	v_cmp_eq_u32_e32 vcc, 0, v91
	s_mul_i32 s2, s2, s9
	s_waitcnt lgkmcnt(0)
	s_barrier
	s_and_saveexec_b64 s[4:5], vcc
	s_cbranch_execz .LBB44_41
; %bb.40:
	s_ashr_i32 s3, s2, 31
	s_lshl_b64 s[10:11], s[2:3], 2
	s_add_u32 s3, s22, s10
	s_mul_i32 s12, s31, s6
	s_addc_u32 s9, s23, s11
	s_ashr_i32 s13, s12, 31
	s_lshl_b64 s[12:13], s[12:13], 2
	s_add_u32 s3, s3, s12
	s_addc_u32 s6, s9, s13
	s_ashr_i32 s9, s8, 31
	s_lshl_b64 s[22:23], s[8:9], 2
	s_add_u32 s36, s3, s22
	s_addc_u32 s37, s6, s23
	s_add_u32 s3, s20, s10
	s_addc_u32 s6, s21, s11
	;; [unrolled: 2-line block ×3, first 2 shown]
	s_add_u32 s10, s3, s22
	v_mov_b32_e32 v0, 0
	s_addc_u32 s11, s6, s23
	global_store_dword v0, v4, s[36:37]
	global_store_dword v0, v5, s[10:11]
.LBB44_41:
	s_or_b64 exec, exec, s[4:5]
	v_mov_b32_e32 v86, 0
	v_mov_b32_e32 v87, 0
	;; [unrolled: 1-line block ×16, first 2 shown]
	s_and_saveexec_b64 s[4:5], s[0:1]
	s_cbranch_execz .LBB44_77
; %bb.42:
	s_ashr_i32 s19, s18, 31
	s_lshl_b64 s[0:1], s[18:19], 2
	v_lshlrev_b32_e32 v0, 2, v91
	s_add_u32 s9, s14, s0
	v_and_b32_e32 v1, 12, v0
	s_addc_u32 s10, s15, s1
	s_add_i32 s12, s7, -1
	v_and_b32_e32 v2, 0xfc, v0
	v_or_b32_e32 v26, 0xf00, v0
	v_lshl_add_u32 v0, v45, 4, s40
	s_lshl_b64 s[0:1], s[34:35], 2
	v_add3_u32 v95, v0, v1, 3
	v_lshlrev_b32_e32 v0, 4, v113
	s_add_u32 s0, s28, s0
	v_lshl_or_b32 v0, v45, 6, v0
	v_lshlrev_b64 v[28:29], 2, v[114:115]
	s_addc_u32 s1, s29, s1
	v_mov_b32_e32 v73, 0
	v_or_b32_e32 v4, 0x400, v2
	v_or_b32_e32 v6, 0x500, v2
	;; [unrolled: 1-line block ×11, first 2 shown]
	v_add_u32_e32 v96, 0x410, v0
	v_mov_b32_e32 v0, s1
	v_add_co_u32_e32 v88, vcc, s0, v28
	s_mov_b32 s3, s17
	v_addc_co_u32_e32 v89, vcc, v0, v29, vcc
	s_mov_b64 s[6:7], 0
	v_lshlrev_b32_e32 v71, 2, v2
	v_lshlrev_b32_e32 v97, 2, v4
	;; [unrolled: 1-line block ×13, first 2 shown]
	v_mov_b32_e32 v109, s10
	v_mov_b32_e32 v72, v73
	;; [unrolled: 1-line block ×16, first 2 shown]
	s_branch .LBB44_44
.LBB44_43:                              ;   in Loop: Header=BB44_44 Depth=1
	s_or_b64 exec, exec, s[0:1]
	s_waitcnt vmcnt(1) lgkmcnt(0)
	v_mul_f32_e32 v0, v3, v67
	v_fmac_f32_e32 v0, v2, v66
	v_fmac_f32_e32 v0, v4, v68
	v_fmac_f32_e32 v0, v5, v69
	v_add_f32_e32 v72, v72, v0
	v_mul_f32_e32 v0, v3, v63
	v_fmac_f32_e32 v0, v2, v62
	v_fmac_f32_e32 v0, v4, v64
	v_fmac_f32_e32 v0, v5, v65
	v_add_f32_e32 v75, v75, v0
	;; [unrolled: 5-line block ×15, first 2 shown]
	s_waitcnt vmcnt(0)
	v_mul_f32_e32 v0, v3, v59
	v_fmac_f32_e32 v0, v2, v58
	v_add_u32_e32 v114, 2, v114
	v_fmac_f32_e32 v0, v4, v60
	v_cmp_le_i32_e32 vcc, s16, v114
	v_fmac_f32_e32 v0, v5, v61
	s_or_b64 s[6:7], vcc, s[6:7]
	v_add_co_u32_e32 v88, vcc, 8, v88
	v_add_f32_e32 v73, v73, v0
	v_add_u32_e32 v95, 32, v95
	v_add_u32_e32 v96, 0x80, v96
	v_addc_co_u32_e32 v89, vcc, 0, v89, vcc
	s_andn2_b64 exec, exec, s[6:7]
	s_cbranch_execz .LBB44_76
.LBB44_44:                              ; =>This Inner Loop Header: Depth=1
	global_load_dword v0, v[88:89], off
	v_add_u32_e32 v110, -3, v95
	v_add_u32_e32 v112, -2, v95
	;; [unrolled: 1-line block ×3, first 2 shown]
	s_waitcnt vmcnt(0)
	v_mad_i64_i32 v[2:3], s[0:1], v0, s3, 0
	v_lshlrev_b64 v[2:3], 2, v[2:3]
	v_add_co_u32_e32 v58, vcc, s9, v2
	v_addc_co_u32_e32 v59, vcc, v109, v3, vcc
	v_add_co_u32_e32 v18, vcc, v58, v71
	v_addc_co_u32_e32 v19, vcc, 0, v59, vcc
	global_load_dwordx4 v[6:9], v[18:19], off
	ds_read_b128 v[2:5], v96
	v_cmp_eq_u32_e32 vcc, s12, v114
	s_and_saveexec_b64 s[10:11], vcc
	s_cbranch_execnz .LBB44_73
; %bb.45:                               ;   in Loop: Header=BB44_44 Depth=1
	s_or_b64 exec, exec, s[10:11]
	global_load_dwordx4 v[10:13], v[18:19], off offset:1024
	s_and_saveexec_b64 s[10:11], vcc
	s_cbranch_execnz .LBB44_74
.LBB44_46:                              ;   in Loop: Header=BB44_44 Depth=1
	s_or_b64 exec, exec, s[10:11]
	global_load_dwordx4 v[14:17], v[18:19], off offset:2048
	s_and_saveexec_b64 s[10:11], vcc
	s_cbranch_execnz .LBB44_75
.LBB44_47:                              ;   in Loop: Header=BB44_44 Depth=1
	s_or_b64 exec, exec, s[10:11]
	global_load_dwordx4 v[18:21], v[18:19], off offset:3072
	s_and_saveexec_b64 s[10:11], vcc
	s_cbranch_execz .LBB44_49
.LBB44_48:                              ;   in Loop: Header=BB44_44 Depth=1
	v_cmp_gt_i32_e64 s[0:1], s33, v110
	s_waitcnt vmcnt(0)
	v_cndmask_b32_e64 v18, 0, v18, s[0:1]
	v_cmp_gt_i32_e64 s[0:1], s33, v112
	v_cndmask_b32_e64 v19, 0, v19, s[0:1]
	v_cmp_gt_i32_e64 s[0:1], s33, v111
	;; [unrolled: 2-line block ×3, first 2 shown]
	v_cndmask_b32_e64 v21, 0, v21, s[0:1]
.LBB44_49:                              ;   in Loop: Header=BB44_44 Depth=1
	s_or_b64 exec, exec, s[10:11]
	v_add_co_u32_e64 v22, s[0:1], v58, v97
	v_addc_co_u32_e64 v23, s[0:1], 0, v59, s[0:1]
	global_load_dwordx4 v[22:25], v[22:23], off
	s_and_saveexec_b64 s[10:11], vcc
	s_cbranch_execz .LBB44_51
; %bb.50:                               ;   in Loop: Header=BB44_44 Depth=1
	v_cmp_gt_i32_e64 s[0:1], s33, v110
	s_waitcnt vmcnt(0)
	v_cndmask_b32_e64 v22, 0, v22, s[0:1]
	v_cmp_gt_i32_e64 s[0:1], s33, v112
	v_cndmask_b32_e64 v23, 0, v23, s[0:1]
	v_cmp_gt_i32_e64 s[0:1], s33, v111
	v_cndmask_b32_e64 v24, 0, v24, s[0:1]
	v_cmp_gt_i32_e64 s[0:1], s33, v95
	v_cndmask_b32_e64 v25, 0, v25, s[0:1]
.LBB44_51:                              ;   in Loop: Header=BB44_44 Depth=1
	s_or_b64 exec, exec, s[10:11]
	v_add_co_u32_e64 v26, s[0:1], v58, v98
	v_addc_co_u32_e64 v27, s[0:1], 0, v59, s[0:1]
	global_load_dwordx4 v[26:29], v[26:27], off
	s_and_saveexec_b64 s[10:11], vcc
	s_cbranch_execz .LBB44_53
; %bb.52:                               ;   in Loop: Header=BB44_44 Depth=1
	v_cmp_gt_i32_e64 s[0:1], s33, v110
	s_waitcnt vmcnt(0)
	v_cndmask_b32_e64 v26, 0, v26, s[0:1]
	v_cmp_gt_i32_e64 s[0:1], s33, v112
	v_cndmask_b32_e64 v27, 0, v27, s[0:1]
	v_cmp_gt_i32_e64 s[0:1], s33, v111
	v_cndmask_b32_e64 v28, 0, v28, s[0:1]
	v_cmp_gt_i32_e64 s[0:1], s33, v95
	v_cndmask_b32_e64 v29, 0, v29, s[0:1]
.LBB44_53:                              ;   in Loop: Header=BB44_44 Depth=1
	;; [unrolled: 17-line block ×11, first 2 shown]
	s_or_b64 exec, exec, s[10:11]
	v_add_co_u32_e64 v58, s[0:1], v58, v108
	v_addc_co_u32_e64 v59, s[0:1], 0, v59, s[0:1]
	global_load_dwordx4 v[58:61], v[58:59], off
	s_and_saveexec_b64 s[0:1], vcc
	s_cbranch_execz .LBB44_43
; %bb.72:                               ;   in Loop: Header=BB44_44 Depth=1
	v_cmp_gt_i32_e32 vcc, s33, v110
	s_waitcnt vmcnt(0)
	v_cndmask_b32_e32 v58, 0, v58, vcc
	v_cmp_gt_i32_e32 vcc, s33, v112
	v_cndmask_b32_e32 v59, 0, v59, vcc
	v_cmp_gt_i32_e32 vcc, s33, v111
	;; [unrolled: 2-line block ×3, first 2 shown]
	v_cndmask_b32_e32 v61, 0, v61, vcc
	s_branch .LBB44_43
.LBB44_73:                              ;   in Loop: Header=BB44_44 Depth=1
	v_cmp_gt_i32_e64 s[0:1], s33, v110
	s_waitcnt vmcnt(0)
	v_cndmask_b32_e64 v6, 0, v6, s[0:1]
	v_cmp_gt_i32_e64 s[0:1], s33, v112
	v_cndmask_b32_e64 v7, 0, v7, s[0:1]
	v_cmp_gt_i32_e64 s[0:1], s33, v111
	;; [unrolled: 2-line block ×3, first 2 shown]
	v_cndmask_b32_e64 v9, 0, v9, s[0:1]
	s_or_b64 exec, exec, s[10:11]
	global_load_dwordx4 v[10:13], v[18:19], off offset:1024
	s_and_saveexec_b64 s[10:11], vcc
	s_cbranch_execz .LBB44_46
.LBB44_74:                              ;   in Loop: Header=BB44_44 Depth=1
	v_cmp_gt_i32_e64 s[0:1], s33, v110
	s_waitcnt vmcnt(0)
	v_cndmask_b32_e64 v10, 0, v10, s[0:1]
	v_cmp_gt_i32_e64 s[0:1], s33, v112
	v_cndmask_b32_e64 v11, 0, v11, s[0:1]
	v_cmp_gt_i32_e64 s[0:1], s33, v111
	v_cndmask_b32_e64 v12, 0, v12, s[0:1]
	v_cmp_gt_i32_e64 s[0:1], s33, v95
	v_cndmask_b32_e64 v13, 0, v13, s[0:1]
	s_or_b64 exec, exec, s[10:11]
	global_load_dwordx4 v[14:17], v[18:19], off offset:2048
	s_and_saveexec_b64 s[10:11], vcc
	s_cbranch_execz .LBB44_47
.LBB44_75:                              ;   in Loop: Header=BB44_44 Depth=1
	v_cmp_gt_i32_e64 s[0:1], s33, v110
	s_waitcnt vmcnt(0)
	v_cndmask_b32_e64 v14, 0, v14, s[0:1]
	v_cmp_gt_i32_e64 s[0:1], s33, v112
	v_cndmask_b32_e64 v15, 0, v15, s[0:1]
	v_cmp_gt_i32_e64 s[0:1], s33, v111
	;; [unrolled: 2-line block ×3, first 2 shown]
	v_cndmask_b32_e64 v17, 0, v17, s[0:1]
	s_or_b64 exec, exec, s[10:11]
	global_load_dwordx4 v[18:21], v[18:19], off offset:3072
	s_and_saveexec_b64 s[10:11], vcc
	s_cbranch_execnz .LBB44_48
	s_branch .LBB44_49
.LBB44_76:
	s_or_b64 exec, exec, s[6:7]
.LBB44_77:
	s_or_b64 exec, exec, s[4:5]
	ds_bpermute_b32 v2, v94, v86
	ds_bpermute_b32 v3, v94, v87
	;; [unrolled: 1-line block ×6, first 2 shown]
	s_waitcnt lgkmcnt(4)
	v_pk_add_f32 v[2:3], v[86:87], v[2:3]
	ds_bpermute_b32 v6, v93, v2
	ds_bpermute_b32 v7, v93, v3
	s_waitcnt lgkmcnt(4)
	v_pk_add_f32 v[4:5], v[84:85], v[4:5]
	ds_bpermute_b32 v10, v93, v4
	ds_bpermute_b32 v11, v93, v5
	;; [unrolled: 1-line block ×3, first 2 shown]
	s_waitcnt lgkmcnt(3)
	v_pk_add_f32 v[2:3], v[2:3], v[6:7]
	v_pk_add_f32 v[6:7], v[82:83], v[8:9]
	ds_bpermute_b32 v8, v93, v6
	ds_bpermute_b32 v9, v93, v7
	;; [unrolled: 1-line block ×3, first 2 shown]
	s_waitcnt lgkmcnt(4)
	v_pk_add_f32 v[4:5], v[4:5], v[10:11]
	ds_bpermute_b32 v10, v94, v78
	ds_bpermute_b32 v11, v94, v79
	;; [unrolled: 1-line block ×6, first 2 shown]
	s_waitcnt lgkmcnt(7)
	v_pk_add_f32 v[6:7], v[6:7], v[8:9]
	s_waitcnt lgkmcnt(6)
	v_pk_add_f32 v[8:9], v[80:81], v[12:13]
	;; [unrolled: 2-line block ×3, first 2 shown]
	ds_bpermute_b32 v12, v93, v8
	ds_bpermute_b32 v13, v93, v9
	ds_bpermute_b32 v16, v93, v10
	ds_bpermute_b32 v17, v93, v11
	s_waitcnt lgkmcnt(6)
	v_pk_add_f32 v[18:19], v[74:75], v[18:19]
	ds_bpermute_b32 v26, v94, v72
	ds_bpermute_b32 v27, v94, v73
	;; [unrolled: 1-line block ×4, first 2 shown]
	s_waitcnt lgkmcnt(8)
	v_pk_add_f32 v[20:21], v[76:77], v[14:15]
	ds_bpermute_b32 v22, v93, v20
	ds_bpermute_b32 v23, v93, v21
	s_waitcnt lgkmcnt(8)
	v_pk_add_f32 v[14:15], v[8:9], v[12:13]
	s_waitcnt lgkmcnt(6)
	v_pk_add_f32 v[12:13], v[10:11], v[16:17]
	;; [unrolled: 2-line block ×4, first 2 shown]
	ds_bpermute_b32 v18, v93, v16
	ds_bpermute_b32 v19, v93, v17
	s_waitcnt lgkmcnt(2)
	v_pk_add_f32 v[10:11], v[20:21], v[22:23]
	v_and_b32_e32 v20, 0x3c3, v91
	v_cmp_ne_u32_e32 vcc, 64, v20
	s_waitcnt lgkmcnt(0)
	s_barrier
	s_and_saveexec_b64 s[0:1], vcc
	s_xor_b64 s[0:1], exec, s[0:1]
; %bb.78:
                                        ; implicit-def: $vgpr92
; %bb.79:
	s_or_saveexec_b64 s[0:1], s[0:1]
	v_pk_add_f32 v[16:17], v[16:17], v[18:19]
	s_xor_b64 exec, exec, s[0:1]
	s_cbranch_execz .LBB44_81
; %bb.80:
	v_add_u32_e32 v0, 0x410, v92
	ds_write2_b32 v0, v2, v3 offset1:16
	ds_write2_b32 v0, v4, v5 offset0:32 offset1:48
	ds_write2_b32 v0, v6, v7 offset0:64 offset1:80
	;; [unrolled: 1-line block ×7, first 2 shown]
.LBB44_81:
	s_or_b64 exec, exec, s[0:1]
	v_cmp_gt_u32_e32 vcc, 64, v91
	s_waitcnt lgkmcnt(0)
	s_barrier
	s_and_saveexec_b64 s[0:1], vcc
	s_cbranch_execz .LBB44_100
; %bb.82:
	v_cmp_eq_u32_e32 vcc, 0, v113
	s_and_saveexec_b64 s[4:5], vcc
	s_cbranch_execnz .LBB44_103
; %bb.83:
	s_or_b64 exec, exec, s[4:5]
	s_and_saveexec_b64 s[4:5], vcc
	s_cbranch_execnz .LBB44_104
.LBB44_84:
	s_or_b64 exec, exec, s[4:5]
	s_and_saveexec_b64 s[4:5], vcc
	s_cbranch_execnz .LBB44_105
.LBB44_85:
	s_or_b64 exec, exec, s[4:5]
	s_and_saveexec_b64 s[4:5], vcc
	s_cbranch_execnz .LBB44_106
.LBB44_86:
	s_or_b64 exec, exec, s[4:5]
	s_and_saveexec_b64 s[4:5], vcc
	s_cbranch_execnz .LBB44_107
.LBB44_87:
	s_or_b64 exec, exec, s[4:5]
	s_and_saveexec_b64 s[4:5], vcc
	s_cbranch_execnz .LBB44_108
.LBB44_88:
	s_or_b64 exec, exec, s[4:5]
	s_and_saveexec_b64 s[4:5], vcc
	s_cbranch_execnz .LBB44_109
.LBB44_89:
	s_or_b64 exec, exec, s[4:5]
	s_and_saveexec_b64 s[4:5], vcc
	s_cbranch_execnz .LBB44_110
.LBB44_90:
	s_or_b64 exec, exec, s[4:5]
	s_and_saveexec_b64 s[4:5], vcc
	s_cbranch_execnz .LBB44_111
.LBB44_91:
	s_or_b64 exec, exec, s[4:5]
	s_and_saveexec_b64 s[4:5], vcc
	s_cbranch_execnz .LBB44_112
.LBB44_92:
	s_or_b64 exec, exec, s[4:5]
	s_and_saveexec_b64 s[4:5], vcc
	s_cbranch_execnz .LBB44_113
.LBB44_93:
	s_or_b64 exec, exec, s[4:5]
	s_and_saveexec_b64 s[4:5], vcc
	s_cbranch_execnz .LBB44_114
.LBB44_94:
	s_or_b64 exec, exec, s[4:5]
	s_and_saveexec_b64 s[4:5], vcc
	s_cbranch_execnz .LBB44_115
.LBB44_95:
	s_or_b64 exec, exec, s[4:5]
	s_and_saveexec_b64 s[4:5], vcc
	s_cbranch_execnz .LBB44_116
.LBB44_96:
	s_or_b64 exec, exec, s[4:5]
	s_and_saveexec_b64 s[4:5], vcc
	s_cbranch_execnz .LBB44_117
.LBB44_97:
	s_or_b64 exec, exec, s[4:5]
	s_and_saveexec_b64 s[4:5], vcc
	s_cbranch_execz .LBB44_99
.LBB44_98:
	v_mov_b32_e32 v0, 0x410
	v_lshl_add_u32 v0, v90, 2, v0
	ds_read_b32 v0, v0 offset:960
	s_waitcnt lgkmcnt(0)
	v_add_f32_e32 v17, v17, v0
.LBB44_99:
	s_or_b64 exec, exec, s[4:5]
.LBB44_100:
	s_or_b64 exec, exec, s[0:1]
	v_cmp_eq_u32_e32 vcc, 0, v20
	s_barrier
	s_and_saveexec_b64 s[0:1], vcc
	s_cbranch_execz .LBB44_102
; %bb.101:
	s_lshl_b32 s0, s2, 8
	s_ashr_i32 s1, s0, 31
	s_lshl_b64 s[0:1], s[0:1], 2
	s_add_u32 s2, s24, s0
	s_mul_i32 s0, s31, s26
	s_addc_u32 s3, s25, s1
	s_ashr_i32 s1, s0, 31
	s_lshl_b64 s[0:1], s[0:1], 2
	s_add_u32 s2, s2, s0
	s_addc_u32 s3, s3, s1
	s_lshl_b32 s0, s8, 8
	s_ashr_i32 s1, s0, 31
	s_lshl_b64 s[0:1], s[0:1], 2
	s_add_u32 s0, s2, s0
	s_addc_u32 s1, s3, s1
	global_store_dword v70, v2, s[0:1]
	global_store_dword v70, v3, s[0:1] offset:64
	global_store_dword v70, v4, s[0:1] offset:128
	;; [unrolled: 1-line block ×15, first 2 shown]
.LBB44_102:
	s_endpgm
.LBB44_103:
	v_mov_b32_e32 v0, 0x410
	v_lshl_add_u32 v0, v90, 2, v0
	ds_read_b32 v0, v0
	s_waitcnt lgkmcnt(0)
	v_add_f32_e32 v2, v2, v0
	s_or_b64 exec, exec, s[4:5]
	s_and_saveexec_b64 s[4:5], vcc
	s_cbranch_execz .LBB44_84
.LBB44_104:
	v_mov_b32_e32 v0, 0x410
	v_lshl_add_u32 v0, v90, 2, v0
	ds_read_b32 v0, v0 offset:64
	s_waitcnt lgkmcnt(0)
	v_add_f32_e32 v3, v3, v0
	s_or_b64 exec, exec, s[4:5]
	s_and_saveexec_b64 s[4:5], vcc
	s_cbranch_execz .LBB44_85
.LBB44_105:
	v_mov_b32_e32 v0, 0x410
	v_lshl_add_u32 v0, v90, 2, v0
	ds_read_b32 v0, v0 offset:128
	s_waitcnt lgkmcnt(0)
	v_add_f32_e32 v4, v4, v0
	s_or_b64 exec, exec, s[4:5]
	s_and_saveexec_b64 s[4:5], vcc
	s_cbranch_execz .LBB44_86
.LBB44_106:
	v_mov_b32_e32 v0, 0x410
	v_lshl_add_u32 v0, v90, 2, v0
	ds_read_b32 v0, v0 offset:192
	s_waitcnt lgkmcnt(0)
	v_add_f32_e32 v5, v5, v0
	s_or_b64 exec, exec, s[4:5]
	s_and_saveexec_b64 s[4:5], vcc
	s_cbranch_execz .LBB44_87
.LBB44_107:
	v_mov_b32_e32 v0, 0x410
	v_lshl_add_u32 v0, v90, 2, v0
	ds_read_b32 v0, v0 offset:256
	s_waitcnt lgkmcnt(0)
	v_add_f32_e32 v6, v6, v0
	s_or_b64 exec, exec, s[4:5]
	s_and_saveexec_b64 s[4:5], vcc
	s_cbranch_execz .LBB44_88
.LBB44_108:
	v_mov_b32_e32 v0, 0x410
	v_lshl_add_u32 v0, v90, 2, v0
	ds_read_b32 v0, v0 offset:320
	s_waitcnt lgkmcnt(0)
	v_add_f32_e32 v7, v7, v0
	s_or_b64 exec, exec, s[4:5]
	s_and_saveexec_b64 s[4:5], vcc
	s_cbranch_execz .LBB44_89
.LBB44_109:
	v_mov_b32_e32 v0, 0x410
	v_lshl_add_u32 v0, v90, 2, v0
	ds_read_b32 v0, v0 offset:384
	s_waitcnt lgkmcnt(0)
	v_add_f32_e32 v14, v14, v0
	s_or_b64 exec, exec, s[4:5]
	s_and_saveexec_b64 s[4:5], vcc
	s_cbranch_execz .LBB44_90
.LBB44_110:
	v_mov_b32_e32 v0, 0x410
	v_lshl_add_u32 v0, v90, 2, v0
	ds_read_b32 v0, v0 offset:448
	s_waitcnt lgkmcnt(0)
	v_add_f32_e32 v15, v15, v0
	s_or_b64 exec, exec, s[4:5]
	s_and_saveexec_b64 s[4:5], vcc
	s_cbranch_execz .LBB44_91
.LBB44_111:
	v_mov_b32_e32 v0, 0x410
	v_lshl_add_u32 v0, v90, 2, v0
	ds_read_b32 v0, v0 offset:512
	s_waitcnt lgkmcnt(0)
	v_add_f32_e32 v12, v12, v0
	s_or_b64 exec, exec, s[4:5]
	s_and_saveexec_b64 s[4:5], vcc
	s_cbranch_execz .LBB44_92
.LBB44_112:
	v_mov_b32_e32 v0, 0x410
	v_lshl_add_u32 v0, v90, 2, v0
	ds_read_b32 v0, v0 offset:576
	s_waitcnt lgkmcnt(0)
	v_add_f32_e32 v13, v13, v0
	s_or_b64 exec, exec, s[4:5]
	s_and_saveexec_b64 s[4:5], vcc
	s_cbranch_execz .LBB44_93
.LBB44_113:
	v_mov_b32_e32 v0, 0x410
	v_lshl_add_u32 v0, v90, 2, v0
	ds_read_b32 v0, v0 offset:640
	s_waitcnt lgkmcnt(0)
	v_add_f32_e32 v10, v10, v0
	s_or_b64 exec, exec, s[4:5]
	s_and_saveexec_b64 s[4:5], vcc
	s_cbranch_execz .LBB44_94
.LBB44_114:
	v_mov_b32_e32 v0, 0x410
	v_lshl_add_u32 v0, v90, 2, v0
	ds_read_b32 v0, v0 offset:704
	s_waitcnt lgkmcnt(0)
	v_add_f32_e32 v11, v11, v0
	s_or_b64 exec, exec, s[4:5]
	s_and_saveexec_b64 s[4:5], vcc
	s_cbranch_execz .LBB44_95
.LBB44_115:
	v_mov_b32_e32 v0, 0x410
	v_lshl_add_u32 v0, v90, 2, v0
	ds_read_b32 v0, v0 offset:768
	s_waitcnt lgkmcnt(0)
	v_add_f32_e32 v8, v8, v0
	s_or_b64 exec, exec, s[4:5]
	s_and_saveexec_b64 s[4:5], vcc
	s_cbranch_execz .LBB44_96
.LBB44_116:
	v_mov_b32_e32 v0, 0x410
	v_lshl_add_u32 v0, v90, 2, v0
	ds_read_b32 v0, v0 offset:832
	s_waitcnt lgkmcnt(0)
	v_add_f32_e32 v9, v9, v0
	s_or_b64 exec, exec, s[4:5]
	s_and_saveexec_b64 s[4:5], vcc
	s_cbranch_execz .LBB44_97
.LBB44_117:
	v_mov_b32_e32 v0, 0x410
	v_lshl_add_u32 v0, v90, 2, v0
	ds_read_b32 v0, v0 offset:896
	s_waitcnt lgkmcnt(0)
	v_add_f32_e32 v16, v16, v0
	s_or_b64 exec, exec, s[4:5]
	s_and_saveexec_b64 s[4:5], vcc
	s_cbranch_execnz .LBB44_98
	s_branch .LBB44_99
	.section	.rodata,"a",@progbits
	.p2align	6, 0x0
	.amdhsa_kernel _ZN4vllm25paged_attention_v2_kernelIffLi256ELi16ELi128ELNS_18Fp8KVCacheDataTypeE0ELb0ELi512EEEvPfS2_PT_PKS3_PKT0_S9_ifPKiSB_iPKfiiiSD_SD_iiiii
		.amdhsa_group_segment_fixed_size 1040
		.amdhsa_private_segment_fixed_size 100
		.amdhsa_kernarg_size 400
		.amdhsa_user_sgpr_count 6
		.amdhsa_user_sgpr_private_segment_buffer 1
		.amdhsa_user_sgpr_dispatch_ptr 0
		.amdhsa_user_sgpr_queue_ptr 0
		.amdhsa_user_sgpr_kernarg_segment_ptr 1
		.amdhsa_user_sgpr_dispatch_id 0
		.amdhsa_user_sgpr_flat_scratch_init 0
		.amdhsa_user_sgpr_kernarg_preload_length 0
		.amdhsa_user_sgpr_kernarg_preload_offset 0
		.amdhsa_user_sgpr_private_segment_size 0
		.amdhsa_uses_dynamic_stack 0
		.amdhsa_system_sgpr_private_segment_wavefront_offset 1
		.amdhsa_system_sgpr_workgroup_id_x 1
		.amdhsa_system_sgpr_workgroup_id_y 1
		.amdhsa_system_sgpr_workgroup_id_z 1
		.amdhsa_system_sgpr_workgroup_info 0
		.amdhsa_system_vgpr_workitem_id 0
		.amdhsa_next_free_vgpr 128
		.amdhsa_next_free_sgpr 52
		.amdhsa_accum_offset 128
		.amdhsa_reserve_vcc 1
		.amdhsa_reserve_flat_scratch 0
		.amdhsa_float_round_mode_32 0
		.amdhsa_float_round_mode_16_64 0
		.amdhsa_float_denorm_mode_32 3
		.amdhsa_float_denorm_mode_16_64 3
		.amdhsa_dx10_clamp 1
		.amdhsa_ieee_mode 1
		.amdhsa_fp16_overflow 0
		.amdhsa_tg_split 0
		.amdhsa_exception_fp_ieee_invalid_op 0
		.amdhsa_exception_fp_denorm_src 0
		.amdhsa_exception_fp_ieee_div_zero 0
		.amdhsa_exception_fp_ieee_overflow 0
		.amdhsa_exception_fp_ieee_underflow 0
		.amdhsa_exception_fp_ieee_inexact 0
		.amdhsa_exception_int_div_zero 0
	.end_amdhsa_kernel
	.section	.text._ZN4vllm25paged_attention_v2_kernelIffLi256ELi16ELi128ELNS_18Fp8KVCacheDataTypeE0ELb0ELi512EEEvPfS2_PT_PKS3_PKT0_S9_ifPKiSB_iPKfiiiSD_SD_iiiii,"axG",@progbits,_ZN4vllm25paged_attention_v2_kernelIffLi256ELi16ELi128ELNS_18Fp8KVCacheDataTypeE0ELb0ELi512EEEvPfS2_PT_PKS3_PKT0_S9_ifPKiSB_iPKfiiiSD_SD_iiiii,comdat
.Lfunc_end44:
	.size	_ZN4vllm25paged_attention_v2_kernelIffLi256ELi16ELi128ELNS_18Fp8KVCacheDataTypeE0ELb0ELi512EEEvPfS2_PT_PKS3_PKT0_S9_ifPKiSB_iPKfiiiSD_SD_iiiii, .Lfunc_end44-_ZN4vllm25paged_attention_v2_kernelIffLi256ELi16ELi128ELNS_18Fp8KVCacheDataTypeE0ELb0ELi512EEEvPfS2_PT_PKS3_PKT0_S9_ifPKiSB_iPKfiiiSD_SD_iiiii
                                        ; -- End function
	.section	.AMDGPU.csdata,"",@progbits
; Kernel info:
; codeLenInByte = 8344
; NumSgprs: 56
; NumVgprs: 128
; NumAgprs: 0
; TotalNumVgprs: 128
; ScratchSize: 100
; MemoryBound: 0
; FloatMode: 240
; IeeeMode: 1
; LDSByteSize: 1040 bytes/workgroup (compile time only)
; SGPRBlocks: 6
; VGPRBlocks: 15
; NumSGPRsForWavesPerEU: 56
; NumVGPRsForWavesPerEU: 128
; AccumOffset: 128
; Occupancy: 4
; WaveLimiterHint : 1
; COMPUTE_PGM_RSRC2:SCRATCH_EN: 1
; COMPUTE_PGM_RSRC2:USER_SGPR: 6
; COMPUTE_PGM_RSRC2:TRAP_HANDLER: 0
; COMPUTE_PGM_RSRC2:TGID_X_EN: 1
; COMPUTE_PGM_RSRC2:TGID_Y_EN: 1
; COMPUTE_PGM_RSRC2:TGID_Z_EN: 1
; COMPUTE_PGM_RSRC2:TIDIG_COMP_CNT: 0
; COMPUTE_PGM_RSRC3_GFX90A:ACCUM_OFFSET: 31
; COMPUTE_PGM_RSRC3_GFX90A:TG_SPLIT: 0
	.section	.text._ZN4vllm25paged_attention_v2_kernelIffLi32ELi32ELi128ELNS_18Fp8KVCacheDataTypeE0ELb1ELi512EEEvPfS2_PT_PKS3_PKT0_S9_ifPKiSB_iPKfiiiSD_SD_iiiii,"axG",@progbits,_ZN4vllm25paged_attention_v2_kernelIffLi32ELi32ELi128ELNS_18Fp8KVCacheDataTypeE0ELb1ELi512EEEvPfS2_PT_PKS3_PKT0_S9_ifPKiSB_iPKfiiiSD_SD_iiiii,comdat
	.protected	_ZN4vllm25paged_attention_v2_kernelIffLi32ELi32ELi128ELNS_18Fp8KVCacheDataTypeE0ELb1ELi512EEEvPfS2_PT_PKS3_PKT0_S9_ifPKiSB_iPKfiiiSD_SD_iiiii ; -- Begin function _ZN4vllm25paged_attention_v2_kernelIffLi32ELi32ELi128ELNS_18Fp8KVCacheDataTypeE0ELb1ELi512EEEvPfS2_PT_PKS3_PKT0_S9_ifPKiSB_iPKfiiiSD_SD_iiiii
	.globl	_ZN4vllm25paged_attention_v2_kernelIffLi32ELi32ELi128ELNS_18Fp8KVCacheDataTypeE0ELb1ELi512EEEvPfS2_PT_PKS3_PKT0_S9_ifPKiSB_iPKfiiiSD_SD_iiiii
	.p2align	8
	.type	_ZN4vllm25paged_attention_v2_kernelIffLi32ELi32ELi128ELNS_18Fp8KVCacheDataTypeE0ELb1ELi512EEEvPfS2_PT_PKS3_PKT0_S9_ifPKiSB_iPKfiiiSD_SD_iiiii,@function
_ZN4vllm25paged_attention_v2_kernelIffLi32ELi32ELi128ELNS_18Fp8KVCacheDataTypeE0ELb1ELi512EEEvPfS2_PT_PKS3_PKT0_S9_ifPKiSB_iPKfiiiSD_SD_iiiii: ; @_ZN4vllm25paged_attention_v2_kernelIffLi32ELi32ELi128ELNS_18Fp8KVCacheDataTypeE0ELb1ELi512EEEvPfS2_PT_PKS3_PKT0_S9_ifPKiSB_iPKfiiiSD_SD_iiiii
; %bb.0:
	s_load_dwordx2 s[0:1], s[4:5], 0x40
	s_mov_b32 s28, s7
	s_ashr_i32 s29, s7, 31
	s_lshl_b64 s[2:3], s[28:29], 2
	s_waitcnt lgkmcnt(0)
	s_add_u32 s0, s0, s2
	s_addc_u32 s1, s1, s3
	s_load_dword s29, s[0:1], 0x0
	s_lshl_b32 s48, s8, 9
	s_waitcnt lgkmcnt(0)
	s_cmp_ge_i32 s48, s29
	s_cbranch_scc1 .LBB45_72
; %bb.1:
	s_load_dword s9, s[4:5], 0x90
	s_load_dwordx2 s[38:39], s[4:5], 0x30
	s_mov_b32 s49, 0
	s_waitcnt lgkmcnt(0)
	s_abs_i32 s2, s9
	s_abs_i32 s0, s38
	v_cvt_f32_u32_e32 v1, s0
	s_sub_i32 s3, 0, s0
	s_xor_b32 s1, s9, s38
	s_ashr_i32 s1, s1, 31
	v_rcp_iflag_f32_e32 v1, v1
	v_mul_f32_e32 v1, 0x4f7ffffe, v1
	v_cvt_u32_f32_e32 v1, v1
	v_readfirstlane_b32 s7, v1
	s_mul_i32 s3, s3, s7
	s_mul_hi_u32 s3, s7, s3
	s_add_i32 s7, s7, s3
	s_mul_hi_u32 s3, s2, s7
	s_mul_i32 s7, s3, s0
	s_sub_i32 s2, s2, s7
	s_add_i32 s10, s3, 1
	s_sub_i32 s7, s2, s0
	s_cmp_ge_u32 s2, s0
	s_cselect_b32 s3, s10, s3
	s_cselect_b32 s2, s7, s2
	s_add_i32 s7, s3, 1
	s_cmp_ge_u32 s2, s0
	s_cselect_b32 s0, s7, s3
	s_xor_b32 s0, s0, s1
	s_sub_i32 s11, s0, s1
	s_abs_i32 s2, s11
	v_cvt_f32_u32_e32 v1, s2
	s_load_dwordx2 s[0:1], s[4:5], 0x50
	s_sub_i32 s7, 0, s2
	s_abs_i32 s3, s6
	v_rcp_iflag_f32_e32 v1, v1
	v_mul_f32_e32 v1, 0x4f7ffffe, v1
	v_cvt_u32_f32_e32 v1, v1
	v_readfirstlane_b32 s10, v1
	s_mul_i32 s7, s7, s10
	s_mul_hi_u32 s7, s10, s7
	s_add_i32 s10, s10, s7
	s_waitcnt lgkmcnt(0)
	s_cmp_eq_u64 s[0:1], 0
	s_mul_hi_u32 s10, s3, s10
	s_cbranch_scc1 .LBB45_3
; %bb.2:
	s_ashr_i32 s7, s6, 31
	s_lshl_b64 s[12:13], s[6:7], 2
	s_add_u32 s0, s0, s12
	s_addc_u32 s1, s1, s13
	s_load_dword s49, s[0:1], 0x0
.LBB45_3:
	s_load_dwordx4 s[12:15], s[4:5], 0x58
	s_ashr_i32 s7, s6, 31
	s_ashr_i32 s11, s11, 31
	v_and_b32_e32 v2, 1, v0
	s_lshl_b32 s24, s6, 5
	v_cmp_gt_u32_e32 vcc, 16, v0
	v_lshlrev_b32_e32 v3, 3, v0
	v_lshlrev_b32_e32 v6, 2, v0
	s_and_saveexec_b64 s[0:1], vcc
	s_cbranch_execz .LBB45_5
; %bb.4:
	s_load_dwordx2 s[16:17], s[4:5], 0x18
	s_waitcnt lgkmcnt(0)
	s_mul_i32 s18, s28, s12
	s_ashr_i32 s19, s18, 31
	s_lshl_b64 s[18:19], s[18:19], 2
	v_and_b32_e32 v1, 0xff8, v6
	s_add_u32 s12, s16, s18
	s_addc_u32 s15, s17, s19
	s_ashr_i32 s25, s24, 31
	s_lshl_b64 s[16:17], s[24:25], 2
	s_add_u32 s16, s12, s16
	s_addc_u32 s17, s15, s17
	global_load_dwordx2 v[4:5], v3, s[16:17]
	v_lshl_add_u32 v1, v2, 6, v1
	s_waitcnt vmcnt(0)
	ds_write_b64 v1, v[4:5]
.LBB45_5:
	s_or_b64 exec, exec, s[0:1]
	s_mul_i32 s1, s10, s2
	s_sub_i32 s1, s3, s1
	s_xor_b32 s0, s7, s11
	s_add_i32 s3, s10, 1
	s_sub_i32 s7, s1, s2
	s_load_dwordx4 s[16:19], s[4:5], 0x78
	s_cmp_ge_u32 s1, s2
	s_cselect_b32 s3, s3, s10
	s_load_dword s10, s[4:5], 0x88
	s_cselect_b32 s1, s7, s1
	s_add_i32 s7, s3, 1
	s_cmp_ge_u32 s1, s2
	s_cselect_b32 s1, s7, s3
	s_waitcnt lgkmcnt(0)
	s_abs_i32 s25, s19
	v_cvt_f32_u32_e32 v1, s25
	s_xor_b32 s1, s1, s0
	s_sub_i32 s2, s1, s0
	s_sub_i32 s0, 0, s25
	v_rcp_iflag_f32_e32 v1, v1
	s_add_i32 s11, s29, -1
	s_abs_i32 s3, s11
	v_mul_f32_e32 v1, 0x4f7ffffe, v1
	v_cvt_u32_f32_e32 v1, v1
	s_barrier
	v_readfirstlane_b32 s33, v1
	s_mul_i32 s0, s0, s33
	s_mul_hi_u32 s0, s33, s0
	s_add_i32 s33, s33, s0
	s_cmp_lt_i32 s10, 0
	s_mul_hi_u32 s7, s3, s33
	s_cbranch_scc0 .LBB45_7
; %bb.6:
	s_mul_i32 s0, s16, s38
	s_add_i32 s0, s2, s0
	s_mul_i32 s0, s0, s10
	s_sub_i32 s46, 1, s0
	s_mov_b64 s[0:1], 0
	s_branch .LBB45_8
.LBB45_7:
	s_mov_b64 s[0:1], -1
                                        ; implicit-def: $sgpr46
.LBB45_8:
	s_load_dwordx2 s[30:31], s[4:5], 0x38
	s_ashr_i32 s11, s11, 31
	s_andn2_b64 vcc, exec, s[0:1]
	s_ashr_i32 s19, s19, 31
	s_cbranch_vccnz .LBB45_10
; %bb.9:
	s_mul_i32 s0, s9, s16
	s_add_i32 s0, s0, s6
	s_mul_i32 s0, s0, s10
	s_add_i32 s46, s0, 1
.LBB45_10:
	s_load_dword s0, s[4:5], 0x48
	s_load_dwordx2 s[36:37], s[4:5], 0x28
	s_load_dword s16, s[4:5], 0x98
	s_load_dwordx4 s[20:23], s[4:5], 0x0
	s_load_dwordx2 s[26:27], s[4:5], 0x10
	s_mul_i32 s1, s7, s25
	s_waitcnt lgkmcnt(0)
	s_mul_i32 s34, s28, s0
	s_sub_i32 s1, s3, s1
	s_ashr_i32 s35, s34, 31
	s_xor_b32 s0, s11, s19
	s_add_i32 s3, s7, 1
	s_sub_i32 s10, s1, s25
	s_cmp_ge_u32 s1, s25
	s_cselect_b32 s3, s3, s7
	s_cselect_b32 s1, s10, s1
	s_add_i32 s7, s3, 1
	s_cmp_ge_u32 s1, s25
	s_cselect_b32 s1, s7, s3
	s_xor_b32 s1, s1, s0
	s_sub_i32 s12, s1, s0
	s_add_i32 s0, s29, 31
	s_ashr_i32 s1, s0, 31
	s_lshr_b32 s1, s1, 27
	s_add_i32 s0, s0, s1
	s_lshl_b32 s38, s8, 4
	s_ashr_i32 s7, s0, 5
	s_add_i32 s0, s38, 16
	v_lshrrev_b32_e32 v7, 6, v0
	s_min_i32 s47, s0, s7
	v_or_b32_e32 v26, s38, v7
	v_cmp_gt_i32_e64 s[0:1], s47, v26
	v_mov_b32_e32 v11, 0xff7fffff
	s_mul_i32 s14, s2, s14
	v_ashrrev_i32_e32 v27, 31, v26
	v_lshl_add_u32 v1, v7, 5, s48
	v_mbcnt_lo_u32_b32 v4, -1, 0
	s_and_saveexec_b64 s[40:41], s[0:1]
	s_cbranch_execz .LBB45_20
; %bb.11:
	s_load_dwordx2 s[2:3], s[4:5], 0x20
	s_ashr_i32 s15, s14, 31
	s_sub_i32 s50, s12, s17
	s_lshl_b64 s[4:5], s[14:15], 2
	v_bfe_u32 v5, v0, 1, 5
	s_waitcnt lgkmcnt(0)
	s_add_u32 s2, s2, s4
	s_addc_u32 s3, s3, s5
	s_abs_i32 s15, s18
	v_cvt_f32_u32_e32 v10, s15
	v_lshlrev_b32_e32 v8, 4, v5
	v_mov_b32_e32 v9, s3
	v_add_co_u32_e64 v8, s[2:3], s2, v8
	v_rcp_iflag_f32_e32 v10, v10
	v_addc_co_u32_e64 v9, s[2:3], 0, v9, s[2:3]
	v_and_b32_e32 v3, 8, v3
	v_add_co_u32_e64 v8, s[2:3], v8, v3
	v_mul_f32_e32 v3, 0x4f7ffffe, v10
	v_cvt_u32_f32_e32 v3, v3
	s_sub_i32 s4, 0, s15
	v_cmp_eq_u32_e32 vcc, 0, v2
	v_lshlrev_b32_e32 v11, 2, v5
	v_lshlrev_b32_e32 v10, 6, v2
	v_mul_lo_u32 v2, s4, v3
	s_lshl_b64 s[4:5], s[34:35], 2
	v_mul_hi_u32 v2, v3, v2
	s_add_u32 s4, s30, s4
	v_lshl_or_b32 v11, v7, 7, v11
	v_add_u32_e32 v12, v3, v2
	v_lshlrev_b64 v[2:3], 2, v[26:27]
	s_addc_u32 s5, s31, s5
	v_add_u32_e32 v14, 0x90, v11
	v_subrev_u32_e32 v11, s29, v5
	v_mbcnt_hi_u32_b32 v17, -1, v4
	v_addc_co_u32_e64 v9, s[2:3], 0, v9, s[2:3]
	v_mov_b32_e32 v13, s5
	v_add_co_u32_e64 v2, s[4:5], s4, v2
	v_add_u32_e32 v15, 1, v11
	v_and_b32_e32 v11, 64, v17
	s_mov_b32 s51, s13
	v_cmp_neq_f32_e64 s[2:3], s49, 0
	v_addc_co_u32_e64 v3, s[4:5], v13, v3, s[4:5]
	v_lshl_add_u32 v13, v7, 5, s48
	s_mov_b64 s[42:43], 0
	v_mov_b32_e32 v16, 0xff7fffff
	v_xor_b32_e32 v18, 1, v17
	v_add_u32_e32 v19, 64, v11
	v_mov_b32_e32 v11, 0xff7fffff
	v_mov_b32_e32 v20, v26
	s_branch .LBB45_14
.LBB45_12:                              ;   in Loop: Header=BB45_14 Depth=1
	s_or_b64 exec, exec, s[44:45]
.LBB45_13:                              ;   in Loop: Header=BB45_14 Depth=1
	s_or_b64 exec, exec, s[10:11]
	v_add_co_u32_e64 v2, s[4:5], 8, v2
	v_add_u32_e32 v20, 2, v20
	v_addc_co_u32_e64 v3, s[4:5], 0, v3, s[4:5]
	v_cmp_le_i32_e64 s[4:5], s47, v20
	v_add_u32_e32 v13, 64, v13
	s_or_b64 s[42:43], s[4:5], s[42:43]
	v_add_u32_e32 v14, 0x100, v14
	s_andn2_b64 exec, exec, s[42:43]
	s_cbranch_execz .LBB45_19
.LBB45_14:                              ; =>This Inner Loop Header: Depth=1
	s_waitcnt lgkmcnt(0)
	v_sub_u32_e32 v22, 0, v13
	v_max_i32_e32 v22, v13, v22
	v_mul_hi_u32 v23, v22, s33
	v_mul_lo_u32 v24, v23, s25
	v_sub_u32_e32 v22, v22, v24
	v_add_u32_e32 v24, 1, v23
	v_cmp_le_u32_e64 s[4:5], s25, v22
	v_cndmask_b32_e64 v23, v23, v24, s[4:5]
	v_subrev_u32_e32 v24, s25, v22
	v_cndmask_b32_e64 v22, v22, v24, s[4:5]
	v_ashrrev_i32_e32 v21, 31, v13
	v_add_u32_e32 v24, 1, v23
	v_cmp_le_u32_e64 s[4:5], s25, v22
	v_xor_b32_e32 v21, s19, v21
	v_cndmask_b32_e64 v22, v23, v24, s[4:5]
	v_xor_b32_e32 v22, v22, v21
	v_sub_u32_e32 v21, v22, v21
	v_add_u32_e32 v22, s46, v21
	v_sub_u32_e32 v24, 0, v22
	v_ashrrev_i32_e32 v23, 31, v22
	v_max_i32_e32 v22, v22, v24
	v_mul_hi_u32 v24, v22, v12
	v_mul_lo_u32 v24, v24, s15
	v_sub_u32_e32 v22, v22, v24
	v_subrev_u32_e32 v24, s15, v22
	v_cmp_le_u32_e64 s[4:5], s15, v22
	v_cndmask_b32_e64 v22, v22, v24, s[4:5]
	v_subrev_u32_e32 v24, s15, v22
	v_cmp_le_u32_e64 s[4:5], s15, v22
	v_cndmask_b32_e64 v22, v22, v24, s[4:5]
	v_xor_b32_e32 v22, v22, v23
	v_sub_u32_e32 v22, v22, v23
	v_cmp_ne_u32_e64 s[4:5], 0, v22
	v_cmp_ge_i32_e64 s[10:11], s50, v21
	s_and_b64 s[4:5], s[4:5], s[10:11]
	s_and_b64 s[44:45], vcc, s[4:5]
	s_and_saveexec_b64 s[10:11], s[44:45]
	s_cbranch_execz .LBB45_16
; %bb.15:                               ;   in Loop: Header=BB45_14 Depth=1
	ds_write_b32 v14, v16
.LBB45_16:                              ;   in Loop: Header=BB45_14 Depth=1
	s_or_b64 exec, exec, s[10:11]
	s_xor_b64 s[4:5], s[4:5], -1
	s_and_saveexec_b64 s[10:11], s[4:5]
	s_cbranch_execz .LBB45_13
; %bb.17:                               ;   in Loop: Header=BB45_14 Depth=1
	global_load_dword v21, v[2:3], off
	s_waitcnt vmcnt(0)
	v_mad_i64_i32 v[22:23], s[4:5], v21, s51, 0
	v_lshlrev_b64 v[22:23], 2, v[22:23]
	v_add_co_u32_e64 v22, s[4:5], v8, v22
	v_addc_co_u32_e64 v23, s[4:5], v9, v23, s[4:5]
	global_load_dwordx2 v[40:41], v[22:23], off offset:512
	global_load_dwordx2 v[42:43], v[22:23], off
	global_load_dwordx2 v[44:45], v[22:23], off offset:1024
	global_load_dwordx2 v[46:47], v[22:23], off offset:1536
	;; [unrolled: 1-line block ×6, first 2 shown]
	ds_read_b128 v[22:25], v10
	ds_read_b128 v[28:31], v10 offset:16
	ds_read_b128 v[32:35], v10 offset:32
	;; [unrolled: 1-line block ×3, first 2 shown]
	v_cmp_lt_i32_e64 s[4:5], v18, v19
	v_cndmask_b32_e64 v21, v17, v18, s[4:5]
	v_lshlrev_b32_e32 v56, 2, v21
	s_waitcnt vmcnt(7) lgkmcnt(3)
	v_mul_f32_e32 v21, v24, v40
	v_mul_f32_e32 v24, v25, v41
	s_waitcnt vmcnt(6)
	v_fmac_f32_e32 v21, v22, v42
	v_fmac_f32_e32 v24, v23, v43
	s_waitcnt vmcnt(5) lgkmcnt(2)
	v_fmac_f32_e32 v21, v28, v44
	v_fmac_f32_e32 v24, v29, v45
	s_waitcnt vmcnt(4)
	v_fmac_f32_e32 v21, v30, v46
	v_fmac_f32_e32 v24, v31, v47
	s_waitcnt vmcnt(3) lgkmcnt(1)
	v_fmac_f32_e32 v21, v32, v48
	v_fmac_f32_e32 v24, v33, v49
	;; [unrolled: 6-line block ×3, first 2 shown]
	s_waitcnt vmcnt(0)
	v_fmac_f32_e32 v21, v38, v54
	v_fmac_f32_e32 v24, v39, v55
	v_add_f32_e32 v21, v21, v24
	ds_bpermute_b32 v22, v56, v21
	s_and_saveexec_b64 s[44:45], vcc
	s_cbranch_execz .LBB45_12
; %bb.18:                               ;   in Loop: Header=BB45_14 Depth=1
	v_add_u32_e32 v23, v15, v13
	v_cvt_f32_i32_e32 v23, v23
	s_waitcnt lgkmcnt(0)
	v_add_f32_e32 v21, v21, v22
	v_add_u32_e32 v24, v5, v13
	v_cmp_gt_i32_e64 s[4:5], s29, v24
	v_mul_f32_e32 v22, s49, v23
	v_cndmask_b32_e64 v22, 0, v22, s[2:3]
	v_fmac_f32_e32 v22, s39, v21
	v_cndmask_b32_e64 v21, 0, v22, s[4:5]
	ds_write_b32 v14, v21
	v_max_f32_e32 v21, v11, v11
	v_max_f32_e32 v21, v21, v22
	v_cndmask_b32_e64 v11, v11, v21, s[4:5]
	s_branch .LBB45_12
.LBB45_19:
	s_or_b64 exec, exec, s[42:43]
.LBB45_20:
	s_or_b64 exec, exec, s[40:41]
	v_mbcnt_hi_u32_b32 v4, -1, v4
	v_and_b32_e32 v2, 64, v4
	v_add_u32_e32 v10, 64, v2
	v_xor_b32_e32 v2, 32, v4
	v_cmp_lt_i32_e32 vcc, v2, v10
	v_cndmask_b32_e32 v2, v4, v2, vcc
	v_lshlrev_b32_e32 v2, 2, v2
	ds_bpermute_b32 v3, v2, v11
	v_xor_b32_e32 v8, 16, v4
	v_max_f32_e32 v5, v11, v11
	v_cmp_lt_i32_e32 vcc, v8, v10
	v_xor_b32_e32 v9, 8, v4
	s_waitcnt lgkmcnt(0)
	v_max_f32_e32 v3, v3, v3
	v_max_f32_e32 v5, v5, v3
	v_cndmask_b32_e32 v3, v4, v8, vcc
	v_lshlrev_b32_e32 v3, 2, v3
	ds_bpermute_b32 v8, v3, v5
	v_cmp_lt_i32_e32 vcc, v9, v10
	v_xor_b32_e32 v11, 4, v4
	v_and_b32_e32 v30, 63, v0
	s_waitcnt lgkmcnt(0)
	v_max_f32_e32 v8, v8, v8
	v_max_f32_e32 v8, v5, v8
	v_cndmask_b32_e32 v5, v4, v9, vcc
	v_lshlrev_b32_e32 v5, 2, v5
	ds_bpermute_b32 v9, v5, v8
	v_cmp_lt_i32_e32 vcc, v11, v10
	s_waitcnt lgkmcnt(0)
	v_max_f32_e32 v9, v9, v9
	v_max_f32_e32 v8, v8, v9
	v_cndmask_b32_e32 v9, v4, v11, vcc
	v_lshlrev_b32_e32 v32, 2, v9
	ds_bpermute_b32 v9, v32, v8
	v_xor_b32_e32 v11, 2, v4
	v_cmp_lt_i32_e32 vcc, v11, v10
	s_waitcnt lgkmcnt(0)
	v_max_f32_e32 v9, v9, v9
	v_max_f32_e32 v9, v8, v9
	v_cndmask_b32_e32 v8, v4, v11, vcc
	v_lshlrev_b32_e32 v31, 2, v8
	ds_bpermute_b32 v11, v31, v9
	v_cmp_eq_u32_e32 vcc, 0, v30
	v_lshlrev_b32_e32 v8, 2, v7
	s_and_saveexec_b64 s[2:3], vcc
	s_cbranch_execz .LBB45_22
; %bb.21:
	s_waitcnt lgkmcnt(0)
	v_max_f32_e32 v11, v11, v11
	v_max_f32_e32 v9, v9, v9
	;; [unrolled: 1-line block ×3, first 2 shown]
	ds_write_b32 v8, v9 offset:128
.LBB45_22:
	s_or_b64 exec, exec, s[2:3]
	v_cmp_gt_u32_e64 s[2:3], 2, v30
	s_waitcnt lgkmcnt(0)
	v_mov_b32_e32 v11, 0xff7fffff
	v_lshlrev_b32_e32 v9, 2, v30
	s_barrier
	s_and_saveexec_b64 s[4:5], s[2:3]
	s_cbranch_execz .LBB45_24
; %bb.23:
	ds_read_b32 v11, v9 offset:128
.LBB45_24:
	s_or_b64 exec, exec, s[4:5]
	v_xor_b32_e32 v12, 1, v4
	v_cmp_lt_i32_e64 s[4:5], v12, v10
	v_cndmask_b32_e64 v10, v4, v12, s[4:5]
	v_lshlrev_b32_e32 v33, 2, v10
	s_waitcnt lgkmcnt(0)
	ds_bpermute_b32 v10, v33, v11
	v_max_f32_e32 v11, v11, v11
	v_lshlrev_b32_e32 v4, 2, v4
	s_sub_i32 s4, s47, s38
	s_lshl_b32 s4, s4, 5
	s_waitcnt lgkmcnt(0)
	v_max_f32_e32 v10, v10, v10
	v_max_f32_e32 v11, v11, v10
	v_and_b32_e32 v10, 0x100, v4
	ds_bpermute_b32 v4, v10, v11
	s_add_i32 s4, s4, s48
	s_min_i32 s42, s4, s29
	s_sub_i32 s15, s42, s48
	v_cmp_gt_i32_e64 s[4:5], s15, v0
	v_mov_b32_e32 v11, 0
	s_and_saveexec_b64 s[38:39], s[4:5]
	s_cbranch_execz .LBB45_28
; %bb.25:
	v_mov_b32_e32 v11, 0x90
	v_lshl_add_u32 v12, v0, 2, v11
	s_mov_b64 s[40:41], 0
	v_mov_b32_e32 v11, 0
	v_mov_b32_e32 v13, v0
.LBB45_26:                              ; =>This Inner Loop Header: Depth=1
	ds_read_b32 v14, v12
	v_add_u32_e32 v13, 0x80, v13
	v_cmp_le_i32_e64 s[10:11], s15, v13
	s_or_b64 s[40:41], s[10:11], s[40:41]
	s_waitcnt lgkmcnt(0)
	v_sub_f32_e32 v14, v14, v4
	v_mul_f32_e32 v14, 0x3fb8aa3b, v14
	v_exp_f32_e32 v14, v14
	ds_write_b32 v12, v14
	v_add_f32_e32 v11, v11, v14
	v_add_u32_e32 v12, 0x200, v12
	s_andn2_b64 exec, exec, s[40:41]
	s_cbranch_execnz .LBB45_26
; %bb.27:
	s_or_b64 exec, exec, s[40:41]
.LBB45_28:
	s_or_b64 exec, exec, s[38:39]
	ds_bpermute_b32 v2, v2, v11
	s_waitcnt lgkmcnt(0)
	v_add_f32_e32 v2, v11, v2
	ds_bpermute_b32 v3, v3, v2
	s_waitcnt lgkmcnt(0)
	v_add_f32_e32 v2, v2, v3
	;; [unrolled: 3-line block ×6, first 2 shown]
	s_and_saveexec_b64 s[10:11], vcc
	s_cbranch_execz .LBB45_30
; %bb.29:
	ds_write_b32 v8, v2 offset:136
.LBB45_30:
	s_or_b64 exec, exec, s[10:11]
	s_waitcnt lgkmcnt(0)
	s_barrier
	s_and_saveexec_b64 s[10:11], s[2:3]
	s_cbranch_execz .LBB45_32
; %bb.31:
	ds_read_b32 v2, v9 offset:136
.LBB45_32:
	s_or_b64 exec, exec, s[10:11]
	s_waitcnt lgkmcnt(0)
	ds_bpermute_b32 v3, v33, v2
	s_waitcnt lgkmcnt(0)
	v_add_f32_e32 v2, v2, v3
	ds_bpermute_b32 v5, v10, v2
	s_and_saveexec_b64 s[2:3], s[4:5]
	s_cbranch_execz .LBB45_45
; %bb.33:
	s_waitcnt lgkmcnt(0)
	v_add_f32_e32 v2, 0x358637bd, v5
	v_div_scale_f32 v3, s[4:5], v2, v2, 1.0
	v_rcp_f32_e32 v8, v3
	v_div_scale_f32 v9, vcc, 1.0, v2, 1.0
	s_movk_i32 s4, 0x7f
	v_fma_f32 v10, -v3, v8, 1.0
	v_fmac_f32_e32 v8, v10, v8
	v_mul_f32_e32 v10, v9, v8
	v_fma_f32 v11, -v3, v10, v9
	v_fmac_f32_e32 v10, v11, v8
	v_fma_f32 v3, -v3, v10, v9
	v_div_fmas_f32 v3, v3, v8, v10
	v_div_fixup_f32 v2, v3, v2, 1.0
	v_xad_u32 v3, v0, -1, s42
	v_subrev_u32_e32 v8, s48, v3
	v_cmp_lt_u32_e32 vcc, s4, v8
	s_mov_b64 s[10:11], -1
	v_mov_b32_e32 v3, v0
	s_and_saveexec_b64 s[4:5], vcc
	s_cbranch_execz .LBB45_42
; %bb.34:
	v_lshrrev_b32_e32 v8, 7, v8
	v_add_u32_e32 v10, -1, v8
	v_lshrrev_b32_e32 v9, 1, v10
	v_mov_b32_e32 v3, v2
	v_add_u32_e32 v9, 1, v9
	v_cmp_lt_u32_e32 vcc, 13, v10
	v_mov_b32_e32 v12, 0
	s_and_saveexec_b64 s[10:11], vcc
	s_cbranch_execz .LBB45_38
; %bb.35:
	v_mov_b32_e32 v11, 0x90
	v_and_b32_e32 v10, -8, v9
	v_lshl_add_u32 v11, v0, 2, v11
	s_mov_b32 s40, 0
	s_mov_b64 s[38:39], 0
.LBB45_36:                              ; =>This Inner Loop Header: Depth=1
	ds_read2st64_b32 v[12:13], v11 offset1:2
	ds_read2st64_b32 v[14:15], v11 offset0:4 offset1:6
	ds_read2st64_b32 v[16:17], v11 offset0:8 offset1:10
	;; [unrolled: 1-line block ×3, first 2 shown]
	v_add_u32_e32 v10, -8, v10
	s_waitcnt lgkmcnt(3)
	v_pk_mul_f32 v[12:13], v[2:3], v[12:13]
	s_waitcnt lgkmcnt(2)
	v_pk_mul_f32 v[14:15], v[2:3], v[14:15]
	ds_write2st64_b32 v11, v12, v13 offset1:2
	ds_write2st64_b32 v11, v14, v15 offset0:4 offset1:6
	ds_read2st64_b32 v[14:15], v11 offset0:16 offset1:18
	s_waitcnt lgkmcnt(4)
	v_pk_mul_f32 v[12:13], v[2:3], v[16:17]
	ds_write2st64_b32 v11, v12, v13 offset0:8 offset1:10
	s_waitcnt lgkmcnt(4)
	v_pk_mul_f32 v[12:13], v[2:3], v[18:19]
	ds_write2st64_b32 v11, v12, v13 offset0:12 offset1:14
	ds_read2st64_b32 v[12:13], v11 offset0:20 offset1:22
	s_waitcnt lgkmcnt(3)
	v_pk_mul_f32 v[14:15], v[2:3], v[14:15]
	ds_read2st64_b32 v[16:17], v11 offset0:24 offset1:26
	ds_write2st64_b32 v11, v14, v15 offset0:16 offset1:18
	ds_read2st64_b32 v[14:15], v11 offset0:28 offset1:30
	s_waitcnt lgkmcnt(3)
	v_pk_mul_f32 v[12:13], v[2:3], v[12:13]
	ds_write2st64_b32 v11, v12, v13 offset0:20 offset1:22
	s_waitcnt lgkmcnt(3)
	v_pk_mul_f32 v[12:13], v[2:3], v[16:17]
	ds_write2st64_b32 v11, v12, v13 offset0:24 offset1:26
	s_waitcnt lgkmcnt(2)
	v_pk_mul_f32 v[12:13], v[2:3], v[14:15]
	s_add_i32 s40, s40, 16
	v_cmp_eq_u32_e32 vcc, 0, v10
	ds_write2st64_b32 v11, v12, v13 offset0:28 offset1:30
	v_add_u32_e32 v11, 0x2000, v11
	s_or_b64 s[38:39], vcc, s[38:39]
	v_mov_b32_e32 v12, s40
	s_andn2_b64 exec, exec, s[38:39]
	s_cbranch_execnz .LBB45_36
; %bb.37:
	s_or_b64 exec, exec, s[38:39]
.LBB45_38:
	s_or_b64 exec, exec, s[10:11]
	v_and_b32_e32 v9, 7, v9
	v_cmp_ne_u32_e32 vcc, 0, v9
	s_and_saveexec_b64 s[10:11], vcc
	s_cbranch_execz .LBB45_41
; %bb.39:
	v_lshlrev_b32_e32 v10, 9, v12
	s_movk_i32 s38, 0x90
	v_add3_u32 v10, v10, v6, s38
	s_mov_b64 s[38:39], 0
.LBB45_40:                              ; =>This Inner Loop Header: Depth=1
	ds_read2st64_b32 v[12:13], v10 offset1:2
	v_add_u32_e32 v9, -1, v9
	v_cmp_eq_u32_e32 vcc, 0, v9
	s_or_b64 s[38:39], vcc, s[38:39]
	s_waitcnt lgkmcnt(0)
	v_pk_mul_f32 v[12:13], v[2:3], v[12:13]
	ds_write2st64_b32 v10, v12, v13 offset1:2
	v_add_u32_e32 v10, 0x400, v10
	s_andn2_b64 exec, exec, s[38:39]
	s_cbranch_execnz .LBB45_40
.LBB45_41:
	s_or_b64 exec, exec, s[10:11]
	v_add_u32_e32 v8, 1, v8
	v_and_b32_e32 v9, 0x3fffffe, v8
	v_cmp_ne_u32_e32 vcc, v8, v9
	v_lshl_add_u32 v3, v9, 7, v0
	s_orn2_b64 s[10:11], vcc, exec
.LBB45_42:
	s_or_b64 exec, exec, s[4:5]
	s_and_b64 exec, exec, s[10:11]
	s_cbranch_execz .LBB45_45
; %bb.43:
	v_mov_b32_e32 v8, 0x90
	v_lshl_add_u32 v8, v3, 2, v8
	s_mov_b64 s[4:5], 0
.LBB45_44:                              ; =>This Inner Loop Header: Depth=1
	ds_read_b32 v9, v8
	v_add_u32_e32 v3, 0x80, v3
	v_cmp_le_i32_e32 vcc, s15, v3
	s_or_b64 s[4:5], vcc, s[4:5]
	s_waitcnt lgkmcnt(0)
	v_mul_f32_e32 v9, v2, v9
	ds_write_b32 v8, v9
	v_add_u32_e32 v8, 0x200, v8
	s_andn2_b64 exec, exec, s[4:5]
	s_cbranch_execnz .LBB45_44
.LBB45_45:
	s_or_b64 exec, exec, s[2:3]
	s_mul_i32 s2, s16, s28
	v_cmp_eq_u32_e32 vcc, 0, v0
	s_mul_i32 s2, s2, s9
	s_waitcnt lgkmcnt(0)
	s_barrier
	s_and_saveexec_b64 s[4:5], vcc
	s_cbranch_execz .LBB45_47
; %bb.46:
	s_ashr_i32 s3, s2, 31
	s_lshl_b64 s[10:11], s[2:3], 2
	s_add_u32 s3, s22, s10
	s_mul_i32 s22, s16, s6
	s_addc_u32 s9, s23, s11
	s_ashr_i32 s23, s22, 31
	s_lshl_b64 s[22:23], s[22:23], 2
	s_add_u32 s3, s3, s22
	s_addc_u32 s6, s9, s23
	s_ashr_i32 s9, s8, 31
	s_lshl_b64 s[38:39], s[8:9], 2
	s_add_u32 s40, s3, s38
	s_addc_u32 s41, s6, s39
	s_add_u32 s3, s20, s10
	s_addc_u32 s6, s21, s11
	;; [unrolled: 2-line block ×3, first 2 shown]
	s_add_u32 s10, s3, s38
	v_mov_b32_e32 v2, 0
	s_addc_u32 s11, s6, s39
	global_store_dword v2, v4, s[40:41]
	global_store_dword v2, v5, s[10:11]
.LBB45_47:
	s_or_b64 exec, exec, s[4:5]
	v_mov_b32_e32 v5, 0
	v_and_b32_e32 v34, 7, v0
	v_mov_b32_e32 v4, 0
	v_mov_b32_e32 v3, 0
	;; [unrolled: 1-line block ×3, first 2 shown]
	s_and_saveexec_b64 s[4:5], s[0:1]
	s_cbranch_execz .LBB45_61
; %bb.48:
	s_ashr_i32 s15, s14, 31
	s_sub_i32 s3, s12, s17
	s_lshl_b64 s[0:1], s[14:15], 2
	s_add_u32 s0, s36, s0
	s_addc_u32 s1, s37, s1
	s_abs_i32 s9, s18
	v_cvt_f32_u32_e32 v2, s9
	s_sub_i32 s6, 0, s9
	v_lshlrev_b32_e32 v3, 4, v0
	v_and_b32_e32 v3, 0x3f0, v3
	v_rcp_iflag_f32_e32 v2, v2
	s_add_i32 s15, s7, -1
	v_add_co_u32_e32 v37, vcc, s0, v3
	v_mul_f32_e32 v2, 0x4f7ffffe, v2
	v_cvt_u32_f32_e32 v2, v2
	s_mov_b32 s20, 0
	s_mov_b32 s21, s20
	s_mov_b32 s22, s20
	v_mul_lo_u32 v4, s6, v2
	v_mul_hi_u32 v4, v2, v4
	v_add_u32_e32 v36, v2, v4
	v_mov_b32_e32 v2, s1
	s_lshl_b64 s[0:1], s[34:35], 2
	v_addc_co_u32_e32 v38, vcc, 0, v2, vcc
	v_lshlrev_b64 v[2:3], 2, v[26:27]
	s_add_u32 s0, s30, s0
	s_addc_u32 s1, s31, s1
	v_add_co_u32_e32 v28, vcc, s0, v2
	v_lshlrev_b32_e32 v2, 4, v34
	v_mov_b32_e32 v4, s1
	v_lshl_or_b32 v2, v7, 7, v2
	v_addc_co_u32_e32 v29, vcc, v4, v3, vcc
	v_add_u32_e32 v27, 0x90, v2
	s_mov_b32 s23, s20
	v_pk_mov_b32 v[2:3], s[20:21], s[20:21] op_sel:[0,1]
	v_and_b32_e32 v35, 28, v6
	s_mov_b32 s14, s13
	s_mov_b64 s[6:7], 0
	v_pk_mov_b32 v[4:5], s[22:23], s[22:23] op_sel:[0,1]
	s_branch .LBB45_51
.LBB45_49:                              ;   in Loop: Header=BB45_51 Depth=1
	s_or_b64 exec, exec, s[0:1]
	s_waitcnt vmcnt(3) lgkmcnt(0)
	v_mul_f32_e32 v11, v7, v11
	v_fmac_f32_e32 v11, v6, v10
	s_waitcnt vmcnt(2)
	v_mul_f32_e32 v10, v7, v15
	v_fmac_f32_e32 v10, v6, v14
	v_fmac_f32_e32 v10, v8, v16
	;; [unrolled: 1-line block ×3, first 2 shown]
	v_add_f32_e32 v3, v3, v10
	s_waitcnt vmcnt(1)
	v_mul_f32_e32 v10, v7, v19
	s_waitcnt vmcnt(0)
	v_mul_f32_e32 v7, v7, v23
	v_fmac_f32_e32 v10, v6, v18
	v_fmac_f32_e32 v7, v6, v22
	;; [unrolled: 1-line block ×8, first 2 shown]
	v_add_f32_e32 v2, v2, v11
	v_add_f32_e32 v4, v4, v10
	;; [unrolled: 1-line block ×3, first 2 shown]
.LBB45_50:                              ;   in Loop: Header=BB45_51 Depth=1
	s_or_b64 exec, exec, s[10:11]
	v_add_co_u32_e32 v28, vcc, 8, v28
	v_add_u32_e32 v26, 2, v26
	v_addc_co_u32_e32 v29, vcc, 0, v29, vcc
	v_cmp_le_i32_e32 vcc, s47, v26
	v_add_u32_e32 v1, 64, v1
	s_or_b64 s[6:7], vcc, s[6:7]
	v_add_u32_e32 v27, 0x100, v27
	s_andn2_b64 exec, exec, s[6:7]
	s_cbranch_execz .LBB45_60
.LBB45_51:                              ; =>This Inner Loop Header: Depth=1
	v_sub_u32_e32 v7, 0, v1
	v_max_i32_e32 v7, v1, v7
	v_mul_hi_u32 v8, v7, s33
	v_mul_lo_u32 v9, v8, s25
	v_sub_u32_e32 v7, v7, v9
	v_add_u32_e32 v9, 1, v8
	v_cmp_le_u32_e32 vcc, s25, v7
	v_cndmask_b32_e32 v8, v8, v9, vcc
	v_subrev_u32_e32 v9, s25, v7
	v_cndmask_b32_e32 v7, v7, v9, vcc
	v_ashrrev_i32_e32 v6, 31, v1
	v_add_u32_e32 v9, 1, v8
	v_cmp_le_u32_e32 vcc, s25, v7
	v_xor_b32_e32 v6, s19, v6
	v_cndmask_b32_e32 v7, v8, v9, vcc
	v_xor_b32_e32 v7, v7, v6
	v_sub_u32_e32 v6, v7, v6
	v_add_u32_e32 v7, s46, v6
	v_sub_u32_e32 v9, 0, v7
	v_ashrrev_i32_e32 v8, 31, v7
	v_max_i32_e32 v7, v7, v9
	v_mul_hi_u32 v9, v7, v36
	v_mul_lo_u32 v9, v9, s9
	v_sub_u32_e32 v7, v7, v9
	v_subrev_u32_e32 v9, s9, v7
	v_cmp_le_u32_e32 vcc, s9, v7
	v_cndmask_b32_e32 v7, v7, v9, vcc
	v_subrev_u32_e32 v9, s9, v7
	v_cmp_le_u32_e32 vcc, s9, v7
	v_cndmask_b32_e32 v7, v7, v9, vcc
	v_xor_b32_e32 v7, v7, v8
	v_sub_u32_e32 v7, v7, v8
	v_cmp_eq_u32_e32 vcc, 0, v7
	v_cmp_lt_i32_e64 s[0:1], s3, v6
	s_or_b64 s[0:1], vcc, s[0:1]
	s_and_saveexec_b64 s[10:11], s[0:1]
	s_cbranch_execz .LBB45_50
; %bb.52:                               ;   in Loop: Header=BB45_51 Depth=1
	global_load_dword v6, v[28:29], off
	v_add_u32_e32 v39, v35, v1
	v_add_u32_e32 v42, 1, v39
	;; [unrolled: 1-line block ×4, first 2 shown]
	s_waitcnt vmcnt(0)
	v_mad_i64_i32 v[6:7], s[0:1], v6, s14, 0
	v_lshlrev_b64 v[6:7], 2, v[6:7]
	v_add_co_u32_e32 v22, vcc, v37, v6
	v_addc_co_u32_e32 v23, vcc, v38, v7, vcc
	global_load_dwordx4 v[10:13], v[22:23], off
	ds_read_b128 v[6:9], v27
	v_cmp_eq_u32_e32 vcc, s15, v26
	s_and_saveexec_b64 s[12:13], vcc
	s_cbranch_execnz .LBB45_56
; %bb.53:                               ;   in Loop: Header=BB45_51 Depth=1
	s_or_b64 exec, exec, s[12:13]
	global_load_dwordx4 v[14:17], v[22:23], off offset:1024
	s_and_saveexec_b64 s[12:13], vcc
	s_cbranch_execnz .LBB45_57
.LBB45_54:                              ;   in Loop: Header=BB45_51 Depth=1
	s_or_b64 exec, exec, s[12:13]
	global_load_dwordx4 v[18:21], v[22:23], off offset:2048
	s_and_saveexec_b64 s[12:13], vcc
	s_cbranch_execnz .LBB45_58
.LBB45_55:                              ;   in Loop: Header=BB45_51 Depth=1
	s_or_b64 exec, exec, s[12:13]
	global_load_dwordx4 v[22:25], v[22:23], off offset:3072
	s_and_saveexec_b64 s[0:1], vcc
	s_cbranch_execz .LBB45_49
	s_branch .LBB45_59
.LBB45_56:                              ;   in Loop: Header=BB45_51 Depth=1
	v_cmp_gt_i32_e64 s[0:1], s29, v39
	s_waitcnt vmcnt(0)
	v_cndmask_b32_e64 v10, 0, v10, s[0:1]
	v_cmp_gt_i32_e64 s[0:1], s29, v42
	v_cndmask_b32_e64 v11, 0, v11, s[0:1]
	v_cmp_gt_i32_e64 s[0:1], s29, v41
	;; [unrolled: 2-line block ×3, first 2 shown]
	v_cndmask_b32_e64 v13, 0, v13, s[0:1]
	s_or_b64 exec, exec, s[12:13]
	global_load_dwordx4 v[14:17], v[22:23], off offset:1024
	s_and_saveexec_b64 s[12:13], vcc
	s_cbranch_execz .LBB45_54
.LBB45_57:                              ;   in Loop: Header=BB45_51 Depth=1
	v_cmp_gt_i32_e64 s[0:1], s29, v39
	s_waitcnt vmcnt(0)
	v_cndmask_b32_e64 v14, 0, v14, s[0:1]
	v_cmp_gt_i32_e64 s[0:1], s29, v42
	v_cndmask_b32_e64 v15, 0, v15, s[0:1]
	v_cmp_gt_i32_e64 s[0:1], s29, v41
	;; [unrolled: 2-line block ×3, first 2 shown]
	v_cndmask_b32_e64 v17, 0, v17, s[0:1]
	s_or_b64 exec, exec, s[12:13]
	global_load_dwordx4 v[18:21], v[22:23], off offset:2048
	s_and_saveexec_b64 s[12:13], vcc
	s_cbranch_execz .LBB45_55
.LBB45_58:                              ;   in Loop: Header=BB45_51 Depth=1
	v_cmp_gt_i32_e64 s[0:1], s29, v39
	s_waitcnt vmcnt(0)
	v_cndmask_b32_e64 v18, 0, v18, s[0:1]
	v_cmp_gt_i32_e64 s[0:1], s29, v42
	v_cndmask_b32_e64 v19, 0, v19, s[0:1]
	v_cmp_gt_i32_e64 s[0:1], s29, v41
	;; [unrolled: 2-line block ×3, first 2 shown]
	v_cndmask_b32_e64 v21, 0, v21, s[0:1]
	s_or_b64 exec, exec, s[12:13]
	global_load_dwordx4 v[22:25], v[22:23], off offset:3072
	s_and_saveexec_b64 s[0:1], vcc
	s_cbranch_execz .LBB45_49
.LBB45_59:                              ;   in Loop: Header=BB45_51 Depth=1
	v_cmp_gt_i32_e32 vcc, s29, v39
	s_waitcnt vmcnt(0)
	v_cndmask_b32_e32 v22, 0, v22, vcc
	v_cmp_gt_i32_e32 vcc, s29, v42
	v_cndmask_b32_e32 v23, 0, v23, vcc
	v_cmp_gt_i32_e32 vcc, s29, v41
	;; [unrolled: 2-line block ×3, first 2 shown]
	v_cndmask_b32_e32 v25, 0, v25, vcc
	s_branch .LBB45_49
.LBB45_60:
	s_or_b64 exec, exec, s[6:7]
.LBB45_61:
	s_or_b64 exec, exec, s[4:5]
	ds_bpermute_b32 v6, v32, v2
	ds_bpermute_b32 v7, v32, v3
	;; [unrolled: 1-line block ×4, first 2 shown]
	v_and_b32_e32 v1, 0x3c7, v0
	v_cmp_eq_u32_e32 vcc, 64, v1
	s_waitcnt lgkmcnt(2)
	v_pk_add_f32 v[2:3], v[2:3], v[6:7]
	ds_bpermute_b32 v6, v31, v2
	s_waitcnt lgkmcnt(1)
	v_pk_add_f32 v[4:5], v[4:5], v[8:9]
	ds_bpermute_b32 v7, v31, v3
	ds_bpermute_b32 v8, v31, v4
	;; [unrolled: 1-line block ×3, first 2 shown]
	s_waitcnt lgkmcnt(0)
	s_barrier
	v_pk_add_f32 v[2:3], v[2:3], v[6:7]
	ds_bpermute_b32 v6, v33, v2
	v_pk_add_f32 v[4:5], v[4:5], v[8:9]
	ds_bpermute_b32 v7, v33, v3
	ds_bpermute_b32 v8, v33, v4
	ds_bpermute_b32 v9, v33, v5
	s_waitcnt lgkmcnt(0)
	v_pk_add_f32 v[2:3], v[2:3], v[6:7]
	v_pk_add_f32 v[4:5], v[4:5], v[8:9]
	s_and_saveexec_b64 s[0:1], vcc
	s_cbranch_execz .LBB45_63
; %bb.62:
	v_lshrrev_b32_e32 v6, 1, v30
	v_add_u32_e32 v6, 0x90, v6
	ds_write2_b32 v6, v2, v3 offset1:8
	ds_write2_b32 v6, v4, v5 offset0:16 offset1:24
.LBB45_63:
	s_or_b64 exec, exec, s[0:1]
	v_cmp_gt_u32_e32 vcc, 64, v0
	s_waitcnt lgkmcnt(0)
	s_barrier
	s_and_saveexec_b64 s[0:1], vcc
	s_cbranch_execz .LBB45_70
; %bb.64:
	v_cmp_eq_u32_e32 vcc, 0, v34
	v_lshrrev_b32_e32 v6, 3, v0
	s_and_saveexec_b64 s[4:5], vcc
	s_cbranch_execnz .LBB45_73
; %bb.65:
	s_or_b64 exec, exec, s[4:5]
	s_and_saveexec_b64 s[4:5], vcc
	s_cbranch_execnz .LBB45_74
.LBB45_66:
	s_or_b64 exec, exec, s[4:5]
	s_and_saveexec_b64 s[4:5], vcc
	s_cbranch_execnz .LBB45_75
.LBB45_67:
	s_or_b64 exec, exec, s[4:5]
	s_and_saveexec_b64 s[4:5], vcc
	s_cbranch_execz .LBB45_69
.LBB45_68:
	v_mov_b32_e32 v7, 0x90
	v_lshl_add_u32 v6, v6, 2, v7
	ds_read_b32 v6, v6 offset:96
	s_waitcnt lgkmcnt(0)
	v_add_f32_e32 v5, v5, v6
.LBB45_69:
	s_or_b64 exec, exec, s[4:5]
.LBB45_70:
	s_or_b64 exec, exec, s[0:1]
	v_cmp_eq_u32_e32 vcc, 0, v1
	s_barrier
	s_and_saveexec_b64 s[0:1], vcc
	s_cbranch_execz .LBB45_72
; %bb.71:
	s_lshl_b32 s0, s2, 5
	s_ashr_i32 s1, s0, 31
	s_lshl_b64 s[0:1], s[0:1], 2
	s_add_u32 s2, s26, s0
	s_mul_i32 s0, s16, s24
	s_addc_u32 s3, s27, s1
	s_ashr_i32 s1, s0, 31
	s_lshl_b64 s[0:1], s[0:1], 2
	s_add_u32 s2, s2, s0
	s_addc_u32 s3, s3, s1
	s_lshl_b32 s0, s8, 5
	s_ashr_i32 s1, s0, 31
	s_lshl_b64 s[0:1], s[0:1], 2
	s_add_u32 s0, s2, s0
	s_addc_u32 s1, s3, s1
	v_lshrrev_b32_e32 v0, 1, v0
	global_store_dword v0, v2, s[0:1]
	global_store_dword v0, v3, s[0:1] offset:32
	global_store_dword v0, v4, s[0:1] offset:64
	;; [unrolled: 1-line block ×3, first 2 shown]
.LBB45_72:
	s_endpgm
.LBB45_73:
	v_mov_b32_e32 v7, 0x90
	v_lshl_add_u32 v7, v6, 2, v7
	ds_read_b32 v7, v7
	s_waitcnt lgkmcnt(0)
	v_add_f32_e32 v2, v2, v7
	s_or_b64 exec, exec, s[4:5]
	s_and_saveexec_b64 s[4:5], vcc
	s_cbranch_execz .LBB45_66
.LBB45_74:
	v_mov_b32_e32 v7, 0x90
	v_lshl_add_u32 v7, v6, 2, v7
	ds_read_b32 v7, v7 offset:32
	s_waitcnt lgkmcnt(0)
	v_add_f32_e32 v3, v3, v7
	s_or_b64 exec, exec, s[4:5]
	s_and_saveexec_b64 s[4:5], vcc
	s_cbranch_execz .LBB45_67
.LBB45_75:
	v_mov_b32_e32 v7, 0x90
	v_lshl_add_u32 v7, v6, 2, v7
	ds_read_b32 v7, v7 offset:64
	s_waitcnt lgkmcnt(0)
	v_add_f32_e32 v4, v4, v7
	s_or_b64 exec, exec, s[4:5]
	s_and_saveexec_b64 s[4:5], vcc
	s_cbranch_execnz .LBB45_68
	s_branch .LBB45_69
	.section	.rodata,"a",@progbits
	.p2align	6, 0x0
	.amdhsa_kernel _ZN4vllm25paged_attention_v2_kernelIffLi32ELi32ELi128ELNS_18Fp8KVCacheDataTypeE0ELb1ELi512EEEvPfS2_PT_PKS3_PKT0_S9_ifPKiSB_iPKfiiiSD_SD_iiiii
		.amdhsa_group_segment_fixed_size 144
		.amdhsa_private_segment_fixed_size 0
		.amdhsa_kernarg_size 400
		.amdhsa_user_sgpr_count 6
		.amdhsa_user_sgpr_private_segment_buffer 1
		.amdhsa_user_sgpr_dispatch_ptr 0
		.amdhsa_user_sgpr_queue_ptr 0
		.amdhsa_user_sgpr_kernarg_segment_ptr 1
		.amdhsa_user_sgpr_dispatch_id 0
		.amdhsa_user_sgpr_flat_scratch_init 0
		.amdhsa_user_sgpr_kernarg_preload_length 0
		.amdhsa_user_sgpr_kernarg_preload_offset 0
		.amdhsa_user_sgpr_private_segment_size 0
		.amdhsa_uses_dynamic_stack 0
		.amdhsa_system_sgpr_private_segment_wavefront_offset 0
		.amdhsa_system_sgpr_workgroup_id_x 1
		.amdhsa_system_sgpr_workgroup_id_y 1
		.amdhsa_system_sgpr_workgroup_id_z 1
		.amdhsa_system_sgpr_workgroup_info 0
		.amdhsa_system_vgpr_workitem_id 0
		.amdhsa_next_free_vgpr 57
		.amdhsa_next_free_sgpr 52
		.amdhsa_accum_offset 60
		.amdhsa_reserve_vcc 1
		.amdhsa_reserve_flat_scratch 0
		.amdhsa_float_round_mode_32 0
		.amdhsa_float_round_mode_16_64 0
		.amdhsa_float_denorm_mode_32 3
		.amdhsa_float_denorm_mode_16_64 3
		.amdhsa_dx10_clamp 1
		.amdhsa_ieee_mode 1
		.amdhsa_fp16_overflow 0
		.amdhsa_tg_split 0
		.amdhsa_exception_fp_ieee_invalid_op 0
		.amdhsa_exception_fp_denorm_src 0
		.amdhsa_exception_fp_ieee_div_zero 0
		.amdhsa_exception_fp_ieee_overflow 0
		.amdhsa_exception_fp_ieee_underflow 0
		.amdhsa_exception_fp_ieee_inexact 0
		.amdhsa_exception_int_div_zero 0
	.end_amdhsa_kernel
	.section	.text._ZN4vllm25paged_attention_v2_kernelIffLi32ELi32ELi128ELNS_18Fp8KVCacheDataTypeE0ELb1ELi512EEEvPfS2_PT_PKS3_PKT0_S9_ifPKiSB_iPKfiiiSD_SD_iiiii,"axG",@progbits,_ZN4vllm25paged_attention_v2_kernelIffLi32ELi32ELi128ELNS_18Fp8KVCacheDataTypeE0ELb1ELi512EEEvPfS2_PT_PKS3_PKT0_S9_ifPKiSB_iPKfiiiSD_SD_iiiii,comdat
.Lfunc_end45:
	.size	_ZN4vllm25paged_attention_v2_kernelIffLi32ELi32ELi128ELNS_18Fp8KVCacheDataTypeE0ELb1ELi512EEEvPfS2_PT_PKS3_PKT0_S9_ifPKiSB_iPKfiiiSD_SD_iiiii, .Lfunc_end45-_ZN4vllm25paged_attention_v2_kernelIffLi32ELi32ELi128ELNS_18Fp8KVCacheDataTypeE0ELb1ELi512EEEvPfS2_PT_PKS3_PKT0_S9_ifPKiSB_iPKfiiiSD_SD_iiiii
                                        ; -- End function
	.section	.AMDGPU.csdata,"",@progbits
; Kernel info:
; codeLenInByte = 4812
; NumSgprs: 56
; NumVgprs: 57
; NumAgprs: 0
; TotalNumVgprs: 57
; ScratchSize: 0
; MemoryBound: 0
; FloatMode: 240
; IeeeMode: 1
; LDSByteSize: 144 bytes/workgroup (compile time only)
; SGPRBlocks: 6
; VGPRBlocks: 7
; NumSGPRsForWavesPerEU: 56
; NumVGPRsForWavesPerEU: 57
; AccumOffset: 60
; Occupancy: 8
; WaveLimiterHint : 1
; COMPUTE_PGM_RSRC2:SCRATCH_EN: 0
; COMPUTE_PGM_RSRC2:USER_SGPR: 6
; COMPUTE_PGM_RSRC2:TRAP_HANDLER: 0
; COMPUTE_PGM_RSRC2:TGID_X_EN: 1
; COMPUTE_PGM_RSRC2:TGID_Y_EN: 1
; COMPUTE_PGM_RSRC2:TGID_Z_EN: 1
; COMPUTE_PGM_RSRC2:TIDIG_COMP_CNT: 0
; COMPUTE_PGM_RSRC3_GFX90A:ACCUM_OFFSET: 14
; COMPUTE_PGM_RSRC3_GFX90A:TG_SPLIT: 0
	.section	.text._ZN4vllm25paged_attention_v2_kernelIffLi64ELi32ELi128ELNS_18Fp8KVCacheDataTypeE0ELb1ELi512EEEvPfS2_PT_PKS3_PKT0_S9_ifPKiSB_iPKfiiiSD_SD_iiiii,"axG",@progbits,_ZN4vllm25paged_attention_v2_kernelIffLi64ELi32ELi128ELNS_18Fp8KVCacheDataTypeE0ELb1ELi512EEEvPfS2_PT_PKS3_PKT0_S9_ifPKiSB_iPKfiiiSD_SD_iiiii,comdat
	.protected	_ZN4vllm25paged_attention_v2_kernelIffLi64ELi32ELi128ELNS_18Fp8KVCacheDataTypeE0ELb1ELi512EEEvPfS2_PT_PKS3_PKT0_S9_ifPKiSB_iPKfiiiSD_SD_iiiii ; -- Begin function _ZN4vllm25paged_attention_v2_kernelIffLi64ELi32ELi128ELNS_18Fp8KVCacheDataTypeE0ELb1ELi512EEEvPfS2_PT_PKS3_PKT0_S9_ifPKiSB_iPKfiiiSD_SD_iiiii
	.globl	_ZN4vllm25paged_attention_v2_kernelIffLi64ELi32ELi128ELNS_18Fp8KVCacheDataTypeE0ELb1ELi512EEEvPfS2_PT_PKS3_PKT0_S9_ifPKiSB_iPKfiiiSD_SD_iiiii
	.p2align	8
	.type	_ZN4vllm25paged_attention_v2_kernelIffLi64ELi32ELi128ELNS_18Fp8KVCacheDataTypeE0ELb1ELi512EEEvPfS2_PT_PKS3_PKT0_S9_ifPKiSB_iPKfiiiSD_SD_iiiii,@function
_ZN4vllm25paged_attention_v2_kernelIffLi64ELi32ELi128ELNS_18Fp8KVCacheDataTypeE0ELb1ELi512EEEvPfS2_PT_PKS3_PKT0_S9_ifPKiSB_iPKfiiiSD_SD_iiiii: ; @_ZN4vllm25paged_attention_v2_kernelIffLi64ELi32ELi128ELNS_18Fp8KVCacheDataTypeE0ELb1ELi512EEEvPfS2_PT_PKS3_PKT0_S9_ifPKiSB_iPKfiiiSD_SD_iiiii
; %bb.0:
	s_load_dwordx2 s[0:1], s[4:5], 0x40
	s_mov_b32 s28, s7
	s_ashr_i32 s29, s7, 31
	s_lshl_b64 s[2:3], s[28:29], 2
	s_waitcnt lgkmcnt(0)
	s_add_u32 s0, s0, s2
	s_addc_u32 s1, s1, s3
	s_load_dword s29, s[0:1], 0x0
	s_lshl_b32 s50, s8, 9
	s_waitcnt lgkmcnt(0)
	s_cmp_ge_i32 s50, s29
	s_cbranch_scc1 .LBB46_84
; %bb.1:
	s_load_dword s9, s[4:5], 0x90
	s_load_dwordx2 s[38:39], s[4:5], 0x30
	s_mov_b32 s51, 0
	s_waitcnt lgkmcnt(0)
	s_abs_i32 s2, s9
	s_abs_i32 s0, s38
	v_cvt_f32_u32_e32 v1, s0
	s_sub_i32 s3, 0, s0
	s_xor_b32 s1, s9, s38
	s_ashr_i32 s1, s1, 31
	v_rcp_iflag_f32_e32 v1, v1
	v_mul_f32_e32 v1, 0x4f7ffffe, v1
	v_cvt_u32_f32_e32 v1, v1
	v_readfirstlane_b32 s7, v1
	s_mul_i32 s3, s3, s7
	s_mul_hi_u32 s3, s7, s3
	s_add_i32 s7, s7, s3
	s_mul_hi_u32 s3, s2, s7
	s_mul_i32 s7, s3, s0
	s_sub_i32 s2, s2, s7
	s_add_i32 s10, s3, 1
	s_sub_i32 s7, s2, s0
	s_cmp_ge_u32 s2, s0
	s_cselect_b32 s3, s10, s3
	s_cselect_b32 s2, s7, s2
	s_add_i32 s7, s3, 1
	s_cmp_ge_u32 s2, s0
	s_cselect_b32 s0, s7, s3
	s_xor_b32 s0, s0, s1
	s_sub_i32 s11, s0, s1
	s_abs_i32 s2, s11
	v_cvt_f32_u32_e32 v1, s2
	s_load_dwordx2 s[0:1], s[4:5], 0x50
	s_sub_i32 s7, 0, s2
	s_abs_i32 s3, s6
	v_rcp_iflag_f32_e32 v1, v1
	v_mul_f32_e32 v1, 0x4f7ffffe, v1
	v_cvt_u32_f32_e32 v1, v1
	v_readfirstlane_b32 s10, v1
	s_mul_i32 s7, s7, s10
	s_mul_hi_u32 s7, s10, s7
	s_add_i32 s10, s10, s7
	s_waitcnt lgkmcnt(0)
	s_cmp_eq_u64 s[0:1], 0
	s_mul_hi_u32 s10, s3, s10
	s_cbranch_scc1 .LBB46_3
; %bb.2:
	s_ashr_i32 s7, s6, 31
	s_lshl_b64 s[12:13], s[6:7], 2
	s_add_u32 s0, s0, s12
	s_addc_u32 s1, s1, s13
	s_load_dword s51, s[0:1], 0x0
.LBB46_3:
	s_load_dwordx4 s[12:15], s[4:5], 0x58
	s_ashr_i32 s7, s6, 31
	s_ashr_i32 s11, s11, 31
	v_and_b32_e32 v2, 1, v0
	s_lshl_b32 s24, s6, 6
	v_cmp_gt_u32_e32 vcc, 32, v0
	v_lshlrev_b32_e32 v3, 3, v0
	v_lshlrev_b32_e32 v10, 2, v0
	s_and_saveexec_b64 s[0:1], vcc
	s_cbranch_execz .LBB46_5
; %bb.4:
	s_load_dwordx2 s[16:17], s[4:5], 0x18
	s_waitcnt lgkmcnt(0)
	s_mul_i32 s18, s28, s12
	s_ashr_i32 s19, s18, 31
	s_lshl_b64 s[18:19], s[18:19], 2
	v_and_b32_e32 v1, 0xff8, v10
	s_add_u32 s12, s16, s18
	s_addc_u32 s15, s17, s19
	s_ashr_i32 s25, s24, 31
	s_lshl_b64 s[16:17], s[24:25], 2
	s_add_u32 s16, s12, s16
	s_addc_u32 s17, s15, s17
	global_load_dwordx2 v[4:5], v3, s[16:17]
	v_lshl_add_u32 v1, v2, 7, v1
	s_waitcnt vmcnt(0)
	ds_write_b64 v1, v[4:5]
.LBB46_5:
	s_or_b64 exec, exec, s[0:1]
	s_mul_i32 s1, s10, s2
	s_sub_i32 s1, s3, s1
	s_xor_b32 s0, s7, s11
	s_add_i32 s3, s10, 1
	s_sub_i32 s7, s1, s2
	s_load_dwordx4 s[16:19], s[4:5], 0x78
	s_cmp_ge_u32 s1, s2
	s_cselect_b32 s3, s3, s10
	s_load_dword s10, s[4:5], 0x88
	s_cselect_b32 s1, s7, s1
	s_add_i32 s7, s3, 1
	s_cmp_ge_u32 s1, s2
	s_cselect_b32 s1, s7, s3
	s_waitcnt lgkmcnt(0)
	s_abs_i32 s33, s19
	v_cvt_f32_u32_e32 v1, s33
	s_xor_b32 s1, s1, s0
	s_sub_i32 s2, s1, s0
	s_sub_i32 s0, 0, s33
	v_rcp_iflag_f32_e32 v1, v1
	s_add_i32 s11, s29, -1
	s_abs_i32 s3, s11
	v_mul_f32_e32 v1, 0x4f7ffffe, v1
	v_cvt_u32_f32_e32 v1, v1
	s_barrier
	v_readfirstlane_b32 s46, v1
	s_mul_i32 s0, s0, s46
	s_mul_hi_u32 s0, s46, s0
	s_add_i32 s46, s46, s0
	s_cmp_lt_i32 s10, 0
	s_mul_hi_u32 s7, s3, s46
	s_cbranch_scc0 .LBB46_7
; %bb.6:
	s_mul_i32 s0, s16, s38
	s_add_i32 s0, s2, s0
	s_mul_i32 s0, s0, s10
	s_sub_i32 s47, 1, s0
	s_mov_b64 s[0:1], 0
	s_branch .LBB46_8
.LBB46_7:
	s_mov_b64 s[0:1], -1
                                        ; implicit-def: $sgpr47
.LBB46_8:
	s_load_dwordx2 s[30:31], s[4:5], 0x38
	s_ashr_i32 s11, s11, 31
	s_andn2_b64 vcc, exec, s[0:1]
	s_ashr_i32 s48, s19, 31
	s_cbranch_vccnz .LBB46_10
; %bb.9:
	s_mul_i32 s0, s9, s16
	s_add_i32 s0, s0, s6
	s_mul_i32 s0, s0, s10
	s_add_i32 s47, s0, 1
.LBB46_10:
	s_load_dword s0, s[4:5], 0x48
	s_load_dwordx2 s[36:37], s[4:5], 0x28
	s_load_dword s25, s[4:5], 0x98
	s_load_dwordx4 s[20:23], s[4:5], 0x0
	s_load_dwordx2 s[26:27], s[4:5], 0x10
	s_mul_i32 s1, s7, s33
	s_waitcnt lgkmcnt(0)
	s_mul_i32 s34, s28, s0
	s_sub_i32 s1, s3, s1
	s_ashr_i32 s35, s34, 31
	s_xor_b32 s0, s11, s48
	s_add_i32 s3, s7, 1
	s_sub_i32 s10, s1, s33
	s_cmp_ge_u32 s1, s33
	s_cselect_b32 s3, s3, s7
	s_cselect_b32 s1, s10, s1
	s_add_i32 s7, s3, 1
	s_cmp_ge_u32 s1, s33
	s_cselect_b32 s1, s7, s3
	s_xor_b32 s1, s1, s0
	s_sub_i32 s16, s1, s0
	s_add_i32 s0, s29, 31
	s_ashr_i32 s1, s0, 31
	s_lshr_b32 s1, s1, 27
	s_add_i32 s0, s0, s1
	s_lshl_b32 s12, s8, 4
	s_ashr_i32 s7, s0, 5
	s_add_i32 s0, s12, 16
	v_lshrrev_b32_e32 v11, 6, v0
	s_min_i32 s49, s0, s7
	v_or_b32_e32 v46, s12, v11
	v_cmp_gt_i32_e64 s[0:1], s49, v46
	v_mov_b32_e32 v9, 0xff7fffff
	s_mul_i32 s14, s2, s14
	v_ashrrev_i32_e32 v47, 31, v46
	v_lshl_add_u32 v1, v11, 5, s50
	v_mbcnt_lo_u32_b32 v4, -1, 0
	s_and_saveexec_b64 s[40:41], s[0:1]
	s_cbranch_execz .LBB46_20
; %bb.11:
	s_load_dwordx2 s[2:3], s[4:5], 0x20
	s_ashr_i32 s15, s14, 31
	s_sub_i32 s19, s16, s17
	s_lshl_b64 s[4:5], s[14:15], 2
	v_bfe_u32 v5, v0, 1, 5
	s_waitcnt lgkmcnt(0)
	s_add_u32 s2, s2, s4
	s_addc_u32 s3, s3, s5
	s_abs_i32 s15, s18
	v_cvt_f32_u32_e32 v8, s15
	v_lshlrev_b32_e32 v6, 4, v5
	v_mov_b32_e32 v7, s3
	v_add_co_u32_e64 v6, s[2:3], s2, v6
	v_rcp_iflag_f32_e32 v8, v8
	v_addc_co_u32_e64 v7, s[2:3], 0, v7, s[2:3]
	v_and_b32_e32 v3, 8, v3
	v_add_co_u32_e64 v6, s[2:3], v6, v3
	v_mul_f32_e32 v3, 0x4f7ffffe, v8
	v_cvt_u32_f32_e32 v3, v3
	s_sub_i32 s4, 0, s15
	v_cmp_eq_u32_e32 vcc, 0, v2
	v_lshlrev_b32_e32 v9, 2, v5
	v_lshlrev_b32_e32 v8, 7, v2
	v_mul_lo_u32 v2, s4, v3
	s_lshl_b64 s[4:5], s[34:35], 2
	v_mul_hi_u32 v2, v3, v2
	s_add_u32 s4, s30, s4
	v_lshl_or_b32 v9, v11, 7, v9
	v_add_u32_e32 v12, v3, v2
	v_lshlrev_b64 v[2:3], 2, v[46:47]
	s_addc_u32 s5, s31, s5
	v_add_u32_e32 v14, 0x110, v9
	v_subrev_u32_e32 v9, s29, v5
	v_mbcnt_hi_u32_b32 v17, -1, v4
	v_addc_co_u32_e64 v7, s[2:3], 0, v7, s[2:3]
	v_mov_b32_e32 v13, s5
	v_add_co_u32_e64 v2, s[4:5], s4, v2
	v_add_u32_e32 v15, 1, v9
	v_and_b32_e32 v9, 64, v17
	s_mov_b32 s38, s13
	v_cmp_neq_f32_e64 s[2:3], s51, 0
	v_addc_co_u32_e64 v3, s[4:5], v13, v3, s[4:5]
	v_lshl_add_u32 v13, v11, 5, s50
	s_mov_b64 s[42:43], 0
	v_mov_b32_e32 v16, 0xff7fffff
	s_movk_i32 s52, 0x1000
	v_xor_b32_e32 v18, 1, v17
	v_add_u32_e32 v19, 64, v9
	v_mov_b32_e32 v9, 0xff7fffff
	v_mov_b32_e32 v20, v46
	s_branch .LBB46_14
.LBB46_12:                              ;   in Loop: Header=BB46_14 Depth=1
	s_or_b64 exec, exec, s[44:45]
.LBB46_13:                              ;   in Loop: Header=BB46_14 Depth=1
	s_or_b64 exec, exec, s[10:11]
	v_add_co_u32_e64 v2, s[4:5], 8, v2
	v_add_u32_e32 v20, 2, v20
	v_addc_co_u32_e64 v3, s[4:5], 0, v3, s[4:5]
	v_cmp_le_i32_e64 s[4:5], s49, v20
	v_add_u32_e32 v13, 64, v13
	s_or_b64 s[42:43], s[4:5], s[42:43]
	v_add_u32_e32 v14, 0x100, v14
	s_andn2_b64 exec, exec, s[42:43]
	s_cbranch_execz .LBB46_19
.LBB46_14:                              ; =>This Inner Loop Header: Depth=1
	s_waitcnt lgkmcnt(0)
	v_sub_u32_e32 v22, 0, v13
	v_max_i32_e32 v22, v13, v22
	v_mul_hi_u32 v23, v22, s46
	v_mul_lo_u32 v24, v23, s33
	v_sub_u32_e32 v22, v22, v24
	v_add_u32_e32 v24, 1, v23
	v_cmp_le_u32_e64 s[4:5], s33, v22
	v_cndmask_b32_e64 v23, v23, v24, s[4:5]
	v_subrev_u32_e32 v24, s33, v22
	v_cndmask_b32_e64 v22, v22, v24, s[4:5]
	v_ashrrev_i32_e32 v21, 31, v13
	v_add_u32_e32 v24, 1, v23
	v_cmp_le_u32_e64 s[4:5], s33, v22
	v_xor_b32_e32 v21, s48, v21
	v_cndmask_b32_e64 v22, v23, v24, s[4:5]
	v_xor_b32_e32 v22, v22, v21
	v_sub_u32_e32 v21, v22, v21
	v_add_u32_e32 v22, s47, v21
	v_sub_u32_e32 v24, 0, v22
	v_ashrrev_i32_e32 v23, 31, v22
	v_max_i32_e32 v22, v22, v24
	v_mul_hi_u32 v24, v22, v12
	v_mul_lo_u32 v24, v24, s15
	v_sub_u32_e32 v22, v22, v24
	v_subrev_u32_e32 v24, s15, v22
	v_cmp_le_u32_e64 s[4:5], s15, v22
	v_cndmask_b32_e64 v22, v22, v24, s[4:5]
	v_subrev_u32_e32 v24, s15, v22
	v_cmp_le_u32_e64 s[4:5], s15, v22
	v_cndmask_b32_e64 v22, v22, v24, s[4:5]
	v_xor_b32_e32 v22, v22, v23
	v_sub_u32_e32 v22, v22, v23
	v_cmp_ne_u32_e64 s[4:5], 0, v22
	v_cmp_ge_i32_e64 s[10:11], s19, v21
	s_and_b64 s[4:5], s[4:5], s[10:11]
	s_and_b64 s[44:45], vcc, s[4:5]
	s_and_saveexec_b64 s[10:11], s[44:45]
	s_cbranch_execz .LBB46_16
; %bb.15:                               ;   in Loop: Header=BB46_14 Depth=1
	ds_write_b32 v14, v16
.LBB46_16:                              ;   in Loop: Header=BB46_14 Depth=1
	s_or_b64 exec, exec, s[10:11]
	s_xor_b64 s[4:5], s[4:5], -1
	s_and_saveexec_b64 s[10:11], s[4:5]
	s_cbranch_execz .LBB46_13
; %bb.17:                               ;   in Loop: Header=BB46_14 Depth=1
	global_load_dword v21, v[2:3], off
	s_waitcnt vmcnt(0)
	v_mad_i64_i32 v[22:23], s[4:5], v21, s38, 0
	v_lshlrev_b64 v[22:23], 2, v[22:23]
	v_add_co_u32_e64 v22, s[4:5], v6, v22
	v_addc_co_u32_e64 v23, s[4:5], v7, v23, s[4:5]
	global_load_dwordx2 v[56:57], v[22:23], off offset:512
	global_load_dwordx2 v[58:59], v[22:23], off offset:1024
	;; [unrolled: 1-line block ×3, first 2 shown]
	global_load_dwordx2 v[62:63], v[22:23], off
	global_load_dwordx2 v[64:65], v[22:23], off offset:2048
	global_load_dwordx2 v[66:67], v[22:23], off offset:2560
	;; [unrolled: 1-line block ×4, first 2 shown]
	v_add_co_u32_e64 v22, s[4:5], s52, v22
	v_addc_co_u32_e64 v23, s[4:5], 0, v23, s[4:5]
	global_load_dwordx2 v[72:73], v[22:23], off
	global_load_dwordx2 v[74:75], v[22:23], off offset:512
	global_load_dwordx2 v[76:77], v[22:23], off offset:1024
	;; [unrolled: 1-line block ×7, first 2 shown]
	v_cmp_lt_i32_e64 s[4:5], v18, v19
	ds_read_b128 v[22:25], v8
	ds_read_b128 v[26:29], v8 offset:16
	ds_read_b128 v[30:33], v8 offset:32
	;; [unrolled: 1-line block ×7, first 2 shown]
	v_cndmask_b32_e64 v21, v17, v18, s[4:5]
	v_lshlrev_b32_e32 v88, 2, v21
	s_waitcnt vmcnt(15) lgkmcnt(7)
	v_mul_f32_e32 v21, v24, v56
	v_mul_f32_e32 v24, v25, v57
	s_waitcnt vmcnt(12)
	v_fmac_f32_e32 v21, v22, v62
	v_fmac_f32_e32 v24, v23, v63
	s_waitcnt lgkmcnt(6)
	v_fmac_f32_e32 v21, v26, v58
	v_fmac_f32_e32 v24, v27, v59
	;; [unrolled: 1-line block ×4, first 2 shown]
	s_waitcnt vmcnt(11) lgkmcnt(5)
	v_fmac_f32_e32 v21, v30, v64
	v_fmac_f32_e32 v24, v31, v65
	s_waitcnt vmcnt(10)
	v_fmac_f32_e32 v21, v32, v66
	v_fmac_f32_e32 v24, v33, v67
	s_waitcnt vmcnt(9) lgkmcnt(4)
	v_fmac_f32_e32 v21, v34, v68
	v_fmac_f32_e32 v24, v35, v69
	s_waitcnt vmcnt(8)
	v_fmac_f32_e32 v21, v36, v70
	v_fmac_f32_e32 v24, v37, v71
	;; [unrolled: 6-line block ×6, first 2 shown]
	v_add_f32_e32 v21, v21, v24
	ds_bpermute_b32 v22, v88, v21
	s_and_saveexec_b64 s[44:45], vcc
	s_cbranch_execz .LBB46_12
; %bb.18:                               ;   in Loop: Header=BB46_14 Depth=1
	v_add_u32_e32 v23, v15, v13
	v_cvt_f32_i32_e32 v23, v23
	s_waitcnt lgkmcnt(0)
	v_add_f32_e32 v21, v21, v22
	v_add_u32_e32 v24, v5, v13
	v_cmp_gt_i32_e64 s[4:5], s29, v24
	v_mul_f32_e32 v22, s51, v23
	v_cndmask_b32_e64 v22, 0, v22, s[2:3]
	v_fmac_f32_e32 v22, s39, v21
	v_cndmask_b32_e64 v21, 0, v22, s[4:5]
	ds_write_b32 v14, v21
	v_max_f32_e32 v21, v9, v9
	v_max_f32_e32 v21, v21, v22
	v_cndmask_b32_e64 v9, v9, v21, s[4:5]
	s_branch .LBB46_12
.LBB46_19:
	s_or_b64 exec, exec, s[42:43]
.LBB46_20:
	s_or_b64 exec, exec, s[40:41]
	v_mbcnt_hi_u32_b32 v4, -1, v4
	v_and_b32_e32 v2, 64, v4
	v_add_u32_e32 v8, 64, v2
	v_xor_b32_e32 v2, 32, v4
	v_cmp_lt_i32_e32 vcc, v2, v8
	v_cndmask_b32_e32 v2, v4, v2, vcc
	v_lshlrev_b32_e32 v2, 2, v2
	ds_bpermute_b32 v3, v2, v9
	v_xor_b32_e32 v6, 16, v4
	v_max_f32_e32 v5, v9, v9
	v_cmp_lt_i32_e32 vcc, v6, v8
	v_xor_b32_e32 v7, 8, v4
	s_waitcnt lgkmcnt(0)
	v_max_f32_e32 v3, v3, v3
	v_max_f32_e32 v5, v5, v3
	v_cndmask_b32_e32 v3, v4, v6, vcc
	v_lshlrev_b32_e32 v3, 2, v3
	ds_bpermute_b32 v6, v3, v5
	v_cmp_lt_i32_e32 vcc, v7, v8
	v_xor_b32_e32 v9, 4, v4
	v_and_b32_e32 v50, 63, v0
	s_waitcnt lgkmcnt(0)
	v_max_f32_e32 v6, v6, v6
	v_max_f32_e32 v6, v5, v6
	v_cndmask_b32_e32 v5, v4, v7, vcc
	v_lshlrev_b32_e32 v5, 2, v5
	ds_bpermute_b32 v7, v5, v6
	v_cmp_lt_i32_e32 vcc, v9, v8
	s_waitcnt lgkmcnt(0)
	v_max_f32_e32 v7, v7, v7
	v_max_f32_e32 v6, v6, v7
	v_cndmask_b32_e32 v7, v4, v9, vcc
	v_lshlrev_b32_e32 v52, 2, v7
	ds_bpermute_b32 v7, v52, v6
	v_xor_b32_e32 v9, 2, v4
	v_cmp_lt_i32_e32 vcc, v9, v8
	s_waitcnt lgkmcnt(0)
	v_max_f32_e32 v7, v7, v7
	v_max_f32_e32 v7, v6, v7
	v_cndmask_b32_e32 v6, v4, v9, vcc
	v_lshlrev_b32_e32 v51, 2, v6
	ds_bpermute_b32 v9, v51, v7
	v_cmp_eq_u32_e32 vcc, 0, v50
	v_lshlrev_b32_e32 v6, 2, v11
	s_and_saveexec_b64 s[2:3], vcc
	s_cbranch_execz .LBB46_22
; %bb.21:
	s_waitcnt lgkmcnt(0)
	v_max_f32_e32 v9, v9, v9
	v_max_f32_e32 v7, v7, v7
	;; [unrolled: 1-line block ×3, first 2 shown]
	ds_write_b32 v6, v7 offset:256
.LBB46_22:
	s_or_b64 exec, exec, s[2:3]
	v_cmp_gt_u32_e64 s[2:3], 2, v50
	s_waitcnt lgkmcnt(0)
	v_mov_b32_e32 v9, 0xff7fffff
	v_lshlrev_b32_e32 v7, 2, v50
	s_barrier
	s_and_saveexec_b64 s[4:5], s[2:3]
	s_cbranch_execz .LBB46_24
; %bb.23:
	ds_read_b32 v9, v7 offset:256
.LBB46_24:
	s_or_b64 exec, exec, s[4:5]
	v_xor_b32_e32 v12, 1, v4
	v_cmp_lt_i32_e64 s[4:5], v12, v8
	v_cndmask_b32_e64 v8, v4, v12, s[4:5]
	v_lshlrev_b32_e32 v53, 2, v8
	s_waitcnt lgkmcnt(0)
	ds_bpermute_b32 v8, v53, v9
	v_max_f32_e32 v9, v9, v9
	v_lshlrev_b32_e32 v4, 2, v4
	s_sub_i32 s4, s49, s12
	s_lshl_b32 s4, s4, 5
	s_waitcnt lgkmcnt(0)
	v_max_f32_e32 v8, v8, v8
	v_max_f32_e32 v9, v9, v8
	v_and_b32_e32 v8, 0x100, v4
	ds_bpermute_b32 v4, v8, v9
	s_add_i32 s4, s4, s50
	s_min_i32 s15, s4, s29
	s_sub_i32 s12, s15, s50
	v_cmp_gt_i32_e64 s[4:5], s12, v0
	v_mov_b32_e32 v9, 0
	s_and_saveexec_b64 s[38:39], s[4:5]
	s_cbranch_execz .LBB46_28
; %bb.25:
	v_mov_b32_e32 v9, 0x110
	v_lshl_add_u32 v12, v0, 2, v9
	s_mov_b64 s[40:41], 0
	v_mov_b32_e32 v9, 0
	v_mov_b32_e32 v13, v0
.LBB46_26:                              ; =>This Inner Loop Header: Depth=1
	ds_read_b32 v14, v12
	v_add_u32_e32 v13, 0x80, v13
	v_cmp_le_i32_e64 s[10:11], s12, v13
	s_or_b64 s[40:41], s[10:11], s[40:41]
	s_waitcnt lgkmcnt(0)
	v_sub_f32_e32 v14, v14, v4
	v_mul_f32_e32 v14, 0x3fb8aa3b, v14
	v_exp_f32_e32 v14, v14
	ds_write_b32 v12, v14
	v_add_f32_e32 v9, v9, v14
	v_add_u32_e32 v12, 0x200, v12
	s_andn2_b64 exec, exec, s[40:41]
	s_cbranch_execnz .LBB46_26
; %bb.27:
	s_or_b64 exec, exec, s[40:41]
.LBB46_28:
	s_or_b64 exec, exec, s[38:39]
	ds_bpermute_b32 v2, v2, v9
	s_waitcnt lgkmcnt(0)
	v_add_f32_e32 v2, v9, v2
	ds_bpermute_b32 v3, v3, v2
	s_waitcnt lgkmcnt(0)
	v_add_f32_e32 v2, v2, v3
	;; [unrolled: 3-line block ×6, first 2 shown]
	s_and_saveexec_b64 s[10:11], vcc
	s_cbranch_execz .LBB46_30
; %bb.29:
	ds_write_b32 v6, v2 offset:264
.LBB46_30:
	s_or_b64 exec, exec, s[10:11]
	s_waitcnt lgkmcnt(0)
	s_barrier
	s_and_saveexec_b64 s[10:11], s[2:3]
	s_cbranch_execz .LBB46_32
; %bb.31:
	ds_read_b32 v2, v7 offset:264
.LBB46_32:
	s_or_b64 exec, exec, s[10:11]
	s_waitcnt lgkmcnt(0)
	ds_bpermute_b32 v3, v53, v2
	s_waitcnt lgkmcnt(0)
	v_add_f32_e32 v2, v2, v3
	ds_bpermute_b32 v5, v8, v2
	s_and_saveexec_b64 s[2:3], s[4:5]
	s_cbranch_execz .LBB46_45
; %bb.33:
	s_waitcnt lgkmcnt(0)
	v_add_f32_e32 v2, 0x358637bd, v5
	v_div_scale_f32 v3, s[4:5], v2, v2, 1.0
	v_rcp_f32_e32 v6, v3
	v_div_scale_f32 v7, vcc, 1.0, v2, 1.0
	s_movk_i32 s4, 0x7f
	v_fma_f32 v8, -v3, v6, 1.0
	v_fmac_f32_e32 v6, v8, v6
	v_mul_f32_e32 v8, v7, v6
	v_fma_f32 v9, -v3, v8, v7
	v_fmac_f32_e32 v8, v9, v6
	v_fma_f32 v3, -v3, v8, v7
	v_div_fmas_f32 v3, v3, v6, v8
	v_div_fixup_f32 v2, v3, v2, 1.0
	v_xad_u32 v3, v0, -1, s15
	v_subrev_u32_e32 v6, s50, v3
	v_cmp_lt_u32_e32 vcc, s4, v6
	s_mov_b64 s[10:11], -1
	v_mov_b32_e32 v3, v0
	s_and_saveexec_b64 s[4:5], vcc
	s_cbranch_execz .LBB46_42
; %bb.34:
	v_lshrrev_b32_e32 v6, 7, v6
	v_add_u32_e32 v8, -1, v6
	v_lshrrev_b32_e32 v7, 1, v8
	v_mov_b32_e32 v3, v2
	v_add_u32_e32 v7, 1, v7
	v_cmp_lt_u32_e32 vcc, 13, v8
	v_mov_b32_e32 v12, 0
	s_and_saveexec_b64 s[10:11], vcc
	s_cbranch_execz .LBB46_38
; %bb.35:
	v_mov_b32_e32 v9, 0x110
	v_and_b32_e32 v8, -8, v7
	v_lshl_add_u32 v9, v0, 2, v9
	s_mov_b32 s15, 0
	s_mov_b64 s[38:39], 0
.LBB46_36:                              ; =>This Inner Loop Header: Depth=1
	ds_read2st64_b32 v[12:13], v9 offset1:2
	ds_read2st64_b32 v[14:15], v9 offset0:4 offset1:6
	ds_read2st64_b32 v[16:17], v9 offset0:8 offset1:10
	ds_read2st64_b32 v[18:19], v9 offset0:12 offset1:14
	v_add_u32_e32 v8, -8, v8
	s_waitcnt lgkmcnt(3)
	v_pk_mul_f32 v[12:13], v[2:3], v[12:13]
	s_waitcnt lgkmcnt(2)
	v_pk_mul_f32 v[14:15], v[2:3], v[14:15]
	ds_write2st64_b32 v9, v12, v13 offset1:2
	ds_write2st64_b32 v9, v14, v15 offset0:4 offset1:6
	ds_read2st64_b32 v[14:15], v9 offset0:16 offset1:18
	s_waitcnt lgkmcnt(4)
	v_pk_mul_f32 v[12:13], v[2:3], v[16:17]
	ds_write2st64_b32 v9, v12, v13 offset0:8 offset1:10
	s_waitcnt lgkmcnt(4)
	v_pk_mul_f32 v[12:13], v[2:3], v[18:19]
	ds_write2st64_b32 v9, v12, v13 offset0:12 offset1:14
	ds_read2st64_b32 v[12:13], v9 offset0:20 offset1:22
	s_waitcnt lgkmcnt(3)
	v_pk_mul_f32 v[14:15], v[2:3], v[14:15]
	ds_read2st64_b32 v[16:17], v9 offset0:24 offset1:26
	ds_write2st64_b32 v9, v14, v15 offset0:16 offset1:18
	ds_read2st64_b32 v[14:15], v9 offset0:28 offset1:30
	s_waitcnt lgkmcnt(3)
	v_pk_mul_f32 v[12:13], v[2:3], v[12:13]
	ds_write2st64_b32 v9, v12, v13 offset0:20 offset1:22
	s_waitcnt lgkmcnt(3)
	v_pk_mul_f32 v[12:13], v[2:3], v[16:17]
	ds_write2st64_b32 v9, v12, v13 offset0:24 offset1:26
	s_waitcnt lgkmcnt(2)
	v_pk_mul_f32 v[12:13], v[2:3], v[14:15]
	s_add_i32 s15, s15, 16
	v_cmp_eq_u32_e32 vcc, 0, v8
	ds_write2st64_b32 v9, v12, v13 offset0:28 offset1:30
	v_add_u32_e32 v9, 0x2000, v9
	s_or_b64 s[38:39], vcc, s[38:39]
	v_mov_b32_e32 v12, s15
	s_andn2_b64 exec, exec, s[38:39]
	s_cbranch_execnz .LBB46_36
; %bb.37:
	s_or_b64 exec, exec, s[38:39]
.LBB46_38:
	s_or_b64 exec, exec, s[10:11]
	v_and_b32_e32 v7, 7, v7
	v_cmp_ne_u32_e32 vcc, 0, v7
	s_and_saveexec_b64 s[10:11], vcc
	s_cbranch_execz .LBB46_41
; %bb.39:
	v_lshlrev_b32_e32 v8, 9, v12
	s_movk_i32 s15, 0x110
	v_add3_u32 v8, v8, v10, s15
	s_mov_b64 s[38:39], 0
.LBB46_40:                              ; =>This Inner Loop Header: Depth=1
	ds_read2st64_b32 v[12:13], v8 offset1:2
	v_add_u32_e32 v7, -1, v7
	v_cmp_eq_u32_e32 vcc, 0, v7
	s_or_b64 s[38:39], vcc, s[38:39]
	s_waitcnt lgkmcnt(0)
	v_pk_mul_f32 v[12:13], v[2:3], v[12:13]
	ds_write2st64_b32 v8, v12, v13 offset1:2
	v_add_u32_e32 v8, 0x400, v8
	s_andn2_b64 exec, exec, s[38:39]
	s_cbranch_execnz .LBB46_40
.LBB46_41:
	s_or_b64 exec, exec, s[10:11]
	v_add_u32_e32 v6, 1, v6
	v_and_b32_e32 v7, 0x3fffffe, v6
	v_cmp_ne_u32_e32 vcc, v6, v7
	v_lshl_add_u32 v3, v7, 7, v0
	s_orn2_b64 s[10:11], vcc, exec
.LBB46_42:
	s_or_b64 exec, exec, s[4:5]
	s_and_b64 exec, exec, s[10:11]
	s_cbranch_execz .LBB46_45
; %bb.43:
	v_mov_b32_e32 v6, 0x110
	v_lshl_add_u32 v6, v3, 2, v6
	s_mov_b64 s[4:5], 0
.LBB46_44:                              ; =>This Inner Loop Header: Depth=1
	ds_read_b32 v7, v6
	v_add_u32_e32 v3, 0x80, v3
	v_cmp_le_i32_e32 vcc, s12, v3
	s_or_b64 s[4:5], vcc, s[4:5]
	s_waitcnt lgkmcnt(0)
	v_mul_f32_e32 v7, v2, v7
	ds_write_b32 v6, v7
	v_add_u32_e32 v6, 0x200, v6
	s_andn2_b64 exec, exec, s[4:5]
	s_cbranch_execnz .LBB46_44
.LBB46_45:
	s_or_b64 exec, exec, s[2:3]
	s_mul_i32 s2, s25, s28
	v_cmp_eq_u32_e32 vcc, 0, v0
	s_mul_i32 s2, s2, s9
	s_waitcnt lgkmcnt(0)
	s_barrier
	s_and_saveexec_b64 s[4:5], vcc
	s_cbranch_execz .LBB46_47
; %bb.46:
	s_ashr_i32 s3, s2, 31
	s_lshl_b64 s[10:11], s[2:3], 2
	s_add_u32 s3, s22, s10
	s_mul_i32 s22, s25, s6
	s_addc_u32 s9, s23, s11
	s_ashr_i32 s23, s22, 31
	s_lshl_b64 s[22:23], s[22:23], 2
	s_add_u32 s3, s3, s22
	s_addc_u32 s6, s9, s23
	s_ashr_i32 s9, s8, 31
	s_lshl_b64 s[38:39], s[8:9], 2
	s_add_u32 s40, s3, s38
	s_addc_u32 s41, s6, s39
	s_add_u32 s3, s20, s10
	s_addc_u32 s6, s21, s11
	s_add_u32 s3, s3, s22
	s_addc_u32 s6, s6, s23
	s_add_u32 s10, s3, s38
	v_mov_b32_e32 v2, 0
	s_addc_u32 s11, s6, s39
	global_store_dword v2, v4, s[40:41]
	global_store_dword v2, v5, s[10:11]
.LBB46_47:
	s_or_b64 exec, exec, s[4:5]
	s_mov_b32 s12, 0
	v_mov_b32_e32 v9, 0
	v_and_b32_e32 v54, 7, v0
	v_mov_b32_e32 v8, 0
	v_mov_b32_e32 v7, 0
	;; [unrolled: 1-line block ×7, first 2 shown]
	s_and_saveexec_b64 s[4:5], s[0:1]
	s_cbranch_execz .LBB46_69
; %bb.48:
	s_ashr_i32 s15, s14, 31
	s_sub_i32 s3, s16, s17
	s_lshl_b64 s[0:1], s[14:15], 2
	s_add_u32 s9, s36, s0
	s_addc_u32 s20, s37, s1
	s_abs_i32 s21, s18
	v_cvt_f32_u32_e32 v2, s21
	s_sub_i32 s0, 0, s21
	s_add_i32 s23, s7, -1
	v_and_b32_e32 v55, 28, v10
	v_rcp_iflag_f32_e32 v2, v2
	s_mov_b32 s22, s13
	v_and_b32_e32 v10, 0xfc, v10
	s_mov_b32 s13, s12
	v_mul_f32_e32 v2, 0x4f7ffffe, v2
	v_cvt_u32_f32_e32 v2, v2
	v_or_b32_e32 v12, 0x400, v10
	v_or_b32_e32 v14, 0x500, v10
	;; [unrolled: 1-line block ×3, first 2 shown]
	v_mul_lo_u32 v3, s0, v2
	v_mul_hi_u32 v3, v2, v3
	s_lshl_b64 s[0:1], s[34:35], 2
	v_add_u32_e32 v56, v2, v3
	v_lshlrev_b64 v[2:3], 2, v[46:47]
	s_add_u32 s0, s30, s0
	s_addc_u32 s1, s31, s1
	v_add_co_u32_e32 v48, vcc, s0, v2
	v_lshlrev_b32_e32 v2, 4, v54
	v_mov_b32_e32 v4, s1
	v_lshl_or_b32 v2, v11, 7, v2
	v_or_b32_e32 v18, 0x700, v10
	v_addc_co_u32_e32 v49, vcc, v4, v3, vcc
	v_add_u32_e32 v47, 0x110, v2
	s_mov_b32 s14, s12
	s_mov_b32 s15, s12
	;; [unrolled: 1-line block ×6, first 2 shown]
	v_pk_mov_b32 v[2:3], s[12:13], s[12:13] op_sel:[0,1]
	s_mov_b64 s[6:7], 0
	v_pk_mov_b32 v[4:5], s[14:15], s[14:15] op_sel:[0,1]
	v_pk_mov_b32 v[6:7], s[16:17], s[16:17] op_sel:[0,1]
	;; [unrolled: 1-line block ×3, first 2 shown]
	v_lshlrev_b32_e32 v57, 2, v10
	v_lshlrev_b32_e32 v58, 2, v12
	;; [unrolled: 1-line block ×5, first 2 shown]
	s_branch .LBB46_51
.LBB46_49:                              ;   in Loop: Header=BB46_51 Depth=1
	s_or_b64 exec, exec, s[0:1]
	s_waitcnt vmcnt(7) lgkmcnt(0)
	v_mul_f32_e32 v15, v11, v15
	v_fmac_f32_e32 v15, v10, v14
	s_waitcnt vmcnt(6)
	v_mul_f32_e32 v14, v11, v19
	v_fmac_f32_e32 v14, v10, v18
	v_fmac_f32_e32 v14, v12, v20
	v_fmac_f32_e32 v14, v13, v21
	v_add_f32_e32 v3, v3, v14
	s_waitcnt vmcnt(5)
	v_mul_f32_e32 v14, v11, v23
	v_fmac_f32_e32 v14, v10, v22
	v_fmac_f32_e32 v14, v12, v24
	v_fmac_f32_e32 v14, v13, v25
	v_add_f32_e32 v4, v4, v14
	;; [unrolled: 6-line block ×5, first 2 shown]
	s_waitcnt vmcnt(1)
	v_mul_f32_e32 v14, v11, v39
	s_waitcnt vmcnt(0)
	v_mul_f32_e32 v11, v11, v43
	v_fmac_f32_e32 v14, v10, v38
	v_fmac_f32_e32 v11, v10, v42
	;; [unrolled: 1-line block ×8, first 2 shown]
	v_add_f32_e32 v2, v2, v15
	v_add_f32_e32 v8, v8, v14
	;; [unrolled: 1-line block ×3, first 2 shown]
.LBB46_50:                              ;   in Loop: Header=BB46_51 Depth=1
	s_or_b64 exec, exec, s[10:11]
	v_add_co_u32_e32 v48, vcc, 8, v48
	v_add_u32_e32 v46, 2, v46
	v_addc_co_u32_e32 v49, vcc, 0, v49, vcc
	v_cmp_le_i32_e32 vcc, s49, v46
	v_add_u32_e32 v1, 64, v1
	s_or_b64 s[6:7], vcc, s[6:7]
	v_add_u32_e32 v47, 0x100, v47
	s_andn2_b64 exec, exec, s[6:7]
	s_cbranch_execz .LBB46_68
.LBB46_51:                              ; =>This Inner Loop Header: Depth=1
	v_sub_u32_e32 v11, 0, v1
	v_max_i32_e32 v11, v1, v11
	v_mul_hi_u32 v12, v11, s46
	v_mul_lo_u32 v13, v12, s33
	v_sub_u32_e32 v11, v11, v13
	v_add_u32_e32 v13, 1, v12
	v_cmp_le_u32_e32 vcc, s33, v11
	v_cndmask_b32_e32 v12, v12, v13, vcc
	v_subrev_u32_e32 v13, s33, v11
	v_cndmask_b32_e32 v11, v11, v13, vcc
	v_ashrrev_i32_e32 v10, 31, v1
	v_add_u32_e32 v13, 1, v12
	v_cmp_le_u32_e32 vcc, s33, v11
	v_xor_b32_e32 v10, s48, v10
	v_cndmask_b32_e32 v11, v12, v13, vcc
	v_xor_b32_e32 v11, v11, v10
	v_sub_u32_e32 v10, v11, v10
	v_add_u32_e32 v11, s47, v10
	v_sub_u32_e32 v13, 0, v11
	v_ashrrev_i32_e32 v12, 31, v11
	v_max_i32_e32 v11, v11, v13
	v_mul_hi_u32 v13, v11, v56
	v_mul_lo_u32 v13, v13, s21
	v_sub_u32_e32 v11, v11, v13
	v_subrev_u32_e32 v13, s21, v11
	v_cmp_le_u32_e32 vcc, s21, v11
	v_cndmask_b32_e32 v11, v11, v13, vcc
	v_subrev_u32_e32 v13, s21, v11
	v_cmp_le_u32_e32 vcc, s21, v11
	v_cndmask_b32_e32 v11, v11, v13, vcc
	v_xor_b32_e32 v11, v11, v12
	v_sub_u32_e32 v11, v11, v12
	v_cmp_eq_u32_e32 vcc, 0, v11
	v_cmp_lt_i32_e64 s[0:1], s3, v10
	s_or_b64 s[0:1], vcc, s[0:1]
	s_and_saveexec_b64 s[10:11], s[0:1]
	s_cbranch_execz .LBB46_50
; %bb.52:                               ;   in Loop: Header=BB46_51 Depth=1
	global_load_dword v10, v[48:49], off
	v_mov_b32_e32 v12, s20
	v_add_u32_e32 v62, v55, v1
	v_add_u32_e32 v65, 1, v62
	;; [unrolled: 1-line block ×4, first 2 shown]
	s_waitcnt vmcnt(0)
	v_mad_i64_i32 v[10:11], s[0:1], v10, s22, 0
	v_lshlrev_b64 v[10:11], 2, v[10:11]
	v_add_co_u32_e32 v42, vcc, s9, v10
	v_addc_co_u32_e32 v43, vcc, v12, v11, vcc
	v_add_co_u32_e32 v26, vcc, v42, v57
	v_addc_co_u32_e32 v27, vcc, 0, v43, vcc
	global_load_dwordx4 v[14:17], v[26:27], off
	ds_read_b128 v[10:13], v47
	v_cmp_eq_u32_e32 vcc, s23, v46
	s_and_saveexec_b64 s[12:13], vcc
	s_cbranch_execnz .LBB46_65
; %bb.53:                               ;   in Loop: Header=BB46_51 Depth=1
	s_or_b64 exec, exec, s[12:13]
	global_load_dwordx4 v[18:21], v[26:27], off offset:1024
	s_and_saveexec_b64 s[12:13], vcc
	s_cbranch_execnz .LBB46_66
.LBB46_54:                              ;   in Loop: Header=BB46_51 Depth=1
	s_or_b64 exec, exec, s[12:13]
	global_load_dwordx4 v[22:25], v[26:27], off offset:2048
	s_and_saveexec_b64 s[12:13], vcc
	s_cbranch_execnz .LBB46_67
.LBB46_55:                              ;   in Loop: Header=BB46_51 Depth=1
	s_or_b64 exec, exec, s[12:13]
	global_load_dwordx4 v[26:29], v[26:27], off offset:3072
	s_and_saveexec_b64 s[12:13], vcc
	s_cbranch_execz .LBB46_57
.LBB46_56:                              ;   in Loop: Header=BB46_51 Depth=1
	v_cmp_gt_i32_e64 s[0:1], s29, v62
	s_waitcnt vmcnt(0)
	v_cndmask_b32_e64 v26, 0, v26, s[0:1]
	v_cmp_gt_i32_e64 s[0:1], s29, v65
	v_cndmask_b32_e64 v27, 0, v27, s[0:1]
	v_cmp_gt_i32_e64 s[0:1], s29, v64
	;; [unrolled: 2-line block ×3, first 2 shown]
	v_cndmask_b32_e64 v29, 0, v29, s[0:1]
.LBB46_57:                              ;   in Loop: Header=BB46_51 Depth=1
	s_or_b64 exec, exec, s[12:13]
	v_add_co_u32_e64 v30, s[0:1], v42, v58
	v_addc_co_u32_e64 v31, s[0:1], 0, v43, s[0:1]
	global_load_dwordx4 v[30:33], v[30:31], off
	s_and_saveexec_b64 s[12:13], vcc
	s_cbranch_execz .LBB46_59
; %bb.58:                               ;   in Loop: Header=BB46_51 Depth=1
	v_cmp_gt_i32_e64 s[0:1], s29, v62
	s_waitcnt vmcnt(0)
	v_cndmask_b32_e64 v30, 0, v30, s[0:1]
	v_cmp_gt_i32_e64 s[0:1], s29, v65
	v_cndmask_b32_e64 v31, 0, v31, s[0:1]
	v_cmp_gt_i32_e64 s[0:1], s29, v64
	v_cndmask_b32_e64 v32, 0, v32, s[0:1]
	v_cmp_gt_i32_e64 s[0:1], s29, v63
	v_cndmask_b32_e64 v33, 0, v33, s[0:1]
.LBB46_59:                              ;   in Loop: Header=BB46_51 Depth=1
	s_or_b64 exec, exec, s[12:13]
	v_add_co_u32_e64 v34, s[0:1], v42, v59
	v_addc_co_u32_e64 v35, s[0:1], 0, v43, s[0:1]
	global_load_dwordx4 v[34:37], v[34:35], off
	s_and_saveexec_b64 s[12:13], vcc
	s_cbranch_execz .LBB46_61
; %bb.60:                               ;   in Loop: Header=BB46_51 Depth=1
	v_cmp_gt_i32_e64 s[0:1], s29, v62
	s_waitcnt vmcnt(0)
	v_cndmask_b32_e64 v34, 0, v34, s[0:1]
	v_cmp_gt_i32_e64 s[0:1], s29, v65
	v_cndmask_b32_e64 v35, 0, v35, s[0:1]
	v_cmp_gt_i32_e64 s[0:1], s29, v64
	v_cndmask_b32_e64 v36, 0, v36, s[0:1]
	v_cmp_gt_i32_e64 s[0:1], s29, v63
	v_cndmask_b32_e64 v37, 0, v37, s[0:1]
.LBB46_61:                              ;   in Loop: Header=BB46_51 Depth=1
	;; [unrolled: 17-line block ×3, first 2 shown]
	s_or_b64 exec, exec, s[12:13]
	v_add_co_u32_e64 v42, s[0:1], v42, v61
	v_addc_co_u32_e64 v43, s[0:1], 0, v43, s[0:1]
	global_load_dwordx4 v[42:45], v[42:43], off
	s_and_saveexec_b64 s[0:1], vcc
	s_cbranch_execz .LBB46_49
; %bb.64:                               ;   in Loop: Header=BB46_51 Depth=1
	v_cmp_gt_i32_e32 vcc, s29, v62
	s_waitcnt vmcnt(0)
	v_cndmask_b32_e32 v42, 0, v42, vcc
	v_cmp_gt_i32_e32 vcc, s29, v65
	v_cndmask_b32_e32 v43, 0, v43, vcc
	v_cmp_gt_i32_e32 vcc, s29, v64
	;; [unrolled: 2-line block ×3, first 2 shown]
	v_cndmask_b32_e32 v45, 0, v45, vcc
	s_branch .LBB46_49
.LBB46_65:                              ;   in Loop: Header=BB46_51 Depth=1
	v_cmp_gt_i32_e64 s[0:1], s29, v62
	s_waitcnt vmcnt(0)
	v_cndmask_b32_e64 v14, 0, v14, s[0:1]
	v_cmp_gt_i32_e64 s[0:1], s29, v65
	v_cndmask_b32_e64 v15, 0, v15, s[0:1]
	v_cmp_gt_i32_e64 s[0:1], s29, v64
	v_cndmask_b32_e64 v16, 0, v16, s[0:1]
	v_cmp_gt_i32_e64 s[0:1], s29, v63
	v_cndmask_b32_e64 v17, 0, v17, s[0:1]
	s_or_b64 exec, exec, s[12:13]
	global_load_dwordx4 v[18:21], v[26:27], off offset:1024
	s_and_saveexec_b64 s[12:13], vcc
	s_cbranch_execz .LBB46_54
.LBB46_66:                              ;   in Loop: Header=BB46_51 Depth=1
	v_cmp_gt_i32_e64 s[0:1], s29, v62
	s_waitcnt vmcnt(0)
	v_cndmask_b32_e64 v18, 0, v18, s[0:1]
	v_cmp_gt_i32_e64 s[0:1], s29, v65
	v_cndmask_b32_e64 v19, 0, v19, s[0:1]
	v_cmp_gt_i32_e64 s[0:1], s29, v64
	;; [unrolled: 2-line block ×3, first 2 shown]
	v_cndmask_b32_e64 v21, 0, v21, s[0:1]
	s_or_b64 exec, exec, s[12:13]
	global_load_dwordx4 v[22:25], v[26:27], off offset:2048
	s_and_saveexec_b64 s[12:13], vcc
	s_cbranch_execz .LBB46_55
.LBB46_67:                              ;   in Loop: Header=BB46_51 Depth=1
	v_cmp_gt_i32_e64 s[0:1], s29, v62
	s_waitcnt vmcnt(0)
	v_cndmask_b32_e64 v22, 0, v22, s[0:1]
	v_cmp_gt_i32_e64 s[0:1], s29, v65
	v_cndmask_b32_e64 v23, 0, v23, s[0:1]
	v_cmp_gt_i32_e64 s[0:1], s29, v64
	;; [unrolled: 2-line block ×3, first 2 shown]
	v_cndmask_b32_e64 v25, 0, v25, s[0:1]
	s_or_b64 exec, exec, s[12:13]
	global_load_dwordx4 v[26:29], v[26:27], off offset:3072
	s_and_saveexec_b64 s[12:13], vcc
	s_cbranch_execnz .LBB46_56
	s_branch .LBB46_57
.LBB46_68:
	s_or_b64 exec, exec, s[6:7]
.LBB46_69:
	s_or_b64 exec, exec, s[4:5]
	ds_bpermute_b32 v12, v52, v4
	ds_bpermute_b32 v13, v52, v5
	;; [unrolled: 1-line block ×6, first 2 shown]
	s_waitcnt lgkmcnt(4)
	v_pk_add_f32 v[4:5], v[4:5], v[12:13]
	ds_bpermute_b32 v12, v51, v4
	ds_bpermute_b32 v13, v51, v5
	s_waitcnt lgkmcnt(4)
	v_pk_add_f32 v[2:3], v[2:3], v[10:11]
	s_waitcnt lgkmcnt(2)
	v_pk_add_f32 v[6:7], v[6:7], v[14:15]
	ds_bpermute_b32 v10, v51, v2
	ds_bpermute_b32 v11, v51, v3
	s_waitcnt lgkmcnt(2)
	v_pk_add_f32 v[4:5], v[4:5], v[12:13]
	ds_bpermute_b32 v12, v52, v8
	ds_bpermute_b32 v13, v52, v9
	;; [unrolled: 1-line block ×4, first 2 shown]
	s_waitcnt lgkmcnt(4)
	v_pk_add_f32 v[2:3], v[2:3], v[10:11]
	ds_bpermute_b32 v10, v53, v2
	s_waitcnt lgkmcnt(3)
	v_pk_add_f32 v[8:9], v[8:9], v[12:13]
	ds_bpermute_b32 v12, v51, v8
	ds_bpermute_b32 v13, v51, v9
	s_waitcnt lgkmcnt(3)
	v_pk_add_f32 v[14:15], v[6:7], v[14:15]
	ds_bpermute_b32 v11, v53, v3
	ds_bpermute_b32 v16, v53, v4
	;; [unrolled: 1-line block ×3, first 2 shown]
	s_waitcnt lgkmcnt(3)
	v_pk_add_f32 v[12:13], v[8:9], v[12:13]
	ds_bpermute_b32 v18, v53, v14
	ds_bpermute_b32 v19, v53, v15
	;; [unrolled: 1-line block ×4, first 2 shown]
	v_and_b32_e32 v1, 0x3c7, v0
	s_waitcnt lgkmcnt(6)
	v_pk_add_f32 v[8:9], v[2:3], v[10:11]
	s_waitcnt lgkmcnt(4)
	v_pk_add_f32 v[6:7], v[4:5], v[16:17]
	;; [unrolled: 2-line block ×4, first 2 shown]
	v_cmp_eq_u32_e32 vcc, 64, v1
	s_barrier
	s_and_saveexec_b64 s[0:1], vcc
	s_cbranch_execz .LBB46_71
; %bb.70:
	v_lshrrev_b32_e32 v10, 1, v50
	v_add_u32_e32 v10, 0x110, v10
	ds_write2_b32 v10, v8, v9 offset1:8
	ds_write2_b32 v10, v6, v7 offset0:16 offset1:24
	ds_write2_b32 v10, v2, v3 offset0:32 offset1:40
	;; [unrolled: 1-line block ×3, first 2 shown]
.LBB46_71:
	s_or_b64 exec, exec, s[0:1]
	v_cmp_gt_u32_e32 vcc, 64, v0
	s_waitcnt lgkmcnt(0)
	s_barrier
	s_and_saveexec_b64 s[0:1], vcc
	s_cbranch_execz .LBB46_82
; %bb.72:
	v_cmp_eq_u32_e32 vcc, 0, v54
	v_lshrrev_b32_e32 v10, 3, v0
	s_and_saveexec_b64 s[4:5], vcc
	s_cbranch_execnz .LBB46_85
; %bb.73:
	s_or_b64 exec, exec, s[4:5]
	s_and_saveexec_b64 s[4:5], vcc
	s_cbranch_execnz .LBB46_86
.LBB46_74:
	s_or_b64 exec, exec, s[4:5]
	s_and_saveexec_b64 s[4:5], vcc
	s_cbranch_execnz .LBB46_87
.LBB46_75:
	s_or_b64 exec, exec, s[4:5]
	s_and_saveexec_b64 s[4:5], vcc
	s_cbranch_execnz .LBB46_88
.LBB46_76:
	s_or_b64 exec, exec, s[4:5]
	s_and_saveexec_b64 s[4:5], vcc
	s_cbranch_execnz .LBB46_89
.LBB46_77:
	s_or_b64 exec, exec, s[4:5]
	s_and_saveexec_b64 s[4:5], vcc
	s_cbranch_execnz .LBB46_90
.LBB46_78:
	s_or_b64 exec, exec, s[4:5]
	s_and_saveexec_b64 s[4:5], vcc
	s_cbranch_execnz .LBB46_91
.LBB46_79:
	s_or_b64 exec, exec, s[4:5]
	s_and_saveexec_b64 s[4:5], vcc
	s_cbranch_execz .LBB46_81
.LBB46_80:
	v_mov_b32_e32 v11, 0x110
	v_lshl_add_u32 v10, v10, 2, v11
	ds_read_b32 v10, v10 offset:224
	s_waitcnt lgkmcnt(0)
	v_add_f32_e32 v5, v5, v10
.LBB46_81:
	s_or_b64 exec, exec, s[4:5]
.LBB46_82:
	s_or_b64 exec, exec, s[0:1]
	v_cmp_eq_u32_e32 vcc, 0, v1
	s_barrier
	s_and_saveexec_b64 s[0:1], vcc
	s_cbranch_execz .LBB46_84
; %bb.83:
	s_lshl_b32 s0, s2, 6
	s_ashr_i32 s1, s0, 31
	s_lshl_b64 s[0:1], s[0:1], 2
	s_add_u32 s2, s26, s0
	s_mul_i32 s0, s25, s24
	s_addc_u32 s3, s27, s1
	s_ashr_i32 s1, s0, 31
	s_lshl_b64 s[0:1], s[0:1], 2
	s_add_u32 s2, s2, s0
	s_addc_u32 s3, s3, s1
	s_lshl_b32 s0, s8, 6
	s_ashr_i32 s1, s0, 31
	s_lshl_b64 s[0:1], s[0:1], 2
	s_add_u32 s0, s2, s0
	s_addc_u32 s1, s3, s1
	v_lshrrev_b32_e32 v0, 1, v0
	global_store_dword v0, v8, s[0:1]
	global_store_dword v0, v9, s[0:1] offset:32
	global_store_dword v0, v6, s[0:1] offset:64
	;; [unrolled: 1-line block ×7, first 2 shown]
.LBB46_84:
	s_endpgm
.LBB46_85:
	v_mov_b32_e32 v11, 0x110
	v_lshl_add_u32 v11, v10, 2, v11
	ds_read_b32 v11, v11
	s_waitcnt lgkmcnt(0)
	v_add_f32_e32 v8, v8, v11
	s_or_b64 exec, exec, s[4:5]
	s_and_saveexec_b64 s[4:5], vcc
	s_cbranch_execz .LBB46_74
.LBB46_86:
	v_mov_b32_e32 v11, 0x110
	v_lshl_add_u32 v11, v10, 2, v11
	ds_read_b32 v11, v11 offset:32
	s_waitcnt lgkmcnt(0)
	v_add_f32_e32 v9, v9, v11
	s_or_b64 exec, exec, s[4:5]
	s_and_saveexec_b64 s[4:5], vcc
	s_cbranch_execz .LBB46_75
.LBB46_87:
	v_mov_b32_e32 v11, 0x110
	v_lshl_add_u32 v11, v10, 2, v11
	ds_read_b32 v11, v11 offset:64
	s_waitcnt lgkmcnt(0)
	v_add_f32_e32 v6, v6, v11
	s_or_b64 exec, exec, s[4:5]
	s_and_saveexec_b64 s[4:5], vcc
	s_cbranch_execz .LBB46_76
.LBB46_88:
	v_mov_b32_e32 v11, 0x110
	v_lshl_add_u32 v11, v10, 2, v11
	ds_read_b32 v11, v11 offset:96
	s_waitcnt lgkmcnt(0)
	v_add_f32_e32 v7, v7, v11
	s_or_b64 exec, exec, s[4:5]
	s_and_saveexec_b64 s[4:5], vcc
	s_cbranch_execz .LBB46_77
.LBB46_89:
	v_mov_b32_e32 v11, 0x110
	v_lshl_add_u32 v11, v10, 2, v11
	ds_read_b32 v11, v11 offset:128
	s_waitcnt lgkmcnt(0)
	v_add_f32_e32 v2, v2, v11
	s_or_b64 exec, exec, s[4:5]
	s_and_saveexec_b64 s[4:5], vcc
	s_cbranch_execz .LBB46_78
.LBB46_90:
	v_mov_b32_e32 v11, 0x110
	v_lshl_add_u32 v11, v10, 2, v11
	ds_read_b32 v11, v11 offset:160
	s_waitcnt lgkmcnt(0)
	v_add_f32_e32 v3, v3, v11
	s_or_b64 exec, exec, s[4:5]
	s_and_saveexec_b64 s[4:5], vcc
	s_cbranch_execz .LBB46_79
.LBB46_91:
	v_mov_b32_e32 v11, 0x110
	v_lshl_add_u32 v11, v10, 2, v11
	ds_read_b32 v11, v11 offset:192
	s_waitcnt lgkmcnt(0)
	v_add_f32_e32 v4, v4, v11
	s_or_b64 exec, exec, s[4:5]
	s_and_saveexec_b64 s[4:5], vcc
	s_cbranch_execnz .LBB46_80
	s_branch .LBB46_81
	.section	.rodata,"a",@progbits
	.p2align	6, 0x0
	.amdhsa_kernel _ZN4vllm25paged_attention_v2_kernelIffLi64ELi32ELi128ELNS_18Fp8KVCacheDataTypeE0ELb1ELi512EEEvPfS2_PT_PKS3_PKT0_S9_ifPKiSB_iPKfiiiSD_SD_iiiii
		.amdhsa_group_segment_fixed_size 272
		.amdhsa_private_segment_fixed_size 0
		.amdhsa_kernarg_size 400
		.amdhsa_user_sgpr_count 6
		.amdhsa_user_sgpr_private_segment_buffer 1
		.amdhsa_user_sgpr_dispatch_ptr 0
		.amdhsa_user_sgpr_queue_ptr 0
		.amdhsa_user_sgpr_kernarg_segment_ptr 1
		.amdhsa_user_sgpr_dispatch_id 0
		.amdhsa_user_sgpr_flat_scratch_init 0
		.amdhsa_user_sgpr_kernarg_preload_length 0
		.amdhsa_user_sgpr_kernarg_preload_offset 0
		.amdhsa_user_sgpr_private_segment_size 0
		.amdhsa_uses_dynamic_stack 0
		.amdhsa_system_sgpr_private_segment_wavefront_offset 0
		.amdhsa_system_sgpr_workgroup_id_x 1
		.amdhsa_system_sgpr_workgroup_id_y 1
		.amdhsa_system_sgpr_workgroup_id_z 1
		.amdhsa_system_sgpr_workgroup_info 0
		.amdhsa_system_vgpr_workitem_id 0
		.amdhsa_next_free_vgpr 89
		.amdhsa_next_free_sgpr 53
		.amdhsa_accum_offset 92
		.amdhsa_reserve_vcc 1
		.amdhsa_reserve_flat_scratch 0
		.amdhsa_float_round_mode_32 0
		.amdhsa_float_round_mode_16_64 0
		.amdhsa_float_denorm_mode_32 3
		.amdhsa_float_denorm_mode_16_64 3
		.amdhsa_dx10_clamp 1
		.amdhsa_ieee_mode 1
		.amdhsa_fp16_overflow 0
		.amdhsa_tg_split 0
		.amdhsa_exception_fp_ieee_invalid_op 0
		.amdhsa_exception_fp_denorm_src 0
		.amdhsa_exception_fp_ieee_div_zero 0
		.amdhsa_exception_fp_ieee_overflow 0
		.amdhsa_exception_fp_ieee_underflow 0
		.amdhsa_exception_fp_ieee_inexact 0
		.amdhsa_exception_int_div_zero 0
	.end_amdhsa_kernel
	.section	.text._ZN4vllm25paged_attention_v2_kernelIffLi64ELi32ELi128ELNS_18Fp8KVCacheDataTypeE0ELb1ELi512EEEvPfS2_PT_PKS3_PKT0_S9_ifPKiSB_iPKfiiiSD_SD_iiiii,"axG",@progbits,_ZN4vllm25paged_attention_v2_kernelIffLi64ELi32ELi128ELNS_18Fp8KVCacheDataTypeE0ELb1ELi512EEEvPfS2_PT_PKS3_PKT0_S9_ifPKiSB_iPKfiiiSD_SD_iiiii,comdat
.Lfunc_end46:
	.size	_ZN4vllm25paged_attention_v2_kernelIffLi64ELi32ELi128ELNS_18Fp8KVCacheDataTypeE0ELb1ELi512EEEvPfS2_PT_PKS3_PKT0_S9_ifPKiSB_iPKfiiiSD_SD_iiiii, .Lfunc_end46-_ZN4vllm25paged_attention_v2_kernelIffLi64ELi32ELi128ELNS_18Fp8KVCacheDataTypeE0ELb1ELi512EEEvPfS2_PT_PKS3_PKT0_S9_ifPKiSB_iPKfiiiSD_SD_iiiii
                                        ; -- End function
	.section	.AMDGPU.csdata,"",@progbits
; Kernel info:
; codeLenInByte = 6076
; NumSgprs: 57
; NumVgprs: 89
; NumAgprs: 0
; TotalNumVgprs: 89
; ScratchSize: 0
; MemoryBound: 0
; FloatMode: 240
; IeeeMode: 1
; LDSByteSize: 272 bytes/workgroup (compile time only)
; SGPRBlocks: 7
; VGPRBlocks: 11
; NumSGPRsForWavesPerEU: 57
; NumVGPRsForWavesPerEU: 89
; AccumOffset: 92
; Occupancy: 5
; WaveLimiterHint : 1
; COMPUTE_PGM_RSRC2:SCRATCH_EN: 0
; COMPUTE_PGM_RSRC2:USER_SGPR: 6
; COMPUTE_PGM_RSRC2:TRAP_HANDLER: 0
; COMPUTE_PGM_RSRC2:TGID_X_EN: 1
; COMPUTE_PGM_RSRC2:TGID_Y_EN: 1
; COMPUTE_PGM_RSRC2:TGID_Z_EN: 1
; COMPUTE_PGM_RSRC2:TIDIG_COMP_CNT: 0
; COMPUTE_PGM_RSRC3_GFX90A:ACCUM_OFFSET: 22
; COMPUTE_PGM_RSRC3_GFX90A:TG_SPLIT: 0
	.section	.text._ZN4vllm25paged_attention_v2_kernelIffLi80ELi32ELi128ELNS_18Fp8KVCacheDataTypeE0ELb1ELi512EEEvPfS2_PT_PKS3_PKT0_S9_ifPKiSB_iPKfiiiSD_SD_iiiii,"axG",@progbits,_ZN4vllm25paged_attention_v2_kernelIffLi80ELi32ELi128ELNS_18Fp8KVCacheDataTypeE0ELb1ELi512EEEvPfS2_PT_PKS3_PKT0_S9_ifPKiSB_iPKfiiiSD_SD_iiiii,comdat
	.protected	_ZN4vllm25paged_attention_v2_kernelIffLi80ELi32ELi128ELNS_18Fp8KVCacheDataTypeE0ELb1ELi512EEEvPfS2_PT_PKS3_PKT0_S9_ifPKiSB_iPKfiiiSD_SD_iiiii ; -- Begin function _ZN4vllm25paged_attention_v2_kernelIffLi80ELi32ELi128ELNS_18Fp8KVCacheDataTypeE0ELb1ELi512EEEvPfS2_PT_PKS3_PKT0_S9_ifPKiSB_iPKfiiiSD_SD_iiiii
	.globl	_ZN4vllm25paged_attention_v2_kernelIffLi80ELi32ELi128ELNS_18Fp8KVCacheDataTypeE0ELb1ELi512EEEvPfS2_PT_PKS3_PKT0_S9_ifPKiSB_iPKfiiiSD_SD_iiiii
	.p2align	8
	.type	_ZN4vllm25paged_attention_v2_kernelIffLi80ELi32ELi128ELNS_18Fp8KVCacheDataTypeE0ELb1ELi512EEEvPfS2_PT_PKS3_PKT0_S9_ifPKiSB_iPKfiiiSD_SD_iiiii,@function
_ZN4vllm25paged_attention_v2_kernelIffLi80ELi32ELi128ELNS_18Fp8KVCacheDataTypeE0ELb1ELi512EEEvPfS2_PT_PKS3_PKT0_S9_ifPKiSB_iPKfiiiSD_SD_iiiii: ; @_ZN4vllm25paged_attention_v2_kernelIffLi80ELi32ELi128ELNS_18Fp8KVCacheDataTypeE0ELb1ELi512EEEvPfS2_PT_PKS3_PKT0_S9_ifPKiSB_iPKfiiiSD_SD_iiiii
; %bb.0:
	s_load_dwordx2 s[0:1], s[4:5], 0x40
	s_mov_b32 s28, s7
	s_ashr_i32 s29, s7, 31
	s_lshl_b64 s[2:3], s[28:29], 2
	s_waitcnt lgkmcnt(0)
	s_add_u32 s0, s0, s2
	s_addc_u32 s1, s1, s3
	s_load_dword s29, s[0:1], 0x0
	s_lshl_b32 s48, s8, 9
	s_waitcnt lgkmcnt(0)
	s_cmp_ge_i32 s48, s29
	s_cbranch_scc1 .LBB47_92
; %bb.1:
	s_load_dword s9, s[4:5], 0x90
	s_load_dwordx2 s[38:39], s[4:5], 0x30
	s_mov_b32 s49, 0
	s_waitcnt lgkmcnt(0)
	s_abs_i32 s2, s9
	s_abs_i32 s0, s38
	v_cvt_f32_u32_e32 v1, s0
	s_sub_i32 s3, 0, s0
	s_xor_b32 s1, s9, s38
	s_ashr_i32 s1, s1, 31
	v_rcp_iflag_f32_e32 v1, v1
	v_mul_f32_e32 v1, 0x4f7ffffe, v1
	v_cvt_u32_f32_e32 v1, v1
	v_readfirstlane_b32 s7, v1
	s_mul_i32 s3, s3, s7
	s_mul_hi_u32 s3, s7, s3
	s_add_i32 s7, s7, s3
	s_mul_hi_u32 s3, s2, s7
	s_mul_i32 s7, s3, s0
	s_sub_i32 s2, s2, s7
	s_add_i32 s10, s3, 1
	s_sub_i32 s7, s2, s0
	s_cmp_ge_u32 s2, s0
	s_cselect_b32 s3, s10, s3
	s_cselect_b32 s2, s7, s2
	s_add_i32 s7, s3, 1
	s_cmp_ge_u32 s2, s0
	s_cselect_b32 s0, s7, s3
	s_xor_b32 s0, s0, s1
	s_sub_i32 s11, s0, s1
	s_abs_i32 s2, s11
	v_cvt_f32_u32_e32 v1, s2
	s_load_dwordx2 s[0:1], s[4:5], 0x50
	s_sub_i32 s7, 0, s2
	s_abs_i32 s3, s6
	v_rcp_iflag_f32_e32 v1, v1
	v_mul_f32_e32 v1, 0x4f7ffffe, v1
	v_cvt_u32_f32_e32 v1, v1
	v_readfirstlane_b32 s10, v1
	s_mul_i32 s7, s7, s10
	s_mul_hi_u32 s7, s10, s7
	s_add_i32 s10, s10, s7
	s_waitcnt lgkmcnt(0)
	s_cmp_eq_u64 s[0:1], 0
	s_mul_hi_u32 s10, s3, s10
	s_cbranch_scc1 .LBB47_3
; %bb.2:
	s_ashr_i32 s7, s6, 31
	s_lshl_b64 s[12:13], s[6:7], 2
	s_add_u32 s0, s0, s12
	s_addc_u32 s1, s1, s13
	s_load_dword s49, s[0:1], 0x0
.LBB47_3:
	s_load_dwordx4 s[12:15], s[4:5], 0x58
	s_ashr_i32 s7, s6, 31
	s_ashr_i32 s11, s11, 31
	v_and_b32_e32 v2, 1, v0
	s_mul_i32 s24, s6, 0x50
	v_cmp_gt_u32_e32 vcc, 40, v0
	v_lshlrev_b32_e32 v3, 3, v0
	v_lshlrev_b32_e32 v4, 2, v0
	s_and_saveexec_b64 s[0:1], vcc
	s_cbranch_execz .LBB47_5
; %bb.4:
	s_load_dwordx2 s[16:17], s[4:5], 0x18
	s_waitcnt lgkmcnt(0)
	s_mul_i32 s18, s28, s12
	s_ashr_i32 s19, s18, 31
	s_lshl_b64 s[18:19], s[18:19], 2
	v_and_b32_e32 v1, 0xff8, v4
	s_add_u32 s12, s16, s18
	s_addc_u32 s15, s17, s19
	s_ashr_i32 s25, s24, 31
	s_lshl_b64 s[16:17], s[24:25], 2
	s_add_u32 s16, s12, s16
	s_addc_u32 s17, s15, s17
	global_load_dwordx2 v[6:7], v3, s[16:17]
	s_movk_i32 s12, 0xa0
	v_mad_u32_u24 v1, v2, s12, v1
	s_waitcnt vmcnt(0)
	ds_write_b64 v1, v[6:7]
.LBB47_5:
	s_or_b64 exec, exec, s[0:1]
	s_mul_i32 s1, s10, s2
	s_sub_i32 s1, s3, s1
	s_xor_b32 s0, s7, s11
	s_add_i32 s3, s10, 1
	s_sub_i32 s7, s1, s2
	s_load_dwordx4 s[16:19], s[4:5], 0x78
	s_cmp_ge_u32 s1, s2
	s_cselect_b32 s3, s3, s10
	s_load_dword s10, s[4:5], 0x88
	s_cselect_b32 s1, s7, s1
	s_add_i32 s7, s3, 1
	s_cmp_ge_u32 s1, s2
	s_cselect_b32 s1, s7, s3
	s_waitcnt lgkmcnt(0)
	s_abs_i32 s25, s19
	v_cvt_f32_u32_e32 v1, s25
	s_xor_b32 s1, s1, s0
	s_sub_i32 s2, s1, s0
	s_sub_i32 s0, 0, s25
	v_rcp_iflag_f32_e32 v1, v1
	s_add_i32 s11, s29, -1
	s_abs_i32 s3, s11
	v_mul_f32_e32 v1, 0x4f7ffffe, v1
	v_cvt_u32_f32_e32 v1, v1
	s_barrier
	v_readfirstlane_b32 s33, v1
	s_mul_i32 s0, s0, s33
	s_mul_hi_u32 s0, s33, s0
	s_add_i32 s33, s33, s0
	s_cmp_lt_i32 s10, 0
	s_mul_hi_u32 s7, s3, s33
	s_cbranch_scc0 .LBB47_7
; %bb.6:
	s_mul_i32 s0, s16, s38
	s_add_i32 s0, s2, s0
	s_mul_i32 s0, s0, s10
	s_sub_i32 s46, 1, s0
	s_mov_b64 s[0:1], 0
	s_branch .LBB47_8
.LBB47_7:
	s_mov_b64 s[0:1], -1
                                        ; implicit-def: $sgpr46
.LBB47_8:
	s_load_dwordx2 s[30:31], s[4:5], 0x38
	s_ashr_i32 s11, s11, 31
	s_andn2_b64 vcc, exec, s[0:1]
	s_ashr_i32 s19, s19, 31
	s_cbranch_vccnz .LBB47_10
; %bb.9:
	s_mul_i32 s0, s9, s16
	s_add_i32 s0, s0, s6
	s_mul_i32 s0, s0, s10
	s_add_i32 s46, s0, 1
.LBB47_10:
	s_load_dword s0, s[4:5], 0x48
	s_load_dwordx2 s[36:37], s[4:5], 0x28
	s_load_dword s16, s[4:5], 0x98
	s_load_dwordx4 s[20:23], s[4:5], 0x0
	s_load_dwordx2 s[26:27], s[4:5], 0x10
	s_mul_i32 s1, s7, s25
	s_waitcnt lgkmcnt(0)
	s_mul_i32 s34, s28, s0
	s_sub_i32 s1, s3, s1
	s_ashr_i32 s35, s34, 31
	s_xor_b32 s0, s11, s19
	s_add_i32 s3, s7, 1
	s_sub_i32 s10, s1, s25
	s_cmp_ge_u32 s1, s25
	s_cselect_b32 s3, s3, s7
	s_cselect_b32 s1, s10, s1
	s_add_i32 s7, s3, 1
	s_cmp_ge_u32 s1, s25
	s_cselect_b32 s1, s7, s3
	s_xor_b32 s1, s1, s0
	s_sub_i32 s12, s1, s0
	s_add_i32 s0, s29, 31
	s_ashr_i32 s1, s0, 31
	s_lshr_b32 s1, s1, 27
	s_add_i32 s0, s0, s1
	s_lshl_b32 s38, s8, 4
	s_ashr_i32 s7, s0, 5
	s_add_i32 s0, s38, 16
	v_lshrrev_b32_e32 v5, 6, v0
	s_min_i32 s47, s0, s7
	v_or_b32_e32 v46, s38, v5
	v_cmp_gt_i32_e64 s[0:1], s47, v46
	v_mov_b32_e32 v11, 0xff7fffff
	s_mul_i32 s14, s2, s14
	v_ashrrev_i32_e32 v47, 31, v46
	v_lshl_add_u32 v1, v5, 5, s48
	v_mbcnt_lo_u32_b32 v6, -1, 0
	s_and_saveexec_b64 s[40:41], s[0:1]
	s_cbranch_execz .LBB47_20
; %bb.11:
	s_load_dwordx2 s[2:3], s[4:5], 0x20
	s_ashr_i32 s15, s14, 31
	s_sub_i32 s50, s12, s17
	s_lshl_b64 s[4:5], s[14:15], 2
	v_bfe_u32 v7, v0, 1, 5
	s_waitcnt lgkmcnt(0)
	s_add_u32 s2, s2, s4
	s_addc_u32 s3, s3, s5
	s_abs_i32 s15, s18
	v_cvt_f32_u32_e32 v10, s15
	v_lshlrev_b32_e32 v8, 4, v7
	v_mov_b32_e32 v9, s3
	v_add_co_u32_e64 v8, s[2:3], s2, v8
	v_rcp_iflag_f32_e32 v10, v10
	v_addc_co_u32_e64 v9, s[2:3], 0, v9, s[2:3]
	v_and_b32_e32 v3, 8, v3
	v_add_co_u32_e64 v8, s[2:3], v8, v3
	v_mul_f32_e32 v3, 0x4f7ffffe, v10
	v_cvt_u32_f32_e32 v3, v3
	s_sub_i32 s4, 0, s15
	v_cmp_eq_u32_e32 vcc, 0, v2
	v_lshlrev_b32_e32 v11, 2, v7
	v_mul_u32_u24_e32 v10, 0xa0, v2
	v_mul_lo_u32 v2, s4, v3
	s_lshl_b64 s[4:5], s[34:35], 2
	v_mul_hi_u32 v2, v3, v2
	s_add_u32 s4, s30, s4
	v_lshl_or_b32 v11, v5, 7, v11
	v_add_u32_e32 v12, v3, v2
	v_lshlrev_b64 v[2:3], 2, v[46:47]
	s_addc_u32 s5, s31, s5
	v_add_u32_e32 v14, 0x150, v11
	v_subrev_u32_e32 v11, s29, v7
	v_mbcnt_hi_u32_b32 v17, -1, v6
	v_addc_co_u32_e64 v9, s[2:3], 0, v9, s[2:3]
	v_mov_b32_e32 v13, s5
	v_add_co_u32_e64 v2, s[4:5], s4, v2
	v_add_u32_e32 v15, 1, v11
	v_and_b32_e32 v11, 64, v17
	s_mov_b32 s51, s13
	v_cmp_neq_f32_e64 s[2:3], s49, 0
	v_addc_co_u32_e64 v3, s[4:5], v13, v3, s[4:5]
	v_lshl_add_u32 v13, v5, 5, s48
	s_mov_b64 s[42:43], 0
	v_mov_b32_e32 v16, 0xff7fffff
	s_movk_i32 s52, 0x1000
	s_movk_i32 s53, 0x2000
	v_xor_b32_e32 v18, 1, v17
	v_add_u32_e32 v19, 64, v11
	v_mov_b32_e32 v11, 0xff7fffff
	v_mov_b32_e32 v20, v46
	s_branch .LBB47_14
.LBB47_12:                              ;   in Loop: Header=BB47_14 Depth=1
	s_or_b64 exec, exec, s[44:45]
.LBB47_13:                              ;   in Loop: Header=BB47_14 Depth=1
	s_or_b64 exec, exec, s[10:11]
	v_add_co_u32_e64 v2, s[4:5], 8, v2
	v_add_u32_e32 v20, 2, v20
	v_addc_co_u32_e64 v3, s[4:5], 0, v3, s[4:5]
	v_cmp_le_i32_e64 s[4:5], s47, v20
	v_add_u32_e32 v13, 64, v13
	s_or_b64 s[42:43], s[4:5], s[42:43]
	v_add_u32_e32 v14, 0x100, v14
	s_andn2_b64 exec, exec, s[42:43]
	s_cbranch_execz .LBB47_19
.LBB47_14:                              ; =>This Inner Loop Header: Depth=1
	s_waitcnt lgkmcnt(0)
	v_sub_u32_e32 v22, 0, v13
	v_max_i32_e32 v22, v13, v22
	v_mul_hi_u32 v23, v22, s33
	v_mul_lo_u32 v24, v23, s25
	v_sub_u32_e32 v22, v22, v24
	v_add_u32_e32 v24, 1, v23
	v_cmp_le_u32_e64 s[4:5], s25, v22
	v_cndmask_b32_e64 v23, v23, v24, s[4:5]
	v_subrev_u32_e32 v24, s25, v22
	v_cndmask_b32_e64 v22, v22, v24, s[4:5]
	v_ashrrev_i32_e32 v21, 31, v13
	v_add_u32_e32 v24, 1, v23
	v_cmp_le_u32_e64 s[4:5], s25, v22
	v_xor_b32_e32 v21, s19, v21
	v_cndmask_b32_e64 v22, v23, v24, s[4:5]
	v_xor_b32_e32 v22, v22, v21
	v_sub_u32_e32 v21, v22, v21
	v_add_u32_e32 v22, s46, v21
	v_sub_u32_e32 v24, 0, v22
	v_ashrrev_i32_e32 v23, 31, v22
	v_max_i32_e32 v22, v22, v24
	v_mul_hi_u32 v24, v22, v12
	v_mul_lo_u32 v24, v24, s15
	v_sub_u32_e32 v22, v22, v24
	v_subrev_u32_e32 v24, s15, v22
	v_cmp_le_u32_e64 s[4:5], s15, v22
	v_cndmask_b32_e64 v22, v22, v24, s[4:5]
	v_subrev_u32_e32 v24, s15, v22
	v_cmp_le_u32_e64 s[4:5], s15, v22
	v_cndmask_b32_e64 v22, v22, v24, s[4:5]
	v_xor_b32_e32 v22, v22, v23
	v_sub_u32_e32 v22, v22, v23
	v_cmp_ne_u32_e64 s[4:5], 0, v22
	v_cmp_ge_i32_e64 s[10:11], s50, v21
	s_and_b64 s[4:5], s[4:5], s[10:11]
	s_and_b64 s[44:45], vcc, s[4:5]
	s_and_saveexec_b64 s[10:11], s[44:45]
	s_cbranch_execz .LBB47_16
; %bb.15:                               ;   in Loop: Header=BB47_14 Depth=1
	ds_write_b32 v14, v16
.LBB47_16:                              ;   in Loop: Header=BB47_14 Depth=1
	s_or_b64 exec, exec, s[10:11]
	s_xor_b64 s[4:5], s[4:5], -1
	s_and_saveexec_b64 s[10:11], s[4:5]
	s_cbranch_execz .LBB47_13
; %bb.17:                               ;   in Loop: Header=BB47_14 Depth=1
	global_load_dword v21, v[2:3], off
	s_waitcnt vmcnt(0)
	v_mad_i64_i32 v[22:23], s[4:5], v21, s51, 0
	v_lshlrev_b64 v[22:23], 2, v[22:23]
	v_add_co_u32_e64 v22, s[4:5], v8, v22
	v_addc_co_u32_e64 v23, s[4:5], v9, v23, s[4:5]
	global_load_dwordx2 v[48:49], v[22:23], off offset:512
	global_load_dwordx2 v[52:53], v[22:23], off offset:1024
	;; [unrolled: 1-line block ×3, first 2 shown]
	global_load_dwordx2 v[50:51], v[22:23], off
	global_load_dwordx2 v[56:57], v[22:23], off offset:2048
	global_load_dwordx2 v[58:59], v[22:23], off offset:2560
	;; [unrolled: 1-line block ×4, first 2 shown]
	v_add_co_u32_e64 v24, s[4:5], s53, v22
	v_addc_co_u32_e64 v25, s[4:5], 0, v23, s[4:5]
	global_load_dwordx2 v[64:65], v[24:25], off offset:-4096
	v_add_co_u32_e64 v22, s[4:5], s52, v22
	v_addc_co_u32_e64 v23, s[4:5], 0, v23, s[4:5]
	global_load_dwordx2 v[66:67], v[22:23], off offset:512
	global_load_dwordx2 v[68:69], v[22:23], off offset:1024
	;; [unrolled: 1-line block ×7, first 2 shown]
	global_load_dwordx2 v[80:81], v[24:25], off
	global_load_dwordx2 v[82:83], v[24:25], off offset:512
	global_load_dwordx2 v[84:85], v[24:25], off offset:1024
	;; [unrolled: 1-line block ×3, first 2 shown]
	ds_read_b128 v[22:25], v10
	ds_read_b128 v[26:29], v10 offset:16
	ds_read_b128 v[30:33], v10 offset:32
	;; [unrolled: 1-line block ×5, first 2 shown]
	v_cmp_lt_i32_e64 s[4:5], v18, v19
	v_cndmask_b32_e64 v89, v17, v18, s[4:5]
	v_lshlrev_b32_e32 v89, 2, v89
	s_waitcnt vmcnt(19) lgkmcnt(5)
	v_mul_f32_e32 v21, v24, v48
	v_mul_f32_e32 v88, v25, v49
	s_waitcnt vmcnt(16)
	v_fmac_f32_e32 v21, v22, v50
	v_fmac_f32_e32 v88, v23, v51
	s_waitcnt lgkmcnt(4)
	v_fmac_f32_e32 v21, v26, v52
	v_fmac_f32_e32 v88, v27, v53
	;; [unrolled: 1-line block ×4, first 2 shown]
	s_waitcnt vmcnt(15) lgkmcnt(3)
	v_fmac_f32_e32 v21, v30, v56
	v_fmac_f32_e32 v88, v31, v57
	s_waitcnt vmcnt(14)
	v_fmac_f32_e32 v21, v32, v58
	v_fmac_f32_e32 v88, v33, v59
	s_waitcnt vmcnt(13) lgkmcnt(2)
	v_fmac_f32_e32 v21, v34, v60
	v_fmac_f32_e32 v88, v35, v61
	s_waitcnt vmcnt(12)
	v_fmac_f32_e32 v21, v36, v62
	v_fmac_f32_e32 v88, v37, v63
	ds_read_b128 v[22:25], v10 offset:96
	ds_read_b128 v[48:51], v10 offset:112
	s_waitcnt vmcnt(11) lgkmcnt(3)
	v_fmac_f32_e32 v21, v38, v64
	v_fmac_f32_e32 v88, v39, v65
	s_waitcnt vmcnt(10)
	v_fmac_f32_e32 v21, v40, v66
	v_fmac_f32_e32 v88, v41, v67
	s_waitcnt vmcnt(9) lgkmcnt(2)
	v_fmac_f32_e32 v21, v42, v68
	v_fmac_f32_e32 v88, v43, v69
	s_waitcnt vmcnt(8)
	v_fmac_f32_e32 v21, v44, v70
	v_fmac_f32_e32 v88, v45, v71
	ds_read_b128 v[26:29], v10 offset:128
	ds_read_b128 v[52:55], v10 offset:144
	s_waitcnt vmcnt(7) lgkmcnt(3)
	v_fmac_f32_e32 v21, v22, v72
	v_fmac_f32_e32 v88, v23, v73
	s_waitcnt vmcnt(6)
	v_fmac_f32_e32 v21, v24, v74
	v_fmac_f32_e32 v88, v25, v75
	s_waitcnt vmcnt(5) lgkmcnt(2)
	v_fmac_f32_e32 v21, v48, v76
	v_fmac_f32_e32 v88, v49, v77
	s_waitcnt vmcnt(4)
	v_fmac_f32_e32 v21, v50, v78
	v_fmac_f32_e32 v88, v51, v79
	;; [unrolled: 6-line block ×4, first 2 shown]
	v_add_f32_e32 v21, v21, v88
	ds_bpermute_b32 v22, v89, v21
	s_and_saveexec_b64 s[44:45], vcc
	s_cbranch_execz .LBB47_12
; %bb.18:                               ;   in Loop: Header=BB47_14 Depth=1
	v_add_u32_e32 v23, v15, v13
	v_cvt_f32_i32_e32 v23, v23
	s_waitcnt lgkmcnt(0)
	v_add_f32_e32 v21, v21, v22
	v_add_u32_e32 v24, v7, v13
	v_cmp_gt_i32_e64 s[4:5], s29, v24
	v_mul_f32_e32 v22, s49, v23
	v_cndmask_b32_e64 v22, 0, v22, s[2:3]
	v_fmac_f32_e32 v22, s39, v21
	v_cndmask_b32_e64 v21, 0, v22, s[4:5]
	ds_write_b32 v14, v21
	v_max_f32_e32 v21, v11, v11
	v_max_f32_e32 v21, v21, v22
	v_cndmask_b32_e64 v11, v11, v21, s[4:5]
	s_branch .LBB47_12
.LBB47_19:
	s_or_b64 exec, exec, s[42:43]
.LBB47_20:
	s_or_b64 exec, exec, s[40:41]
	v_mbcnt_hi_u32_b32 v6, -1, v6
	v_and_b32_e32 v2, 64, v6
	v_add_u32_e32 v10, 64, v2
	v_xor_b32_e32 v2, 32, v6
	v_cmp_lt_i32_e32 vcc, v2, v10
	v_cndmask_b32_e32 v2, v6, v2, vcc
	v_lshlrev_b32_e32 v2, 2, v2
	ds_bpermute_b32 v3, v2, v11
	v_xor_b32_e32 v8, 16, v6
	v_max_f32_e32 v7, v11, v11
	v_cmp_lt_i32_e32 vcc, v8, v10
	v_xor_b32_e32 v9, 8, v6
	s_waitcnt lgkmcnt(0)
	v_max_f32_e32 v3, v3, v3
	v_max_f32_e32 v7, v7, v3
	v_cndmask_b32_e32 v3, v6, v8, vcc
	v_lshlrev_b32_e32 v3, 2, v3
	ds_bpermute_b32 v8, v3, v7
	v_cmp_lt_i32_e32 vcc, v9, v10
	v_xor_b32_e32 v11, 4, v6
	v_and_b32_e32 v60, 63, v0
	s_waitcnt lgkmcnt(0)
	v_max_f32_e32 v8, v8, v8
	v_max_f32_e32 v8, v7, v8
	v_cndmask_b32_e32 v7, v6, v9, vcc
	v_lshlrev_b32_e32 v7, 2, v7
	ds_bpermute_b32 v9, v7, v8
	v_cmp_lt_i32_e32 vcc, v11, v10
	s_waitcnt lgkmcnt(0)
	v_max_f32_e32 v9, v9, v9
	v_max_f32_e32 v8, v8, v9
	v_cndmask_b32_e32 v9, v6, v11, vcc
	v_lshlrev_b32_e32 v61, 2, v9
	ds_bpermute_b32 v9, v61, v8
	v_xor_b32_e32 v11, 2, v6
	v_cmp_lt_i32_e32 vcc, v11, v10
	s_waitcnt lgkmcnt(0)
	v_max_f32_e32 v9, v9, v9
	v_max_f32_e32 v9, v8, v9
	v_cndmask_b32_e32 v8, v6, v11, vcc
	v_lshlrev_b32_e32 v62, 2, v8
	ds_bpermute_b32 v11, v62, v9
	v_cmp_eq_u32_e32 vcc, 0, v60
	v_lshlrev_b32_e32 v8, 2, v5
	s_and_saveexec_b64 s[2:3], vcc
	s_cbranch_execz .LBB47_22
; %bb.21:
	s_waitcnt lgkmcnt(0)
	v_max_f32_e32 v11, v11, v11
	v_max_f32_e32 v9, v9, v9
	;; [unrolled: 1-line block ×3, first 2 shown]
	ds_write_b32 v8, v9 offset:320
.LBB47_22:
	s_or_b64 exec, exec, s[2:3]
	v_cmp_gt_u32_e64 s[2:3], 2, v60
	s_waitcnt lgkmcnt(0)
	v_mov_b32_e32 v11, 0xff7fffff
	v_lshlrev_b32_e32 v9, 2, v60
	s_barrier
	s_and_saveexec_b64 s[4:5], s[2:3]
	s_cbranch_execz .LBB47_24
; %bb.23:
	ds_read_b32 v11, v9 offset:320
.LBB47_24:
	s_or_b64 exec, exec, s[4:5]
	v_xor_b32_e32 v12, 1, v6
	v_cmp_lt_i32_e64 s[4:5], v12, v10
	v_cndmask_b32_e64 v10, v6, v12, s[4:5]
	v_lshlrev_b32_e32 v63, 2, v10
	s_waitcnt lgkmcnt(0)
	ds_bpermute_b32 v10, v63, v11
	v_max_f32_e32 v11, v11, v11
	v_lshlrev_b32_e32 v6, 2, v6
	s_sub_i32 s4, s47, s38
	s_lshl_b32 s4, s4, 5
	s_waitcnt lgkmcnt(0)
	v_max_f32_e32 v10, v10, v10
	v_max_f32_e32 v11, v11, v10
	v_and_b32_e32 v10, 0x100, v6
	ds_bpermute_b32 v6, v10, v11
	s_add_i32 s4, s4, s48
	s_min_i32 s42, s4, s29
	s_sub_i32 s15, s42, s48
	v_cmp_gt_i32_e64 s[4:5], s15, v0
	v_mov_b32_e32 v11, 0
	s_and_saveexec_b64 s[38:39], s[4:5]
	s_cbranch_execz .LBB47_28
; %bb.25:
	v_mov_b32_e32 v11, 0x150
	v_lshl_add_u32 v12, v0, 2, v11
	s_mov_b64 s[40:41], 0
	v_mov_b32_e32 v11, 0
	v_mov_b32_e32 v13, v0
.LBB47_26:                              ; =>This Inner Loop Header: Depth=1
	ds_read_b32 v14, v12
	v_add_u32_e32 v13, 0x80, v13
	v_cmp_le_i32_e64 s[10:11], s15, v13
	s_or_b64 s[40:41], s[10:11], s[40:41]
	s_waitcnt lgkmcnt(0)
	v_sub_f32_e32 v14, v14, v6
	v_mul_f32_e32 v14, 0x3fb8aa3b, v14
	v_exp_f32_e32 v14, v14
	ds_write_b32 v12, v14
	v_add_f32_e32 v11, v11, v14
	v_add_u32_e32 v12, 0x200, v12
	s_andn2_b64 exec, exec, s[40:41]
	s_cbranch_execnz .LBB47_26
; %bb.27:
	s_or_b64 exec, exec, s[40:41]
.LBB47_28:
	s_or_b64 exec, exec, s[38:39]
	ds_bpermute_b32 v2, v2, v11
	s_waitcnt lgkmcnt(0)
	v_add_f32_e32 v2, v11, v2
	ds_bpermute_b32 v3, v3, v2
	s_waitcnt lgkmcnt(0)
	v_add_f32_e32 v2, v2, v3
	;; [unrolled: 3-line block ×6, first 2 shown]
	s_and_saveexec_b64 s[10:11], vcc
	s_cbranch_execz .LBB47_30
; %bb.29:
	ds_write_b32 v8, v2 offset:328
.LBB47_30:
	s_or_b64 exec, exec, s[10:11]
	s_waitcnt lgkmcnt(0)
	s_barrier
	s_and_saveexec_b64 s[10:11], s[2:3]
	s_cbranch_execz .LBB47_32
; %bb.31:
	ds_read_b32 v2, v9 offset:328
.LBB47_32:
	s_or_b64 exec, exec, s[10:11]
	s_waitcnt lgkmcnt(0)
	ds_bpermute_b32 v3, v63, v2
	s_waitcnt lgkmcnt(0)
	v_add_f32_e32 v2, v2, v3
	ds_bpermute_b32 v7, v10, v2
	s_and_saveexec_b64 s[2:3], s[4:5]
	s_cbranch_execz .LBB47_45
; %bb.33:
	s_waitcnt lgkmcnt(0)
	v_add_f32_e32 v2, 0x358637bd, v7
	v_div_scale_f32 v3, s[4:5], v2, v2, 1.0
	v_rcp_f32_e32 v8, v3
	v_div_scale_f32 v9, vcc, 1.0, v2, 1.0
	s_movk_i32 s4, 0x7f
	v_fma_f32 v10, -v3, v8, 1.0
	v_fmac_f32_e32 v8, v10, v8
	v_mul_f32_e32 v10, v9, v8
	v_fma_f32 v11, -v3, v10, v9
	v_fmac_f32_e32 v10, v11, v8
	v_fma_f32 v3, -v3, v10, v9
	v_div_fmas_f32 v3, v3, v8, v10
	v_div_fixup_f32 v2, v3, v2, 1.0
	v_xad_u32 v3, v0, -1, s42
	v_subrev_u32_e32 v8, s48, v3
	v_cmp_lt_u32_e32 vcc, s4, v8
	s_mov_b64 s[10:11], -1
	v_mov_b32_e32 v3, v0
	s_and_saveexec_b64 s[4:5], vcc
	s_cbranch_execz .LBB47_42
; %bb.34:
	v_lshrrev_b32_e32 v8, 7, v8
	v_add_u32_e32 v10, -1, v8
	v_lshrrev_b32_e32 v9, 1, v10
	v_mov_b32_e32 v3, v2
	v_add_u32_e32 v9, 1, v9
	v_cmp_lt_u32_e32 vcc, 13, v10
	v_mov_b32_e32 v12, 0
	s_and_saveexec_b64 s[10:11], vcc
	s_cbranch_execz .LBB47_38
; %bb.35:
	v_mov_b32_e32 v11, 0x150
	v_and_b32_e32 v10, -8, v9
	v_lshl_add_u32 v11, v0, 2, v11
	s_mov_b32 s40, 0
	s_mov_b64 s[38:39], 0
.LBB47_36:                              ; =>This Inner Loop Header: Depth=1
	ds_read2st64_b32 v[12:13], v11 offset1:2
	ds_read2st64_b32 v[14:15], v11 offset0:4 offset1:6
	ds_read2st64_b32 v[16:17], v11 offset0:8 offset1:10
	;; [unrolled: 1-line block ×3, first 2 shown]
	v_add_u32_e32 v10, -8, v10
	s_waitcnt lgkmcnt(3)
	v_pk_mul_f32 v[12:13], v[2:3], v[12:13]
	s_waitcnt lgkmcnt(2)
	v_pk_mul_f32 v[14:15], v[2:3], v[14:15]
	ds_write2st64_b32 v11, v12, v13 offset1:2
	ds_write2st64_b32 v11, v14, v15 offset0:4 offset1:6
	ds_read2st64_b32 v[14:15], v11 offset0:16 offset1:18
	s_waitcnt lgkmcnt(4)
	v_pk_mul_f32 v[12:13], v[2:3], v[16:17]
	ds_write2st64_b32 v11, v12, v13 offset0:8 offset1:10
	s_waitcnt lgkmcnt(4)
	v_pk_mul_f32 v[12:13], v[2:3], v[18:19]
	ds_write2st64_b32 v11, v12, v13 offset0:12 offset1:14
	ds_read2st64_b32 v[12:13], v11 offset0:20 offset1:22
	s_waitcnt lgkmcnt(3)
	v_pk_mul_f32 v[14:15], v[2:3], v[14:15]
	ds_read2st64_b32 v[16:17], v11 offset0:24 offset1:26
	ds_write2st64_b32 v11, v14, v15 offset0:16 offset1:18
	ds_read2st64_b32 v[14:15], v11 offset0:28 offset1:30
	s_waitcnt lgkmcnt(3)
	v_pk_mul_f32 v[12:13], v[2:3], v[12:13]
	ds_write2st64_b32 v11, v12, v13 offset0:20 offset1:22
	s_waitcnt lgkmcnt(3)
	v_pk_mul_f32 v[12:13], v[2:3], v[16:17]
	ds_write2st64_b32 v11, v12, v13 offset0:24 offset1:26
	s_waitcnt lgkmcnt(2)
	v_pk_mul_f32 v[12:13], v[2:3], v[14:15]
	s_add_i32 s40, s40, 16
	v_cmp_eq_u32_e32 vcc, 0, v10
	ds_write2st64_b32 v11, v12, v13 offset0:28 offset1:30
	v_add_u32_e32 v11, 0x2000, v11
	s_or_b64 s[38:39], vcc, s[38:39]
	v_mov_b32_e32 v12, s40
	s_andn2_b64 exec, exec, s[38:39]
	s_cbranch_execnz .LBB47_36
; %bb.37:
	s_or_b64 exec, exec, s[38:39]
.LBB47_38:
	s_or_b64 exec, exec, s[10:11]
	v_and_b32_e32 v9, 7, v9
	v_cmp_ne_u32_e32 vcc, 0, v9
	s_and_saveexec_b64 s[10:11], vcc
	s_cbranch_execz .LBB47_41
; %bb.39:
	v_lshlrev_b32_e32 v10, 9, v12
	s_movk_i32 s38, 0x150
	v_add3_u32 v10, v10, v4, s38
	s_mov_b64 s[38:39], 0
.LBB47_40:                              ; =>This Inner Loop Header: Depth=1
	ds_read2st64_b32 v[12:13], v10 offset1:2
	v_add_u32_e32 v9, -1, v9
	v_cmp_eq_u32_e32 vcc, 0, v9
	s_or_b64 s[38:39], vcc, s[38:39]
	s_waitcnt lgkmcnt(0)
	v_pk_mul_f32 v[12:13], v[2:3], v[12:13]
	ds_write2st64_b32 v10, v12, v13 offset1:2
	v_add_u32_e32 v10, 0x400, v10
	s_andn2_b64 exec, exec, s[38:39]
	s_cbranch_execnz .LBB47_40
.LBB47_41:
	s_or_b64 exec, exec, s[10:11]
	v_add_u32_e32 v8, 1, v8
	v_and_b32_e32 v9, 0x3fffffe, v8
	v_cmp_ne_u32_e32 vcc, v8, v9
	v_lshl_add_u32 v3, v9, 7, v0
	s_orn2_b64 s[10:11], vcc, exec
.LBB47_42:
	s_or_b64 exec, exec, s[4:5]
	s_and_b64 exec, exec, s[10:11]
	s_cbranch_execz .LBB47_45
; %bb.43:
	v_mov_b32_e32 v8, 0x150
	v_lshl_add_u32 v8, v3, 2, v8
	s_mov_b64 s[4:5], 0
.LBB47_44:                              ; =>This Inner Loop Header: Depth=1
	ds_read_b32 v9, v8
	v_add_u32_e32 v3, 0x80, v3
	v_cmp_le_i32_e32 vcc, s15, v3
	s_or_b64 s[4:5], vcc, s[4:5]
	s_waitcnt lgkmcnt(0)
	v_mul_f32_e32 v9, v2, v9
	ds_write_b32 v8, v9
	v_add_u32_e32 v8, 0x200, v8
	s_andn2_b64 exec, exec, s[4:5]
	s_cbranch_execnz .LBB47_44
.LBB47_45:
	s_or_b64 exec, exec, s[2:3]
	s_mul_i32 s2, s16, s28
	v_cmp_eq_u32_e32 vcc, 0, v0
	s_mul_i32 s2, s2, s9
	s_waitcnt lgkmcnt(0)
	s_barrier
	s_and_saveexec_b64 s[4:5], vcc
	s_cbranch_execz .LBB47_47
; %bb.46:
	s_ashr_i32 s3, s2, 31
	s_lshl_b64 s[10:11], s[2:3], 2
	s_add_u32 s3, s22, s10
	s_mul_i32 s22, s16, s6
	s_addc_u32 s9, s23, s11
	s_ashr_i32 s23, s22, 31
	s_lshl_b64 s[22:23], s[22:23], 2
	s_add_u32 s3, s3, s22
	s_addc_u32 s6, s9, s23
	s_ashr_i32 s9, s8, 31
	s_lshl_b64 s[38:39], s[8:9], 2
	s_add_u32 s40, s3, s38
	s_addc_u32 s41, s6, s39
	s_add_u32 s3, s20, s10
	s_addc_u32 s6, s21, s11
	;; [unrolled: 2-line block ×3, first 2 shown]
	s_add_u32 s10, s3, s38
	v_mov_b32_e32 v2, 0
	s_addc_u32 s11, s6, s39
	global_store_dword v2, v6, s[40:41]
	global_store_dword v2, v7, s[10:11]
.LBB47_47:
	s_or_b64 exec, exec, s[4:5]
	v_mov_b32_e32 v49, 0
	v_and_b32_e32 v64, 7, v0
	v_mov_b32_e32 v48, 0
	v_mov_b32_e32 v51, 0
	;; [unrolled: 1-line block ×9, first 2 shown]
	s_and_saveexec_b64 s[4:5], s[0:1]
	s_cbranch_execz .LBB47_73
; %bb.48:
	s_ashr_i32 s15, s14, 31
	s_sub_i32 s3, s12, s17
	s_lshl_b64 s[0:1], s[14:15], 2
	s_add_u32 s14, s36, s0
	s_addc_u32 s15, s37, s1
	s_abs_i32 s18, s18
	v_cvt_f32_u32_e32 v3, s18
	s_sub_i32 s0, 0, s18
	s_add_i32 s17, s7, -1
	v_lshlrev_b64 v[16:17], 2, v[46:47]
	v_rcp_iflag_f32_e32 v3, v3
	v_and_b32_e32 v2, 0xfc, v4
	v_and_b32_e32 v65, 28, v4
	v_mov_b32_e32 v49, 0
	v_mul_f32_e32 v3, 0x4f7ffffe, v3
	v_cvt_u32_f32_e32 v3, v3
	v_or_b32_e32 v4, 0x400, v2
	v_or_b32_e32 v6, 0x500, v2
	v_or_b32_e32 v8, 0x600, v2
	v_mul_lo_u32 v7, s0, v3
	s_lshl_b64 s[0:1], s[34:35], 2
	s_add_u32 s0, s30, s0
	v_mul_hi_u32 v7, v3, v7
	s_addc_u32 s1, s31, s1
	v_add_u32_e32 v66, v3, v7
	v_mov_b32_e32 v3, s1
	v_add_co_u32_e32 v58, vcc, s0, v16
	v_addc_co_u32_e32 v59, vcc, v3, v17, vcc
	v_lshlrev_b32_e32 v3, 4, v64
	v_or_b32_e32 v10, 0x700, v2
	v_or_b32_e32 v12, 0x800, v2
	v_or_b32_e32 v14, 0x900, v2
	v_lshl_or_b32 v3, v5, 7, v3
	s_mov_b32 s9, s13
	v_add_u32_e32 v47, 0x150, v3
	s_mov_b64 s[6:7], 0
	v_lshlrev_b32_e32 v67, 2, v2
	v_lshlrev_b32_e32 v68, 2, v4
	;; [unrolled: 1-line block ×7, first 2 shown]
	v_mov_b32_e32 v48, v49
	v_mov_b32_e32 v51, v49
	;; [unrolled: 1-line block ×9, first 2 shown]
	s_branch .LBB47_51
.LBB47_49:                              ;   in Loop: Header=BB47_51 Depth=1
	s_or_b64 exec, exec, s[0:1]
	s_waitcnt vmcnt(1) lgkmcnt(0)
	v_mul_f32_e32 v43, v3, v43
	v_mul_f32_e32 v35, v3, v35
	;; [unrolled: 1-line block ×9, first 2 shown]
	s_waitcnt vmcnt(0)
	v_mul_f32_e32 v3, v3, v39
	v_fmac_f32_e32 v43, v2, v42
	v_fmac_f32_e32 v35, v2, v34
	;; [unrolled: 1-line block ×30, first 2 shown]
	v_add_f32_e32 v48, v48, v43
	v_add_f32_e32 v51, v51, v35
	;; [unrolled: 1-line block ×10, first 2 shown]
.LBB47_50:                              ;   in Loop: Header=BB47_51 Depth=1
	s_or_b64 exec, exec, s[10:11]
	v_add_co_u32_e32 v58, vcc, 8, v58
	v_add_u32_e32 v46, 2, v46
	v_addc_co_u32_e32 v59, vcc, 0, v59, vcc
	v_cmp_le_i32_e32 vcc, s47, v46
	v_add_u32_e32 v1, 64, v1
	s_or_b64 s[6:7], vcc, s[6:7]
	v_add_u32_e32 v47, 0x100, v47
	s_andn2_b64 exec, exec, s[6:7]
	s_cbranch_execz .LBB47_72
.LBB47_51:                              ; =>This Inner Loop Header: Depth=1
	v_sub_u32_e32 v3, 0, v1
	v_max_i32_e32 v3, v1, v3
	v_mul_hi_u32 v4, v3, s33
	v_mul_lo_u32 v5, v4, s25
	v_sub_u32_e32 v3, v3, v5
	v_add_u32_e32 v5, 1, v4
	v_cmp_le_u32_e32 vcc, s25, v3
	v_cndmask_b32_e32 v4, v4, v5, vcc
	v_subrev_u32_e32 v5, s25, v3
	v_cndmask_b32_e32 v3, v3, v5, vcc
	v_ashrrev_i32_e32 v2, 31, v1
	v_add_u32_e32 v5, 1, v4
	v_cmp_le_u32_e32 vcc, s25, v3
	v_xor_b32_e32 v2, s19, v2
	v_cndmask_b32_e32 v3, v4, v5, vcc
	v_xor_b32_e32 v3, v3, v2
	v_sub_u32_e32 v2, v3, v2
	v_add_u32_e32 v3, s46, v2
	v_sub_u32_e32 v5, 0, v3
	v_ashrrev_i32_e32 v4, 31, v3
	v_max_i32_e32 v3, v3, v5
	v_mul_hi_u32 v5, v3, v66
	v_mul_lo_u32 v5, v5, s18
	v_sub_u32_e32 v3, v3, v5
	v_subrev_u32_e32 v5, s18, v3
	v_cmp_le_u32_e32 vcc, s18, v3
	v_cndmask_b32_e32 v3, v3, v5, vcc
	v_subrev_u32_e32 v5, s18, v3
	v_cmp_le_u32_e32 vcc, s18, v3
	v_cndmask_b32_e32 v3, v3, v5, vcc
	v_xor_b32_e32 v3, v3, v4
	v_sub_u32_e32 v3, v3, v4
	v_cmp_eq_u32_e32 vcc, 0, v3
	v_cmp_lt_i32_e64 s[0:1], s3, v2
	s_or_b64 s[0:1], vcc, s[0:1]
	s_and_saveexec_b64 s[10:11], s[0:1]
	s_cbranch_execz .LBB47_50
; %bb.52:                               ;   in Loop: Header=BB47_51 Depth=1
	global_load_dword v2, v[58:59], off
	v_mov_b32_e32 v4, s15
	v_add_u32_e32 v74, v65, v1
	v_add_u32_e32 v77, 1, v74
	v_add_u32_e32 v76, 2, v74
	v_add_u32_e32 v75, 3, v74
	s_waitcnt vmcnt(0)
	v_mad_i64_i32 v[2:3], s[0:1], v2, s9, 0
	v_lshlrev_b64 v[2:3], 2, v[2:3]
	v_add_co_u32_e32 v38, vcc, s14, v2
	v_addc_co_u32_e32 v39, vcc, v4, v3, vcc
	v_add_co_u32_e32 v18, vcc, v38, v67
	v_addc_co_u32_e32 v19, vcc, 0, v39, vcc
	global_load_dwordx4 v[6:9], v[18:19], off
	ds_read_b128 v[2:5], v47
	v_cmp_eq_u32_e32 vcc, s17, v46
	s_and_saveexec_b64 s[12:13], vcc
	s_cbranch_execnz .LBB47_69
; %bb.53:                               ;   in Loop: Header=BB47_51 Depth=1
	s_or_b64 exec, exec, s[12:13]
	global_load_dwordx4 v[10:13], v[18:19], off offset:1024
	s_and_saveexec_b64 s[12:13], vcc
	s_cbranch_execnz .LBB47_70
.LBB47_54:                              ;   in Loop: Header=BB47_51 Depth=1
	s_or_b64 exec, exec, s[12:13]
	global_load_dwordx4 v[14:17], v[18:19], off offset:2048
	s_and_saveexec_b64 s[12:13], vcc
	s_cbranch_execnz .LBB47_71
.LBB47_55:                              ;   in Loop: Header=BB47_51 Depth=1
	s_or_b64 exec, exec, s[12:13]
	global_load_dwordx4 v[18:21], v[18:19], off offset:3072
	s_and_saveexec_b64 s[12:13], vcc
	s_cbranch_execz .LBB47_57
.LBB47_56:                              ;   in Loop: Header=BB47_51 Depth=1
	v_cmp_gt_i32_e64 s[0:1], s29, v74
	s_waitcnt vmcnt(0)
	v_cndmask_b32_e64 v18, 0, v18, s[0:1]
	v_cmp_gt_i32_e64 s[0:1], s29, v77
	v_cndmask_b32_e64 v19, 0, v19, s[0:1]
	v_cmp_gt_i32_e64 s[0:1], s29, v76
	;; [unrolled: 2-line block ×3, first 2 shown]
	v_cndmask_b32_e64 v21, 0, v21, s[0:1]
.LBB47_57:                              ;   in Loop: Header=BB47_51 Depth=1
	s_or_b64 exec, exec, s[12:13]
	v_add_co_u32_e64 v22, s[0:1], v38, v68
	v_addc_co_u32_e64 v23, s[0:1], 0, v39, s[0:1]
	global_load_dwordx4 v[22:25], v[22:23], off
	s_and_saveexec_b64 s[12:13], vcc
	s_cbranch_execz .LBB47_59
; %bb.58:                               ;   in Loop: Header=BB47_51 Depth=1
	v_cmp_gt_i32_e64 s[0:1], s29, v74
	s_waitcnt vmcnt(0)
	v_cndmask_b32_e64 v22, 0, v22, s[0:1]
	v_cmp_gt_i32_e64 s[0:1], s29, v77
	v_cndmask_b32_e64 v23, 0, v23, s[0:1]
	v_cmp_gt_i32_e64 s[0:1], s29, v76
	v_cndmask_b32_e64 v24, 0, v24, s[0:1]
	v_cmp_gt_i32_e64 s[0:1], s29, v75
	v_cndmask_b32_e64 v25, 0, v25, s[0:1]
.LBB47_59:                              ;   in Loop: Header=BB47_51 Depth=1
	s_or_b64 exec, exec, s[12:13]
	v_add_co_u32_e64 v26, s[0:1], v38, v69
	v_addc_co_u32_e64 v27, s[0:1], 0, v39, s[0:1]
	global_load_dwordx4 v[26:29], v[26:27], off
	s_and_saveexec_b64 s[12:13], vcc
	s_cbranch_execz .LBB47_61
; %bb.60:                               ;   in Loop: Header=BB47_51 Depth=1
	v_cmp_gt_i32_e64 s[0:1], s29, v74
	s_waitcnt vmcnt(0)
	v_cndmask_b32_e64 v26, 0, v26, s[0:1]
	v_cmp_gt_i32_e64 s[0:1], s29, v77
	v_cndmask_b32_e64 v27, 0, v27, s[0:1]
	v_cmp_gt_i32_e64 s[0:1], s29, v76
	v_cndmask_b32_e64 v28, 0, v28, s[0:1]
	v_cmp_gt_i32_e64 s[0:1], s29, v75
	v_cndmask_b32_e64 v29, 0, v29, s[0:1]
.LBB47_61:                              ;   in Loop: Header=BB47_51 Depth=1
	;; [unrolled: 17-line block ×5, first 2 shown]
	s_or_b64 exec, exec, s[12:13]
	v_add_co_u32_e64 v38, s[0:1], v38, v73
	v_addc_co_u32_e64 v39, s[0:1], 0, v39, s[0:1]
	global_load_dwordx4 v[38:41], v[38:39], off
	s_and_saveexec_b64 s[0:1], vcc
	s_cbranch_execz .LBB47_49
; %bb.68:                               ;   in Loop: Header=BB47_51 Depth=1
	v_cmp_gt_i32_e32 vcc, s29, v74
	s_waitcnt vmcnt(0)
	v_cndmask_b32_e32 v38, 0, v38, vcc
	v_cmp_gt_i32_e32 vcc, s29, v77
	v_cndmask_b32_e32 v39, 0, v39, vcc
	v_cmp_gt_i32_e32 vcc, s29, v76
	v_cndmask_b32_e32 v40, 0, v40, vcc
	v_cmp_gt_i32_e32 vcc, s29, v75
	v_cndmask_b32_e32 v41, 0, v41, vcc
	s_branch .LBB47_49
.LBB47_69:                              ;   in Loop: Header=BB47_51 Depth=1
	v_cmp_gt_i32_e64 s[0:1], s29, v74
	s_waitcnt vmcnt(0)
	v_cndmask_b32_e64 v6, 0, v6, s[0:1]
	v_cmp_gt_i32_e64 s[0:1], s29, v77
	v_cndmask_b32_e64 v7, 0, v7, s[0:1]
	v_cmp_gt_i32_e64 s[0:1], s29, v76
	;; [unrolled: 2-line block ×3, first 2 shown]
	v_cndmask_b32_e64 v9, 0, v9, s[0:1]
	s_or_b64 exec, exec, s[12:13]
	global_load_dwordx4 v[10:13], v[18:19], off offset:1024
	s_and_saveexec_b64 s[12:13], vcc
	s_cbranch_execz .LBB47_54
.LBB47_70:                              ;   in Loop: Header=BB47_51 Depth=1
	v_cmp_gt_i32_e64 s[0:1], s29, v74
	s_waitcnt vmcnt(0)
	v_cndmask_b32_e64 v10, 0, v10, s[0:1]
	v_cmp_gt_i32_e64 s[0:1], s29, v77
	v_cndmask_b32_e64 v11, 0, v11, s[0:1]
	v_cmp_gt_i32_e64 s[0:1], s29, v76
	;; [unrolled: 2-line block ×3, first 2 shown]
	v_cndmask_b32_e64 v13, 0, v13, s[0:1]
	s_or_b64 exec, exec, s[12:13]
	global_load_dwordx4 v[14:17], v[18:19], off offset:2048
	s_and_saveexec_b64 s[12:13], vcc
	s_cbranch_execz .LBB47_55
.LBB47_71:                              ;   in Loop: Header=BB47_51 Depth=1
	v_cmp_gt_i32_e64 s[0:1], s29, v74
	s_waitcnt vmcnt(0)
	v_cndmask_b32_e64 v14, 0, v14, s[0:1]
	v_cmp_gt_i32_e64 s[0:1], s29, v77
	v_cndmask_b32_e64 v15, 0, v15, s[0:1]
	v_cmp_gt_i32_e64 s[0:1], s29, v76
	;; [unrolled: 2-line block ×3, first 2 shown]
	v_cndmask_b32_e64 v17, 0, v17, s[0:1]
	s_or_b64 exec, exec, s[12:13]
	global_load_dwordx4 v[18:21], v[18:19], off offset:3072
	s_and_saveexec_b64 s[12:13], vcc
	s_cbranch_execnz .LBB47_56
	s_branch .LBB47_57
.LBB47_72:
	s_or_b64 exec, exec, s[6:7]
.LBB47_73:
	s_or_b64 exec, exec, s[4:5]
	ds_bpermute_b32 v8, v61, v52
	ds_bpermute_b32 v9, v61, v53
	;; [unrolled: 1-line block ×6, first 2 shown]
	s_waitcnt lgkmcnt(4)
	v_pk_add_f32 v[8:9], v[52:53], v[8:9]
	ds_bpermute_b32 v12, v62, v8
	s_waitcnt lgkmcnt(3)
	v_pk_add_f32 v[2:3], v[56:57], v[2:3]
	ds_bpermute_b32 v13, v62, v9
	;; [unrolled: 3-line block ×3, first 2 shown]
	ds_bpermute_b32 v15, v61, v51
	ds_bpermute_b32 v6, v62, v2
	;; [unrolled: 1-line block ×7, first 2 shown]
	s_waitcnt lgkmcnt(8)
	v_pk_add_f32 v[12:13], v[8:9], v[12:13]
	s_waitcnt lgkmcnt(6)
	v_pk_add_f32 v[8:9], v[50:51], v[14:15]
	;; [unrolled: 2-line block ×4, first 2 shown]
	ds_bpermute_b32 v14, v62, v8
	ds_bpermute_b32 v15, v62, v9
	s_waitcnt lgkmcnt(2)
	v_pk_add_f32 v[18:19], v[48:49], v[18:19]
	ds_bpermute_b32 v6, v63, v2
	ds_bpermute_b32 v7, v63, v3
	;; [unrolled: 1-line block ×8, first 2 shown]
	s_waitcnt lgkmcnt(8)
	v_pk_add_f32 v[14:15], v[8:9], v[14:15]
	ds_bpermute_b32 v20, v63, v14
	ds_bpermute_b32 v21, v63, v15
	s_waitcnt lgkmcnt(8)
	v_pk_add_f32 v[8:9], v[2:3], v[6:7]
	s_waitcnt lgkmcnt(6)
	v_pk_add_f32 v[6:7], v[4:5], v[10:11]
	;; [unrolled: 2-line block ×4, first 2 shown]
	ds_bpermute_b32 v12, v63, v10
	ds_bpermute_b32 v13, v63, v11
	v_and_b32_e32 v1, 0x3c7, v0
	s_waitcnt lgkmcnt(2)
	v_pk_add_f32 v[2:3], v[14:15], v[20:21]
	v_cmp_ne_u32_e32 vcc, 64, v1
	s_waitcnt lgkmcnt(0)
	s_barrier
	s_and_saveexec_b64 s[0:1], vcc
	s_xor_b64 s[0:1], exec, s[0:1]
; %bb.74:
                                        ; implicit-def: $vgpr60
; %bb.75:
	s_or_saveexec_b64 s[0:1], s[0:1]
	v_pk_add_f32 v[10:11], v[10:11], v[12:13]
	s_xor_b64 exec, exec, s[0:1]
	s_cbranch_execz .LBB47_77
; %bb.76:
	v_lshrrev_b32_e32 v12, 1, v60
	v_add_u32_e32 v12, 0x150, v12
	ds_write2_b32 v12, v8, v9 offset1:8
	ds_write2_b32 v12, v6, v7 offset0:16 offset1:24
	ds_write2_b32 v12, v4, v5 offset0:32 offset1:40
	;; [unrolled: 1-line block ×4, first 2 shown]
.LBB47_77:
	s_or_b64 exec, exec, s[0:1]
	v_cmp_gt_u32_e32 vcc, 64, v0
	s_waitcnt lgkmcnt(0)
	s_barrier
	s_and_saveexec_b64 s[0:1], vcc
	s_cbranch_execz .LBB47_90
; %bb.78:
	v_cmp_eq_u32_e32 vcc, 0, v64
	v_lshrrev_b32_e32 v12, 3, v0
	s_and_saveexec_b64 s[4:5], vcc
	s_cbranch_execnz .LBB47_93
; %bb.79:
	s_or_b64 exec, exec, s[4:5]
	s_and_saveexec_b64 s[4:5], vcc
	s_cbranch_execnz .LBB47_94
.LBB47_80:
	s_or_b64 exec, exec, s[4:5]
	s_and_saveexec_b64 s[4:5], vcc
	s_cbranch_execnz .LBB47_95
.LBB47_81:
	s_or_b64 exec, exec, s[4:5]
	s_and_saveexec_b64 s[4:5], vcc
	s_cbranch_execnz .LBB47_96
.LBB47_82:
	s_or_b64 exec, exec, s[4:5]
	s_and_saveexec_b64 s[4:5], vcc
	s_cbranch_execnz .LBB47_97
.LBB47_83:
	s_or_b64 exec, exec, s[4:5]
	s_and_saveexec_b64 s[4:5], vcc
	s_cbranch_execnz .LBB47_98
.LBB47_84:
	s_or_b64 exec, exec, s[4:5]
	s_and_saveexec_b64 s[4:5], vcc
	s_cbranch_execnz .LBB47_99
.LBB47_85:
	s_or_b64 exec, exec, s[4:5]
	s_and_saveexec_b64 s[4:5], vcc
	s_cbranch_execnz .LBB47_100
.LBB47_86:
	s_or_b64 exec, exec, s[4:5]
	s_and_saveexec_b64 s[4:5], vcc
	s_cbranch_execnz .LBB47_101
.LBB47_87:
	s_or_b64 exec, exec, s[4:5]
	s_and_saveexec_b64 s[4:5], vcc
	s_cbranch_execz .LBB47_89
.LBB47_88:
	v_mov_b32_e32 v13, 0x150
	v_lshl_add_u32 v12, v12, 2, v13
	ds_read_b32 v12, v12 offset:288
	s_waitcnt lgkmcnt(0)
	v_add_f32_e32 v11, v11, v12
.LBB47_89:
	s_or_b64 exec, exec, s[4:5]
.LBB47_90:
	s_or_b64 exec, exec, s[0:1]
	v_cmp_eq_u32_e32 vcc, 0, v1
	s_barrier
	s_and_saveexec_b64 s[0:1], vcc
	s_cbranch_execz .LBB47_92
; %bb.91:
	s_mul_i32 s0, s2, 0x50
	s_ashr_i32 s1, s0, 31
	s_lshl_b64 s[0:1], s[0:1], 2
	s_add_u32 s2, s26, s0
	s_mul_i32 s0, s16, s24
	s_addc_u32 s3, s27, s1
	s_ashr_i32 s1, s0, 31
	s_lshl_b64 s[0:1], s[0:1], 2
	s_add_u32 s2, s2, s0
	s_mul_i32 s0, s8, 0x50
	s_addc_u32 s3, s3, s1
	s_ashr_i32 s1, s0, 31
	s_lshl_b64 s[0:1], s[0:1], 2
	s_add_u32 s0, s2, s0
	s_addc_u32 s1, s3, s1
	v_lshrrev_b32_e32 v0, 1, v0
	global_store_dword v0, v8, s[0:1]
	global_store_dword v0, v9, s[0:1] offset:32
	global_store_dword v0, v6, s[0:1] offset:64
	;; [unrolled: 1-line block ×9, first 2 shown]
.LBB47_92:
	s_endpgm
.LBB47_93:
	v_mov_b32_e32 v13, 0x150
	v_lshl_add_u32 v13, v12, 2, v13
	ds_read_b32 v13, v13
	s_waitcnt lgkmcnt(0)
	v_add_f32_e32 v8, v8, v13
	s_or_b64 exec, exec, s[4:5]
	s_and_saveexec_b64 s[4:5], vcc
	s_cbranch_execz .LBB47_80
.LBB47_94:
	v_mov_b32_e32 v13, 0x150
	v_lshl_add_u32 v13, v12, 2, v13
	ds_read_b32 v13, v13 offset:32
	s_waitcnt lgkmcnt(0)
	v_add_f32_e32 v9, v9, v13
	s_or_b64 exec, exec, s[4:5]
	s_and_saveexec_b64 s[4:5], vcc
	s_cbranch_execz .LBB47_81
.LBB47_95:
	v_mov_b32_e32 v13, 0x150
	v_lshl_add_u32 v13, v12, 2, v13
	ds_read_b32 v13, v13 offset:64
	s_waitcnt lgkmcnt(0)
	v_add_f32_e32 v6, v6, v13
	s_or_b64 exec, exec, s[4:5]
	s_and_saveexec_b64 s[4:5], vcc
	s_cbranch_execz .LBB47_82
.LBB47_96:
	v_mov_b32_e32 v13, 0x150
	v_lshl_add_u32 v13, v12, 2, v13
	ds_read_b32 v13, v13 offset:96
	s_waitcnt lgkmcnt(0)
	v_add_f32_e32 v7, v7, v13
	s_or_b64 exec, exec, s[4:5]
	s_and_saveexec_b64 s[4:5], vcc
	s_cbranch_execz .LBB47_83
.LBB47_97:
	v_mov_b32_e32 v13, 0x150
	v_lshl_add_u32 v13, v12, 2, v13
	ds_read_b32 v13, v13 offset:128
	s_waitcnt lgkmcnt(0)
	v_add_f32_e32 v4, v4, v13
	s_or_b64 exec, exec, s[4:5]
	s_and_saveexec_b64 s[4:5], vcc
	s_cbranch_execz .LBB47_84
.LBB47_98:
	v_mov_b32_e32 v13, 0x150
	v_lshl_add_u32 v13, v12, 2, v13
	ds_read_b32 v13, v13 offset:160
	s_waitcnt lgkmcnt(0)
	v_add_f32_e32 v5, v5, v13
	s_or_b64 exec, exec, s[4:5]
	s_and_saveexec_b64 s[4:5], vcc
	s_cbranch_execz .LBB47_85
.LBB47_99:
	v_mov_b32_e32 v13, 0x150
	v_lshl_add_u32 v13, v12, 2, v13
	ds_read_b32 v13, v13 offset:192
	s_waitcnt lgkmcnt(0)
	v_add_f32_e32 v2, v2, v13
	s_or_b64 exec, exec, s[4:5]
	s_and_saveexec_b64 s[4:5], vcc
	s_cbranch_execz .LBB47_86
.LBB47_100:
	v_mov_b32_e32 v13, 0x150
	v_lshl_add_u32 v13, v12, 2, v13
	ds_read_b32 v13, v13 offset:224
	s_waitcnt lgkmcnt(0)
	v_add_f32_e32 v3, v3, v13
	s_or_b64 exec, exec, s[4:5]
	s_and_saveexec_b64 s[4:5], vcc
	s_cbranch_execz .LBB47_87
.LBB47_101:
	v_mov_b32_e32 v13, 0x150
	v_lshl_add_u32 v13, v12, 2, v13
	ds_read_b32 v13, v13 offset:256
	s_waitcnt lgkmcnt(0)
	v_add_f32_e32 v10, v10, v13
	s_or_b64 exec, exec, s[4:5]
	s_and_saveexec_b64 s[4:5], vcc
	s_cbranch_execnz .LBB47_88
	s_branch .LBB47_89
	.section	.rodata,"a",@progbits
	.p2align	6, 0x0
	.amdhsa_kernel _ZN4vllm25paged_attention_v2_kernelIffLi80ELi32ELi128ELNS_18Fp8KVCacheDataTypeE0ELb1ELi512EEEvPfS2_PT_PKS3_PKT0_S9_ifPKiSB_iPKfiiiSD_SD_iiiii
		.amdhsa_group_segment_fixed_size 336
		.amdhsa_private_segment_fixed_size 0
		.amdhsa_kernarg_size 400
		.amdhsa_user_sgpr_count 6
		.amdhsa_user_sgpr_private_segment_buffer 1
		.amdhsa_user_sgpr_dispatch_ptr 0
		.amdhsa_user_sgpr_queue_ptr 0
		.amdhsa_user_sgpr_kernarg_segment_ptr 1
		.amdhsa_user_sgpr_dispatch_id 0
		.amdhsa_user_sgpr_flat_scratch_init 0
		.amdhsa_user_sgpr_kernarg_preload_length 0
		.amdhsa_user_sgpr_kernarg_preload_offset 0
		.amdhsa_user_sgpr_private_segment_size 0
		.amdhsa_uses_dynamic_stack 0
		.amdhsa_system_sgpr_private_segment_wavefront_offset 0
		.amdhsa_system_sgpr_workgroup_id_x 1
		.amdhsa_system_sgpr_workgroup_id_y 1
		.amdhsa_system_sgpr_workgroup_id_z 1
		.amdhsa_system_sgpr_workgroup_info 0
		.amdhsa_system_vgpr_workitem_id 0
		.amdhsa_next_free_vgpr 90
		.amdhsa_next_free_sgpr 54
		.amdhsa_accum_offset 92
		.amdhsa_reserve_vcc 1
		.amdhsa_reserve_flat_scratch 0
		.amdhsa_float_round_mode_32 0
		.amdhsa_float_round_mode_16_64 0
		.amdhsa_float_denorm_mode_32 3
		.amdhsa_float_denorm_mode_16_64 3
		.amdhsa_dx10_clamp 1
		.amdhsa_ieee_mode 1
		.amdhsa_fp16_overflow 0
		.amdhsa_tg_split 0
		.amdhsa_exception_fp_ieee_invalid_op 0
		.amdhsa_exception_fp_denorm_src 0
		.amdhsa_exception_fp_ieee_div_zero 0
		.amdhsa_exception_fp_ieee_overflow 0
		.amdhsa_exception_fp_ieee_underflow 0
		.amdhsa_exception_fp_ieee_inexact 0
		.amdhsa_exception_int_div_zero 0
	.end_amdhsa_kernel
	.section	.text._ZN4vllm25paged_attention_v2_kernelIffLi80ELi32ELi128ELNS_18Fp8KVCacheDataTypeE0ELb1ELi512EEEvPfS2_PT_PKS3_PKT0_S9_ifPKiSB_iPKfiiiSD_SD_iiiii,"axG",@progbits,_ZN4vllm25paged_attention_v2_kernelIffLi80ELi32ELi128ELNS_18Fp8KVCacheDataTypeE0ELb1ELi512EEEvPfS2_PT_PKS3_PKT0_S9_ifPKiSB_iPKfiiiSD_SD_iiiii,comdat
.Lfunc_end47:
	.size	_ZN4vllm25paged_attention_v2_kernelIffLi80ELi32ELi128ELNS_18Fp8KVCacheDataTypeE0ELb1ELi512EEEvPfS2_PT_PKS3_PKT0_S9_ifPKiSB_iPKfiiiSD_SD_iiiii, .Lfunc_end47-_ZN4vllm25paged_attention_v2_kernelIffLi80ELi32ELi128ELNS_18Fp8KVCacheDataTypeE0ELb1ELi512EEEvPfS2_PT_PKS3_PKT0_S9_ifPKiSB_iPKfiiiSD_SD_iiiii
                                        ; -- End function
	.section	.AMDGPU.csdata,"",@progbits
; Kernel info:
; codeLenInByte = 6676
; NumSgprs: 58
; NumVgprs: 90
; NumAgprs: 0
; TotalNumVgprs: 90
; ScratchSize: 0
; MemoryBound: 0
; FloatMode: 240
; IeeeMode: 1
; LDSByteSize: 336 bytes/workgroup (compile time only)
; SGPRBlocks: 7
; VGPRBlocks: 11
; NumSGPRsForWavesPerEU: 58
; NumVGPRsForWavesPerEU: 90
; AccumOffset: 92
; Occupancy: 5
; WaveLimiterHint : 1
; COMPUTE_PGM_RSRC2:SCRATCH_EN: 0
; COMPUTE_PGM_RSRC2:USER_SGPR: 6
; COMPUTE_PGM_RSRC2:TRAP_HANDLER: 0
; COMPUTE_PGM_RSRC2:TGID_X_EN: 1
; COMPUTE_PGM_RSRC2:TGID_Y_EN: 1
; COMPUTE_PGM_RSRC2:TGID_Z_EN: 1
; COMPUTE_PGM_RSRC2:TIDIG_COMP_CNT: 0
; COMPUTE_PGM_RSRC3_GFX90A:ACCUM_OFFSET: 22
; COMPUTE_PGM_RSRC3_GFX90A:TG_SPLIT: 0
	.section	.text._ZN4vllm25paged_attention_v2_kernelIffLi96ELi32ELi128ELNS_18Fp8KVCacheDataTypeE0ELb1ELi512EEEvPfS2_PT_PKS3_PKT0_S9_ifPKiSB_iPKfiiiSD_SD_iiiii,"axG",@progbits,_ZN4vllm25paged_attention_v2_kernelIffLi96ELi32ELi128ELNS_18Fp8KVCacheDataTypeE0ELb1ELi512EEEvPfS2_PT_PKS3_PKT0_S9_ifPKiSB_iPKfiiiSD_SD_iiiii,comdat
	.protected	_ZN4vllm25paged_attention_v2_kernelIffLi96ELi32ELi128ELNS_18Fp8KVCacheDataTypeE0ELb1ELi512EEEvPfS2_PT_PKS3_PKT0_S9_ifPKiSB_iPKfiiiSD_SD_iiiii ; -- Begin function _ZN4vllm25paged_attention_v2_kernelIffLi96ELi32ELi128ELNS_18Fp8KVCacheDataTypeE0ELb1ELi512EEEvPfS2_PT_PKS3_PKT0_S9_ifPKiSB_iPKfiiiSD_SD_iiiii
	.globl	_ZN4vllm25paged_attention_v2_kernelIffLi96ELi32ELi128ELNS_18Fp8KVCacheDataTypeE0ELb1ELi512EEEvPfS2_PT_PKS3_PKT0_S9_ifPKiSB_iPKfiiiSD_SD_iiiii
	.p2align	8
	.type	_ZN4vllm25paged_attention_v2_kernelIffLi96ELi32ELi128ELNS_18Fp8KVCacheDataTypeE0ELb1ELi512EEEvPfS2_PT_PKS3_PKT0_S9_ifPKiSB_iPKfiiiSD_SD_iiiii,@function
_ZN4vllm25paged_attention_v2_kernelIffLi96ELi32ELi128ELNS_18Fp8KVCacheDataTypeE0ELb1ELi512EEEvPfS2_PT_PKS3_PKT0_S9_ifPKiSB_iPKfiiiSD_SD_iiiii: ; @_ZN4vllm25paged_attention_v2_kernelIffLi96ELi32ELi128ELNS_18Fp8KVCacheDataTypeE0ELb1ELi512EEEvPfS2_PT_PKS3_PKT0_S9_ifPKiSB_iPKfiiiSD_SD_iiiii
; %bb.0:
	s_load_dwordx2 s[0:1], s[4:5], 0x40
	s_mov_b32 s28, s7
	s_ashr_i32 s29, s7, 31
	s_lshl_b64 s[2:3], s[28:29], 2
	s_waitcnt lgkmcnt(0)
	s_add_u32 s0, s0, s2
	s_addc_u32 s1, s1, s3
	s_load_dword s29, s[0:1], 0x0
	s_lshl_b32 s48, s8, 9
	s_waitcnt lgkmcnt(0)
	s_cmp_ge_i32 s48, s29
	s_cbranch_scc1 .LBB48_98
; %bb.1:
	s_load_dword s9, s[4:5], 0x90
	s_load_dwordx2 s[38:39], s[4:5], 0x30
	s_mov_b32 s49, 0
	s_waitcnt lgkmcnt(0)
	s_abs_i32 s2, s9
	s_abs_i32 s0, s38
	v_cvt_f32_u32_e32 v1, s0
	s_sub_i32 s3, 0, s0
	s_xor_b32 s1, s9, s38
	s_ashr_i32 s1, s1, 31
	v_rcp_iflag_f32_e32 v1, v1
	v_mul_f32_e32 v1, 0x4f7ffffe, v1
	v_cvt_u32_f32_e32 v1, v1
	v_readfirstlane_b32 s7, v1
	s_mul_i32 s3, s3, s7
	s_mul_hi_u32 s3, s7, s3
	s_add_i32 s7, s7, s3
	s_mul_hi_u32 s3, s2, s7
	s_mul_i32 s7, s3, s0
	s_sub_i32 s2, s2, s7
	s_add_i32 s10, s3, 1
	s_sub_i32 s7, s2, s0
	s_cmp_ge_u32 s2, s0
	s_cselect_b32 s3, s10, s3
	s_cselect_b32 s2, s7, s2
	s_add_i32 s7, s3, 1
	s_cmp_ge_u32 s2, s0
	s_cselect_b32 s0, s7, s3
	s_xor_b32 s0, s0, s1
	s_sub_i32 s11, s0, s1
	s_abs_i32 s2, s11
	v_cvt_f32_u32_e32 v1, s2
	s_load_dwordx2 s[0:1], s[4:5], 0x50
	s_sub_i32 s7, 0, s2
	s_abs_i32 s3, s6
	v_rcp_iflag_f32_e32 v1, v1
	v_mul_f32_e32 v1, 0x4f7ffffe, v1
	v_cvt_u32_f32_e32 v1, v1
	v_readfirstlane_b32 s10, v1
	s_mul_i32 s7, s7, s10
	s_mul_hi_u32 s7, s10, s7
	s_add_i32 s10, s10, s7
	s_waitcnt lgkmcnt(0)
	s_cmp_eq_u64 s[0:1], 0
	s_mul_hi_u32 s10, s3, s10
	s_cbranch_scc1 .LBB48_3
; %bb.2:
	s_ashr_i32 s7, s6, 31
	s_lshl_b64 s[12:13], s[6:7], 2
	s_add_u32 s0, s0, s12
	s_addc_u32 s1, s1, s13
	s_load_dword s49, s[0:1], 0x0
.LBB48_3:
	s_load_dwordx4 s[12:15], s[4:5], 0x58
	s_ashr_i32 s7, s6, 31
	s_ashr_i32 s11, s11, 31
	v_and_b32_e32 v2, 1, v0
	s_mul_i32 s24, s6, 0x60
	v_cmp_gt_u32_e32 vcc, 48, v0
	v_lshlrev_b32_e32 v3, 3, v0
	v_lshlrev_b32_e32 v4, 2, v0
	s_and_saveexec_b64 s[0:1], vcc
	s_cbranch_execz .LBB48_5
; %bb.4:
	s_load_dwordx2 s[16:17], s[4:5], 0x18
	s_waitcnt lgkmcnt(0)
	s_mul_i32 s18, s28, s12
	s_ashr_i32 s19, s18, 31
	s_lshl_b64 s[18:19], s[18:19], 2
	v_and_b32_e32 v1, 0xff8, v4
	s_add_u32 s12, s16, s18
	s_addc_u32 s15, s17, s19
	s_ashr_i32 s25, s24, 31
	s_lshl_b64 s[16:17], s[24:25], 2
	s_add_u32 s16, s12, s16
	s_addc_u32 s17, s15, s17
	global_load_dwordx2 v[6:7], v3, s[16:17]
	s_movk_i32 s12, 0xc0
	v_mad_u32_u24 v1, v2, s12, v1
	s_waitcnt vmcnt(0)
	ds_write_b64 v1, v[6:7]
.LBB48_5:
	s_or_b64 exec, exec, s[0:1]
	s_mul_i32 s1, s10, s2
	s_sub_i32 s1, s3, s1
	s_xor_b32 s0, s7, s11
	s_add_i32 s3, s10, 1
	s_sub_i32 s7, s1, s2
	s_load_dwordx4 s[16:19], s[4:5], 0x78
	s_cmp_ge_u32 s1, s2
	s_cselect_b32 s3, s3, s10
	s_load_dword s10, s[4:5], 0x88
	s_cselect_b32 s1, s7, s1
	s_add_i32 s7, s3, 1
	s_cmp_ge_u32 s1, s2
	s_cselect_b32 s1, s7, s3
	s_waitcnt lgkmcnt(0)
	s_abs_i32 s25, s19
	v_cvt_f32_u32_e32 v1, s25
	s_xor_b32 s1, s1, s0
	s_sub_i32 s2, s1, s0
	s_sub_i32 s0, 0, s25
	v_rcp_iflag_f32_e32 v1, v1
	s_add_i32 s11, s29, -1
	s_abs_i32 s3, s11
	v_mul_f32_e32 v1, 0x4f7ffffe, v1
	v_cvt_u32_f32_e32 v1, v1
	s_barrier
	v_readfirstlane_b32 s33, v1
	s_mul_i32 s0, s0, s33
	s_mul_hi_u32 s0, s33, s0
	s_add_i32 s33, s33, s0
	s_cmp_lt_i32 s10, 0
	s_mul_hi_u32 s7, s3, s33
	s_cbranch_scc0 .LBB48_7
; %bb.6:
	s_mul_i32 s0, s16, s38
	s_add_i32 s0, s2, s0
	s_mul_i32 s0, s0, s10
	s_sub_i32 s46, 1, s0
	s_mov_b64 s[0:1], 0
	s_branch .LBB48_8
.LBB48_7:
	s_mov_b64 s[0:1], -1
                                        ; implicit-def: $sgpr46
.LBB48_8:
	s_load_dwordx2 s[30:31], s[4:5], 0x38
	s_ashr_i32 s11, s11, 31
	s_andn2_b64 vcc, exec, s[0:1]
	s_ashr_i32 s19, s19, 31
	s_cbranch_vccnz .LBB48_10
; %bb.9:
	s_mul_i32 s0, s9, s16
	s_add_i32 s0, s0, s6
	s_mul_i32 s0, s0, s10
	s_add_i32 s46, s0, 1
.LBB48_10:
	s_load_dword s0, s[4:5], 0x48
	s_load_dwordx2 s[36:37], s[4:5], 0x28
	s_load_dword s16, s[4:5], 0x98
	s_load_dwordx4 s[20:23], s[4:5], 0x0
	s_load_dwordx2 s[26:27], s[4:5], 0x10
	s_mul_i32 s1, s7, s25
	s_waitcnt lgkmcnt(0)
	s_mul_i32 s34, s28, s0
	s_sub_i32 s1, s3, s1
	s_ashr_i32 s35, s34, 31
	s_xor_b32 s0, s11, s19
	s_add_i32 s3, s7, 1
	s_sub_i32 s10, s1, s25
	s_cmp_ge_u32 s1, s25
	s_cselect_b32 s3, s3, s7
	s_cselect_b32 s1, s10, s1
	s_add_i32 s7, s3, 1
	s_cmp_ge_u32 s1, s25
	s_cselect_b32 s1, s7, s3
	s_xor_b32 s1, s1, s0
	s_sub_i32 s12, s1, s0
	s_add_i32 s0, s29, 31
	s_ashr_i32 s1, s0, 31
	s_lshr_b32 s1, s1, 27
	s_add_i32 s0, s0, s1
	s_lshl_b32 s38, s8, 4
	s_ashr_i32 s7, s0, 5
	s_add_i32 s0, s38, 16
	v_lshrrev_b32_e32 v5, 6, v0
	s_min_i32 s47, s0, s7
	v_or_b32_e32 v54, s38, v5
	v_cmp_gt_i32_e64 s[0:1], s47, v54
	v_mov_b32_e32 v11, 0xff7fffff
	s_mul_i32 s14, s2, s14
	v_ashrrev_i32_e32 v55, 31, v54
	v_lshl_add_u32 v1, v5, 5, s48
	v_mbcnt_lo_u32_b32 v6, -1, 0
	s_and_saveexec_b64 s[40:41], s[0:1]
	s_cbranch_execz .LBB48_20
; %bb.11:
	s_load_dwordx2 s[2:3], s[4:5], 0x20
	s_ashr_i32 s15, s14, 31
	s_sub_i32 s50, s12, s17
	s_lshl_b64 s[4:5], s[14:15], 2
	v_bfe_u32 v7, v0, 1, 5
	s_waitcnt lgkmcnt(0)
	s_add_u32 s2, s2, s4
	s_addc_u32 s3, s3, s5
	s_abs_i32 s15, s18
	v_cvt_f32_u32_e32 v10, s15
	v_lshlrev_b32_e32 v8, 4, v7
	v_mov_b32_e32 v9, s3
	v_add_co_u32_e64 v8, s[2:3], s2, v8
	v_rcp_iflag_f32_e32 v10, v10
	v_addc_co_u32_e64 v9, s[2:3], 0, v9, s[2:3]
	v_and_b32_e32 v3, 8, v3
	v_add_co_u32_e64 v8, s[2:3], v8, v3
	v_mul_f32_e32 v3, 0x4f7ffffe, v10
	v_cvt_u32_f32_e32 v3, v3
	s_sub_i32 s4, 0, s15
	v_cmp_eq_u32_e32 vcc, 0, v2
	v_lshlrev_b32_e32 v11, 2, v7
	v_mul_u32_u24_e32 v10, 0xc0, v2
	v_mul_lo_u32 v2, s4, v3
	s_lshl_b64 s[4:5], s[34:35], 2
	v_mul_hi_u32 v2, v3, v2
	s_add_u32 s4, s30, s4
	v_lshl_or_b32 v11, v5, 7, v11
	v_add_u32_e32 v12, v3, v2
	v_lshlrev_b64 v[2:3], 2, v[54:55]
	s_addc_u32 s5, s31, s5
	v_add_u32_e32 v14, 0x190, v11
	v_subrev_u32_e32 v11, s29, v7
	v_mbcnt_hi_u32_b32 v17, -1, v6
	v_addc_co_u32_e64 v9, s[2:3], 0, v9, s[2:3]
	v_mov_b32_e32 v13, s5
	v_add_co_u32_e64 v2, s[4:5], s4, v2
	v_add_u32_e32 v15, 1, v11
	v_and_b32_e32 v11, 64, v17
	s_mov_b32 s51, s13
	v_cmp_neq_f32_e64 s[2:3], s49, 0
	v_addc_co_u32_e64 v3, s[4:5], v13, v3, s[4:5]
	v_lshl_add_u32 v13, v5, 5, s48
	s_mov_b64 s[42:43], 0
	v_mov_b32_e32 v16, 0xff7fffff
	s_movk_i32 s52, 0x1000
	s_movk_i32 s53, 0x2000
	v_xor_b32_e32 v18, 1, v17
	v_add_u32_e32 v19, 64, v11
	v_mov_b32_e32 v11, 0xff7fffff
	v_mov_b32_e32 v20, v54
	s_branch .LBB48_14
.LBB48_12:                              ;   in Loop: Header=BB48_14 Depth=1
	s_or_b64 exec, exec, s[44:45]
.LBB48_13:                              ;   in Loop: Header=BB48_14 Depth=1
	s_or_b64 exec, exec, s[10:11]
	v_add_co_u32_e64 v2, s[4:5], 8, v2
	v_add_u32_e32 v20, 2, v20
	v_addc_co_u32_e64 v3, s[4:5], 0, v3, s[4:5]
	v_cmp_le_i32_e64 s[4:5], s47, v20
	v_add_u32_e32 v13, 64, v13
	s_or_b64 s[42:43], s[4:5], s[42:43]
	v_add_u32_e32 v14, 0x100, v14
	s_andn2_b64 exec, exec, s[42:43]
	s_cbranch_execz .LBB48_19
.LBB48_14:                              ; =>This Inner Loop Header: Depth=1
	s_waitcnt lgkmcnt(0)
	v_sub_u32_e32 v22, 0, v13
	v_max_i32_e32 v22, v13, v22
	v_mul_hi_u32 v23, v22, s33
	v_mul_lo_u32 v24, v23, s25
	v_sub_u32_e32 v22, v22, v24
	v_add_u32_e32 v24, 1, v23
	v_cmp_le_u32_e64 s[4:5], s25, v22
	v_cndmask_b32_e64 v23, v23, v24, s[4:5]
	v_subrev_u32_e32 v24, s25, v22
	v_cndmask_b32_e64 v22, v22, v24, s[4:5]
	v_ashrrev_i32_e32 v21, 31, v13
	v_add_u32_e32 v24, 1, v23
	v_cmp_le_u32_e64 s[4:5], s25, v22
	v_xor_b32_e32 v21, s19, v21
	v_cndmask_b32_e64 v22, v23, v24, s[4:5]
	v_xor_b32_e32 v22, v22, v21
	v_sub_u32_e32 v21, v22, v21
	v_add_u32_e32 v22, s46, v21
	v_sub_u32_e32 v24, 0, v22
	v_ashrrev_i32_e32 v23, 31, v22
	v_max_i32_e32 v22, v22, v24
	v_mul_hi_u32 v24, v22, v12
	v_mul_lo_u32 v24, v24, s15
	v_sub_u32_e32 v22, v22, v24
	v_subrev_u32_e32 v24, s15, v22
	v_cmp_le_u32_e64 s[4:5], s15, v22
	v_cndmask_b32_e64 v22, v22, v24, s[4:5]
	v_subrev_u32_e32 v24, s15, v22
	v_cmp_le_u32_e64 s[4:5], s15, v22
	v_cndmask_b32_e64 v22, v22, v24, s[4:5]
	v_xor_b32_e32 v22, v22, v23
	v_sub_u32_e32 v22, v22, v23
	v_cmp_ne_u32_e64 s[4:5], 0, v22
	v_cmp_ge_i32_e64 s[10:11], s50, v21
	s_and_b64 s[4:5], s[4:5], s[10:11]
	s_and_b64 s[44:45], vcc, s[4:5]
	s_and_saveexec_b64 s[10:11], s[44:45]
	s_cbranch_execz .LBB48_16
; %bb.15:                               ;   in Loop: Header=BB48_14 Depth=1
	ds_write_b32 v14, v16
.LBB48_16:                              ;   in Loop: Header=BB48_14 Depth=1
	s_or_b64 exec, exec, s[10:11]
	s_xor_b64 s[4:5], s[4:5], -1
	s_and_saveexec_b64 s[10:11], s[4:5]
	s_cbranch_execz .LBB48_13
; %bb.17:                               ;   in Loop: Header=BB48_14 Depth=1
	global_load_dword v21, v[2:3], off
	s_waitcnt vmcnt(0)
	v_mad_i64_i32 v[22:23], s[4:5], v21, s51, 0
	v_lshlrev_b64 v[22:23], 2, v[22:23]
	v_add_co_u32_e64 v22, s[4:5], v8, v22
	v_addc_co_u32_e64 v23, s[4:5], v9, v23, s[4:5]
	global_load_dwordx2 v[56:57], v[22:23], off offset:512
	global_load_dwordx2 v[60:61], v[22:23], off offset:1024
	global_load_dwordx2 v[62:63], v[22:23], off offset:1536
	global_load_dwordx2 v[58:59], v[22:23], off
	global_load_dwordx2 v[64:65], v[22:23], off offset:2048
	global_load_dwordx2 v[66:67], v[22:23], off offset:2560
	;; [unrolled: 1-line block ×4, first 2 shown]
	v_add_co_u32_e64 v24, s[4:5], s53, v22
	v_addc_co_u32_e64 v25, s[4:5], 0, v23, s[4:5]
	global_load_dwordx2 v[72:73], v[24:25], off offset:-4096
	v_add_co_u32_e64 v22, s[4:5], s52, v22
	v_addc_co_u32_e64 v23, s[4:5], 0, v23, s[4:5]
	global_load_dwordx2 v[74:75], v[22:23], off offset:512
	global_load_dwordx2 v[76:77], v[22:23], off offset:1024
	;; [unrolled: 1-line block ×7, first 2 shown]
	global_load_dwordx2 v[88:89], v[24:25], off
	global_load_dwordx2 v[90:91], v[24:25], off offset:512
	global_load_dwordx2 v[92:93], v[24:25], off offset:1024
	;; [unrolled: 1-line block ×7, first 2 shown]
	ds_read_b128 v[22:25], v10
	ds_read_b128 v[26:29], v10 offset:16
	ds_read_b128 v[30:33], v10 offset:32
	;; [unrolled: 1-line block ×7, first 2 shown]
	v_cmp_lt_i32_e64 s[4:5], v18, v19
	v_cndmask_b32_e64 v105, v17, v18, s[4:5]
	v_lshlrev_b32_e32 v105, 2, v105
	s_waitcnt vmcnt(23) lgkmcnt(7)
	v_mul_f32_e32 v21, v24, v56
	v_mul_f32_e32 v104, v25, v57
	s_waitcnt vmcnt(20)
	v_fmac_f32_e32 v21, v22, v58
	v_fmac_f32_e32 v104, v23, v59
	s_waitcnt lgkmcnt(6)
	v_fmac_f32_e32 v21, v26, v60
	v_fmac_f32_e32 v104, v27, v61
	;; [unrolled: 1-line block ×4, first 2 shown]
	s_waitcnt vmcnt(19) lgkmcnt(5)
	v_fmac_f32_e32 v21, v30, v64
	v_fmac_f32_e32 v104, v31, v65
	s_waitcnt vmcnt(18)
	v_fmac_f32_e32 v21, v32, v66
	v_fmac_f32_e32 v104, v33, v67
	s_waitcnt vmcnt(17) lgkmcnt(4)
	v_fmac_f32_e32 v21, v34, v68
	v_fmac_f32_e32 v104, v35, v69
	s_waitcnt vmcnt(16)
	v_fmac_f32_e32 v21, v36, v70
	v_fmac_f32_e32 v104, v37, v71
	;; [unrolled: 6-line block ×4, first 2 shown]
	ds_read_b128 v[22:25], v10 offset:128
	ds_read_b128 v[56:59], v10 offset:144
	s_waitcnt vmcnt(11) lgkmcnt(3)
	v_fmac_f32_e32 v21, v46, v80
	v_fmac_f32_e32 v104, v47, v81
	s_waitcnt vmcnt(10)
	v_fmac_f32_e32 v21, v48, v82
	v_fmac_f32_e32 v104, v49, v83
	s_waitcnt vmcnt(9) lgkmcnt(2)
	v_fmac_f32_e32 v21, v50, v84
	v_fmac_f32_e32 v104, v51, v85
	s_waitcnt vmcnt(8)
	v_fmac_f32_e32 v21, v52, v86
	v_fmac_f32_e32 v104, v53, v87
	ds_read_b128 v[26:29], v10 offset:160
	ds_read_b128 v[60:63], v10 offset:176
	s_waitcnt vmcnt(7) lgkmcnt(3)
	v_fmac_f32_e32 v21, v22, v88
	v_fmac_f32_e32 v104, v23, v89
	s_waitcnt vmcnt(6)
	v_fmac_f32_e32 v21, v24, v90
	v_fmac_f32_e32 v104, v25, v91
	s_waitcnt vmcnt(5) lgkmcnt(2)
	v_fmac_f32_e32 v21, v56, v92
	v_fmac_f32_e32 v104, v57, v93
	s_waitcnt vmcnt(4)
	v_fmac_f32_e32 v21, v58, v94
	v_fmac_f32_e32 v104, v59, v95
	;; [unrolled: 6-line block ×4, first 2 shown]
	v_add_f32_e32 v21, v21, v104
	ds_bpermute_b32 v22, v105, v21
	s_and_saveexec_b64 s[44:45], vcc
	s_cbranch_execz .LBB48_12
; %bb.18:                               ;   in Loop: Header=BB48_14 Depth=1
	v_add_u32_e32 v23, v15, v13
	v_cvt_f32_i32_e32 v23, v23
	s_waitcnt lgkmcnt(0)
	v_add_f32_e32 v21, v21, v22
	v_add_u32_e32 v24, v7, v13
	v_cmp_gt_i32_e64 s[4:5], s29, v24
	v_mul_f32_e32 v22, s49, v23
	v_cndmask_b32_e64 v22, 0, v22, s[2:3]
	v_fmac_f32_e32 v22, s39, v21
	v_cndmask_b32_e64 v21, 0, v22, s[4:5]
	ds_write_b32 v14, v21
	v_max_f32_e32 v21, v11, v11
	v_max_f32_e32 v21, v21, v22
	v_cndmask_b32_e64 v11, v11, v21, s[4:5]
	s_branch .LBB48_12
.LBB48_19:
	s_or_b64 exec, exec, s[42:43]
.LBB48_20:
	s_or_b64 exec, exec, s[40:41]
	v_mbcnt_hi_u32_b32 v6, -1, v6
	v_and_b32_e32 v2, 64, v6
	v_add_u32_e32 v10, 64, v2
	v_xor_b32_e32 v2, 32, v6
	v_cmp_lt_i32_e32 vcc, v2, v10
	v_cndmask_b32_e32 v2, v6, v2, vcc
	v_lshlrev_b32_e32 v2, 2, v2
	ds_bpermute_b32 v3, v2, v11
	v_xor_b32_e32 v8, 16, v6
	v_max_f32_e32 v7, v11, v11
	v_cmp_lt_i32_e32 vcc, v8, v10
	v_xor_b32_e32 v9, 8, v6
	s_waitcnt lgkmcnt(0)
	v_max_f32_e32 v3, v3, v3
	v_max_f32_e32 v7, v7, v3
	v_cndmask_b32_e32 v3, v6, v8, vcc
	v_lshlrev_b32_e32 v3, 2, v3
	ds_bpermute_b32 v8, v3, v7
	v_cmp_lt_i32_e32 vcc, v9, v10
	v_xor_b32_e32 v11, 4, v6
	v_and_b32_e32 v70, 63, v0
	s_waitcnt lgkmcnt(0)
	v_max_f32_e32 v8, v8, v8
	v_max_f32_e32 v8, v7, v8
	v_cndmask_b32_e32 v7, v6, v9, vcc
	v_lshlrev_b32_e32 v7, 2, v7
	ds_bpermute_b32 v9, v7, v8
	v_cmp_lt_i32_e32 vcc, v11, v10
	s_waitcnt lgkmcnt(0)
	v_max_f32_e32 v9, v9, v9
	v_max_f32_e32 v8, v8, v9
	v_cndmask_b32_e32 v9, v6, v11, vcc
	v_lshlrev_b32_e32 v71, 2, v9
	ds_bpermute_b32 v9, v71, v8
	v_xor_b32_e32 v11, 2, v6
	v_cmp_lt_i32_e32 vcc, v11, v10
	s_waitcnt lgkmcnt(0)
	v_max_f32_e32 v9, v9, v9
	v_max_f32_e32 v9, v8, v9
	v_cndmask_b32_e32 v8, v6, v11, vcc
	v_lshlrev_b32_e32 v72, 2, v8
	ds_bpermute_b32 v11, v72, v9
	v_cmp_eq_u32_e32 vcc, 0, v70
	v_lshlrev_b32_e32 v8, 2, v5
	s_and_saveexec_b64 s[2:3], vcc
	s_cbranch_execz .LBB48_22
; %bb.21:
	s_waitcnt lgkmcnt(0)
	v_max_f32_e32 v11, v11, v11
	v_max_f32_e32 v9, v9, v9
	;; [unrolled: 1-line block ×3, first 2 shown]
	ds_write_b32 v8, v9 offset:384
.LBB48_22:
	s_or_b64 exec, exec, s[2:3]
	v_cmp_gt_u32_e64 s[2:3], 2, v70
	s_waitcnt lgkmcnt(0)
	v_mov_b32_e32 v11, 0xff7fffff
	v_lshlrev_b32_e32 v9, 2, v70
	s_barrier
	s_and_saveexec_b64 s[4:5], s[2:3]
	s_cbranch_execz .LBB48_24
; %bb.23:
	ds_read_b32 v11, v9 offset:384
.LBB48_24:
	s_or_b64 exec, exec, s[4:5]
	v_xor_b32_e32 v12, 1, v6
	v_cmp_lt_i32_e64 s[4:5], v12, v10
	v_cndmask_b32_e64 v10, v6, v12, s[4:5]
	v_lshlrev_b32_e32 v73, 2, v10
	s_waitcnt lgkmcnt(0)
	ds_bpermute_b32 v10, v73, v11
	v_max_f32_e32 v11, v11, v11
	v_lshlrev_b32_e32 v6, 2, v6
	s_sub_i32 s4, s47, s38
	s_lshl_b32 s4, s4, 5
	s_waitcnt lgkmcnt(0)
	v_max_f32_e32 v10, v10, v10
	v_max_f32_e32 v11, v11, v10
	v_and_b32_e32 v10, 0x100, v6
	ds_bpermute_b32 v6, v10, v11
	s_add_i32 s4, s4, s48
	s_min_i32 s42, s4, s29
	s_sub_i32 s15, s42, s48
	v_cmp_gt_i32_e64 s[4:5], s15, v0
	v_mov_b32_e32 v11, 0
	s_and_saveexec_b64 s[38:39], s[4:5]
	s_cbranch_execz .LBB48_28
; %bb.25:
	v_mov_b32_e32 v11, 0x190
	v_lshl_add_u32 v12, v0, 2, v11
	s_mov_b64 s[40:41], 0
	v_mov_b32_e32 v11, 0
	v_mov_b32_e32 v13, v0
.LBB48_26:                              ; =>This Inner Loop Header: Depth=1
	ds_read_b32 v14, v12
	v_add_u32_e32 v13, 0x80, v13
	v_cmp_le_i32_e64 s[10:11], s15, v13
	s_or_b64 s[40:41], s[10:11], s[40:41]
	s_waitcnt lgkmcnt(0)
	v_sub_f32_e32 v14, v14, v6
	v_mul_f32_e32 v14, 0x3fb8aa3b, v14
	v_exp_f32_e32 v14, v14
	ds_write_b32 v12, v14
	v_add_f32_e32 v11, v11, v14
	v_add_u32_e32 v12, 0x200, v12
	s_andn2_b64 exec, exec, s[40:41]
	s_cbranch_execnz .LBB48_26
; %bb.27:
	s_or_b64 exec, exec, s[40:41]
.LBB48_28:
	s_or_b64 exec, exec, s[38:39]
	ds_bpermute_b32 v2, v2, v11
	s_waitcnt lgkmcnt(0)
	v_add_f32_e32 v2, v11, v2
	ds_bpermute_b32 v3, v3, v2
	s_waitcnt lgkmcnt(0)
	v_add_f32_e32 v2, v2, v3
	;; [unrolled: 3-line block ×6, first 2 shown]
	s_and_saveexec_b64 s[10:11], vcc
	s_cbranch_execz .LBB48_30
; %bb.29:
	ds_write_b32 v8, v2 offset:392
.LBB48_30:
	s_or_b64 exec, exec, s[10:11]
	s_waitcnt lgkmcnt(0)
	s_barrier
	s_and_saveexec_b64 s[10:11], s[2:3]
	s_cbranch_execz .LBB48_32
; %bb.31:
	ds_read_b32 v2, v9 offset:392
.LBB48_32:
	s_or_b64 exec, exec, s[10:11]
	s_waitcnt lgkmcnt(0)
	ds_bpermute_b32 v3, v73, v2
	s_waitcnt lgkmcnt(0)
	v_add_f32_e32 v2, v2, v3
	ds_bpermute_b32 v7, v10, v2
	s_and_saveexec_b64 s[2:3], s[4:5]
	s_cbranch_execz .LBB48_45
; %bb.33:
	s_waitcnt lgkmcnt(0)
	v_add_f32_e32 v2, 0x358637bd, v7
	v_div_scale_f32 v3, s[4:5], v2, v2, 1.0
	v_rcp_f32_e32 v8, v3
	v_div_scale_f32 v9, vcc, 1.0, v2, 1.0
	s_movk_i32 s4, 0x7f
	v_fma_f32 v10, -v3, v8, 1.0
	v_fmac_f32_e32 v8, v10, v8
	v_mul_f32_e32 v10, v9, v8
	v_fma_f32 v11, -v3, v10, v9
	v_fmac_f32_e32 v10, v11, v8
	v_fma_f32 v3, -v3, v10, v9
	v_div_fmas_f32 v3, v3, v8, v10
	v_div_fixup_f32 v2, v3, v2, 1.0
	v_xad_u32 v3, v0, -1, s42
	v_subrev_u32_e32 v8, s48, v3
	v_cmp_lt_u32_e32 vcc, s4, v8
	s_mov_b64 s[10:11], -1
	v_mov_b32_e32 v3, v0
	s_and_saveexec_b64 s[4:5], vcc
	s_cbranch_execz .LBB48_42
; %bb.34:
	v_lshrrev_b32_e32 v8, 7, v8
	v_add_u32_e32 v10, -1, v8
	v_lshrrev_b32_e32 v9, 1, v10
	v_mov_b32_e32 v3, v2
	v_add_u32_e32 v9, 1, v9
	v_cmp_lt_u32_e32 vcc, 13, v10
	v_mov_b32_e32 v12, 0
	s_and_saveexec_b64 s[10:11], vcc
	s_cbranch_execz .LBB48_38
; %bb.35:
	v_mov_b32_e32 v11, 0x190
	v_and_b32_e32 v10, -8, v9
	v_lshl_add_u32 v11, v0, 2, v11
	s_mov_b32 s40, 0
	s_mov_b64 s[38:39], 0
.LBB48_36:                              ; =>This Inner Loop Header: Depth=1
	ds_read2st64_b32 v[12:13], v11 offset1:2
	ds_read2st64_b32 v[14:15], v11 offset0:4 offset1:6
	ds_read2st64_b32 v[16:17], v11 offset0:8 offset1:10
	ds_read2st64_b32 v[18:19], v11 offset0:12 offset1:14
	v_add_u32_e32 v10, -8, v10
	s_waitcnt lgkmcnt(3)
	v_pk_mul_f32 v[12:13], v[2:3], v[12:13]
	s_waitcnt lgkmcnt(2)
	v_pk_mul_f32 v[14:15], v[2:3], v[14:15]
	ds_write2st64_b32 v11, v12, v13 offset1:2
	ds_write2st64_b32 v11, v14, v15 offset0:4 offset1:6
	ds_read2st64_b32 v[14:15], v11 offset0:16 offset1:18
	s_waitcnt lgkmcnt(4)
	v_pk_mul_f32 v[12:13], v[2:3], v[16:17]
	ds_write2st64_b32 v11, v12, v13 offset0:8 offset1:10
	s_waitcnt lgkmcnt(4)
	v_pk_mul_f32 v[12:13], v[2:3], v[18:19]
	ds_write2st64_b32 v11, v12, v13 offset0:12 offset1:14
	ds_read2st64_b32 v[12:13], v11 offset0:20 offset1:22
	s_waitcnt lgkmcnt(3)
	v_pk_mul_f32 v[14:15], v[2:3], v[14:15]
	ds_read2st64_b32 v[16:17], v11 offset0:24 offset1:26
	ds_write2st64_b32 v11, v14, v15 offset0:16 offset1:18
	ds_read2st64_b32 v[14:15], v11 offset0:28 offset1:30
	s_waitcnt lgkmcnt(3)
	v_pk_mul_f32 v[12:13], v[2:3], v[12:13]
	ds_write2st64_b32 v11, v12, v13 offset0:20 offset1:22
	s_waitcnt lgkmcnt(3)
	v_pk_mul_f32 v[12:13], v[2:3], v[16:17]
	ds_write2st64_b32 v11, v12, v13 offset0:24 offset1:26
	s_waitcnt lgkmcnt(2)
	v_pk_mul_f32 v[12:13], v[2:3], v[14:15]
	s_add_i32 s40, s40, 16
	v_cmp_eq_u32_e32 vcc, 0, v10
	ds_write2st64_b32 v11, v12, v13 offset0:28 offset1:30
	v_add_u32_e32 v11, 0x2000, v11
	s_or_b64 s[38:39], vcc, s[38:39]
	v_mov_b32_e32 v12, s40
	s_andn2_b64 exec, exec, s[38:39]
	s_cbranch_execnz .LBB48_36
; %bb.37:
	s_or_b64 exec, exec, s[38:39]
.LBB48_38:
	s_or_b64 exec, exec, s[10:11]
	v_and_b32_e32 v9, 7, v9
	v_cmp_ne_u32_e32 vcc, 0, v9
	s_and_saveexec_b64 s[10:11], vcc
	s_cbranch_execz .LBB48_41
; %bb.39:
	v_lshlrev_b32_e32 v10, 9, v12
	s_movk_i32 s38, 0x190
	v_add3_u32 v10, v10, v4, s38
	s_mov_b64 s[38:39], 0
.LBB48_40:                              ; =>This Inner Loop Header: Depth=1
	ds_read2st64_b32 v[12:13], v10 offset1:2
	v_add_u32_e32 v9, -1, v9
	v_cmp_eq_u32_e32 vcc, 0, v9
	s_or_b64 s[38:39], vcc, s[38:39]
	s_waitcnt lgkmcnt(0)
	v_pk_mul_f32 v[12:13], v[2:3], v[12:13]
	ds_write2st64_b32 v10, v12, v13 offset1:2
	v_add_u32_e32 v10, 0x400, v10
	s_andn2_b64 exec, exec, s[38:39]
	s_cbranch_execnz .LBB48_40
.LBB48_41:
	s_or_b64 exec, exec, s[10:11]
	v_add_u32_e32 v8, 1, v8
	v_and_b32_e32 v9, 0x3fffffe, v8
	v_cmp_ne_u32_e32 vcc, v8, v9
	v_lshl_add_u32 v3, v9, 7, v0
	s_orn2_b64 s[10:11], vcc, exec
.LBB48_42:
	s_or_b64 exec, exec, s[4:5]
	s_and_b64 exec, exec, s[10:11]
	s_cbranch_execz .LBB48_45
; %bb.43:
	v_mov_b32_e32 v8, 0x190
	v_lshl_add_u32 v8, v3, 2, v8
	s_mov_b64 s[4:5], 0
.LBB48_44:                              ; =>This Inner Loop Header: Depth=1
	ds_read_b32 v9, v8
	v_add_u32_e32 v3, 0x80, v3
	v_cmp_le_i32_e32 vcc, s15, v3
	s_or_b64 s[4:5], vcc, s[4:5]
	s_waitcnt lgkmcnt(0)
	v_mul_f32_e32 v9, v2, v9
	ds_write_b32 v8, v9
	v_add_u32_e32 v8, 0x200, v8
	s_andn2_b64 exec, exec, s[4:5]
	s_cbranch_execnz .LBB48_44
.LBB48_45:
	s_or_b64 exec, exec, s[2:3]
	s_mul_i32 s2, s16, s28
	v_cmp_eq_u32_e32 vcc, 0, v0
	s_mul_i32 s2, s2, s9
	s_waitcnt lgkmcnt(0)
	s_barrier
	s_and_saveexec_b64 s[4:5], vcc
	s_cbranch_execz .LBB48_47
; %bb.46:
	s_ashr_i32 s3, s2, 31
	s_lshl_b64 s[10:11], s[2:3], 2
	s_add_u32 s3, s22, s10
	s_mul_i32 s22, s16, s6
	s_addc_u32 s9, s23, s11
	s_ashr_i32 s23, s22, 31
	s_lshl_b64 s[22:23], s[22:23], 2
	s_add_u32 s3, s3, s22
	s_addc_u32 s6, s9, s23
	s_ashr_i32 s9, s8, 31
	s_lshl_b64 s[38:39], s[8:9], 2
	s_add_u32 s40, s3, s38
	s_addc_u32 s41, s6, s39
	s_add_u32 s3, s20, s10
	s_addc_u32 s6, s21, s11
	;; [unrolled: 2-line block ×3, first 2 shown]
	s_add_u32 s10, s3, s38
	v_mov_b32_e32 v2, 0
	s_addc_u32 s11, s6, s39
	global_store_dword v2, v6, s[40:41]
	global_store_dword v2, v7, s[10:11]
.LBB48_47:
	s_or_b64 exec, exec, s[4:5]
	v_mov_b32_e32 v57, 0
	v_and_b32_e32 v74, 7, v0
	v_mov_b32_e32 v56, 0
	v_mov_b32_e32 v59, 0
	;; [unrolled: 1-line block ×11, first 2 shown]
	s_and_saveexec_b64 s[4:5], s[0:1]
	s_cbranch_execz .LBB48_77
; %bb.48:
	s_ashr_i32 s15, s14, 31
	s_sub_i32 s3, s12, s17
	s_lshl_b64 s[0:1], s[14:15], 2
	s_add_u32 s14, s36, s0
	s_addc_u32 s15, s37, s1
	s_abs_i32 s18, s18
	v_cvt_f32_u32_e32 v3, s18
	s_sub_i32 s0, 0, s18
	s_add_i32 s17, s7, -1
	v_lshlrev_b64 v[20:21], 2, v[54:55]
	v_rcp_iflag_f32_e32 v3, v3
	v_and_b32_e32 v2, 0xfc, v4
	v_and_b32_e32 v75, 28, v4
	v_mov_b32_e32 v57, 0
	v_mul_f32_e32 v3, 0x4f7ffffe, v3
	v_cvt_u32_f32_e32 v3, v3
	v_or_b32_e32 v4, 0x400, v2
	v_or_b32_e32 v6, 0x500, v2
	;; [unrolled: 1-line block ×3, first 2 shown]
	v_mul_lo_u32 v7, s0, v3
	s_lshl_b64 s[0:1], s[34:35], 2
	s_add_u32 s0, s30, s0
	v_mul_hi_u32 v7, v3, v7
	s_addc_u32 s1, s31, s1
	v_add_u32_e32 v76, v3, v7
	v_mov_b32_e32 v3, s1
	v_add_co_u32_e32 v68, vcc, s0, v20
	v_addc_co_u32_e32 v69, vcc, v3, v21, vcc
	v_lshlrev_b32_e32 v3, 4, v74
	v_or_b32_e32 v10, 0x700, v2
	v_or_b32_e32 v12, 0x800, v2
	;; [unrolled: 1-line block ×5, first 2 shown]
	v_lshl_or_b32 v3, v5, 7, v3
	s_mov_b32 s9, s13
	v_add_u32_e32 v55, 0x190, v3
	s_mov_b64 s[6:7], 0
	v_lshlrev_b32_e32 v77, 2, v2
	v_lshlrev_b32_e32 v78, 2, v4
	;; [unrolled: 1-line block ×9, first 2 shown]
	v_mov_b32_e32 v56, v57
	v_mov_b32_e32 v59, v57
	v_mov_b32_e32 v58, v57
	v_mov_b32_e32 v61, v57
	v_mov_b32_e32 v60, v57
	v_mov_b32_e32 v63, v57
	v_mov_b32_e32 v62, v57
	v_mov_b32_e32 v65, v57
	v_mov_b32_e32 v64, v57
	v_mov_b32_e32 v67, v57
	v_mov_b32_e32 v66, v57
	s_branch .LBB48_51
.LBB48_49:                              ;   in Loop: Header=BB48_51 Depth=1
	s_or_b64 exec, exec, s[0:1]
	s_waitcnt vmcnt(1) lgkmcnt(0)
	v_mul_f32_e32 v51, v3, v51
	v_mul_f32_e32 v47, v3, v47
	v_mul_f32_e32 v39, v3, v39
	v_mul_f32_e32 v35, v3, v35
	v_mul_f32_e32 v31, v3, v31
	v_mul_f32_e32 v27, v3, v27
	v_mul_f32_e32 v23, v3, v23
	v_mul_f32_e32 v19, v3, v19
	v_mul_f32_e32 v15, v3, v15
	v_mul_f32_e32 v11, v3, v11
	v_mul_f32_e32 v7, v3, v7
	s_waitcnt vmcnt(0)
	v_mul_f32_e32 v3, v3, v43
	v_fmac_f32_e32 v51, v2, v50
	v_fmac_f32_e32 v47, v2, v46
	;; [unrolled: 1-line block ×36, first 2 shown]
	v_add_f32_e32 v56, v56, v51
	v_add_f32_e32 v59, v59, v47
	;; [unrolled: 1-line block ×12, first 2 shown]
.LBB48_50:                              ;   in Loop: Header=BB48_51 Depth=1
	s_or_b64 exec, exec, s[10:11]
	v_add_co_u32_e32 v68, vcc, 8, v68
	v_add_u32_e32 v54, 2, v54
	v_addc_co_u32_e32 v69, vcc, 0, v69, vcc
	v_cmp_le_i32_e32 vcc, s47, v54
	v_add_u32_e32 v1, 64, v1
	s_or_b64 s[6:7], vcc, s[6:7]
	v_add_u32_e32 v55, 0x100, v55
	s_andn2_b64 exec, exec, s[6:7]
	s_cbranch_execz .LBB48_76
.LBB48_51:                              ; =>This Inner Loop Header: Depth=1
	v_sub_u32_e32 v3, 0, v1
	v_max_i32_e32 v3, v1, v3
	v_mul_hi_u32 v4, v3, s33
	v_mul_lo_u32 v5, v4, s25
	v_sub_u32_e32 v3, v3, v5
	v_add_u32_e32 v5, 1, v4
	v_cmp_le_u32_e32 vcc, s25, v3
	v_cndmask_b32_e32 v4, v4, v5, vcc
	v_subrev_u32_e32 v5, s25, v3
	v_cndmask_b32_e32 v3, v3, v5, vcc
	v_ashrrev_i32_e32 v2, 31, v1
	v_add_u32_e32 v5, 1, v4
	v_cmp_le_u32_e32 vcc, s25, v3
	v_xor_b32_e32 v2, s19, v2
	v_cndmask_b32_e32 v3, v4, v5, vcc
	v_xor_b32_e32 v3, v3, v2
	v_sub_u32_e32 v2, v3, v2
	v_add_u32_e32 v3, s46, v2
	v_sub_u32_e32 v5, 0, v3
	v_ashrrev_i32_e32 v4, 31, v3
	v_max_i32_e32 v3, v3, v5
	v_mul_hi_u32 v5, v3, v76
	v_mul_lo_u32 v5, v5, s18
	v_sub_u32_e32 v3, v3, v5
	v_subrev_u32_e32 v5, s18, v3
	v_cmp_le_u32_e32 vcc, s18, v3
	v_cndmask_b32_e32 v3, v3, v5, vcc
	v_subrev_u32_e32 v5, s18, v3
	v_cmp_le_u32_e32 vcc, s18, v3
	v_cndmask_b32_e32 v3, v3, v5, vcc
	v_xor_b32_e32 v3, v3, v4
	v_sub_u32_e32 v3, v3, v4
	v_cmp_eq_u32_e32 vcc, 0, v3
	v_cmp_lt_i32_e64 s[0:1], s3, v2
	s_or_b64 s[0:1], vcc, s[0:1]
	s_and_saveexec_b64 s[10:11], s[0:1]
	s_cbranch_execz .LBB48_50
; %bb.52:                               ;   in Loop: Header=BB48_51 Depth=1
	global_load_dword v2, v[68:69], off
	v_mov_b32_e32 v4, s15
	v_add_u32_e32 v86, v75, v1
	v_add_u32_e32 v89, 1, v86
	;; [unrolled: 1-line block ×4, first 2 shown]
	s_waitcnt vmcnt(0)
	v_mad_i64_i32 v[2:3], s[0:1], v2, s9, 0
	v_lshlrev_b64 v[2:3], 2, v[2:3]
	v_add_co_u32_e32 v42, vcc, s14, v2
	v_addc_co_u32_e32 v43, vcc, v4, v3, vcc
	v_add_co_u32_e32 v18, vcc, v42, v77
	v_addc_co_u32_e32 v19, vcc, 0, v43, vcc
	global_load_dwordx4 v[6:9], v[18:19], off
	ds_read_b128 v[2:5], v55
	v_cmp_eq_u32_e32 vcc, s17, v54
	s_and_saveexec_b64 s[12:13], vcc
	s_cbranch_execnz .LBB48_73
; %bb.53:                               ;   in Loop: Header=BB48_51 Depth=1
	s_or_b64 exec, exec, s[12:13]
	global_load_dwordx4 v[10:13], v[18:19], off offset:1024
	s_and_saveexec_b64 s[12:13], vcc
	s_cbranch_execnz .LBB48_74
.LBB48_54:                              ;   in Loop: Header=BB48_51 Depth=1
	s_or_b64 exec, exec, s[12:13]
	global_load_dwordx4 v[14:17], v[18:19], off offset:2048
	s_and_saveexec_b64 s[12:13], vcc
	s_cbranch_execnz .LBB48_75
.LBB48_55:                              ;   in Loop: Header=BB48_51 Depth=1
	s_or_b64 exec, exec, s[12:13]
	global_load_dwordx4 v[18:21], v[18:19], off offset:3072
	s_and_saveexec_b64 s[12:13], vcc
	s_cbranch_execz .LBB48_57
.LBB48_56:                              ;   in Loop: Header=BB48_51 Depth=1
	v_cmp_gt_i32_e64 s[0:1], s29, v86
	s_waitcnt vmcnt(0)
	v_cndmask_b32_e64 v18, 0, v18, s[0:1]
	v_cmp_gt_i32_e64 s[0:1], s29, v89
	v_cndmask_b32_e64 v19, 0, v19, s[0:1]
	v_cmp_gt_i32_e64 s[0:1], s29, v88
	;; [unrolled: 2-line block ×3, first 2 shown]
	v_cndmask_b32_e64 v21, 0, v21, s[0:1]
.LBB48_57:                              ;   in Loop: Header=BB48_51 Depth=1
	s_or_b64 exec, exec, s[12:13]
	v_add_co_u32_e64 v22, s[0:1], v42, v78
	v_addc_co_u32_e64 v23, s[0:1], 0, v43, s[0:1]
	global_load_dwordx4 v[22:25], v[22:23], off
	s_and_saveexec_b64 s[12:13], vcc
	s_cbranch_execz .LBB48_59
; %bb.58:                               ;   in Loop: Header=BB48_51 Depth=1
	v_cmp_gt_i32_e64 s[0:1], s29, v86
	s_waitcnt vmcnt(0)
	v_cndmask_b32_e64 v22, 0, v22, s[0:1]
	v_cmp_gt_i32_e64 s[0:1], s29, v89
	v_cndmask_b32_e64 v23, 0, v23, s[0:1]
	v_cmp_gt_i32_e64 s[0:1], s29, v88
	v_cndmask_b32_e64 v24, 0, v24, s[0:1]
	v_cmp_gt_i32_e64 s[0:1], s29, v87
	v_cndmask_b32_e64 v25, 0, v25, s[0:1]
.LBB48_59:                              ;   in Loop: Header=BB48_51 Depth=1
	s_or_b64 exec, exec, s[12:13]
	v_add_co_u32_e64 v26, s[0:1], v42, v79
	v_addc_co_u32_e64 v27, s[0:1], 0, v43, s[0:1]
	global_load_dwordx4 v[26:29], v[26:27], off
	s_and_saveexec_b64 s[12:13], vcc
	s_cbranch_execz .LBB48_61
; %bb.60:                               ;   in Loop: Header=BB48_51 Depth=1
	v_cmp_gt_i32_e64 s[0:1], s29, v86
	s_waitcnt vmcnt(0)
	v_cndmask_b32_e64 v26, 0, v26, s[0:1]
	v_cmp_gt_i32_e64 s[0:1], s29, v89
	v_cndmask_b32_e64 v27, 0, v27, s[0:1]
	v_cmp_gt_i32_e64 s[0:1], s29, v88
	v_cndmask_b32_e64 v28, 0, v28, s[0:1]
	v_cmp_gt_i32_e64 s[0:1], s29, v87
	v_cndmask_b32_e64 v29, 0, v29, s[0:1]
.LBB48_61:                              ;   in Loop: Header=BB48_51 Depth=1
	;; [unrolled: 17-line block ×7, first 2 shown]
	s_or_b64 exec, exec, s[12:13]
	v_add_co_u32_e64 v42, s[0:1], v42, v85
	v_addc_co_u32_e64 v43, s[0:1], 0, v43, s[0:1]
	global_load_dwordx4 v[42:45], v[42:43], off
	s_and_saveexec_b64 s[0:1], vcc
	s_cbranch_execz .LBB48_49
; %bb.72:                               ;   in Loop: Header=BB48_51 Depth=1
	v_cmp_gt_i32_e32 vcc, s29, v86
	s_waitcnt vmcnt(0)
	v_cndmask_b32_e32 v42, 0, v42, vcc
	v_cmp_gt_i32_e32 vcc, s29, v89
	v_cndmask_b32_e32 v43, 0, v43, vcc
	v_cmp_gt_i32_e32 vcc, s29, v88
	;; [unrolled: 2-line block ×3, first 2 shown]
	v_cndmask_b32_e32 v45, 0, v45, vcc
	s_branch .LBB48_49
.LBB48_73:                              ;   in Loop: Header=BB48_51 Depth=1
	v_cmp_gt_i32_e64 s[0:1], s29, v86
	s_waitcnt vmcnt(0)
	v_cndmask_b32_e64 v6, 0, v6, s[0:1]
	v_cmp_gt_i32_e64 s[0:1], s29, v89
	v_cndmask_b32_e64 v7, 0, v7, s[0:1]
	v_cmp_gt_i32_e64 s[0:1], s29, v88
	;; [unrolled: 2-line block ×3, first 2 shown]
	v_cndmask_b32_e64 v9, 0, v9, s[0:1]
	s_or_b64 exec, exec, s[12:13]
	global_load_dwordx4 v[10:13], v[18:19], off offset:1024
	s_and_saveexec_b64 s[12:13], vcc
	s_cbranch_execz .LBB48_54
.LBB48_74:                              ;   in Loop: Header=BB48_51 Depth=1
	v_cmp_gt_i32_e64 s[0:1], s29, v86
	s_waitcnt vmcnt(0)
	v_cndmask_b32_e64 v10, 0, v10, s[0:1]
	v_cmp_gt_i32_e64 s[0:1], s29, v89
	v_cndmask_b32_e64 v11, 0, v11, s[0:1]
	v_cmp_gt_i32_e64 s[0:1], s29, v88
	;; [unrolled: 2-line block ×3, first 2 shown]
	v_cndmask_b32_e64 v13, 0, v13, s[0:1]
	s_or_b64 exec, exec, s[12:13]
	global_load_dwordx4 v[14:17], v[18:19], off offset:2048
	s_and_saveexec_b64 s[12:13], vcc
	s_cbranch_execz .LBB48_55
.LBB48_75:                              ;   in Loop: Header=BB48_51 Depth=1
	v_cmp_gt_i32_e64 s[0:1], s29, v86
	s_waitcnt vmcnt(0)
	v_cndmask_b32_e64 v14, 0, v14, s[0:1]
	v_cmp_gt_i32_e64 s[0:1], s29, v89
	v_cndmask_b32_e64 v15, 0, v15, s[0:1]
	v_cmp_gt_i32_e64 s[0:1], s29, v88
	;; [unrolled: 2-line block ×3, first 2 shown]
	v_cndmask_b32_e64 v17, 0, v17, s[0:1]
	s_or_b64 exec, exec, s[12:13]
	global_load_dwordx4 v[18:21], v[18:19], off offset:3072
	s_and_saveexec_b64 s[12:13], vcc
	s_cbranch_execnz .LBB48_56
	s_branch .LBB48_57
.LBB48_76:
	s_or_b64 exec, exec, s[6:7]
.LBB48_77:
	s_or_b64 exec, exec, s[4:5]
	ds_bpermute_b32 v2, v71, v66
	ds_bpermute_b32 v3, v71, v67
	;; [unrolled: 1-line block ×6, first 2 shown]
	s_waitcnt lgkmcnt(4)
	v_pk_add_f32 v[2:3], v[66:67], v[2:3]
	ds_bpermute_b32 v6, v72, v2
	ds_bpermute_b32 v7, v72, v3
	s_waitcnt lgkmcnt(4)
	v_pk_add_f32 v[10:11], v[62:63], v[10:11]
	ds_bpermute_b32 v12, v72, v10
	ds_bpermute_b32 v13, v72, v11
	;; [unrolled: 1-line block ×3, first 2 shown]
	s_waitcnt lgkmcnt(3)
	v_pk_add_f32 v[2:3], v[2:3], v[6:7]
	ds_bpermute_b32 v6, v73, v2
	ds_bpermute_b32 v7, v73, v3
	;; [unrolled: 1-line block ×3, first 2 shown]
	v_pk_add_f32 v[4:5], v[64:65], v[4:5]
	ds_bpermute_b32 v8, v72, v4
	ds_bpermute_b32 v9, v72, v5
	s_waitcnt lgkmcnt(3)
	v_pk_add_f32 v[2:3], v[2:3], v[6:7]
	ds_bpermute_b32 v6, v71, v60
	ds_bpermute_b32 v7, v71, v61
	v_pk_add_f32 v[12:13], v[10:11], v[12:13]
	s_waitcnt lgkmcnt(4)
	v_pk_add_f32 v[10:11], v[58:59], v[16:17]
	ds_bpermute_b32 v20, v71, v56
	ds_bpermute_b32 v21, v71, v57
	s_waitcnt lgkmcnt(2)
	v_pk_add_f32 v[6:7], v[60:61], v[6:7]
	ds_bpermute_b32 v14, v72, v6
	ds_bpermute_b32 v15, v72, v7
	v_pk_add_f32 v[4:5], v[4:5], v[8:9]
	s_waitcnt lgkmcnt(2)
	v_pk_add_f32 v[20:21], v[56:57], v[20:21]
	ds_bpermute_b32 v8, v73, v4
	ds_bpermute_b32 v9, v73, v5
	s_waitcnt lgkmcnt(2)
	v_pk_add_f32 v[6:7], v[6:7], v[14:15]
	ds_bpermute_b32 v14, v72, v10
	ds_bpermute_b32 v15, v72, v11
	;; [unrolled: 1-line block ×6, first 2 shown]
	s_waitcnt lgkmcnt(4)
	v_pk_add_f32 v[14:15], v[10:11], v[14:15]
	ds_bpermute_b32 v22, v73, v14
	ds_bpermute_b32 v23, v73, v15
	;; [unrolled: 1-line block ×4, first 2 shown]
	v_pk_add_f32 v[10:11], v[4:5], v[8:9]
	s_waitcnt lgkmcnt(6)
	v_pk_add_f32 v[8:9], v[12:13], v[18:19]
	s_waitcnt lgkmcnt(4)
	;; [unrolled: 2-line block ×3, first 2 shown]
	v_pk_add_f32 v[4:5], v[14:15], v[22:23]
	ds_bpermute_b32 v14, v73, v12
	ds_bpermute_b32 v15, v73, v13
	v_and_b32_e32 v1, 0x3c7, v0
	s_waitcnt lgkmcnt(2)
	v_pk_add_f32 v[6:7], v[6:7], v[16:17]
	v_cmp_ne_u32_e32 vcc, 64, v1
	s_waitcnt lgkmcnt(0)
	s_barrier
	s_and_saveexec_b64 s[0:1], vcc
	s_xor_b64 s[0:1], exec, s[0:1]
; %bb.78:
                                        ; implicit-def: $vgpr70
; %bb.79:
	s_or_saveexec_b64 s[0:1], s[0:1]
	v_pk_add_f32 v[12:13], v[12:13], v[14:15]
	s_xor_b64 exec, exec, s[0:1]
	s_cbranch_execz .LBB48_81
; %bb.80:
	v_lshrrev_b32_e32 v14, 1, v70
	v_add_u32_e32 v14, 0x190, v14
	ds_write2_b32 v14, v2, v3 offset1:8
	ds_write2_b32 v14, v10, v11 offset0:16 offset1:24
	ds_write2_b32 v14, v8, v9 offset0:32 offset1:40
	;; [unrolled: 1-line block ×5, first 2 shown]
.LBB48_81:
	s_or_b64 exec, exec, s[0:1]
	v_cmp_gt_u32_e32 vcc, 64, v0
	s_waitcnt lgkmcnt(0)
	s_barrier
	s_and_saveexec_b64 s[0:1], vcc
	s_cbranch_execz .LBB48_96
; %bb.82:
	v_cmp_eq_u32_e32 vcc, 0, v74
	v_lshrrev_b32_e32 v14, 3, v0
	s_and_saveexec_b64 s[4:5], vcc
	s_cbranch_execnz .LBB48_99
; %bb.83:
	s_or_b64 exec, exec, s[4:5]
	s_and_saveexec_b64 s[4:5], vcc
	s_cbranch_execnz .LBB48_100
.LBB48_84:
	s_or_b64 exec, exec, s[4:5]
	s_and_saveexec_b64 s[4:5], vcc
	s_cbranch_execnz .LBB48_101
.LBB48_85:
	s_or_b64 exec, exec, s[4:5]
	s_and_saveexec_b64 s[4:5], vcc
	s_cbranch_execnz .LBB48_102
.LBB48_86:
	s_or_b64 exec, exec, s[4:5]
	s_and_saveexec_b64 s[4:5], vcc
	s_cbranch_execnz .LBB48_103
.LBB48_87:
	s_or_b64 exec, exec, s[4:5]
	s_and_saveexec_b64 s[4:5], vcc
	s_cbranch_execnz .LBB48_104
.LBB48_88:
	s_or_b64 exec, exec, s[4:5]
	s_and_saveexec_b64 s[4:5], vcc
	s_cbranch_execnz .LBB48_105
.LBB48_89:
	s_or_b64 exec, exec, s[4:5]
	s_and_saveexec_b64 s[4:5], vcc
	s_cbranch_execnz .LBB48_106
.LBB48_90:
	s_or_b64 exec, exec, s[4:5]
	s_and_saveexec_b64 s[4:5], vcc
	s_cbranch_execnz .LBB48_107
.LBB48_91:
	s_or_b64 exec, exec, s[4:5]
	s_and_saveexec_b64 s[4:5], vcc
	s_cbranch_execnz .LBB48_108
.LBB48_92:
	s_or_b64 exec, exec, s[4:5]
	s_and_saveexec_b64 s[4:5], vcc
	s_cbranch_execnz .LBB48_109
.LBB48_93:
	s_or_b64 exec, exec, s[4:5]
	s_and_saveexec_b64 s[4:5], vcc
	s_cbranch_execz .LBB48_95
.LBB48_94:
	v_mov_b32_e32 v15, 0x190
	v_lshl_add_u32 v14, v14, 2, v15
	ds_read_b32 v14, v14 offset:352
	s_waitcnt lgkmcnt(0)
	v_add_f32_e32 v13, v13, v14
.LBB48_95:
	s_or_b64 exec, exec, s[4:5]
.LBB48_96:
	s_or_b64 exec, exec, s[0:1]
	v_cmp_eq_u32_e32 vcc, 0, v1
	s_barrier
	s_and_saveexec_b64 s[0:1], vcc
	s_cbranch_execz .LBB48_98
; %bb.97:
	s_mul_i32 s0, s2, 0x60
	s_ashr_i32 s1, s0, 31
	s_lshl_b64 s[0:1], s[0:1], 2
	s_add_u32 s2, s26, s0
	s_mul_i32 s0, s16, s24
	s_addc_u32 s3, s27, s1
	s_ashr_i32 s1, s0, 31
	s_lshl_b64 s[0:1], s[0:1], 2
	s_add_u32 s2, s2, s0
	s_mul_i32 s0, s8, 0x60
	s_addc_u32 s3, s3, s1
	s_ashr_i32 s1, s0, 31
	s_lshl_b64 s[0:1], s[0:1], 2
	s_add_u32 s0, s2, s0
	s_addc_u32 s1, s3, s1
	v_lshrrev_b32_e32 v0, 1, v0
	global_store_dword v0, v2, s[0:1]
	global_store_dword v0, v3, s[0:1] offset:32
	global_store_dword v0, v10, s[0:1] offset:64
	;; [unrolled: 1-line block ×11, first 2 shown]
.LBB48_98:
	s_endpgm
.LBB48_99:
	v_mov_b32_e32 v15, 0x190
	v_lshl_add_u32 v15, v14, 2, v15
	ds_read_b32 v15, v15
	s_waitcnt lgkmcnt(0)
	v_add_f32_e32 v2, v2, v15
	s_or_b64 exec, exec, s[4:5]
	s_and_saveexec_b64 s[4:5], vcc
	s_cbranch_execz .LBB48_84
.LBB48_100:
	v_mov_b32_e32 v15, 0x190
	v_lshl_add_u32 v15, v14, 2, v15
	ds_read_b32 v15, v15 offset:32
	s_waitcnt lgkmcnt(0)
	v_add_f32_e32 v3, v3, v15
	s_or_b64 exec, exec, s[4:5]
	s_and_saveexec_b64 s[4:5], vcc
	s_cbranch_execz .LBB48_85
.LBB48_101:
	v_mov_b32_e32 v15, 0x190
	v_lshl_add_u32 v15, v14, 2, v15
	ds_read_b32 v15, v15 offset:64
	s_waitcnt lgkmcnt(0)
	v_add_f32_e32 v10, v10, v15
	s_or_b64 exec, exec, s[4:5]
	s_and_saveexec_b64 s[4:5], vcc
	s_cbranch_execz .LBB48_86
.LBB48_102:
	v_mov_b32_e32 v15, 0x190
	v_lshl_add_u32 v15, v14, 2, v15
	ds_read_b32 v15, v15 offset:96
	s_waitcnt lgkmcnt(0)
	v_add_f32_e32 v11, v11, v15
	s_or_b64 exec, exec, s[4:5]
	s_and_saveexec_b64 s[4:5], vcc
	s_cbranch_execz .LBB48_87
.LBB48_103:
	v_mov_b32_e32 v15, 0x190
	v_lshl_add_u32 v15, v14, 2, v15
	ds_read_b32 v15, v15 offset:128
	s_waitcnt lgkmcnt(0)
	v_add_f32_e32 v8, v8, v15
	s_or_b64 exec, exec, s[4:5]
	s_and_saveexec_b64 s[4:5], vcc
	s_cbranch_execz .LBB48_88
.LBB48_104:
	v_mov_b32_e32 v15, 0x190
	v_lshl_add_u32 v15, v14, 2, v15
	ds_read_b32 v15, v15 offset:160
	s_waitcnt lgkmcnt(0)
	v_add_f32_e32 v9, v9, v15
	s_or_b64 exec, exec, s[4:5]
	s_and_saveexec_b64 s[4:5], vcc
	s_cbranch_execz .LBB48_89
.LBB48_105:
	v_mov_b32_e32 v15, 0x190
	v_lshl_add_u32 v15, v14, 2, v15
	ds_read_b32 v15, v15 offset:192
	s_waitcnt lgkmcnt(0)
	v_add_f32_e32 v6, v6, v15
	s_or_b64 exec, exec, s[4:5]
	s_and_saveexec_b64 s[4:5], vcc
	s_cbranch_execz .LBB48_90
.LBB48_106:
	v_mov_b32_e32 v15, 0x190
	v_lshl_add_u32 v15, v14, 2, v15
	ds_read_b32 v15, v15 offset:224
	s_waitcnt lgkmcnt(0)
	v_add_f32_e32 v7, v7, v15
	s_or_b64 exec, exec, s[4:5]
	s_and_saveexec_b64 s[4:5], vcc
	s_cbranch_execz .LBB48_91
.LBB48_107:
	v_mov_b32_e32 v15, 0x190
	v_lshl_add_u32 v15, v14, 2, v15
	ds_read_b32 v15, v15 offset:256
	s_waitcnt lgkmcnt(0)
	v_add_f32_e32 v4, v4, v15
	s_or_b64 exec, exec, s[4:5]
	s_and_saveexec_b64 s[4:5], vcc
	s_cbranch_execz .LBB48_92
.LBB48_108:
	v_mov_b32_e32 v15, 0x190
	v_lshl_add_u32 v15, v14, 2, v15
	ds_read_b32 v15, v15 offset:288
	s_waitcnt lgkmcnt(0)
	v_add_f32_e32 v5, v5, v15
	s_or_b64 exec, exec, s[4:5]
	s_and_saveexec_b64 s[4:5], vcc
	s_cbranch_execz .LBB48_93
.LBB48_109:
	v_mov_b32_e32 v15, 0x190
	v_lshl_add_u32 v15, v14, 2, v15
	ds_read_b32 v15, v15 offset:320
	s_waitcnt lgkmcnt(0)
	v_add_f32_e32 v12, v12, v15
	s_or_b64 exec, exec, s[4:5]
	s_and_saveexec_b64 s[4:5], vcc
	s_cbranch_execnz .LBB48_94
	s_branch .LBB48_95
	.section	.rodata,"a",@progbits
	.p2align	6, 0x0
	.amdhsa_kernel _ZN4vllm25paged_attention_v2_kernelIffLi96ELi32ELi128ELNS_18Fp8KVCacheDataTypeE0ELb1ELi512EEEvPfS2_PT_PKS3_PKT0_S9_ifPKiSB_iPKfiiiSD_SD_iiiii
		.amdhsa_group_segment_fixed_size 400
		.amdhsa_private_segment_fixed_size 0
		.amdhsa_kernarg_size 400
		.amdhsa_user_sgpr_count 6
		.amdhsa_user_sgpr_private_segment_buffer 1
		.amdhsa_user_sgpr_dispatch_ptr 0
		.amdhsa_user_sgpr_queue_ptr 0
		.amdhsa_user_sgpr_kernarg_segment_ptr 1
		.amdhsa_user_sgpr_dispatch_id 0
		.amdhsa_user_sgpr_flat_scratch_init 0
		.amdhsa_user_sgpr_kernarg_preload_length 0
		.amdhsa_user_sgpr_kernarg_preload_offset 0
		.amdhsa_user_sgpr_private_segment_size 0
		.amdhsa_uses_dynamic_stack 0
		.amdhsa_system_sgpr_private_segment_wavefront_offset 0
		.amdhsa_system_sgpr_workgroup_id_x 1
		.amdhsa_system_sgpr_workgroup_id_y 1
		.amdhsa_system_sgpr_workgroup_id_z 1
		.amdhsa_system_sgpr_workgroup_info 0
		.amdhsa_system_vgpr_workitem_id 0
		.amdhsa_next_free_vgpr 106
		.amdhsa_next_free_sgpr 54
		.amdhsa_accum_offset 108
		.amdhsa_reserve_vcc 1
		.amdhsa_reserve_flat_scratch 0
		.amdhsa_float_round_mode_32 0
		.amdhsa_float_round_mode_16_64 0
		.amdhsa_float_denorm_mode_32 3
		.amdhsa_float_denorm_mode_16_64 3
		.amdhsa_dx10_clamp 1
		.amdhsa_ieee_mode 1
		.amdhsa_fp16_overflow 0
		.amdhsa_tg_split 0
		.amdhsa_exception_fp_ieee_invalid_op 0
		.amdhsa_exception_fp_denorm_src 0
		.amdhsa_exception_fp_ieee_div_zero 0
		.amdhsa_exception_fp_ieee_overflow 0
		.amdhsa_exception_fp_ieee_underflow 0
		.amdhsa_exception_fp_ieee_inexact 0
		.amdhsa_exception_int_div_zero 0
	.end_amdhsa_kernel
	.section	.text._ZN4vllm25paged_attention_v2_kernelIffLi96ELi32ELi128ELNS_18Fp8KVCacheDataTypeE0ELb1ELi512EEEvPfS2_PT_PKS3_PKT0_S9_ifPKiSB_iPKfiiiSD_SD_iiiii,"axG",@progbits,_ZN4vllm25paged_attention_v2_kernelIffLi96ELi32ELi128ELNS_18Fp8KVCacheDataTypeE0ELb1ELi512EEEvPfS2_PT_PKS3_PKT0_S9_ifPKiSB_iPKfiiiSD_SD_iiiii,comdat
.Lfunc_end48:
	.size	_ZN4vllm25paged_attention_v2_kernelIffLi96ELi32ELi128ELNS_18Fp8KVCacheDataTypeE0ELb1ELi512EEEvPfS2_PT_PKS3_PKT0_S9_ifPKiSB_iPKfiiiSD_SD_iiiii, .Lfunc_end48-_ZN4vllm25paged_attention_v2_kernelIffLi96ELi32ELi128ELNS_18Fp8KVCacheDataTypeE0ELb1ELi512EEEvPfS2_PT_PKS3_PKT0_S9_ifPKiSB_iPKfiiiSD_SD_iiiii
                                        ; -- End function
	.section	.AMDGPU.csdata,"",@progbits
; Kernel info:
; codeLenInByte = 7264
; NumSgprs: 58
; NumVgprs: 106
; NumAgprs: 0
; TotalNumVgprs: 106
; ScratchSize: 0
; MemoryBound: 0
; FloatMode: 240
; IeeeMode: 1
; LDSByteSize: 400 bytes/workgroup (compile time only)
; SGPRBlocks: 7
; VGPRBlocks: 13
; NumSGPRsForWavesPerEU: 58
; NumVGPRsForWavesPerEU: 106
; AccumOffset: 108
; Occupancy: 4
; WaveLimiterHint : 1
; COMPUTE_PGM_RSRC2:SCRATCH_EN: 0
; COMPUTE_PGM_RSRC2:USER_SGPR: 6
; COMPUTE_PGM_RSRC2:TRAP_HANDLER: 0
; COMPUTE_PGM_RSRC2:TGID_X_EN: 1
; COMPUTE_PGM_RSRC2:TGID_Y_EN: 1
; COMPUTE_PGM_RSRC2:TGID_Z_EN: 1
; COMPUTE_PGM_RSRC2:TIDIG_COMP_CNT: 0
; COMPUTE_PGM_RSRC3_GFX90A:ACCUM_OFFSET: 26
; COMPUTE_PGM_RSRC3_GFX90A:TG_SPLIT: 0
	.section	.text._ZN4vllm25paged_attention_v2_kernelIffLi112ELi32ELi128ELNS_18Fp8KVCacheDataTypeE0ELb1ELi512EEEvPfS2_PT_PKS3_PKT0_S9_ifPKiSB_iPKfiiiSD_SD_iiiii,"axG",@progbits,_ZN4vllm25paged_attention_v2_kernelIffLi112ELi32ELi128ELNS_18Fp8KVCacheDataTypeE0ELb1ELi512EEEvPfS2_PT_PKS3_PKT0_S9_ifPKiSB_iPKfiiiSD_SD_iiiii,comdat
	.protected	_ZN4vllm25paged_attention_v2_kernelIffLi112ELi32ELi128ELNS_18Fp8KVCacheDataTypeE0ELb1ELi512EEEvPfS2_PT_PKS3_PKT0_S9_ifPKiSB_iPKfiiiSD_SD_iiiii ; -- Begin function _ZN4vllm25paged_attention_v2_kernelIffLi112ELi32ELi128ELNS_18Fp8KVCacheDataTypeE0ELb1ELi512EEEvPfS2_PT_PKS3_PKT0_S9_ifPKiSB_iPKfiiiSD_SD_iiiii
	.globl	_ZN4vllm25paged_attention_v2_kernelIffLi112ELi32ELi128ELNS_18Fp8KVCacheDataTypeE0ELb1ELi512EEEvPfS2_PT_PKS3_PKT0_S9_ifPKiSB_iPKfiiiSD_SD_iiiii
	.p2align	8
	.type	_ZN4vllm25paged_attention_v2_kernelIffLi112ELi32ELi128ELNS_18Fp8KVCacheDataTypeE0ELb1ELi512EEEvPfS2_PT_PKS3_PKT0_S9_ifPKiSB_iPKfiiiSD_SD_iiiii,@function
_ZN4vllm25paged_attention_v2_kernelIffLi112ELi32ELi128ELNS_18Fp8KVCacheDataTypeE0ELb1ELi512EEEvPfS2_PT_PKS3_PKT0_S9_ifPKiSB_iPKfiiiSD_SD_iiiii: ; @_ZN4vllm25paged_attention_v2_kernelIffLi112ELi32ELi128ELNS_18Fp8KVCacheDataTypeE0ELb1ELi512EEEvPfS2_PT_PKS3_PKT0_S9_ifPKiSB_iPKfiiiSD_SD_iiiii
; %bb.0:
	s_load_dwordx2 s[0:1], s[4:5], 0x40
	s_mov_b32 s28, s7
	s_ashr_i32 s29, s7, 31
	s_lshl_b64 s[2:3], s[28:29], 2
	s_waitcnt lgkmcnt(0)
	s_add_u32 s0, s0, s2
	s_addc_u32 s1, s1, s3
	s_load_dword s29, s[0:1], 0x0
	s_lshl_b32 s48, s8, 9
	s_waitcnt lgkmcnt(0)
	s_cmp_ge_i32 s48, s29
	s_cbranch_scc1 .LBB49_104
; %bb.1:
	s_load_dword s9, s[4:5], 0x90
	s_load_dwordx2 s[38:39], s[4:5], 0x30
	s_mov_b32 s49, 0
	s_waitcnt lgkmcnt(0)
	s_abs_i32 s2, s9
	s_abs_i32 s0, s38
	v_cvt_f32_u32_e32 v1, s0
	s_sub_i32 s3, 0, s0
	s_xor_b32 s1, s9, s38
	s_ashr_i32 s1, s1, 31
	v_rcp_iflag_f32_e32 v1, v1
	v_mul_f32_e32 v1, 0x4f7ffffe, v1
	v_cvt_u32_f32_e32 v1, v1
	v_readfirstlane_b32 s7, v1
	s_mul_i32 s3, s3, s7
	s_mul_hi_u32 s3, s7, s3
	s_add_i32 s7, s7, s3
	s_mul_hi_u32 s3, s2, s7
	s_mul_i32 s7, s3, s0
	s_sub_i32 s2, s2, s7
	s_add_i32 s10, s3, 1
	s_sub_i32 s7, s2, s0
	s_cmp_ge_u32 s2, s0
	s_cselect_b32 s3, s10, s3
	s_cselect_b32 s2, s7, s2
	s_add_i32 s7, s3, 1
	s_cmp_ge_u32 s2, s0
	s_cselect_b32 s0, s7, s3
	s_xor_b32 s0, s0, s1
	s_sub_i32 s11, s0, s1
	s_abs_i32 s2, s11
	v_cvt_f32_u32_e32 v1, s2
	s_load_dwordx2 s[0:1], s[4:5], 0x50
	s_sub_i32 s7, 0, s2
	s_abs_i32 s3, s6
	v_rcp_iflag_f32_e32 v1, v1
	v_mul_f32_e32 v1, 0x4f7ffffe, v1
	v_cvt_u32_f32_e32 v1, v1
	v_readfirstlane_b32 s10, v1
	s_mul_i32 s7, s7, s10
	s_mul_hi_u32 s7, s10, s7
	s_add_i32 s10, s10, s7
	s_waitcnt lgkmcnt(0)
	s_cmp_eq_u64 s[0:1], 0
	s_mul_hi_u32 s10, s3, s10
	s_cbranch_scc1 .LBB49_3
; %bb.2:
	s_ashr_i32 s7, s6, 31
	s_lshl_b64 s[12:13], s[6:7], 2
	s_add_u32 s0, s0, s12
	s_addc_u32 s1, s1, s13
	s_load_dword s49, s[0:1], 0x0
.LBB49_3:
	s_load_dwordx4 s[12:15], s[4:5], 0x58
	s_ashr_i32 s7, s6, 31
	s_ashr_i32 s11, s11, 31
	v_and_b32_e32 v2, 1, v0
	s_mul_i32 s24, s6, 0x70
	v_cmp_gt_u32_e32 vcc, 56, v0
	v_lshlrev_b32_e32 v3, 3, v0
	v_lshlrev_b32_e32 v32, 2, v0
	s_and_saveexec_b64 s[0:1], vcc
	s_cbranch_execz .LBB49_5
; %bb.4:
	s_load_dwordx2 s[16:17], s[4:5], 0x18
	s_waitcnt lgkmcnt(0)
	s_mul_i32 s18, s28, s12
	s_ashr_i32 s19, s18, 31
	s_lshl_b64 s[18:19], s[18:19], 2
	v_and_b32_e32 v1, 0xff8, v32
	s_add_u32 s12, s16, s18
	s_addc_u32 s15, s17, s19
	s_ashr_i32 s25, s24, 31
	s_lshl_b64 s[16:17], s[24:25], 2
	s_add_u32 s16, s12, s16
	s_addc_u32 s17, s15, s17
	global_load_dwordx2 v[4:5], v3, s[16:17]
	s_movk_i32 s12, 0xe0
	v_mad_u32_u24 v1, v2, s12, v1
	s_waitcnt vmcnt(0)
	ds_write_b64 v1, v[4:5]
.LBB49_5:
	s_or_b64 exec, exec, s[0:1]
	s_mul_i32 s1, s10, s2
	s_sub_i32 s1, s3, s1
	s_xor_b32 s0, s7, s11
	s_add_i32 s3, s10, 1
	s_sub_i32 s7, s1, s2
	s_load_dwordx4 s[16:19], s[4:5], 0x78
	s_cmp_ge_u32 s1, s2
	s_cselect_b32 s3, s3, s10
	s_load_dword s10, s[4:5], 0x88
	s_cselect_b32 s1, s7, s1
	s_add_i32 s7, s3, 1
	s_cmp_ge_u32 s1, s2
	s_cselect_b32 s1, s7, s3
	s_waitcnt lgkmcnt(0)
	s_abs_i32 s25, s19
	v_cvt_f32_u32_e32 v1, s25
	s_xor_b32 s1, s1, s0
	s_sub_i32 s2, s1, s0
	s_sub_i32 s0, 0, s25
	v_rcp_iflag_f32_e32 v1, v1
	s_add_i32 s11, s29, -1
	s_abs_i32 s3, s11
	v_mul_f32_e32 v1, 0x4f7ffffe, v1
	v_cvt_u32_f32_e32 v1, v1
	s_barrier
	v_readfirstlane_b32 s33, v1
	s_mul_i32 s0, s0, s33
	s_mul_hi_u32 s0, s33, s0
	s_add_i32 s33, s33, s0
	s_cmp_lt_i32 s10, 0
	s_mul_hi_u32 s7, s3, s33
	s_cbranch_scc0 .LBB49_7
; %bb.6:
	s_mul_i32 s0, s16, s38
	s_add_i32 s0, s2, s0
	s_mul_i32 s0, s0, s10
	s_sub_i32 s46, 1, s0
	s_mov_b64 s[0:1], 0
	s_branch .LBB49_8
.LBB49_7:
	s_mov_b64 s[0:1], -1
                                        ; implicit-def: $sgpr46
.LBB49_8:
	s_load_dwordx2 s[30:31], s[4:5], 0x38
	s_ashr_i32 s11, s11, 31
	s_andn2_b64 vcc, exec, s[0:1]
	s_ashr_i32 s19, s19, 31
	s_cbranch_vccnz .LBB49_10
; %bb.9:
	s_mul_i32 s0, s9, s16
	s_add_i32 s0, s0, s6
	s_mul_i32 s0, s0, s10
	s_add_i32 s46, s0, 1
.LBB49_10:
	s_load_dword s0, s[4:5], 0x48
	s_load_dwordx2 s[36:37], s[4:5], 0x28
	s_load_dword s16, s[4:5], 0x98
	s_load_dwordx4 s[20:23], s[4:5], 0x0
	s_load_dwordx2 s[26:27], s[4:5], 0x10
	s_mul_i32 s1, s7, s25
	s_waitcnt lgkmcnt(0)
	s_mul_i32 s34, s28, s0
	s_sub_i32 s1, s3, s1
	s_ashr_i32 s35, s34, 31
	s_xor_b32 s0, s11, s19
	s_add_i32 s3, s7, 1
	s_sub_i32 s10, s1, s25
	s_cmp_ge_u32 s1, s25
	s_cselect_b32 s3, s3, s7
	s_cselect_b32 s1, s10, s1
	s_add_i32 s7, s3, 1
	s_cmp_ge_u32 s1, s25
	s_cselect_b32 s1, s7, s3
	s_xor_b32 s1, s1, s0
	s_sub_i32 s12, s1, s0
	s_add_i32 s0, s29, 31
	s_ashr_i32 s1, s0, 31
	s_lshr_b32 s1, s1, 27
	s_add_i32 s0, s0, s1
	s_lshl_b32 s38, s8, 4
	s_ashr_i32 s7, s0, 5
	s_add_i32 s0, s38, 16
	v_lshrrev_b32_e32 v33, 6, v0
	s_min_i32 s47, s0, s7
	v_or_b32_e32 v62, s38, v33
	v_cmp_gt_i32_e64 s[0:1], s47, v62
	v_mov_b32_e32 v40, 0xff7fffff
	s_mul_i32 s14, s2, s14
	v_ashrrev_i32_e32 v63, 31, v62
	v_lshl_add_u32 v1, v33, 5, s48
	v_mbcnt_lo_u32_b32 v34, -1, 0
	s_and_saveexec_b64 s[40:41], s[0:1]
	s_cbranch_execz .LBB49_20
; %bb.11:
	s_load_dwordx2 s[2:3], s[4:5], 0x20
	s_ashr_i32 s15, s14, 31
	s_sub_i32 s50, s12, s17
	s_lshl_b64 s[4:5], s[14:15], 2
	v_bfe_u32 v35, v0, 1, 5
	s_waitcnt lgkmcnt(0)
	s_add_u32 s2, s2, s4
	s_addc_u32 s3, s3, s5
	s_abs_i32 s15, s18
	v_cvt_f32_u32_e32 v7, s15
	v_lshlrev_b32_e32 v5, 4, v35
	v_mov_b32_e32 v6, s3
	v_add_co_u32_e64 v5, s[2:3], s2, v5
	v_rcp_iflag_f32_e32 v7, v7
	v_addc_co_u32_e64 v6, s[2:3], 0, v6, s[2:3]
	v_and_b32_e32 v3, 8, v3
	v_add_co_u32_e64 v36, s[2:3], v5, v3
	v_mul_f32_e32 v3, 0x4f7ffffe, v7
	v_cvt_u32_f32_e32 v3, v3
	s_sub_i32 s4, 0, s15
	v_cmp_eq_u32_e32 vcc, 0, v2
	v_lshlrev_b32_e32 v4, 2, v35
	v_mul_u32_u24_e32 v38, 0xe0, v2
	v_mul_lo_u32 v2, s4, v3
	s_lshl_b64 s[4:5], s[34:35], 2
	v_mul_hi_u32 v2, v3, v2
	s_add_u32 s4, s30, s4
	v_lshl_or_b32 v4, v33, 7, v4
	v_add_u32_e32 v39, v3, v2
	v_lshlrev_b64 v[2:3], 2, v[62:63]
	s_addc_u32 s5, s31, s5
	v_add_u32_e32 v42, 0x1d0, v4
	v_subrev_u32_e32 v4, s29, v35
	v_mbcnt_hi_u32_b32 v45, -1, v34
	v_addc_co_u32_e64 v37, s[2:3], 0, v6, s[2:3]
	v_mov_b32_e32 v5, s5
	v_add_co_u32_e64 v2, s[4:5], s4, v2
	v_add_u32_e32 v43, 1, v4
	v_and_b32_e32 v4, 64, v45
	s_mov_b32 s51, s13
	v_cmp_neq_f32_e64 s[2:3], s49, 0
	v_addc_co_u32_e64 v3, s[4:5], v5, v3, s[4:5]
	v_lshl_add_u32 v41, v33, 5, s48
	s_mov_b64 s[42:43], 0
	v_mov_b32_e32 v44, 0xff7fffff
	s_movk_i32 s52, 0x1000
	s_movk_i32 s53, 0x2000
	;; [unrolled: 1-line block ×3, first 2 shown]
	v_xor_b32_e32 v46, 1, v45
	v_add_u32_e32 v47, 64, v4
	v_mov_b32_e32 v40, 0xff7fffff
	v_mov_b32_e32 v48, v62
	s_branch .LBB49_14
.LBB49_12:                              ;   in Loop: Header=BB49_14 Depth=1
	s_or_b64 exec, exec, s[44:45]
.LBB49_13:                              ;   in Loop: Header=BB49_14 Depth=1
	s_or_b64 exec, exec, s[10:11]
	v_add_co_u32_e64 v2, s[4:5], 8, v2
	v_add_u32_e32 v48, 2, v48
	v_addc_co_u32_e64 v3, s[4:5], 0, v3, s[4:5]
	v_cmp_le_i32_e64 s[4:5], s47, v48
	v_add_u32_e32 v41, 64, v41
	s_or_b64 s[42:43], s[4:5], s[42:43]
	v_add_u32_e32 v42, 0x100, v42
	s_andn2_b64 exec, exec, s[42:43]
	s_cbranch_execz .LBB49_19
.LBB49_14:                              ; =>This Inner Loop Header: Depth=1
	s_waitcnt lgkmcnt(0)
	v_sub_u32_e32 v5, 0, v41
	v_max_i32_e32 v5, v41, v5
	v_mul_hi_u32 v6, v5, s33
	v_mul_lo_u32 v7, v6, s25
	v_sub_u32_e32 v5, v5, v7
	v_add_u32_e32 v7, 1, v6
	v_cmp_le_u32_e64 s[4:5], s25, v5
	v_cndmask_b32_e64 v6, v6, v7, s[4:5]
	v_subrev_u32_e32 v7, s25, v5
	v_cndmask_b32_e64 v5, v5, v7, s[4:5]
	v_ashrrev_i32_e32 v4, 31, v41
	v_add_u32_e32 v7, 1, v6
	v_cmp_le_u32_e64 s[4:5], s25, v5
	v_xor_b32_e32 v4, s19, v4
	v_cndmask_b32_e64 v5, v6, v7, s[4:5]
	v_xor_b32_e32 v5, v5, v4
	v_sub_u32_e32 v4, v5, v4
	v_add_u32_e32 v5, s46, v4
	v_sub_u32_e32 v7, 0, v5
	v_ashrrev_i32_e32 v6, 31, v5
	v_max_i32_e32 v5, v5, v7
	v_mul_hi_u32 v7, v5, v39
	v_mul_lo_u32 v7, v7, s15
	v_sub_u32_e32 v5, v5, v7
	v_subrev_u32_e32 v7, s15, v5
	v_cmp_le_u32_e64 s[4:5], s15, v5
	v_cndmask_b32_e64 v5, v5, v7, s[4:5]
	v_subrev_u32_e32 v7, s15, v5
	v_cmp_le_u32_e64 s[4:5], s15, v5
	v_cndmask_b32_e64 v5, v5, v7, s[4:5]
	v_xor_b32_e32 v5, v5, v6
	v_sub_u32_e32 v5, v5, v6
	v_cmp_ne_u32_e64 s[4:5], 0, v5
	v_cmp_ge_i32_e64 s[10:11], s50, v4
	s_and_b64 s[4:5], s[4:5], s[10:11]
	s_and_b64 s[44:45], vcc, s[4:5]
	s_and_saveexec_b64 s[10:11], s[44:45]
	s_cbranch_execz .LBB49_16
; %bb.15:                               ;   in Loop: Header=BB49_14 Depth=1
	ds_write_b32 v42, v44
.LBB49_16:                              ;   in Loop: Header=BB49_14 Depth=1
	s_or_b64 exec, exec, s[10:11]
	s_xor_b64 s[4:5], s[4:5], -1
	s_and_saveexec_b64 s[10:11], s[4:5]
	s_cbranch_execz .LBB49_13
; %bb.17:                               ;   in Loop: Header=BB49_14 Depth=1
	global_load_dword v4, v[2:3], off
	s_waitcnt vmcnt(0)
	v_mad_i64_i32 v[4:5], s[4:5], v4, s51, 0
	v_lshlrev_b64 v[4:5], 2, v[4:5]
	v_add_co_u32_e64 v14, s[4:5], v36, v4
	v_addc_co_u32_e64 v15, s[4:5], v37, v5, s[4:5]
	global_load_dwordx2 v[8:9], v[14:15], off offset:512
	global_load_dwordx2 v[16:17], v[14:15], off
	global_load_dwordx2 v[18:19], v[14:15], off offset:1024
	global_load_dwordx2 v[20:21], v[14:15], off offset:1536
	;; [unrolled: 1-line block ×6, first 2 shown]
	v_add_co_u32_e64 v60, s[4:5], s53, v14
	v_addc_co_u32_e64 v61, s[4:5], 0, v15, s[4:5]
	global_load_dwordx2 v[64:65], v[60:61], off offset:-4096
	v_add_co_u32_e64 v66, s[4:5], s52, v14
	v_addc_co_u32_e64 v67, s[4:5], 0, v15, s[4:5]
	global_load_dwordx2 v[68:69], v[66:67], off offset:512
	global_load_dwordx2 v[70:71], v[66:67], off offset:1024
	global_load_dwordx2 v[72:73], v[66:67], off offset:1536
	global_load_dwordx2 v[28:29], v[66:67], off offset:2048
	ds_read_b128 v[4:7], v38
	global_load_dwordx2 v[30:31], v[66:67], off offset:2560
	ds_read_b128 v[10:13], v38 offset:16
	ds_read_b128 v[22:25], v38 offset:32
	;; [unrolled: 1-line block ×3, first 2 shown]
	global_load_dwordx2 v[74:75], v[66:67], off offset:3072
	global_load_dwordx2 v[76:77], v[66:67], off offset:3584
	s_waitcnt vmcnt(15) lgkmcnt(3)
	v_mul_f32_e32 v49, v6, v8
	v_mul_f32_e32 v78, v7, v9
	s_waitcnt vmcnt(14)
	v_fmac_f32_e32 v49, v4, v16
	v_fmac_f32_e32 v78, v5, v17
	s_waitcnt vmcnt(13) lgkmcnt(2)
	v_fmac_f32_e32 v49, v10, v18
	v_fmac_f32_e32 v78, v11, v19
	global_load_dwordx2 v[10:11], v[60:61], off
	global_load_dwordx2 v[8:9], v[60:61], off offset:512
	global_load_dwordx2 v[6:7], v[60:61], off offset:1024
	;; [unrolled: 1-line block ×3, first 2 shown]
	s_waitcnt vmcnt(16)
	v_fmac_f32_e32 v49, v12, v20
	v_fmac_f32_e32 v78, v13, v21
	global_load_dwordx2 v[12:13], v[60:61], off offset:2048
	v_add_co_u32_e64 v20, s[4:5], s54, v14
	v_addc_co_u32_e64 v21, s[4:5], 0, v15, s[4:5]
	global_load_dwordx2 v[18:19], v[60:61], off offset:2560
	global_load_dwordx2 v[16:17], v[60:61], off offset:3072
	global_load_dwordx2 v[14:15], v[60:61], off offset:3584
	s_waitcnt vmcnt(19) lgkmcnt(1)
	v_fmac_f32_e32 v49, v22, v26
	v_fmac_f32_e32 v78, v23, v27
	global_load_dwordx2 v[22:23], v[20:21], off
	s_waitcnt vmcnt(19)
	v_fmac_f32_e32 v49, v24, v54
	v_fmac_f32_e32 v78, v25, v55
	global_load_dwordx2 v[26:27], v[20:21], off offset:512
	global_load_dwordx2 v[24:25], v[20:21], off offset:1024
	s_nop 0
	global_load_dwordx2 v[20:21], v[20:21], off offset:1536
	s_waitcnt vmcnt(21) lgkmcnt(0)
	v_fmac_f32_e32 v49, v50, v56
	v_fmac_f32_e32 v78, v51, v57
	ds_read_b128 v[54:57], v38 offset:64
	s_waitcnt vmcnt(20)
	v_fmac_f32_e32 v49, v52, v58
	v_fmac_f32_e32 v78, v53, v59
	ds_read_b128 v[50:53], v38 offset:80
	v_cmp_lt_i32_e64 s[4:5], v46, v47
	s_waitcnt vmcnt(19) lgkmcnt(1)
	v_fmac_f32_e32 v49, v54, v64
	v_fmac_f32_e32 v78, v55, v65
	s_waitcnt vmcnt(18)
	v_fmac_f32_e32 v49, v56, v68
	v_fmac_f32_e32 v78, v57, v69
	ds_read_b128 v[54:57], v38 offset:96
	ds_read_b128 v[58:61], v38 offset:112
	s_waitcnt vmcnt(17) lgkmcnt(2)
	v_fmac_f32_e32 v49, v50, v70
	v_fmac_f32_e32 v78, v51, v71
	s_waitcnt vmcnt(16)
	v_fmac_f32_e32 v49, v52, v72
	v_fmac_f32_e32 v78, v53, v73
	ds_read_b128 v[50:53], v38 offset:128
	ds_read_b128 v[64:67], v38 offset:144
	s_waitcnt vmcnt(15) lgkmcnt(3)
	v_fmac_f32_e32 v49, v54, v28
	v_fmac_f32_e32 v78, v55, v29
	s_waitcnt vmcnt(14)
	v_fmac_f32_e32 v49, v56, v30
	v_fmac_f32_e32 v78, v57, v31
	s_waitcnt vmcnt(13) lgkmcnt(2)
	v_fmac_f32_e32 v49, v58, v74
	v_fmac_f32_e32 v78, v59, v75
	s_waitcnt vmcnt(12)
	v_fmac_f32_e32 v49, v60, v76
	v_fmac_f32_e32 v78, v61, v77
	ds_read_b128 v[28:31], v38 offset:160
	ds_read_b128 v[54:57], v38 offset:176
	;; [unrolled: 1-line block ×4, first 2 shown]
	v_cndmask_b32_e64 v72, v45, v46, s[4:5]
	v_lshlrev_b32_e32 v72, 2, v72
	s_waitcnt vmcnt(11) lgkmcnt(5)
	v_fmac_f32_e32 v49, v50, v10
	v_fmac_f32_e32 v78, v51, v11
	s_waitcnt vmcnt(10)
	v_fmac_f32_e32 v49, v52, v8
	v_fmac_f32_e32 v78, v53, v9
	s_waitcnt vmcnt(9) lgkmcnt(4)
	v_fmac_f32_e32 v49, v64, v6
	v_fmac_f32_e32 v78, v65, v7
	s_waitcnt vmcnt(8)
	v_fmac_f32_e32 v49, v66, v4
	v_fmac_f32_e32 v78, v67, v5
	;; [unrolled: 6-line block ×6, first 2 shown]
	v_add_f32_e32 v4, v49, v78
	ds_bpermute_b32 v5, v72, v4
	s_and_saveexec_b64 s[44:45], vcc
	s_cbranch_execz .LBB49_12
; %bb.18:                               ;   in Loop: Header=BB49_14 Depth=1
	v_add_u32_e32 v6, v43, v41
	v_cvt_f32_i32_e32 v6, v6
	s_waitcnt lgkmcnt(0)
	v_add_f32_e32 v4, v4, v5
	v_add_u32_e32 v7, v35, v41
	v_cmp_gt_i32_e64 s[4:5], s29, v7
	v_mul_f32_e32 v5, s49, v6
	v_cndmask_b32_e64 v5, 0, v5, s[2:3]
	v_fmac_f32_e32 v5, s39, v4
	v_cndmask_b32_e64 v4, 0, v5, s[4:5]
	ds_write_b32 v42, v4
	v_max_f32_e32 v4, v40, v40
	v_max_f32_e32 v4, v4, v5
	v_cndmask_b32_e64 v40, v40, v4, s[4:5]
	s_branch .LBB49_12
.LBB49_19:
	s_or_b64 exec, exec, s[42:43]
.LBB49_20:
	s_or_b64 exec, exec, s[40:41]
	v_mbcnt_hi_u32_b32 v4, -1, v34
	v_and_b32_e32 v2, 64, v4
	v_add_u32_e32 v8, 64, v2
	v_xor_b32_e32 v2, 32, v4
	v_cmp_lt_i32_e32 vcc, v2, v8
	v_cndmask_b32_e32 v2, v4, v2, vcc
	v_lshlrev_b32_e32 v2, 2, v2
	ds_bpermute_b32 v3, v2, v40
	v_xor_b32_e32 v6, 16, v4
	s_waitcnt lgkmcnt(1)
	v_max_f32_e32 v5, v40, v40
	v_cmp_lt_i32_e32 vcc, v6, v8
	v_xor_b32_e32 v7, 8, v4
	s_waitcnt lgkmcnt(0)
	v_max_f32_e32 v3, v3, v3
	v_max_f32_e32 v5, v5, v3
	v_cndmask_b32_e32 v3, v4, v6, vcc
	v_lshlrev_b32_e32 v3, 2, v3
	ds_bpermute_b32 v6, v3, v5
	v_cmp_lt_i32_e32 vcc, v7, v8
	v_xor_b32_e32 v9, 4, v4
	v_and_b32_e32 v80, 63, v0
	s_waitcnt lgkmcnt(0)
	v_max_f32_e32 v6, v6, v6
	v_max_f32_e32 v6, v5, v6
	v_cndmask_b32_e32 v5, v4, v7, vcc
	v_lshlrev_b32_e32 v5, 2, v5
	ds_bpermute_b32 v7, v5, v6
	v_cmp_lt_i32_e32 vcc, v9, v8
	s_waitcnt lgkmcnt(0)
	v_max_f32_e32 v7, v7, v7
	v_max_f32_e32 v6, v6, v7
	v_cndmask_b32_e32 v7, v4, v9, vcc
	v_lshlrev_b32_e32 v82, 2, v7
	ds_bpermute_b32 v7, v82, v6
	v_xor_b32_e32 v9, 2, v4
	v_cmp_lt_i32_e32 vcc, v9, v8
	s_waitcnt lgkmcnt(0)
	v_max_f32_e32 v7, v7, v7
	v_max_f32_e32 v7, v6, v7
	v_cndmask_b32_e32 v6, v4, v9, vcc
	v_lshlrev_b32_e32 v81, 2, v6
	ds_bpermute_b32 v9, v81, v7
	v_cmp_eq_u32_e32 vcc, 0, v80
	v_lshlrev_b32_e32 v6, 2, v33
	s_and_saveexec_b64 s[2:3], vcc
	s_cbranch_execz .LBB49_22
; %bb.21:
	s_waitcnt lgkmcnt(0)
	v_max_f32_e32 v9, v9, v9
	v_max_f32_e32 v7, v7, v7
	;; [unrolled: 1-line block ×3, first 2 shown]
	ds_write_b32 v6, v7 offset:448
.LBB49_22:
	s_or_b64 exec, exec, s[2:3]
	v_cmp_gt_u32_e64 s[2:3], 2, v80
	s_waitcnt lgkmcnt(0)
	v_mov_b32_e32 v9, 0xff7fffff
	v_lshlrev_b32_e32 v7, 2, v80
	s_barrier
	s_and_saveexec_b64 s[4:5], s[2:3]
	s_cbranch_execz .LBB49_24
; %bb.23:
	ds_read_b32 v9, v7 offset:448
.LBB49_24:
	s_or_b64 exec, exec, s[4:5]
	v_xor_b32_e32 v10, 1, v4
	v_cmp_lt_i32_e64 s[4:5], v10, v8
	v_cndmask_b32_e64 v8, v4, v10, s[4:5]
	v_lshlrev_b32_e32 v83, 2, v8
	s_waitcnt lgkmcnt(0)
	ds_bpermute_b32 v8, v83, v9
	v_max_f32_e32 v9, v9, v9
	v_lshlrev_b32_e32 v4, 2, v4
	s_sub_i32 s4, s47, s38
	s_lshl_b32 s4, s4, 5
	s_waitcnt lgkmcnt(0)
	v_max_f32_e32 v8, v8, v8
	v_max_f32_e32 v9, v9, v8
	v_and_b32_e32 v8, 0x100, v4
	ds_bpermute_b32 v4, v8, v9
	s_add_i32 s4, s4, s48
	s_min_i32 s42, s4, s29
	s_sub_i32 s15, s42, s48
	v_cmp_gt_i32_e64 s[4:5], s15, v0
	v_mov_b32_e32 v9, 0
	s_and_saveexec_b64 s[38:39], s[4:5]
	s_cbranch_execz .LBB49_28
; %bb.25:
	v_mov_b32_e32 v9, 0x1d0
	v_lshl_add_u32 v10, v0, 2, v9
	s_mov_b64 s[40:41], 0
	v_mov_b32_e32 v9, 0
	v_mov_b32_e32 v11, v0
.LBB49_26:                              ; =>This Inner Loop Header: Depth=1
	ds_read_b32 v12, v10
	v_add_u32_e32 v11, 0x80, v11
	v_cmp_le_i32_e64 s[10:11], s15, v11
	s_or_b64 s[40:41], s[10:11], s[40:41]
	s_waitcnt lgkmcnt(0)
	v_sub_f32_e32 v12, v12, v4
	v_mul_f32_e32 v12, 0x3fb8aa3b, v12
	v_exp_f32_e32 v12, v12
	ds_write_b32 v10, v12
	v_add_f32_e32 v9, v9, v12
	v_add_u32_e32 v10, 0x200, v10
	s_andn2_b64 exec, exec, s[40:41]
	s_cbranch_execnz .LBB49_26
; %bb.27:
	s_or_b64 exec, exec, s[40:41]
.LBB49_28:
	s_or_b64 exec, exec, s[38:39]
	ds_bpermute_b32 v2, v2, v9
	s_waitcnt lgkmcnt(0)
	v_add_f32_e32 v2, v9, v2
	ds_bpermute_b32 v3, v3, v2
	s_waitcnt lgkmcnt(0)
	v_add_f32_e32 v2, v2, v3
	ds_bpermute_b32 v3, v5, v2
	s_waitcnt lgkmcnt(0)
	v_add_f32_e32 v2, v2, v3
	ds_bpermute_b32 v3, v82, v2
	s_waitcnt lgkmcnt(0)
	v_add_f32_e32 v2, v2, v3
	ds_bpermute_b32 v3, v81, v2
	s_waitcnt lgkmcnt(0)
	v_add_f32_e32 v2, v2, v3
	ds_bpermute_b32 v3, v83, v2
	s_waitcnt lgkmcnt(0)
	v_add_f32_e32 v2, v2, v3
	s_and_saveexec_b64 s[10:11], vcc
	s_cbranch_execz .LBB49_30
; %bb.29:
	ds_write_b32 v6, v2 offset:456
.LBB49_30:
	s_or_b64 exec, exec, s[10:11]
	s_waitcnt lgkmcnt(0)
	s_barrier
	s_and_saveexec_b64 s[10:11], s[2:3]
	s_cbranch_execz .LBB49_32
; %bb.31:
	ds_read_b32 v2, v7 offset:456
.LBB49_32:
	s_or_b64 exec, exec, s[10:11]
	s_waitcnt lgkmcnt(0)
	ds_bpermute_b32 v3, v83, v2
	s_waitcnt lgkmcnt(0)
	v_add_f32_e32 v2, v2, v3
	ds_bpermute_b32 v5, v8, v2
	s_and_saveexec_b64 s[2:3], s[4:5]
	s_cbranch_execz .LBB49_45
; %bb.33:
	s_waitcnt lgkmcnt(0)
	v_add_f32_e32 v2, 0x358637bd, v5
	v_div_scale_f32 v3, s[4:5], v2, v2, 1.0
	v_rcp_f32_e32 v6, v3
	v_div_scale_f32 v7, vcc, 1.0, v2, 1.0
	s_movk_i32 s4, 0x7f
	v_fma_f32 v8, -v3, v6, 1.0
	v_fmac_f32_e32 v6, v8, v6
	v_mul_f32_e32 v8, v7, v6
	v_fma_f32 v9, -v3, v8, v7
	v_fmac_f32_e32 v8, v9, v6
	v_fma_f32 v3, -v3, v8, v7
	v_div_fmas_f32 v3, v3, v6, v8
	v_div_fixup_f32 v2, v3, v2, 1.0
	v_xad_u32 v3, v0, -1, s42
	v_subrev_u32_e32 v6, s48, v3
	v_cmp_lt_u32_e32 vcc, s4, v6
	s_mov_b64 s[10:11], -1
	v_mov_b32_e32 v3, v0
	s_and_saveexec_b64 s[4:5], vcc
	s_cbranch_execz .LBB49_42
; %bb.34:
	v_lshrrev_b32_e32 v6, 7, v6
	v_add_u32_e32 v8, -1, v6
	v_lshrrev_b32_e32 v7, 1, v8
	v_mov_b32_e32 v3, v2
	v_add_u32_e32 v7, 1, v7
	v_cmp_lt_u32_e32 vcc, 13, v8
	v_mov_b32_e32 v10, 0
	s_and_saveexec_b64 s[10:11], vcc
	s_cbranch_execz .LBB49_38
; %bb.35:
	v_mov_b32_e32 v9, 0x1d0
	v_and_b32_e32 v8, -8, v7
	v_lshl_add_u32 v9, v0, 2, v9
	s_mov_b32 s40, 0
	s_mov_b64 s[38:39], 0
.LBB49_36:                              ; =>This Inner Loop Header: Depth=1
	ds_read2st64_b32 v[10:11], v9 offset1:2
	ds_read2st64_b32 v[12:13], v9 offset0:4 offset1:6
	ds_read2st64_b32 v[14:15], v9 offset0:8 offset1:10
	;; [unrolled: 1-line block ×3, first 2 shown]
	v_add_u32_e32 v8, -8, v8
	s_waitcnt lgkmcnt(3)
	v_pk_mul_f32 v[10:11], v[2:3], v[10:11]
	s_waitcnt lgkmcnt(2)
	v_pk_mul_f32 v[12:13], v[2:3], v[12:13]
	ds_write2st64_b32 v9, v10, v11 offset1:2
	ds_write2st64_b32 v9, v12, v13 offset0:4 offset1:6
	ds_read2st64_b32 v[12:13], v9 offset0:16 offset1:18
	s_waitcnt lgkmcnt(4)
	v_pk_mul_f32 v[10:11], v[2:3], v[14:15]
	ds_write2st64_b32 v9, v10, v11 offset0:8 offset1:10
	s_waitcnt lgkmcnt(4)
	v_pk_mul_f32 v[10:11], v[2:3], v[16:17]
	ds_write2st64_b32 v9, v10, v11 offset0:12 offset1:14
	ds_read2st64_b32 v[10:11], v9 offset0:20 offset1:22
	s_waitcnt lgkmcnt(3)
	v_pk_mul_f32 v[12:13], v[2:3], v[12:13]
	ds_read2st64_b32 v[14:15], v9 offset0:24 offset1:26
	ds_write2st64_b32 v9, v12, v13 offset0:16 offset1:18
	ds_read2st64_b32 v[12:13], v9 offset0:28 offset1:30
	s_waitcnt lgkmcnt(3)
	v_pk_mul_f32 v[10:11], v[2:3], v[10:11]
	ds_write2st64_b32 v9, v10, v11 offset0:20 offset1:22
	s_waitcnt lgkmcnt(3)
	v_pk_mul_f32 v[10:11], v[2:3], v[14:15]
	ds_write2st64_b32 v9, v10, v11 offset0:24 offset1:26
	s_waitcnt lgkmcnt(2)
	v_pk_mul_f32 v[10:11], v[2:3], v[12:13]
	s_add_i32 s40, s40, 16
	v_cmp_eq_u32_e32 vcc, 0, v8
	ds_write2st64_b32 v9, v10, v11 offset0:28 offset1:30
	v_add_u32_e32 v9, 0x2000, v9
	s_or_b64 s[38:39], vcc, s[38:39]
	v_mov_b32_e32 v10, s40
	s_andn2_b64 exec, exec, s[38:39]
	s_cbranch_execnz .LBB49_36
; %bb.37:
	s_or_b64 exec, exec, s[38:39]
.LBB49_38:
	s_or_b64 exec, exec, s[10:11]
	v_and_b32_e32 v7, 7, v7
	v_cmp_ne_u32_e32 vcc, 0, v7
	s_and_saveexec_b64 s[10:11], vcc
	s_cbranch_execz .LBB49_41
; %bb.39:
	v_lshlrev_b32_e32 v8, 9, v10
	s_movk_i32 s38, 0x1d0
	v_add3_u32 v8, v8, v32, s38
	s_mov_b64 s[38:39], 0
.LBB49_40:                              ; =>This Inner Loop Header: Depth=1
	ds_read2st64_b32 v[10:11], v8 offset1:2
	v_add_u32_e32 v7, -1, v7
	v_cmp_eq_u32_e32 vcc, 0, v7
	s_or_b64 s[38:39], vcc, s[38:39]
	s_waitcnt lgkmcnt(0)
	v_pk_mul_f32 v[10:11], v[2:3], v[10:11]
	ds_write2st64_b32 v8, v10, v11 offset1:2
	v_add_u32_e32 v8, 0x400, v8
	s_andn2_b64 exec, exec, s[38:39]
	s_cbranch_execnz .LBB49_40
.LBB49_41:
	s_or_b64 exec, exec, s[10:11]
	v_add_u32_e32 v6, 1, v6
	v_and_b32_e32 v7, 0x3fffffe, v6
	v_cmp_ne_u32_e32 vcc, v6, v7
	v_lshl_add_u32 v3, v7, 7, v0
	s_orn2_b64 s[10:11], vcc, exec
.LBB49_42:
	s_or_b64 exec, exec, s[4:5]
	s_and_b64 exec, exec, s[10:11]
	s_cbranch_execz .LBB49_45
; %bb.43:
	v_mov_b32_e32 v6, 0x1d0
	v_lshl_add_u32 v6, v3, 2, v6
	s_mov_b64 s[4:5], 0
.LBB49_44:                              ; =>This Inner Loop Header: Depth=1
	ds_read_b32 v7, v6
	v_add_u32_e32 v3, 0x80, v3
	v_cmp_le_i32_e32 vcc, s15, v3
	s_or_b64 s[4:5], vcc, s[4:5]
	s_waitcnt lgkmcnt(0)
	v_mul_f32_e32 v7, v2, v7
	ds_write_b32 v6, v7
	v_add_u32_e32 v6, 0x200, v6
	s_andn2_b64 exec, exec, s[4:5]
	s_cbranch_execnz .LBB49_44
.LBB49_45:
	s_or_b64 exec, exec, s[2:3]
	s_mul_i32 s2, s16, s28
	v_cmp_eq_u32_e32 vcc, 0, v0
	s_mul_i32 s2, s2, s9
	s_waitcnt lgkmcnt(0)
	s_barrier
	s_and_saveexec_b64 s[4:5], vcc
	s_cbranch_execz .LBB49_47
; %bb.46:
	s_ashr_i32 s3, s2, 31
	s_lshl_b64 s[10:11], s[2:3], 2
	s_add_u32 s3, s22, s10
	s_mul_i32 s22, s16, s6
	s_addc_u32 s9, s23, s11
	s_ashr_i32 s23, s22, 31
	s_lshl_b64 s[22:23], s[22:23], 2
	s_add_u32 s3, s3, s22
	s_addc_u32 s6, s9, s23
	s_ashr_i32 s9, s8, 31
	s_lshl_b64 s[38:39], s[8:9], 2
	s_add_u32 s40, s3, s38
	s_addc_u32 s41, s6, s39
	s_add_u32 s3, s20, s10
	s_addc_u32 s6, s21, s11
	;; [unrolled: 2-line block ×3, first 2 shown]
	s_add_u32 s10, s3, s38
	v_mov_b32_e32 v2, 0
	s_addc_u32 s11, s6, s39
	global_store_dword v2, v4, s[40:41]
	global_store_dword v2, v5, s[10:11]
.LBB49_47:
	s_or_b64 exec, exec, s[4:5]
	v_mov_b32_e32 v76, 0
	v_and_b32_e32 v84, 7, v0
	v_mov_b32_e32 v77, 0
	v_mov_b32_e32 v74, 0
	v_mov_b32_e32 v75, 0
	v_mov_b32_e32 v72, 0
	v_mov_b32_e32 v73, 0
	v_mov_b32_e32 v70, 0
	v_mov_b32_e32 v71, 0
	v_mov_b32_e32 v68, 0
	v_mov_b32_e32 v69, 0
	v_mov_b32_e32 v66, 0
	v_mov_b32_e32 v67, 0
	v_mov_b32_e32 v64, 0
	v_mov_b32_e32 v65, 0
	s_and_saveexec_b64 s[4:5], s[0:1]
	s_cbranch_execz .LBB49_81
; %bb.48:
	s_ashr_i32 s15, s14, 31
	s_sub_i32 s3, s12, s17
	s_lshl_b64 s[0:1], s[14:15], 2
	s_add_u32 s14, s36, s0
	s_addc_u32 s15, s37, s1
	s_abs_i32 s18, s18
	v_cvt_f32_u32_e32 v3, s18
	s_sub_i32 s0, 0, s18
	s_add_i32 s17, s7, -1
	v_lshlrev_b64 v[24:25], 2, v[62:63]
	v_rcp_iflag_f32_e32 v3, v3
	v_and_b32_e32 v2, 0xfc, v32
	v_mov_b32_e32 v65, 0
	v_or_b32_e32 v4, 0x400, v2
	v_mul_f32_e32 v3, 0x4f7ffffe, v3
	v_cvt_u32_f32_e32 v3, v3
	v_or_b32_e32 v6, 0x500, v2
	v_or_b32_e32 v8, 0x600, v2
	;; [unrolled: 1-line block ×3, first 2 shown]
	v_mul_lo_u32 v5, s0, v3
	s_lshl_b64 s[0:1], s[34:35], 2
	s_add_u32 s0, s30, s0
	v_mul_hi_u32 v5, v3, v5
	s_addc_u32 s1, s31, s1
	v_add_u32_e32 v86, v3, v5
	v_mov_b32_e32 v3, s1
	v_add_co_u32_e32 v78, vcc, s0, v24
	v_addc_co_u32_e32 v79, vcc, v3, v25, vcc
	v_lshlrev_b32_e32 v3, 4, v84
	v_or_b32_e32 v12, 0x800, v2
	v_or_b32_e32 v14, 0x900, v2
	;; [unrolled: 1-line block ×6, first 2 shown]
	v_lshl_or_b32 v3, v33, 7, v3
	v_and_b32_e32 v85, 28, v32
	s_mov_b32 s9, s13
	v_add_u32_e32 v63, 0x1d0, v3
	s_mov_b64 s[6:7], 0
	v_lshlrev_b32_e32 v87, 2, v2
	v_lshlrev_b32_e32 v88, 2, v4
	;; [unrolled: 1-line block ×11, first 2 shown]
	v_mov_b32_e32 v64, v65
	v_mov_b32_e32 v67, v65
	;; [unrolled: 1-line block ×13, first 2 shown]
	s_branch .LBB49_51
.LBB49_49:                              ;   in Loop: Header=BB49_51 Depth=1
	s_or_b64 exec, exec, s[0:1]
	s_waitcnt vmcnt(1) lgkmcnt(0)
	v_mul_f32_e32 v59, v3, v59
	v_mul_f32_e32 v55, v3, v55
	;; [unrolled: 1-line block ×13, first 2 shown]
	s_waitcnt vmcnt(0)
	v_mul_f32_e32 v3, v3, v51
	v_fmac_f32_e32 v59, v2, v58
	v_fmac_f32_e32 v55, v2, v54
	;; [unrolled: 1-line block ×42, first 2 shown]
	v_add_f32_e32 v64, v64, v59
	v_add_f32_e32 v67, v67, v55
	;; [unrolled: 1-line block ×14, first 2 shown]
.LBB49_50:                              ;   in Loop: Header=BB49_51 Depth=1
	s_or_b64 exec, exec, s[10:11]
	v_add_co_u32_e32 v78, vcc, 8, v78
	v_add_u32_e32 v62, 2, v62
	v_addc_co_u32_e32 v79, vcc, 0, v79, vcc
	v_cmp_le_i32_e32 vcc, s47, v62
	v_add_u32_e32 v1, 64, v1
	s_or_b64 s[6:7], vcc, s[6:7]
	v_add_u32_e32 v63, 0x100, v63
	s_andn2_b64 exec, exec, s[6:7]
	s_cbranch_execz .LBB49_80
.LBB49_51:                              ; =>This Inner Loop Header: Depth=1
	v_sub_u32_e32 v3, 0, v1
	v_max_i32_e32 v3, v1, v3
	v_mul_hi_u32 v4, v3, s33
	v_mul_lo_u32 v5, v4, s25
	v_sub_u32_e32 v3, v3, v5
	v_add_u32_e32 v5, 1, v4
	v_cmp_le_u32_e32 vcc, s25, v3
	v_cndmask_b32_e32 v4, v4, v5, vcc
	v_subrev_u32_e32 v5, s25, v3
	v_cndmask_b32_e32 v3, v3, v5, vcc
	v_ashrrev_i32_e32 v2, 31, v1
	v_add_u32_e32 v5, 1, v4
	v_cmp_le_u32_e32 vcc, s25, v3
	v_xor_b32_e32 v2, s19, v2
	v_cndmask_b32_e32 v3, v4, v5, vcc
	v_xor_b32_e32 v3, v3, v2
	v_sub_u32_e32 v2, v3, v2
	v_add_u32_e32 v3, s46, v2
	v_sub_u32_e32 v5, 0, v3
	v_ashrrev_i32_e32 v4, 31, v3
	v_max_i32_e32 v3, v3, v5
	v_mul_hi_u32 v5, v3, v86
	v_mul_lo_u32 v5, v5, s18
	v_sub_u32_e32 v3, v3, v5
	v_subrev_u32_e32 v5, s18, v3
	v_cmp_le_u32_e32 vcc, s18, v3
	v_cndmask_b32_e32 v3, v3, v5, vcc
	v_subrev_u32_e32 v5, s18, v3
	v_cmp_le_u32_e32 vcc, s18, v3
	v_cndmask_b32_e32 v3, v3, v5, vcc
	v_xor_b32_e32 v3, v3, v4
	v_sub_u32_e32 v3, v3, v4
	v_cmp_eq_u32_e32 vcc, 0, v3
	v_cmp_lt_i32_e64 s[0:1], s3, v2
	s_or_b64 s[0:1], vcc, s[0:1]
	s_and_saveexec_b64 s[10:11], s[0:1]
	s_cbranch_execz .LBB49_50
; %bb.52:                               ;   in Loop: Header=BB49_51 Depth=1
	global_load_dword v2, v[78:79], off
	v_mov_b32_e32 v4, s15
	v_add_u32_e32 v98, v85, v1
	v_add_u32_e32 v101, 1, v98
	;; [unrolled: 1-line block ×4, first 2 shown]
	s_waitcnt vmcnt(0)
	v_mad_i64_i32 v[2:3], s[0:1], v2, s9, 0
	v_lshlrev_b64 v[2:3], 2, v[2:3]
	v_add_co_u32_e32 v50, vcc, s14, v2
	v_addc_co_u32_e32 v51, vcc, v4, v3, vcc
	v_add_co_u32_e32 v18, vcc, v50, v87
	v_addc_co_u32_e32 v19, vcc, 0, v51, vcc
	global_load_dwordx4 v[6:9], v[18:19], off
	ds_read_b128 v[2:5], v63
	v_cmp_eq_u32_e32 vcc, s17, v62
	s_and_saveexec_b64 s[12:13], vcc
	s_cbranch_execnz .LBB49_77
; %bb.53:                               ;   in Loop: Header=BB49_51 Depth=1
	s_or_b64 exec, exec, s[12:13]
	global_load_dwordx4 v[10:13], v[18:19], off offset:1024
	s_and_saveexec_b64 s[12:13], vcc
	s_cbranch_execnz .LBB49_78
.LBB49_54:                              ;   in Loop: Header=BB49_51 Depth=1
	s_or_b64 exec, exec, s[12:13]
	global_load_dwordx4 v[14:17], v[18:19], off offset:2048
	s_and_saveexec_b64 s[12:13], vcc
	s_cbranch_execnz .LBB49_79
.LBB49_55:                              ;   in Loop: Header=BB49_51 Depth=1
	s_or_b64 exec, exec, s[12:13]
	global_load_dwordx4 v[18:21], v[18:19], off offset:3072
	s_and_saveexec_b64 s[12:13], vcc
	s_cbranch_execz .LBB49_57
.LBB49_56:                              ;   in Loop: Header=BB49_51 Depth=1
	v_cmp_gt_i32_e64 s[0:1], s29, v98
	s_waitcnt vmcnt(0)
	v_cndmask_b32_e64 v18, 0, v18, s[0:1]
	v_cmp_gt_i32_e64 s[0:1], s29, v101
	v_cndmask_b32_e64 v19, 0, v19, s[0:1]
	v_cmp_gt_i32_e64 s[0:1], s29, v100
	;; [unrolled: 2-line block ×3, first 2 shown]
	v_cndmask_b32_e64 v21, 0, v21, s[0:1]
.LBB49_57:                              ;   in Loop: Header=BB49_51 Depth=1
	s_or_b64 exec, exec, s[12:13]
	v_add_co_u32_e64 v22, s[0:1], v50, v88
	v_addc_co_u32_e64 v23, s[0:1], 0, v51, s[0:1]
	global_load_dwordx4 v[22:25], v[22:23], off
	s_and_saveexec_b64 s[12:13], vcc
	s_cbranch_execz .LBB49_59
; %bb.58:                               ;   in Loop: Header=BB49_51 Depth=1
	v_cmp_gt_i32_e64 s[0:1], s29, v98
	s_waitcnt vmcnt(0)
	v_cndmask_b32_e64 v22, 0, v22, s[0:1]
	v_cmp_gt_i32_e64 s[0:1], s29, v101
	v_cndmask_b32_e64 v23, 0, v23, s[0:1]
	v_cmp_gt_i32_e64 s[0:1], s29, v100
	v_cndmask_b32_e64 v24, 0, v24, s[0:1]
	v_cmp_gt_i32_e64 s[0:1], s29, v99
	v_cndmask_b32_e64 v25, 0, v25, s[0:1]
.LBB49_59:                              ;   in Loop: Header=BB49_51 Depth=1
	s_or_b64 exec, exec, s[12:13]
	v_add_co_u32_e64 v26, s[0:1], v50, v89
	v_addc_co_u32_e64 v27, s[0:1], 0, v51, s[0:1]
	global_load_dwordx4 v[26:29], v[26:27], off
	s_and_saveexec_b64 s[12:13], vcc
	s_cbranch_execz .LBB49_61
; %bb.60:                               ;   in Loop: Header=BB49_51 Depth=1
	v_cmp_gt_i32_e64 s[0:1], s29, v98
	s_waitcnt vmcnt(0)
	v_cndmask_b32_e64 v26, 0, v26, s[0:1]
	v_cmp_gt_i32_e64 s[0:1], s29, v101
	v_cndmask_b32_e64 v27, 0, v27, s[0:1]
	v_cmp_gt_i32_e64 s[0:1], s29, v100
	v_cndmask_b32_e64 v28, 0, v28, s[0:1]
	v_cmp_gt_i32_e64 s[0:1], s29, v99
	v_cndmask_b32_e64 v29, 0, v29, s[0:1]
.LBB49_61:                              ;   in Loop: Header=BB49_51 Depth=1
	;; [unrolled: 17-line block ×9, first 2 shown]
	s_or_b64 exec, exec, s[12:13]
	v_add_co_u32_e64 v50, s[0:1], v50, v97
	v_addc_co_u32_e64 v51, s[0:1], 0, v51, s[0:1]
	global_load_dwordx4 v[50:53], v[50:51], off
	s_and_saveexec_b64 s[0:1], vcc
	s_cbranch_execz .LBB49_49
; %bb.76:                               ;   in Loop: Header=BB49_51 Depth=1
	v_cmp_gt_i32_e32 vcc, s29, v98
	s_waitcnt vmcnt(0)
	v_cndmask_b32_e32 v50, 0, v50, vcc
	v_cmp_gt_i32_e32 vcc, s29, v101
	v_cndmask_b32_e32 v51, 0, v51, vcc
	v_cmp_gt_i32_e32 vcc, s29, v100
	;; [unrolled: 2-line block ×3, first 2 shown]
	v_cndmask_b32_e32 v53, 0, v53, vcc
	s_branch .LBB49_49
.LBB49_77:                              ;   in Loop: Header=BB49_51 Depth=1
	v_cmp_gt_i32_e64 s[0:1], s29, v98
	s_waitcnt vmcnt(0)
	v_cndmask_b32_e64 v6, 0, v6, s[0:1]
	v_cmp_gt_i32_e64 s[0:1], s29, v101
	v_cndmask_b32_e64 v7, 0, v7, s[0:1]
	v_cmp_gt_i32_e64 s[0:1], s29, v100
	;; [unrolled: 2-line block ×3, first 2 shown]
	v_cndmask_b32_e64 v9, 0, v9, s[0:1]
	s_or_b64 exec, exec, s[12:13]
	global_load_dwordx4 v[10:13], v[18:19], off offset:1024
	s_and_saveexec_b64 s[12:13], vcc
	s_cbranch_execz .LBB49_54
.LBB49_78:                              ;   in Loop: Header=BB49_51 Depth=1
	v_cmp_gt_i32_e64 s[0:1], s29, v98
	s_waitcnt vmcnt(0)
	v_cndmask_b32_e64 v10, 0, v10, s[0:1]
	v_cmp_gt_i32_e64 s[0:1], s29, v101
	v_cndmask_b32_e64 v11, 0, v11, s[0:1]
	v_cmp_gt_i32_e64 s[0:1], s29, v100
	v_cndmask_b32_e64 v12, 0, v12, s[0:1]
	v_cmp_gt_i32_e64 s[0:1], s29, v99
	v_cndmask_b32_e64 v13, 0, v13, s[0:1]
	s_or_b64 exec, exec, s[12:13]
	global_load_dwordx4 v[14:17], v[18:19], off offset:2048
	s_and_saveexec_b64 s[12:13], vcc
	s_cbranch_execz .LBB49_55
.LBB49_79:                              ;   in Loop: Header=BB49_51 Depth=1
	v_cmp_gt_i32_e64 s[0:1], s29, v98
	s_waitcnt vmcnt(0)
	v_cndmask_b32_e64 v14, 0, v14, s[0:1]
	v_cmp_gt_i32_e64 s[0:1], s29, v101
	v_cndmask_b32_e64 v15, 0, v15, s[0:1]
	v_cmp_gt_i32_e64 s[0:1], s29, v100
	;; [unrolled: 2-line block ×3, first 2 shown]
	v_cndmask_b32_e64 v17, 0, v17, s[0:1]
	s_or_b64 exec, exec, s[12:13]
	global_load_dwordx4 v[18:21], v[18:19], off offset:3072
	s_and_saveexec_b64 s[12:13], vcc
	s_cbranch_execnz .LBB49_56
	s_branch .LBB49_57
.LBB49_80:
	s_or_b64 exec, exec, s[6:7]
.LBB49_81:
	s_or_b64 exec, exec, s[4:5]
	ds_bpermute_b32 v2, v82, v76
	ds_bpermute_b32 v3, v82, v77
	;; [unrolled: 1-line block ×6, first 2 shown]
	s_waitcnt lgkmcnt(4)
	v_pk_add_f32 v[2:3], v[76:77], v[2:3]
	ds_bpermute_b32 v6, v81, v2
	s_waitcnt lgkmcnt(3)
	v_pk_add_f32 v[4:5], v[74:75], v[4:5]
	ds_bpermute_b32 v7, v81, v3
	ds_bpermute_b32 v10, v81, v4
	;; [unrolled: 1-line block ×3, first 2 shown]
	s_waitcnt lgkmcnt(4)
	v_pk_add_f32 v[8:9], v[72:73], v[8:9]
	ds_bpermute_b32 v14, v81, v8
	s_waitcnt lgkmcnt(3)
	v_pk_add_f32 v[2:3], v[2:3], v[6:7]
	ds_bpermute_b32 v6, v83, v2
	;; [unrolled: 3-line block ×3, first 2 shown]
	ds_bpermute_b32 v12, v83, v10
	ds_bpermute_b32 v13, v83, v11
	;; [unrolled: 1-line block ×4, first 2 shown]
	s_waitcnt lgkmcnt(4)
	v_pk_add_f32 v[4:5], v[2:3], v[6:7]
	ds_bpermute_b32 v19, v82, v67
	s_waitcnt lgkmcnt(3)
	v_pk_add_f32 v[2:3], v[10:11], v[12:13]
	ds_bpermute_b32 v12, v82, v68
	ds_bpermute_b32 v13, v82, v69
	s_waitcnt lgkmcnt(4)
	v_pk_add_f32 v[6:7], v[8:9], v[14:15]
	ds_bpermute_b32 v8, v82, v70
	ds_bpermute_b32 v9, v82, v71
	;; [unrolled: 1-line block ×3, first 2 shown]
	s_waitcnt lgkmcnt(3)
	v_pk_add_f32 v[12:13], v[68:69], v[12:13]
	ds_bpermute_b32 v16, v81, v12
	ds_bpermute_b32 v17, v81, v13
	s_waitcnt lgkmcnt(3)
	v_pk_add_f32 v[8:9], v[70:71], v[8:9]
	ds_bpermute_b32 v14, v81, v8
	ds_bpermute_b32 v15, v81, v9
	;; [unrolled: 1-line block ×3, first 2 shown]
	s_waitcnt lgkmcnt(3)
	v_pk_add_f32 v[16:17], v[12:13], v[16:17]
	v_pk_add_f32 v[12:13], v[66:67], v[18:19]
	ds_bpermute_b32 v18, v81, v12
	s_waitcnt lgkmcnt(2)
	v_pk_add_f32 v[8:9], v[8:9], v[14:15]
	ds_bpermute_b32 v19, v81, v13
	s_waitcnt lgkmcnt(2)
	v_pk_add_f32 v[22:23], v[64:65], v[22:23]
	ds_bpermute_b32 v10, v83, v6
	ds_bpermute_b32 v11, v83, v7
	;; [unrolled: 1-line block ×8, first 2 shown]
	s_waitcnt lgkmcnt(8)
	v_pk_add_f32 v[18:19], v[12:13], v[18:19]
	ds_bpermute_b32 v24, v83, v18
	ds_bpermute_b32 v25, v83, v19
	s_waitcnt lgkmcnt(8)
	v_pk_add_f32 v[12:13], v[6:7], v[10:11]
	s_waitcnt lgkmcnt(6)
	v_pk_add_f32 v[10:11], v[8:9], v[14:15]
	;; [unrolled: 2-line block ×4, first 2 shown]
	ds_bpermute_b32 v16, v83, v14
	ds_bpermute_b32 v17, v83, v15
	v_and_b32_e32 v1, 0x3c7, v0
	s_waitcnt lgkmcnt(2)
	v_pk_add_f32 v[6:7], v[18:19], v[24:25]
	v_cmp_ne_u32_e32 vcc, 64, v1
	s_waitcnt lgkmcnt(0)
	s_barrier
	s_and_saveexec_b64 s[0:1], vcc
	s_xor_b64 s[0:1], exec, s[0:1]
; %bb.82:
                                        ; implicit-def: $vgpr80
; %bb.83:
	s_or_saveexec_b64 s[0:1], s[0:1]
	v_pk_add_f32 v[14:15], v[14:15], v[16:17]
	s_xor_b64 exec, exec, s[0:1]
	s_cbranch_execz .LBB49_85
; %bb.84:
	v_lshrrev_b32_e32 v16, 1, v80
	v_add_u32_e32 v16, 0x1d0, v16
	ds_write2_b32 v16, v4, v5 offset1:8
	ds_write2_b32 v16, v2, v3 offset0:16 offset1:24
	ds_write2_b32 v16, v12, v13 offset0:32 offset1:40
	;; [unrolled: 1-line block ×6, first 2 shown]
.LBB49_85:
	s_or_b64 exec, exec, s[0:1]
	v_cmp_gt_u32_e32 vcc, 64, v0
	s_waitcnt lgkmcnt(0)
	s_barrier
	s_and_saveexec_b64 s[0:1], vcc
	s_cbranch_execz .LBB49_102
; %bb.86:
	v_cmp_eq_u32_e32 vcc, 0, v84
	v_lshrrev_b32_e32 v16, 3, v0
	s_and_saveexec_b64 s[4:5], vcc
	s_cbranch_execnz .LBB49_105
; %bb.87:
	s_or_b64 exec, exec, s[4:5]
	s_and_saveexec_b64 s[4:5], vcc
	s_cbranch_execnz .LBB49_106
.LBB49_88:
	s_or_b64 exec, exec, s[4:5]
	s_and_saveexec_b64 s[4:5], vcc
	s_cbranch_execnz .LBB49_107
.LBB49_89:
	s_or_b64 exec, exec, s[4:5]
	s_and_saveexec_b64 s[4:5], vcc
	s_cbranch_execnz .LBB49_108
.LBB49_90:
	s_or_b64 exec, exec, s[4:5]
	s_and_saveexec_b64 s[4:5], vcc
	s_cbranch_execnz .LBB49_109
.LBB49_91:
	s_or_b64 exec, exec, s[4:5]
	s_and_saveexec_b64 s[4:5], vcc
	s_cbranch_execnz .LBB49_110
.LBB49_92:
	s_or_b64 exec, exec, s[4:5]
	s_and_saveexec_b64 s[4:5], vcc
	s_cbranch_execnz .LBB49_111
.LBB49_93:
	s_or_b64 exec, exec, s[4:5]
	s_and_saveexec_b64 s[4:5], vcc
	s_cbranch_execnz .LBB49_112
.LBB49_94:
	s_or_b64 exec, exec, s[4:5]
	s_and_saveexec_b64 s[4:5], vcc
	s_cbranch_execnz .LBB49_113
.LBB49_95:
	s_or_b64 exec, exec, s[4:5]
	s_and_saveexec_b64 s[4:5], vcc
	s_cbranch_execnz .LBB49_114
.LBB49_96:
	s_or_b64 exec, exec, s[4:5]
	s_and_saveexec_b64 s[4:5], vcc
	s_cbranch_execnz .LBB49_115
.LBB49_97:
	s_or_b64 exec, exec, s[4:5]
	s_and_saveexec_b64 s[4:5], vcc
	s_cbranch_execnz .LBB49_116
.LBB49_98:
	s_or_b64 exec, exec, s[4:5]
	s_and_saveexec_b64 s[4:5], vcc
	s_cbranch_execnz .LBB49_117
.LBB49_99:
	s_or_b64 exec, exec, s[4:5]
	s_and_saveexec_b64 s[4:5], vcc
	s_cbranch_execz .LBB49_101
.LBB49_100:
	v_mov_b32_e32 v17, 0x1d0
	v_lshl_add_u32 v16, v16, 2, v17
	ds_read_b32 v16, v16 offset:416
	s_waitcnt lgkmcnt(0)
	v_add_f32_e32 v15, v15, v16
.LBB49_101:
	s_or_b64 exec, exec, s[4:5]
.LBB49_102:
	s_or_b64 exec, exec, s[0:1]
	v_cmp_eq_u32_e32 vcc, 0, v1
	s_barrier
	s_and_saveexec_b64 s[0:1], vcc
	s_cbranch_execz .LBB49_104
; %bb.103:
	s_mul_i32 s0, s2, 0x70
	s_ashr_i32 s1, s0, 31
	s_lshl_b64 s[0:1], s[0:1], 2
	s_add_u32 s2, s26, s0
	s_mul_i32 s0, s16, s24
	s_addc_u32 s3, s27, s1
	s_ashr_i32 s1, s0, 31
	s_lshl_b64 s[0:1], s[0:1], 2
	s_add_u32 s2, s2, s0
	s_mul_i32 s0, s8, 0x70
	s_addc_u32 s3, s3, s1
	s_ashr_i32 s1, s0, 31
	s_lshl_b64 s[0:1], s[0:1], 2
	s_add_u32 s0, s2, s0
	s_addc_u32 s1, s3, s1
	v_lshrrev_b32_e32 v0, 1, v0
	global_store_dword v0, v4, s[0:1]
	global_store_dword v0, v5, s[0:1] offset:32
	global_store_dword v0, v2, s[0:1] offset:64
	;; [unrolled: 1-line block ×13, first 2 shown]
.LBB49_104:
	s_endpgm
.LBB49_105:
	v_mov_b32_e32 v17, 0x1d0
	v_lshl_add_u32 v17, v16, 2, v17
	ds_read_b32 v17, v17
	s_waitcnt lgkmcnt(0)
	v_add_f32_e32 v4, v4, v17
	s_or_b64 exec, exec, s[4:5]
	s_and_saveexec_b64 s[4:5], vcc
	s_cbranch_execz .LBB49_88
.LBB49_106:
	v_mov_b32_e32 v17, 0x1d0
	v_lshl_add_u32 v17, v16, 2, v17
	ds_read_b32 v17, v17 offset:32
	s_waitcnt lgkmcnt(0)
	v_add_f32_e32 v5, v5, v17
	s_or_b64 exec, exec, s[4:5]
	s_and_saveexec_b64 s[4:5], vcc
	s_cbranch_execz .LBB49_89
.LBB49_107:
	v_mov_b32_e32 v17, 0x1d0
	v_lshl_add_u32 v17, v16, 2, v17
	ds_read_b32 v17, v17 offset:64
	s_waitcnt lgkmcnt(0)
	v_add_f32_e32 v2, v2, v17
	s_or_b64 exec, exec, s[4:5]
	s_and_saveexec_b64 s[4:5], vcc
	s_cbranch_execz .LBB49_90
.LBB49_108:
	v_mov_b32_e32 v17, 0x1d0
	v_lshl_add_u32 v17, v16, 2, v17
	ds_read_b32 v17, v17 offset:96
	s_waitcnt lgkmcnt(0)
	v_add_f32_e32 v3, v3, v17
	s_or_b64 exec, exec, s[4:5]
	s_and_saveexec_b64 s[4:5], vcc
	s_cbranch_execz .LBB49_91
.LBB49_109:
	v_mov_b32_e32 v17, 0x1d0
	v_lshl_add_u32 v17, v16, 2, v17
	ds_read_b32 v17, v17 offset:128
	s_waitcnt lgkmcnt(0)
	v_add_f32_e32 v12, v12, v17
	s_or_b64 exec, exec, s[4:5]
	s_and_saveexec_b64 s[4:5], vcc
	s_cbranch_execz .LBB49_92
.LBB49_110:
	v_mov_b32_e32 v17, 0x1d0
	v_lshl_add_u32 v17, v16, 2, v17
	ds_read_b32 v17, v17 offset:160
	s_waitcnt lgkmcnt(0)
	v_add_f32_e32 v13, v13, v17
	s_or_b64 exec, exec, s[4:5]
	s_and_saveexec_b64 s[4:5], vcc
	s_cbranch_execz .LBB49_93
.LBB49_111:
	v_mov_b32_e32 v17, 0x1d0
	v_lshl_add_u32 v17, v16, 2, v17
	ds_read_b32 v17, v17 offset:192
	s_waitcnt lgkmcnt(0)
	v_add_f32_e32 v10, v10, v17
	s_or_b64 exec, exec, s[4:5]
	s_and_saveexec_b64 s[4:5], vcc
	s_cbranch_execz .LBB49_94
.LBB49_112:
	v_mov_b32_e32 v17, 0x1d0
	v_lshl_add_u32 v17, v16, 2, v17
	ds_read_b32 v17, v17 offset:224
	s_waitcnt lgkmcnt(0)
	v_add_f32_e32 v11, v11, v17
	s_or_b64 exec, exec, s[4:5]
	s_and_saveexec_b64 s[4:5], vcc
	s_cbranch_execz .LBB49_95
.LBB49_113:
	v_mov_b32_e32 v17, 0x1d0
	v_lshl_add_u32 v17, v16, 2, v17
	ds_read_b32 v17, v17 offset:256
	s_waitcnt lgkmcnt(0)
	v_add_f32_e32 v8, v8, v17
	s_or_b64 exec, exec, s[4:5]
	s_and_saveexec_b64 s[4:5], vcc
	s_cbranch_execz .LBB49_96
.LBB49_114:
	v_mov_b32_e32 v17, 0x1d0
	v_lshl_add_u32 v17, v16, 2, v17
	ds_read_b32 v17, v17 offset:288
	s_waitcnt lgkmcnt(0)
	v_add_f32_e32 v9, v9, v17
	s_or_b64 exec, exec, s[4:5]
	s_and_saveexec_b64 s[4:5], vcc
	s_cbranch_execz .LBB49_97
.LBB49_115:
	v_mov_b32_e32 v17, 0x1d0
	v_lshl_add_u32 v17, v16, 2, v17
	ds_read_b32 v17, v17 offset:320
	s_waitcnt lgkmcnt(0)
	v_add_f32_e32 v6, v6, v17
	s_or_b64 exec, exec, s[4:5]
	s_and_saveexec_b64 s[4:5], vcc
	s_cbranch_execz .LBB49_98
.LBB49_116:
	v_mov_b32_e32 v17, 0x1d0
	v_lshl_add_u32 v17, v16, 2, v17
	ds_read_b32 v17, v17 offset:352
	s_waitcnt lgkmcnt(0)
	v_add_f32_e32 v7, v7, v17
	s_or_b64 exec, exec, s[4:5]
	s_and_saveexec_b64 s[4:5], vcc
	s_cbranch_execz .LBB49_99
.LBB49_117:
	v_mov_b32_e32 v17, 0x1d0
	v_lshl_add_u32 v17, v16, 2, v17
	ds_read_b32 v17, v17 offset:384
	s_waitcnt lgkmcnt(0)
	v_add_f32_e32 v14, v14, v17
	s_or_b64 exec, exec, s[4:5]
	s_and_saveexec_b64 s[4:5], vcc
	s_cbranch_execnz .LBB49_100
	s_branch .LBB49_101
	.section	.rodata,"a",@progbits
	.p2align	6, 0x0
	.amdhsa_kernel _ZN4vllm25paged_attention_v2_kernelIffLi112ELi32ELi128ELNS_18Fp8KVCacheDataTypeE0ELb1ELi512EEEvPfS2_PT_PKS3_PKT0_S9_ifPKiSB_iPKfiiiSD_SD_iiiii
		.amdhsa_group_segment_fixed_size 464
		.amdhsa_private_segment_fixed_size 0
		.amdhsa_kernarg_size 400
		.amdhsa_user_sgpr_count 6
		.amdhsa_user_sgpr_private_segment_buffer 1
		.amdhsa_user_sgpr_dispatch_ptr 0
		.amdhsa_user_sgpr_queue_ptr 0
		.amdhsa_user_sgpr_kernarg_segment_ptr 1
		.amdhsa_user_sgpr_dispatch_id 0
		.amdhsa_user_sgpr_flat_scratch_init 0
		.amdhsa_user_sgpr_kernarg_preload_length 0
		.amdhsa_user_sgpr_kernarg_preload_offset 0
		.amdhsa_user_sgpr_private_segment_size 0
		.amdhsa_uses_dynamic_stack 0
		.amdhsa_system_sgpr_private_segment_wavefront_offset 0
		.amdhsa_system_sgpr_workgroup_id_x 1
		.amdhsa_system_sgpr_workgroup_id_y 1
		.amdhsa_system_sgpr_workgroup_id_z 1
		.amdhsa_system_sgpr_workgroup_info 0
		.amdhsa_system_vgpr_workitem_id 0
		.amdhsa_next_free_vgpr 102
		.amdhsa_next_free_sgpr 55
		.amdhsa_accum_offset 104
		.amdhsa_reserve_vcc 1
		.amdhsa_reserve_flat_scratch 0
		.amdhsa_float_round_mode_32 0
		.amdhsa_float_round_mode_16_64 0
		.amdhsa_float_denorm_mode_32 3
		.amdhsa_float_denorm_mode_16_64 3
		.amdhsa_dx10_clamp 1
		.amdhsa_ieee_mode 1
		.amdhsa_fp16_overflow 0
		.amdhsa_tg_split 0
		.amdhsa_exception_fp_ieee_invalid_op 0
		.amdhsa_exception_fp_denorm_src 0
		.amdhsa_exception_fp_ieee_div_zero 0
		.amdhsa_exception_fp_ieee_overflow 0
		.amdhsa_exception_fp_ieee_underflow 0
		.amdhsa_exception_fp_ieee_inexact 0
		.amdhsa_exception_int_div_zero 0
	.end_amdhsa_kernel
	.section	.text._ZN4vllm25paged_attention_v2_kernelIffLi112ELi32ELi128ELNS_18Fp8KVCacheDataTypeE0ELb1ELi512EEEvPfS2_PT_PKS3_PKT0_S9_ifPKiSB_iPKfiiiSD_SD_iiiii,"axG",@progbits,_ZN4vllm25paged_attention_v2_kernelIffLi112ELi32ELi128ELNS_18Fp8KVCacheDataTypeE0ELb1ELi512EEEvPfS2_PT_PKS3_PKT0_S9_ifPKiSB_iPKfiiiSD_SD_iiiii,comdat
.Lfunc_end49:
	.size	_ZN4vllm25paged_attention_v2_kernelIffLi112ELi32ELi128ELNS_18Fp8KVCacheDataTypeE0ELb1ELi512EEEvPfS2_PT_PKS3_PKT0_S9_ifPKiSB_iPKfiiiSD_SD_iiiii, .Lfunc_end49-_ZN4vllm25paged_attention_v2_kernelIffLi112ELi32ELi128ELNS_18Fp8KVCacheDataTypeE0ELb1ELi512EEEvPfS2_PT_PKS3_PKT0_S9_ifPKiSB_iPKfiiiSD_SD_iiiii
                                        ; -- End function
	.section	.AMDGPU.csdata,"",@progbits
; Kernel info:
; codeLenInByte = 7912
; NumSgprs: 59
; NumVgprs: 102
; NumAgprs: 0
; TotalNumVgprs: 102
; ScratchSize: 0
; MemoryBound: 0
; FloatMode: 240
; IeeeMode: 1
; LDSByteSize: 464 bytes/workgroup (compile time only)
; SGPRBlocks: 7
; VGPRBlocks: 12
; NumSGPRsForWavesPerEU: 59
; NumVGPRsForWavesPerEU: 102
; AccumOffset: 104
; Occupancy: 4
; WaveLimiterHint : 1
; COMPUTE_PGM_RSRC2:SCRATCH_EN: 0
; COMPUTE_PGM_RSRC2:USER_SGPR: 6
; COMPUTE_PGM_RSRC2:TRAP_HANDLER: 0
; COMPUTE_PGM_RSRC2:TGID_X_EN: 1
; COMPUTE_PGM_RSRC2:TGID_Y_EN: 1
; COMPUTE_PGM_RSRC2:TGID_Z_EN: 1
; COMPUTE_PGM_RSRC2:TIDIG_COMP_CNT: 0
; COMPUTE_PGM_RSRC3_GFX90A:ACCUM_OFFSET: 25
; COMPUTE_PGM_RSRC3_GFX90A:TG_SPLIT: 0
	.section	.text._ZN4vllm25paged_attention_v2_kernelIffLi120ELi32ELi128ELNS_18Fp8KVCacheDataTypeE0ELb1ELi512EEEvPfS2_PT_PKS3_PKT0_S9_ifPKiSB_iPKfiiiSD_SD_iiiii,"axG",@progbits,_ZN4vllm25paged_attention_v2_kernelIffLi120ELi32ELi128ELNS_18Fp8KVCacheDataTypeE0ELb1ELi512EEEvPfS2_PT_PKS3_PKT0_S9_ifPKiSB_iPKfiiiSD_SD_iiiii,comdat
	.protected	_ZN4vllm25paged_attention_v2_kernelIffLi120ELi32ELi128ELNS_18Fp8KVCacheDataTypeE0ELb1ELi512EEEvPfS2_PT_PKS3_PKT0_S9_ifPKiSB_iPKfiiiSD_SD_iiiii ; -- Begin function _ZN4vllm25paged_attention_v2_kernelIffLi120ELi32ELi128ELNS_18Fp8KVCacheDataTypeE0ELb1ELi512EEEvPfS2_PT_PKS3_PKT0_S9_ifPKiSB_iPKfiiiSD_SD_iiiii
	.globl	_ZN4vllm25paged_attention_v2_kernelIffLi120ELi32ELi128ELNS_18Fp8KVCacheDataTypeE0ELb1ELi512EEEvPfS2_PT_PKS3_PKT0_S9_ifPKiSB_iPKfiiiSD_SD_iiiii
	.p2align	8
	.type	_ZN4vllm25paged_attention_v2_kernelIffLi120ELi32ELi128ELNS_18Fp8KVCacheDataTypeE0ELb1ELi512EEEvPfS2_PT_PKS3_PKT0_S9_ifPKiSB_iPKfiiiSD_SD_iiiii,@function
_ZN4vllm25paged_attention_v2_kernelIffLi120ELi32ELi128ELNS_18Fp8KVCacheDataTypeE0ELb1ELi512EEEvPfS2_PT_PKS3_PKT0_S9_ifPKiSB_iPKfiiiSD_SD_iiiii: ; @_ZN4vllm25paged_attention_v2_kernelIffLi120ELi32ELi128ELNS_18Fp8KVCacheDataTypeE0ELb1ELi512EEEvPfS2_PT_PKS3_PKT0_S9_ifPKiSB_iPKfiiiSD_SD_iiiii
; %bb.0:
	s_load_dwordx2 s[0:1], s[4:5], 0x40
	s_mov_b32 s28, s7
	s_ashr_i32 s29, s7, 31
	s_lshl_b64 s[2:3], s[28:29], 2
	s_waitcnt lgkmcnt(0)
	s_add_u32 s0, s0, s2
	s_addc_u32 s1, s1, s3
	s_load_dword s29, s[0:1], 0x0
	s_lshl_b32 s48, s8, 9
	s_waitcnt lgkmcnt(0)
	s_cmp_ge_i32 s48, s29
	s_cbranch_scc1 .LBB50_107
; %bb.1:
	s_load_dword s9, s[4:5], 0x90
	s_load_dwordx2 s[38:39], s[4:5], 0x30
	s_mov_b32 s49, 0
	s_waitcnt lgkmcnt(0)
	s_abs_i32 s2, s9
	s_abs_i32 s0, s38
	v_cvt_f32_u32_e32 v1, s0
	s_sub_i32 s3, 0, s0
	s_xor_b32 s1, s9, s38
	s_ashr_i32 s1, s1, 31
	v_rcp_iflag_f32_e32 v1, v1
	v_mul_f32_e32 v1, 0x4f7ffffe, v1
	v_cvt_u32_f32_e32 v1, v1
	v_readfirstlane_b32 s7, v1
	s_mul_i32 s3, s3, s7
	s_mul_hi_u32 s3, s7, s3
	s_add_i32 s7, s7, s3
	s_mul_hi_u32 s3, s2, s7
	s_mul_i32 s7, s3, s0
	s_sub_i32 s2, s2, s7
	s_add_i32 s10, s3, 1
	s_sub_i32 s7, s2, s0
	s_cmp_ge_u32 s2, s0
	s_cselect_b32 s3, s10, s3
	s_cselect_b32 s2, s7, s2
	s_add_i32 s7, s3, 1
	s_cmp_ge_u32 s2, s0
	s_cselect_b32 s0, s7, s3
	s_xor_b32 s0, s0, s1
	s_sub_i32 s11, s0, s1
	s_abs_i32 s2, s11
	v_cvt_f32_u32_e32 v1, s2
	s_load_dwordx2 s[0:1], s[4:5], 0x50
	s_sub_i32 s7, 0, s2
	s_abs_i32 s3, s6
	v_rcp_iflag_f32_e32 v1, v1
	v_mul_f32_e32 v1, 0x4f7ffffe, v1
	v_cvt_u32_f32_e32 v1, v1
	v_readfirstlane_b32 s10, v1
	s_mul_i32 s7, s7, s10
	s_mul_hi_u32 s7, s10, s7
	s_add_i32 s10, s10, s7
	s_waitcnt lgkmcnt(0)
	s_cmp_eq_u64 s[0:1], 0
	s_mul_hi_u32 s10, s3, s10
	s_cbranch_scc1 .LBB50_3
; %bb.2:
	s_ashr_i32 s7, s6, 31
	s_lshl_b64 s[12:13], s[6:7], 2
	s_add_u32 s0, s0, s12
	s_addc_u32 s1, s1, s13
	s_load_dword s49, s[0:1], 0x0
.LBB50_3:
	s_load_dwordx4 s[12:15], s[4:5], 0x58
	s_ashr_i32 s7, s6, 31
	s_ashr_i32 s11, s11, 31
	v_and_b32_e32 v2, 1, v0
	s_mul_i32 s24, s6, 0x78
	v_cmp_gt_u32_e32 vcc, 60, v0
	v_lshlrev_b32_e32 v3, 3, v0
	v_lshlrev_b32_e32 v32, 2, v0
	s_and_saveexec_b64 s[0:1], vcc
	s_cbranch_execz .LBB50_5
; %bb.4:
	s_load_dwordx2 s[16:17], s[4:5], 0x18
	s_waitcnt lgkmcnt(0)
	s_mul_i32 s18, s28, s12
	s_ashr_i32 s19, s18, 31
	s_lshl_b64 s[18:19], s[18:19], 2
	v_and_b32_e32 v1, 0xff8, v32
	s_add_u32 s12, s16, s18
	s_addc_u32 s15, s17, s19
	s_ashr_i32 s25, s24, 31
	s_lshl_b64 s[16:17], s[24:25], 2
	s_add_u32 s16, s12, s16
	s_addc_u32 s17, s15, s17
	global_load_dwordx2 v[4:5], v3, s[16:17]
	s_movk_i32 s12, 0xf0
	v_mad_u32_u24 v1, v2, s12, v1
	s_waitcnt vmcnt(0)
	ds_write_b64 v1, v[4:5]
.LBB50_5:
	s_or_b64 exec, exec, s[0:1]
	s_mul_i32 s1, s10, s2
	s_sub_i32 s1, s3, s1
	s_xor_b32 s0, s7, s11
	s_add_i32 s3, s10, 1
	s_sub_i32 s7, s1, s2
	s_load_dwordx4 s[16:19], s[4:5], 0x78
	s_cmp_ge_u32 s1, s2
	s_cselect_b32 s3, s3, s10
	s_load_dword s10, s[4:5], 0x88
	s_cselect_b32 s1, s7, s1
	s_add_i32 s7, s3, 1
	s_cmp_ge_u32 s1, s2
	s_cselect_b32 s1, s7, s3
	s_waitcnt lgkmcnt(0)
	s_abs_i32 s25, s19
	v_cvt_f32_u32_e32 v1, s25
	s_xor_b32 s1, s1, s0
	s_sub_i32 s2, s1, s0
	s_sub_i32 s0, 0, s25
	v_rcp_iflag_f32_e32 v1, v1
	s_add_i32 s11, s29, -1
	s_abs_i32 s3, s11
	v_mul_f32_e32 v1, 0x4f7ffffe, v1
	v_cvt_u32_f32_e32 v1, v1
	s_barrier
	v_readfirstlane_b32 s33, v1
	s_mul_i32 s0, s0, s33
	s_mul_hi_u32 s0, s33, s0
	s_add_i32 s33, s33, s0
	s_cmp_lt_i32 s10, 0
	s_mul_hi_u32 s7, s3, s33
	s_cbranch_scc0 .LBB50_7
; %bb.6:
	s_mul_i32 s0, s16, s38
	s_add_i32 s0, s2, s0
	s_mul_i32 s0, s0, s10
	s_sub_i32 s46, 1, s0
	s_mov_b64 s[0:1], 0
	s_branch .LBB50_8
.LBB50_7:
	s_mov_b64 s[0:1], -1
                                        ; implicit-def: $sgpr46
.LBB50_8:
	s_load_dwordx2 s[30:31], s[4:5], 0x38
	s_ashr_i32 s11, s11, 31
	s_andn2_b64 vcc, exec, s[0:1]
	s_ashr_i32 s19, s19, 31
	s_cbranch_vccnz .LBB50_10
; %bb.9:
	s_mul_i32 s0, s9, s16
	s_add_i32 s0, s0, s6
	s_mul_i32 s0, s0, s10
	s_add_i32 s46, s0, 1
.LBB50_10:
	s_load_dword s0, s[4:5], 0x48
	s_load_dwordx2 s[36:37], s[4:5], 0x28
	s_load_dword s16, s[4:5], 0x98
	s_load_dwordx4 s[20:23], s[4:5], 0x0
	s_load_dwordx2 s[26:27], s[4:5], 0x10
	s_mul_i32 s1, s7, s25
	s_waitcnt lgkmcnt(0)
	s_mul_i32 s34, s28, s0
	s_sub_i32 s1, s3, s1
	s_ashr_i32 s35, s34, 31
	s_xor_b32 s0, s11, s19
	s_add_i32 s3, s7, 1
	s_sub_i32 s10, s1, s25
	s_cmp_ge_u32 s1, s25
	s_cselect_b32 s3, s3, s7
	s_cselect_b32 s1, s10, s1
	s_add_i32 s7, s3, 1
	s_cmp_ge_u32 s1, s25
	s_cselect_b32 s1, s7, s3
	s_xor_b32 s1, s1, s0
	s_sub_i32 s12, s1, s0
	s_add_i32 s0, s29, 31
	s_ashr_i32 s1, s0, 31
	s_lshr_b32 s1, s1, 27
	s_add_i32 s0, s0, s1
	s_lshl_b32 s38, s8, 4
	s_ashr_i32 s7, s0, 5
	s_add_i32 s0, s38, 16
	v_lshrrev_b32_e32 v33, 6, v0
	s_min_i32 s47, s0, s7
	v_or_b32_e32 v66, s38, v33
	v_cmp_gt_i32_e64 s[0:1], s47, v66
	v_mov_b32_e32 v40, 0xff7fffff
	s_mul_i32 s14, s2, s14
	v_ashrrev_i32_e32 v67, 31, v66
	v_lshl_add_u32 v1, v33, 5, s48
	v_mbcnt_lo_u32_b32 v34, -1, 0
	s_and_saveexec_b64 s[40:41], s[0:1]
	s_cbranch_execz .LBB50_20
; %bb.11:
	s_load_dwordx2 s[2:3], s[4:5], 0x20
	s_ashr_i32 s15, s14, 31
	s_sub_i32 s50, s12, s17
	s_lshl_b64 s[4:5], s[14:15], 2
	v_bfe_u32 v35, v0, 1, 5
	s_waitcnt lgkmcnt(0)
	s_add_u32 s2, s2, s4
	s_addc_u32 s3, s3, s5
	s_abs_i32 s15, s18
	v_cvt_f32_u32_e32 v7, s15
	v_lshlrev_b32_e32 v5, 4, v35
	v_mov_b32_e32 v6, s3
	v_add_co_u32_e64 v5, s[2:3], s2, v5
	v_rcp_iflag_f32_e32 v7, v7
	v_addc_co_u32_e64 v6, s[2:3], 0, v6, s[2:3]
	v_and_b32_e32 v3, 8, v3
	v_add_co_u32_e64 v36, s[2:3], v5, v3
	v_mul_f32_e32 v3, 0x4f7ffffe, v7
	v_cvt_u32_f32_e32 v3, v3
	s_sub_i32 s4, 0, s15
	v_cmp_eq_u32_e32 vcc, 0, v2
	v_lshlrev_b32_e32 v4, 2, v35
	v_mul_u32_u24_e32 v38, 0xf0, v2
	v_mul_lo_u32 v2, s4, v3
	s_lshl_b64 s[4:5], s[34:35], 2
	v_mul_hi_u32 v2, v3, v2
	s_add_u32 s4, s30, s4
	v_lshl_or_b32 v4, v33, 7, v4
	v_add_u32_e32 v39, v3, v2
	v_lshlrev_b64 v[2:3], 2, v[66:67]
	s_addc_u32 s5, s31, s5
	v_add_u32_e32 v42, 0x1f0, v4
	v_subrev_u32_e32 v4, s29, v35
	v_mbcnt_hi_u32_b32 v45, -1, v34
	v_addc_co_u32_e64 v37, s[2:3], 0, v6, s[2:3]
	v_mov_b32_e32 v5, s5
	v_add_co_u32_e64 v2, s[4:5], s4, v2
	v_add_u32_e32 v43, 1, v4
	v_and_b32_e32 v4, 64, v45
	s_mov_b32 s51, s13
	v_cmp_neq_f32_e64 s[2:3], s49, 0
	v_addc_co_u32_e64 v3, s[4:5], v5, v3, s[4:5]
	v_lshl_add_u32 v41, v33, 5, s48
	s_mov_b64 s[42:43], 0
	v_mov_b32_e32 v44, 0xff7fffff
	s_movk_i32 s52, 0x1000
	s_movk_i32 s53, 0x2000
	;; [unrolled: 1-line block ×3, first 2 shown]
	v_xor_b32_e32 v46, 1, v45
	v_add_u32_e32 v47, 64, v4
	v_mov_b32_e32 v40, 0xff7fffff
	v_mov_b32_e32 v48, v66
	s_branch .LBB50_14
.LBB50_12:                              ;   in Loop: Header=BB50_14 Depth=1
	s_or_b64 exec, exec, s[44:45]
.LBB50_13:                              ;   in Loop: Header=BB50_14 Depth=1
	s_or_b64 exec, exec, s[10:11]
	v_add_co_u32_e64 v2, s[4:5], 8, v2
	v_add_u32_e32 v48, 2, v48
	v_addc_co_u32_e64 v3, s[4:5], 0, v3, s[4:5]
	v_cmp_le_i32_e64 s[4:5], s47, v48
	v_add_u32_e32 v41, 64, v41
	s_or_b64 s[42:43], s[4:5], s[42:43]
	v_add_u32_e32 v42, 0x100, v42
	s_andn2_b64 exec, exec, s[42:43]
	s_cbranch_execz .LBB50_19
.LBB50_14:                              ; =>This Inner Loop Header: Depth=1
	s_waitcnt lgkmcnt(0)
	v_sub_u32_e32 v5, 0, v41
	v_max_i32_e32 v5, v41, v5
	v_mul_hi_u32 v6, v5, s33
	v_mul_lo_u32 v7, v6, s25
	v_sub_u32_e32 v5, v5, v7
	v_add_u32_e32 v7, 1, v6
	v_cmp_le_u32_e64 s[4:5], s25, v5
	v_cndmask_b32_e64 v6, v6, v7, s[4:5]
	v_subrev_u32_e32 v7, s25, v5
	v_cndmask_b32_e64 v5, v5, v7, s[4:5]
	v_ashrrev_i32_e32 v4, 31, v41
	v_add_u32_e32 v7, 1, v6
	v_cmp_le_u32_e64 s[4:5], s25, v5
	v_xor_b32_e32 v4, s19, v4
	v_cndmask_b32_e64 v5, v6, v7, s[4:5]
	v_xor_b32_e32 v5, v5, v4
	v_sub_u32_e32 v4, v5, v4
	v_add_u32_e32 v5, s46, v4
	v_sub_u32_e32 v7, 0, v5
	v_ashrrev_i32_e32 v6, 31, v5
	v_max_i32_e32 v5, v5, v7
	v_mul_hi_u32 v7, v5, v39
	v_mul_lo_u32 v7, v7, s15
	v_sub_u32_e32 v5, v5, v7
	v_subrev_u32_e32 v7, s15, v5
	v_cmp_le_u32_e64 s[4:5], s15, v5
	v_cndmask_b32_e64 v5, v5, v7, s[4:5]
	v_subrev_u32_e32 v7, s15, v5
	v_cmp_le_u32_e64 s[4:5], s15, v5
	v_cndmask_b32_e64 v5, v5, v7, s[4:5]
	v_xor_b32_e32 v5, v5, v6
	v_sub_u32_e32 v5, v5, v6
	v_cmp_ne_u32_e64 s[4:5], 0, v5
	v_cmp_ge_i32_e64 s[10:11], s50, v4
	s_and_b64 s[4:5], s[4:5], s[10:11]
	s_and_b64 s[44:45], vcc, s[4:5]
	s_and_saveexec_b64 s[10:11], s[44:45]
	s_cbranch_execz .LBB50_16
; %bb.15:                               ;   in Loop: Header=BB50_14 Depth=1
	ds_write_b32 v42, v44
.LBB50_16:                              ;   in Loop: Header=BB50_14 Depth=1
	s_or_b64 exec, exec, s[10:11]
	s_xor_b64 s[4:5], s[4:5], -1
	s_and_saveexec_b64 s[10:11], s[4:5]
	s_cbranch_execz .LBB50_13
; %bb.17:                               ;   in Loop: Header=BB50_14 Depth=1
	global_load_dword v4, v[2:3], off
	s_waitcnt vmcnt(0)
	v_mad_i64_i32 v[4:5], s[4:5], v4, s51, 0
	v_lshlrev_b64 v[4:5], 2, v[4:5]
	v_add_co_u32_e64 v16, s[4:5], v36, v4
	v_addc_co_u32_e64 v17, s[4:5], v37, v5, s[4:5]
	global_load_dwordx2 v[22:23], v[16:17], off offset:512
	global_load_dwordx2 v[24:25], v[16:17], off
	global_load_dwordx2 v[26:27], v[16:17], off offset:1024
	global_load_dwordx2 v[60:61], v[16:17], off offset:1536
	;; [unrolled: 1-line block ×6, first 2 shown]
	v_add_co_u32_e64 v72, s[4:5], s53, v16
	v_addc_co_u32_e64 v73, s[4:5], 0, v17, s[4:5]
	global_load_dwordx2 v[74:75], v[72:73], off offset:-4096
	v_add_co_u32_e64 v52, s[4:5], s52, v16
	v_addc_co_u32_e64 v53, s[4:5], 0, v17, s[4:5]
	global_load_dwordx2 v[76:77], v[52:53], off offset:512
	global_load_dwordx2 v[28:29], v[52:53], off offset:1024
	ds_read_b128 v[4:7], v38
	ds_read_b128 v[8:11], v38 offset:16
	global_load_dwordx2 v[30:31], v[52:53], off offset:1536
	ds_read_b128 v[12:15], v38 offset:32
	ds_read_b128 v[18:21], v38 offset:48
	global_load_dwordx2 v[78:79], v[52:53], off offset:2048
	global_load_dwordx2 v[80:81], v[52:53], off offset:2560
	;; [unrolled: 1-line block ×4, first 2 shown]
	ds_read_b128 v[52:55], v38 offset:64
	ds_read_b128 v[56:59], v38 offset:80
	global_load_dwordx2 v[86:87], v[72:73], off
	global_load_dwordx2 v[88:89], v[72:73], off offset:512
	s_waitcnt vmcnt(17) lgkmcnt(5)
	v_mul_f32_e32 v49, v6, v22
	v_mul_f32_e32 v50, v7, v23
	s_waitcnt vmcnt(16)
	v_fmac_f32_e32 v49, v4, v24
	v_fmac_f32_e32 v50, v5, v25
	s_waitcnt vmcnt(15) lgkmcnt(4)
	v_fmac_f32_e32 v49, v8, v26
	v_fmac_f32_e32 v50, v9, v27
	global_load_dwordx2 v[6:7], v[72:73], off offset:1024
	s_waitcnt vmcnt(15)
	v_fmac_f32_e32 v49, v10, v60
	v_fmac_f32_e32 v50, v11, v61
	global_load_dwordx2 v[10:11], v[72:73], off offset:1536
	v_add_co_u32_e64 v22, s[4:5], s54, v16
	s_waitcnt vmcnt(15) lgkmcnt(3)
	v_fmac_f32_e32 v49, v12, v62
	v_fmac_f32_e32 v50, v13, v63
	v_addc_co_u32_e64 v23, s[4:5], 0, v17, s[4:5]
	s_waitcnt vmcnt(14)
	v_fmac_f32_e32 v49, v14, v64
	v_fmac_f32_e32 v50, v15, v65
	global_load_dwordx2 v[16:17], v[72:73], off offset:2048
	global_load_dwordx2 v[14:15], v[72:73], off offset:2560
	;; [unrolled: 1-line block ×4, first 2 shown]
	s_waitcnt vmcnt(17) lgkmcnt(2)
	v_fmac_f32_e32 v49, v18, v68
	v_fmac_f32_e32 v50, v19, v69
	global_load_dwordx2 v[18:19], v[22:23], off
	s_waitcnt vmcnt(17)
	v_fmac_f32_e32 v49, v20, v70
	v_fmac_f32_e32 v50, v21, v71
	global_load_dwordx2 v[4:5], v[22:23], off offset:2560
	global_load_dwordx2 v[20:21], v[22:23], off offset:512
	;; [unrolled: 1-line block ×4, first 2 shown]
	s_nop 0
	global_load_dwordx2 v[22:23], v[22:23], off offset:2048
	s_waitcnt vmcnt(21) lgkmcnt(1)
	v_fmac_f32_e32 v49, v52, v74
	v_fmac_f32_e32 v50, v53, v75
	s_waitcnt vmcnt(20)
	v_fmac_f32_e32 v49, v54, v76
	v_fmac_f32_e32 v50, v55, v77
	ds_read_b128 v[52:55], v38 offset:96
	ds_read_b128 v[60:63], v38 offset:112
	s_waitcnt vmcnt(19) lgkmcnt(2)
	v_fmac_f32_e32 v49, v56, v28
	v_fmac_f32_e32 v50, v57, v29
	s_waitcnt vmcnt(18)
	v_fmac_f32_e32 v49, v58, v30
	v_fmac_f32_e32 v50, v59, v31
	s_waitcnt vmcnt(17) lgkmcnt(1)
	v_fmac_f32_e32 v49, v52, v78
	v_fmac_f32_e32 v50, v53, v79
	ds_read_b128 v[28:31], v38 offset:128
	ds_read_b128 v[56:59], v38 offset:144
	s_waitcnt vmcnt(16)
	v_fmac_f32_e32 v49, v54, v80
	v_fmac_f32_e32 v50, v55, v81
	s_waitcnt vmcnt(15) lgkmcnt(2)
	v_fmac_f32_e32 v49, v60, v82
	v_fmac_f32_e32 v50, v61, v83
	s_waitcnt vmcnt(14)
	v_fmac_f32_e32 v49, v62, v84
	v_fmac_f32_e32 v50, v63, v85
	ds_read_b128 v[52:55], v38 offset:160
	ds_read_b128 v[68:71], v38 offset:176
	s_waitcnt vmcnt(13) lgkmcnt(3)
	v_fmac_f32_e32 v49, v28, v86
	v_fmac_f32_e32 v50, v29, v87
	s_waitcnt vmcnt(12)
	v_fmac_f32_e32 v49, v30, v88
	v_fmac_f32_e32 v50, v31, v89
	ds_read_b128 v[28:31], v38 offset:192
	ds_read_b128 v[60:63], v38 offset:208
	;; [unrolled: 1-line block ×3, first 2 shown]
	v_cmp_lt_i32_e64 s[4:5], v46, v47
	v_cndmask_b32_e64 v51, v45, v46, s[4:5]
	v_lshlrev_b32_e32 v51, 2, v51
	s_waitcnt vmcnt(11) lgkmcnt(5)
	v_fmac_f32_e32 v49, v56, v6
	v_fmac_f32_e32 v50, v57, v7
	s_waitcnt vmcnt(10)
	v_fmac_f32_e32 v49, v58, v10
	v_fmac_f32_e32 v50, v59, v11
	s_waitcnt vmcnt(9) lgkmcnt(4)
	v_fmac_f32_e32 v49, v52, v16
	v_fmac_f32_e32 v50, v53, v17
	s_waitcnt vmcnt(8)
	v_fmac_f32_e32 v49, v54, v14
	v_fmac_f32_e32 v50, v55, v15
	;; [unrolled: 6-line block ×5, first 2 shown]
	s_waitcnt vmcnt(0) lgkmcnt(0)
	v_fmac_f32_e32 v49, v22, v72
	v_fmac_f32_e32 v50, v23, v73
	;; [unrolled: 1-line block ×4, first 2 shown]
	v_add_f32_e32 v4, v49, v50
	ds_bpermute_b32 v5, v51, v4
	s_and_saveexec_b64 s[44:45], vcc
	s_cbranch_execz .LBB50_12
; %bb.18:                               ;   in Loop: Header=BB50_14 Depth=1
	v_add_u32_e32 v6, v43, v41
	v_cvt_f32_i32_e32 v6, v6
	s_waitcnt lgkmcnt(0)
	v_add_f32_e32 v4, v4, v5
	v_add_u32_e32 v7, v35, v41
	v_cmp_gt_i32_e64 s[4:5], s29, v7
	v_mul_f32_e32 v5, s49, v6
	v_cndmask_b32_e64 v5, 0, v5, s[2:3]
	v_fmac_f32_e32 v5, s39, v4
	v_cndmask_b32_e64 v4, 0, v5, s[4:5]
	ds_write_b32 v42, v4
	v_max_f32_e32 v4, v40, v40
	v_max_f32_e32 v4, v4, v5
	v_cndmask_b32_e64 v40, v40, v4, s[4:5]
	s_branch .LBB50_12
.LBB50_19:
	s_or_b64 exec, exec, s[42:43]
.LBB50_20:
	s_or_b64 exec, exec, s[40:41]
	v_mbcnt_hi_u32_b32 v4, -1, v34
	v_and_b32_e32 v2, 64, v4
	v_add_u32_e32 v8, 64, v2
	v_xor_b32_e32 v2, 32, v4
	v_cmp_lt_i32_e32 vcc, v2, v8
	v_cndmask_b32_e32 v2, v4, v2, vcc
	v_lshlrev_b32_e32 v2, 2, v2
	ds_bpermute_b32 v3, v2, v40
	v_xor_b32_e32 v6, 16, v4
	s_waitcnt lgkmcnt(1)
	v_max_f32_e32 v5, v40, v40
	v_cmp_lt_i32_e32 vcc, v6, v8
	v_xor_b32_e32 v7, 8, v4
	s_waitcnt lgkmcnt(0)
	v_max_f32_e32 v3, v3, v3
	v_max_f32_e32 v5, v5, v3
	v_cndmask_b32_e32 v3, v4, v6, vcc
	v_lshlrev_b32_e32 v3, 2, v3
	ds_bpermute_b32 v6, v3, v5
	v_cmp_lt_i32_e32 vcc, v7, v8
	v_xor_b32_e32 v9, 4, v4
	v_and_b32_e32 v84, 63, v0
	s_waitcnt lgkmcnt(0)
	v_max_f32_e32 v6, v6, v6
	v_max_f32_e32 v6, v5, v6
	v_cndmask_b32_e32 v5, v4, v7, vcc
	v_lshlrev_b32_e32 v5, 2, v5
	ds_bpermute_b32 v7, v5, v6
	v_cmp_lt_i32_e32 vcc, v9, v8
	s_waitcnt lgkmcnt(0)
	v_max_f32_e32 v7, v7, v7
	v_max_f32_e32 v6, v6, v7
	v_cndmask_b32_e32 v7, v4, v9, vcc
	v_lshlrev_b32_e32 v85, 2, v7
	ds_bpermute_b32 v7, v85, v6
	v_xor_b32_e32 v9, 2, v4
	v_cmp_lt_i32_e32 vcc, v9, v8
	s_waitcnt lgkmcnt(0)
	v_max_f32_e32 v7, v7, v7
	v_max_f32_e32 v7, v6, v7
	v_cndmask_b32_e32 v6, v4, v9, vcc
	v_lshlrev_b32_e32 v86, 2, v6
	ds_bpermute_b32 v9, v86, v7
	v_cmp_eq_u32_e32 vcc, 0, v84
	v_lshlrev_b32_e32 v6, 2, v33
	s_and_saveexec_b64 s[2:3], vcc
	s_cbranch_execz .LBB50_22
; %bb.21:
	s_waitcnt lgkmcnt(0)
	v_max_f32_e32 v9, v9, v9
	v_max_f32_e32 v7, v7, v7
	;; [unrolled: 1-line block ×3, first 2 shown]
	ds_write_b32 v6, v7 offset:480
.LBB50_22:
	s_or_b64 exec, exec, s[2:3]
	v_cmp_gt_u32_e64 s[2:3], 2, v84
	s_waitcnt lgkmcnt(0)
	v_mov_b32_e32 v9, 0xff7fffff
	v_lshlrev_b32_e32 v7, 2, v84
	s_barrier
	s_and_saveexec_b64 s[4:5], s[2:3]
	s_cbranch_execz .LBB50_24
; %bb.23:
	ds_read_b32 v9, v7 offset:480
.LBB50_24:
	s_or_b64 exec, exec, s[4:5]
	v_xor_b32_e32 v10, 1, v4
	v_cmp_lt_i32_e64 s[4:5], v10, v8
	v_cndmask_b32_e64 v8, v4, v10, s[4:5]
	v_lshlrev_b32_e32 v87, 2, v8
	s_waitcnt lgkmcnt(0)
	ds_bpermute_b32 v8, v87, v9
	v_max_f32_e32 v9, v9, v9
	v_lshlrev_b32_e32 v4, 2, v4
	s_sub_i32 s4, s47, s38
	s_lshl_b32 s4, s4, 5
	s_waitcnt lgkmcnt(0)
	v_max_f32_e32 v8, v8, v8
	v_max_f32_e32 v9, v9, v8
	v_and_b32_e32 v8, 0x100, v4
	ds_bpermute_b32 v4, v8, v9
	s_add_i32 s4, s4, s48
	s_min_i32 s42, s4, s29
	s_sub_i32 s15, s42, s48
	v_cmp_gt_i32_e64 s[4:5], s15, v0
	v_mov_b32_e32 v9, 0
	s_and_saveexec_b64 s[38:39], s[4:5]
	s_cbranch_execz .LBB50_28
; %bb.25:
	v_mov_b32_e32 v9, 0x1f0
	v_lshl_add_u32 v10, v0, 2, v9
	s_mov_b64 s[40:41], 0
	v_mov_b32_e32 v9, 0
	v_mov_b32_e32 v11, v0
.LBB50_26:                              ; =>This Inner Loop Header: Depth=1
	ds_read_b32 v12, v10
	v_add_u32_e32 v11, 0x80, v11
	v_cmp_le_i32_e64 s[10:11], s15, v11
	s_or_b64 s[40:41], s[10:11], s[40:41]
	s_waitcnt lgkmcnt(0)
	v_sub_f32_e32 v12, v12, v4
	v_mul_f32_e32 v12, 0x3fb8aa3b, v12
	v_exp_f32_e32 v12, v12
	ds_write_b32 v10, v12
	v_add_f32_e32 v9, v9, v12
	v_add_u32_e32 v10, 0x200, v10
	s_andn2_b64 exec, exec, s[40:41]
	s_cbranch_execnz .LBB50_26
; %bb.27:
	s_or_b64 exec, exec, s[40:41]
.LBB50_28:
	s_or_b64 exec, exec, s[38:39]
	ds_bpermute_b32 v2, v2, v9
	s_waitcnt lgkmcnt(0)
	v_add_f32_e32 v2, v9, v2
	ds_bpermute_b32 v3, v3, v2
	s_waitcnt lgkmcnt(0)
	v_add_f32_e32 v2, v2, v3
	;; [unrolled: 3-line block ×6, first 2 shown]
	s_and_saveexec_b64 s[10:11], vcc
	s_cbranch_execz .LBB50_30
; %bb.29:
	ds_write_b32 v6, v2 offset:488
.LBB50_30:
	s_or_b64 exec, exec, s[10:11]
	s_waitcnt lgkmcnt(0)
	s_barrier
	s_and_saveexec_b64 s[10:11], s[2:3]
	s_cbranch_execz .LBB50_32
; %bb.31:
	ds_read_b32 v2, v7 offset:488
.LBB50_32:
	s_or_b64 exec, exec, s[10:11]
	s_waitcnt lgkmcnt(0)
	ds_bpermute_b32 v3, v87, v2
	s_waitcnt lgkmcnt(0)
	v_add_f32_e32 v2, v2, v3
	ds_bpermute_b32 v5, v8, v2
	s_and_saveexec_b64 s[2:3], s[4:5]
	s_cbranch_execz .LBB50_45
; %bb.33:
	s_waitcnt lgkmcnt(0)
	v_add_f32_e32 v2, 0x358637bd, v5
	v_div_scale_f32 v3, s[4:5], v2, v2, 1.0
	v_rcp_f32_e32 v6, v3
	v_div_scale_f32 v7, vcc, 1.0, v2, 1.0
	s_movk_i32 s4, 0x7f
	v_fma_f32 v8, -v3, v6, 1.0
	v_fmac_f32_e32 v6, v8, v6
	v_mul_f32_e32 v8, v7, v6
	v_fma_f32 v9, -v3, v8, v7
	v_fmac_f32_e32 v8, v9, v6
	v_fma_f32 v3, -v3, v8, v7
	v_div_fmas_f32 v3, v3, v6, v8
	v_div_fixup_f32 v2, v3, v2, 1.0
	v_xad_u32 v3, v0, -1, s42
	v_subrev_u32_e32 v6, s48, v3
	v_cmp_lt_u32_e32 vcc, s4, v6
	s_mov_b64 s[10:11], -1
	v_mov_b32_e32 v3, v0
	s_and_saveexec_b64 s[4:5], vcc
	s_cbranch_execz .LBB50_42
; %bb.34:
	v_lshrrev_b32_e32 v6, 7, v6
	v_add_u32_e32 v8, -1, v6
	v_lshrrev_b32_e32 v7, 1, v8
	v_mov_b32_e32 v3, v2
	v_add_u32_e32 v7, 1, v7
	v_cmp_lt_u32_e32 vcc, 13, v8
	v_mov_b32_e32 v10, 0
	s_and_saveexec_b64 s[10:11], vcc
	s_cbranch_execz .LBB50_38
; %bb.35:
	v_mov_b32_e32 v9, 0x1f0
	v_and_b32_e32 v8, -8, v7
	v_lshl_add_u32 v9, v0, 2, v9
	s_mov_b32 s40, 0
	s_mov_b64 s[38:39], 0
.LBB50_36:                              ; =>This Inner Loop Header: Depth=1
	ds_read2st64_b32 v[10:11], v9 offset1:2
	ds_read2st64_b32 v[12:13], v9 offset0:4 offset1:6
	ds_read2st64_b32 v[14:15], v9 offset0:8 offset1:10
	;; [unrolled: 1-line block ×3, first 2 shown]
	v_add_u32_e32 v8, -8, v8
	s_waitcnt lgkmcnt(3)
	v_pk_mul_f32 v[10:11], v[2:3], v[10:11]
	s_waitcnt lgkmcnt(2)
	v_pk_mul_f32 v[12:13], v[2:3], v[12:13]
	ds_write2st64_b32 v9, v10, v11 offset1:2
	ds_write2st64_b32 v9, v12, v13 offset0:4 offset1:6
	ds_read2st64_b32 v[12:13], v9 offset0:16 offset1:18
	s_waitcnt lgkmcnt(4)
	v_pk_mul_f32 v[10:11], v[2:3], v[14:15]
	ds_write2st64_b32 v9, v10, v11 offset0:8 offset1:10
	s_waitcnt lgkmcnt(4)
	v_pk_mul_f32 v[10:11], v[2:3], v[16:17]
	ds_write2st64_b32 v9, v10, v11 offset0:12 offset1:14
	ds_read2st64_b32 v[10:11], v9 offset0:20 offset1:22
	s_waitcnt lgkmcnt(3)
	v_pk_mul_f32 v[12:13], v[2:3], v[12:13]
	ds_read2st64_b32 v[14:15], v9 offset0:24 offset1:26
	ds_write2st64_b32 v9, v12, v13 offset0:16 offset1:18
	ds_read2st64_b32 v[12:13], v9 offset0:28 offset1:30
	s_waitcnt lgkmcnt(3)
	v_pk_mul_f32 v[10:11], v[2:3], v[10:11]
	ds_write2st64_b32 v9, v10, v11 offset0:20 offset1:22
	s_waitcnt lgkmcnt(3)
	v_pk_mul_f32 v[10:11], v[2:3], v[14:15]
	ds_write2st64_b32 v9, v10, v11 offset0:24 offset1:26
	s_waitcnt lgkmcnt(2)
	v_pk_mul_f32 v[10:11], v[2:3], v[12:13]
	s_add_i32 s40, s40, 16
	v_cmp_eq_u32_e32 vcc, 0, v8
	ds_write2st64_b32 v9, v10, v11 offset0:28 offset1:30
	v_add_u32_e32 v9, 0x2000, v9
	s_or_b64 s[38:39], vcc, s[38:39]
	v_mov_b32_e32 v10, s40
	s_andn2_b64 exec, exec, s[38:39]
	s_cbranch_execnz .LBB50_36
; %bb.37:
	s_or_b64 exec, exec, s[38:39]
.LBB50_38:
	s_or_b64 exec, exec, s[10:11]
	v_and_b32_e32 v7, 7, v7
	v_cmp_ne_u32_e32 vcc, 0, v7
	s_and_saveexec_b64 s[10:11], vcc
	s_cbranch_execz .LBB50_41
; %bb.39:
	v_lshlrev_b32_e32 v8, 9, v10
	s_movk_i32 s38, 0x1f0
	v_add3_u32 v8, v8, v32, s38
	s_mov_b64 s[38:39], 0
.LBB50_40:                              ; =>This Inner Loop Header: Depth=1
	ds_read2st64_b32 v[10:11], v8 offset1:2
	v_add_u32_e32 v7, -1, v7
	v_cmp_eq_u32_e32 vcc, 0, v7
	s_or_b64 s[38:39], vcc, s[38:39]
	s_waitcnt lgkmcnt(0)
	v_pk_mul_f32 v[10:11], v[2:3], v[10:11]
	ds_write2st64_b32 v8, v10, v11 offset1:2
	v_add_u32_e32 v8, 0x400, v8
	s_andn2_b64 exec, exec, s[38:39]
	s_cbranch_execnz .LBB50_40
.LBB50_41:
	s_or_b64 exec, exec, s[10:11]
	v_add_u32_e32 v6, 1, v6
	v_and_b32_e32 v7, 0x3fffffe, v6
	v_cmp_ne_u32_e32 vcc, v6, v7
	v_lshl_add_u32 v3, v7, 7, v0
	s_orn2_b64 s[10:11], vcc, exec
.LBB50_42:
	s_or_b64 exec, exec, s[4:5]
	s_and_b64 exec, exec, s[10:11]
	s_cbranch_execz .LBB50_45
; %bb.43:
	v_mov_b32_e32 v6, 0x1f0
	v_lshl_add_u32 v6, v3, 2, v6
	s_mov_b64 s[4:5], 0
.LBB50_44:                              ; =>This Inner Loop Header: Depth=1
	ds_read_b32 v7, v6
	v_add_u32_e32 v3, 0x80, v3
	v_cmp_le_i32_e32 vcc, s15, v3
	s_or_b64 s[4:5], vcc, s[4:5]
	s_waitcnt lgkmcnt(0)
	v_mul_f32_e32 v7, v2, v7
	ds_write_b32 v6, v7
	v_add_u32_e32 v6, 0x200, v6
	s_andn2_b64 exec, exec, s[4:5]
	s_cbranch_execnz .LBB50_44
.LBB50_45:
	s_or_b64 exec, exec, s[2:3]
	s_mul_i32 s2, s16, s28
	v_cmp_eq_u32_e32 vcc, 0, v0
	s_mul_i32 s2, s2, s9
	s_waitcnt lgkmcnt(0)
	s_barrier
	s_and_saveexec_b64 s[4:5], vcc
	s_cbranch_execz .LBB50_47
; %bb.46:
	s_ashr_i32 s3, s2, 31
	s_lshl_b64 s[10:11], s[2:3], 2
	s_add_u32 s3, s22, s10
	s_mul_i32 s22, s16, s6
	s_addc_u32 s9, s23, s11
	s_ashr_i32 s23, s22, 31
	s_lshl_b64 s[22:23], s[22:23], 2
	s_add_u32 s3, s3, s22
	s_addc_u32 s6, s9, s23
	s_ashr_i32 s9, s8, 31
	s_lshl_b64 s[38:39], s[8:9], 2
	s_add_u32 s40, s3, s38
	s_addc_u32 s41, s6, s39
	s_add_u32 s3, s20, s10
	s_addc_u32 s6, s21, s11
	;; [unrolled: 2-line block ×3, first 2 shown]
	s_add_u32 s10, s3, s38
	v_mov_b32_e32 v2, 0
	s_addc_u32 s11, s6, s39
	global_store_dword v2, v4, s[40:41]
	global_store_dword v2, v5, s[10:11]
.LBB50_47:
	s_or_b64 exec, exec, s[4:5]
	v_mov_b32_e32 v80, 0
	v_and_b32_e32 v88, 7, v0
	v_mov_b32_e32 v81, 0
	v_mov_b32_e32 v78, 0
	;; [unrolled: 1-line block ×14, first 2 shown]
	s_and_saveexec_b64 s[4:5], s[0:1]
	s_cbranch_execz .LBB50_83
; %bb.48:
	s_ashr_i32 s15, s14, 31
	s_sub_i32 s3, s12, s17
	s_lshl_b64 s[0:1], s[14:15], 2
	s_add_u32 s14, s36, s0
	s_addc_u32 s15, s37, s1
	s_abs_i32 s18, s18
	v_cvt_f32_u32_e32 v3, s18
	s_sub_i32 s0, 0, s18
	s_add_i32 s17, s7, -1
	v_lshlrev_b64 v[26:27], 2, v[66:67]
	v_rcp_iflag_f32_e32 v3, v3
	v_and_b32_e32 v2, 0xfc, v32
	v_mov_b32_e32 v89, 0
	v_or_b32_e32 v4, 0x400, v2
	v_mul_f32_e32 v3, 0x4f7ffffe, v3
	v_cvt_u32_f32_e32 v3, v3
	v_or_b32_e32 v6, 0x500, v2
	v_or_b32_e32 v8, 0x600, v2
	;; [unrolled: 1-line block ×3, first 2 shown]
	v_mul_lo_u32 v5, s0, v3
	s_lshl_b64 s[0:1], s[34:35], 2
	s_add_u32 s0, s30, s0
	v_mul_hi_u32 v5, v3, v5
	s_addc_u32 s1, s31, s1
	v_add_u32_e32 v91, v3, v5
	v_mov_b32_e32 v3, s1
	v_add_co_u32_e32 v82, vcc, s0, v26
	v_addc_co_u32_e32 v83, vcc, v3, v27, vcc
	v_lshlrev_b32_e32 v3, 4, v88
	v_or_b32_e32 v12, 0x800, v2
	v_or_b32_e32 v14, 0x900, v2
	;; [unrolled: 1-line block ×7, first 2 shown]
	v_lshl_or_b32 v3, v33, 7, v3
	v_and_b32_e32 v90, 28, v32
	s_mov_b32 s9, s13
	v_add_u32_e32 v67, 0x1f0, v3
	s_mov_b64 s[6:7], 0
	v_lshlrev_b32_e32 v92, 2, v2
	v_lshlrev_b32_e32 v93, 2, v4
	;; [unrolled: 1-line block ×12, first 2 shown]
	v_mov_b32_e32 v69, 0
	v_mov_b32_e32 v68, v89
	;; [unrolled: 1-line block ×14, first 2 shown]
	s_branch .LBB50_51
.LBB50_49:                              ;   in Loop: Header=BB50_51 Depth=1
	s_or_b64 exec, exec, s[0:1]
	s_waitcnt vmcnt(1) lgkmcnt(0)
	v_mul_f32_e32 v63, v3, v63
	v_mul_f32_e32 v59, v3, v59
	;; [unrolled: 1-line block ×14, first 2 shown]
	s_waitcnt vmcnt(0)
	v_mul_f32_e32 v3, v3, v55
	v_fmac_f32_e32 v63, v2, v62
	v_fmac_f32_e32 v59, v2, v58
	;; [unrolled: 1-line block ×45, first 2 shown]
	v_add_f32_e32 v69, v69, v63
	v_add_f32_e32 v68, v68, v59
	v_add_f32_e32 v71, v71, v51
	v_add_f32_e32 v70, v70, v47
	v_add_f32_e32 v73, v73, v43
	v_add_f32_e32 v72, v72, v39
	v_add_f32_e32 v75, v75, v35
	v_add_f32_e32 v74, v74, v31
	v_add_f32_e32 v77, v77, v27
	v_add_f32_e32 v76, v76, v23
	v_add_f32_e32 v79, v79, v19
	v_add_f32_e32 v78, v78, v15
	v_add_f32_e32 v81, v81, v11
	v_add_f32_e32 v80, v80, v7
	v_add_f32_e32 v89, v89, v3
.LBB50_50:                              ;   in Loop: Header=BB50_51 Depth=1
	s_or_b64 exec, exec, s[10:11]
	v_add_co_u32_e32 v82, vcc, 8, v82
	v_add_u32_e32 v66, 2, v66
	v_addc_co_u32_e32 v83, vcc, 0, v83, vcc
	v_cmp_le_i32_e32 vcc, s47, v66
	v_add_u32_e32 v1, 64, v1
	s_or_b64 s[6:7], vcc, s[6:7]
	v_add_u32_e32 v67, 0x100, v67
	s_andn2_b64 exec, exec, s[6:7]
	s_cbranch_execz .LBB50_82
.LBB50_51:                              ; =>This Inner Loop Header: Depth=1
	v_sub_u32_e32 v3, 0, v1
	v_max_i32_e32 v3, v1, v3
	v_mul_hi_u32 v4, v3, s33
	v_mul_lo_u32 v5, v4, s25
	v_sub_u32_e32 v3, v3, v5
	v_add_u32_e32 v5, 1, v4
	v_cmp_le_u32_e32 vcc, s25, v3
	v_cndmask_b32_e32 v4, v4, v5, vcc
	v_subrev_u32_e32 v5, s25, v3
	v_cndmask_b32_e32 v3, v3, v5, vcc
	v_ashrrev_i32_e32 v2, 31, v1
	v_add_u32_e32 v5, 1, v4
	v_cmp_le_u32_e32 vcc, s25, v3
	v_xor_b32_e32 v2, s19, v2
	v_cndmask_b32_e32 v3, v4, v5, vcc
	v_xor_b32_e32 v3, v3, v2
	v_sub_u32_e32 v2, v3, v2
	v_add_u32_e32 v3, s46, v2
	v_sub_u32_e32 v5, 0, v3
	v_ashrrev_i32_e32 v4, 31, v3
	v_max_i32_e32 v3, v3, v5
	v_mul_hi_u32 v5, v3, v91
	v_mul_lo_u32 v5, v5, s18
	v_sub_u32_e32 v3, v3, v5
	v_subrev_u32_e32 v5, s18, v3
	v_cmp_le_u32_e32 vcc, s18, v3
	v_cndmask_b32_e32 v3, v3, v5, vcc
	v_subrev_u32_e32 v5, s18, v3
	v_cmp_le_u32_e32 vcc, s18, v3
	v_cndmask_b32_e32 v3, v3, v5, vcc
	v_xor_b32_e32 v3, v3, v4
	v_sub_u32_e32 v3, v3, v4
	v_cmp_eq_u32_e32 vcc, 0, v3
	v_cmp_lt_i32_e64 s[0:1], s3, v2
	s_or_b64 s[0:1], vcc, s[0:1]
	s_and_saveexec_b64 s[10:11], s[0:1]
	s_cbranch_execz .LBB50_50
; %bb.52:                               ;   in Loop: Header=BB50_51 Depth=1
	global_load_dword v2, v[82:83], off
	v_mov_b32_e32 v4, s15
	v_add_u32_e32 v104, v90, v1
	v_add_u32_e32 v107, 1, v104
	;; [unrolled: 1-line block ×4, first 2 shown]
	s_waitcnt vmcnt(0)
	v_mad_i64_i32 v[2:3], s[0:1], v2, s9, 0
	v_lshlrev_b64 v[2:3], 2, v[2:3]
	v_add_co_u32_e32 v54, vcc, s14, v2
	v_addc_co_u32_e32 v55, vcc, v4, v3, vcc
	v_add_co_u32_e32 v18, vcc, v54, v92
	v_addc_co_u32_e32 v19, vcc, 0, v55, vcc
	global_load_dwordx4 v[6:9], v[18:19], off
	ds_read_b128 v[2:5], v67
	v_cmp_eq_u32_e32 vcc, s17, v66
	s_and_saveexec_b64 s[12:13], vcc
	s_cbranch_execnz .LBB50_79
; %bb.53:                               ;   in Loop: Header=BB50_51 Depth=1
	s_or_b64 exec, exec, s[12:13]
	global_load_dwordx4 v[10:13], v[18:19], off offset:1024
	s_and_saveexec_b64 s[12:13], vcc
	s_cbranch_execnz .LBB50_80
.LBB50_54:                              ;   in Loop: Header=BB50_51 Depth=1
	s_or_b64 exec, exec, s[12:13]
	global_load_dwordx4 v[14:17], v[18:19], off offset:2048
	s_and_saveexec_b64 s[12:13], vcc
	s_cbranch_execnz .LBB50_81
.LBB50_55:                              ;   in Loop: Header=BB50_51 Depth=1
	s_or_b64 exec, exec, s[12:13]
	global_load_dwordx4 v[18:21], v[18:19], off offset:3072
	s_and_saveexec_b64 s[12:13], vcc
	s_cbranch_execz .LBB50_57
.LBB50_56:                              ;   in Loop: Header=BB50_51 Depth=1
	v_cmp_gt_i32_e64 s[0:1], s29, v104
	s_waitcnt vmcnt(0)
	v_cndmask_b32_e64 v18, 0, v18, s[0:1]
	v_cmp_gt_i32_e64 s[0:1], s29, v107
	v_cndmask_b32_e64 v19, 0, v19, s[0:1]
	v_cmp_gt_i32_e64 s[0:1], s29, v106
	;; [unrolled: 2-line block ×3, first 2 shown]
	v_cndmask_b32_e64 v21, 0, v21, s[0:1]
.LBB50_57:                              ;   in Loop: Header=BB50_51 Depth=1
	s_or_b64 exec, exec, s[12:13]
	v_add_co_u32_e64 v22, s[0:1], v54, v93
	v_addc_co_u32_e64 v23, s[0:1], 0, v55, s[0:1]
	global_load_dwordx4 v[22:25], v[22:23], off
	s_and_saveexec_b64 s[12:13], vcc
	s_cbranch_execz .LBB50_59
; %bb.58:                               ;   in Loop: Header=BB50_51 Depth=1
	v_cmp_gt_i32_e64 s[0:1], s29, v104
	s_waitcnt vmcnt(0)
	v_cndmask_b32_e64 v22, 0, v22, s[0:1]
	v_cmp_gt_i32_e64 s[0:1], s29, v107
	v_cndmask_b32_e64 v23, 0, v23, s[0:1]
	v_cmp_gt_i32_e64 s[0:1], s29, v106
	v_cndmask_b32_e64 v24, 0, v24, s[0:1]
	v_cmp_gt_i32_e64 s[0:1], s29, v105
	v_cndmask_b32_e64 v25, 0, v25, s[0:1]
.LBB50_59:                              ;   in Loop: Header=BB50_51 Depth=1
	s_or_b64 exec, exec, s[12:13]
	v_add_co_u32_e64 v26, s[0:1], v54, v94
	v_addc_co_u32_e64 v27, s[0:1], 0, v55, s[0:1]
	global_load_dwordx4 v[26:29], v[26:27], off
	s_and_saveexec_b64 s[12:13], vcc
	s_cbranch_execz .LBB50_61
; %bb.60:                               ;   in Loop: Header=BB50_51 Depth=1
	v_cmp_gt_i32_e64 s[0:1], s29, v104
	s_waitcnt vmcnt(0)
	v_cndmask_b32_e64 v26, 0, v26, s[0:1]
	v_cmp_gt_i32_e64 s[0:1], s29, v107
	v_cndmask_b32_e64 v27, 0, v27, s[0:1]
	v_cmp_gt_i32_e64 s[0:1], s29, v106
	v_cndmask_b32_e64 v28, 0, v28, s[0:1]
	v_cmp_gt_i32_e64 s[0:1], s29, v105
	v_cndmask_b32_e64 v29, 0, v29, s[0:1]
.LBB50_61:                              ;   in Loop: Header=BB50_51 Depth=1
	;; [unrolled: 17-line block ×10, first 2 shown]
	s_or_b64 exec, exec, s[12:13]
	v_add_co_u32_e64 v54, s[0:1], v54, v103
	v_addc_co_u32_e64 v55, s[0:1], 0, v55, s[0:1]
	global_load_dwordx4 v[54:57], v[54:55], off
	s_and_saveexec_b64 s[0:1], vcc
	s_cbranch_execz .LBB50_49
; %bb.78:                               ;   in Loop: Header=BB50_51 Depth=1
	v_cmp_gt_i32_e32 vcc, s29, v104
	s_waitcnt vmcnt(0)
	v_cndmask_b32_e32 v54, 0, v54, vcc
	v_cmp_gt_i32_e32 vcc, s29, v107
	v_cndmask_b32_e32 v55, 0, v55, vcc
	v_cmp_gt_i32_e32 vcc, s29, v106
	;; [unrolled: 2-line block ×3, first 2 shown]
	v_cndmask_b32_e32 v57, 0, v57, vcc
	s_branch .LBB50_49
.LBB50_79:                              ;   in Loop: Header=BB50_51 Depth=1
	v_cmp_gt_i32_e64 s[0:1], s29, v104
	s_waitcnt vmcnt(0)
	v_cndmask_b32_e64 v6, 0, v6, s[0:1]
	v_cmp_gt_i32_e64 s[0:1], s29, v107
	v_cndmask_b32_e64 v7, 0, v7, s[0:1]
	v_cmp_gt_i32_e64 s[0:1], s29, v106
	;; [unrolled: 2-line block ×3, first 2 shown]
	v_cndmask_b32_e64 v9, 0, v9, s[0:1]
	s_or_b64 exec, exec, s[12:13]
	global_load_dwordx4 v[10:13], v[18:19], off offset:1024
	s_and_saveexec_b64 s[12:13], vcc
	s_cbranch_execz .LBB50_54
.LBB50_80:                              ;   in Loop: Header=BB50_51 Depth=1
	v_cmp_gt_i32_e64 s[0:1], s29, v104
	s_waitcnt vmcnt(0)
	v_cndmask_b32_e64 v10, 0, v10, s[0:1]
	v_cmp_gt_i32_e64 s[0:1], s29, v107
	v_cndmask_b32_e64 v11, 0, v11, s[0:1]
	v_cmp_gt_i32_e64 s[0:1], s29, v106
	;; [unrolled: 2-line block ×3, first 2 shown]
	v_cndmask_b32_e64 v13, 0, v13, s[0:1]
	s_or_b64 exec, exec, s[12:13]
	global_load_dwordx4 v[14:17], v[18:19], off offset:2048
	s_and_saveexec_b64 s[12:13], vcc
	s_cbranch_execz .LBB50_55
.LBB50_81:                              ;   in Loop: Header=BB50_51 Depth=1
	v_cmp_gt_i32_e64 s[0:1], s29, v104
	s_waitcnt vmcnt(0)
	v_cndmask_b32_e64 v14, 0, v14, s[0:1]
	v_cmp_gt_i32_e64 s[0:1], s29, v107
	v_cndmask_b32_e64 v15, 0, v15, s[0:1]
	v_cmp_gt_i32_e64 s[0:1], s29, v106
	;; [unrolled: 2-line block ×3, first 2 shown]
	v_cndmask_b32_e64 v17, 0, v17, s[0:1]
	s_or_b64 exec, exec, s[12:13]
	global_load_dwordx4 v[18:21], v[18:19], off offset:3072
	s_and_saveexec_b64 s[12:13], vcc
	s_cbranch_execnz .LBB50_56
	s_branch .LBB50_57
.LBB50_82:
	s_or_b64 exec, exec, s[6:7]
.LBB50_83:
	s_or_b64 exec, exec, s[4:5]
	ds_bpermute_b32 v4, v85, v78
	ds_bpermute_b32 v5, v85, v79
	ds_bpermute_b32 v2, v85, v80
	ds_bpermute_b32 v3, v85, v81
	ds_bpermute_b32 v10, v85, v76
	ds_bpermute_b32 v11, v85, v77
	s_waitcnt lgkmcnt(4)
	v_pk_add_f32 v[4:5], v[78:79], v[4:5]
	ds_bpermute_b32 v8, v86, v4
	ds_bpermute_b32 v9, v86, v5
	s_waitcnt lgkmcnt(4)
	v_pk_add_f32 v[2:3], v[80:81], v[2:3]
	ds_bpermute_b32 v6, v86, v2
	ds_bpermute_b32 v7, v86, v3
	;; [unrolled: 1-line block ×3, first 2 shown]
	s_waitcnt lgkmcnt(3)
	v_pk_add_f32 v[4:5], v[4:5], v[8:9]
	v_pk_add_f32 v[8:9], v[76:77], v[10:11]
	ds_bpermute_b32 v10, v86, v8
	ds_bpermute_b32 v11, v86, v9
	;; [unrolled: 1-line block ×3, first 2 shown]
	s_waitcnt lgkmcnt(4)
	v_pk_add_f32 v[2:3], v[2:3], v[6:7]
	ds_bpermute_b32 v6, v87, v2
	ds_bpermute_b32 v7, v87, v3
	s_waitcnt lgkmcnt(3)
	v_pk_add_f32 v[8:9], v[8:9], v[10:11]
	s_waitcnt lgkmcnt(2)
	v_pk_add_f32 v[14:15], v[74:75], v[14:15]
	ds_bpermute_b32 v10, v87, v8
	ds_bpermute_b32 v11, v87, v9
	;; [unrolled: 1-line block ×6, first 2 shown]
	s_waitcnt lgkmcnt(6)
	v_pk_add_f32 v[6:7], v[2:3], v[6:7]
	s_waitcnt lgkmcnt(4)
	v_pk_add_f32 v[2:3], v[8:9], v[10:11]
	;; [unrolled: 2-line block ×3, first 2 shown]
	ds_bpermute_b32 v16, v85, v70
	ds_bpermute_b32 v17, v85, v71
	;; [unrolled: 1-line block ×4, first 2 shown]
	s_waitcnt lgkmcnt(4)
	v_pk_add_f32 v[10:11], v[72:73], v[18:19]
	ds_bpermute_b32 v18, v85, v68
	ds_bpermute_b32 v19, v85, v69
	s_waitcnt lgkmcnt(4)
	v_pk_add_f32 v[16:17], v[70:71], v[16:17]
	s_waitcnt lgkmcnt(2)
	v_pk_add_f32 v[4:5], v[4:5], v[12:13]
	ds_bpermute_b32 v12, v86, v10
	ds_bpermute_b32 v13, v86, v11
	;; [unrolled: 1-line block ×5, first 2 shown]
	s_waitcnt lgkmcnt(5)
	v_pk_add_f32 v[18:19], v[68:69], v[18:19]
	s_waitcnt lgkmcnt(3)
	v_pk_add_f32 v[10:11], v[10:11], v[12:13]
	ds_bpermute_b32 v22, v86, v18
	ds_bpermute_b32 v23, v86, v19
	s_waitcnt lgkmcnt(3)
	v_pk_add_f32 v[16:17], v[16:17], v[20:21]
	s_waitcnt lgkmcnt(2)
	v_add_f32_e32 v1, v89, v1
	ds_bpermute_b32 v12, v87, v10
	ds_bpermute_b32 v13, v87, v11
	;; [unrolled: 1-line block ×5, first 2 shown]
	s_waitcnt lgkmcnt(5)
	v_pk_add_f32 v[18:19], v[18:19], v[22:23]
	ds_bpermute_b32 v14, v87, v8
	ds_bpermute_b32 v15, v87, v9
	;; [unrolled: 1-line block ×4, first 2 shown]
	s_waitcnt lgkmcnt(7)
	v_pk_add_f32 v[12:13], v[10:11], v[12:13]
	s_waitcnt lgkmcnt(5)
	v_pk_add_f32 v[10:11], v[16:17], v[20:21]
	s_waitcnt lgkmcnt(4)
	v_add_f32_e32 v16, v1, v24
	ds_bpermute_b32 v17, v87, v16
	v_and_b32_e32 v1, 0x3c7, v0
	s_waitcnt lgkmcnt(3)
	v_pk_add_f32 v[14:15], v[8:9], v[14:15]
	s_waitcnt lgkmcnt(1)
	v_pk_add_f32 v[8:9], v[18:19], v[22:23]
	v_cmp_ne_u32_e32 vcc, 64, v1
	s_waitcnt lgkmcnt(0)
	s_barrier
	s_and_saveexec_b64 s[0:1], vcc
	s_xor_b64 s[0:1], exec, s[0:1]
; %bb.84:
                                        ; implicit-def: $vgpr84
; %bb.85:
	s_or_saveexec_b64 s[0:1], s[0:1]
	v_add_f32_e32 v16, v16, v17
	s_xor_b64 exec, exec, s[0:1]
	s_cbranch_execz .LBB50_87
; %bb.86:
	v_lshrrev_b32_e32 v17, 1, v84
	v_add_u32_e32 v17, 0x1f0, v17
	ds_write2_b32 v17, v6, v7 offset1:8
	ds_write2_b32 v17, v4, v5 offset0:16 offset1:24
	ds_write2_b32 v17, v2, v3 offset0:32 offset1:40
	;; [unrolled: 1-line block ×6, first 2 shown]
	ds_write_b32 v17, v16 offset:448
.LBB50_87:
	s_or_b64 exec, exec, s[0:1]
	v_cmp_gt_u32_e32 vcc, 64, v0
	s_waitcnt lgkmcnt(0)
	s_barrier
	s_and_saveexec_b64 s[0:1], vcc
	s_cbranch_execz .LBB50_105
; %bb.88:
	v_cmp_eq_u32_e32 vcc, 0, v88
	v_lshrrev_b32_e32 v17, 3, v0
	s_and_saveexec_b64 s[4:5], vcc
	s_cbranch_execnz .LBB50_108
; %bb.89:
	s_or_b64 exec, exec, s[4:5]
	s_and_saveexec_b64 s[4:5], vcc
	s_cbranch_execnz .LBB50_109
.LBB50_90:
	s_or_b64 exec, exec, s[4:5]
	s_and_saveexec_b64 s[4:5], vcc
	s_cbranch_execnz .LBB50_110
.LBB50_91:
	s_or_b64 exec, exec, s[4:5]
	s_and_saveexec_b64 s[4:5], vcc
	s_cbranch_execnz .LBB50_111
.LBB50_92:
	s_or_b64 exec, exec, s[4:5]
	s_and_saveexec_b64 s[4:5], vcc
	s_cbranch_execnz .LBB50_112
.LBB50_93:
	s_or_b64 exec, exec, s[4:5]
	s_and_saveexec_b64 s[4:5], vcc
	s_cbranch_execnz .LBB50_113
.LBB50_94:
	s_or_b64 exec, exec, s[4:5]
	s_and_saveexec_b64 s[4:5], vcc
	s_cbranch_execnz .LBB50_114
.LBB50_95:
	s_or_b64 exec, exec, s[4:5]
	s_and_saveexec_b64 s[4:5], vcc
	s_cbranch_execnz .LBB50_115
.LBB50_96:
	s_or_b64 exec, exec, s[4:5]
	s_and_saveexec_b64 s[4:5], vcc
	s_cbranch_execnz .LBB50_116
.LBB50_97:
	s_or_b64 exec, exec, s[4:5]
	s_and_saveexec_b64 s[4:5], vcc
	s_cbranch_execnz .LBB50_117
.LBB50_98:
	s_or_b64 exec, exec, s[4:5]
	s_and_saveexec_b64 s[4:5], vcc
	s_cbranch_execnz .LBB50_118
.LBB50_99:
	s_or_b64 exec, exec, s[4:5]
	s_and_saveexec_b64 s[4:5], vcc
	s_cbranch_execnz .LBB50_119
.LBB50_100:
	s_or_b64 exec, exec, s[4:5]
	s_and_saveexec_b64 s[4:5], vcc
	s_cbranch_execnz .LBB50_120
.LBB50_101:
	s_or_b64 exec, exec, s[4:5]
	s_and_saveexec_b64 s[4:5], vcc
	s_cbranch_execnz .LBB50_121
.LBB50_102:
	s_or_b64 exec, exec, s[4:5]
	s_and_saveexec_b64 s[4:5], vcc
	s_cbranch_execz .LBB50_104
.LBB50_103:
	v_mov_b32_e32 v18, 0x1f0
	v_lshl_add_u32 v17, v17, 2, v18
	ds_read_b32 v17, v17 offset:448
	s_waitcnt lgkmcnt(0)
	v_add_f32_e32 v16, v16, v17
.LBB50_104:
	s_or_b64 exec, exec, s[4:5]
.LBB50_105:
	s_or_b64 exec, exec, s[0:1]
	v_cmp_eq_u32_e32 vcc, 0, v1
	s_barrier
	s_and_saveexec_b64 s[0:1], vcc
	s_cbranch_execz .LBB50_107
; %bb.106:
	s_mul_i32 s0, s2, 0x78
	s_ashr_i32 s1, s0, 31
	s_lshl_b64 s[0:1], s[0:1], 2
	s_add_u32 s2, s26, s0
	s_mul_i32 s0, s16, s24
	s_addc_u32 s3, s27, s1
	s_ashr_i32 s1, s0, 31
	s_lshl_b64 s[0:1], s[0:1], 2
	s_add_u32 s2, s2, s0
	s_mul_i32 s0, s8, 0x78
	s_addc_u32 s3, s3, s1
	s_ashr_i32 s1, s0, 31
	s_lshl_b64 s[0:1], s[0:1], 2
	s_add_u32 s0, s2, s0
	s_addc_u32 s1, s3, s1
	v_lshrrev_b32_e32 v0, 1, v0
	global_store_dword v0, v6, s[0:1]
	global_store_dword v0, v7, s[0:1] offset:32
	global_store_dword v0, v4, s[0:1] offset:64
	;; [unrolled: 1-line block ×14, first 2 shown]
.LBB50_107:
	s_endpgm
.LBB50_108:
	v_mov_b32_e32 v18, 0x1f0
	v_lshl_add_u32 v18, v17, 2, v18
	ds_read_b32 v18, v18
	s_waitcnt lgkmcnt(0)
	v_add_f32_e32 v6, v6, v18
	s_or_b64 exec, exec, s[4:5]
	s_and_saveexec_b64 s[4:5], vcc
	s_cbranch_execz .LBB50_90
.LBB50_109:
	v_mov_b32_e32 v18, 0x1f0
	v_lshl_add_u32 v18, v17, 2, v18
	ds_read_b32 v18, v18 offset:32
	s_waitcnt lgkmcnt(0)
	v_add_f32_e32 v7, v7, v18
	s_or_b64 exec, exec, s[4:5]
	s_and_saveexec_b64 s[4:5], vcc
	s_cbranch_execz .LBB50_91
.LBB50_110:
	v_mov_b32_e32 v18, 0x1f0
	v_lshl_add_u32 v18, v17, 2, v18
	ds_read_b32 v18, v18 offset:64
	s_waitcnt lgkmcnt(0)
	v_add_f32_e32 v4, v4, v18
	s_or_b64 exec, exec, s[4:5]
	s_and_saveexec_b64 s[4:5], vcc
	s_cbranch_execz .LBB50_92
.LBB50_111:
	v_mov_b32_e32 v18, 0x1f0
	v_lshl_add_u32 v18, v17, 2, v18
	ds_read_b32 v18, v18 offset:96
	s_waitcnt lgkmcnt(0)
	v_add_f32_e32 v5, v5, v18
	s_or_b64 exec, exec, s[4:5]
	s_and_saveexec_b64 s[4:5], vcc
	s_cbranch_execz .LBB50_93
.LBB50_112:
	v_mov_b32_e32 v18, 0x1f0
	v_lshl_add_u32 v18, v17, 2, v18
	ds_read_b32 v18, v18 offset:128
	s_waitcnt lgkmcnt(0)
	v_add_f32_e32 v2, v2, v18
	s_or_b64 exec, exec, s[4:5]
	s_and_saveexec_b64 s[4:5], vcc
	s_cbranch_execz .LBB50_94
.LBB50_113:
	v_mov_b32_e32 v18, 0x1f0
	v_lshl_add_u32 v18, v17, 2, v18
	ds_read_b32 v18, v18 offset:160
	s_waitcnt lgkmcnt(0)
	v_add_f32_e32 v3, v3, v18
	s_or_b64 exec, exec, s[4:5]
	s_and_saveexec_b64 s[4:5], vcc
	s_cbranch_execz .LBB50_95
.LBB50_114:
	v_mov_b32_e32 v18, 0x1f0
	v_lshl_add_u32 v18, v17, 2, v18
	ds_read_b32 v18, v18 offset:192
	s_waitcnt lgkmcnt(0)
	v_add_f32_e32 v14, v14, v18
	s_or_b64 exec, exec, s[4:5]
	s_and_saveexec_b64 s[4:5], vcc
	s_cbranch_execz .LBB50_96
.LBB50_115:
	v_mov_b32_e32 v18, 0x1f0
	v_lshl_add_u32 v18, v17, 2, v18
	ds_read_b32 v18, v18 offset:224
	s_waitcnt lgkmcnt(0)
	v_add_f32_e32 v15, v15, v18
	s_or_b64 exec, exec, s[4:5]
	s_and_saveexec_b64 s[4:5], vcc
	s_cbranch_execz .LBB50_97
.LBB50_116:
	v_mov_b32_e32 v18, 0x1f0
	v_lshl_add_u32 v18, v17, 2, v18
	ds_read_b32 v18, v18 offset:256
	s_waitcnt lgkmcnt(0)
	v_add_f32_e32 v12, v12, v18
	s_or_b64 exec, exec, s[4:5]
	s_and_saveexec_b64 s[4:5], vcc
	s_cbranch_execz .LBB50_98
.LBB50_117:
	v_mov_b32_e32 v18, 0x1f0
	v_lshl_add_u32 v18, v17, 2, v18
	ds_read_b32 v18, v18 offset:288
	s_waitcnt lgkmcnt(0)
	v_add_f32_e32 v13, v13, v18
	s_or_b64 exec, exec, s[4:5]
	s_and_saveexec_b64 s[4:5], vcc
	s_cbranch_execz .LBB50_99
.LBB50_118:
	v_mov_b32_e32 v18, 0x1f0
	v_lshl_add_u32 v18, v17, 2, v18
	ds_read_b32 v18, v18 offset:320
	s_waitcnt lgkmcnt(0)
	v_add_f32_e32 v10, v10, v18
	s_or_b64 exec, exec, s[4:5]
	s_and_saveexec_b64 s[4:5], vcc
	s_cbranch_execz .LBB50_100
.LBB50_119:
	v_mov_b32_e32 v18, 0x1f0
	v_lshl_add_u32 v18, v17, 2, v18
	ds_read_b32 v18, v18 offset:352
	s_waitcnt lgkmcnt(0)
	v_add_f32_e32 v11, v11, v18
	s_or_b64 exec, exec, s[4:5]
	s_and_saveexec_b64 s[4:5], vcc
	s_cbranch_execz .LBB50_101
.LBB50_120:
	v_mov_b32_e32 v18, 0x1f0
	v_lshl_add_u32 v18, v17, 2, v18
	ds_read_b32 v18, v18 offset:384
	s_waitcnt lgkmcnt(0)
	v_add_f32_e32 v8, v8, v18
	s_or_b64 exec, exec, s[4:5]
	s_and_saveexec_b64 s[4:5], vcc
	s_cbranch_execz .LBB50_102
.LBB50_121:
	v_mov_b32_e32 v18, 0x1f0
	v_lshl_add_u32 v18, v17, 2, v18
	ds_read_b32 v18, v18 offset:416
	s_waitcnt lgkmcnt(0)
	v_add_f32_e32 v9, v9, v18
	s_or_b64 exec, exec, s[4:5]
	s_and_saveexec_b64 s[4:5], vcc
	s_cbranch_execnz .LBB50_103
	s_branch .LBB50_104
	.section	.rodata,"a",@progbits
	.p2align	6, 0x0
	.amdhsa_kernel _ZN4vllm25paged_attention_v2_kernelIffLi120ELi32ELi128ELNS_18Fp8KVCacheDataTypeE0ELb1ELi512EEEvPfS2_PT_PKS3_PKT0_S9_ifPKiSB_iPKfiiiSD_SD_iiiii
		.amdhsa_group_segment_fixed_size 496
		.amdhsa_private_segment_fixed_size 0
		.amdhsa_kernarg_size 400
		.amdhsa_user_sgpr_count 6
		.amdhsa_user_sgpr_private_segment_buffer 1
		.amdhsa_user_sgpr_dispatch_ptr 0
		.amdhsa_user_sgpr_queue_ptr 0
		.amdhsa_user_sgpr_kernarg_segment_ptr 1
		.amdhsa_user_sgpr_dispatch_id 0
		.amdhsa_user_sgpr_flat_scratch_init 0
		.amdhsa_user_sgpr_kernarg_preload_length 0
		.amdhsa_user_sgpr_kernarg_preload_offset 0
		.amdhsa_user_sgpr_private_segment_size 0
		.amdhsa_uses_dynamic_stack 0
		.amdhsa_system_sgpr_private_segment_wavefront_offset 0
		.amdhsa_system_sgpr_workgroup_id_x 1
		.amdhsa_system_sgpr_workgroup_id_y 1
		.amdhsa_system_sgpr_workgroup_id_z 1
		.amdhsa_system_sgpr_workgroup_info 0
		.amdhsa_system_vgpr_workitem_id 0
		.amdhsa_next_free_vgpr 108
		.amdhsa_next_free_sgpr 55
		.amdhsa_accum_offset 108
		.amdhsa_reserve_vcc 1
		.amdhsa_reserve_flat_scratch 0
		.amdhsa_float_round_mode_32 0
		.amdhsa_float_round_mode_16_64 0
		.amdhsa_float_denorm_mode_32 3
		.amdhsa_float_denorm_mode_16_64 3
		.amdhsa_dx10_clamp 1
		.amdhsa_ieee_mode 1
		.amdhsa_fp16_overflow 0
		.amdhsa_tg_split 0
		.amdhsa_exception_fp_ieee_invalid_op 0
		.amdhsa_exception_fp_denorm_src 0
		.amdhsa_exception_fp_ieee_div_zero 0
		.amdhsa_exception_fp_ieee_overflow 0
		.amdhsa_exception_fp_ieee_underflow 0
		.amdhsa_exception_fp_ieee_inexact 0
		.amdhsa_exception_int_div_zero 0
	.end_amdhsa_kernel
	.section	.text._ZN4vllm25paged_attention_v2_kernelIffLi120ELi32ELi128ELNS_18Fp8KVCacheDataTypeE0ELb1ELi512EEEvPfS2_PT_PKS3_PKT0_S9_ifPKiSB_iPKfiiiSD_SD_iiiii,"axG",@progbits,_ZN4vllm25paged_attention_v2_kernelIffLi120ELi32ELi128ELNS_18Fp8KVCacheDataTypeE0ELb1ELi512EEEvPfS2_PT_PKS3_PKT0_S9_ifPKiSB_iPKfiiiSD_SD_iiiii,comdat
.Lfunc_end50:
	.size	_ZN4vllm25paged_attention_v2_kernelIffLi120ELi32ELi128ELNS_18Fp8KVCacheDataTypeE0ELb1ELi512EEEvPfS2_PT_PKS3_PKT0_S9_ifPKiSB_iPKfiiiSD_SD_iiiii, .Lfunc_end50-_ZN4vllm25paged_attention_v2_kernelIffLi120ELi32ELi128ELNS_18Fp8KVCacheDataTypeE0ELb1ELi512EEEvPfS2_PT_PKS3_PKT0_S9_ifPKiSB_iPKfiiiSD_SD_iiiii
                                        ; -- End function
	.section	.AMDGPU.csdata,"",@progbits
; Kernel info:
; codeLenInByte = 8220
; NumSgprs: 59
; NumVgprs: 108
; NumAgprs: 0
; TotalNumVgprs: 108
; ScratchSize: 0
; MemoryBound: 0
; FloatMode: 240
; IeeeMode: 1
; LDSByteSize: 496 bytes/workgroup (compile time only)
; SGPRBlocks: 7
; VGPRBlocks: 13
; NumSGPRsForWavesPerEU: 59
; NumVGPRsForWavesPerEU: 108
; AccumOffset: 108
; Occupancy: 4
; WaveLimiterHint : 1
; COMPUTE_PGM_RSRC2:SCRATCH_EN: 0
; COMPUTE_PGM_RSRC2:USER_SGPR: 6
; COMPUTE_PGM_RSRC2:TRAP_HANDLER: 0
; COMPUTE_PGM_RSRC2:TGID_X_EN: 1
; COMPUTE_PGM_RSRC2:TGID_Y_EN: 1
; COMPUTE_PGM_RSRC2:TGID_Z_EN: 1
; COMPUTE_PGM_RSRC2:TIDIG_COMP_CNT: 0
; COMPUTE_PGM_RSRC3_GFX90A:ACCUM_OFFSET: 26
; COMPUTE_PGM_RSRC3_GFX90A:TG_SPLIT: 0
	.section	.text._ZN4vllm25paged_attention_v2_kernelIffLi128ELi32ELi128ELNS_18Fp8KVCacheDataTypeE0ELb1ELi512EEEvPfS2_PT_PKS3_PKT0_S9_ifPKiSB_iPKfiiiSD_SD_iiiii,"axG",@progbits,_ZN4vllm25paged_attention_v2_kernelIffLi128ELi32ELi128ELNS_18Fp8KVCacheDataTypeE0ELb1ELi512EEEvPfS2_PT_PKS3_PKT0_S9_ifPKiSB_iPKfiiiSD_SD_iiiii,comdat
	.protected	_ZN4vllm25paged_attention_v2_kernelIffLi128ELi32ELi128ELNS_18Fp8KVCacheDataTypeE0ELb1ELi512EEEvPfS2_PT_PKS3_PKT0_S9_ifPKiSB_iPKfiiiSD_SD_iiiii ; -- Begin function _ZN4vllm25paged_attention_v2_kernelIffLi128ELi32ELi128ELNS_18Fp8KVCacheDataTypeE0ELb1ELi512EEEvPfS2_PT_PKS3_PKT0_S9_ifPKiSB_iPKfiiiSD_SD_iiiii
	.globl	_ZN4vllm25paged_attention_v2_kernelIffLi128ELi32ELi128ELNS_18Fp8KVCacheDataTypeE0ELb1ELi512EEEvPfS2_PT_PKS3_PKT0_S9_ifPKiSB_iPKfiiiSD_SD_iiiii
	.p2align	8
	.type	_ZN4vllm25paged_attention_v2_kernelIffLi128ELi32ELi128ELNS_18Fp8KVCacheDataTypeE0ELb1ELi512EEEvPfS2_PT_PKS3_PKT0_S9_ifPKiSB_iPKfiiiSD_SD_iiiii,@function
_ZN4vllm25paged_attention_v2_kernelIffLi128ELi32ELi128ELNS_18Fp8KVCacheDataTypeE0ELb1ELi512EEEvPfS2_PT_PKS3_PKT0_S9_ifPKiSB_iPKfiiiSD_SD_iiiii: ; @_ZN4vllm25paged_attention_v2_kernelIffLi128ELi32ELi128ELNS_18Fp8KVCacheDataTypeE0ELb1ELi512EEEvPfS2_PT_PKS3_PKT0_S9_ifPKiSB_iPKfiiiSD_SD_iiiii
; %bb.0:
	s_load_dwordx2 s[0:1], s[4:5], 0x40
	s_mov_b32 s30, s7
	s_ashr_i32 s31, s7, 31
	s_lshl_b64 s[2:3], s[30:31], 2
	s_waitcnt lgkmcnt(0)
	s_add_u32 s0, s0, s2
	s_addc_u32 s1, s1, s3
	s_load_dword s31, s[0:1], 0x0
	s_lshl_b32 s51, s8, 9
	s_waitcnt lgkmcnt(0)
	s_cmp_ge_i32 s51, s31
	s_cbranch_scc1 .LBB51_110
; %bb.1:
	s_load_dword s9, s[4:5], 0x90
	s_load_dwordx2 s[40:41], s[4:5], 0x30
	s_waitcnt lgkmcnt(0)
	s_abs_i32 s2, s9
	s_abs_i32 s0, s40
	v_cvt_f32_u32_e32 v1, s0
	s_sub_i32 s3, 0, s0
	s_xor_b32 s1, s9, s40
	s_ashr_i32 s1, s1, 31
	v_rcp_iflag_f32_e32 v1, v1
	v_mul_f32_e32 v1, 0x4f7ffffe, v1
	v_cvt_u32_f32_e32 v1, v1
	v_readfirstlane_b32 s7, v1
	s_mul_i32 s3, s3, s7
	s_mul_hi_u32 s3, s7, s3
	s_add_i32 s7, s7, s3
	s_mul_hi_u32 s3, s2, s7
	s_mul_i32 s7, s3, s0
	s_sub_i32 s2, s2, s7
	s_add_i32 s10, s3, 1
	s_sub_i32 s7, s2, s0
	s_cmp_ge_u32 s2, s0
	s_cselect_b32 s3, s10, s3
	s_cselect_b32 s2, s7, s2
	s_add_i32 s7, s3, 1
	s_cmp_ge_u32 s2, s0
	s_cselect_b32 s0, s7, s3
	s_xor_b32 s0, s0, s1
	s_sub_i32 s2, s0, s1
	s_abs_i32 s10, s2
	v_cvt_f32_u32_e32 v1, s10
	s_load_dwordx2 s[0:1], s[4:5], 0x50
	s_sub_i32 s3, 0, s10
	s_abs_i32 s11, s6
	v_rcp_iflag_f32_e32 v1, v1
	s_mov_b32 s7, 0
	v_mul_f32_e32 v1, 0x4f7ffffe, v1
	v_cvt_u32_f32_e32 v1, v1
	v_readfirstlane_b32 s12, v1
	s_mul_i32 s3, s3, s12
	s_mul_hi_u32 s3, s12, s3
	s_add_i32 s12, s12, s3
	s_waitcnt lgkmcnt(0)
	s_cmp_eq_u64 s[0:1], 0
	s_mul_hi_u32 s12, s11, s12
	s_cbranch_scc1 .LBB51_3
; %bb.2:
	s_ashr_i32 s7, s6, 31
	s_lshl_b64 s[14:15], s[6:7], 2
	s_add_u32 s0, s0, s14
	s_addc_u32 s1, s1, s15
	s_load_dword s7, s[0:1], 0x0
.LBB51_3:
	s_load_dwordx4 s[16:19], s[4:5], 0x58
	s_ashr_i32 s13, s6, 31
	s_ashr_i32 s20, s2, 31
	v_and_b32_e32 v2, 1, v0
	s_lshl_b32 s14, s6, 7
	v_cmp_gt_u32_e64 s[0:1], 64, v0
	v_lshlrev_b32_e32 v3, 3, v0
	v_lshlrev_b32_e32 v42, 2, v0
	s_and_saveexec_b64 s[2:3], s[0:1]
	s_cbranch_execz .LBB51_5
; %bb.4:
	s_load_dwordx2 s[22:23], s[4:5], 0x18
	s_waitcnt lgkmcnt(0)
	s_mul_i32 s24, s30, s16
	s_ashr_i32 s25, s24, 31
	s_lshl_b64 s[24:25], s[24:25], 2
	v_and_b32_e32 v1, 0xff8, v42
	s_add_u32 s16, s22, s24
	s_addc_u32 s19, s23, s25
	s_ashr_i32 s15, s14, 31
	s_lshl_b64 s[22:23], s[14:15], 2
	s_add_u32 s22, s16, s22
	s_addc_u32 s23, s19, s23
	global_load_dwordx2 v[4:5], v3, s[22:23]
	v_lshl_add_u32 v1, v2, 8, v1
	s_waitcnt vmcnt(0)
	ds_write_b64 v1, v[4:5]
.LBB51_5:
	s_or_b64 exec, exec, s[2:3]
	s_mul_i32 s3, s12, s10
	s_sub_i32 s3, s11, s3
	s_xor_b32 s2, s13, s20
	s_add_i32 s11, s12, 1
	s_sub_i32 s13, s3, s10
	s_load_dwordx4 s[20:23], s[4:5], 0x78
	s_cmp_ge_u32 s3, s10
	s_cselect_b32 s11, s11, s12
	s_cselect_b32 s3, s13, s3
	s_load_dword s13, s[4:5], 0x88
	s_add_i32 s12, s11, 1
	s_cmp_ge_u32 s3, s10
	s_cselect_b32 s3, s12, s11
	s_waitcnt lgkmcnt(0)
	s_abs_i32 s33, s23
	v_cvt_f32_u32_e32 v1, s33
	s_xor_b32 s3, s3, s2
	s_sub_i32 s10, s3, s2
	s_sub_i32 s2, 0, s33
	v_rcp_iflag_f32_e32 v1, v1
	s_add_i32 s15, s31, -1
	s_abs_i32 s11, s15
	v_mul_f32_e32 v1, 0x4f7ffffe, v1
	v_cvt_u32_f32_e32 v1, v1
	s_barrier
	v_readfirstlane_b32 s48, v1
	s_mul_i32 s2, s2, s48
	s_mul_hi_u32 s2, s48, s2
	s_add_i32 s48, s48, s2
	s_cmp_lt_i32 s13, 0
	s_mul_hi_u32 s12, s11, s48
	s_cbranch_scc0 .LBB51_7
; %bb.6:
	s_mul_i32 s2, s20, s40
	s_add_i32 s2, s10, s2
	s_mul_i32 s2, s2, s13
	s_sub_i32 s49, 1, s2
	s_mov_b64 s[2:3], 0
	s_branch .LBB51_8
.LBB51_7:
	s_mov_b64 s[2:3], -1
                                        ; implicit-def: $sgpr49
.LBB51_8:
	s_load_dwordx2 s[34:35], s[4:5], 0x38
	s_ashr_i32 s16, s15, 31
	s_andn2_b64 vcc, exec, s[2:3]
	s_ashr_i32 s23, s23, 31
	s_cbranch_vccnz .LBB51_10
; %bb.9:
	s_mul_i32 s2, s9, s20
	s_add_i32 s2, s2, s6
	s_mul_i32 s2, s2, s13
	s_add_i32 s49, s2, 1
.LBB51_10:
	s_load_dword s2, s[4:5], 0x48
	s_load_dwordx2 s[38:39], s[4:5], 0x28
	s_load_dword s15, s[4:5], 0x98
	s_load_dwordx4 s[24:27], s[4:5], 0x0
	s_load_dwordx2 s[28:29], s[4:5], 0x10
	s_mul_i32 s3, s12, s33
	s_waitcnt lgkmcnt(0)
	s_mul_i32 s36, s30, s2
	s_sub_i32 s3, s11, s3
	s_ashr_i32 s37, s36, 31
	s_xor_b32 s2, s16, s23
	s_add_i32 s11, s12, 1
	s_sub_i32 s13, s3, s33
	s_cmp_ge_u32 s3, s33
	s_cselect_b32 s11, s11, s12
	s_cselect_b32 s3, s13, s3
	s_add_i32 s12, s11, 1
	s_cmp_ge_u32 s3, s33
	s_cselect_b32 s3, s12, s11
	s_xor_b32 s3, s3, s2
	s_sub_i32 s50, s3, s2
	s_add_i32 s2, s31, 31
	s_ashr_i32 s3, s2, 31
	s_lshr_b32 s3, s3, 27
	s_add_i32 s2, s2, s3
	s_lshl_b32 s40, s8, 4
	s_ashr_i32 s16, s2, 5
	s_add_i32 s2, s40, 16
	v_lshrrev_b32_e32 v43, 6, v0
	s_min_i32 s20, s2, s16
	v_or_b32_e32 v70, s40, v43
	v_cmp_gt_i32_e64 s[2:3], s20, v70
	v_mov_b32_e32 v50, 0xff7fffff
	s_mul_i32 s18, s10, s18
	v_ashrrev_i32_e32 v71, 31, v70
	v_lshl_add_u32 v1, v43, 5, s51
	v_mbcnt_lo_u32_b32 v44, -1, 0
	s_and_saveexec_b64 s[42:43], s[2:3]
	s_cbranch_execz .LBB51_20
; %bb.11:
	s_load_dwordx2 s[4:5], s[4:5], 0x20
	s_ashr_i32 s19, s18, 31
	s_sub_i32 s52, s50, s21
	s_lshl_b64 s[10:11], s[18:19], 2
	v_bfe_u32 v45, v0, 1, 5
	s_waitcnt lgkmcnt(0)
	s_add_u32 s4, s4, s10
	s_addc_u32 s5, s5, s11
	s_abs_i32 s19, s22
	v_cvt_f32_u32_e32 v7, s19
	v_lshlrev_b32_e32 v5, 4, v45
	v_mov_b32_e32 v6, s5
	v_add_co_u32_e64 v5, s[4:5], s4, v5
	v_rcp_iflag_f32_e32 v7, v7
	v_addc_co_u32_e64 v6, s[4:5], 0, v6, s[4:5]
	v_and_b32_e32 v3, 8, v3
	v_add_co_u32_e64 v46, s[4:5], v5, v3
	v_mul_f32_e32 v3, 0x4f7ffffe, v7
	v_cvt_u32_f32_e32 v3, v3
	s_sub_i32 s10, 0, s19
	v_cmp_eq_u32_e32 vcc, 0, v2
	v_lshlrev_b32_e32 v4, 2, v45
	v_lshlrev_b32_e32 v48, 8, v2
	v_mul_lo_u32 v2, s10, v3
	s_lshl_b64 s[10:11], s[36:37], 2
	v_mul_hi_u32 v2, v3, v2
	s_add_u32 s10, s34, s10
	v_lshl_or_b32 v4, v43, 7, v4
	v_add_u32_e32 v49, v3, v2
	v_lshlrev_b64 v[2:3], 2, v[70:71]
	s_addc_u32 s11, s35, s11
	v_add_u32_e32 v52, 0x210, v4
	v_subrev_u32_e32 v4, s31, v45
	v_mbcnt_hi_u32_b32 v55, -1, v44
	v_addc_co_u32_e64 v47, s[4:5], 0, v6, s[4:5]
	v_mov_b32_e32 v5, s11
	v_add_co_u32_e64 v2, s[10:11], s10, v2
	v_add_u32_e32 v53, 1, v4
	v_and_b32_e32 v4, 64, v55
	s_mov_b32 s53, s17
	v_cmp_neq_f32_e64 s[4:5], s7, 0
	v_addc_co_u32_e64 v3, s[10:11], v5, v3, s[10:11]
	v_lshl_add_u32 v51, v43, 5, s51
	s_mov_b64 s[44:45], 0
	v_mov_b32_e32 v54, 0xff7fffff
	s_movk_i32 s54, 0x1000
	s_movk_i32 s55, 0x2000
	;; [unrolled: 1-line block ×3, first 2 shown]
	v_xor_b32_e32 v56, 1, v55
	v_add_u32_e32 v57, 64, v4
	v_mov_b32_e32 v50, 0xff7fffff
	v_mov_b32_e32 v58, v70
	s_branch .LBB51_14
.LBB51_12:                              ;   in Loop: Header=BB51_14 Depth=1
	s_or_b64 exec, exec, s[46:47]
.LBB51_13:                              ;   in Loop: Header=BB51_14 Depth=1
	s_or_b64 exec, exec, s[12:13]
	v_add_co_u32_e64 v2, s[10:11], 8, v2
	v_add_u32_e32 v58, 2, v58
	v_addc_co_u32_e64 v3, s[10:11], 0, v3, s[10:11]
	v_cmp_le_i32_e64 s[10:11], s20, v58
	v_add_u32_e32 v51, 64, v51
	s_or_b64 s[44:45], s[10:11], s[44:45]
	v_add_u32_e32 v52, 0x100, v52
	s_andn2_b64 exec, exec, s[44:45]
	s_cbranch_execz .LBB51_19
.LBB51_14:                              ; =>This Inner Loop Header: Depth=1
	s_waitcnt lgkmcnt(0)
	v_sub_u32_e32 v5, 0, v51
	v_max_i32_e32 v5, v51, v5
	v_mul_hi_u32 v6, v5, s48
	v_mul_lo_u32 v7, v6, s33
	v_sub_u32_e32 v5, v5, v7
	v_add_u32_e32 v7, 1, v6
	v_cmp_le_u32_e64 s[10:11], s33, v5
	v_cndmask_b32_e64 v6, v6, v7, s[10:11]
	v_subrev_u32_e32 v7, s33, v5
	v_cndmask_b32_e64 v5, v5, v7, s[10:11]
	v_ashrrev_i32_e32 v4, 31, v51
	v_add_u32_e32 v7, 1, v6
	v_cmp_le_u32_e64 s[10:11], s33, v5
	v_xor_b32_e32 v4, s23, v4
	v_cndmask_b32_e64 v5, v6, v7, s[10:11]
	v_xor_b32_e32 v5, v5, v4
	v_sub_u32_e32 v4, v5, v4
	v_add_u32_e32 v5, s49, v4
	v_sub_u32_e32 v7, 0, v5
	v_ashrrev_i32_e32 v6, 31, v5
	v_max_i32_e32 v5, v5, v7
	v_mul_hi_u32 v7, v5, v49
	v_mul_lo_u32 v7, v7, s19
	v_sub_u32_e32 v5, v5, v7
	v_subrev_u32_e32 v7, s19, v5
	v_cmp_le_u32_e64 s[10:11], s19, v5
	v_cndmask_b32_e64 v5, v5, v7, s[10:11]
	v_subrev_u32_e32 v7, s19, v5
	v_cmp_le_u32_e64 s[10:11], s19, v5
	v_cndmask_b32_e64 v5, v5, v7, s[10:11]
	v_xor_b32_e32 v5, v5, v6
	v_sub_u32_e32 v5, v5, v6
	v_cmp_ne_u32_e64 s[10:11], 0, v5
	v_cmp_ge_i32_e64 s[12:13], s52, v4
	s_and_b64 s[10:11], s[10:11], s[12:13]
	s_and_b64 s[46:47], vcc, s[10:11]
	s_and_saveexec_b64 s[12:13], s[46:47]
	s_cbranch_execz .LBB51_16
; %bb.15:                               ;   in Loop: Header=BB51_14 Depth=1
	ds_write_b32 v52, v54
.LBB51_16:                              ;   in Loop: Header=BB51_14 Depth=1
	s_or_b64 exec, exec, s[12:13]
	s_xor_b64 s[10:11], s[10:11], -1
	s_and_saveexec_b64 s[12:13], s[10:11]
	s_cbranch_execz .LBB51_13
; %bb.17:                               ;   in Loop: Header=BB51_14 Depth=1
	global_load_dword v4, v[2:3], off
	s_waitcnt vmcnt(0)
	v_mad_i64_i32 v[4:5], s[10:11], v4, s53, 0
	v_lshlrev_b64 v[4:5], 2, v[4:5]
	v_add_co_u32_e64 v12, s[10:11], v46, v4
	v_addc_co_u32_e64 v13, s[10:11], v47, v5, s[10:11]
	v_add_co_u32_e64 v74, s[10:11], s55, v12
	global_load_dwordx2 v[14:15], v[12:13], off offset:512
	global_load_dwordx2 v[20:21], v[12:13], off
	global_load_dwordx2 v[22:23], v[12:13], off offset:1024
	global_load_dwordx2 v[24:25], v[12:13], off offset:1536
	;; [unrolled: 1-line block ×6, first 2 shown]
	v_addc_co_u32_e64 v75, s[10:11], 0, v13, s[10:11]
	global_load_dwordx2 v[76:77], v[74:75], off offset:-4096
	v_add_co_u32_e64 v16, s[10:11], s54, v12
	v_addc_co_u32_e64 v17, s[10:11], 0, v13, s[10:11]
	global_load_dwordx2 v[78:79], v[16:17], off offset:512
	global_load_dwordx2 v[80:81], v[16:17], off offset:1024
	ds_read_b128 v[4:7], v48
	ds_read_b128 v[8:11], v48 offset:16
	global_load_dwordx2 v[40:41], v[16:17], off offset:1536
	global_load_dwordx2 v[34:35], v[16:17], off offset:2048
	;; [unrolled: 1-line block ×5, first 2 shown]
	v_add_co_u32_e64 v82, s[10:11], s56, v12
	v_addc_co_u32_e64 v83, s[10:11], 0, v13, s[10:11]
	v_cmp_lt_i32_e64 s[10:11], v56, v57
	s_waitcnt vmcnt(15) lgkmcnt(1)
	v_mul_f32_e32 v59, v6, v14
	v_mul_f32_e32 v60, v7, v15
	ds_read_b128 v[12:15], v48 offset:32
	ds_read_b128 v[16:19], v48 offset:48
	global_load_dwordx2 v[84:85], v[74:75], off
	global_load_dwordx2 v[86:87], v[74:75], off offset:512
	global_load_dwordx2 v[30:31], v[74:75], off offset:1024
	;; [unrolled: 1-line block ×3, first 2 shown]
	s_waitcnt vmcnt(18)
	v_fmac_f32_e32 v59, v4, v20
	v_fmac_f32_e32 v60, v5, v21
	s_waitcnt vmcnt(17) lgkmcnt(2)
	v_fmac_f32_e32 v59, v8, v22
	v_fmac_f32_e32 v60, v9, v23
	s_waitcnt vmcnt(16)
	v_fmac_f32_e32 v59, v10, v24
	v_fmac_f32_e32 v60, v11, v25
	s_waitcnt vmcnt(15) lgkmcnt(1)
	v_fmac_f32_e32 v59, v12, v26
	v_fmac_f32_e32 v60, v13, v27
	ds_read_b128 v[22:25], v48 offset:64
	ds_read_b128 v[62:65], v48 offset:80
	global_load_dwordx2 v[12:13], v[74:75], off offset:2048
	global_load_dwordx2 v[10:11], v[74:75], off offset:2560
	;; [unrolled: 1-line block ×4, first 2 shown]
	s_waitcnt vmcnt(18)
	v_fmac_f32_e32 v59, v14, v66
	v_fmac_f32_e32 v60, v15, v67
	global_load_dwordx2 v[14:15], v[82:83], off
	s_waitcnt vmcnt(18) lgkmcnt(2)
	v_fmac_f32_e32 v59, v16, v68
	v_fmac_f32_e32 v60, v17, v69
	global_load_dwordx2 v[16:17], v[82:83], off offset:512
	s_waitcnt vmcnt(18)
	v_fmac_f32_e32 v59, v18, v72
	v_fmac_f32_e32 v60, v19, v73
	global_load_dwordx2 v[18:19], v[82:83], off offset:1024
	s_waitcnt vmcnt(18) lgkmcnt(1)
	v_fmac_f32_e32 v59, v22, v76
	v_fmac_f32_e32 v60, v23, v77
	global_load_dwordx2 v[22:23], v[82:83], off offset:1536
	global_load_dwordx2 v[4:5], v[82:83], off offset:3584
	s_waitcnt vmcnt(19)
	v_fmac_f32_e32 v59, v24, v78
	v_fmac_f32_e32 v60, v25, v79
	global_load_dwordx2 v[26:27], v[82:83], off offset:2048
	global_load_dwordx2 v[24:25], v[82:83], off offset:2560
	;; [unrolled: 1-line block ×3, first 2 shown]
	ds_read_b128 v[66:69], v48 offset:96
	s_waitcnt vmcnt(21) lgkmcnt(1)
	v_fmac_f32_e32 v59, v62, v80
	v_fmac_f32_e32 v60, v63, v81
	s_waitcnt vmcnt(20)
	v_fmac_f32_e32 v59, v64, v40
	v_fmac_f32_e32 v60, v65, v41
	ds_read_b128 v[62:65], v48 offset:112
	s_waitcnt vmcnt(19) lgkmcnt(1)
	v_fmac_f32_e32 v59, v66, v34
	v_fmac_f32_e32 v60, v67, v35
	s_waitcnt vmcnt(18)
	v_fmac_f32_e32 v59, v68, v32
	v_fmac_f32_e32 v60, v69, v33
	ds_read_b128 v[32:35], v48 offset:128
	ds_read_b128 v[66:69], v48 offset:144
	s_waitcnt vmcnt(17) lgkmcnt(2)
	v_fmac_f32_e32 v59, v62, v38
	v_fmac_f32_e32 v60, v63, v39
	s_waitcnt vmcnt(16)
	v_fmac_f32_e32 v59, v64, v36
	v_fmac_f32_e32 v60, v65, v37
	ds_read_b128 v[36:39], v48 offset:160
	ds_read_b128 v[62:65], v48 offset:176
	v_cndmask_b32_e64 v40, v55, v56, s[10:11]
	v_lshlrev_b32_e32 v40, 2, v40
	s_waitcnt vmcnt(15) lgkmcnt(3)
	v_fmac_f32_e32 v59, v32, v84
	v_fmac_f32_e32 v60, v33, v85
	s_waitcnt vmcnt(14)
	v_fmac_f32_e32 v59, v34, v86
	v_fmac_f32_e32 v60, v35, v87
	s_waitcnt vmcnt(13) lgkmcnt(2)
	v_fmac_f32_e32 v59, v66, v30
	v_fmac_f32_e32 v60, v67, v31
	s_waitcnt vmcnt(12)
	v_fmac_f32_e32 v59, v68, v28
	v_fmac_f32_e32 v60, v69, v29
	ds_read_b128 v[32:35], v48 offset:192
	ds_read_b128 v[72:75], v48 offset:208
	;; [unrolled: 1-line block ×4, first 2 shown]
	s_waitcnt vmcnt(11) lgkmcnt(5)
	v_fmac_f32_e32 v59, v36, v12
	v_fmac_f32_e32 v60, v37, v13
	s_waitcnt vmcnt(10)
	v_fmac_f32_e32 v59, v38, v10
	v_fmac_f32_e32 v60, v39, v11
	s_waitcnt vmcnt(9) lgkmcnt(4)
	v_fmac_f32_e32 v59, v62, v8
	v_fmac_f32_e32 v60, v63, v9
	s_waitcnt vmcnt(8)
	v_fmac_f32_e32 v59, v64, v6
	v_fmac_f32_e32 v60, v65, v7
	;; [unrolled: 6-line block ×5, first 2 shown]
	s_waitcnt vmcnt(0) lgkmcnt(0)
	v_fmac_f32_e32 v59, v20, v66
	v_fmac_f32_e32 v60, v21, v67
	;; [unrolled: 1-line block ×4, first 2 shown]
	v_add_f32_e32 v4, v59, v60
	ds_bpermute_b32 v5, v40, v4
	s_and_saveexec_b64 s[46:47], vcc
	s_cbranch_execz .LBB51_12
; %bb.18:                               ;   in Loop: Header=BB51_14 Depth=1
	v_add_u32_e32 v6, v53, v51
	v_cvt_f32_i32_e32 v6, v6
	s_waitcnt lgkmcnt(0)
	v_add_f32_e32 v4, v4, v5
	v_add_u32_e32 v7, v45, v51
	v_cmp_gt_i32_e64 s[10:11], s31, v7
	v_mul_f32_e32 v5, s7, v6
	v_cndmask_b32_e64 v5, 0, v5, s[4:5]
	v_fmac_f32_e32 v5, s41, v4
	v_cndmask_b32_e64 v4, 0, v5, s[10:11]
	ds_write_b32 v52, v4
	v_max_f32_e32 v4, v50, v50
	v_max_f32_e32 v4, v4, v5
	v_cndmask_b32_e64 v50, v50, v4, s[10:11]
	s_branch .LBB51_12
.LBB51_19:
	s_or_b64 exec, exec, s[44:45]
.LBB51_20:
	s_or_b64 exec, exec, s[42:43]
	v_mbcnt_hi_u32_b32 v4, -1, v44
	v_and_b32_e32 v2, 64, v4
	v_add_u32_e32 v8, 64, v2
	v_xor_b32_e32 v2, 32, v4
	v_cmp_lt_i32_e32 vcc, v2, v8
	v_cndmask_b32_e32 v2, v4, v2, vcc
	v_lshlrev_b32_e32 v2, 2, v2
	ds_bpermute_b32 v3, v2, v50
	v_xor_b32_e32 v6, 16, v4
	s_waitcnt lgkmcnt(1)
	v_max_f32_e32 v5, v50, v50
	v_cmp_lt_i32_e32 vcc, v6, v8
	v_xor_b32_e32 v7, 8, v4
	s_waitcnt lgkmcnt(0)
	v_max_f32_e32 v3, v3, v3
	v_max_f32_e32 v5, v5, v3
	v_cndmask_b32_e32 v3, v4, v6, vcc
	v_lshlrev_b32_e32 v3, 2, v3
	ds_bpermute_b32 v6, v3, v5
	v_cmp_lt_i32_e32 vcc, v7, v8
	v_xor_b32_e32 v9, 4, v4
	v_and_b32_e32 v90, 63, v0
	s_waitcnt lgkmcnt(0)
	v_max_f32_e32 v6, v6, v6
	v_max_f32_e32 v6, v5, v6
	v_cndmask_b32_e32 v5, v4, v7, vcc
	v_lshlrev_b32_e32 v5, 2, v5
	ds_bpermute_b32 v7, v5, v6
	v_cmp_lt_i32_e32 vcc, v9, v8
	s_waitcnt lgkmcnt(0)
	v_max_f32_e32 v7, v7, v7
	v_max_f32_e32 v6, v6, v7
	v_cndmask_b32_e32 v7, v4, v9, vcc
	v_lshlrev_b32_e32 v92, 2, v7
	ds_bpermute_b32 v7, v92, v6
	v_xor_b32_e32 v9, 2, v4
	v_cmp_lt_i32_e32 vcc, v9, v8
	s_waitcnt lgkmcnt(0)
	v_max_f32_e32 v7, v7, v7
	v_max_f32_e32 v7, v6, v7
	v_cndmask_b32_e32 v6, v4, v9, vcc
	v_lshlrev_b32_e32 v91, 2, v6
	ds_bpermute_b32 v9, v91, v7
	v_cmp_eq_u32_e32 vcc, 0, v90
	v_lshlrev_b32_e32 v6, 2, v43
	s_and_saveexec_b64 s[4:5], vcc
	s_cbranch_execz .LBB51_22
; %bb.21:
	s_waitcnt lgkmcnt(0)
	v_max_f32_e32 v9, v9, v9
	v_max_f32_e32 v7, v7, v7
	;; [unrolled: 1-line block ×3, first 2 shown]
	ds_write_b32 v6, v7 offset:512
.LBB51_22:
	s_or_b64 exec, exec, s[4:5]
	v_cmp_gt_u32_e64 s[4:5], 2, v90
	s_waitcnt lgkmcnt(0)
	v_mov_b32_e32 v9, 0xff7fffff
	v_lshlrev_b32_e32 v7, 2, v90
	s_barrier
	s_and_saveexec_b64 s[10:11], s[4:5]
	s_cbranch_execz .LBB51_24
; %bb.23:
	ds_read_b32 v9, v7 offset:512
.LBB51_24:
	s_or_b64 exec, exec, s[10:11]
	v_xor_b32_e32 v10, 1, v4
	v_cmp_lt_i32_e64 s[10:11], v10, v8
	v_cndmask_b32_e64 v8, v4, v10, s[10:11]
	v_lshlrev_b32_e32 v93, 2, v8
	s_waitcnt lgkmcnt(0)
	ds_bpermute_b32 v8, v93, v9
	v_max_f32_e32 v9, v9, v9
	v_lshlrev_b32_e32 v4, 2, v4
	s_sub_i32 s7, s20, s40
	s_lshl_b32 s7, s7, 5
	s_waitcnt lgkmcnt(0)
	v_max_f32_e32 v8, v8, v8
	v_max_f32_e32 v9, v9, v8
	v_and_b32_e32 v8, 0x100, v4
	ds_bpermute_b32 v4, v8, v9
	s_add_i32 s7, s7, s51
	s_min_i32 s19, s7, s31
	s_sub_i32 s7, s19, s51
	v_cmp_gt_i32_e64 s[10:11], s7, v0
	v_mov_b32_e32 v9, 0
	s_and_saveexec_b64 s[40:41], s[10:11]
	s_cbranch_execz .LBB51_28
; %bb.25:
	v_mov_b32_e32 v9, 0x210
	v_lshl_add_u32 v10, v0, 2, v9
	s_mov_b64 s[42:43], 0
	v_mov_b32_e32 v9, 0
	v_mov_b32_e32 v11, v0
.LBB51_26:                              ; =>This Inner Loop Header: Depth=1
	ds_read_b32 v12, v10
	v_add_u32_e32 v11, 0x80, v11
	v_cmp_le_i32_e64 s[12:13], s7, v11
	s_or_b64 s[42:43], s[12:13], s[42:43]
	s_waitcnt lgkmcnt(0)
	v_sub_f32_e32 v12, v12, v4
	v_mul_f32_e32 v12, 0x3fb8aa3b, v12
	v_exp_f32_e32 v12, v12
	ds_write_b32 v10, v12
	v_add_f32_e32 v9, v9, v12
	v_add_u32_e32 v10, 0x200, v10
	s_andn2_b64 exec, exec, s[42:43]
	s_cbranch_execnz .LBB51_26
; %bb.27:
	s_or_b64 exec, exec, s[42:43]
.LBB51_28:
	s_or_b64 exec, exec, s[40:41]
	ds_bpermute_b32 v2, v2, v9
	s_waitcnt lgkmcnt(0)
	v_add_f32_e32 v2, v9, v2
	ds_bpermute_b32 v3, v3, v2
	s_waitcnt lgkmcnt(0)
	v_add_f32_e32 v2, v2, v3
	ds_bpermute_b32 v3, v5, v2
	s_waitcnt lgkmcnt(0)
	v_add_f32_e32 v2, v2, v3
	ds_bpermute_b32 v3, v92, v2
	s_waitcnt lgkmcnt(0)
	v_add_f32_e32 v2, v2, v3
	ds_bpermute_b32 v3, v91, v2
	s_waitcnt lgkmcnt(0)
	v_add_f32_e32 v2, v2, v3
	ds_bpermute_b32 v3, v93, v2
	s_waitcnt lgkmcnt(0)
	v_add_f32_e32 v2, v2, v3
	s_and_saveexec_b64 s[12:13], vcc
	s_cbranch_execz .LBB51_30
; %bb.29:
	ds_write_b32 v6, v2 offset:520
.LBB51_30:
	s_or_b64 exec, exec, s[12:13]
	s_waitcnt lgkmcnt(0)
	s_barrier
	s_and_saveexec_b64 s[12:13], s[4:5]
	s_cbranch_execz .LBB51_32
; %bb.31:
	ds_read_b32 v2, v7 offset:520
.LBB51_32:
	s_or_b64 exec, exec, s[12:13]
	s_waitcnt lgkmcnt(0)
	ds_bpermute_b32 v3, v93, v2
	s_waitcnt lgkmcnt(0)
	v_add_f32_e32 v2, v2, v3
	ds_bpermute_b32 v5, v8, v2
	s_and_saveexec_b64 s[4:5], s[10:11]
	s_cbranch_execz .LBB51_45
; %bb.33:
	s_waitcnt lgkmcnt(0)
	v_add_f32_e32 v2, 0x358637bd, v5
	v_div_scale_f32 v3, s[10:11], v2, v2, 1.0
	v_rcp_f32_e32 v6, v3
	v_div_scale_f32 v7, vcc, 1.0, v2, 1.0
	s_movk_i32 s10, 0x7f
	v_fma_f32 v8, -v3, v6, 1.0
	v_fmac_f32_e32 v6, v8, v6
	v_mul_f32_e32 v8, v7, v6
	v_fma_f32 v9, -v3, v8, v7
	v_fmac_f32_e32 v8, v9, v6
	v_fma_f32 v3, -v3, v8, v7
	v_div_fmas_f32 v3, v3, v6, v8
	v_div_fixup_f32 v2, v3, v2, 1.0
	v_xad_u32 v3, v0, -1, s19
	v_subrev_u32_e32 v6, s51, v3
	v_cmp_lt_u32_e32 vcc, s10, v6
	s_mov_b64 s[12:13], -1
	v_mov_b32_e32 v3, v0
	s_and_saveexec_b64 s[10:11], vcc
	s_cbranch_execz .LBB51_42
; %bb.34:
	v_lshrrev_b32_e32 v6, 7, v6
	v_add_u32_e32 v8, -1, v6
	v_lshrrev_b32_e32 v7, 1, v8
	v_mov_b32_e32 v3, v2
	v_add_u32_e32 v7, 1, v7
	v_cmp_lt_u32_e32 vcc, 13, v8
	v_mov_b32_e32 v10, 0
	s_and_saveexec_b64 s[12:13], vcc
	s_cbranch_execz .LBB51_38
; %bb.35:
	v_mov_b32_e32 v9, 0x210
	v_and_b32_e32 v8, -8, v7
	v_lshl_add_u32 v9, v0, 2, v9
	s_mov_b32 s19, 0
	s_mov_b64 s[40:41], 0
.LBB51_36:                              ; =>This Inner Loop Header: Depth=1
	ds_read2st64_b32 v[10:11], v9 offset1:2
	ds_read2st64_b32 v[12:13], v9 offset0:4 offset1:6
	ds_read2st64_b32 v[14:15], v9 offset0:8 offset1:10
	;; [unrolled: 1-line block ×3, first 2 shown]
	v_add_u32_e32 v8, -8, v8
	s_waitcnt lgkmcnt(3)
	v_pk_mul_f32 v[10:11], v[2:3], v[10:11]
	s_waitcnt lgkmcnt(2)
	v_pk_mul_f32 v[12:13], v[2:3], v[12:13]
	ds_write2st64_b32 v9, v10, v11 offset1:2
	ds_write2st64_b32 v9, v12, v13 offset0:4 offset1:6
	ds_read2st64_b32 v[12:13], v9 offset0:16 offset1:18
	s_waitcnt lgkmcnt(4)
	v_pk_mul_f32 v[10:11], v[2:3], v[14:15]
	ds_write2st64_b32 v9, v10, v11 offset0:8 offset1:10
	s_waitcnt lgkmcnt(4)
	v_pk_mul_f32 v[10:11], v[2:3], v[16:17]
	ds_write2st64_b32 v9, v10, v11 offset0:12 offset1:14
	ds_read2st64_b32 v[10:11], v9 offset0:20 offset1:22
	s_waitcnt lgkmcnt(3)
	v_pk_mul_f32 v[12:13], v[2:3], v[12:13]
	ds_read2st64_b32 v[14:15], v9 offset0:24 offset1:26
	ds_write2st64_b32 v9, v12, v13 offset0:16 offset1:18
	ds_read2st64_b32 v[12:13], v9 offset0:28 offset1:30
	s_waitcnt lgkmcnt(3)
	v_pk_mul_f32 v[10:11], v[2:3], v[10:11]
	ds_write2st64_b32 v9, v10, v11 offset0:20 offset1:22
	s_waitcnt lgkmcnt(3)
	v_pk_mul_f32 v[10:11], v[2:3], v[14:15]
	ds_write2st64_b32 v9, v10, v11 offset0:24 offset1:26
	s_waitcnt lgkmcnt(2)
	v_pk_mul_f32 v[10:11], v[2:3], v[12:13]
	s_add_i32 s19, s19, 16
	v_cmp_eq_u32_e32 vcc, 0, v8
	ds_write2st64_b32 v9, v10, v11 offset0:28 offset1:30
	v_add_u32_e32 v9, 0x2000, v9
	s_or_b64 s[40:41], vcc, s[40:41]
	v_mov_b32_e32 v10, s19
	s_andn2_b64 exec, exec, s[40:41]
	s_cbranch_execnz .LBB51_36
; %bb.37:
	s_or_b64 exec, exec, s[40:41]
.LBB51_38:
	s_or_b64 exec, exec, s[12:13]
	v_and_b32_e32 v7, 7, v7
	v_cmp_ne_u32_e32 vcc, 0, v7
	s_and_saveexec_b64 s[12:13], vcc
	s_cbranch_execz .LBB51_41
; %bb.39:
	v_lshlrev_b32_e32 v8, 9, v10
	s_movk_i32 s19, 0x210
	v_add3_u32 v8, v8, v42, s19
	s_mov_b64 s[40:41], 0
.LBB51_40:                              ; =>This Inner Loop Header: Depth=1
	ds_read2st64_b32 v[10:11], v8 offset1:2
	v_add_u32_e32 v7, -1, v7
	v_cmp_eq_u32_e32 vcc, 0, v7
	s_or_b64 s[40:41], vcc, s[40:41]
	s_waitcnt lgkmcnt(0)
	v_pk_mul_f32 v[10:11], v[2:3], v[10:11]
	ds_write2st64_b32 v8, v10, v11 offset1:2
	v_add_u32_e32 v8, 0x400, v8
	s_andn2_b64 exec, exec, s[40:41]
	s_cbranch_execnz .LBB51_40
.LBB51_41:
	s_or_b64 exec, exec, s[12:13]
	v_add_u32_e32 v6, 1, v6
	v_and_b32_e32 v7, 0x3fffffe, v6
	v_cmp_ne_u32_e32 vcc, v6, v7
	v_lshl_add_u32 v3, v7, 7, v0
	s_orn2_b64 s[12:13], vcc, exec
.LBB51_42:
	s_or_b64 exec, exec, s[10:11]
	s_and_b64 exec, exec, s[12:13]
	s_cbranch_execz .LBB51_45
; %bb.43:
	v_mov_b32_e32 v6, 0x210
	v_lshl_add_u32 v6, v3, 2, v6
	s_mov_b64 s[10:11], 0
.LBB51_44:                              ; =>This Inner Loop Header: Depth=1
	ds_read_b32 v7, v6
	v_add_u32_e32 v3, 0x80, v3
	v_cmp_le_i32_e32 vcc, s7, v3
	s_or_b64 s[10:11], vcc, s[10:11]
	s_waitcnt lgkmcnt(0)
	v_mul_f32_e32 v7, v2, v7
	ds_write_b32 v6, v7
	v_add_u32_e32 v6, 0x200, v6
	s_andn2_b64 exec, exec, s[10:11]
	s_cbranch_execnz .LBB51_44
.LBB51_45:
	s_or_b64 exec, exec, s[4:5]
	s_mul_i32 s4, s15, s30
	v_cmp_eq_u32_e32 vcc, 0, v0
	s_mul_i32 s4, s4, s9
	s_waitcnt lgkmcnt(0)
	s_barrier
	s_and_saveexec_b64 s[10:11], vcc
	s_cbranch_execz .LBB51_47
; %bb.46:
	s_ashr_i32 s5, s4, 31
	s_lshl_b64 s[12:13], s[4:5], 2
	s_add_u32 s5, s26, s12
	s_mul_i32 s6, s15, s6
	s_addc_u32 s9, s27, s13
	s_ashr_i32 s7, s6, 31
	s_lshl_b64 s[6:7], s[6:7], 2
	s_add_u32 s5, s5, s6
	s_addc_u32 s19, s9, s7
	s_ashr_i32 s9, s8, 31
	s_lshl_b64 s[26:27], s[8:9], 2
	s_add_u32 s40, s5, s26
	s_addc_u32 s41, s19, s27
	s_add_u32 s5, s24, s12
	s_addc_u32 s9, s25, s13
	;; [unrolled: 2-line block ×3, first 2 shown]
	s_add_u32 s6, s5, s26
	v_mov_b32_e32 v2, 0
	s_addc_u32 s7, s7, s27
	global_store_dword v2, v4, s[40:41]
	global_store_dword v2, v5, s[6:7]
.LBB51_47:
	s_or_b64 exec, exec, s[10:11]
	v_mov_b32_e32 v86, 0
	v_and_b32_e32 v94, 7, v0
	v_mov_b32_e32 v87, 0
	v_mov_b32_e32 v84, 0
	v_mov_b32_e32 v85, 0
	v_mov_b32_e32 v82, 0
	v_mov_b32_e32 v83, 0
	v_mov_b32_e32 v80, 0
	v_mov_b32_e32 v81, 0
	v_mov_b32_e32 v78, 0
	v_mov_b32_e32 v79, 0
	v_mov_b32_e32 v76, 0
	v_mov_b32_e32 v77, 0
	v_mov_b32_e32 v74, 0
	v_mov_b32_e32 v75, 0
	v_mov_b32_e32 v72, 0
	v_mov_b32_e32 v73, 0
	s_and_saveexec_b64 s[6:7], s[2:3]
	s_cbranch_execz .LBB51_85
; %bb.48:
	s_ashr_i32 s19, s18, 31
	s_sub_i32 s5, s50, s21
	s_lshl_b64 s[2:3], s[18:19], 2
	s_add_u32 s18, s38, s2
	s_addc_u32 s19, s39, s3
	s_abs_i32 s22, s22
	v_cvt_f32_u32_e32 v3, s22
	s_sub_i32 s2, 0, s22
	s_add_i32 s21, s16, -1
	v_lshlrev_b64 v[28:29], 2, v[70:71]
	v_rcp_iflag_f32_e32 v3, v3
	v_and_b32_e32 v2, 0xfc, v42
	v_mov_b32_e32 v73, 0
	v_or_b32_e32 v4, 0x400, v2
	v_mul_f32_e32 v3, 0x4f7ffffe, v3
	v_cvt_u32_f32_e32 v3, v3
	v_or_b32_e32 v6, 0x500, v2
	v_or_b32_e32 v8, 0x600, v2
	;; [unrolled: 1-line block ×3, first 2 shown]
	v_mul_lo_u32 v5, s2, v3
	s_lshl_b64 s[2:3], s[36:37], 2
	s_add_u32 s2, s34, s2
	v_mul_hi_u32 v5, v3, v5
	s_addc_u32 s3, s35, s3
	v_add_u32_e32 v96, v3, v5
	v_mov_b32_e32 v3, s3
	v_add_co_u32_e32 v88, vcc, s2, v28
	v_addc_co_u32_e32 v89, vcc, v3, v29, vcc
	v_lshlrev_b32_e32 v3, 4, v94
	v_or_b32_e32 v12, 0x800, v2
	v_or_b32_e32 v14, 0x900, v2
	;; [unrolled: 1-line block ×8, first 2 shown]
	v_lshl_or_b32 v3, v43, 7, v3
	v_and_b32_e32 v95, 28, v42
	s_mov_b32 s9, s17
	v_add_u32_e32 v71, 0x210, v3
	s_mov_b64 s[10:11], 0
	v_lshlrev_b32_e32 v97, 2, v2
	v_lshlrev_b32_e32 v98, 2, v4
	;; [unrolled: 1-line block ×13, first 2 shown]
	v_mov_b32_e32 v72, v73
	v_mov_b32_e32 v75, v73
	;; [unrolled: 1-line block ×15, first 2 shown]
	s_branch .LBB51_51
.LBB51_49:                              ;   in Loop: Header=BB51_51 Depth=1
	s_or_b64 exec, exec, s[2:3]
	s_waitcnt vmcnt(1) lgkmcnt(0)
	v_mul_f32_e32 v67, v3, v67
	v_mul_f32_e32 v63, v3, v63
	;; [unrolled: 1-line block ×15, first 2 shown]
	s_waitcnt vmcnt(0)
	v_mul_f32_e32 v3, v3, v59
	v_fmac_f32_e32 v67, v2, v66
	v_fmac_f32_e32 v63, v2, v62
	;; [unrolled: 1-line block ×48, first 2 shown]
	v_add_f32_e32 v72, v72, v67
	v_add_f32_e32 v75, v75, v63
	;; [unrolled: 1-line block ×16, first 2 shown]
.LBB51_50:                              ;   in Loop: Header=BB51_51 Depth=1
	s_or_b64 exec, exec, s[12:13]
	v_add_co_u32_e32 v88, vcc, 8, v88
	v_add_u32_e32 v70, 2, v70
	v_addc_co_u32_e32 v89, vcc, 0, v89, vcc
	v_cmp_le_i32_e32 vcc, s20, v70
	v_add_u32_e32 v1, 64, v1
	s_or_b64 s[10:11], vcc, s[10:11]
	v_add_u32_e32 v71, 0x100, v71
	s_andn2_b64 exec, exec, s[10:11]
	s_cbranch_execz .LBB51_84
.LBB51_51:                              ; =>This Inner Loop Header: Depth=1
	v_sub_u32_e32 v3, 0, v1
	v_max_i32_e32 v3, v1, v3
	v_mul_hi_u32 v4, v3, s48
	v_mul_lo_u32 v5, v4, s33
	v_sub_u32_e32 v3, v3, v5
	v_add_u32_e32 v5, 1, v4
	v_cmp_le_u32_e32 vcc, s33, v3
	v_cndmask_b32_e32 v4, v4, v5, vcc
	v_subrev_u32_e32 v5, s33, v3
	v_cndmask_b32_e32 v3, v3, v5, vcc
	v_ashrrev_i32_e32 v2, 31, v1
	v_add_u32_e32 v5, 1, v4
	v_cmp_le_u32_e32 vcc, s33, v3
	v_xor_b32_e32 v2, s23, v2
	v_cndmask_b32_e32 v3, v4, v5, vcc
	v_xor_b32_e32 v3, v3, v2
	v_sub_u32_e32 v2, v3, v2
	v_add_u32_e32 v3, s49, v2
	v_sub_u32_e32 v5, 0, v3
	v_ashrrev_i32_e32 v4, 31, v3
	v_max_i32_e32 v3, v3, v5
	v_mul_hi_u32 v5, v3, v96
	v_mul_lo_u32 v5, v5, s22
	v_sub_u32_e32 v3, v3, v5
	v_subrev_u32_e32 v5, s22, v3
	v_cmp_le_u32_e32 vcc, s22, v3
	v_cndmask_b32_e32 v3, v3, v5, vcc
	v_subrev_u32_e32 v5, s22, v3
	v_cmp_le_u32_e32 vcc, s22, v3
	v_cndmask_b32_e32 v3, v3, v5, vcc
	v_xor_b32_e32 v3, v3, v4
	v_sub_u32_e32 v3, v3, v4
	v_cmp_eq_u32_e32 vcc, 0, v3
	v_cmp_lt_i32_e64 s[2:3], s5, v2
	s_or_b64 s[2:3], vcc, s[2:3]
	s_and_saveexec_b64 s[12:13], s[2:3]
	s_cbranch_execz .LBB51_50
; %bb.52:                               ;   in Loop: Header=BB51_51 Depth=1
	global_load_dword v2, v[88:89], off
	v_mov_b32_e32 v4, s19
	v_add_u32_e32 v110, v95, v1
	v_add_u32_e32 v113, 1, v110
	;; [unrolled: 1-line block ×4, first 2 shown]
	s_waitcnt vmcnt(0)
	v_mad_i64_i32 v[2:3], s[2:3], v2, s9, 0
	v_lshlrev_b64 v[2:3], 2, v[2:3]
	v_add_co_u32_e32 v58, vcc, s18, v2
	v_addc_co_u32_e32 v59, vcc, v4, v3, vcc
	v_add_co_u32_e32 v18, vcc, v58, v97
	v_addc_co_u32_e32 v19, vcc, 0, v59, vcc
	global_load_dwordx4 v[6:9], v[18:19], off
	ds_read_b128 v[2:5], v71
	v_cmp_eq_u32_e32 vcc, s21, v70
	s_and_saveexec_b64 s[16:17], vcc
	s_cbranch_execnz .LBB51_81
; %bb.53:                               ;   in Loop: Header=BB51_51 Depth=1
	s_or_b64 exec, exec, s[16:17]
	global_load_dwordx4 v[10:13], v[18:19], off offset:1024
	s_and_saveexec_b64 s[16:17], vcc
	s_cbranch_execnz .LBB51_82
.LBB51_54:                              ;   in Loop: Header=BB51_51 Depth=1
	s_or_b64 exec, exec, s[16:17]
	global_load_dwordx4 v[14:17], v[18:19], off offset:2048
	s_and_saveexec_b64 s[16:17], vcc
	s_cbranch_execnz .LBB51_83
.LBB51_55:                              ;   in Loop: Header=BB51_51 Depth=1
	s_or_b64 exec, exec, s[16:17]
	global_load_dwordx4 v[18:21], v[18:19], off offset:3072
	s_and_saveexec_b64 s[16:17], vcc
	s_cbranch_execz .LBB51_57
.LBB51_56:                              ;   in Loop: Header=BB51_51 Depth=1
	v_cmp_gt_i32_e64 s[2:3], s31, v110
	s_waitcnt vmcnt(0)
	v_cndmask_b32_e64 v18, 0, v18, s[2:3]
	v_cmp_gt_i32_e64 s[2:3], s31, v113
	v_cndmask_b32_e64 v19, 0, v19, s[2:3]
	v_cmp_gt_i32_e64 s[2:3], s31, v112
	;; [unrolled: 2-line block ×3, first 2 shown]
	v_cndmask_b32_e64 v21, 0, v21, s[2:3]
.LBB51_57:                              ;   in Loop: Header=BB51_51 Depth=1
	s_or_b64 exec, exec, s[16:17]
	v_add_co_u32_e64 v22, s[2:3], v58, v98
	v_addc_co_u32_e64 v23, s[2:3], 0, v59, s[2:3]
	global_load_dwordx4 v[22:25], v[22:23], off
	s_and_saveexec_b64 s[16:17], vcc
	s_cbranch_execz .LBB51_59
; %bb.58:                               ;   in Loop: Header=BB51_51 Depth=1
	v_cmp_gt_i32_e64 s[2:3], s31, v110
	s_waitcnt vmcnt(0)
	v_cndmask_b32_e64 v22, 0, v22, s[2:3]
	v_cmp_gt_i32_e64 s[2:3], s31, v113
	v_cndmask_b32_e64 v23, 0, v23, s[2:3]
	v_cmp_gt_i32_e64 s[2:3], s31, v112
	v_cndmask_b32_e64 v24, 0, v24, s[2:3]
	v_cmp_gt_i32_e64 s[2:3], s31, v111
	v_cndmask_b32_e64 v25, 0, v25, s[2:3]
.LBB51_59:                              ;   in Loop: Header=BB51_51 Depth=1
	s_or_b64 exec, exec, s[16:17]
	v_add_co_u32_e64 v26, s[2:3], v58, v99
	v_addc_co_u32_e64 v27, s[2:3], 0, v59, s[2:3]
	global_load_dwordx4 v[26:29], v[26:27], off
	s_and_saveexec_b64 s[16:17], vcc
	s_cbranch_execz .LBB51_61
; %bb.60:                               ;   in Loop: Header=BB51_51 Depth=1
	v_cmp_gt_i32_e64 s[2:3], s31, v110
	s_waitcnt vmcnt(0)
	v_cndmask_b32_e64 v26, 0, v26, s[2:3]
	v_cmp_gt_i32_e64 s[2:3], s31, v113
	v_cndmask_b32_e64 v27, 0, v27, s[2:3]
	v_cmp_gt_i32_e64 s[2:3], s31, v112
	v_cndmask_b32_e64 v28, 0, v28, s[2:3]
	v_cmp_gt_i32_e64 s[2:3], s31, v111
	v_cndmask_b32_e64 v29, 0, v29, s[2:3]
.LBB51_61:                              ;   in Loop: Header=BB51_51 Depth=1
	;; [unrolled: 17-line block ×11, first 2 shown]
	s_or_b64 exec, exec, s[16:17]
	v_add_co_u32_e64 v58, s[2:3], v58, v109
	v_addc_co_u32_e64 v59, s[2:3], 0, v59, s[2:3]
	global_load_dwordx4 v[58:61], v[58:59], off
	s_and_saveexec_b64 s[2:3], vcc
	s_cbranch_execz .LBB51_49
; %bb.80:                               ;   in Loop: Header=BB51_51 Depth=1
	v_cmp_gt_i32_e32 vcc, s31, v110
	s_waitcnt vmcnt(0)
	v_cndmask_b32_e32 v58, 0, v58, vcc
	v_cmp_gt_i32_e32 vcc, s31, v113
	v_cndmask_b32_e32 v59, 0, v59, vcc
	v_cmp_gt_i32_e32 vcc, s31, v112
	;; [unrolled: 2-line block ×3, first 2 shown]
	v_cndmask_b32_e32 v61, 0, v61, vcc
	s_branch .LBB51_49
.LBB51_81:                              ;   in Loop: Header=BB51_51 Depth=1
	v_cmp_gt_i32_e64 s[2:3], s31, v110
	s_waitcnt vmcnt(0)
	v_cndmask_b32_e64 v6, 0, v6, s[2:3]
	v_cmp_gt_i32_e64 s[2:3], s31, v113
	v_cndmask_b32_e64 v7, 0, v7, s[2:3]
	v_cmp_gt_i32_e64 s[2:3], s31, v112
	;; [unrolled: 2-line block ×3, first 2 shown]
	v_cndmask_b32_e64 v9, 0, v9, s[2:3]
	s_or_b64 exec, exec, s[16:17]
	global_load_dwordx4 v[10:13], v[18:19], off offset:1024
	s_and_saveexec_b64 s[16:17], vcc
	s_cbranch_execz .LBB51_54
.LBB51_82:                              ;   in Loop: Header=BB51_51 Depth=1
	v_cmp_gt_i32_e64 s[2:3], s31, v110
	s_waitcnt vmcnt(0)
	v_cndmask_b32_e64 v10, 0, v10, s[2:3]
	v_cmp_gt_i32_e64 s[2:3], s31, v113
	v_cndmask_b32_e64 v11, 0, v11, s[2:3]
	v_cmp_gt_i32_e64 s[2:3], s31, v112
	;; [unrolled: 2-line block ×3, first 2 shown]
	v_cndmask_b32_e64 v13, 0, v13, s[2:3]
	s_or_b64 exec, exec, s[16:17]
	global_load_dwordx4 v[14:17], v[18:19], off offset:2048
	s_and_saveexec_b64 s[16:17], vcc
	s_cbranch_execz .LBB51_55
.LBB51_83:                              ;   in Loop: Header=BB51_51 Depth=1
	v_cmp_gt_i32_e64 s[2:3], s31, v110
	s_waitcnt vmcnt(0)
	v_cndmask_b32_e64 v14, 0, v14, s[2:3]
	v_cmp_gt_i32_e64 s[2:3], s31, v113
	v_cndmask_b32_e64 v15, 0, v15, s[2:3]
	v_cmp_gt_i32_e64 s[2:3], s31, v112
	;; [unrolled: 2-line block ×3, first 2 shown]
	v_cndmask_b32_e64 v17, 0, v17, s[2:3]
	s_or_b64 exec, exec, s[16:17]
	global_load_dwordx4 v[18:21], v[18:19], off offset:3072
	s_and_saveexec_b64 s[16:17], vcc
	s_cbranch_execnz .LBB51_56
	s_branch .LBB51_57
.LBB51_84:
	s_or_b64 exec, exec, s[10:11]
.LBB51_85:
	s_or_b64 exec, exec, s[6:7]
	ds_bpermute_b32 v4, v92, v84
	ds_bpermute_b32 v5, v92, v85
	;; [unrolled: 1-line block ×6, first 2 shown]
	s_waitcnt lgkmcnt(4)
	v_pk_add_f32 v[4:5], v[84:85], v[4:5]
	ds_bpermute_b32 v8, v91, v4
	ds_bpermute_b32 v9, v91, v5
	s_waitcnt lgkmcnt(4)
	v_pk_add_f32 v[2:3], v[86:87], v[2:3]
	ds_bpermute_b32 v6, v91, v2
	ds_bpermute_b32 v7, v91, v3
	;; [unrolled: 1-line block ×3, first 2 shown]
	s_waitcnt lgkmcnt(3)
	v_pk_add_f32 v[4:5], v[4:5], v[8:9]
	v_pk_add_f32 v[8:9], v[82:83], v[10:11]
	ds_bpermute_b32 v10, v91, v8
	ds_bpermute_b32 v11, v91, v9
	ds_bpermute_b32 v15, v92, v81
	s_waitcnt lgkmcnt(4)
	v_pk_add_f32 v[2:3], v[2:3], v[6:7]
	ds_bpermute_b32 v6, v93, v2
	ds_bpermute_b32 v7, v93, v3
	s_waitcnt lgkmcnt(3)
	v_pk_add_f32 v[8:9], v[8:9], v[10:11]
	s_waitcnt lgkmcnt(2)
	v_pk_add_f32 v[14:15], v[80:81], v[14:15]
	ds_bpermute_b32 v10, v93, v8
	ds_bpermute_b32 v11, v93, v9
	ds_bpermute_b32 v16, v91, v14
	ds_bpermute_b32 v17, v91, v15
	s_waitcnt lgkmcnt(4)
	v_pk_add_f32 v[6:7], v[2:3], v[6:7]
	ds_bpermute_b32 v20, v92, v74
	s_waitcnt lgkmcnt(3)
	v_pk_add_f32 v[2:3], v[8:9], v[10:11]
	ds_bpermute_b32 v10, v92, v78
	;; [unrolled: 3-line block ×3, first 2 shown]
	ds_bpermute_b32 v15, v92, v77
	ds_bpermute_b32 v11, v92, v79
	;; [unrolled: 1-line block ×5, first 2 shown]
	s_waitcnt lgkmcnt(4)
	v_pk_add_f32 v[14:15], v[76:77], v[14:15]
	s_waitcnt lgkmcnt(3)
	v_pk_add_f32 v[10:11], v[78:79], v[10:11]
	ds_bpermute_b32 v18, v91, v14
	ds_bpermute_b32 v19, v91, v15
	ds_bpermute_b32 v16, v91, v10
	ds_bpermute_b32 v17, v91, v11
	ds_bpermute_b32 v12, v93, v4
	ds_bpermute_b32 v13, v93, v5
	s_waitcnt lgkmcnt(4)
	v_pk_add_f32 v[18:19], v[14:15], v[18:19]
	v_pk_add_f32 v[14:15], v[74:75], v[20:21]
	s_waitcnt lgkmcnt(2)
	v_pk_add_f32 v[10:11], v[10:11], v[16:17]
	ds_bpermute_b32 v20, v91, v14
	ds_bpermute_b32 v21, v91, v15
	v_pk_add_f32 v[24:25], v[72:73], v[24:25]
	s_waitcnt lgkmcnt(2)
	v_pk_add_f32 v[4:5], v[4:5], v[12:13]
	ds_bpermute_b32 v12, v93, v8
	ds_bpermute_b32 v13, v93, v9
	;; [unrolled: 1-line block ×8, first 2 shown]
	s_waitcnt lgkmcnt(8)
	v_pk_add_f32 v[20:21], v[14:15], v[20:21]
	ds_bpermute_b32 v26, v93, v20
	ds_bpermute_b32 v27, v93, v21
	s_waitcnt lgkmcnt(8)
	v_pk_add_f32 v[14:15], v[8:9], v[12:13]
	s_waitcnt lgkmcnt(6)
	v_pk_add_f32 v[12:13], v[10:11], v[16:17]
	;; [unrolled: 2-line block ×4, first 2 shown]
	ds_bpermute_b32 v18, v93, v16
	ds_bpermute_b32 v19, v93, v17
	v_and_b32_e32 v1, 0x3c7, v0
	s_waitcnt lgkmcnt(2)
	v_pk_add_f32 v[8:9], v[20:21], v[26:27]
	v_cmp_ne_u32_e32 vcc, 64, v1
	s_waitcnt lgkmcnt(0)
	s_barrier
	s_and_saveexec_b64 s[2:3], vcc
	s_xor_b64 s[2:3], exec, s[2:3]
; %bb.86:
                                        ; implicit-def: $vgpr90
; %bb.87:
	s_or_saveexec_b64 s[2:3], s[2:3]
	v_pk_add_f32 v[16:17], v[16:17], v[18:19]
	s_xor_b64 exec, exec, s[2:3]
	s_cbranch_execz .LBB51_89
; %bb.88:
	v_lshrrev_b32_e32 v18, 1, v90
	v_add_u32_e32 v18, 0x210, v18
	ds_write2_b32 v18, v6, v7 offset1:8
	ds_write2_b32 v18, v4, v5 offset0:16 offset1:24
	ds_write2_b32 v18, v2, v3 offset0:32 offset1:40
	;; [unrolled: 1-line block ×7, first 2 shown]
.LBB51_89:
	s_or_b64 exec, exec, s[2:3]
	s_waitcnt lgkmcnt(0)
	s_barrier
	s_and_saveexec_b64 s[2:3], s[0:1]
	s_cbranch_execz .LBB51_108
; %bb.90:
	v_cmp_eq_u32_e32 vcc, 0, v94
	v_lshrrev_b32_e32 v18, 3, v0
	s_and_saveexec_b64 s[0:1], vcc
	s_cbranch_execnz .LBB51_111
; %bb.91:
	s_or_b64 exec, exec, s[0:1]
	s_and_saveexec_b64 s[0:1], vcc
	s_cbranch_execnz .LBB51_112
.LBB51_92:
	s_or_b64 exec, exec, s[0:1]
	s_and_saveexec_b64 s[0:1], vcc
	s_cbranch_execnz .LBB51_113
.LBB51_93:
	s_or_b64 exec, exec, s[0:1]
	s_and_saveexec_b64 s[0:1], vcc
	s_cbranch_execnz .LBB51_114
.LBB51_94:
	s_or_b64 exec, exec, s[0:1]
	s_and_saveexec_b64 s[0:1], vcc
	s_cbranch_execnz .LBB51_115
.LBB51_95:
	s_or_b64 exec, exec, s[0:1]
	s_and_saveexec_b64 s[0:1], vcc
	s_cbranch_execnz .LBB51_116
.LBB51_96:
	s_or_b64 exec, exec, s[0:1]
	s_and_saveexec_b64 s[0:1], vcc
	s_cbranch_execnz .LBB51_117
.LBB51_97:
	s_or_b64 exec, exec, s[0:1]
	s_and_saveexec_b64 s[0:1], vcc
	s_cbranch_execnz .LBB51_118
.LBB51_98:
	s_or_b64 exec, exec, s[0:1]
	s_and_saveexec_b64 s[0:1], vcc
	s_cbranch_execnz .LBB51_119
.LBB51_99:
	s_or_b64 exec, exec, s[0:1]
	s_and_saveexec_b64 s[0:1], vcc
	s_cbranch_execnz .LBB51_120
.LBB51_100:
	s_or_b64 exec, exec, s[0:1]
	s_and_saveexec_b64 s[0:1], vcc
	s_cbranch_execnz .LBB51_121
.LBB51_101:
	s_or_b64 exec, exec, s[0:1]
	s_and_saveexec_b64 s[0:1], vcc
	s_cbranch_execnz .LBB51_122
.LBB51_102:
	s_or_b64 exec, exec, s[0:1]
	s_and_saveexec_b64 s[0:1], vcc
	s_cbranch_execnz .LBB51_123
.LBB51_103:
	s_or_b64 exec, exec, s[0:1]
	s_and_saveexec_b64 s[0:1], vcc
	s_cbranch_execnz .LBB51_124
.LBB51_104:
	s_or_b64 exec, exec, s[0:1]
	s_and_saveexec_b64 s[0:1], vcc
	s_cbranch_execnz .LBB51_125
.LBB51_105:
	s_or_b64 exec, exec, s[0:1]
	s_and_saveexec_b64 s[0:1], vcc
	s_cbranch_execz .LBB51_107
.LBB51_106:
	v_mov_b32_e32 v19, 0x210
	v_lshl_add_u32 v18, v18, 2, v19
	ds_read_b32 v18, v18 offset:480
	s_waitcnt lgkmcnt(0)
	v_add_f32_e32 v17, v17, v18
.LBB51_107:
	s_or_b64 exec, exec, s[0:1]
.LBB51_108:
	s_or_b64 exec, exec, s[2:3]
	v_cmp_eq_u32_e32 vcc, 0, v1
	s_barrier
	s_and_saveexec_b64 s[0:1], vcc
	s_cbranch_execz .LBB51_110
; %bb.109:
	s_lshl_b32 s0, s4, 7
	s_ashr_i32 s1, s0, 31
	s_lshl_b64 s[0:1], s[0:1], 2
	s_add_u32 s2, s28, s0
	s_mul_i32 s0, s15, s14
	s_addc_u32 s3, s29, s1
	s_ashr_i32 s1, s0, 31
	s_lshl_b64 s[0:1], s[0:1], 2
	s_add_u32 s2, s2, s0
	s_addc_u32 s3, s3, s1
	s_lshl_b32 s0, s8, 7
	s_ashr_i32 s1, s0, 31
	s_lshl_b64 s[0:1], s[0:1], 2
	s_add_u32 s0, s2, s0
	s_addc_u32 s1, s3, s1
	v_lshrrev_b32_e32 v0, 1, v0
	global_store_dword v0, v6, s[0:1]
	global_store_dword v0, v7, s[0:1] offset:32
	global_store_dword v0, v4, s[0:1] offset:64
	;; [unrolled: 1-line block ×15, first 2 shown]
.LBB51_110:
	s_endpgm
.LBB51_111:
	v_mov_b32_e32 v19, 0x210
	v_lshl_add_u32 v19, v18, 2, v19
	ds_read_b32 v19, v19
	s_waitcnt lgkmcnt(0)
	v_add_f32_e32 v6, v6, v19
	s_or_b64 exec, exec, s[0:1]
	s_and_saveexec_b64 s[0:1], vcc
	s_cbranch_execz .LBB51_92
.LBB51_112:
	v_mov_b32_e32 v19, 0x210
	v_lshl_add_u32 v19, v18, 2, v19
	ds_read_b32 v19, v19 offset:32
	s_waitcnt lgkmcnt(0)
	v_add_f32_e32 v7, v7, v19
	s_or_b64 exec, exec, s[0:1]
	s_and_saveexec_b64 s[0:1], vcc
	s_cbranch_execz .LBB51_93
.LBB51_113:
	v_mov_b32_e32 v19, 0x210
	v_lshl_add_u32 v19, v18, 2, v19
	ds_read_b32 v19, v19 offset:64
	s_waitcnt lgkmcnt(0)
	v_add_f32_e32 v4, v4, v19
	s_or_b64 exec, exec, s[0:1]
	s_and_saveexec_b64 s[0:1], vcc
	s_cbranch_execz .LBB51_94
.LBB51_114:
	v_mov_b32_e32 v19, 0x210
	v_lshl_add_u32 v19, v18, 2, v19
	ds_read_b32 v19, v19 offset:96
	s_waitcnt lgkmcnt(0)
	v_add_f32_e32 v5, v5, v19
	s_or_b64 exec, exec, s[0:1]
	s_and_saveexec_b64 s[0:1], vcc
	s_cbranch_execz .LBB51_95
.LBB51_115:
	v_mov_b32_e32 v19, 0x210
	v_lshl_add_u32 v19, v18, 2, v19
	ds_read_b32 v19, v19 offset:128
	s_waitcnt lgkmcnt(0)
	v_add_f32_e32 v2, v2, v19
	s_or_b64 exec, exec, s[0:1]
	s_and_saveexec_b64 s[0:1], vcc
	s_cbranch_execz .LBB51_96
.LBB51_116:
	v_mov_b32_e32 v19, 0x210
	v_lshl_add_u32 v19, v18, 2, v19
	ds_read_b32 v19, v19 offset:160
	s_waitcnt lgkmcnt(0)
	v_add_f32_e32 v3, v3, v19
	s_or_b64 exec, exec, s[0:1]
	s_and_saveexec_b64 s[0:1], vcc
	s_cbranch_execz .LBB51_97
.LBB51_117:
	v_mov_b32_e32 v19, 0x210
	v_lshl_add_u32 v19, v18, 2, v19
	ds_read_b32 v19, v19 offset:192
	s_waitcnt lgkmcnt(0)
	v_add_f32_e32 v14, v14, v19
	s_or_b64 exec, exec, s[0:1]
	s_and_saveexec_b64 s[0:1], vcc
	s_cbranch_execz .LBB51_98
.LBB51_118:
	v_mov_b32_e32 v19, 0x210
	v_lshl_add_u32 v19, v18, 2, v19
	ds_read_b32 v19, v19 offset:224
	s_waitcnt lgkmcnt(0)
	v_add_f32_e32 v15, v15, v19
	s_or_b64 exec, exec, s[0:1]
	s_and_saveexec_b64 s[0:1], vcc
	s_cbranch_execz .LBB51_99
.LBB51_119:
	v_mov_b32_e32 v19, 0x210
	v_lshl_add_u32 v19, v18, 2, v19
	ds_read_b32 v19, v19 offset:256
	s_waitcnt lgkmcnt(0)
	v_add_f32_e32 v12, v12, v19
	s_or_b64 exec, exec, s[0:1]
	s_and_saveexec_b64 s[0:1], vcc
	s_cbranch_execz .LBB51_100
.LBB51_120:
	v_mov_b32_e32 v19, 0x210
	v_lshl_add_u32 v19, v18, 2, v19
	ds_read_b32 v19, v19 offset:288
	s_waitcnt lgkmcnt(0)
	v_add_f32_e32 v13, v13, v19
	s_or_b64 exec, exec, s[0:1]
	s_and_saveexec_b64 s[0:1], vcc
	s_cbranch_execz .LBB51_101
.LBB51_121:
	v_mov_b32_e32 v19, 0x210
	v_lshl_add_u32 v19, v18, 2, v19
	ds_read_b32 v19, v19 offset:320
	s_waitcnt lgkmcnt(0)
	v_add_f32_e32 v10, v10, v19
	s_or_b64 exec, exec, s[0:1]
	s_and_saveexec_b64 s[0:1], vcc
	s_cbranch_execz .LBB51_102
.LBB51_122:
	v_mov_b32_e32 v19, 0x210
	v_lshl_add_u32 v19, v18, 2, v19
	ds_read_b32 v19, v19 offset:352
	s_waitcnt lgkmcnt(0)
	v_add_f32_e32 v11, v11, v19
	s_or_b64 exec, exec, s[0:1]
	s_and_saveexec_b64 s[0:1], vcc
	s_cbranch_execz .LBB51_103
.LBB51_123:
	v_mov_b32_e32 v19, 0x210
	v_lshl_add_u32 v19, v18, 2, v19
	ds_read_b32 v19, v19 offset:384
	s_waitcnt lgkmcnt(0)
	v_add_f32_e32 v8, v8, v19
	s_or_b64 exec, exec, s[0:1]
	s_and_saveexec_b64 s[0:1], vcc
	s_cbranch_execz .LBB51_104
.LBB51_124:
	v_mov_b32_e32 v19, 0x210
	v_lshl_add_u32 v19, v18, 2, v19
	ds_read_b32 v19, v19 offset:416
	s_waitcnt lgkmcnt(0)
	v_add_f32_e32 v9, v9, v19
	s_or_b64 exec, exec, s[0:1]
	s_and_saveexec_b64 s[0:1], vcc
	s_cbranch_execz .LBB51_105
.LBB51_125:
	v_mov_b32_e32 v19, 0x210
	v_lshl_add_u32 v19, v18, 2, v19
	ds_read_b32 v19, v19 offset:448
	s_waitcnt lgkmcnt(0)
	v_add_f32_e32 v16, v16, v19
	s_or_b64 exec, exec, s[0:1]
	s_and_saveexec_b64 s[0:1], vcc
	s_cbranch_execnz .LBB51_106
	s_branch .LBB51_107
	.section	.rodata,"a",@progbits
	.p2align	6, 0x0
	.amdhsa_kernel _ZN4vllm25paged_attention_v2_kernelIffLi128ELi32ELi128ELNS_18Fp8KVCacheDataTypeE0ELb1ELi512EEEvPfS2_PT_PKS3_PKT0_S9_ifPKiSB_iPKfiiiSD_SD_iiiii
		.amdhsa_group_segment_fixed_size 528
		.amdhsa_private_segment_fixed_size 0
		.amdhsa_kernarg_size 400
		.amdhsa_user_sgpr_count 6
		.amdhsa_user_sgpr_private_segment_buffer 1
		.amdhsa_user_sgpr_dispatch_ptr 0
		.amdhsa_user_sgpr_queue_ptr 0
		.amdhsa_user_sgpr_kernarg_segment_ptr 1
		.amdhsa_user_sgpr_dispatch_id 0
		.amdhsa_user_sgpr_flat_scratch_init 0
		.amdhsa_user_sgpr_kernarg_preload_length 0
		.amdhsa_user_sgpr_kernarg_preload_offset 0
		.amdhsa_user_sgpr_private_segment_size 0
		.amdhsa_uses_dynamic_stack 0
		.amdhsa_system_sgpr_private_segment_wavefront_offset 0
		.amdhsa_system_sgpr_workgroup_id_x 1
		.amdhsa_system_sgpr_workgroup_id_y 1
		.amdhsa_system_sgpr_workgroup_id_z 1
		.amdhsa_system_sgpr_workgroup_info 0
		.amdhsa_system_vgpr_workitem_id 0
		.amdhsa_next_free_vgpr 114
		.amdhsa_next_free_sgpr 57
		.amdhsa_accum_offset 116
		.amdhsa_reserve_vcc 1
		.amdhsa_reserve_flat_scratch 0
		.amdhsa_float_round_mode_32 0
		.amdhsa_float_round_mode_16_64 0
		.amdhsa_float_denorm_mode_32 3
		.amdhsa_float_denorm_mode_16_64 3
		.amdhsa_dx10_clamp 1
		.amdhsa_ieee_mode 1
		.amdhsa_fp16_overflow 0
		.amdhsa_tg_split 0
		.amdhsa_exception_fp_ieee_invalid_op 0
		.amdhsa_exception_fp_denorm_src 0
		.amdhsa_exception_fp_ieee_div_zero 0
		.amdhsa_exception_fp_ieee_overflow 0
		.amdhsa_exception_fp_ieee_underflow 0
		.amdhsa_exception_fp_ieee_inexact 0
		.amdhsa_exception_int_div_zero 0
	.end_amdhsa_kernel
	.section	.text._ZN4vllm25paged_attention_v2_kernelIffLi128ELi32ELi128ELNS_18Fp8KVCacheDataTypeE0ELb1ELi512EEEvPfS2_PT_PKS3_PKT0_S9_ifPKiSB_iPKfiiiSD_SD_iiiii,"axG",@progbits,_ZN4vllm25paged_attention_v2_kernelIffLi128ELi32ELi128ELNS_18Fp8KVCacheDataTypeE0ELb1ELi512EEEvPfS2_PT_PKS3_PKT0_S9_ifPKiSB_iPKfiiiSD_SD_iiiii,comdat
.Lfunc_end51:
	.size	_ZN4vllm25paged_attention_v2_kernelIffLi128ELi32ELi128ELNS_18Fp8KVCacheDataTypeE0ELb1ELi512EEEvPfS2_PT_PKS3_PKT0_S9_ifPKiSB_iPKfiiiSD_SD_iiiii, .Lfunc_end51-_ZN4vllm25paged_attention_v2_kernelIffLi128ELi32ELi128ELNS_18Fp8KVCacheDataTypeE0ELb1ELi512EEEvPfS2_PT_PKS3_PKT0_S9_ifPKiSB_iPKfiiiSD_SD_iiiii
                                        ; -- End function
	.section	.AMDGPU.csdata,"",@progbits
; Kernel info:
; codeLenInByte = 8480
; NumSgprs: 61
; NumVgprs: 114
; NumAgprs: 0
; TotalNumVgprs: 114
; ScratchSize: 0
; MemoryBound: 0
; FloatMode: 240
; IeeeMode: 1
; LDSByteSize: 528 bytes/workgroup (compile time only)
; SGPRBlocks: 7
; VGPRBlocks: 14
; NumSGPRsForWavesPerEU: 61
; NumVGPRsForWavesPerEU: 114
; AccumOffset: 116
; Occupancy: 4
; WaveLimiterHint : 1
; COMPUTE_PGM_RSRC2:SCRATCH_EN: 0
; COMPUTE_PGM_RSRC2:USER_SGPR: 6
; COMPUTE_PGM_RSRC2:TRAP_HANDLER: 0
; COMPUTE_PGM_RSRC2:TGID_X_EN: 1
; COMPUTE_PGM_RSRC2:TGID_Y_EN: 1
; COMPUTE_PGM_RSRC2:TGID_Z_EN: 1
; COMPUTE_PGM_RSRC2:TIDIG_COMP_CNT: 0
; COMPUTE_PGM_RSRC3_GFX90A:ACCUM_OFFSET: 28
; COMPUTE_PGM_RSRC3_GFX90A:TG_SPLIT: 0
	.section	.text._ZN4vllm25paged_attention_v2_kernelIffLi192ELi32ELi128ELNS_18Fp8KVCacheDataTypeE0ELb1ELi512EEEvPfS2_PT_PKS3_PKT0_S9_ifPKiSB_iPKfiiiSD_SD_iiiii,"axG",@progbits,_ZN4vllm25paged_attention_v2_kernelIffLi192ELi32ELi128ELNS_18Fp8KVCacheDataTypeE0ELb1ELi512EEEvPfS2_PT_PKS3_PKT0_S9_ifPKiSB_iPKfiiiSD_SD_iiiii,comdat
	.protected	_ZN4vllm25paged_attention_v2_kernelIffLi192ELi32ELi128ELNS_18Fp8KVCacheDataTypeE0ELb1ELi512EEEvPfS2_PT_PKS3_PKT0_S9_ifPKiSB_iPKfiiiSD_SD_iiiii ; -- Begin function _ZN4vllm25paged_attention_v2_kernelIffLi192ELi32ELi128ELNS_18Fp8KVCacheDataTypeE0ELb1ELi512EEEvPfS2_PT_PKS3_PKT0_S9_ifPKiSB_iPKfiiiSD_SD_iiiii
	.globl	_ZN4vllm25paged_attention_v2_kernelIffLi192ELi32ELi128ELNS_18Fp8KVCacheDataTypeE0ELb1ELi512EEEvPfS2_PT_PKS3_PKT0_S9_ifPKiSB_iPKfiiiSD_SD_iiiii
	.p2align	8
	.type	_ZN4vllm25paged_attention_v2_kernelIffLi192ELi32ELi128ELNS_18Fp8KVCacheDataTypeE0ELb1ELi512EEEvPfS2_PT_PKS3_PKT0_S9_ifPKiSB_iPKfiiiSD_SD_iiiii,@function
_ZN4vllm25paged_attention_v2_kernelIffLi192ELi32ELi128ELNS_18Fp8KVCacheDataTypeE0ELb1ELi512EEEvPfS2_PT_PKS3_PKT0_S9_ifPKiSB_iPKfiiiSD_SD_iiiii: ; @_ZN4vllm25paged_attention_v2_kernelIffLi192ELi32ELi128ELNS_18Fp8KVCacheDataTypeE0ELb1ELi512EEEvPfS2_PT_PKS3_PKT0_S9_ifPKiSB_iPKfiiiSD_SD_iiiii
; %bb.0:
	s_mov_b64 s[62:63], s[2:3]
	s_mov_b64 s[60:61], s[0:1]
	s_load_dwordx2 s[0:1], s[4:5], 0x40
	s_add_u32 s60, s60, s9
	s_addc_u32 s61, s61, 0
	s_mov_b32 s28, s7
	s_ashr_i32 s29, s7, 31
	s_lshl_b64 s[2:3], s[28:29], 2
	s_waitcnt lgkmcnt(0)
	s_add_u32 s0, s0, s2
	s_addc_u32 s1, s1, s3
	s_load_dword s29, s[0:1], 0x0
	s_lshl_b32 s48, s8, 9
	s_waitcnt lgkmcnt(0)
	s_cmp_ge_i32 s48, s29
	s_cbranch_scc1 .LBB52_134
; %bb.1:
	s_load_dword s9, s[4:5], 0x90
	s_load_dwordx2 s[38:39], s[4:5], 0x30
	v_mov_b32_e32 v111, v0
	s_mov_b32 s49, 0
	s_waitcnt lgkmcnt(0)
	s_abs_i32 s2, s9
	s_abs_i32 s0, s38
	v_cvt_f32_u32_e32 v0, s0
	s_sub_i32 s3, 0, s0
	s_xor_b32 s1, s9, s38
	s_ashr_i32 s1, s1, 31
	v_rcp_iflag_f32_e32 v0, v0
	v_mul_f32_e32 v0, 0x4f7ffffe, v0
	v_cvt_u32_f32_e32 v0, v0
	v_readfirstlane_b32 s7, v0
	s_mul_i32 s3, s3, s7
	s_mul_hi_u32 s3, s7, s3
	s_add_i32 s7, s7, s3
	s_mul_hi_u32 s3, s2, s7
	s_mul_i32 s7, s3, s0
	s_sub_i32 s2, s2, s7
	s_add_i32 s10, s3, 1
	s_sub_i32 s7, s2, s0
	s_cmp_ge_u32 s2, s0
	s_cselect_b32 s3, s10, s3
	s_cselect_b32 s2, s7, s2
	s_add_i32 s7, s3, 1
	s_cmp_ge_u32 s2, s0
	s_cselect_b32 s0, s7, s3
	s_xor_b32 s0, s0, s1
	s_sub_i32 s11, s0, s1
	s_abs_i32 s2, s11
	v_cvt_f32_u32_e32 v0, s2
	s_load_dwordx2 s[0:1], s[4:5], 0x50
	s_sub_i32 s7, 0, s2
	s_abs_i32 s3, s6
	v_rcp_iflag_f32_e32 v0, v0
	v_mul_f32_e32 v0, 0x4f7ffffe, v0
	v_cvt_u32_f32_e32 v0, v0
	v_readfirstlane_b32 s10, v0
	s_mul_i32 s7, s7, s10
	s_mul_hi_u32 s7, s10, s7
	s_add_i32 s10, s10, s7
	s_waitcnt lgkmcnt(0)
	s_cmp_eq_u64 s[0:1], 0
	s_mul_hi_u32 s10, s3, s10
	s_cbranch_scc1 .LBB52_3
; %bb.2:
	s_ashr_i32 s7, s6, 31
	s_lshl_b64 s[12:13], s[6:7], 2
	s_add_u32 s0, s0, s12
	s_addc_u32 s1, s1, s13
	s_load_dword s49, s[0:1], 0x0
.LBB52_3:
	s_load_dwordx4 s[12:15], s[4:5], 0x58
	s_movk_i32 s0, 0x60
	s_ashr_i32 s7, s6, 31
	s_ashr_i32 s11, s11, 31
	v_and_b32_e32 v0, 1, v111
	s_mul_i32 s24, s6, 0xc0
	v_cmp_gt_u32_e32 vcc, s0, v111
	v_lshlrev_b32_e32 v1, 3, v111
	v_lshlrev_b32_e32 v48, 2, v111
	s_and_saveexec_b64 s[0:1], vcc
	s_cbranch_execz .LBB52_5
; %bb.4:
	s_load_dwordx2 s[16:17], s[4:5], 0x18
	s_waitcnt lgkmcnt(0)
	s_mul_i32 s18, s28, s12
	s_ashr_i32 s19, s18, 31
	s_lshl_b64 s[18:19], s[18:19], 2
	v_and_b32_e32 v4, 0xff8, v48
	s_add_u32 s12, s16, s18
	s_addc_u32 s15, s17, s19
	s_ashr_i32 s25, s24, 31
	s_lshl_b64 s[16:17], s[24:25], 2
	s_add_u32 s16, s12, s16
	s_addc_u32 s17, s15, s17
	global_load_dwordx2 v[2:3], v1, s[16:17]
	s_movk_i32 s12, 0x180
	v_mad_u32_u24 v4, v0, s12, v4
	s_waitcnt vmcnt(0)
	ds_write_b64 v4, v[2:3]
.LBB52_5:
	s_or_b64 exec, exec, s[0:1]
	s_mul_i32 s1, s10, s2
	s_sub_i32 s1, s3, s1
	s_xor_b32 s0, s7, s11
	s_add_i32 s3, s10, 1
	s_sub_i32 s7, s1, s2
	s_load_dwordx4 s[16:19], s[4:5], 0x78
	s_cmp_ge_u32 s1, s2
	s_cselect_b32 s3, s3, s10
	s_load_dword s10, s[4:5], 0x88
	s_cselect_b32 s1, s7, s1
	s_add_i32 s7, s3, 1
	s_cmp_ge_u32 s1, s2
	s_cselect_b32 s1, s7, s3
	s_waitcnt lgkmcnt(0)
	s_abs_i32 s25, s19
	v_cvt_f32_u32_e32 v2, s25
	s_xor_b32 s1, s1, s0
	s_sub_i32 s2, s1, s0
	s_sub_i32 s0, 0, s25
	v_rcp_iflag_f32_e32 v2, v2
	s_add_i32 s11, s29, -1
	s_abs_i32 s3, s11
	v_mul_f32_e32 v2, 0x4f7ffffe, v2
	v_cvt_u32_f32_e32 v2, v2
	s_barrier
	v_readfirstlane_b32 s33, v2
	s_mul_i32 s0, s0, s33
	s_mul_hi_u32 s0, s33, s0
	s_add_i32 s33, s33, s0
	s_cmp_lt_i32 s10, 0
	s_mul_hi_u32 s7, s3, s33
	s_cbranch_scc0 .LBB52_7
; %bb.6:
	s_mul_i32 s0, s16, s38
	s_add_i32 s0, s2, s0
	s_mul_i32 s0, s0, s10
	s_sub_i32 s46, 1, s0
	s_mov_b64 s[0:1], 0
	s_branch .LBB52_8
.LBB52_7:
	s_mov_b64 s[0:1], -1
                                        ; implicit-def: $sgpr46
.LBB52_8:
	s_load_dwordx2 s[30:31], s[4:5], 0x38
	s_ashr_i32 s11, s11, 31
	s_andn2_b64 vcc, exec, s[0:1]
	s_ashr_i32 s19, s19, 31
	s_cbranch_vccnz .LBB52_10
; %bb.9:
	s_mul_i32 s0, s9, s16
	s_add_i32 s0, s0, s6
	s_mul_i32 s0, s0, s10
	s_add_i32 s46, s0, 1
.LBB52_10:
	s_load_dword s0, s[4:5], 0x48
	s_load_dwordx2 s[36:37], s[4:5], 0x28
	s_load_dword s16, s[4:5], 0x98
	s_load_dwordx4 s[20:23], s[4:5], 0x0
	s_load_dwordx2 s[26:27], s[4:5], 0x10
	s_mul_i32 s1, s7, s25
	s_waitcnt lgkmcnt(0)
	s_mul_i32 s34, s28, s0
	s_sub_i32 s1, s3, s1
	s_ashr_i32 s35, s34, 31
	s_xor_b32 s0, s11, s19
	s_add_i32 s3, s7, 1
	s_sub_i32 s10, s1, s25
	s_cmp_ge_u32 s1, s25
	s_cselect_b32 s3, s3, s7
	s_cselect_b32 s1, s10, s1
	s_add_i32 s7, s3, 1
	s_cmp_ge_u32 s1, s25
	s_cselect_b32 s1, s7, s3
	s_xor_b32 s1, s1, s0
	s_sub_i32 s12, s1, s0
	s_add_i32 s0, s29, 31
	s_ashr_i32 s1, s0, 31
	s_lshr_b32 s1, s1, 27
	s_add_i32 s0, s0, s1
	s_lshl_b32 s38, s8, 4
	s_ashr_i32 s7, s0, 5
	s_add_i32 s0, s38, 16
	v_lshrrev_b32_e32 v49, 6, v111
	s_min_i32 s47, s0, s7
	v_or_b32_e32 v102, s38, v49
	v_cmp_gt_i32_e64 s[0:1], s47, v102
	v_mov_b32_e32 v56, 0xff7fffff
	s_mul_i32 s14, s2, s14
	v_ashrrev_i32_e32 v103, 31, v102
	v_lshl_add_u32 v108, v49, 5, s48
	v_mbcnt_lo_u32_b32 v50, -1, 0
	s_and_saveexec_b64 s[40:41], s[0:1]
	s_cbranch_execz .LBB52_20
; %bb.11:
	s_load_dwordx2 s[2:3], s[4:5], 0x20
	s_ashr_i32 s15, s14, 31
	s_sub_i32 s50, s12, s17
	s_lshl_b64 s[4:5], s[14:15], 2
	v_bfe_u32 v51, v111, 1, 5
	s_waitcnt lgkmcnt(0)
	s_add_u32 s2, s2, s4
	s_addc_u32 s3, s3, s5
	s_abs_i32 s15, s18
	v_cvt_f32_u32_e32 v5, s15
	v_lshlrev_b32_e32 v3, 4, v51
	v_mov_b32_e32 v4, s3
	v_add_co_u32_e64 v3, s[2:3], s2, v3
	v_rcp_iflag_f32_e32 v5, v5
	v_addc_co_u32_e64 v4, s[2:3], 0, v4, s[2:3]
	v_and_b32_e32 v1, 8, v1
	v_add_co_u32_e64 v52, s[2:3], v3, v1
	v_mul_f32_e32 v1, 0x4f7ffffe, v5
	v_cvt_u32_f32_e32 v1, v1
	s_sub_i32 s4, 0, s15
	v_cmp_eq_u32_e32 vcc, 0, v0
	v_lshlrev_b32_e32 v2, 2, v51
	v_mul_u32_u24_e32 v54, 0x180, v0
	v_mul_lo_u32 v0, s4, v1
	s_lshl_b64 s[4:5], s[34:35], 2
	v_mul_hi_u32 v0, v1, v0
	s_add_u32 s4, s30, s4
	v_lshl_or_b32 v2, v49, 7, v2
	v_add_u32_e32 v55, v1, v0
	v_lshlrev_b64 v[0:1], 2, v[102:103]
	s_addc_u32 s5, s31, s5
	v_add_u32_e32 v58, 0x310, v2
	v_subrev_u32_e32 v2, s29, v51
	v_mbcnt_hi_u32_b32 v61, -1, v50
	v_addc_co_u32_e64 v53, s[2:3], 0, v4, s[2:3]
	v_mov_b32_e32 v3, s5
	v_add_co_u32_e64 v0, s[4:5], s4, v0
	v_add_u32_e32 v59, 1, v2
	v_and_b32_e32 v2, 64, v61
	s_mov_b32 s51, s13
	v_cmp_neq_f32_e64 s[2:3], s49, 0
	v_addc_co_u32_e64 v1, s[4:5], v3, v1, s[4:5]
	v_lshl_add_u32 v57, v49, 5, s48
	s_mov_b64 s[42:43], 0
	v_mov_b32_e32 v60, 0xff7fffff
	s_movk_i32 s52, 0x1000
	s_movk_i32 s53, 0x2000
	;; [unrolled: 1-line block ×5, first 2 shown]
	v_xor_b32_e32 v62, 1, v61
	v_add_u32_e32 v63, 64, v2
	v_mov_b32_e32 v56, 0xff7fffff
	v_mov_b32_e32 v64, v102
	s_branch .LBB52_14
.LBB52_12:                              ;   in Loop: Header=BB52_14 Depth=1
	s_or_b64 exec, exec, s[44:45]
.LBB52_13:                              ;   in Loop: Header=BB52_14 Depth=1
	s_or_b64 exec, exec, s[10:11]
	v_add_co_u32_e64 v0, s[4:5], 8, v0
	v_add_u32_e32 v64, 2, v64
	v_addc_co_u32_e64 v1, s[4:5], 0, v1, s[4:5]
	v_cmp_le_i32_e64 s[4:5], s47, v64
	v_add_u32_e32 v57, 64, v57
	s_or_b64 s[42:43], s[4:5], s[42:43]
	v_add_u32_e32 v58, 0x100, v58
	s_andn2_b64 exec, exec, s[42:43]
	s_cbranch_execz .LBB52_19
.LBB52_14:                              ; =>This Inner Loop Header: Depth=1
	s_waitcnt lgkmcnt(0)
	v_sub_u32_e32 v3, 0, v57
	v_max_i32_e32 v3, v57, v3
	v_mul_hi_u32 v4, v3, s33
	v_mul_lo_u32 v5, v4, s25
	v_sub_u32_e32 v3, v3, v5
	v_add_u32_e32 v5, 1, v4
	v_cmp_le_u32_e64 s[4:5], s25, v3
	v_cndmask_b32_e64 v4, v4, v5, s[4:5]
	v_subrev_u32_e32 v5, s25, v3
	v_cndmask_b32_e64 v3, v3, v5, s[4:5]
	v_ashrrev_i32_e32 v2, 31, v57
	v_add_u32_e32 v5, 1, v4
	v_cmp_le_u32_e64 s[4:5], s25, v3
	v_xor_b32_e32 v2, s19, v2
	v_cndmask_b32_e64 v3, v4, v5, s[4:5]
	v_xor_b32_e32 v3, v3, v2
	v_sub_u32_e32 v2, v3, v2
	v_add_u32_e32 v3, s46, v2
	v_sub_u32_e32 v5, 0, v3
	v_ashrrev_i32_e32 v4, 31, v3
	v_max_i32_e32 v3, v3, v5
	v_mul_hi_u32 v5, v3, v55
	v_mul_lo_u32 v5, v5, s15
	v_sub_u32_e32 v3, v3, v5
	v_subrev_u32_e32 v5, s15, v3
	v_cmp_le_u32_e64 s[4:5], s15, v3
	v_cndmask_b32_e64 v3, v3, v5, s[4:5]
	v_subrev_u32_e32 v5, s15, v3
	v_cmp_le_u32_e64 s[4:5], s15, v3
	v_cndmask_b32_e64 v3, v3, v5, s[4:5]
	v_xor_b32_e32 v3, v3, v4
	v_sub_u32_e32 v3, v3, v4
	v_cmp_ne_u32_e64 s[4:5], 0, v3
	v_cmp_ge_i32_e64 s[10:11], s50, v2
	s_and_b64 s[4:5], s[4:5], s[10:11]
	s_and_b64 s[44:45], vcc, s[4:5]
	s_and_saveexec_b64 s[10:11], s[44:45]
	s_cbranch_execz .LBB52_16
; %bb.15:                               ;   in Loop: Header=BB52_14 Depth=1
	ds_write_b32 v58, v60
.LBB52_16:                              ;   in Loop: Header=BB52_14 Depth=1
	s_or_b64 exec, exec, s[10:11]
	s_xor_b64 s[4:5], s[4:5], -1
	s_and_saveexec_b64 s[10:11], s[4:5]
	s_cbranch_execz .LBB52_13
; %bb.17:                               ;   in Loop: Header=BB52_14 Depth=1
	global_load_dword v2, v[0:1], off
	s_waitcnt vmcnt(0)
	v_mad_i64_i32 v[2:3], s[4:5], v2, s51, 0
	v_lshlrev_b64 v[2:3], 2, v[2:3]
	v_add_co_u32_e64 v2, s[4:5], v52, v2
	v_addc_co_u32_e64 v3, s[4:5], v53, v3, s[4:5]
	global_load_dwordx2 v[8:9], v[2:3], off offset:512
	global_load_dwordx2 v[24:25], v[2:3], off
	global_load_dwordx2 v[28:29], v[2:3], off offset:1024
	global_load_dwordx2 v[34:35], v[2:3], off offset:1536
	;; [unrolled: 1-line block ×6, first 2 shown]
	v_add_co_u32_e64 v72, s[4:5], s53, v2
	v_addc_co_u32_e64 v73, s[4:5], 0, v3, s[4:5]
	global_load_dwordx2 v[74:75], v[72:73], off offset:-4096
	v_add_co_u32_e64 v38, s[4:5], s52, v2
	v_addc_co_u32_e64 v39, s[4:5], 0, v3, s[4:5]
	global_load_dwordx2 v[76:77], v[38:39], off offset:512
	global_load_dwordx2 v[78:79], v[38:39], off offset:1024
	;; [unrolled: 1-line block ×3, first 2 shown]
	ds_read_b128 v[4:7], v54
	ds_read_b128 v[16:19], v54 offset:16
	global_load_dwordx2 v[14:15], v[38:39], off offset:2048
	ds_read_b128 v[20:23], v54 offset:32
	ds_read_b128 v[30:33], v54 offset:48
	global_load_dwordx2 v[26:27], v[38:39], off offset:2560
	v_add_co_u32_e64 v80, s[4:5], s54, v2
	v_addc_co_u32_e64 v81, s[4:5], 0, v3, s[4:5]
	s_waitcnt vmcnt(13) lgkmcnt(3)
	v_mul_f32_e32 v65, v6, v8
	v_mul_f32_e32 v66, v7, v9
	global_load_dwordx2 v[10:11], v[38:39], off offset:3072
	global_load_dwordx2 v[8:9], v[38:39], off offset:3584
	s_waitcnt vmcnt(14)
	v_fmac_f32_e32 v65, v4, v24
	v_fmac_f32_e32 v66, v5, v25
	global_load_dwordx2 v[6:7], v[72:73], off
	s_waitcnt vmcnt(14) lgkmcnt(2)
	v_fmac_f32_e32 v65, v16, v28
	v_fmac_f32_e32 v66, v17, v29
	s_waitcnt vmcnt(13)
	v_fmac_f32_e32 v65, v18, v34
	v_fmac_f32_e32 v66, v19, v35
	ds_read_b128 v[38:41], v54 offset:64
	ds_read_b128 v[68:71], v54 offset:80
	global_load_dwordx2 v[34:35], v[72:73], off offset:512
	s_waitcnt vmcnt(13) lgkmcnt(3)
	v_fmac_f32_e32 v65, v20, v36
	v_fmac_f32_e32 v66, v21, v37
	global_load_dwordx2 v[36:37], v[72:73], off offset:1024
	global_load_dwordx2 v[28:29], v[72:73], off offset:1536
	s_waitcnt vmcnt(14)
	v_fmac_f32_e32 v65, v22, v42
	v_fmac_f32_e32 v66, v23, v43
	global_load_dwordx2 v[42:43], v[72:73], off offset:2048
	s_waitcnt vmcnt(14) lgkmcnt(2)
	v_fmac_f32_e32 v65, v30, v44
	v_fmac_f32_e32 v66, v31, v45
	global_load_dwordx2 v[44:45], v[72:73], off offset:2560
	global_load_dwordx2 v[16:17], v[72:73], off offset:3072
	v_add_co_u32_e64 v22, s[4:5], s55, v2
	v_addc_co_u32_e64 v23, s[4:5], 0, v3, s[4:5]
	global_load_dwordx2 v[18:19], v[72:73], off offset:3584
	v_add_co_u32_e64 v4, s[4:5], s56, v2
	v_addc_co_u32_e64 v5, s[4:5], 0, v3, s[4:5]
	global_load_dwordx2 v[20:21], v[22:23], off offset:-4096
	global_load_dwordx2 v[2:3], v[4:5], off offset:3584
	global_load_dwordx2 v[24:25], v[80:81], off offset:512
	s_waitcnt vmcnt(19)
	v_fmac_f32_e32 v65, v32, v46
	v_fmac_f32_e32 v66, v33, v47
	s_waitcnt vmcnt(18) lgkmcnt(1)
	v_fmac_f32_e32 v65, v38, v74
	v_fmac_f32_e32 v66, v39, v75
	ds_read_b128 v[30:33], v54 offset:96
	ds_read_b128 v[72:75], v54 offset:112
	s_waitcnt vmcnt(17)
	v_fmac_f32_e32 v65, v40, v76
	v_fmac_f32_e32 v66, v41, v77
	s_waitcnt vmcnt(16) lgkmcnt(2)
	v_fmac_f32_e32 v65, v68, v78
	v_fmac_f32_e32 v66, v69, v79
	global_load_dwordx2 v[76:77], v[80:81], off offset:1024
	global_load_dwordx2 v[46:47], v[80:81], off offset:1536
	s_waitcnt vmcnt(17)
	v_fmac_f32_e32 v65, v70, v12
	v_fmac_f32_e32 v66, v71, v13
	s_waitcnt vmcnt(16) lgkmcnt(1)
	v_fmac_f32_e32 v65, v30, v14
	v_fmac_f32_e32 v66, v31, v15
	ds_read_b128 v[12:15], v54 offset:128
	ds_read_b128 v[68:71], v54 offset:144
	s_waitcnt vmcnt(15)
	v_fmac_f32_e32 v65, v32, v26
	v_fmac_f32_e32 v66, v33, v27
	global_load_dwordx2 v[40:41], v[80:81], off offset:2048
	global_load_dwordx2 v[38:39], v[80:81], off offset:2560
	;; [unrolled: 1-line block ×4, first 2 shown]
	v_cmp_lt_i32_e64 s[4:5], v62, v63
	s_waitcnt vmcnt(18) lgkmcnt(2)
	v_fmac_f32_e32 v65, v72, v10
	v_fmac_f32_e32 v66, v73, v11
	s_waitcnt vmcnt(17)
	v_fmac_f32_e32 v65, v74, v8
	v_fmac_f32_e32 v66, v75, v9
	s_waitcnt vmcnt(16) lgkmcnt(1)
	v_fmac_f32_e32 v65, v12, v6
	v_fmac_f32_e32 v66, v13, v7
	ds_read_b128 v[6:9], v54 offset:160
	ds_read_b128 v[72:75], v54 offset:176
	s_waitcnt vmcnt(15)
	v_fmac_f32_e32 v65, v14, v34
	v_fmac_f32_e32 v66, v15, v35
	global_load_dwordx2 v[34:35], v[22:23], off
	s_waitcnt vmcnt(15) lgkmcnt(2)
	v_fmac_f32_e32 v65, v68, v36
	v_fmac_f32_e32 v66, v69, v37
	global_load_dwordx2 v[36:37], v[22:23], off offset:512
	s_waitcnt vmcnt(15)
	v_fmac_f32_e32 v65, v70, v28
	v_fmac_f32_e32 v66, v71, v29
	global_load_dwordx2 v[28:29], v[22:23], off offset:1024
	global_load_dwordx2 v[26:27], v[22:23], off offset:1536
	s_waitcnt vmcnt(16) lgkmcnt(1)
	v_fmac_f32_e32 v65, v6, v42
	v_fmac_f32_e32 v66, v7, v43
	s_waitcnt vmcnt(15)
	v_fmac_f32_e32 v65, v8, v44
	v_fmac_f32_e32 v66, v9, v45
	ds_read_b128 v[42:45], v54 offset:192
	ds_read_b128 v[68:71], v54 offset:208
	global_load_dwordx2 v[12:13], v[22:23], off offset:2048
	global_load_dwordx2 v[14:15], v[22:23], off offset:2560
	s_waitcnt vmcnt(16) lgkmcnt(2)
	v_fmac_f32_e32 v65, v72, v16
	v_fmac_f32_e32 v66, v73, v17
	global_load_dwordx2 v[16:17], v[22:23], off offset:3072
	global_load_dwordx2 v[6:7], v[22:23], off offset:3584
	s_waitcnt vmcnt(17)
	v_fmac_f32_e32 v65, v74, v18
	v_fmac_f32_e32 v66, v75, v19
	global_load_dwordx2 v[18:19], v[4:5], off
	global_load_dwordx2 v[8:9], v[4:5], off offset:512
	s_waitcnt vmcnt(18) lgkmcnt(1)
	v_fmac_f32_e32 v65, v42, v20
	v_fmac_f32_e32 v66, v43, v21
	global_load_dwordx2 v[20:21], v[4:5], off offset:1024
	global_load_dwordx2 v[22:23], v[4:5], off offset:1536
	s_waitcnt vmcnt(18)
	v_fmac_f32_e32 v65, v24, v44
	v_fmac_f32_e32 v66, v25, v45
	global_load_dwordx2 v[24:25], v[4:5], off offset:2048
	global_load_dwordx2 v[10:11], v[4:5], off offset:2560
	s_nop 0
	global_load_dwordx2 v[4:5], v[4:5], off offset:3072
	ds_read_b128 v[42:45], v54 offset:224
	s_waitcnt vmcnt(20) lgkmcnt(1)
	v_fmac_f32_e32 v65, v76, v68
	v_fmac_f32_e32 v66, v77, v69
	s_waitcnt vmcnt(19)
	v_fmac_f32_e32 v65, v46, v70
	v_fmac_f32_e32 v66, v47, v71
	ds_read_b128 v[68:71], v54 offset:240
	v_cndmask_b32_e64 v46, v61, v62, s[4:5]
	v_lshlrev_b32_e32 v46, 2, v46
	s_waitcnt vmcnt(18) lgkmcnt(1)
	v_fmac_f32_e32 v65, v40, v42
	v_fmac_f32_e32 v66, v41, v43
	s_waitcnt vmcnt(17)
	v_fmac_f32_e32 v65, v38, v44
	v_fmac_f32_e32 v66, v39, v45
	ds_read_b128 v[38:41], v54 offset:256
	ds_read_b128 v[42:45], v54 offset:272
	s_waitcnt vmcnt(16) lgkmcnt(2)
	v_fmac_f32_e32 v65, v32, v68
	v_fmac_f32_e32 v66, v33, v69
	s_waitcnt vmcnt(15)
	v_fmac_f32_e32 v65, v30, v70
	v_fmac_f32_e32 v66, v31, v71
	ds_read_b128 v[30:33], v54 offset:288
	ds_read_b128 v[68:71], v54 offset:304
	s_waitcnt vmcnt(14) lgkmcnt(3)
	v_fmac_f32_e32 v65, v34, v38
	v_fmac_f32_e32 v66, v35, v39
	s_waitcnt vmcnt(13)
	v_fmac_f32_e32 v65, v36, v40
	v_fmac_f32_e32 v66, v37, v41
	s_waitcnt vmcnt(12) lgkmcnt(2)
	v_fmac_f32_e32 v65, v28, v42
	v_fmac_f32_e32 v66, v29, v43
	s_waitcnt vmcnt(11)
	v_fmac_f32_e32 v65, v26, v44
	v_fmac_f32_e32 v66, v27, v45
	ds_read_b128 v[34:37], v54 offset:320
	ds_read_b128 v[38:41], v54 offset:336
	;; [unrolled: 1-line block ×4, first 2 shown]
	s_waitcnt vmcnt(10) lgkmcnt(5)
	v_fmac_f32_e32 v65, v12, v30
	v_fmac_f32_e32 v66, v13, v31
	s_waitcnt vmcnt(9)
	v_fmac_f32_e32 v65, v14, v32
	v_fmac_f32_e32 v66, v15, v33
	s_waitcnt vmcnt(8) lgkmcnt(4)
	v_fmac_f32_e32 v65, v16, v68
	v_fmac_f32_e32 v66, v17, v69
	s_waitcnt vmcnt(7)
	v_fmac_f32_e32 v65, v6, v70
	v_fmac_f32_e32 v66, v7, v71
	;; [unrolled: 6-line block ×5, first 2 shown]
	s_waitcnt vmcnt(0) lgkmcnt(0)
	v_fmac_f32_e32 v65, v4, v42
	v_fmac_f32_e32 v66, v5, v43
	;; [unrolled: 1-line block ×4, first 2 shown]
	v_add_f32_e32 v2, v65, v66
	ds_bpermute_b32 v3, v46, v2
	s_and_saveexec_b64 s[44:45], vcc
	s_cbranch_execz .LBB52_12
; %bb.18:                               ;   in Loop: Header=BB52_14 Depth=1
	v_add_u32_e32 v4, v59, v57
	v_cvt_f32_i32_e32 v4, v4
	s_waitcnt lgkmcnt(0)
	v_add_f32_e32 v2, v2, v3
	v_add_u32_e32 v5, v51, v57
	v_cmp_gt_i32_e64 s[4:5], s29, v5
	v_mul_f32_e32 v3, s49, v4
	v_cndmask_b32_e64 v3, 0, v3, s[2:3]
	v_fmac_f32_e32 v3, s39, v2
	v_cndmask_b32_e64 v2, 0, v3, s[4:5]
	ds_write_b32 v58, v2
	v_max_f32_e32 v2, v56, v56
	v_max_f32_e32 v2, v2, v3
	v_cndmask_b32_e64 v56, v56, v2, s[4:5]
	s_branch .LBB52_12
.LBB52_19:
	s_or_b64 exec, exec, s[42:43]
.LBB52_20:
	s_or_b64 exec, exec, s[40:41]
	v_mbcnt_hi_u32_b32 v2, -1, v50
	v_and_b32_e32 v0, 64, v2
	v_add_u32_e32 v6, 64, v0
	v_xor_b32_e32 v0, 32, v2
	v_cmp_lt_i32_e32 vcc, v0, v6
	v_cndmask_b32_e32 v0, v2, v0, vcc
	v_lshlrev_b32_e32 v0, 2, v0
	ds_bpermute_b32 v1, v0, v56
	v_xor_b32_e32 v4, 16, v2
	s_waitcnt lgkmcnt(1)
	v_max_f32_e32 v3, v56, v56
	v_cmp_lt_i32_e32 vcc, v4, v6
	v_xor_b32_e32 v5, 8, v2
	s_waitcnt lgkmcnt(0)
	v_max_f32_e32 v1, v1, v1
	v_max_f32_e32 v3, v3, v1
	v_cndmask_b32_e32 v1, v2, v4, vcc
	v_lshlrev_b32_e32 v1, 2, v1
	ds_bpermute_b32 v4, v1, v3
	v_cmp_lt_i32_e32 vcc, v5, v6
	v_xor_b32_e32 v7, 4, v2
	v_and_b32_e32 v36, 63, v111
	s_waitcnt lgkmcnt(0)
	v_max_f32_e32 v4, v4, v4
	v_max_f32_e32 v4, v3, v4
	v_cndmask_b32_e32 v3, v2, v5, vcc
	v_lshlrev_b32_e32 v3, 2, v3
	ds_bpermute_b32 v5, v3, v4
	v_cmp_lt_i32_e32 vcc, v7, v6
	s_waitcnt lgkmcnt(0)
	v_max_f32_e32 v5, v5, v5
	v_max_f32_e32 v4, v4, v5
	v_cndmask_b32_e32 v5, v2, v7, vcc
	v_lshlrev_b32_e32 v31, 2, v5
	ds_bpermute_b32 v5, v31, v4
	v_xor_b32_e32 v7, 2, v2
	v_cmp_lt_i32_e32 vcc, v7, v6
	s_waitcnt lgkmcnt(0)
	v_max_f32_e32 v5, v5, v5
	v_max_f32_e32 v5, v4, v5
	v_cndmask_b32_e32 v4, v2, v7, vcc
	v_lshlrev_b32_e32 v35, 2, v4
	ds_bpermute_b32 v7, v35, v5
	v_cmp_eq_u32_e32 vcc, 0, v36
	v_lshlrev_b32_e32 v4, 2, v49
	s_and_saveexec_b64 s[2:3], vcc
	s_cbranch_execz .LBB52_22
; %bb.21:
	s_waitcnt lgkmcnt(0)
	v_max_f32_e32 v7, v7, v7
	v_max_f32_e32 v5, v5, v5
	;; [unrolled: 1-line block ×3, first 2 shown]
	ds_write_b32 v4, v5 offset:768
.LBB52_22:
	s_or_b64 exec, exec, s[2:3]
	v_cmp_gt_u32_e64 s[2:3], 2, v36
	s_waitcnt lgkmcnt(0)
	v_mov_b32_e32 v7, 0xff7fffff
	v_lshlrev_b32_e32 v5, 2, v36
	s_barrier
	s_and_saveexec_b64 s[4:5], s[2:3]
	s_cbranch_execz .LBB52_24
; %bb.23:
	ds_read_b32 v7, v5 offset:768
.LBB52_24:
	s_or_b64 exec, exec, s[4:5]
	v_xor_b32_e32 v8, 1, v2
	v_cmp_lt_i32_e64 s[4:5], v8, v6
	v_cndmask_b32_e64 v6, v2, v8, s[4:5]
	v_lshlrev_b32_e32 v37, 2, v6
	s_waitcnt lgkmcnt(0)
	ds_bpermute_b32 v6, v37, v7
	v_max_f32_e32 v7, v7, v7
	v_lshlrev_b32_e32 v2, 2, v2
	s_sub_i32 s4, s47, s38
	s_lshl_b32 s4, s4, 5
	s_waitcnt lgkmcnt(0)
	v_max_f32_e32 v6, v6, v6
	v_max_f32_e32 v7, v7, v6
	v_and_b32_e32 v6, 0x100, v2
	ds_bpermute_b32 v2, v6, v7
	s_add_i32 s4, s4, s48
	s_min_i32 s42, s4, s29
	s_sub_i32 s15, s42, s48
	v_cmp_gt_i32_e64 s[4:5], s15, v111
	v_mov_b32_e32 v7, 0
	s_and_saveexec_b64 s[38:39], s[4:5]
	s_cbranch_execz .LBB52_28
; %bb.25:
	v_mov_b32_e32 v7, 0x310
	v_lshl_add_u32 v8, v111, 2, v7
	s_mov_b64 s[40:41], 0
	v_mov_b32_e32 v7, 0
	v_mov_b32_e32 v9, v111
.LBB52_26:                              ; =>This Inner Loop Header: Depth=1
	ds_read_b32 v10, v8
	v_add_u32_e32 v9, 0x80, v9
	v_cmp_le_i32_e64 s[10:11], s15, v9
	s_or_b64 s[40:41], s[10:11], s[40:41]
	s_waitcnt lgkmcnt(0)
	v_sub_f32_e32 v10, v10, v2
	v_mul_f32_e32 v10, 0x3fb8aa3b, v10
	v_exp_f32_e32 v10, v10
	ds_write_b32 v8, v10
	v_add_f32_e32 v7, v7, v10
	v_add_u32_e32 v8, 0x200, v8
	s_andn2_b64 exec, exec, s[40:41]
	s_cbranch_execnz .LBB52_26
; %bb.27:
	s_or_b64 exec, exec, s[40:41]
.LBB52_28:
	s_or_b64 exec, exec, s[38:39]
	ds_bpermute_b32 v0, v0, v7
	s_waitcnt lgkmcnt(0)
	v_add_f32_e32 v0, v7, v0
	ds_bpermute_b32 v1, v1, v0
	s_waitcnt lgkmcnt(0)
	v_add_f32_e32 v0, v0, v1
	ds_bpermute_b32 v1, v3, v0
	s_waitcnt lgkmcnt(0)
	v_add_f32_e32 v0, v0, v1
	ds_bpermute_b32 v1, v31, v0
	s_waitcnt lgkmcnt(0)
	v_add_f32_e32 v0, v0, v1
	ds_bpermute_b32 v1, v35, v0
	s_waitcnt lgkmcnt(0)
	v_add_f32_e32 v0, v0, v1
	ds_bpermute_b32 v1, v37, v0
	s_waitcnt lgkmcnt(0)
	v_add_f32_e32 v0, v0, v1
	s_and_saveexec_b64 s[10:11], vcc
	s_cbranch_execz .LBB52_30
; %bb.29:
	ds_write_b32 v4, v0 offset:776
.LBB52_30:
	s_or_b64 exec, exec, s[10:11]
	s_waitcnt lgkmcnt(0)
	s_barrier
	s_and_saveexec_b64 s[10:11], s[2:3]
	s_cbranch_execz .LBB52_32
; %bb.31:
	ds_read_b32 v0, v5 offset:776
.LBB52_32:
	s_or_b64 exec, exec, s[10:11]
	s_waitcnt lgkmcnt(0)
	ds_bpermute_b32 v1, v37, v0
	s_waitcnt lgkmcnt(0)
	v_add_f32_e32 v0, v0, v1
	ds_bpermute_b32 v3, v6, v0
	s_and_saveexec_b64 s[2:3], s[4:5]
	s_cbranch_execz .LBB52_45
; %bb.33:
	s_waitcnt lgkmcnt(0)
	v_add_f32_e32 v0, 0x358637bd, v3
	v_div_scale_f32 v1, s[4:5], v0, v0, 1.0
	v_rcp_f32_e32 v4, v1
	v_div_scale_f32 v5, vcc, 1.0, v0, 1.0
	s_movk_i32 s4, 0x7f
	v_fma_f32 v6, -v1, v4, 1.0
	v_fmac_f32_e32 v4, v6, v4
	v_mul_f32_e32 v6, v5, v4
	v_fma_f32 v7, -v1, v6, v5
	v_fmac_f32_e32 v6, v7, v4
	v_fma_f32 v1, -v1, v6, v5
	v_div_fmas_f32 v1, v1, v4, v6
	v_div_fixup_f32 v0, v1, v0, 1.0
	v_xad_u32 v1, v111, -1, s42
	v_subrev_u32_e32 v4, s48, v1
	v_cmp_lt_u32_e32 vcc, s4, v4
	s_mov_b64 s[10:11], -1
	v_mov_b32_e32 v1, v111
	s_and_saveexec_b64 s[4:5], vcc
	s_cbranch_execz .LBB52_42
; %bb.34:
	v_lshrrev_b32_e32 v4, 7, v4
	v_add_u32_e32 v6, -1, v4
	v_lshrrev_b32_e32 v5, 1, v6
	v_mov_b32_e32 v1, v0
	v_add_u32_e32 v5, 1, v5
	v_cmp_lt_u32_e32 vcc, 13, v6
	v_mov_b32_e32 v8, 0
	s_and_saveexec_b64 s[10:11], vcc
	s_cbranch_execz .LBB52_38
; %bb.35:
	v_mov_b32_e32 v7, 0x310
	v_and_b32_e32 v6, -8, v5
	v_lshl_add_u32 v7, v111, 2, v7
	s_mov_b32 s40, 0
	s_mov_b64 s[38:39], 0
.LBB52_36:                              ; =>This Inner Loop Header: Depth=1
	ds_read2st64_b32 v[8:9], v7 offset1:2
	ds_read2st64_b32 v[10:11], v7 offset0:4 offset1:6
	ds_read2st64_b32 v[12:13], v7 offset0:8 offset1:10
	;; [unrolled: 1-line block ×3, first 2 shown]
	v_add_u32_e32 v6, -8, v6
	s_waitcnt lgkmcnt(3)
	v_pk_mul_f32 v[8:9], v[0:1], v[8:9]
	s_waitcnt lgkmcnt(2)
	v_pk_mul_f32 v[10:11], v[0:1], v[10:11]
	ds_write2st64_b32 v7, v8, v9 offset1:2
	ds_write2st64_b32 v7, v10, v11 offset0:4 offset1:6
	ds_read2st64_b32 v[10:11], v7 offset0:16 offset1:18
	s_waitcnt lgkmcnt(4)
	v_pk_mul_f32 v[8:9], v[0:1], v[12:13]
	ds_write2st64_b32 v7, v8, v9 offset0:8 offset1:10
	s_waitcnt lgkmcnt(4)
	v_pk_mul_f32 v[8:9], v[0:1], v[14:15]
	ds_write2st64_b32 v7, v8, v9 offset0:12 offset1:14
	ds_read2st64_b32 v[8:9], v7 offset0:20 offset1:22
	s_waitcnt lgkmcnt(3)
	v_pk_mul_f32 v[10:11], v[0:1], v[10:11]
	ds_read2st64_b32 v[12:13], v7 offset0:24 offset1:26
	ds_write2st64_b32 v7, v10, v11 offset0:16 offset1:18
	ds_read2st64_b32 v[10:11], v7 offset0:28 offset1:30
	s_waitcnt lgkmcnt(3)
	v_pk_mul_f32 v[8:9], v[0:1], v[8:9]
	ds_write2st64_b32 v7, v8, v9 offset0:20 offset1:22
	s_waitcnt lgkmcnt(3)
	v_pk_mul_f32 v[8:9], v[0:1], v[12:13]
	ds_write2st64_b32 v7, v8, v9 offset0:24 offset1:26
	s_waitcnt lgkmcnt(2)
	v_pk_mul_f32 v[8:9], v[0:1], v[10:11]
	s_add_i32 s40, s40, 16
	v_cmp_eq_u32_e32 vcc, 0, v6
	ds_write2st64_b32 v7, v8, v9 offset0:28 offset1:30
	v_add_u32_e32 v7, 0x2000, v7
	s_or_b64 s[38:39], vcc, s[38:39]
	v_mov_b32_e32 v8, s40
	s_andn2_b64 exec, exec, s[38:39]
	s_cbranch_execnz .LBB52_36
; %bb.37:
	s_or_b64 exec, exec, s[38:39]
.LBB52_38:
	s_or_b64 exec, exec, s[10:11]
	v_and_b32_e32 v5, 7, v5
	v_cmp_ne_u32_e32 vcc, 0, v5
	s_and_saveexec_b64 s[10:11], vcc
	s_cbranch_execz .LBB52_41
; %bb.39:
	v_lshlrev_b32_e32 v6, 9, v8
	s_movk_i32 s38, 0x310
	v_add3_u32 v6, v6, v48, s38
	s_mov_b64 s[38:39], 0
.LBB52_40:                              ; =>This Inner Loop Header: Depth=1
	ds_read2st64_b32 v[8:9], v6 offset1:2
	v_add_u32_e32 v5, -1, v5
	v_cmp_eq_u32_e32 vcc, 0, v5
	s_or_b64 s[38:39], vcc, s[38:39]
	s_waitcnt lgkmcnt(0)
	v_pk_mul_f32 v[8:9], v[0:1], v[8:9]
	ds_write2st64_b32 v6, v8, v9 offset1:2
	v_add_u32_e32 v6, 0x400, v6
	s_andn2_b64 exec, exec, s[38:39]
	s_cbranch_execnz .LBB52_40
.LBB52_41:
	s_or_b64 exec, exec, s[10:11]
	v_add_u32_e32 v4, 1, v4
	v_and_b32_e32 v5, 0x3fffffe, v4
	v_cmp_ne_u32_e32 vcc, v4, v5
	v_lshl_add_u32 v1, v5, 7, v111
	s_orn2_b64 s[10:11], vcc, exec
.LBB52_42:
	s_or_b64 exec, exec, s[4:5]
	s_and_b64 exec, exec, s[10:11]
	s_cbranch_execz .LBB52_45
; %bb.43:
	v_mov_b32_e32 v4, 0x310
	v_lshl_add_u32 v4, v1, 2, v4
	s_mov_b64 s[4:5], 0
.LBB52_44:                              ; =>This Inner Loop Header: Depth=1
	ds_read_b32 v5, v4
	v_add_u32_e32 v1, 0x80, v1
	v_cmp_le_i32_e32 vcc, s15, v1
	s_or_b64 s[4:5], vcc, s[4:5]
	s_waitcnt lgkmcnt(0)
	v_mul_f32_e32 v5, v0, v5
	ds_write_b32 v4, v5
	v_add_u32_e32 v4, 0x200, v4
	s_andn2_b64 exec, exec, s[4:5]
	s_cbranch_execnz .LBB52_44
.LBB52_45:
	s_or_b64 exec, exec, s[2:3]
	s_mul_i32 s2, s16, s28
	v_cmp_eq_u32_e32 vcc, 0, v111
	s_mul_i32 s2, s2, s9
	s_waitcnt lgkmcnt(0)
	s_barrier
	s_and_saveexec_b64 s[4:5], vcc
	s_cbranch_execz .LBB52_47
; %bb.46:
	s_ashr_i32 s3, s2, 31
	s_lshl_b64 s[10:11], s[2:3], 2
	s_add_u32 s3, s22, s10
	s_mul_i32 s22, s16, s6
	s_addc_u32 s9, s23, s11
	s_ashr_i32 s23, s22, 31
	s_lshl_b64 s[22:23], s[22:23], 2
	s_add_u32 s3, s3, s22
	s_addc_u32 s6, s9, s23
	s_ashr_i32 s9, s8, 31
	s_lshl_b64 s[38:39], s[8:9], 2
	s_add_u32 s40, s3, s38
	s_addc_u32 s41, s6, s39
	s_add_u32 s3, s20, s10
	s_addc_u32 s6, s21, s11
	;; [unrolled: 2-line block ×3, first 2 shown]
	s_add_u32 s10, s3, s38
	v_mov_b32_e32 v0, 0
	s_addc_u32 s11, s6, s39
	global_store_dword v0, v2, s[40:41]
	global_store_dword v0, v3, s[10:11]
.LBB52_47:
	s_or_b64 exec, exec, s[4:5]
	v_mov_b32_e32 v126, 0
	v_mov_b32_e32 v127, 0
	;; [unrolled: 1-line block ×24, first 2 shown]
	s_and_saveexec_b64 s[4:5], s[0:1]
	s_cbranch_execz .LBB52_101
; %bb.48:
	s_ashr_i32 s15, s14, 31
	s_sub_i32 s3, s12, s17
	v_and_b32_e32 v0, 28, v48
	s_lshl_b64 s[0:1], s[14:15], 2
	buffer_store_dword v37, off, s[60:63], 0 offset:124 ; 4-byte Folded Spill
	buffer_store_dword v31, off, s[60:63], 0 offset:120 ; 4-byte Folded Spill
	;; [unrolled: 1-line block ×4, first 2 shown]
	s_add_u32 s14, s36, s0
	v_and_b32_e32 v0, 0xfc, v48
	s_addc_u32 s15, s37, s1
	v_or_b32_e32 v2, 0x400, v0
	v_or_b32_e32 v4, 0x500, v0
	;; [unrolled: 1-line block ×11, first 2 shown]
	s_abs_i32 s18, s18
	v_or_b32_e32 v26, 0x1000, v0
	v_or_b32_e32 v28, 0x1100, v0
	;; [unrolled: 1-line block ×8, first 2 shown]
	v_lshlrev_b32_e32 v0, 2, v0
	v_cvt_f32_u32_e32 v1, s18
	buffer_store_dword v0, off, s[60:63], 0 offset:32 ; 4-byte Folded Spill
	v_lshlrev_b32_e32 v0, 2, v2
	buffer_store_dword v0, off, s[60:63], 0 offset:36 ; 4-byte Folded Spill
	v_lshlrev_b32_e32 v0, 2, v4
	;; [unrolled: 2-line block ×4, first 2 shown]
	v_rcp_iflag_f32_e32 v1, v1
	buffer_store_dword v0, off, s[60:63], 0 offset:48 ; 4-byte Folded Spill
	v_lshlrev_b32_e32 v0, 2, v10
	buffer_store_dword v0, off, s[60:63], 0 offset:52 ; 4-byte Folded Spill
	v_lshlrev_b32_e32 v0, 2, v12
	;; [unrolled: 2-line block ×4, first 2 shown]
	v_mul_f32_e32 v1, 0x4f7ffffe, v1
	buffer_store_dword v0, off, s[60:63], 0 offset:64 ; 4-byte Folded Spill
	v_lshlrev_b32_e32 v0, 2, v18
	v_cvt_u32_f32_e32 v1, v1
	buffer_store_dword v0, off, s[60:63], 0 offset:68 ; 4-byte Folded Spill
	v_lshlrev_b32_e32 v0, 2, v20
	v_or_b32_e32 v24, 0xf00, v48
	buffer_store_dword v0, off, s[60:63], 0 offset:72 ; 4-byte Folded Spill
	v_lshlrev_b32_e32 v0, 2, v22
	buffer_store_dword v0, off, s[60:63], 0 offset:76 ; 4-byte Folded Spill
	v_lshlrev_b32_e32 v0, 2, v24
	s_sub_i32 s0, 0, s18
	buffer_store_dword v0, off, s[60:63], 0 offset:80 ; 4-byte Folded Spill
	v_lshlrev_b32_e32 v0, 2, v26
	s_add_i32 s17, s7, -1
	v_mul_lo_u32 v3, s0, v1
	s_lshl_b64 s[0:1], s[34:35], 2
	buffer_store_dword v0, off, s[60:63], 0 offset:84 ; 4-byte Folded Spill
	v_lshlrev_b32_e32 v0, 2, v28
	v_mul_hi_u32 v3, v1, v3
	s_add_u32 s0, s30, s0
	buffer_store_dword v0, off, s[60:63], 0 offset:88 ; 4-byte Folded Spill
	v_lshlrev_b32_e32 v0, 2, v30
	v_add_u32_e32 v1, v1, v3
	v_lshlrev_b64 v[42:43], 2, v[102:103]
	s_addc_u32 s1, s31, s1
	buffer_store_dword v0, off, s[60:63], 0 offset:92 ; 4-byte Folded Spill
	v_lshlrev_b32_e32 v0, 2, v32
	buffer_store_dword v1, off, s[60:63], 0 offset:24 ; 4-byte Folded Spill
	v_mov_b32_e32 v1, s1
	v_add_co_u32_e32 v106, vcc, s0, v42
	buffer_store_dword v0, off, s[60:63], 0 offset:96 ; 4-byte Folded Spill
	v_lshlrev_b32_e32 v0, 2, v34
	v_addc_co_u32_e32 v107, vcc, v1, v43, vcc
	v_and_b32_e32 v1, 7, v111
	buffer_store_dword v0, off, s[60:63], 0 offset:100 ; 4-byte Folded Spill
	v_lshlrev_b32_e32 v0, 2, v36
	v_lshlrev_b32_e32 v1, 4, v1
	buffer_store_dword v0, off, s[60:63], 0 offset:104 ; 4-byte Folded Spill
	v_lshlrev_b32_e32 v0, 2, v38
	v_mov_b32_e32 v105, 0
	v_lshl_or_b32 v1, v49, 7, v1
	buffer_store_dword v0, off, s[60:63], 0 offset:108 ; 4-byte Folded Spill
	v_lshlrev_b32_e32 v0, 2, v40
	s_mov_b32 s9, s13
	v_add_u32_e32 v103, 0x310, v1
	s_mov_b64 s[6:7], 0
	buffer_store_dword v0, off, s[60:63], 0 offset:112 ; 4-byte Folded Spill
	v_mov_b32_e32 v104, v105
	v_mov_b32_e32 v1, v105
	;; [unrolled: 1-line block ×19, first 2 shown]
	buffer_store_dword v0, off, s[60:63], 0 ; 4-byte Folded Spill
	s_nop 0
	buffer_store_dword v1, off, s[60:63], 0 offset:4 ; 4-byte Folded Spill
	buffer_store_dword v0, off, s[60:63], 0 offset:8 ; 4-byte Folded Spill
	s_nop 0
	buffer_store_dword v1, off, s[60:63], 0 offset:12 ; 4-byte Folded Spill
	buffer_store_dword v0, off, s[60:63], 0 offset:16 ; 4-byte Folded Spill
	s_nop 0
	buffer_store_dword v1, off, s[60:63], 0 offset:20 ; 4-byte Folded Spill
	s_branch .LBB52_51
.LBB52_49:                              ;   in Loop: Header=BB52_51 Depth=1
	s_or_b64 exec, exec, s[0:1]
	s_waitcnt lgkmcnt(0)
	v_mul_f32_e32 v0, v3, v99
	v_fmac_f32_e32 v0, v2, v98
	v_fmac_f32_e32 v0, v4, v100
	;; [unrolled: 1-line block ×3, first 2 shown]
	v_add_f32_e32 v104, v104, v0
	v_mul_f32_e32 v0, v3, v95
	v_fmac_f32_e32 v0, v2, v94
	buffer_load_dword v94, off, s[60:63], 0 ; 4-byte Folded Reload
	buffer_load_dword v95, off, s[60:63], 0 offset:4 ; 4-byte Folded Reload
	v_fmac_f32_e32 v0, v4, v96
	v_fmac_f32_e32 v0, v5, v97
	s_waitcnt vmcnt(0)
	v_add_f32_e32 v95, v95, v0
	v_mul_f32_e32 v0, v3, v91
	v_fmac_f32_e32 v0, v2, v90
	v_fmac_f32_e32 v0, v4, v92
	;; [unrolled: 1-line block ×3, first 2 shown]
	v_add_f32_e32 v94, v94, v0
	buffer_store_dword v94, off, s[60:63], 0 ; 4-byte Folded Spill
	s_nop 0
	buffer_store_dword v95, off, s[60:63], 0 offset:4 ; 4-byte Folded Spill
	v_mul_f32_e32 v0, v3, v87
	v_fmac_f32_e32 v0, v2, v86
	buffer_load_dword v86, off, s[60:63], 0 offset:8 ; 4-byte Folded Reload
	buffer_load_dword v87, off, s[60:63], 0 offset:12 ; 4-byte Folded Reload
	v_fmac_f32_e32 v0, v4, v88
	v_fmac_f32_e32 v0, v5, v89
	s_waitcnt vmcnt(0)
	v_add_f32_e32 v87, v87, v0
	v_mul_f32_e32 v0, v3, v79
	v_fmac_f32_e32 v0, v2, v78
	v_fmac_f32_e32 v0, v4, v80
	;; [unrolled: 1-line block ×3, first 2 shown]
	v_add_f32_e32 v86, v86, v0
	buffer_store_dword v86, off, s[60:63], 0 offset:8 ; 4-byte Folded Spill
	s_nop 0
	buffer_store_dword v87, off, s[60:63], 0 offset:12 ; 4-byte Folded Spill
	v_mul_f32_e32 v0, v3, v75
	v_fmac_f32_e32 v0, v2, v74
	buffer_load_dword v74, off, s[60:63], 0 offset:16 ; 4-byte Folded Reload
	buffer_load_dword v75, off, s[60:63], 0 offset:20 ; 4-byte Folded Reload
	v_fmac_f32_e32 v0, v4, v76
	v_fmac_f32_e32 v0, v5, v77
	s_waitcnt vmcnt(0)
	v_add_f32_e32 v75, v75, v0
	v_mul_f32_e32 v0, v3, v71
	v_fmac_f32_e32 v0, v2, v70
	v_fmac_f32_e32 v0, v4, v72
	v_fmac_f32_e32 v0, v5, v73
	v_add_f32_e32 v74, v74, v0
	v_mul_f32_e32 v0, v3, v67
	v_fmac_f32_e32 v0, v2, v66
	v_fmac_f32_e32 v0, v4, v68
	v_fmac_f32_e32 v0, v5, v69
	;; [unrolled: 5-line block ×18, first 2 shown]
	v_add_f32_e32 v105, v105, v0
	buffer_store_dword v74, off, s[60:63], 0 offset:16 ; 4-byte Folded Spill
	s_nop 0
	buffer_store_dword v75, off, s[60:63], 0 offset:20 ; 4-byte Folded Spill
.LBB52_50:                              ;   in Loop: Header=BB52_51 Depth=1
	s_or_b64 exec, exec, s[10:11]
	v_add_co_u32_e32 v106, vcc, 8, v106
	v_add_u32_e32 v102, 2, v102
	v_addc_co_u32_e32 v107, vcc, 0, v107, vcc
	v_cmp_le_i32_e32 vcc, s47, v102
	v_add_u32_e32 v108, 64, v108
	s_or_b64 s[6:7], vcc, s[6:7]
	v_add_u32_e32 v103, 0x100, v103
	s_andn2_b64 exec, exec, s[6:7]
	s_cbranch_execz .LBB52_100
.LBB52_51:                              ; =>This Inner Loop Header: Depth=1
	v_sub_u32_e32 v1, 0, v108
	v_max_i32_e32 v1, v108, v1
	v_mul_hi_u32 v2, v1, s33
	v_mul_lo_u32 v3, v2, s25
	v_sub_u32_e32 v1, v1, v3
	v_add_u32_e32 v3, 1, v2
	v_cmp_le_u32_e32 vcc, s25, v1
	v_cndmask_b32_e32 v2, v2, v3, vcc
	v_subrev_u32_e32 v3, s25, v1
	v_cndmask_b32_e32 v1, v1, v3, vcc
	v_ashrrev_i32_e32 v0, 31, v108
	v_add_u32_e32 v3, 1, v2
	v_cmp_le_u32_e32 vcc, s25, v1
	v_xor_b32_e32 v0, s19, v0
	v_cndmask_b32_e32 v1, v2, v3, vcc
	v_xor_b32_e32 v1, v1, v0
	v_sub_u32_e32 v0, v1, v0
	v_add_u32_e32 v1, s46, v0
	v_sub_u32_e32 v3, 0, v1
	v_ashrrev_i32_e32 v2, 31, v1
	v_max_i32_e32 v1, v1, v3
	buffer_load_dword v3, off, s[60:63], 0 offset:24 ; 4-byte Folded Reload
	v_cmp_lt_i32_e64 s[0:1], s3, v0
	s_waitcnt vmcnt(0)
	v_mul_hi_u32 v3, v1, v3
	v_mul_lo_u32 v3, v3, s18
	v_sub_u32_e32 v1, v1, v3
	v_subrev_u32_e32 v3, s18, v1
	v_cmp_le_u32_e32 vcc, s18, v1
	v_cndmask_b32_e32 v1, v1, v3, vcc
	v_subrev_u32_e32 v3, s18, v1
	v_cmp_le_u32_e32 vcc, s18, v1
	v_cndmask_b32_e32 v1, v1, v3, vcc
	v_xor_b32_e32 v1, v1, v2
	v_sub_u32_e32 v1, v1, v2
	v_cmp_eq_u32_e32 vcc, 0, v1
	s_or_b64 s[0:1], vcc, s[0:1]
	s_and_saveexec_b64 s[10:11], s[0:1]
	s_cbranch_execz .LBB52_50
; %bb.52:                               ;   in Loop: Header=BB52_51 Depth=1
	global_load_dword v0, v[106:107], off
	v_mov_b32_e32 v2, s15
	s_waitcnt vmcnt(0)
	v_mad_i64_i32 v[0:1], s[0:1], v0, s9, 0
	v_lshlrev_b64 v[0:1], 2, v[0:1]
	v_add_co_u32_e32 v82, vcc, s14, v0
	buffer_load_dword v0, off, s[60:63], 0 offset:32 ; 4-byte Folded Reload
	v_addc_co_u32_e32 v83, vcc, v2, v1, vcc
	ds_read_b128 v[2:5], v103
	s_waitcnt vmcnt(0)
	v_add_co_u32_e32 v18, vcc, v82, v0
	buffer_load_dword v0, off, s[60:63], 0 offset:28 ; 4-byte Folded Reload
	v_addc_co_u32_e32 v19, vcc, 0, v83, vcc
	global_load_dwordx4 v[6:9], v[18:19], off
	v_cmp_eq_u32_e32 vcc, s17, v102
	s_waitcnt vmcnt(1)
	v_add_u32_e32 v109, v0, v108
	v_add_u32_e32 v110, 1, v109
	;; [unrolled: 1-line block ×4, first 2 shown]
	s_and_saveexec_b64 s[12:13], vcc
	s_cbranch_execnz .LBB52_97
; %bb.53:                               ;   in Loop: Header=BB52_51 Depth=1
	s_or_b64 exec, exec, s[12:13]
	global_load_dwordx4 v[10:13], v[18:19], off offset:1024
	s_and_saveexec_b64 s[12:13], vcc
	s_cbranch_execnz .LBB52_98
.LBB52_54:                              ;   in Loop: Header=BB52_51 Depth=1
	s_or_b64 exec, exec, s[12:13]
	global_load_dwordx4 v[14:17], v[18:19], off offset:2048
	s_and_saveexec_b64 s[12:13], vcc
	s_cbranch_execnz .LBB52_99
.LBB52_55:                              ;   in Loop: Header=BB52_51 Depth=1
	s_or_b64 exec, exec, s[12:13]
	global_load_dwordx4 v[18:21], v[18:19], off offset:3072
	s_and_saveexec_b64 s[12:13], vcc
	s_cbranch_execz .LBB52_57
.LBB52_56:                              ;   in Loop: Header=BB52_51 Depth=1
	v_cmp_gt_i32_e64 s[0:1], s29, v109
	s_waitcnt vmcnt(0)
	v_cndmask_b32_e64 v18, 0, v18, s[0:1]
	v_cmp_gt_i32_e64 s[0:1], s29, v110
	v_cndmask_b32_e64 v19, 0, v19, s[0:1]
	v_cmp_gt_i32_e64 s[0:1], s29, v1
	;; [unrolled: 2-line block ×3, first 2 shown]
	v_cndmask_b32_e64 v21, 0, v21, s[0:1]
.LBB52_57:                              ;   in Loop: Header=BB52_51 Depth=1
	s_or_b64 exec, exec, s[12:13]
	buffer_load_dword v22, off, s[60:63], 0 offset:36 ; 4-byte Folded Reload
	s_waitcnt vmcnt(0)
	v_add_co_u32_e64 v22, s[0:1], v82, v22
	v_addc_co_u32_e64 v23, s[0:1], 0, v83, s[0:1]
	global_load_dwordx4 v[22:25], v[22:23], off
	s_and_saveexec_b64 s[12:13], vcc
	s_cbranch_execz .LBB52_59
; %bb.58:                               ;   in Loop: Header=BB52_51 Depth=1
	v_cmp_gt_i32_e64 s[0:1], s29, v109
	s_waitcnt vmcnt(0)
	v_cndmask_b32_e64 v22, 0, v22, s[0:1]
	v_cmp_gt_i32_e64 s[0:1], s29, v110
	v_cndmask_b32_e64 v23, 0, v23, s[0:1]
	v_cmp_gt_i32_e64 s[0:1], s29, v1
	v_cndmask_b32_e64 v24, 0, v24, s[0:1]
	v_cmp_gt_i32_e64 s[0:1], s29, v0
	v_cndmask_b32_e64 v25, 0, v25, s[0:1]
.LBB52_59:                              ;   in Loop: Header=BB52_51 Depth=1
	s_or_b64 exec, exec, s[12:13]
	buffer_load_dword v26, off, s[60:63], 0 offset:40 ; 4-byte Folded Reload
	s_waitcnt vmcnt(0)
	v_add_co_u32_e64 v26, s[0:1], v82, v26
	v_addc_co_u32_e64 v27, s[0:1], 0, v83, s[0:1]
	global_load_dwordx4 v[26:29], v[26:27], off
	s_and_saveexec_b64 s[12:13], vcc
	s_cbranch_execz .LBB52_61
; %bb.60:                               ;   in Loop: Header=BB52_51 Depth=1
	v_cmp_gt_i32_e64 s[0:1], s29, v109
	s_waitcnt vmcnt(0)
	v_cndmask_b32_e64 v26, 0, v26, s[0:1]
	v_cmp_gt_i32_e64 s[0:1], s29, v110
	v_cndmask_b32_e64 v27, 0, v27, s[0:1]
	v_cmp_gt_i32_e64 s[0:1], s29, v1
	v_cndmask_b32_e64 v28, 0, v28, s[0:1]
	v_cmp_gt_i32_e64 s[0:1], s29, v0
	v_cndmask_b32_e64 v29, 0, v29, s[0:1]
.LBB52_61:                              ;   in Loop: Header=BB52_51 Depth=1
	;; [unrolled: 19-line block ×19, first 2 shown]
	s_or_b64 exec, exec, s[12:13]
	buffer_load_dword v84, off, s[60:63], 0 offset:112 ; 4-byte Folded Reload
	s_waitcnt vmcnt(0)
	v_add_co_u32_e64 v82, s[0:1], v82, v84
	v_addc_co_u32_e64 v83, s[0:1], 0, v83, s[0:1]
	global_load_dwordx4 v[82:85], v[82:83], off
	s_and_saveexec_b64 s[0:1], vcc
	s_cbranch_execz .LBB52_49
; %bb.96:                               ;   in Loop: Header=BB52_51 Depth=1
	v_cmp_gt_i32_e32 vcc, s29, v109
	s_waitcnt vmcnt(0)
	v_cndmask_b32_e32 v82, 0, v82, vcc
	v_cmp_gt_i32_e32 vcc, s29, v110
	v_cndmask_b32_e32 v83, 0, v83, vcc
	v_cmp_gt_i32_e32 vcc, s29, v1
	;; [unrolled: 2-line block ×3, first 2 shown]
	v_cndmask_b32_e32 v85, 0, v85, vcc
	s_branch .LBB52_49
.LBB52_97:                              ;   in Loop: Header=BB52_51 Depth=1
	v_cmp_gt_i32_e64 s[0:1], s29, v109
	s_waitcnt vmcnt(0)
	v_cndmask_b32_e64 v6, 0, v6, s[0:1]
	v_cmp_gt_i32_e64 s[0:1], s29, v110
	v_cndmask_b32_e64 v7, 0, v7, s[0:1]
	v_cmp_gt_i32_e64 s[0:1], s29, v1
	;; [unrolled: 2-line block ×3, first 2 shown]
	v_cndmask_b32_e64 v9, 0, v9, s[0:1]
	s_or_b64 exec, exec, s[12:13]
	global_load_dwordx4 v[10:13], v[18:19], off offset:1024
	s_and_saveexec_b64 s[12:13], vcc
	s_cbranch_execz .LBB52_54
.LBB52_98:                              ;   in Loop: Header=BB52_51 Depth=1
	v_cmp_gt_i32_e64 s[0:1], s29, v109
	s_waitcnt vmcnt(0)
	v_cndmask_b32_e64 v10, 0, v10, s[0:1]
	v_cmp_gt_i32_e64 s[0:1], s29, v110
	v_cndmask_b32_e64 v11, 0, v11, s[0:1]
	v_cmp_gt_i32_e64 s[0:1], s29, v1
	;; [unrolled: 2-line block ×3, first 2 shown]
	v_cndmask_b32_e64 v13, 0, v13, s[0:1]
	s_or_b64 exec, exec, s[12:13]
	global_load_dwordx4 v[14:17], v[18:19], off offset:2048
	s_and_saveexec_b64 s[12:13], vcc
	s_cbranch_execz .LBB52_55
.LBB52_99:                              ;   in Loop: Header=BB52_51 Depth=1
	v_cmp_gt_i32_e64 s[0:1], s29, v109
	s_waitcnt vmcnt(0)
	v_cndmask_b32_e64 v14, 0, v14, s[0:1]
	v_cmp_gt_i32_e64 s[0:1], s29, v110
	v_cndmask_b32_e64 v15, 0, v15, s[0:1]
	v_cmp_gt_i32_e64 s[0:1], s29, v1
	;; [unrolled: 2-line block ×3, first 2 shown]
	v_cndmask_b32_e64 v17, 0, v17, s[0:1]
	s_or_b64 exec, exec, s[12:13]
	global_load_dwordx4 v[18:21], v[18:19], off offset:3072
	s_and_saveexec_b64 s[12:13], vcc
	s_cbranch_execnz .LBB52_56
	s_branch .LBB52_57
.LBB52_100:
	s_or_b64 exec, exec, s[6:7]
	buffer_load_dword v35, off, s[60:63], 0 offset:116 ; 4-byte Folded Reload
	buffer_load_dword v31, off, s[60:63], 0 offset:120 ; 4-byte Folded Reload
	;; [unrolled: 1-line block ×3, first 2 shown]
	buffer_load_dword v32, off, s[60:63], 0 ; 4-byte Folded Reload
	buffer_load_dword v33, off, s[60:63], 0 offset:4 ; 4-byte Folded Reload
	buffer_load_dword v38, off, s[60:63], 0 offset:8 ; 4-byte Folded Reload
	;; [unrolled: 1-line block ×5, first 2 shown]
	v_and_b32_e32 v36, 63, v111
.LBB52_101:
	s_or_b64 exec, exec, s[4:5]
	s_waitcnt vmcnt(7)
	ds_bpermute_b32 v2, v31, v124
	ds_bpermute_b32 v3, v31, v125
	;; [unrolled: 1-line block ×6, first 2 shown]
	s_waitcnt lgkmcnt(4)
	v_pk_add_f32 v[2:3], v[124:125], v[2:3]
	ds_bpermute_b32 v6, v35, v2
	ds_bpermute_b32 v7, v35, v3
	s_waitcnt lgkmcnt(4)
	v_pk_add_f32 v[0:1], v[126:127], v[0:1]
	ds_bpermute_b32 v4, v35, v0
	ds_bpermute_b32 v5, v35, v1
	;; [unrolled: 1-line block ×3, first 2 shown]
	s_waitcnt lgkmcnt(3)
	v_pk_add_f32 v[2:3], v[2:3], v[6:7]
	v_pk_add_f32 v[6:7], v[122:123], v[8:9]
	ds_bpermute_b32 v8, v35, v6
	ds_bpermute_b32 v9, v35, v7
	ds_bpermute_b32 v13, v31, v121
	s_waitcnt lgkmcnt(4)
	v_pk_add_f32 v[0:1], v[0:1], v[4:5]
	s_waitcnt vmcnt(6)
	ds_bpermute_b32 v4, v37, v0
	ds_bpermute_b32 v5, v37, v1
	s_waitcnt lgkmcnt(3)
	v_pk_add_f32 v[8:9], v[6:7], v[8:9]
	s_waitcnt lgkmcnt(2)
	v_pk_add_f32 v[12:13], v[120:121], v[12:13]
	ds_bpermute_b32 v10, v37, v2
	ds_bpermute_b32 v11, v37, v3
	;; [unrolled: 1-line block ×6, first 2 shown]
	s_waitcnt lgkmcnt(6)
	v_pk_add_f32 v[6:7], v[0:1], v[4:5]
	s_waitcnt lgkmcnt(4)
	v_pk_add_f32 v[4:5], v[2:3], v[10:11]
	;; [unrolled: 2-line block ×3, first 2 shown]
	ds_bpermute_b32 v8, v31, v118
	s_waitcnt lgkmcnt(1)
	v_pk_add_f32 v[0:1], v[12:13], v[16:17]
	ds_bpermute_b32 v9, v31, v119
	ds_bpermute_b32 v12, v31, v116
	;; [unrolled: 1-line block ×5, first 2 shown]
	s_waitcnt lgkmcnt(4)
	v_pk_add_f32 v[8:9], v[118:119], v[8:9]
	ds_bpermute_b32 v14, v35, v8
	s_waitcnt lgkmcnt(3)
	v_pk_add_f32 v[12:13], v[116:117], v[12:13]
	ds_bpermute_b32 v15, v35, v9
	ds_bpermute_b32 v16, v35, v12
	;; [unrolled: 1-line block ×5, first 2 shown]
	s_waitcnt lgkmcnt(4)
	v_pk_add_f32 v[8:9], v[8:9], v[14:15]
	ds_bpermute_b32 v20, v37, v8
	s_waitcnt lgkmcnt(3)
	v_pk_add_f32 v[16:17], v[12:13], v[16:17]
	v_pk_add_f32 v[12:13], v[114:115], v[18:19]
	ds_bpermute_b32 v21, v37, v9
	ds_bpermute_b32 v14, v35, v12
	;; [unrolled: 1-line block ×7, first 2 shown]
	s_waitcnt lgkmcnt(4)
	v_pk_add_f32 v[24:25], v[12:13], v[14:15]
	v_pk_add_f32 v[12:13], v[8:9], v[20:21]
	s_waitcnt vmcnt(3)
	ds_bpermute_b32 v20, v31, v38
	s_waitcnt vmcnt(2)
	ds_bpermute_b32 v21, v31, v39
	ds_bpermute_b32 v26, v37, v24
	;; [unrolled: 1-line block ×3, first 2 shown]
	s_waitcnt lgkmcnt(5)
	v_pk_add_f32 v[22:23], v[112:113], v[22:23]
	v_pk_add_f32 v[14:15], v[0:1], v[10:11]
	s_waitcnt lgkmcnt(4)
	v_pk_add_f32 v[10:11], v[16:17], v[18:19]
	s_waitcnt vmcnt(1)
	ds_bpermute_b32 v16, v31, v40
	s_waitcnt vmcnt(0)
	ds_bpermute_b32 v17, v31, v41
	ds_bpermute_b32 v28, v35, v22
	ds_bpermute_b32 v29, v35, v23
	s_waitcnt lgkmcnt(6)
	v_pk_add_f32 v[20:21], v[38:39], v[20:21]
	s_waitcnt lgkmcnt(4)
	v_pk_add_f32 v[8:9], v[24:25], v[26:27]
	ds_bpermute_b32 v24, v35, v20
	ds_bpermute_b32 v25, v35, v21
	ds_bpermute_b32 v26, v31, v32
	ds_bpermute_b32 v27, v31, v33
	s_waitcnt lgkmcnt(6)
	v_pk_add_f32 v[16:17], v[40:41], v[16:17]
	s_waitcnt lgkmcnt(4)
	v_pk_add_f32 v[0:1], v[22:23], v[28:29]
	ds_bpermute_b32 v22, v35, v16
	;; [unrolled: 8-line block ×3, first 2 shown]
	ds_bpermute_b32 v27, v35, v21
	s_waitcnt lgkmcnt(4)
	v_pk_add_f32 v[16:17], v[16:17], v[22:23]
	s_waitcnt lgkmcnt(2)
	v_pk_add_f32 v[30:31], v[104:105], v[30:31]
	ds_bpermute_b32 v18, v37, v0
	ds_bpermute_b32 v19, v37, v1
	;; [unrolled: 1-line block ×8, first 2 shown]
	s_waitcnt lgkmcnt(8)
	v_pk_add_f32 v[26:27], v[20:21], v[26:27]
	ds_bpermute_b32 v32, v37, v26
	ds_bpermute_b32 v33, v37, v27
	s_waitcnt lgkmcnt(8)
	v_pk_add_f32 v[20:21], v[0:1], v[18:19]
	s_waitcnt lgkmcnt(6)
	v_pk_add_f32 v[18:19], v[16:17], v[22:23]
	;; [unrolled: 2-line block ×4, first 2 shown]
	ds_bpermute_b32 v24, v37, v22
	ds_bpermute_b32 v25, v37, v23
	s_waitcnt lgkmcnt(2)
	v_pk_add_f32 v[0:1], v[26:27], v[32:33]
	v_and_b32_e32 v26, 0x3c7, v111
	v_cmp_ne_u32_e32 vcc, 64, v26
	s_waitcnt lgkmcnt(0)
	s_barrier
	s_and_saveexec_b64 s[0:1], vcc
	s_xor_b64 s[0:1], exec, s[0:1]
; %bb.102:
                                        ; implicit-def: $vgpr36
; %bb.103:
	s_or_saveexec_b64 s[0:1], s[0:1]
	v_pk_add_f32 v[22:23], v[22:23], v[24:25]
	s_xor_b64 exec, exec, s[0:1]
	s_cbranch_execz .LBB52_105
; %bb.104:
	v_lshrrev_b32_e32 v24, 1, v36
	v_add_u32_e32 v24, 0x310, v24
	ds_write2_b32 v24, v6, v7 offset1:8
	ds_write2_b32 v24, v4, v5 offset0:16 offset1:24
	ds_write2_b32 v24, v2, v3 offset0:32 offset1:40
	;; [unrolled: 1-line block ×11, first 2 shown]
.LBB52_105:
	s_or_b64 exec, exec, s[0:1]
	v_cmp_gt_u32_e32 vcc, 64, v111
	s_waitcnt lgkmcnt(0)
	s_barrier
	s_and_saveexec_b64 s[0:1], vcc
	s_cbranch_execz .LBB52_132
; %bb.106:
	v_and_b32_e32 v24, 7, v111
	v_cmp_eq_u32_e32 vcc, 0, v24
	v_lshrrev_b32_e32 v24, 3, v111
	s_and_saveexec_b64 s[4:5], vcc
	s_cbranch_execnz .LBB52_135
; %bb.107:
	s_or_b64 exec, exec, s[4:5]
	s_and_saveexec_b64 s[4:5], vcc
	s_cbranch_execnz .LBB52_136
.LBB52_108:
	s_or_b64 exec, exec, s[4:5]
	s_and_saveexec_b64 s[4:5], vcc
	s_cbranch_execnz .LBB52_137
.LBB52_109:
	s_or_b64 exec, exec, s[4:5]
	s_and_saveexec_b64 s[4:5], vcc
	s_cbranch_execnz .LBB52_138
.LBB52_110:
	s_or_b64 exec, exec, s[4:5]
	s_and_saveexec_b64 s[4:5], vcc
	s_cbranch_execnz .LBB52_139
.LBB52_111:
	s_or_b64 exec, exec, s[4:5]
	s_and_saveexec_b64 s[4:5], vcc
	s_cbranch_execnz .LBB52_140
.LBB52_112:
	s_or_b64 exec, exec, s[4:5]
	s_and_saveexec_b64 s[4:5], vcc
	s_cbranch_execnz .LBB52_141
.LBB52_113:
	s_or_b64 exec, exec, s[4:5]
	s_and_saveexec_b64 s[4:5], vcc
	s_cbranch_execnz .LBB52_142
.LBB52_114:
	s_or_b64 exec, exec, s[4:5]
	s_and_saveexec_b64 s[4:5], vcc
	s_cbranch_execnz .LBB52_143
.LBB52_115:
	s_or_b64 exec, exec, s[4:5]
	s_and_saveexec_b64 s[4:5], vcc
	s_cbranch_execnz .LBB52_144
.LBB52_116:
	s_or_b64 exec, exec, s[4:5]
	s_and_saveexec_b64 s[4:5], vcc
	s_cbranch_execnz .LBB52_145
.LBB52_117:
	s_or_b64 exec, exec, s[4:5]
	s_and_saveexec_b64 s[4:5], vcc
	s_cbranch_execnz .LBB52_146
.LBB52_118:
	s_or_b64 exec, exec, s[4:5]
	s_and_saveexec_b64 s[4:5], vcc
	s_cbranch_execnz .LBB52_147
.LBB52_119:
	s_or_b64 exec, exec, s[4:5]
	s_and_saveexec_b64 s[4:5], vcc
	s_cbranch_execnz .LBB52_148
.LBB52_120:
	s_or_b64 exec, exec, s[4:5]
	s_and_saveexec_b64 s[4:5], vcc
	s_cbranch_execnz .LBB52_149
.LBB52_121:
	s_or_b64 exec, exec, s[4:5]
	s_and_saveexec_b64 s[4:5], vcc
	s_cbranch_execnz .LBB52_150
.LBB52_122:
	s_or_b64 exec, exec, s[4:5]
	s_and_saveexec_b64 s[4:5], vcc
	s_cbranch_execnz .LBB52_151
.LBB52_123:
	s_or_b64 exec, exec, s[4:5]
	s_and_saveexec_b64 s[4:5], vcc
	s_cbranch_execnz .LBB52_152
.LBB52_124:
	s_or_b64 exec, exec, s[4:5]
	s_and_saveexec_b64 s[4:5], vcc
	s_cbranch_execnz .LBB52_153
.LBB52_125:
	s_or_b64 exec, exec, s[4:5]
	s_and_saveexec_b64 s[4:5], vcc
	s_cbranch_execnz .LBB52_154
.LBB52_126:
	s_or_b64 exec, exec, s[4:5]
	s_and_saveexec_b64 s[4:5], vcc
	s_cbranch_execnz .LBB52_155
.LBB52_127:
	s_or_b64 exec, exec, s[4:5]
	s_and_saveexec_b64 s[4:5], vcc
	s_cbranch_execnz .LBB52_156
.LBB52_128:
	s_or_b64 exec, exec, s[4:5]
	s_and_saveexec_b64 s[4:5], vcc
	s_cbranch_execnz .LBB52_157
.LBB52_129:
	s_or_b64 exec, exec, s[4:5]
	s_and_saveexec_b64 s[4:5], vcc
	s_cbranch_execz .LBB52_131
.LBB52_130:
	v_mov_b32_e32 v25, 0x310
	v_lshl_add_u32 v24, v24, 2, v25
	ds_read_b32 v24, v24 offset:736
	s_waitcnt lgkmcnt(0)
	v_add_f32_e32 v23, v23, v24
.LBB52_131:
	s_or_b64 exec, exec, s[4:5]
.LBB52_132:
	s_or_b64 exec, exec, s[0:1]
	v_cmp_eq_u32_e32 vcc, 0, v26
	s_barrier
	s_and_saveexec_b64 s[0:1], vcc
	s_cbranch_execz .LBB52_134
; %bb.133:
	s_mul_i32 s0, s2, 0xc0
	s_ashr_i32 s1, s0, 31
	s_lshl_b64 s[0:1], s[0:1], 2
	s_add_u32 s2, s26, s0
	s_mul_i32 s0, s16, s24
	s_addc_u32 s3, s27, s1
	s_ashr_i32 s1, s0, 31
	s_lshl_b64 s[0:1], s[0:1], 2
	s_add_u32 s2, s2, s0
	s_mul_i32 s0, s8, 0xc0
	s_addc_u32 s3, s3, s1
	s_ashr_i32 s1, s0, 31
	s_lshl_b64 s[0:1], s[0:1], 2
	s_add_u32 s0, s2, s0
	s_addc_u32 s1, s3, s1
	v_lshrrev_b32_e32 v24, 1, v111
	global_store_dword v24, v6, s[0:1]
	global_store_dword v24, v7, s[0:1] offset:32
	global_store_dword v24, v4, s[0:1] offset:64
	global_store_dword v24, v5, s[0:1] offset:96
	global_store_dword v24, v2, s[0:1] offset:128
	global_store_dword v24, v3, s[0:1] offset:160
	global_store_dword v24, v14, s[0:1] offset:192
	global_store_dword v24, v15, s[0:1] offset:224
	global_store_dword v24, v12, s[0:1] offset:256
	global_store_dword v24, v13, s[0:1] offset:288
	global_store_dword v24, v10, s[0:1] offset:320
	global_store_dword v24, v11, s[0:1] offset:352
	global_store_dword v24, v8, s[0:1] offset:384
	global_store_dword v24, v9, s[0:1] offset:416
	global_store_dword v24, v20, s[0:1] offset:448
	global_store_dword v24, v21, s[0:1] offset:480
	global_store_dword v24, v18, s[0:1] offset:512
	global_store_dword v24, v19, s[0:1] offset:544
	global_store_dword v24, v16, s[0:1] offset:576
	global_store_dword v24, v17, s[0:1] offset:608
	global_store_dword v24, v0, s[0:1] offset:640
	global_store_dword v24, v1, s[0:1] offset:672
	global_store_dword v24, v22, s[0:1] offset:704
	global_store_dword v24, v23, s[0:1] offset:736
.LBB52_134:
	s_endpgm
.LBB52_135:
	v_mov_b32_e32 v25, 0x310
	v_lshl_add_u32 v25, v24, 2, v25
	ds_read_b32 v25, v25
	s_waitcnt lgkmcnt(0)
	v_add_f32_e32 v6, v6, v25
	s_or_b64 exec, exec, s[4:5]
	s_and_saveexec_b64 s[4:5], vcc
	s_cbranch_execz .LBB52_108
.LBB52_136:
	v_mov_b32_e32 v25, 0x310
	v_lshl_add_u32 v25, v24, 2, v25
	ds_read_b32 v25, v25 offset:32
	s_waitcnt lgkmcnt(0)
	v_add_f32_e32 v7, v7, v25
	s_or_b64 exec, exec, s[4:5]
	s_and_saveexec_b64 s[4:5], vcc
	s_cbranch_execz .LBB52_109
.LBB52_137:
	v_mov_b32_e32 v25, 0x310
	v_lshl_add_u32 v25, v24, 2, v25
	ds_read_b32 v25, v25 offset:64
	s_waitcnt lgkmcnt(0)
	v_add_f32_e32 v4, v4, v25
	s_or_b64 exec, exec, s[4:5]
	s_and_saveexec_b64 s[4:5], vcc
	s_cbranch_execz .LBB52_110
.LBB52_138:
	v_mov_b32_e32 v25, 0x310
	v_lshl_add_u32 v25, v24, 2, v25
	ds_read_b32 v25, v25 offset:96
	s_waitcnt lgkmcnt(0)
	v_add_f32_e32 v5, v5, v25
	s_or_b64 exec, exec, s[4:5]
	s_and_saveexec_b64 s[4:5], vcc
	s_cbranch_execz .LBB52_111
.LBB52_139:
	v_mov_b32_e32 v25, 0x310
	v_lshl_add_u32 v25, v24, 2, v25
	ds_read_b32 v25, v25 offset:128
	s_waitcnt lgkmcnt(0)
	v_add_f32_e32 v2, v2, v25
	s_or_b64 exec, exec, s[4:5]
	s_and_saveexec_b64 s[4:5], vcc
	s_cbranch_execz .LBB52_112
.LBB52_140:
	v_mov_b32_e32 v25, 0x310
	v_lshl_add_u32 v25, v24, 2, v25
	ds_read_b32 v25, v25 offset:160
	s_waitcnt lgkmcnt(0)
	v_add_f32_e32 v3, v3, v25
	s_or_b64 exec, exec, s[4:5]
	s_and_saveexec_b64 s[4:5], vcc
	s_cbranch_execz .LBB52_113
.LBB52_141:
	v_mov_b32_e32 v25, 0x310
	v_lshl_add_u32 v25, v24, 2, v25
	ds_read_b32 v25, v25 offset:192
	s_waitcnt lgkmcnt(0)
	v_add_f32_e32 v14, v14, v25
	s_or_b64 exec, exec, s[4:5]
	s_and_saveexec_b64 s[4:5], vcc
	s_cbranch_execz .LBB52_114
.LBB52_142:
	v_mov_b32_e32 v25, 0x310
	v_lshl_add_u32 v25, v24, 2, v25
	ds_read_b32 v25, v25 offset:224
	s_waitcnt lgkmcnt(0)
	v_add_f32_e32 v15, v15, v25
	s_or_b64 exec, exec, s[4:5]
	s_and_saveexec_b64 s[4:5], vcc
	s_cbranch_execz .LBB52_115
.LBB52_143:
	v_mov_b32_e32 v25, 0x310
	v_lshl_add_u32 v25, v24, 2, v25
	ds_read_b32 v25, v25 offset:256
	s_waitcnt lgkmcnt(0)
	v_add_f32_e32 v12, v12, v25
	s_or_b64 exec, exec, s[4:5]
	s_and_saveexec_b64 s[4:5], vcc
	s_cbranch_execz .LBB52_116
.LBB52_144:
	v_mov_b32_e32 v25, 0x310
	v_lshl_add_u32 v25, v24, 2, v25
	ds_read_b32 v25, v25 offset:288
	s_waitcnt lgkmcnt(0)
	v_add_f32_e32 v13, v13, v25
	s_or_b64 exec, exec, s[4:5]
	s_and_saveexec_b64 s[4:5], vcc
	s_cbranch_execz .LBB52_117
.LBB52_145:
	v_mov_b32_e32 v25, 0x310
	v_lshl_add_u32 v25, v24, 2, v25
	ds_read_b32 v25, v25 offset:320
	s_waitcnt lgkmcnt(0)
	v_add_f32_e32 v10, v10, v25
	s_or_b64 exec, exec, s[4:5]
	s_and_saveexec_b64 s[4:5], vcc
	s_cbranch_execz .LBB52_118
.LBB52_146:
	v_mov_b32_e32 v25, 0x310
	v_lshl_add_u32 v25, v24, 2, v25
	ds_read_b32 v25, v25 offset:352
	s_waitcnt lgkmcnt(0)
	v_add_f32_e32 v11, v11, v25
	s_or_b64 exec, exec, s[4:5]
	s_and_saveexec_b64 s[4:5], vcc
	s_cbranch_execz .LBB52_119
.LBB52_147:
	v_mov_b32_e32 v25, 0x310
	v_lshl_add_u32 v25, v24, 2, v25
	ds_read_b32 v25, v25 offset:384
	s_waitcnt lgkmcnt(0)
	v_add_f32_e32 v8, v8, v25
	s_or_b64 exec, exec, s[4:5]
	s_and_saveexec_b64 s[4:5], vcc
	s_cbranch_execz .LBB52_120
.LBB52_148:
	v_mov_b32_e32 v25, 0x310
	v_lshl_add_u32 v25, v24, 2, v25
	ds_read_b32 v25, v25 offset:416
	s_waitcnt lgkmcnt(0)
	v_add_f32_e32 v9, v9, v25
	s_or_b64 exec, exec, s[4:5]
	s_and_saveexec_b64 s[4:5], vcc
	s_cbranch_execz .LBB52_121
.LBB52_149:
	v_mov_b32_e32 v25, 0x310
	v_lshl_add_u32 v25, v24, 2, v25
	ds_read_b32 v25, v25 offset:448
	s_waitcnt lgkmcnt(0)
	v_add_f32_e32 v20, v20, v25
	s_or_b64 exec, exec, s[4:5]
	s_and_saveexec_b64 s[4:5], vcc
	s_cbranch_execz .LBB52_122
.LBB52_150:
	v_mov_b32_e32 v25, 0x310
	v_lshl_add_u32 v25, v24, 2, v25
	ds_read_b32 v25, v25 offset:480
	s_waitcnt lgkmcnt(0)
	v_add_f32_e32 v21, v21, v25
	s_or_b64 exec, exec, s[4:5]
	s_and_saveexec_b64 s[4:5], vcc
	s_cbranch_execz .LBB52_123
.LBB52_151:
	v_mov_b32_e32 v25, 0x310
	v_lshl_add_u32 v25, v24, 2, v25
	ds_read_b32 v25, v25 offset:512
	s_waitcnt lgkmcnt(0)
	v_add_f32_e32 v18, v18, v25
	s_or_b64 exec, exec, s[4:5]
	s_and_saveexec_b64 s[4:5], vcc
	s_cbranch_execz .LBB52_124
.LBB52_152:
	v_mov_b32_e32 v25, 0x310
	v_lshl_add_u32 v25, v24, 2, v25
	ds_read_b32 v25, v25 offset:544
	s_waitcnt lgkmcnt(0)
	v_add_f32_e32 v19, v19, v25
	s_or_b64 exec, exec, s[4:5]
	s_and_saveexec_b64 s[4:5], vcc
	s_cbranch_execz .LBB52_125
.LBB52_153:
	v_mov_b32_e32 v25, 0x310
	v_lshl_add_u32 v25, v24, 2, v25
	ds_read_b32 v25, v25 offset:576
	s_waitcnt lgkmcnt(0)
	v_add_f32_e32 v16, v16, v25
	s_or_b64 exec, exec, s[4:5]
	s_and_saveexec_b64 s[4:5], vcc
	s_cbranch_execz .LBB52_126
.LBB52_154:
	v_mov_b32_e32 v25, 0x310
	v_lshl_add_u32 v25, v24, 2, v25
	ds_read_b32 v25, v25 offset:608
	s_waitcnt lgkmcnt(0)
	v_add_f32_e32 v17, v17, v25
	s_or_b64 exec, exec, s[4:5]
	s_and_saveexec_b64 s[4:5], vcc
	s_cbranch_execz .LBB52_127
.LBB52_155:
	v_mov_b32_e32 v25, 0x310
	v_lshl_add_u32 v25, v24, 2, v25
	ds_read_b32 v25, v25 offset:640
	s_waitcnt lgkmcnt(0)
	v_add_f32_e32 v0, v0, v25
	s_or_b64 exec, exec, s[4:5]
	s_and_saveexec_b64 s[4:5], vcc
	s_cbranch_execz .LBB52_128
.LBB52_156:
	v_mov_b32_e32 v25, 0x310
	v_lshl_add_u32 v25, v24, 2, v25
	ds_read_b32 v25, v25 offset:672
	s_waitcnt lgkmcnt(0)
	v_add_f32_e32 v1, v1, v25
	s_or_b64 exec, exec, s[4:5]
	s_and_saveexec_b64 s[4:5], vcc
	s_cbranch_execz .LBB52_129
.LBB52_157:
	v_mov_b32_e32 v25, 0x310
	v_lshl_add_u32 v25, v24, 2, v25
	ds_read_b32 v25, v25 offset:704
	s_waitcnt lgkmcnt(0)
	v_add_f32_e32 v22, v22, v25
	s_or_b64 exec, exec, s[4:5]
	s_and_saveexec_b64 s[4:5], vcc
	s_cbranch_execnz .LBB52_130
	s_branch .LBB52_131
	.section	.rodata,"a",@progbits
	.p2align	6, 0x0
	.amdhsa_kernel _ZN4vllm25paged_attention_v2_kernelIffLi192ELi32ELi128ELNS_18Fp8KVCacheDataTypeE0ELb1ELi512EEEvPfS2_PT_PKS3_PKT0_S9_ifPKiSB_iPKfiiiSD_SD_iiiii
		.amdhsa_group_segment_fixed_size 784
		.amdhsa_private_segment_fixed_size 132
		.amdhsa_kernarg_size 400
		.amdhsa_user_sgpr_count 6
		.amdhsa_user_sgpr_private_segment_buffer 1
		.amdhsa_user_sgpr_dispatch_ptr 0
		.amdhsa_user_sgpr_queue_ptr 0
		.amdhsa_user_sgpr_kernarg_segment_ptr 1
		.amdhsa_user_sgpr_dispatch_id 0
		.amdhsa_user_sgpr_flat_scratch_init 0
		.amdhsa_user_sgpr_kernarg_preload_length 0
		.amdhsa_user_sgpr_kernarg_preload_offset 0
		.amdhsa_user_sgpr_private_segment_size 0
		.amdhsa_uses_dynamic_stack 0
		.amdhsa_system_sgpr_private_segment_wavefront_offset 1
		.amdhsa_system_sgpr_workgroup_id_x 1
		.amdhsa_system_sgpr_workgroup_id_y 1
		.amdhsa_system_sgpr_workgroup_id_z 1
		.amdhsa_system_sgpr_workgroup_info 0
		.amdhsa_system_vgpr_workitem_id 0
		.amdhsa_next_free_vgpr 128
		.amdhsa_next_free_sgpr 64
		.amdhsa_accum_offset 128
		.amdhsa_reserve_vcc 1
		.amdhsa_reserve_flat_scratch 0
		.amdhsa_float_round_mode_32 0
		.amdhsa_float_round_mode_16_64 0
		.amdhsa_float_denorm_mode_32 3
		.amdhsa_float_denorm_mode_16_64 3
		.amdhsa_dx10_clamp 1
		.amdhsa_ieee_mode 1
		.amdhsa_fp16_overflow 0
		.amdhsa_tg_split 0
		.amdhsa_exception_fp_ieee_invalid_op 0
		.amdhsa_exception_fp_denorm_src 0
		.amdhsa_exception_fp_ieee_div_zero 0
		.amdhsa_exception_fp_ieee_overflow 0
		.amdhsa_exception_fp_ieee_underflow 0
		.amdhsa_exception_fp_ieee_inexact 0
		.amdhsa_exception_int_div_zero 0
	.end_amdhsa_kernel
	.section	.text._ZN4vllm25paged_attention_v2_kernelIffLi192ELi32ELi128ELNS_18Fp8KVCacheDataTypeE0ELb1ELi512EEEvPfS2_PT_PKS3_PKT0_S9_ifPKiSB_iPKfiiiSD_SD_iiiii,"axG",@progbits,_ZN4vllm25paged_attention_v2_kernelIffLi192ELi32ELi128ELNS_18Fp8KVCacheDataTypeE0ELb1ELi512EEEvPfS2_PT_PKS3_PKT0_S9_ifPKiSB_iPKfiiiSD_SD_iiiii,comdat
.Lfunc_end52:
	.size	_ZN4vllm25paged_attention_v2_kernelIffLi192ELi32ELi128ELNS_18Fp8KVCacheDataTypeE0ELb1ELi512EEEvPfS2_PT_PKS3_PKT0_S9_ifPKiSB_iPKfiiiSD_SD_iiiii, .Lfunc_end52-_ZN4vllm25paged_attention_v2_kernelIffLi192ELi32ELi128ELNS_18Fp8KVCacheDataTypeE0ELb1ELi512EEEvPfS2_PT_PKS3_PKT0_S9_ifPKiSB_iPKfiiiSD_SD_iiiii
                                        ; -- End function
	.section	.AMDGPU.csdata,"",@progbits
; Kernel info:
; codeLenInByte = 11728
; NumSgprs: 68
; NumVgprs: 128
; NumAgprs: 0
; TotalNumVgprs: 128
; ScratchSize: 132
; MemoryBound: 0
; FloatMode: 240
; IeeeMode: 1
; LDSByteSize: 784 bytes/workgroup (compile time only)
; SGPRBlocks: 8
; VGPRBlocks: 15
; NumSGPRsForWavesPerEU: 68
; NumVGPRsForWavesPerEU: 128
; AccumOffset: 128
; Occupancy: 4
; WaveLimiterHint : 1
; COMPUTE_PGM_RSRC2:SCRATCH_EN: 1
; COMPUTE_PGM_RSRC2:USER_SGPR: 6
; COMPUTE_PGM_RSRC2:TRAP_HANDLER: 0
; COMPUTE_PGM_RSRC2:TGID_X_EN: 1
; COMPUTE_PGM_RSRC2:TGID_Y_EN: 1
; COMPUTE_PGM_RSRC2:TGID_Z_EN: 1
; COMPUTE_PGM_RSRC2:TIDIG_COMP_CNT: 0
; COMPUTE_PGM_RSRC3_GFX90A:ACCUM_OFFSET: 31
; COMPUTE_PGM_RSRC3_GFX90A:TG_SPLIT: 0
	.section	.text._ZN4vllm25paged_attention_v2_kernelIffLi256ELi32ELi128ELNS_18Fp8KVCacheDataTypeE0ELb1ELi512EEEvPfS2_PT_PKS3_PKT0_S9_ifPKiSB_iPKfiiiSD_SD_iiiii,"axG",@progbits,_ZN4vllm25paged_attention_v2_kernelIffLi256ELi32ELi128ELNS_18Fp8KVCacheDataTypeE0ELb1ELi512EEEvPfS2_PT_PKS3_PKT0_S9_ifPKiSB_iPKfiiiSD_SD_iiiii,comdat
	.protected	_ZN4vllm25paged_attention_v2_kernelIffLi256ELi32ELi128ELNS_18Fp8KVCacheDataTypeE0ELb1ELi512EEEvPfS2_PT_PKS3_PKT0_S9_ifPKiSB_iPKfiiiSD_SD_iiiii ; -- Begin function _ZN4vllm25paged_attention_v2_kernelIffLi256ELi32ELi128ELNS_18Fp8KVCacheDataTypeE0ELb1ELi512EEEvPfS2_PT_PKS3_PKT0_S9_ifPKiSB_iPKfiiiSD_SD_iiiii
	.globl	_ZN4vllm25paged_attention_v2_kernelIffLi256ELi32ELi128ELNS_18Fp8KVCacheDataTypeE0ELb1ELi512EEEvPfS2_PT_PKS3_PKT0_S9_ifPKiSB_iPKfiiiSD_SD_iiiii
	.p2align	8
	.type	_ZN4vllm25paged_attention_v2_kernelIffLi256ELi32ELi128ELNS_18Fp8KVCacheDataTypeE0ELb1ELi512EEEvPfS2_PT_PKS3_PKT0_S9_ifPKiSB_iPKfiiiSD_SD_iiiii,@function
_ZN4vllm25paged_attention_v2_kernelIffLi256ELi32ELi128ELNS_18Fp8KVCacheDataTypeE0ELb1ELi512EEEvPfS2_PT_PKS3_PKT0_S9_ifPKiSB_iPKfiiiSD_SD_iiiii: ; @_ZN4vllm25paged_attention_v2_kernelIffLi256ELi32ELi128ELNS_18Fp8KVCacheDataTypeE0ELb1ELi512EEEvPfS2_PT_PKS3_PKT0_S9_ifPKiSB_iPKfiiiSD_SD_iiiii
; %bb.0:
	s_mov_b64 s[62:63], s[2:3]
	s_mov_b64 s[60:61], s[0:1]
	s_load_dwordx2 s[0:1], s[4:5], 0x40
	s_add_u32 s60, s60, s9
	s_addc_u32 s61, s61, 0
	s_mov_b32 s28, s7
	s_ashr_i32 s29, s7, 31
	s_lshl_b64 s[2:3], s[28:29], 2
	s_waitcnt lgkmcnt(0)
	s_add_u32 s0, s0, s2
	s_addc_u32 s1, s1, s3
	s_load_dword s29, s[0:1], 0x0
	s_lshl_b32 s48, s8, 9
	s_waitcnt lgkmcnt(0)
	s_cmp_ge_i32 s48, s29
	s_cbranch_scc1 .LBB53_158
; %bb.1:
	s_load_dword s9, s[4:5], 0x90
	s_load_dwordx2 s[38:39], s[4:5], 0x30
	v_mov_b32_e32 v75, v0
	s_mov_b32 s49, 0
	s_waitcnt lgkmcnt(0)
	s_abs_i32 s2, s9
	s_abs_i32 s0, s38
	v_cvt_f32_u32_e32 v0, s0
	s_sub_i32 s3, 0, s0
	s_xor_b32 s1, s9, s38
	s_ashr_i32 s1, s1, 31
	v_rcp_iflag_f32_e32 v0, v0
	v_mul_f32_e32 v0, 0x4f7ffffe, v0
	v_cvt_u32_f32_e32 v0, v0
	v_readfirstlane_b32 s7, v0
	s_mul_i32 s3, s3, s7
	s_mul_hi_u32 s3, s7, s3
	s_add_i32 s7, s7, s3
	s_mul_hi_u32 s3, s2, s7
	s_mul_i32 s7, s3, s0
	s_sub_i32 s2, s2, s7
	s_add_i32 s10, s3, 1
	s_sub_i32 s7, s2, s0
	s_cmp_ge_u32 s2, s0
	s_cselect_b32 s3, s10, s3
	s_cselect_b32 s2, s7, s2
	s_add_i32 s7, s3, 1
	s_cmp_ge_u32 s2, s0
	s_cselect_b32 s0, s7, s3
	s_xor_b32 s0, s0, s1
	s_sub_i32 s11, s0, s1
	s_abs_i32 s2, s11
	v_cvt_f32_u32_e32 v0, s2
	s_load_dwordx2 s[0:1], s[4:5], 0x50
	s_sub_i32 s7, 0, s2
	s_abs_i32 s3, s6
	v_rcp_iflag_f32_e32 v0, v0
	v_mul_f32_e32 v0, 0x4f7ffffe, v0
	v_cvt_u32_f32_e32 v0, v0
	v_readfirstlane_b32 s10, v0
	s_mul_i32 s7, s7, s10
	s_mul_hi_u32 s7, s10, s7
	s_add_i32 s10, s10, s7
	s_waitcnt lgkmcnt(0)
	s_cmp_eq_u64 s[0:1], 0
	s_mul_hi_u32 s10, s3, s10
	s_cbranch_scc1 .LBB53_3
; %bb.2:
	s_ashr_i32 s7, s6, 31
	s_lshl_b64 s[12:13], s[6:7], 2
	s_add_u32 s0, s0, s12
	s_addc_u32 s1, s1, s13
	s_load_dword s49, s[0:1], 0x0
.LBB53_3:
	s_load_dwordx4 s[16:19], s[4:5], 0x58
	s_movk_i32 s0, 0x80
	s_ashr_i32 s7, s6, 31
	s_ashr_i32 s11, s11, 31
	v_and_b32_e32 v0, 1, v75
	s_lshl_b32 s24, s6, 8
	v_cmp_gt_u32_e32 vcc, s0, v75
	v_lshlrev_b32_e32 v1, 3, v75
	v_lshlrev_b32_e32 v56, 2, v75
	s_and_saveexec_b64 s[0:1], vcc
	s_cbranch_execz .LBB53_5
; %bb.4:
	s_load_dwordx2 s[12:13], s[4:5], 0x18
	s_waitcnt lgkmcnt(0)
	s_mul_i32 s14, s28, s16
	s_ashr_i32 s15, s14, 31
	s_lshl_b64 s[14:15], s[14:15], 2
	v_and_b32_e32 v4, 0xff8, v56
	s_add_u32 s14, s12, s14
	s_addc_u32 s15, s13, s15
	s_ashr_i32 s25, s24, 31
	s_lshl_b64 s[12:13], s[24:25], 2
	s_add_u32 s12, s14, s12
	s_addc_u32 s13, s15, s13
	global_load_dwordx2 v[2:3], v1, s[12:13]
	v_lshl_add_u32 v4, v0, 9, v4
	s_waitcnt vmcnt(0)
	ds_write_b64 v4, v[2:3]
.LBB53_5:
	s_or_b64 exec, exec, s[0:1]
	s_mul_i32 s1, s10, s2
	s_sub_i32 s1, s3, s1
	s_xor_b32 s0, s7, s11
	s_add_i32 s3, s10, 1
	s_sub_i32 s7, s1, s2
	s_load_dwordx4 s[12:15], s[4:5], 0x78
	s_cmp_ge_u32 s1, s2
	s_cselect_b32 s3, s3, s10
	s_load_dword s10, s[4:5], 0x88
	s_cselect_b32 s1, s7, s1
	s_add_i32 s7, s3, 1
	s_cmp_ge_u32 s1, s2
	s_cselect_b32 s1, s7, s3
	s_waitcnt lgkmcnt(0)
	s_abs_i32 s16, s15
	v_cvt_f32_u32_e32 v2, s16
	s_xor_b32 s1, s1, s0
	s_sub_i32 s2, s1, s0
	s_sub_i32 s0, 0, s16
	v_rcp_iflag_f32_e32 v2, v2
	s_add_i32 s11, s29, -1
	s_abs_i32 s3, s11
	v_mul_f32_e32 v2, 0x4f7ffffe, v2
	v_cvt_u32_f32_e32 v2, v2
	s_barrier
	v_readfirstlane_b32 s25, v2
	s_mul_i32 s0, s0, s25
	s_mul_hi_u32 s0, s25, s0
	s_add_i32 s25, s25, s0
	s_cmp_lt_i32 s10, 0
	s_mul_hi_u32 s7, s3, s25
	s_cbranch_scc0 .LBB53_7
; %bb.6:
	s_mul_i32 s0, s12, s38
	s_add_i32 s0, s2, s0
	s_mul_i32 s0, s0, s10
	s_sub_i32 s33, 1, s0
	s_mov_b64 s[0:1], 0
	s_branch .LBB53_8
.LBB53_7:
	s_mov_b64 s[0:1], -1
                                        ; implicit-def: $sgpr33
.LBB53_8:
	s_load_dwordx2 s[30:31], s[4:5], 0x38
	s_ashr_i32 s11, s11, 31
	s_andn2_b64 vcc, exec, s[0:1]
	s_ashr_i32 s46, s15, 31
	s_cbranch_vccnz .LBB53_10
; %bb.9:
	s_mul_i32 s0, s9, s12
	s_add_i32 s0, s0, s6
	s_mul_i32 s0, s0, s10
	s_add_i32 s33, s0, 1
.LBB53_10:
	s_load_dword s0, s[4:5], 0x48
	s_load_dwordx2 s[36:37], s[4:5], 0x28
	s_load_dword s15, s[4:5], 0x98
	s_load_dwordx4 s[20:23], s[4:5], 0x0
	s_load_dwordx2 s[26:27], s[4:5], 0x10
	s_mul_i32 s1, s7, s16
	s_waitcnt lgkmcnt(0)
	s_mul_i32 s34, s28, s0
	s_sub_i32 s1, s3, s1
	s_ashr_i32 s35, s34, 31
	s_xor_b32 s0, s11, s46
	s_add_i32 s3, s7, 1
	s_sub_i32 s10, s1, s16
	s_cmp_ge_u32 s1, s16
	s_cselect_b32 s3, s3, s7
	s_cselect_b32 s1, s10, s1
	s_add_i32 s7, s3, 1
	s_cmp_ge_u32 s1, s16
	s_cselect_b32 s1, s7, s3
	s_xor_b32 s1, s1, s0
	s_sub_i32 s12, s1, s0
	s_add_i32 s0, s29, 31
	s_ashr_i32 s1, s0, 31
	s_lshr_b32 s1, s1, 27
	s_add_i32 s0, s0, s1
	s_lshl_b32 s38, s8, 4
	s_ashr_i32 s7, s0, 5
	s_add_i32 s0, s38, 16
	v_lshrrev_b32_e32 v57, 6, v75
	s_min_i32 s47, s0, s7
	v_or_b32_e32 v2, s38, v57
	v_cmp_gt_i32_e64 s[0:1], s47, v2
	v_mov_b32_e32 v64, 0xff7fffff
	s_mul_i32 s18, s2, s18
	v_ashrrev_i32_e32 v3, 31, v2
	v_lshl_add_u32 v80, v57, 5, s48
	v_mbcnt_lo_u32_b32 v58, -1, 0
	buffer_store_dword v2, off, s[60:63], 0 ; 4-byte Folded Spill
	s_nop 0
	buffer_store_dword v3, off, s[60:63], 0 offset:4 ; 4-byte Folded Spill
	s_and_saveexec_b64 s[40:41], s[0:1]
	s_cbranch_execz .LBB53_20
; %bb.11:
	s_load_dwordx2 s[2:3], s[4:5], 0x20
	s_ashr_i32 s19, s18, 31
	s_sub_i32 s50, s12, s13
	s_lshl_b64 s[4:5], s[18:19], 2
	v_bfe_u32 v59, v75, 1, 5
	s_waitcnt lgkmcnt(0)
	s_add_u32 s2, s2, s4
	s_addc_u32 s3, s3, s5
	s_abs_i32 s19, s14
	v_cvt_f32_u32_e32 v5, s19
	v_lshlrev_b32_e32 v3, 4, v59
	v_mov_b32_e32 v4, s3
	v_add_co_u32_e64 v3, s[2:3], s2, v3
	v_rcp_iflag_f32_e32 v5, v5
	v_addc_co_u32_e64 v4, s[2:3], 0, v4, s[2:3]
	v_and_b32_e32 v1, 8, v1
	v_add_co_u32_e64 v60, s[2:3], v3, v1
	v_addc_co_u32_e64 v61, s[2:3], 0, v4, s[2:3]
	v_mul_f32_e32 v1, 0x4f7ffffe, v5
	buffer_load_dword v4, off, s[60:63], 0  ; 4-byte Folded Reload
	buffer_load_dword v5, off, s[60:63], 0 offset:4 ; 4-byte Folded Reload
	v_cvt_u32_f32_e32 v1, v1
	s_sub_i32 s4, 0, s19
	v_cmp_eq_u32_e32 vcc, 0, v0
	v_lshlrev_b32_e32 v2, 2, v59
	v_lshlrev_b32_e32 v62, 9, v0
	v_mul_lo_u32 v0, s4, v1
	s_lshl_b64 s[4:5], s[34:35], 2
	v_mul_hi_u32 v0, v1, v0
	s_add_u32 s4, s30, s4
	v_lshl_or_b32 v2, v57, 7, v2
	v_add_u32_e32 v63, v1, v0
	s_addc_u32 s5, s31, s5
	v_add_u32_e32 v66, 0x410, v2
	v_subrev_u32_e32 v2, s29, v59
	v_mbcnt_hi_u32_b32 v69, -1, v58
	v_mov_b32_e32 v3, s5
	v_add_u32_e32 v67, 1, v2
	v_and_b32_e32 v2, 64, v69
	s_mov_b32 s51, s17
	v_cmp_neq_f32_e64 s[2:3], s49, 0
	v_lshl_add_u32 v65, v57, 5, s48
	s_mov_b64 s[42:43], 0
	v_mov_b32_e32 v68, 0xff7fffff
	s_movk_i32 s52, 0x1000
	s_movk_i32 s53, 0x2000
	;; [unrolled: 1-line block ×7, first 2 shown]
	v_xor_b32_e32 v70, 1, v69
	v_add_u32_e32 v71, 64, v2
	v_mov_b32_e32 v64, 0xff7fffff
	s_waitcnt vmcnt(0)
	v_lshlrev_b64 v[0:1], 2, v[4:5]
	v_add_co_u32_e64 v0, s[4:5], s4, v0
	v_addc_co_u32_e64 v1, s[4:5], v3, v1, s[4:5]
	v_mov_b32_e32 v72, v4
	s_branch .LBB53_14
.LBB53_12:                              ;   in Loop: Header=BB53_14 Depth=1
	s_or_b64 exec, exec, s[44:45]
.LBB53_13:                              ;   in Loop: Header=BB53_14 Depth=1
	s_or_b64 exec, exec, s[10:11]
	v_add_co_u32_e64 v0, s[4:5], 8, v0
	v_add_u32_e32 v72, 2, v72
	v_addc_co_u32_e64 v1, s[4:5], 0, v1, s[4:5]
	v_cmp_le_i32_e64 s[4:5], s47, v72
	v_add_u32_e32 v65, 64, v65
	s_or_b64 s[42:43], s[4:5], s[42:43]
	v_add_u32_e32 v66, 0x100, v66
	s_andn2_b64 exec, exec, s[42:43]
	s_cbranch_execz .LBB53_19
.LBB53_14:                              ; =>This Inner Loop Header: Depth=1
	s_waitcnt lgkmcnt(0)
	v_sub_u32_e32 v3, 0, v65
	v_max_i32_e32 v3, v65, v3
	v_mul_hi_u32 v4, v3, s25
	v_mul_lo_u32 v5, v4, s16
	v_sub_u32_e32 v3, v3, v5
	v_add_u32_e32 v5, 1, v4
	v_cmp_le_u32_e64 s[4:5], s16, v3
	v_cndmask_b32_e64 v4, v4, v5, s[4:5]
	v_subrev_u32_e32 v5, s16, v3
	v_cndmask_b32_e64 v3, v3, v5, s[4:5]
	v_ashrrev_i32_e32 v2, 31, v65
	v_add_u32_e32 v5, 1, v4
	v_cmp_le_u32_e64 s[4:5], s16, v3
	v_xor_b32_e32 v2, s46, v2
	v_cndmask_b32_e64 v3, v4, v5, s[4:5]
	v_xor_b32_e32 v3, v3, v2
	v_sub_u32_e32 v2, v3, v2
	v_add_u32_e32 v3, s33, v2
	v_sub_u32_e32 v5, 0, v3
	v_ashrrev_i32_e32 v4, 31, v3
	v_max_i32_e32 v3, v3, v5
	v_mul_hi_u32 v5, v3, v63
	v_mul_lo_u32 v5, v5, s19
	v_sub_u32_e32 v3, v3, v5
	v_subrev_u32_e32 v5, s19, v3
	v_cmp_le_u32_e64 s[4:5], s19, v3
	v_cndmask_b32_e64 v3, v3, v5, s[4:5]
	v_subrev_u32_e32 v5, s19, v3
	v_cmp_le_u32_e64 s[4:5], s19, v3
	v_cndmask_b32_e64 v3, v3, v5, s[4:5]
	v_xor_b32_e32 v3, v3, v4
	v_sub_u32_e32 v3, v3, v4
	v_cmp_ne_u32_e64 s[4:5], 0, v3
	v_cmp_ge_i32_e64 s[10:11], s50, v2
	s_and_b64 s[4:5], s[4:5], s[10:11]
	s_and_b64 s[44:45], vcc, s[4:5]
	s_and_saveexec_b64 s[10:11], s[44:45]
	s_cbranch_execz .LBB53_16
; %bb.15:                               ;   in Loop: Header=BB53_14 Depth=1
	ds_write_b32 v66, v68
.LBB53_16:                              ;   in Loop: Header=BB53_14 Depth=1
	s_or_b64 exec, exec, s[10:11]
	s_xor_b64 s[4:5], s[4:5], -1
	s_and_saveexec_b64 s[10:11], s[4:5]
	s_cbranch_execz .LBB53_13
; %bb.17:                               ;   in Loop: Header=BB53_14 Depth=1
	global_load_dword v2, v[0:1], off
	s_waitcnt vmcnt(0)
	v_mad_i64_i32 v[2:3], s[4:5], v2, s51, 0
	v_lshlrev_b64 v[2:3], 2, v[2:3]
	v_add_co_u32_e64 v2, s[4:5], v60, v2
	v_addc_co_u32_e64 v3, s[4:5], v61, v3, s[4:5]
	global_load_dwordx2 v[4:5], v[2:3], off offset:512
	global_load_dwordx2 v[14:15], v[2:3], off
	global_load_dwordx2 v[48:49], v[2:3], off offset:1024
	global_load_dwordx2 v[50:51], v[2:3], off offset:1536
	;; [unrolled: 1-line block ×6, first 2 shown]
	v_add_co_u32_e64 v52, s[4:5], s53, v2
	v_addc_co_u32_e64 v53, s[4:5], 0, v3, s[4:5]
	global_load_dwordx2 v[42:43], v[52:53], off offset:-4096
	v_add_co_u32_e64 v10, s[4:5], s52, v2
	v_addc_co_u32_e64 v11, s[4:5], 0, v3, s[4:5]
	global_load_dwordx2 v[36:37], v[10:11], off offset:512
	global_load_dwordx2 v[34:35], v[10:11], off offset:1024
	;; [unrolled: 1-line block ×7, first 2 shown]
	global_load_dwordx2 v[18:19], v[52:53], off
	ds_read_b128 v[10:13], v62
	global_load_dwordx2 v[24:25], v[52:53], off offset:512
	global_load_dwordx2 v[20:21], v[52:53], off offset:1024
	;; [unrolled: 1-line block ×3, first 2 shown]
	ds_read_b128 v[44:47], v62 offset:16
	s_waitcnt vmcnt(19) lgkmcnt(1)
	v_mul_f32_e32 v73, v12, v4
	v_mul_f32_e32 v74, v13, v5
	s_waitcnt vmcnt(18)
	v_fmac_f32_e32 v73, v10, v14
	v_fmac_f32_e32 v74, v11, v15
	global_load_dwordx2 v[14:15], v[52:53], off offset:2048
	global_load_dwordx2 v[12:13], v[52:53], off offset:2560
	;; [unrolled: 1-line block ×4, first 2 shown]
	s_waitcnt vmcnt(21) lgkmcnt(0)
	v_fmac_f32_e32 v73, v44, v48
	v_fmac_f32_e32 v74, v45, v49
	s_waitcnt vmcnt(20)
	v_fmac_f32_e32 v73, v46, v50
	v_fmac_f32_e32 v74, v47, v51
	ds_read_b128 v[44:47], v62 offset:32
	ds_read_b128 v[48:51], v62 offset:48
	s_waitcnt vmcnt(19) lgkmcnt(1)
	v_fmac_f32_e32 v73, v44, v38
	v_add_co_u32_e64 v38, s[4:5], s55, v2
	v_fmac_f32_e32 v74, v45, v39
	v_addc_co_u32_e64 v39, s[4:5], 0, v3, s[4:5]
	s_waitcnt vmcnt(18)
	v_fmac_f32_e32 v73, v46, v40
	v_fmac_f32_e32 v74, v47, v41
	global_load_dwordx2 v[40:41], v[38:39], off offset:-4096
	s_waitcnt vmcnt(18) lgkmcnt(0)
	v_fmac_f32_e32 v73, v48, v8
	v_fmac_f32_e32 v74, v49, v9
	s_waitcnt vmcnt(17)
	v_fmac_f32_e32 v73, v50, v6
	v_fmac_f32_e32 v74, v51, v7
	ds_read_b128 v[44:47], v62 offset:64
	ds_read_b128 v[48:51], v62 offset:80
	v_add_co_u32_e64 v8, s[4:5], s58, v2
	v_addc_co_u32_e64 v9, s[4:5], 0, v3, s[4:5]
	v_add_co_u32_e64 v76, s[4:5], s54, v2
	s_waitcnt vmcnt(16) lgkmcnt(1)
	v_fmac_f32_e32 v73, v44, v42
	v_fmac_f32_e32 v74, v45, v43
	v_addc_co_u32_e64 v77, s[4:5], 0, v3, s[4:5]
	global_load_dwordx2 v[6:7], v[8:9], off offset:3584
	global_load_dwordx2 v[52:53], v[76:77], off offset:512
	;; [unrolled: 1-line block ×3, first 2 shown]
	s_waitcnt vmcnt(18)
	v_fmac_f32_e32 v73, v46, v36
	v_fmac_f32_e32 v74, v47, v37
	s_waitcnt vmcnt(17) lgkmcnt(0)
	v_fmac_f32_e32 v73, v48, v34
	v_fmac_f32_e32 v74, v49, v35
	ds_read_b128 v[34:37], v62 offset:96
	ds_read_b128 v[42:45], v62 offset:112
	s_waitcnt vmcnt(16)
	v_fmac_f32_e32 v73, v50, v32
	v_fmac_f32_e32 v74, v51, v33
	global_load_dwordx2 v[50:51], v[76:77], off offset:1536
	s_waitcnt vmcnt(16) lgkmcnt(1)
	v_fmac_f32_e32 v73, v34, v30
	v_fmac_f32_e32 v74, v35, v31
	s_waitcnt vmcnt(15)
	v_fmac_f32_e32 v73, v36, v28
	v_fmac_f32_e32 v74, v37, v29
	global_load_dwordx2 v[48:49], v[76:77], off offset:2048
	global_load_dwordx2 v[46:47], v[76:77], off offset:2560
	;; [unrolled: 1-line block ×3, first 2 shown]
	ds_read_b128 v[30:33], v62 offset:128
	ds_read_b128 v[34:37], v62 offset:144
	s_waitcnt vmcnt(17) lgkmcnt(2)
	v_fmac_f32_e32 v73, v42, v26
	v_fmac_f32_e32 v74, v43, v27
	global_load_dwordx2 v[26:27], v[76:77], off offset:3584
	global_load_dwordx2 v[42:43], v[38:39], off
	s_waitcnt vmcnt(18)
	v_fmac_f32_e32 v73, v44, v22
	v_fmac_f32_e32 v74, v45, v23
	s_waitcnt vmcnt(17) lgkmcnt(1)
	v_fmac_f32_e32 v73, v30, v18
	v_fmac_f32_e32 v74, v31, v19
	global_load_dwordx2 v[44:45], v[38:39], off offset:512
	s_waitcnt vmcnt(17)
	v_fmac_f32_e32 v73, v32, v24
	v_fmac_f32_e32 v74, v33, v25
	s_waitcnt vmcnt(16) lgkmcnt(0)
	v_fmac_f32_e32 v73, v34, v20
	v_fmac_f32_e32 v74, v35, v21
	ds_read_b128 v[18:21], v62 offset:160
	ds_read_b128 v[32:35], v62 offset:176
	s_waitcnt vmcnt(15)
	v_fmac_f32_e32 v73, v36, v16
	v_fmac_f32_e32 v74, v37, v17
	global_load_dwordx2 v[30:31], v[38:39], off offset:1024
	global_load_dwordx2 v[24:25], v[38:39], off offset:1536
	;; [unrolled: 1-line block ×3, first 2 shown]
	v_add_co_u32_e64 v76, s[4:5], s56, v2
	v_addc_co_u32_e64 v77, s[4:5], 0, v3, s[4:5]
	s_waitcnt vmcnt(17) lgkmcnt(1)
	v_fmac_f32_e32 v73, v18, v14
	v_fmac_f32_e32 v74, v19, v15
	s_waitcnt vmcnt(16)
	v_fmac_f32_e32 v73, v20, v12
	v_fmac_f32_e32 v74, v21, v13
	s_waitcnt vmcnt(15) lgkmcnt(0)
	v_fmac_f32_e32 v73, v32, v10
	v_fmac_f32_e32 v74, v33, v11
	ds_read_b128 v[12:15], v62 offset:192
	ds_read_b128 v[18:21], v62 offset:208
	s_waitcnt vmcnt(14)
	v_fmac_f32_e32 v73, v34, v4
	v_fmac_f32_e32 v74, v35, v5
	global_load_dwordx2 v[36:37], v[38:39], off offset:2560
	global_load_dwordx2 v[34:35], v[38:39], off offset:3072
	;; [unrolled: 1-line block ×3, first 2 shown]
	v_add_co_u32_e64 v38, s[4:5], s57, v2
	v_addc_co_u32_e64 v39, s[4:5], 0, v3, s[4:5]
	global_load_dwordx2 v[16:17], v[38:39], off offset:-4096
	v_cmp_lt_i32_e64 s[4:5], v70, v71
	s_waitcnt vmcnt(17) lgkmcnt(1)
	v_fmac_f32_e32 v73, v12, v40
	v_fmac_f32_e32 v74, v13, v41
	global_load_dwordx2 v[12:13], v[76:77], off offset:512
	s_waitcnt vmcnt(16)
	v_fmac_f32_e32 v73, v52, v14
	v_fmac_f32_e32 v74, v53, v15
	s_waitcnt vmcnt(15) lgkmcnt(0)
	v_fmac_f32_e32 v73, v54, v18
	v_fmac_f32_e32 v74, v55, v19
	ds_read_b128 v[2:5], v62 offset:224
	ds_read_b128 v[52:55], v62 offset:240
	global_load_dwordx2 v[14:15], v[76:77], off offset:1024
	global_load_dwordx2 v[10:11], v[76:77], off offset:1536
	s_waitcnt vmcnt(16)
	v_fmac_f32_e32 v73, v50, v20
	v_fmac_f32_e32 v74, v51, v21
	s_waitcnt vmcnt(15) lgkmcnt(1)
	v_fmac_f32_e32 v73, v48, v2
	v_fmac_f32_e32 v74, v49, v3
	s_waitcnt vmcnt(14)
	v_fmac_f32_e32 v73, v46, v4
	v_fmac_f32_e32 v74, v47, v5
	ds_read_b128 v[46:49], v62 offset:256
	ds_read_b128 v[2:5], v62 offset:272
	s_waitcnt vmcnt(13) lgkmcnt(2)
	v_fmac_f32_e32 v73, v28, v52
	v_fmac_f32_e32 v74, v29, v53
	s_waitcnt vmcnt(12)
	v_fmac_f32_e32 v73, v26, v54
	v_fmac_f32_e32 v74, v27, v55
	global_load_dwordx2 v[28:29], v[76:77], off offset:2048
	global_load_dwordx2 v[26:27], v[76:77], off offset:2560
	;; [unrolled: 1-line block ×4, first 2 shown]
	s_waitcnt vmcnt(15) lgkmcnt(1)
	v_fmac_f32_e32 v73, v42, v46
	v_fmac_f32_e32 v74, v43, v47
	ds_read_b128 v[50:53], v62 offset:288
	ds_read_b128 v[76:79], v62 offset:304
	global_load_dwordx2 v[46:47], v[38:39], off
	s_waitcnt vmcnt(15)
	v_fmac_f32_e32 v73, v44, v48
	v_fmac_f32_e32 v74, v45, v49
	global_load_dwordx2 v[48:49], v[38:39], off offset:512
	global_load_dwordx2 v[42:43], v[38:39], off offset:1024
	;; [unrolled: 1-line block ×3, first 2 shown]
	s_waitcnt vmcnt(17) lgkmcnt(2)
	v_fmac_f32_e32 v73, v30, v2
	v_fmac_f32_e32 v74, v31, v3
	s_waitcnt vmcnt(16)
	v_fmac_f32_e32 v73, v24, v4
	v_fmac_f32_e32 v74, v25, v5
	s_waitcnt vmcnt(15) lgkmcnt(1)
	v_fmac_f32_e32 v73, v22, v50
	v_fmac_f32_e32 v74, v23, v51
	global_load_dwordx2 v[40:41], v[38:39], off offset:2048
	global_load_dwordx2 v[30:31], v[38:39], off offset:2560
	global_load_dwordx2 v[24:25], v[38:39], off offset:3072
	global_load_dwordx2 v[22:23], v[38:39], off offset:3584
	global_load_dwordx2 v[4:5], v[8:9], off
	global_load_dwordx2 v[2:3], v[8:9], off offset:512
	s_waitcnt vmcnt(20)
	v_fmac_f32_e32 v73, v36, v52
	v_fmac_f32_e32 v74, v37, v53
	s_waitcnt vmcnt(19) lgkmcnt(0)
	v_fmac_f32_e32 v73, v34, v76
	v_fmac_f32_e32 v74, v35, v77
	ds_read_b128 v[34:37], v62 offset:320
	ds_read_b128 v[50:53], v62 offset:336
	s_waitcnt vmcnt(18)
	v_fmac_f32_e32 v73, v32, v78
	v_fmac_f32_e32 v74, v33, v79
	global_load_dwordx2 v[32:33], v[8:9], off offset:1024
	s_waitcnt vmcnt(18) lgkmcnt(1)
	v_fmac_f32_e32 v73, v16, v34
	v_fmac_f32_e32 v74, v17, v35
	global_load_dwordx2 v[34:35], v[8:9], off offset:1536
	s_waitcnt vmcnt(18)
	v_fmac_f32_e32 v73, v12, v36
	v_fmac_f32_e32 v74, v13, v37
	global_load_dwordx2 v[16:17], v[8:9], off offset:2048
	global_load_dwordx2 v[12:13], v[8:9], off offset:2560
	s_nop 0
	global_load_dwordx2 v[8:9], v[8:9], off offset:3072
	ds_read_b128 v[36:39], v62 offset:352
	s_waitcnt vmcnt(20) lgkmcnt(1)
	v_fmac_f32_e32 v73, v14, v50
	v_fmac_f32_e32 v74, v15, v51
	s_waitcnt vmcnt(19)
	v_fmac_f32_e32 v73, v10, v52
	v_fmac_f32_e32 v74, v11, v53
	ds_read_b128 v[50:53], v62 offset:368
	v_cndmask_b32_e64 v10, v69, v70, s[4:5]
	v_lshlrev_b32_e32 v10, 2, v10
	s_waitcnt vmcnt(18) lgkmcnt(1)
	v_fmac_f32_e32 v73, v28, v36
	v_fmac_f32_e32 v74, v29, v37
	s_waitcnt vmcnt(17)
	v_fmac_f32_e32 v73, v26, v38
	v_fmac_f32_e32 v74, v27, v39
	ds_read_b128 v[26:29], v62 offset:384
	s_waitcnt vmcnt(16) lgkmcnt(1)
	v_fmac_f32_e32 v73, v20, v50
	v_fmac_f32_e32 v74, v21, v51
	s_waitcnt vmcnt(15)
	v_fmac_f32_e32 v73, v18, v52
	v_fmac_f32_e32 v74, v19, v53
	ds_read_b128 v[18:21], v62 offset:400
	;; [unrolled: 7-line block ×8, first 2 shown]
	s_waitcnt vmcnt(2) lgkmcnt(1)
	v_fmac_f32_e32 v73, v16, v2
	v_fmac_f32_e32 v74, v17, v3
	s_waitcnt vmcnt(1)
	v_fmac_f32_e32 v73, v12, v4
	v_fmac_f32_e32 v74, v13, v5
	s_waitcnt vmcnt(0) lgkmcnt(0)
	v_fmac_f32_e32 v73, v8, v18
	v_fmac_f32_e32 v74, v9, v19
	;; [unrolled: 1-line block ×4, first 2 shown]
	v_add_f32_e32 v2, v73, v74
	ds_bpermute_b32 v3, v10, v2
	s_and_saveexec_b64 s[44:45], vcc
	s_cbranch_execz .LBB53_12
; %bb.18:                               ;   in Loop: Header=BB53_14 Depth=1
	v_add_u32_e32 v4, v67, v65
	v_cvt_f32_i32_e32 v4, v4
	s_waitcnt lgkmcnt(0)
	v_add_f32_e32 v2, v2, v3
	v_add_u32_e32 v5, v59, v65
	v_cmp_gt_i32_e64 s[4:5], s29, v5
	v_mul_f32_e32 v3, s49, v4
	v_cndmask_b32_e64 v3, 0, v3, s[2:3]
	v_fmac_f32_e32 v3, s39, v2
	v_cndmask_b32_e64 v2, 0, v3, s[4:5]
	ds_write_b32 v66, v2
	v_max_f32_e32 v2, v64, v64
	v_max_f32_e32 v2, v2, v3
	v_cndmask_b32_e64 v64, v64, v2, s[4:5]
	s_branch .LBB53_12
.LBB53_19:
	s_or_b64 exec, exec, s[42:43]
.LBB53_20:
	s_or_b64 exec, exec, s[40:41]
	v_mbcnt_hi_u32_b32 v2, -1, v58
	v_and_b32_e32 v0, 64, v2
	v_add_u32_e32 v6, 64, v0
	v_xor_b32_e32 v0, 32, v2
	v_cmp_lt_i32_e32 vcc, v0, v6
	v_cndmask_b32_e32 v0, v2, v0, vcc
	v_lshlrev_b32_e32 v0, 2, v0
	ds_bpermute_b32 v1, v0, v64
	v_xor_b32_e32 v4, 16, v2
	s_waitcnt lgkmcnt(1)
	v_max_f32_e32 v3, v64, v64
	v_cmp_lt_i32_e32 vcc, v4, v6
	v_xor_b32_e32 v5, 8, v2
	s_waitcnt lgkmcnt(0)
	v_max_f32_e32 v1, v1, v1
	v_max_f32_e32 v3, v3, v1
	v_cndmask_b32_e32 v1, v2, v4, vcc
	v_lshlrev_b32_e32 v1, 2, v1
	ds_bpermute_b32 v4, v1, v3
	v_cmp_lt_i32_e32 vcc, v5, v6
	v_xor_b32_e32 v7, 4, v2
	v_and_b32_e32 v44, 63, v75
	s_waitcnt lgkmcnt(0)
	v_max_f32_e32 v4, v4, v4
	v_max_f32_e32 v4, v3, v4
	v_cndmask_b32_e32 v3, v2, v5, vcc
	v_lshlrev_b32_e32 v3, 2, v3
	ds_bpermute_b32 v5, v3, v4
	v_cmp_lt_i32_e32 vcc, v7, v6
	s_waitcnt lgkmcnt(0)
	v_max_f32_e32 v5, v5, v5
	v_max_f32_e32 v4, v4, v5
	v_cndmask_b32_e32 v5, v2, v7, vcc
	v_lshlrev_b32_e32 v37, 2, v5
	ds_bpermute_b32 v5, v37, v4
	v_xor_b32_e32 v7, 2, v2
	v_cmp_lt_i32_e32 vcc, v7, v6
	s_waitcnt lgkmcnt(0)
	v_max_f32_e32 v5, v5, v5
	v_max_f32_e32 v5, v4, v5
	v_cndmask_b32_e32 v4, v2, v7, vcc
	v_lshlrev_b32_e32 v43, 2, v4
	ds_bpermute_b32 v7, v43, v5
	v_cmp_eq_u32_e32 vcc, 0, v44
	v_lshlrev_b32_e32 v4, 2, v57
	s_and_saveexec_b64 s[2:3], vcc
	s_cbranch_execz .LBB53_22
; %bb.21:
	s_waitcnt lgkmcnt(0)
	v_max_f32_e32 v7, v7, v7
	v_max_f32_e32 v5, v5, v5
	;; [unrolled: 1-line block ×3, first 2 shown]
	ds_write_b32 v4, v5 offset:1024
.LBB53_22:
	s_or_b64 exec, exec, s[2:3]
	v_cmp_gt_u32_e64 s[2:3], 2, v44
	s_waitcnt lgkmcnt(0)
	v_mov_b32_e32 v7, 0xff7fffff
	v_lshlrev_b32_e32 v5, 2, v44
	s_barrier
	s_and_saveexec_b64 s[4:5], s[2:3]
	s_cbranch_execz .LBB53_24
; %bb.23:
	ds_read_b32 v7, v5 offset:1024
.LBB53_24:
	s_or_b64 exec, exec, s[4:5]
	v_xor_b32_e32 v8, 1, v2
	v_cmp_lt_i32_e64 s[4:5], v8, v6
	v_cndmask_b32_e64 v6, v2, v8, s[4:5]
	v_lshlrev_b32_e32 v45, 2, v6
	s_waitcnt lgkmcnt(0)
	ds_bpermute_b32 v6, v45, v7
	v_max_f32_e32 v7, v7, v7
	v_lshlrev_b32_e32 v2, 2, v2
	s_sub_i32 s4, s47, s38
	s_lshl_b32 s4, s4, 5
	s_waitcnt lgkmcnt(0)
	v_max_f32_e32 v6, v6, v6
	v_max_f32_e32 v7, v7, v6
	v_and_b32_e32 v6, 0x100, v2
	ds_bpermute_b32 v2, v6, v7
	s_add_i32 s4, s4, s48
	s_min_i32 s42, s4, s29
	s_sub_i32 s19, s42, s48
	v_cmp_gt_i32_e64 s[4:5], s19, v75
	v_mov_b32_e32 v7, 0
	s_and_saveexec_b64 s[38:39], s[4:5]
	s_cbranch_execz .LBB53_28
; %bb.25:
	v_mov_b32_e32 v7, 0x410
	v_lshl_add_u32 v8, v75, 2, v7
	s_mov_b64 s[40:41], 0
	v_mov_b32_e32 v7, 0
	v_mov_b32_e32 v9, v75
.LBB53_26:                              ; =>This Inner Loop Header: Depth=1
	ds_read_b32 v10, v8
	v_add_u32_e32 v9, 0x80, v9
	v_cmp_le_i32_e64 s[10:11], s19, v9
	s_or_b64 s[40:41], s[10:11], s[40:41]
	s_waitcnt lgkmcnt(0)
	v_sub_f32_e32 v10, v10, v2
	v_mul_f32_e32 v10, 0x3fb8aa3b, v10
	v_exp_f32_e32 v10, v10
	ds_write_b32 v8, v10
	v_add_f32_e32 v7, v7, v10
	v_add_u32_e32 v8, 0x200, v8
	s_andn2_b64 exec, exec, s[40:41]
	s_cbranch_execnz .LBB53_26
; %bb.27:
	s_or_b64 exec, exec, s[40:41]
.LBB53_28:
	s_or_b64 exec, exec, s[38:39]
	ds_bpermute_b32 v0, v0, v7
	s_waitcnt lgkmcnt(0)
	v_add_f32_e32 v0, v7, v0
	ds_bpermute_b32 v1, v1, v0
	s_waitcnt lgkmcnt(0)
	v_add_f32_e32 v0, v0, v1
	;; [unrolled: 3-line block ×6, first 2 shown]
	s_and_saveexec_b64 s[10:11], vcc
	s_cbranch_execz .LBB53_30
; %bb.29:
	ds_write_b32 v4, v0 offset:1032
.LBB53_30:
	s_or_b64 exec, exec, s[10:11]
	s_waitcnt lgkmcnt(0)
	s_barrier
	s_and_saveexec_b64 s[10:11], s[2:3]
	s_cbranch_execz .LBB53_32
; %bb.31:
	ds_read_b32 v0, v5 offset:1032
.LBB53_32:
	s_or_b64 exec, exec, s[10:11]
	s_waitcnt lgkmcnt(0)
	ds_bpermute_b32 v1, v45, v0
	s_waitcnt lgkmcnt(0)
	v_add_f32_e32 v0, v0, v1
	ds_bpermute_b32 v3, v6, v0
	s_and_saveexec_b64 s[2:3], s[4:5]
	s_cbranch_execz .LBB53_45
; %bb.33:
	s_waitcnt lgkmcnt(0)
	v_add_f32_e32 v0, 0x358637bd, v3
	v_div_scale_f32 v1, s[4:5], v0, v0, 1.0
	v_rcp_f32_e32 v4, v1
	v_div_scale_f32 v5, vcc, 1.0, v0, 1.0
	s_movk_i32 s4, 0x7f
	v_fma_f32 v6, -v1, v4, 1.0
	v_fmac_f32_e32 v4, v6, v4
	v_mul_f32_e32 v6, v5, v4
	v_fma_f32 v7, -v1, v6, v5
	v_fmac_f32_e32 v6, v7, v4
	v_fma_f32 v1, -v1, v6, v5
	v_div_fmas_f32 v1, v1, v4, v6
	v_div_fixup_f32 v0, v1, v0, 1.0
	v_xad_u32 v1, v75, -1, s42
	v_subrev_u32_e32 v4, s48, v1
	v_cmp_lt_u32_e32 vcc, s4, v4
	s_mov_b64 s[10:11], -1
	v_mov_b32_e32 v1, v75
	s_and_saveexec_b64 s[4:5], vcc
	s_cbranch_execz .LBB53_42
; %bb.34:
	v_lshrrev_b32_e32 v4, 7, v4
	v_add_u32_e32 v6, -1, v4
	v_lshrrev_b32_e32 v5, 1, v6
	v_mov_b32_e32 v1, v0
	v_add_u32_e32 v5, 1, v5
	v_cmp_lt_u32_e32 vcc, 13, v6
	v_mov_b32_e32 v8, 0
	s_and_saveexec_b64 s[10:11], vcc
	s_cbranch_execz .LBB53_38
; %bb.35:
	v_mov_b32_e32 v7, 0x410
	v_and_b32_e32 v6, -8, v5
	v_lshl_add_u32 v7, v75, 2, v7
	s_mov_b32 s40, 0
	s_mov_b64 s[38:39], 0
.LBB53_36:                              ; =>This Inner Loop Header: Depth=1
	ds_read2st64_b32 v[8:9], v7 offset1:2
	ds_read2st64_b32 v[10:11], v7 offset0:4 offset1:6
	ds_read2st64_b32 v[12:13], v7 offset0:8 offset1:10
	;; [unrolled: 1-line block ×3, first 2 shown]
	v_add_u32_e32 v6, -8, v6
	s_waitcnt lgkmcnt(3)
	v_pk_mul_f32 v[8:9], v[0:1], v[8:9]
	s_waitcnt lgkmcnt(2)
	v_pk_mul_f32 v[10:11], v[0:1], v[10:11]
	ds_write2st64_b32 v7, v8, v9 offset1:2
	ds_write2st64_b32 v7, v10, v11 offset0:4 offset1:6
	ds_read2st64_b32 v[10:11], v7 offset0:16 offset1:18
	s_waitcnt lgkmcnt(4)
	v_pk_mul_f32 v[8:9], v[0:1], v[12:13]
	ds_write2st64_b32 v7, v8, v9 offset0:8 offset1:10
	s_waitcnt lgkmcnt(4)
	v_pk_mul_f32 v[8:9], v[0:1], v[14:15]
	ds_write2st64_b32 v7, v8, v9 offset0:12 offset1:14
	ds_read2st64_b32 v[8:9], v7 offset0:20 offset1:22
	s_waitcnt lgkmcnt(3)
	v_pk_mul_f32 v[10:11], v[0:1], v[10:11]
	ds_read2st64_b32 v[12:13], v7 offset0:24 offset1:26
	ds_write2st64_b32 v7, v10, v11 offset0:16 offset1:18
	ds_read2st64_b32 v[10:11], v7 offset0:28 offset1:30
	s_waitcnt lgkmcnt(3)
	v_pk_mul_f32 v[8:9], v[0:1], v[8:9]
	ds_write2st64_b32 v7, v8, v9 offset0:20 offset1:22
	s_waitcnt lgkmcnt(3)
	v_pk_mul_f32 v[8:9], v[0:1], v[12:13]
	ds_write2st64_b32 v7, v8, v9 offset0:24 offset1:26
	s_waitcnt lgkmcnt(2)
	v_pk_mul_f32 v[8:9], v[0:1], v[10:11]
	s_add_i32 s40, s40, 16
	v_cmp_eq_u32_e32 vcc, 0, v6
	ds_write2st64_b32 v7, v8, v9 offset0:28 offset1:30
	v_add_u32_e32 v7, 0x2000, v7
	s_or_b64 s[38:39], vcc, s[38:39]
	v_mov_b32_e32 v8, s40
	s_andn2_b64 exec, exec, s[38:39]
	s_cbranch_execnz .LBB53_36
; %bb.37:
	s_or_b64 exec, exec, s[38:39]
.LBB53_38:
	s_or_b64 exec, exec, s[10:11]
	v_and_b32_e32 v5, 7, v5
	v_cmp_ne_u32_e32 vcc, 0, v5
	s_and_saveexec_b64 s[10:11], vcc
	s_cbranch_execz .LBB53_41
; %bb.39:
	v_lshlrev_b32_e32 v6, 9, v8
	s_movk_i32 s38, 0x410
	v_add3_u32 v6, v6, v56, s38
	s_mov_b64 s[38:39], 0
.LBB53_40:                              ; =>This Inner Loop Header: Depth=1
	ds_read2st64_b32 v[8:9], v6 offset1:2
	v_add_u32_e32 v5, -1, v5
	v_cmp_eq_u32_e32 vcc, 0, v5
	s_or_b64 s[38:39], vcc, s[38:39]
	s_waitcnt lgkmcnt(0)
	v_pk_mul_f32 v[8:9], v[0:1], v[8:9]
	ds_write2st64_b32 v6, v8, v9 offset1:2
	v_add_u32_e32 v6, 0x400, v6
	s_andn2_b64 exec, exec, s[38:39]
	s_cbranch_execnz .LBB53_40
.LBB53_41:
	s_or_b64 exec, exec, s[10:11]
	v_add_u32_e32 v4, 1, v4
	v_and_b32_e32 v5, 0x3fffffe, v4
	v_cmp_ne_u32_e32 vcc, v4, v5
	v_lshl_add_u32 v1, v5, 7, v75
	s_orn2_b64 s[10:11], vcc, exec
.LBB53_42:
	s_or_b64 exec, exec, s[4:5]
	s_and_b64 exec, exec, s[10:11]
	s_cbranch_execz .LBB53_45
; %bb.43:
	v_mov_b32_e32 v4, 0x410
	v_lshl_add_u32 v4, v1, 2, v4
	s_mov_b64 s[4:5], 0
.LBB53_44:                              ; =>This Inner Loop Header: Depth=1
	ds_read_b32 v5, v4
	v_add_u32_e32 v1, 0x80, v1
	v_cmp_le_i32_e32 vcc, s19, v1
	s_or_b64 s[4:5], vcc, s[4:5]
	s_waitcnt lgkmcnt(0)
	v_mul_f32_e32 v5, v0, v5
	ds_write_b32 v4, v5
	v_add_u32_e32 v4, 0x200, v4
	s_andn2_b64 exec, exec, s[4:5]
	s_cbranch_execnz .LBB53_44
.LBB53_45:
	s_or_b64 exec, exec, s[2:3]
	s_mul_i32 s2, s15, s28
	v_cmp_eq_u32_e32 vcc, 0, v75
	s_mul_i32 s2, s2, s9
	s_waitcnt lgkmcnt(0)
	s_barrier
	s_and_saveexec_b64 s[4:5], vcc
	s_cbranch_execz .LBB53_47
; %bb.46:
	s_ashr_i32 s3, s2, 31
	s_lshl_b64 s[10:11], s[2:3], 2
	s_add_u32 s3, s22, s10
	s_mul_i32 s22, s15, s6
	s_addc_u32 s9, s23, s11
	s_ashr_i32 s23, s22, 31
	s_lshl_b64 s[22:23], s[22:23], 2
	s_add_u32 s3, s3, s22
	s_addc_u32 s6, s9, s23
	s_ashr_i32 s9, s8, 31
	s_lshl_b64 s[38:39], s[8:9], 2
	s_add_u32 s40, s3, s38
	s_addc_u32 s41, s6, s39
	s_add_u32 s3, s20, s10
	s_addc_u32 s6, s21, s11
	s_add_u32 s3, s3, s22
	s_addc_u32 s6, s6, s23
	s_add_u32 s10, s3, s38
	v_mov_b32_e32 v0, 0
	s_addc_u32 s11, s6, s39
	global_store_dword v0, v2, s[40:41]
	global_store_dword v0, v3, s[10:11]
.LBB53_47:
	s_or_b64 exec, exec, s[4:5]
	v_mov_b32_e32 v4, 0
	v_and_b32_e32 v47, 7, v75
	v_mov_b32_e32 v5, 0
	v_mov_b32_e32 v6, 0
	;; [unrolled: 1-line block ×31, first 2 shown]
	s_and_saveexec_b64 s[4:5], s[0:1]
	s_cbranch_execz .LBB53_117
; %bb.48:
	s_ashr_i32 s19, s18, 31
	s_sub_i32 s3, s12, s13
	s_lshl_b64 s[0:1], s[18:19], 2
	s_mov_b32 s9, s17
	s_add_u32 s17, s36, s0
	v_and_b32_e32 v0, 28, v56
	s_addc_u32 s18, s37, s1
	s_abs_i32 s14, s14
	buffer_store_dword v45, off, s[60:63], 0 offset:328 ; 4-byte Folded Spill
	buffer_store_dword v37, off, s[60:63], 0 offset:324 ; 4-byte Folded Spill
	;; [unrolled: 1-line block ×6, first 2 shown]
	v_cvt_f32_u32_e32 v0, s14
	s_sub_i32 s0, 0, s14
	v_and_b32_e32 v2, 0xfc, v56
	v_or_b32_e32 v4, 0x400, v2
	v_rcp_iflag_f32_e32 v0, v0
	v_or_b32_e32 v6, 0x500, v2
	v_or_b32_e32 v8, 0x600, v2
	;; [unrolled: 1-line block ×3, first 2 shown]
	v_mul_f32_e32 v0, 0x4f7ffffe, v0
	v_cvt_u32_f32_e32 v0, v0
	v_or_b32_e32 v12, 0x800, v2
	v_or_b32_e32 v14, 0x900, v2
	;; [unrolled: 1-line block ×3, first 2 shown]
	v_mul_lo_u32 v1, s0, v0
	v_mul_hi_u32 v1, v0, v1
	v_add_u32_e32 v0, v0, v1
	buffer_store_dword v0, off, s[60:63], 0 offset:164 ; 4-byte Folded Spill
	buffer_load_dword v0, off, s[60:63], 0  ; 4-byte Folded Reload
	s_nop 0
	buffer_load_dword v1, off, s[60:63], 0 offset:4 ; 4-byte Folded Reload
	v_or_b32_e32 v18, 0xb00, v2
	v_or_b32_e32 v20, 0xc00, v2
	;; [unrolled: 1-line block ×19, first 2 shown]
	v_lshlrev_b32_e32 v2, 2, v2
	buffer_store_dword v2, off, s[60:63], 0 offset:196 ; 4-byte Folded Spill
	v_lshlrev_b32_e32 v2, 2, v4
	buffer_store_dword v2, off, s[60:63], 0 offset:200 ; 4-byte Folded Spill
	;; [unrolled: 2-line block ×10, first 2 shown]
	v_lshlrev_b32_e32 v2, 2, v22
	v_or_b32_e32 v26, 0xf00, v56
	buffer_store_dword v2, off, s[60:63], 0 offset:236 ; 4-byte Folded Spill
	v_lshlrev_b32_e32 v2, 2, v24
	buffer_store_dword v2, off, s[60:63], 0 offset:240 ; 4-byte Folded Spill
	v_lshlrev_b32_e32 v2, 2, v26
	;; [unrolled: 2-line block ×12, first 2 shown]
	s_add_i32 s19, s7, -1
	s_lshl_b64 s[0:1], s[34:35], 2
	buffer_store_dword v2, off, s[60:63], 0 offset:284 ; 4-byte Folded Spill
	v_lshlrev_b32_e32 v2, 2, v48
	s_add_u32 s0, s30, s0
	buffer_store_dword v2, off, s[60:63], 0 offset:288 ; 4-byte Folded Spill
	v_lshlrev_b32_e32 v2, 2, v50
	s_addc_u32 s1, s31, s1
	buffer_store_dword v2, off, s[60:63], 0 offset:292 ; 4-byte Folded Spill
	v_lshlrev_b32_e32 v2, 2, v52
	v_mov_b32_e32 v3, s1
	buffer_store_dword v2, off, s[60:63], 0 offset:296 ; 4-byte Folded Spill
	v_lshlrev_b32_e32 v2, 2, v54
	v_or_b32_e32 v56, 0x1f00, v56
	s_waitcnt vmcnt(26)
	v_lshlrev_b64 v[0:1], 2, v[0:1]
	v_add_co_u32_e32 v0, vcc, s0, v0
	v_addc_co_u32_e32 v1, vcc, v3, v1, vcc
	v_lshlrev_b32_e32 v3, 4, v47
	buffer_store_dword v2, off, s[60:63], 0 offset:300 ; 4-byte Folded Spill
	v_lshlrev_b32_e32 v2, 2, v58
	v_mov_b32_e32 v5, 0
	v_lshl_or_b32 v3, v57, 7, v3
	buffer_store_dword v2, off, s[60:63], 0 offset:304 ; 4-byte Folded Spill
	v_lshlrev_b32_e32 v2, 2, v56
	v_add_u32_e32 v127, 0x410, v3
	buffer_store_dword v2, off, s[60:63], 0 offset:308 ; 4-byte Folded Spill
	v_mov_b32_e32 v3, v5
	v_mov_b32_e32 v2, v5
	buffer_store_dword v47, off, s[60:63], 0 offset:332 ; 4-byte Folded Spill
	buffer_store_dword v2, off, s[60:63], 0 offset:68 ; 4-byte Folded Spill
	s_nop 0
	buffer_store_dword v3, off, s[60:63], 0 offset:72 ; 4-byte Folded Spill
	buffer_store_dword v2, off, s[60:63], 0 offset:76 ; 4-byte Folded Spill
	s_nop 0
	;; [unrolled: 3-line block ×9, first 2 shown]
	buffer_store_dword v3, off, s[60:63], 0 offset:136 ; 4-byte Folded Spill
	s_mov_b64 s[6:7], 0
	v_mov_b32_e32 v4, v5
	v_mov_b32_e32 v17, v5
	;; [unrolled: 1-line block ×7, first 2 shown]
	buffer_store_dword v2, off, s[60:63], 0 offset:140 ; 4-byte Folded Spill
	s_nop 0
	buffer_store_dword v3, off, s[60:63], 0 offset:144 ; 4-byte Folded Spill
	buffer_store_dword v2, off, s[60:63], 0 offset:148 ; 4-byte Folded Spill
	s_nop 0
	buffer_store_dword v3, off, s[60:63], 0 offset:152 ; 4-byte Folded Spill
	;; [unrolled: 3-line block ×4, first 2 shown]
	s_branch .LBB53_51
.LBB53_49:                              ;   in Loop: Header=BB53_51 Depth=1
	s_or_b64 exec, exec, s[0:1]
	s_waitcnt lgkmcnt(0)
	v_mul_f32_e32 v16, v3, v87
	v_fmac_f32_e32 v16, v2, v86
	v_fmac_f32_e32 v16, v4, v88
	;; [unrolled: 1-line block ×3, first 2 shown]
	buffer_load_dword v86, off, s[60:63], 0 offset:60 ; 4-byte Folded Reload
	buffer_load_dword v87, off, s[60:63], 0 offset:64 ; 4-byte Folded Reload
	;; [unrolled: 1-line block ×4, first 2 shown]
	v_mul_f32_e32 v7, v3, v7
	v_fmac_f32_e32 v7, v2, v6
	v_mul_f32_e32 v6, v3, v123
	v_fmac_f32_e32 v6, v2, v122
	v_fmac_f32_e32 v7, v4, v8
	v_fmac_f32_e32 v6, v4, v124
	v_fmac_f32_e32 v7, v5, v9
	v_fmac_f32_e32 v6, v5, v125
	v_mul_f32_e32 v8, v3, v119
	v_mul_f32_e32 v9, v3, v115
	v_fmac_f32_e32 v8, v2, v118
	v_fmac_f32_e32 v9, v2, v114
	;; [unrolled: 1-line block ×6, first 2 shown]
	v_mul_f32_e32 v11, v3, v11
	v_fmac_f32_e32 v11, v2, v10
	v_fmac_f32_e32 v11, v4, v12
	v_mul_f32_e32 v10, v3, v111
	v_mul_f32_e32 v12, v3, v103
	v_fmac_f32_e32 v10, v2, v110
	v_fmac_f32_e32 v12, v2, v102
	;; [unrolled: 1-line block ×7, first 2 shown]
	v_mul_f32_e32 v13, v3, v99
	v_mul_f32_e32 v14, v3, v95
	v_fmac_f32_e32 v13, v2, v98
	v_fmac_f32_e32 v14, v2, v94
	;; [unrolled: 1-line block ×6, first 2 shown]
	v_mul_f32_e32 v15, v3, v91
	v_fmac_f32_e32 v15, v2, v90
	v_fmac_f32_e32 v15, v4, v92
	;; [unrolled: 1-line block ×3, first 2 shown]
	s_waitcnt vmcnt(3)
	v_add_f32_e32 v86, v86, v11
	s_waitcnt vmcnt(0)
	v_add_f32_e32 v89, v89, v7
	v_add_f32_e32 v88, v88, v6
	buffer_store_dword v88, off, s[60:63], 0 offset:68 ; 4-byte Folded Spill
	s_nop 0
	buffer_store_dword v89, off, s[60:63], 0 offset:72 ; 4-byte Folded Spill
	buffer_load_dword v6, off, s[60:63], 0 offset:76 ; 4-byte Folded Reload
	buffer_load_dword v7, off, s[60:63], 0 offset:80 ; 4-byte Folded Reload
	s_waitcnt vmcnt(0)
	v_add_f32_e32 v7, v7, v8
	v_add_f32_e32 v6, v6, v9
	buffer_store_dword v6, off, s[60:63], 0 offset:76 ; 4-byte Folded Spill
	s_nop 0
	buffer_store_dword v7, off, s[60:63], 0 offset:80 ; 4-byte Folded Spill
	buffer_load_dword v6, off, s[60:63], 0 offset:84 ; 4-byte Folded Reload
	s_nop 0
	buffer_load_dword v7, off, s[60:63], 0 offset:88 ; 4-byte Folded Reload
	s_waitcnt vmcnt(0)
	v_add_f32_e32 v7, v7, v10
	v_add_f32_e32 v6, v6, v12
	buffer_store_dword v6, off, s[60:63], 0 offset:84 ; 4-byte Folded Spill
	s_nop 0
	buffer_store_dword v7, off, s[60:63], 0 offset:88 ; 4-byte Folded Spill
	buffer_load_dword v6, off, s[60:63], 0 offset:92 ; 4-byte Folded Reload
	s_nop 0
	;; [unrolled: 9-line block ×3, first 2 shown]
	buffer_load_dword v7, off, s[60:63], 0 offset:104 ; 4-byte Folded Reload
	s_waitcnt vmcnt(0)
	v_add_f32_e32 v7, v7, v15
	v_add_f32_e32 v6, v6, v16
	buffer_store_dword v6, off, s[60:63], 0 offset:100 ; 4-byte Folded Spill
	s_nop 0
	buffer_store_dword v7, off, s[60:63], 0 offset:104 ; 4-byte Folded Spill
	buffer_load_dword v8, off, s[60:63], 0 offset:108 ; 4-byte Folded Reload
	buffer_load_dword v9, off, s[60:63], 0 offset:112 ; 4-byte Folded Reload
	v_mul_f32_e32 v6, v3, v83
	v_fmac_f32_e32 v6, v2, v82
	v_fmac_f32_e32 v6, v4, v84
	v_fmac_f32_e32 v6, v5, v85
	s_waitcnt vmcnt(0)
	v_add_f32_e32 v9, v9, v6
	v_mul_f32_e32 v6, v3, v79
	v_fmac_f32_e32 v6, v2, v78
	v_fmac_f32_e32 v6, v4, v80
	v_fmac_f32_e32 v6, v5, v81
	v_add_f32_e32 v8, v8, v6
	buffer_store_dword v8, off, s[60:63], 0 offset:108 ; 4-byte Folded Spill
	s_nop 0
	buffer_store_dword v9, off, s[60:63], 0 offset:112 ; 4-byte Folded Spill
	buffer_load_dword v8, off, s[60:63], 0 offset:116 ; 4-byte Folded Reload
	s_nop 0
	buffer_load_dword v9, off, s[60:63], 0 offset:120 ; 4-byte Folded Reload
	v_mul_f32_e32 v6, v3, v75
	v_fmac_f32_e32 v6, v2, v74
	v_fmac_f32_e32 v6, v4, v76
	v_fmac_f32_e32 v6, v5, v77
	s_waitcnt vmcnt(0)
	v_add_f32_e32 v9, v9, v6
	v_mul_f32_e32 v6, v3, v71
	v_fmac_f32_e32 v6, v2, v70
	v_fmac_f32_e32 v6, v4, v72
	v_fmac_f32_e32 v6, v5, v73
	v_add_f32_e32 v8, v8, v6
	buffer_store_dword v8, off, s[60:63], 0 offset:116 ; 4-byte Folded Spill
	s_nop 0
	buffer_store_dword v9, off, s[60:63], 0 offset:120 ; 4-byte Folded Spill
	buffer_load_dword v8, off, s[60:63], 0 offset:124 ; 4-byte Folded Reload
	s_nop 0
	;; [unrolled: 17-line block ×3, first 2 shown]
	buffer_load_dword v9, off, s[60:63], 0 offset:136 ; 4-byte Folded Reload
	v_mul_f32_e32 v6, v3, v59
	v_fmac_f32_e32 v6, v2, v58
	v_fmac_f32_e32 v6, v4, v60
	;; [unrolled: 1-line block ×3, first 2 shown]
	s_waitcnt vmcnt(0)
	v_add_f32_e32 v9, v9, v6
	v_mul_f32_e32 v6, v3, v55
	v_fmac_f32_e32 v6, v2, v54
	v_fmac_f32_e32 v6, v4, v56
	;; [unrolled: 1-line block ×3, first 2 shown]
	v_add_f32_e32 v8, v8, v6
	buffer_store_dword v8, off, s[60:63], 0 offset:132 ; 4-byte Folded Spill
	s_nop 0
	buffer_store_dword v9, off, s[60:63], 0 offset:136 ; 4-byte Folded Spill
	buffer_load_dword v16, off, s[60:63], 0 offset:168 ; 4-byte Folded Reload
	buffer_load_dword v17, off, s[60:63], 0 offset:172 ; 4-byte Folded Reload
	s_nop 0
	buffer_load_dword v8, off, s[60:63], 0 offset:140 ; 4-byte Folded Reload
	buffer_load_dword v9, off, s[60:63], 0 offset:144 ; 4-byte Folded Reload
	v_mul_f32_e32 v6, v3, v51
	v_fmac_f32_e32 v6, v2, v50
	v_fmac_f32_e32 v6, v4, v52
	;; [unrolled: 1-line block ×3, first 2 shown]
	s_waitcnt vmcnt(2)
	v_add_f32_e32 v17, v17, v6
	v_mul_f32_e32 v6, v3, v47
	v_fmac_f32_e32 v6, v2, v46
	v_fmac_f32_e32 v6, v4, v48
	;; [unrolled: 1-line block ×3, first 2 shown]
	v_add_f32_e32 v16, v16, v6
	v_mul_f32_e32 v6, v3, v43
	v_fmac_f32_e32 v6, v2, v42
	v_fmac_f32_e32 v6, v4, v44
	;; [unrolled: 1-line block ×3, first 2 shown]
	s_waitcnt vmcnt(0)
	v_add_f32_e32 v9, v9, v6
	v_mul_f32_e32 v6, v3, v39
	v_fmac_f32_e32 v6, v2, v38
	v_fmac_f32_e32 v6, v4, v40
	;; [unrolled: 1-line block ×3, first 2 shown]
	v_add_f32_e32 v8, v8, v6
	buffer_store_dword v8, off, s[60:63], 0 offset:140 ; 4-byte Folded Spill
	s_nop 0
	buffer_store_dword v9, off, s[60:63], 0 offset:144 ; 4-byte Folded Spill
	buffer_load_dword v14, off, s[60:63], 0 offset:176 ; 4-byte Folded Reload
	buffer_load_dword v15, off, s[60:63], 0 offset:180 ; 4-byte Folded Reload
	s_nop 0
	buffer_load_dword v8, off, s[60:63], 0 offset:184 ; 4-byte Folded Reload
	buffer_load_dword v9, off, s[60:63], 0 offset:188 ; 4-byte Folded Reload
	v_mul_f32_e32 v6, v3, v35
	v_fmac_f32_e32 v6, v2, v34
	v_fmac_f32_e32 v6, v4, v36
	;; [unrolled: 1-line block ×3, first 2 shown]
	buffer_load_dword v10, off, s[60:63], 0 offset:148 ; 4-byte Folded Reload
	buffer_load_dword v11, off, s[60:63], 0 offset:152 ; 4-byte Folded Reload
	s_waitcnt vmcnt(4)
	v_add_f32_e32 v15, v15, v6
	v_mul_f32_e32 v6, v3, v31
	v_fmac_f32_e32 v6, v2, v30
	v_fmac_f32_e32 v6, v4, v32
	;; [unrolled: 1-line block ×3, first 2 shown]
	v_add_f32_e32 v14, v14, v6
	v_mul_f32_e32 v6, v3, v27
	v_fmac_f32_e32 v6, v2, v26
	v_fmac_f32_e32 v6, v4, v28
	;; [unrolled: 1-line block ×3, first 2 shown]
	s_waitcnt vmcnt(2)
	v_add_f32_e32 v9, v9, v6
	v_mul_f32_e32 v6, v3, v23
	v_fmac_f32_e32 v6, v2, v22
	v_fmac_f32_e32 v6, v4, v24
	;; [unrolled: 1-line block ×3, first 2 shown]
	v_add_f32_e32 v8, v8, v6
	v_mul_f32_e32 v6, v3, v19
	v_fmac_f32_e32 v6, v2, v18
	v_fmac_f32_e32 v6, v4, v20
	v_fmac_f32_e32 v6, v5, v21
	buffer_load_dword v18, off, s[60:63], 0 offset:44 ; 4-byte Folded Reload
	buffer_load_dword v19, off, s[60:63], 0 offset:48 ; 4-byte Folded Reload
	;; [unrolled: 1-line block ×4, first 2 shown]
	s_waitcnt vmcnt(4)
	v_add_f32_e32 v11, v11, v6
	s_waitcnt vmcnt(2)
	v_mul_f32_e32 v6, v3, v19
	v_fmac_f32_e32 v6, v2, v18
	s_waitcnt vmcnt(1)
	v_fmac_f32_e32 v6, v4, v20
	s_waitcnt vmcnt(0)
	v_fmac_f32_e32 v6, v5, v21
	v_add_f32_e32 v10, v10, v6
	buffer_store_dword v10, off, s[60:63], 0 offset:148 ; 4-byte Folded Spill
	s_nop 0
	buffer_store_dword v11, off, s[60:63], 0 offset:152 ; 4-byte Folded Spill
	buffer_load_dword v10, off, s[60:63], 0 offset:28 ; 4-byte Folded Reload
	s_nop 0
	buffer_load_dword v11, off, s[60:63], 0 offset:32 ; 4-byte Folded Reload
	buffer_load_dword v12, off, s[60:63], 0 offset:36 ; 4-byte Folded Reload
	;; [unrolled: 1-line block ×3, first 2 shown]
	s_waitcnt vmcnt(2)
	v_mul_f32_e32 v6, v3, v11
	v_fmac_f32_e32 v6, v2, v10
	buffer_load_dword v10, off, s[60:63], 0 offset:156 ; 4-byte Folded Reload
	buffer_load_dword v11, off, s[60:63], 0 offset:160 ; 4-byte Folded Reload
	buffer_load_dword v18, off, s[60:63], 0 offset:12 ; 4-byte Folded Reload
	buffer_load_dword v19, off, s[60:63], 0 offset:16 ; 4-byte Folded Reload
	buffer_load_dword v20, off, s[60:63], 0 offset:20 ; 4-byte Folded Reload
	buffer_load_dword v21, off, s[60:63], 0 offset:24 ; 4-byte Folded Reload
	s_waitcnt vmcnt(7)
	v_fmac_f32_e32 v6, v4, v12
	s_waitcnt vmcnt(6)
	v_fmac_f32_e32 v6, v5, v13
	s_waitcnt vmcnt(4)
	v_add_f32_e32 v11, v11, v6
	s_waitcnt vmcnt(2)
	v_mul_f32_e32 v6, v3, v19
	v_mul_f32_e32 v3, v3, v107
	v_fmac_f32_e32 v6, v2, v18
	v_fmac_f32_e32 v3, v2, v106
	s_waitcnt vmcnt(1)
	v_fmac_f32_e32 v6, v4, v20
	v_fmac_f32_e32 v3, v4, v108
	s_waitcnt vmcnt(0)
	v_fmac_f32_e32 v6, v5, v21
	v_fmac_f32_e32 v3, v5, v109
	v_add_f32_e32 v10, v10, v6
	v_add_f32_e32 v87, v87, v3
	buffer_store_dword v10, off, s[60:63], 0 offset:156 ; 4-byte Folded Spill
	s_nop 0
	buffer_store_dword v11, off, s[60:63], 0 offset:160 ; 4-byte Folded Spill
	buffer_store_dword v86, off, s[60:63], 0 offset:60 ; 4-byte Folded Spill
	s_nop 0
	buffer_store_dword v87, off, s[60:63], 0 offset:64 ; 4-byte Folded Spill
.LBB53_50:                              ;   in Loop: Header=BB53_51 Depth=1
	s_or_b64 exec, exec, s[10:11]
	buffer_load_dword v2, off, s[60:63], 0  ; 4-byte Folded Reload
	buffer_load_dword v3, off, s[60:63], 0 offset:4 ; 4-byte Folded Reload
	buffer_load_dword v80, off, s[60:63], 0 offset:8 ; 4-byte Folded Reload
	v_add_co_u32_e32 v0, vcc, 8, v0
	v_addc_co_u32_e32 v1, vcc, 0, v1, vcc
	v_add_u32_e32 v127, 0x100, v127
	s_waitcnt vmcnt(2)
	v_mov_b32_e32 v4, v2
	v_add_u32_e32 v4, 2, v4
	v_cmp_le_i32_e32 vcc, s47, v4
	s_waitcnt vmcnt(0)
	v_add_u32_e32 v80, 64, v80
	v_mov_b32_e32 v2, v4
	s_or_b64 s[6:7], vcc, s[6:7]
	buffer_store_dword v2, off, s[60:63], 0 ; 4-byte Folded Spill
	s_nop 0
	buffer_store_dword v3, off, s[60:63], 0 offset:4 ; 4-byte Folded Spill
	s_andn2_b64 exec, exec, s[6:7]
	s_cbranch_execz .LBB53_116
.LBB53_51:                              ; =>This Inner Loop Header: Depth=1
	v_sub_u32_e32 v3, 0, v80
	v_max_i32_e32 v3, v80, v3
	v_mul_hi_u32 v4, v3, s25
	v_mul_lo_u32 v5, v4, s16
	v_sub_u32_e32 v3, v3, v5
	v_add_u32_e32 v5, 1, v4
	v_cmp_le_u32_e32 vcc, s16, v3
	v_cndmask_b32_e32 v4, v4, v5, vcc
	v_subrev_u32_e32 v5, s16, v3
	v_cndmask_b32_e32 v3, v3, v5, vcc
	v_ashrrev_i32_e32 v2, 31, v80
	v_add_u32_e32 v5, 1, v4
	v_cmp_le_u32_e32 vcc, s16, v3
	v_xor_b32_e32 v2, s46, v2
	v_cndmask_b32_e32 v3, v4, v5, vcc
	v_xor_b32_e32 v3, v3, v2
	v_sub_u32_e32 v2, v3, v2
	v_add_u32_e32 v3, s33, v2
	v_sub_u32_e32 v5, 0, v3
	v_ashrrev_i32_e32 v4, 31, v3
	v_max_i32_e32 v3, v3, v5
	buffer_load_dword v5, off, s[60:63], 0 offset:164 ; 4-byte Folded Reload
	v_cmp_lt_i32_e64 s[0:1], s3, v2
	buffer_store_dword v80, off, s[60:63], 0 offset:8 ; 4-byte Folded Spill
	s_waitcnt vmcnt(1)
	v_mul_hi_u32 v5, v3, v5
	v_mul_lo_u32 v5, v5, s14
	v_sub_u32_e32 v3, v3, v5
	v_subrev_u32_e32 v5, s14, v3
	v_cmp_le_u32_e32 vcc, s14, v3
	v_cndmask_b32_e32 v3, v3, v5, vcc
	v_subrev_u32_e32 v5, s14, v3
	v_cmp_le_u32_e32 vcc, s14, v3
	v_cndmask_b32_e32 v3, v3, v5, vcc
	v_xor_b32_e32 v3, v3, v4
	v_sub_u32_e32 v3, v3, v4
	v_cmp_eq_u32_e32 vcc, 0, v3
	s_or_b64 s[0:1], vcc, s[0:1]
	s_and_saveexec_b64 s[10:11], s[0:1]
	s_cbranch_execz .LBB53_50
; %bb.52:                               ;   in Loop: Header=BB53_51 Depth=1
	buffer_store_dword v8, off, s[60:63], 0 offset:184 ; 4-byte Folded Spill
	s_nop 0
	buffer_store_dword v9, off, s[60:63], 0 offset:188 ; 4-byte Folded Spill
	buffer_store_dword v14, off, s[60:63], 0 offset:176 ; 4-byte Folded Spill
	s_nop 0
	buffer_store_dword v15, off, s[60:63], 0 offset:180 ; 4-byte Folded Spill
	;; [unrolled: 3-line block ×3, first 2 shown]
	global_load_dword v2, v[0:1], off
	v_mov_b32_e32 v4, s18
	s_waitcnt vmcnt(0)
	v_mad_i64_i32 v[2:3], s[0:1], v2, s9, 0
	v_lshlrev_b64 v[2:3], 2, v[2:3]
	v_add_co_u32_e32 v17, vcc, s17, v2
	buffer_load_dword v2, off, s[60:63], 0 offset:196 ; 4-byte Folded Reload
	v_addc_co_u32_e32 v106, vcc, v4, v3, vcc
	s_waitcnt vmcnt(0)
	v_add_co_u32_e32 v6, vcc, v17, v2
	v_addc_co_u32_e32 v7, vcc, 0, v106, vcc
	global_load_dwordx4 v[2:5], v[6:7], off
	s_waitcnt vmcnt(0)
	buffer_store_dword v2, off, s[60:63], 0 offset:12 ; 4-byte Folded Spill
	s_nop 0
	buffer_store_dword v3, off, s[60:63], 0 offset:16 ; 4-byte Folded Spill
	buffer_store_dword v4, off, s[60:63], 0 offset:20 ; 4-byte Folded Spill
	;; [unrolled: 1-line block ×3, first 2 shown]
	buffer_load_dword v2, off, s[60:63], 0 offset:8 ; 4-byte Folded Reload
	s_nop 0
	buffer_load_dword v3, off, s[60:63], 0 offset:192 ; 4-byte Folded Reload
	s_waitcnt vmcnt(0)
	v_add_u32_e32 v126, v3, v2
	ds_read_b128 v[2:5], v127
	buffer_load_dword v8, off, s[60:63], 0  ; 4-byte Folded Reload
	buffer_load_dword v9, off, s[60:63], 0 offset:4 ; 4-byte Folded Reload
	v_add_u32_e32 v16, 1, v126
	v_add_u32_e32 v15, 2, v126
	;; [unrolled: 1-line block ×3, first 2 shown]
	s_waitcnt vmcnt(1)
	v_cmp_eq_u32_e32 vcc, s19, v8
	s_and_saveexec_b64 s[12:13], vcc
	s_cbranch_execz .LBB53_54
; %bb.53:                               ;   in Loop: Header=BB53_51 Depth=1
	buffer_load_dword v8, off, s[60:63], 0 offset:12 ; 4-byte Folded Reload
	buffer_load_dword v9, off, s[60:63], 0 offset:16 ; 4-byte Folded Reload
	;; [unrolled: 1-line block ×4, first 2 shown]
	v_cmp_gt_i32_e64 s[0:1], s29, v126
	s_waitcnt vmcnt(3)
	v_cndmask_b32_e64 v8, 0, v8, s[0:1]
	v_cmp_gt_i32_e64 s[0:1], s29, v16
	s_waitcnt vmcnt(2)
	v_cndmask_b32_e64 v9, 0, v9, s[0:1]
	;; [unrolled: 3-line block ×4, first 2 shown]
	buffer_store_dword v8, off, s[60:63], 0 offset:12 ; 4-byte Folded Spill
	s_nop 0
	buffer_store_dword v9, off, s[60:63], 0 offset:16 ; 4-byte Folded Spill
	buffer_store_dword v10, off, s[60:63], 0 offset:20 ; 4-byte Folded Spill
	;; [unrolled: 1-line block ×3, first 2 shown]
.LBB53_54:                              ;   in Loop: Header=BB53_51 Depth=1
	s_or_b64 exec, exec, s[12:13]
	global_load_dwordx4 v[8:11], v[6:7], off offset:1024
	s_waitcnt vmcnt(0)
	buffer_store_dword v8, off, s[60:63], 0 offset:28 ; 4-byte Folded Spill
	s_nop 0
	buffer_store_dword v9, off, s[60:63], 0 offset:32 ; 4-byte Folded Spill
	buffer_store_dword v10, off, s[60:63], 0 offset:36 ; 4-byte Folded Spill
	;; [unrolled: 1-line block ×3, first 2 shown]
	s_and_saveexec_b64 s[12:13], vcc
	s_cbranch_execz .LBB53_56
; %bb.55:                               ;   in Loop: Header=BB53_51 Depth=1
	buffer_load_dword v8, off, s[60:63], 0 offset:28 ; 4-byte Folded Reload
	buffer_load_dword v9, off, s[60:63], 0 offset:32 ; 4-byte Folded Reload
	;; [unrolled: 1-line block ×4, first 2 shown]
	v_cmp_gt_i32_e64 s[0:1], s29, v126
	s_waitcnt vmcnt(3)
	v_cndmask_b32_e64 v8, 0, v8, s[0:1]
	v_cmp_gt_i32_e64 s[0:1], s29, v16
	s_waitcnt vmcnt(2)
	v_cndmask_b32_e64 v9, 0, v9, s[0:1]
	;; [unrolled: 3-line block ×4, first 2 shown]
	buffer_store_dword v8, off, s[60:63], 0 offset:28 ; 4-byte Folded Spill
	s_nop 0
	buffer_store_dword v9, off, s[60:63], 0 offset:32 ; 4-byte Folded Spill
	buffer_store_dword v10, off, s[60:63], 0 offset:36 ; 4-byte Folded Spill
	;; [unrolled: 1-line block ×3, first 2 shown]
.LBB53_56:                              ;   in Loop: Header=BB53_51 Depth=1
	s_or_b64 exec, exec, s[12:13]
	global_load_dwordx4 v[8:11], v[6:7], off offset:2048
	s_waitcnt vmcnt(0)
	buffer_store_dword v8, off, s[60:63], 0 offset:44 ; 4-byte Folded Spill
	s_nop 0
	buffer_store_dword v9, off, s[60:63], 0 offset:48 ; 4-byte Folded Spill
	buffer_store_dword v10, off, s[60:63], 0 offset:52 ; 4-byte Folded Spill
	;; [unrolled: 1-line block ×3, first 2 shown]
	s_and_saveexec_b64 s[12:13], vcc
	s_cbranch_execz .LBB53_58
; %bb.57:                               ;   in Loop: Header=BB53_51 Depth=1
	buffer_load_dword v8, off, s[60:63], 0 offset:44 ; 4-byte Folded Reload
	buffer_load_dword v9, off, s[60:63], 0 offset:48 ; 4-byte Folded Reload
	;; [unrolled: 1-line block ×4, first 2 shown]
	v_cmp_gt_i32_e64 s[0:1], s29, v126
	s_waitcnt vmcnt(3)
	v_cndmask_b32_e64 v8, 0, v8, s[0:1]
	v_cmp_gt_i32_e64 s[0:1], s29, v16
	s_waitcnt vmcnt(2)
	v_cndmask_b32_e64 v9, 0, v9, s[0:1]
	;; [unrolled: 3-line block ×4, first 2 shown]
	buffer_store_dword v8, off, s[60:63], 0 offset:44 ; 4-byte Folded Spill
	s_nop 0
	buffer_store_dword v9, off, s[60:63], 0 offset:48 ; 4-byte Folded Spill
	buffer_store_dword v10, off, s[60:63], 0 offset:52 ; 4-byte Folded Spill
	;; [unrolled: 1-line block ×3, first 2 shown]
.LBB53_58:                              ;   in Loop: Header=BB53_51 Depth=1
	s_or_b64 exec, exec, s[12:13]
	global_load_dwordx4 v[18:21], v[6:7], off offset:3072
	s_and_saveexec_b64 s[12:13], vcc
	s_cbranch_execz .LBB53_60
; %bb.59:                               ;   in Loop: Header=BB53_51 Depth=1
	v_cmp_gt_i32_e64 s[0:1], s29, v126
	s_waitcnt vmcnt(0)
	v_cndmask_b32_e64 v18, 0, v18, s[0:1]
	v_cmp_gt_i32_e64 s[0:1], s29, v16
	v_cndmask_b32_e64 v19, 0, v19, s[0:1]
	v_cmp_gt_i32_e64 s[0:1], s29, v15
	v_cndmask_b32_e64 v20, 0, v20, s[0:1]
	v_cmp_gt_i32_e64 s[0:1], s29, v14
	v_cndmask_b32_e64 v21, 0, v21, s[0:1]
.LBB53_60:                              ;   in Loop: Header=BB53_51 Depth=1
	s_or_b64 exec, exec, s[12:13]
	buffer_load_dword v6, off, s[60:63], 0 offset:200 ; 4-byte Folded Reload
	s_waitcnt vmcnt(0)
	v_add_co_u32_e64 v6, s[0:1], v17, v6
	v_addc_co_u32_e64 v7, s[0:1], 0, v106, s[0:1]
	global_load_dwordx4 v[22:25], v[6:7], off
	s_and_saveexec_b64 s[12:13], vcc
	s_cbranch_execz .LBB53_62
; %bb.61:                               ;   in Loop: Header=BB53_51 Depth=1
	v_cmp_gt_i32_e64 s[0:1], s29, v126
	s_waitcnt vmcnt(0)
	v_cndmask_b32_e64 v22, 0, v22, s[0:1]
	v_cmp_gt_i32_e64 s[0:1], s29, v16
	v_cndmask_b32_e64 v23, 0, v23, s[0:1]
	v_cmp_gt_i32_e64 s[0:1], s29, v15
	v_cndmask_b32_e64 v24, 0, v24, s[0:1]
	v_cmp_gt_i32_e64 s[0:1], s29, v14
	v_cndmask_b32_e64 v25, 0, v25, s[0:1]
.LBB53_62:                              ;   in Loop: Header=BB53_51 Depth=1
	s_or_b64 exec, exec, s[12:13]
	buffer_load_dword v6, off, s[60:63], 0 offset:204 ; 4-byte Folded Reload
	s_waitcnt vmcnt(0)
	v_add_co_u32_e64 v6, s[0:1], v17, v6
	v_addc_co_u32_e64 v7, s[0:1], 0, v106, s[0:1]
	global_load_dwordx4 v[26:29], v[6:7], off
	;; [unrolled: 19-line block ×20, first 2 shown]
	s_and_saveexec_b64 s[12:13], vcc
	s_cbranch_execz .LBB53_100
; %bb.99:                               ;   in Loop: Header=BB53_51 Depth=1
	v_cmp_gt_i32_e64 s[0:1], s29, v126
	s_waitcnt vmcnt(0)
	v_cndmask_b32_e64 v98, 0, v98, s[0:1]
	v_cmp_gt_i32_e64 s[0:1], s29, v16
	v_cndmask_b32_e64 v99, 0, v99, s[0:1]
	v_cmp_gt_i32_e64 s[0:1], s29, v15
	;; [unrolled: 2-line block ×3, first 2 shown]
	v_cndmask_b32_e64 v101, 0, v101, s[0:1]
.LBB53_100:                             ;   in Loop: Header=BB53_51 Depth=1
	s_or_b64 exec, exec, s[12:13]
	buffer_load_dword v6, off, s[60:63], 0 offset:280 ; 4-byte Folded Reload
	s_waitcnt vmcnt(0)
	v_add_co_u32_e64 v6, s[0:1], v17, v6
	v_addc_co_u32_e64 v7, s[0:1], 0, v106, s[0:1]
	global_load_dwordx4 v[102:105], v[6:7], off
	s_and_saveexec_b64 s[12:13], vcc
	s_cbranch_execz .LBB53_102
; %bb.101:                              ;   in Loop: Header=BB53_51 Depth=1
	v_cmp_gt_i32_e64 s[0:1], s29, v126
	s_waitcnt vmcnt(0)
	v_cndmask_b32_e64 v102, 0, v102, s[0:1]
	v_cmp_gt_i32_e64 s[0:1], s29, v16
	v_cndmask_b32_e64 v103, 0, v103, s[0:1]
	v_cmp_gt_i32_e64 s[0:1], s29, v15
	v_cndmask_b32_e64 v104, 0, v104, s[0:1]
	v_cmp_gt_i32_e64 s[0:1], s29, v14
	v_cndmask_b32_e64 v105, 0, v105, s[0:1]
.LBB53_102:                             ;   in Loop: Header=BB53_51 Depth=1
	s_or_b64 exec, exec, s[12:13]
	buffer_load_dword v6, off, s[60:63], 0 offset:284 ; 4-byte Folded Reload
	s_waitcnt vmcnt(0)
	v_add_co_u32_e64 v6, s[0:1], v17, v6
	v_addc_co_u32_e64 v7, s[0:1], 0, v106, s[0:1]
	global_load_dwordx4 v[110:113], v[6:7], off
	s_and_saveexec_b64 s[12:13], vcc
	s_cbranch_execz .LBB53_104
; %bb.103:                              ;   in Loop: Header=BB53_51 Depth=1
	v_cmp_gt_i32_e64 s[0:1], s29, v126
	s_waitcnt vmcnt(0)
	v_cndmask_b32_e64 v110, 0, v110, s[0:1]
	v_cmp_gt_i32_e64 s[0:1], s29, v16
	v_cndmask_b32_e64 v111, 0, v111, s[0:1]
	v_cmp_gt_i32_e64 s[0:1], s29, v15
	v_cndmask_b32_e64 v112, 0, v112, s[0:1]
	v_cmp_gt_i32_e64 s[0:1], s29, v14
	v_cndmask_b32_e64 v113, 0, v113, s[0:1]
.LBB53_104:                             ;   in Loop: Header=BB53_51 Depth=1
	;; [unrolled: 19-line block ×7, first 2 shown]
	s_or_b64 exec, exec, s[12:13]
	buffer_load_dword v107, off, s[60:63], 0 offset:308 ; 4-byte Folded Reload
	s_waitcnt vmcnt(0)
	v_add_co_u32_e64 v108, s[0:1], v17, v107
	v_addc_co_u32_e64 v109, s[0:1], 0, v106, s[0:1]
	global_load_dwordx4 v[106:109], v[108:109], off
	s_and_saveexec_b64 s[0:1], vcc
	s_cbranch_execz .LBB53_49
; %bb.115:                              ;   in Loop: Header=BB53_51 Depth=1
	v_cmp_gt_i32_e32 vcc, s29, v126
	s_waitcnt vmcnt(0)
	v_cndmask_b32_e32 v106, 0, v106, vcc
	v_cmp_gt_i32_e32 vcc, s29, v16
	v_cndmask_b32_e32 v107, 0, v107, vcc
	v_cmp_gt_i32_e32 vcc, s29, v15
	;; [unrolled: 2-line block ×3, first 2 shown]
	v_cndmask_b32_e32 v109, 0, v109, vcc
	s_branch .LBB53_49
.LBB53_116:
	s_or_b64 exec, exec, s[6:7]
	buffer_load_dword v75, off, s[60:63], 0 offset:312 ; 4-byte Folded Reload
	buffer_load_dword v44, off, s[60:63], 0 offset:316 ; 4-byte Folded Reload
	;; [unrolled: 1-line block ×32, first 2 shown]
.LBB53_117:
	s_or_b64 exec, exec, s[4:5]
	s_waitcnt vmcnt(3)
	ds_bpermute_b32 v2, v37, v6
	s_waitcnt vmcnt(2)
	ds_bpermute_b32 v3, v37, v7
	v_pk_mov_b32 v[10:11], v[8:9], v[8:9] op_sel:[0,1]
	s_waitcnt vmcnt(1)
	ds_bpermute_b32 v0, v37, v4
	s_waitcnt vmcnt(0)
	ds_bpermute_b32 v1, v37, v5
	ds_bpermute_b32 v8, v37, v10
	s_waitcnt lgkmcnt(3)
	v_pk_add_f32 v[2:3], v[6:7], v[2:3]
	ds_bpermute_b32 v6, v43, v2
	ds_bpermute_b32 v7, v43, v3
	;; [unrolled: 1-line block ×3, first 2 shown]
	s_waitcnt lgkmcnt(4)
	v_pk_add_f32 v[0:1], v[4:5], v[0:1]
	ds_bpermute_b32 v4, v43, v0
	ds_bpermute_b32 v5, v43, v1
	s_waitcnt lgkmcnt(3)
	v_pk_add_f32 v[2:3], v[2:3], v[6:7]
	s_waitcnt lgkmcnt(2)
	v_pk_add_f32 v[6:7], v[10:11], v[8:9]
	ds_bpermute_b32 v8, v43, v6
	ds_bpermute_b32 v9, v43, v7
	;; [unrolled: 1-line block ×4, first 2 shown]
	s_waitcnt lgkmcnt(4)
	v_pk_add_f32 v[0:1], v[0:1], v[4:5]
	ds_bpermute_b32 v4, v45, v0
	s_waitcnt lgkmcnt(3)
	v_pk_add_f32 v[6:7], v[6:7], v[8:9]
	ds_bpermute_b32 v5, v45, v1
	;; [unrolled: 3-line block ×3, first 2 shown]
	ds_bpermute_b32 v9, v45, v7
	ds_bpermute_b32 v14, v43, v12
	;; [unrolled: 1-line block ×3, first 2 shown]
	s_waitcnt lgkmcnt(4)
	v_pk_add_f32 v[4:5], v[0:1], v[4:5]
	ds_bpermute_b32 v10, v45, v2
	s_waitcnt lgkmcnt(3)
	v_pk_add_f32 v[0:1], v[6:7], v[8:9]
	ds_bpermute_b32 v8, v37, v18
	;; [unrolled: 3-line block ×3, first 2 shown]
	ds_bpermute_b32 v12, v37, v16
	ds_bpermute_b32 v13, v37, v17
	;; [unrolled: 1-line block ×4, first 2 shown]
	s_waitcnt lgkmcnt(4)
	v_pk_add_f32 v[8:9], v[18:19], v[8:9]
	ds_bpermute_b32 v14, v43, v8
	s_waitcnt lgkmcnt(3)
	v_pk_add_f32 v[12:13], v[16:17], v[12:13]
	ds_bpermute_b32 v15, v43, v9
	ds_bpermute_b32 v16, v43, v12
	;; [unrolled: 1-line block ×5, first 2 shown]
	s_waitcnt lgkmcnt(4)
	v_pk_add_f32 v[8:9], v[8:9], v[14:15]
	v_pk_add_f32 v[2:3], v[2:3], v[10:11]
	s_waitcnt lgkmcnt(2)
	v_pk_add_f32 v[16:17], v[12:13], v[16:17]
	ds_bpermute_b32 v10, v45, v6
	s_waitcnt lgkmcnt(1)
	v_pk_add_f32 v[12:13], v[20:21], v[18:19]
	ds_bpermute_b32 v11, v45, v7
	ds_bpermute_b32 v14, v45, v8
	;; [unrolled: 1-line block ×8, first 2 shown]
	s_waitcnt lgkmcnt(0)
	v_pk_add_f32 v[18:19], v[12:13], v[18:19]
	v_pk_add_f32 v[12:13], v[6:7], v[10:11]
	;; [unrolled: 1-line block ×5, first 2 shown]
	ds_bpermute_b32 v16, v37, v32
	ds_bpermute_b32 v17, v37, v33
	;; [unrolled: 1-line block ×8, first 2 shown]
	s_waitcnt lgkmcnt(6)
	v_pk_add_f32 v[16:17], v[32:33], v[16:17]
	s_waitcnt lgkmcnt(4)
	v_pk_add_f32 v[20:21], v[30:31], v[20:21]
	;; [unrolled: 2-line block ×3, first 2 shown]
	ds_bpermute_b32 v24, v43, v20
	s_waitcnt lgkmcnt(1)
	v_pk_add_f32 v[14:15], v[22:23], v[26:27]
	ds_bpermute_b32 v22, v43, v16
	ds_bpermute_b32 v23, v43, v17
	;; [unrolled: 1-line block ×6, first 2 shown]
	s_waitcnt lgkmcnt(4)
	v_pk_add_f32 v[16:17], v[16:17], v[22:23]
	s_waitcnt lgkmcnt(3)
	v_pk_add_f32 v[24:25], v[20:21], v[24:25]
	ds_bpermute_b32 v19, v45, v15
	s_waitcnt lgkmcnt(2)
	v_pk_add_f32 v[20:21], v[28:29], v[26:27]
	ds_bpermute_b32 v22, v45, v16
	ds_bpermute_b32 v23, v45, v17
	;; [unrolled: 1-line block ×8, first 2 shown]
	s_waitcnt lgkmcnt(4)
	v_pk_add_f32 v[26:27], v[20:21], v[26:27]
	v_pk_add_f32 v[20:21], v[14:15], v[18:19]
	;; [unrolled: 1-line block ×3, first 2 shown]
	s_waitcnt lgkmcnt(1)
	v_pk_add_f32 v[30:31], v[34:35], v[30:31]
	s_waitcnt lgkmcnt(0)
	v_pk_add_f32 v[16:17], v[24:25], v[28:29]
	ds_bpermute_b32 v28, v37, v40
	ds_bpermute_b32 v29, v37, v41
	;; [unrolled: 1-line block ×8, first 2 shown]
	s_waitcnt lgkmcnt(6)
	v_pk_add_f32 v[28:29], v[40:41], v[28:29]
	s_waitcnt lgkmcnt(4)
	v_pk_add_f32 v[14:15], v[26:27], v[32:33]
	;; [unrolled: 2-line block ×3, first 2 shown]
	ds_bpermute_b32 v32, v43, v28
	ds_bpermute_b32 v33, v43, v29
	;; [unrolled: 1-line block ×4, first 2 shown]
	s_waitcnt lgkmcnt(4)
	v_pk_add_f32 v[24:25], v[50:51], v[24:25]
	ds_bpermute_b32 v30, v43, v24
	ds_bpermute_b32 v31, v43, v25
	s_waitcnt lgkmcnt(4)
	v_pk_add_f32 v[32:33], v[28:29], v[32:33]
	s_waitcnt lgkmcnt(2)
	v_pk_add_f32 v[28:29], v[38:39], v[34:35]
	ds_bpermute_b32 v38, v37, v48
	ds_bpermute_b32 v39, v37, v49
	;; [unrolled: 1-line block ×4, first 2 shown]
	s_waitcnt lgkmcnt(4)
	v_pk_add_f32 v[24:25], v[24:25], v[30:31]
	ds_bpermute_b32 v26, v45, v22
	s_waitcnt lgkmcnt(3)
	v_pk_add_f32 v[38:39], v[48:49], v[38:39]
	ds_bpermute_b32 v27, v45, v23
	ds_bpermute_b32 v30, v45, v24
	;; [unrolled: 1-line block ×7, first 2 shown]
	s_waitcnt lgkmcnt(8)
	v_pk_add_f32 v[34:35], v[28:29], v[34:35]
	ds_bpermute_b32 v40, v45, v34
	ds_bpermute_b32 v41, v45, v35
	s_waitcnt lgkmcnt(8)
	v_pk_add_f32 v[28:29], v[22:23], v[26:27]
	s_waitcnt lgkmcnt(6)
	v_pk_add_f32 v[26:27], v[24:25], v[30:31]
	;; [unrolled: 2-line block ×4, first 2 shown]
	ds_bpermute_b32 v32, v45, v30
	ds_bpermute_b32 v33, v45, v31
	s_waitcnt lgkmcnt(2)
	v_pk_add_f32 v[22:23], v[34:35], v[40:41]
	v_and_b32_e32 v34, 0x3c7, v75
	v_cmp_ne_u32_e32 vcc, 64, v34
	s_barrier
	s_waitcnt lgkmcnt(0)
	s_and_saveexec_b64 s[0:1], vcc
	s_xor_b64 s[0:1], exec, s[0:1]
; %bb.118:
                                        ; implicit-def: $vgpr44
; %bb.119:
	s_or_saveexec_b64 s[0:1], s[0:1]
	v_pk_add_f32 v[30:31], v[30:31], v[32:33]
	s_xor_b64 exec, exec, s[0:1]
	s_cbranch_execz .LBB53_121
; %bb.120:
	v_lshrrev_b32_e32 v32, 1, v44
	v_add_u32_e32 v32, 0x410, v32
	ds_write2_b32 v32, v4, v5 offset1:8
	ds_write2_b32 v32, v2, v3 offset0:16 offset1:24
	ds_write2_b32 v32, v0, v1 offset0:32 offset1:40
	;; [unrolled: 1-line block ×15, first 2 shown]
.LBB53_121:
	s_or_b64 exec, exec, s[0:1]
	v_cmp_gt_u32_e32 vcc, 64, v75
	s_waitcnt lgkmcnt(0)
	s_barrier
	s_and_saveexec_b64 s[0:1], vcc
	s_cbranch_execz .LBB53_156
; %bb.122:
	v_cmp_eq_u32_e32 vcc, 0, v47
	v_lshrrev_b32_e32 v32, 3, v75
	s_and_saveexec_b64 s[4:5], vcc
	s_cbranch_execnz .LBB53_159
; %bb.123:
	s_or_b64 exec, exec, s[4:5]
	s_and_saveexec_b64 s[4:5], vcc
	s_cbranch_execnz .LBB53_160
.LBB53_124:
	s_or_b64 exec, exec, s[4:5]
	s_and_saveexec_b64 s[4:5], vcc
	s_cbranch_execnz .LBB53_161
.LBB53_125:
	s_or_b64 exec, exec, s[4:5]
	s_and_saveexec_b64 s[4:5], vcc
	s_cbranch_execnz .LBB53_162
.LBB53_126:
	s_or_b64 exec, exec, s[4:5]
	s_and_saveexec_b64 s[4:5], vcc
	s_cbranch_execnz .LBB53_163
.LBB53_127:
	s_or_b64 exec, exec, s[4:5]
	s_and_saveexec_b64 s[4:5], vcc
	s_cbranch_execnz .LBB53_164
.LBB53_128:
	s_or_b64 exec, exec, s[4:5]
	s_and_saveexec_b64 s[4:5], vcc
	s_cbranch_execnz .LBB53_165
.LBB53_129:
	s_or_b64 exec, exec, s[4:5]
	s_and_saveexec_b64 s[4:5], vcc
	s_cbranch_execnz .LBB53_166
.LBB53_130:
	s_or_b64 exec, exec, s[4:5]
	s_and_saveexec_b64 s[4:5], vcc
	s_cbranch_execnz .LBB53_167
.LBB53_131:
	s_or_b64 exec, exec, s[4:5]
	s_and_saveexec_b64 s[4:5], vcc
	s_cbranch_execnz .LBB53_168
.LBB53_132:
	s_or_b64 exec, exec, s[4:5]
	s_and_saveexec_b64 s[4:5], vcc
	s_cbranch_execnz .LBB53_169
.LBB53_133:
	s_or_b64 exec, exec, s[4:5]
	s_and_saveexec_b64 s[4:5], vcc
	s_cbranch_execnz .LBB53_170
.LBB53_134:
	s_or_b64 exec, exec, s[4:5]
	s_and_saveexec_b64 s[4:5], vcc
	s_cbranch_execnz .LBB53_171
.LBB53_135:
	s_or_b64 exec, exec, s[4:5]
	s_and_saveexec_b64 s[4:5], vcc
	s_cbranch_execnz .LBB53_172
.LBB53_136:
	s_or_b64 exec, exec, s[4:5]
	s_and_saveexec_b64 s[4:5], vcc
	s_cbranch_execnz .LBB53_173
.LBB53_137:
	s_or_b64 exec, exec, s[4:5]
	s_and_saveexec_b64 s[4:5], vcc
	s_cbranch_execnz .LBB53_174
.LBB53_138:
	s_or_b64 exec, exec, s[4:5]
	s_and_saveexec_b64 s[4:5], vcc
	s_cbranch_execnz .LBB53_175
.LBB53_139:
	s_or_b64 exec, exec, s[4:5]
	s_and_saveexec_b64 s[4:5], vcc
	s_cbranch_execnz .LBB53_176
.LBB53_140:
	s_or_b64 exec, exec, s[4:5]
	s_and_saveexec_b64 s[4:5], vcc
	s_cbranch_execnz .LBB53_177
.LBB53_141:
	s_or_b64 exec, exec, s[4:5]
	s_and_saveexec_b64 s[4:5], vcc
	s_cbranch_execnz .LBB53_178
.LBB53_142:
	s_or_b64 exec, exec, s[4:5]
	s_and_saveexec_b64 s[4:5], vcc
	s_cbranch_execnz .LBB53_179
.LBB53_143:
	s_or_b64 exec, exec, s[4:5]
	s_and_saveexec_b64 s[4:5], vcc
	s_cbranch_execnz .LBB53_180
.LBB53_144:
	s_or_b64 exec, exec, s[4:5]
	s_and_saveexec_b64 s[4:5], vcc
	s_cbranch_execnz .LBB53_181
.LBB53_145:
	s_or_b64 exec, exec, s[4:5]
	s_and_saveexec_b64 s[4:5], vcc
	s_cbranch_execnz .LBB53_182
.LBB53_146:
	s_or_b64 exec, exec, s[4:5]
	s_and_saveexec_b64 s[4:5], vcc
	s_cbranch_execnz .LBB53_183
.LBB53_147:
	s_or_b64 exec, exec, s[4:5]
	s_and_saveexec_b64 s[4:5], vcc
	s_cbranch_execnz .LBB53_184
.LBB53_148:
	s_or_b64 exec, exec, s[4:5]
	s_and_saveexec_b64 s[4:5], vcc
	s_cbranch_execnz .LBB53_185
.LBB53_149:
	s_or_b64 exec, exec, s[4:5]
	s_and_saveexec_b64 s[4:5], vcc
	s_cbranch_execnz .LBB53_186
.LBB53_150:
	s_or_b64 exec, exec, s[4:5]
	s_and_saveexec_b64 s[4:5], vcc
	s_cbranch_execnz .LBB53_187
.LBB53_151:
	s_or_b64 exec, exec, s[4:5]
	s_and_saveexec_b64 s[4:5], vcc
	s_cbranch_execnz .LBB53_188
.LBB53_152:
	s_or_b64 exec, exec, s[4:5]
	s_and_saveexec_b64 s[4:5], vcc
	s_cbranch_execnz .LBB53_189
.LBB53_153:
	s_or_b64 exec, exec, s[4:5]
	s_and_saveexec_b64 s[4:5], vcc
	s_cbranch_execz .LBB53_155
.LBB53_154:
	v_mov_b32_e32 v33, 0x410
	v_lshl_add_u32 v32, v32, 2, v33
	ds_read_b32 v32, v32 offset:992
	s_waitcnt lgkmcnt(0)
	v_add_f32_e32 v31, v31, v32
.LBB53_155:
	s_or_b64 exec, exec, s[4:5]
.LBB53_156:
	s_or_b64 exec, exec, s[0:1]
	v_cmp_eq_u32_e32 vcc, 0, v34
	s_barrier
	s_and_saveexec_b64 s[0:1], vcc
	s_cbranch_execz .LBB53_158
; %bb.157:
	s_lshl_b32 s0, s2, 8
	s_ashr_i32 s1, s0, 31
	s_lshl_b64 s[0:1], s[0:1], 2
	s_add_u32 s2, s26, s0
	s_mul_i32 s0, s15, s24
	s_addc_u32 s3, s27, s1
	s_ashr_i32 s1, s0, 31
	s_lshl_b64 s[0:1], s[0:1], 2
	s_add_u32 s2, s2, s0
	s_addc_u32 s3, s3, s1
	s_lshl_b32 s0, s8, 8
	s_ashr_i32 s1, s0, 31
	s_lshl_b64 s[0:1], s[0:1], 2
	s_add_u32 s0, s2, s0
	s_addc_u32 s1, s3, s1
	v_lshrrev_b32_e32 v32, 1, v75
	global_store_dword v32, v4, s[0:1]
	global_store_dword v32, v5, s[0:1] offset:32
	global_store_dword v32, v2, s[0:1] offset:64
	;; [unrolled: 1-line block ×31, first 2 shown]
.LBB53_158:
	s_endpgm
.LBB53_159:
	v_mov_b32_e32 v33, 0x410
	v_lshl_add_u32 v33, v32, 2, v33
	ds_read_b32 v33, v33
	s_waitcnt lgkmcnt(0)
	v_add_f32_e32 v4, v4, v33
	s_or_b64 exec, exec, s[4:5]
	s_and_saveexec_b64 s[4:5], vcc
	s_cbranch_execz .LBB53_124
.LBB53_160:
	v_mov_b32_e32 v33, 0x410
	v_lshl_add_u32 v33, v32, 2, v33
	ds_read_b32 v33, v33 offset:32
	s_waitcnt lgkmcnt(0)
	v_add_f32_e32 v5, v5, v33
	s_or_b64 exec, exec, s[4:5]
	s_and_saveexec_b64 s[4:5], vcc
	s_cbranch_execz .LBB53_125
.LBB53_161:
	v_mov_b32_e32 v33, 0x410
	v_lshl_add_u32 v33, v32, 2, v33
	ds_read_b32 v33, v33 offset:64
	s_waitcnt lgkmcnt(0)
	v_add_f32_e32 v2, v2, v33
	s_or_b64 exec, exec, s[4:5]
	s_and_saveexec_b64 s[4:5], vcc
	s_cbranch_execz .LBB53_126
.LBB53_162:
	v_mov_b32_e32 v33, 0x410
	v_lshl_add_u32 v33, v32, 2, v33
	ds_read_b32 v33, v33 offset:96
	s_waitcnt lgkmcnt(0)
	v_add_f32_e32 v3, v3, v33
	s_or_b64 exec, exec, s[4:5]
	s_and_saveexec_b64 s[4:5], vcc
	s_cbranch_execz .LBB53_127
.LBB53_163:
	v_mov_b32_e32 v33, 0x410
	v_lshl_add_u32 v33, v32, 2, v33
	ds_read_b32 v33, v33 offset:128
	s_waitcnt lgkmcnt(0)
	v_add_f32_e32 v0, v0, v33
	s_or_b64 exec, exec, s[4:5]
	s_and_saveexec_b64 s[4:5], vcc
	s_cbranch_execz .LBB53_128
.LBB53_164:
	v_mov_b32_e32 v33, 0x410
	v_lshl_add_u32 v33, v32, 2, v33
	ds_read_b32 v33, v33 offset:160
	s_waitcnt lgkmcnt(0)
	v_add_f32_e32 v1, v1, v33
	s_or_b64 exec, exec, s[4:5]
	s_and_saveexec_b64 s[4:5], vcc
	s_cbranch_execz .LBB53_129
.LBB53_165:
	v_mov_b32_e32 v33, 0x410
	v_lshl_add_u32 v33, v32, 2, v33
	ds_read_b32 v33, v33 offset:192
	s_waitcnt lgkmcnt(0)
	v_add_f32_e32 v12, v12, v33
	s_or_b64 exec, exec, s[4:5]
	s_and_saveexec_b64 s[4:5], vcc
	s_cbranch_execz .LBB53_130
.LBB53_166:
	v_mov_b32_e32 v33, 0x410
	v_lshl_add_u32 v33, v32, 2, v33
	ds_read_b32 v33, v33 offset:224
	s_waitcnt lgkmcnt(0)
	v_add_f32_e32 v13, v13, v33
	s_or_b64 exec, exec, s[4:5]
	s_and_saveexec_b64 s[4:5], vcc
	s_cbranch_execz .LBB53_131
.LBB53_167:
	v_mov_b32_e32 v33, 0x410
	v_lshl_add_u32 v33, v32, 2, v33
	ds_read_b32 v33, v33 offset:256
	s_waitcnt lgkmcnt(0)
	v_add_f32_e32 v10, v10, v33
	s_or_b64 exec, exec, s[4:5]
	s_and_saveexec_b64 s[4:5], vcc
	s_cbranch_execz .LBB53_132
.LBB53_168:
	v_mov_b32_e32 v33, 0x410
	v_lshl_add_u32 v33, v32, 2, v33
	ds_read_b32 v33, v33 offset:288
	s_waitcnt lgkmcnt(0)
	v_add_f32_e32 v11, v11, v33
	s_or_b64 exec, exec, s[4:5]
	s_and_saveexec_b64 s[4:5], vcc
	s_cbranch_execz .LBB53_133
.LBB53_169:
	v_mov_b32_e32 v33, 0x410
	v_lshl_add_u32 v33, v32, 2, v33
	ds_read_b32 v33, v33 offset:320
	s_waitcnt lgkmcnt(0)
	v_add_f32_e32 v8, v8, v33
	s_or_b64 exec, exec, s[4:5]
	s_and_saveexec_b64 s[4:5], vcc
	s_cbranch_execz .LBB53_134
.LBB53_170:
	v_mov_b32_e32 v33, 0x410
	v_lshl_add_u32 v33, v32, 2, v33
	ds_read_b32 v33, v33 offset:352
	s_waitcnt lgkmcnt(0)
	v_add_f32_e32 v9, v9, v33
	s_or_b64 exec, exec, s[4:5]
	s_and_saveexec_b64 s[4:5], vcc
	s_cbranch_execz .LBB53_135
.LBB53_171:
	v_mov_b32_e32 v33, 0x410
	v_lshl_add_u32 v33, v32, 2, v33
	ds_read_b32 v33, v33 offset:384
	s_waitcnt lgkmcnt(0)
	v_add_f32_e32 v6, v6, v33
	s_or_b64 exec, exec, s[4:5]
	s_and_saveexec_b64 s[4:5], vcc
	s_cbranch_execz .LBB53_136
.LBB53_172:
	v_mov_b32_e32 v33, 0x410
	v_lshl_add_u32 v33, v32, 2, v33
	ds_read_b32 v33, v33 offset:416
	s_waitcnt lgkmcnt(0)
	v_add_f32_e32 v7, v7, v33
	s_or_b64 exec, exec, s[4:5]
	s_and_saveexec_b64 s[4:5], vcc
	s_cbranch_execz .LBB53_137
.LBB53_173:
	v_mov_b32_e32 v33, 0x410
	v_lshl_add_u32 v33, v32, 2, v33
	ds_read_b32 v33, v33 offset:448
	s_waitcnt lgkmcnt(0)
	v_add_f32_e32 v20, v20, v33
	s_or_b64 exec, exec, s[4:5]
	s_and_saveexec_b64 s[4:5], vcc
	s_cbranch_execz .LBB53_138
.LBB53_174:
	v_mov_b32_e32 v33, 0x410
	v_lshl_add_u32 v33, v32, 2, v33
	ds_read_b32 v33, v33 offset:480
	s_waitcnt lgkmcnt(0)
	v_add_f32_e32 v21, v21, v33
	s_or_b64 exec, exec, s[4:5]
	s_and_saveexec_b64 s[4:5], vcc
	s_cbranch_execz .LBB53_139
.LBB53_175:
	v_mov_b32_e32 v33, 0x410
	v_lshl_add_u32 v33, v32, 2, v33
	ds_read_b32 v33, v33 offset:512
	s_waitcnt lgkmcnt(0)
	v_add_f32_e32 v18, v18, v33
	s_or_b64 exec, exec, s[4:5]
	s_and_saveexec_b64 s[4:5], vcc
	s_cbranch_execz .LBB53_140
.LBB53_176:
	v_mov_b32_e32 v33, 0x410
	v_lshl_add_u32 v33, v32, 2, v33
	ds_read_b32 v33, v33 offset:544
	s_waitcnt lgkmcnt(0)
	v_add_f32_e32 v19, v19, v33
	s_or_b64 exec, exec, s[4:5]
	s_and_saveexec_b64 s[4:5], vcc
	s_cbranch_execz .LBB53_141
.LBB53_177:
	v_mov_b32_e32 v33, 0x410
	v_lshl_add_u32 v33, v32, 2, v33
	ds_read_b32 v33, v33 offset:576
	s_waitcnt lgkmcnt(0)
	v_add_f32_e32 v16, v16, v33
	s_or_b64 exec, exec, s[4:5]
	s_and_saveexec_b64 s[4:5], vcc
	s_cbranch_execz .LBB53_142
.LBB53_178:
	v_mov_b32_e32 v33, 0x410
	v_lshl_add_u32 v33, v32, 2, v33
	ds_read_b32 v33, v33 offset:608
	s_waitcnt lgkmcnt(0)
	v_add_f32_e32 v17, v17, v33
	s_or_b64 exec, exec, s[4:5]
	s_and_saveexec_b64 s[4:5], vcc
	s_cbranch_execz .LBB53_143
.LBB53_179:
	v_mov_b32_e32 v33, 0x410
	v_lshl_add_u32 v33, v32, 2, v33
	ds_read_b32 v33, v33 offset:640
	s_waitcnt lgkmcnt(0)
	v_add_f32_e32 v14, v14, v33
	s_or_b64 exec, exec, s[4:5]
	s_and_saveexec_b64 s[4:5], vcc
	s_cbranch_execz .LBB53_144
.LBB53_180:
	v_mov_b32_e32 v33, 0x410
	v_lshl_add_u32 v33, v32, 2, v33
	ds_read_b32 v33, v33 offset:672
	s_waitcnt lgkmcnt(0)
	v_add_f32_e32 v15, v15, v33
	s_or_b64 exec, exec, s[4:5]
	s_and_saveexec_b64 s[4:5], vcc
	s_cbranch_execz .LBB53_145
.LBB53_181:
	v_mov_b32_e32 v33, 0x410
	v_lshl_add_u32 v33, v32, 2, v33
	ds_read_b32 v33, v33 offset:704
	s_waitcnt lgkmcnt(0)
	v_add_f32_e32 v28, v28, v33
	s_or_b64 exec, exec, s[4:5]
	s_and_saveexec_b64 s[4:5], vcc
	s_cbranch_execz .LBB53_146
.LBB53_182:
	v_mov_b32_e32 v33, 0x410
	v_lshl_add_u32 v33, v32, 2, v33
	ds_read_b32 v33, v33 offset:736
	s_waitcnt lgkmcnt(0)
	v_add_f32_e32 v29, v29, v33
	s_or_b64 exec, exec, s[4:5]
	s_and_saveexec_b64 s[4:5], vcc
	s_cbranch_execz .LBB53_147
.LBB53_183:
	v_mov_b32_e32 v33, 0x410
	v_lshl_add_u32 v33, v32, 2, v33
	ds_read_b32 v33, v33 offset:768
	s_waitcnt lgkmcnt(0)
	v_add_f32_e32 v26, v26, v33
	s_or_b64 exec, exec, s[4:5]
	s_and_saveexec_b64 s[4:5], vcc
	s_cbranch_execz .LBB53_148
.LBB53_184:
	v_mov_b32_e32 v33, 0x410
	v_lshl_add_u32 v33, v32, 2, v33
	ds_read_b32 v33, v33 offset:800
	s_waitcnt lgkmcnt(0)
	v_add_f32_e32 v27, v27, v33
	s_or_b64 exec, exec, s[4:5]
	s_and_saveexec_b64 s[4:5], vcc
	s_cbranch_execz .LBB53_149
.LBB53_185:
	v_mov_b32_e32 v33, 0x410
	v_lshl_add_u32 v33, v32, 2, v33
	ds_read_b32 v33, v33 offset:832
	s_waitcnt lgkmcnt(0)
	v_add_f32_e32 v24, v24, v33
	s_or_b64 exec, exec, s[4:5]
	s_and_saveexec_b64 s[4:5], vcc
	s_cbranch_execz .LBB53_150
.LBB53_186:
	v_mov_b32_e32 v33, 0x410
	v_lshl_add_u32 v33, v32, 2, v33
	ds_read_b32 v33, v33 offset:864
	s_waitcnt lgkmcnt(0)
	v_add_f32_e32 v25, v25, v33
	s_or_b64 exec, exec, s[4:5]
	s_and_saveexec_b64 s[4:5], vcc
	s_cbranch_execz .LBB53_151
.LBB53_187:
	v_mov_b32_e32 v33, 0x410
	v_lshl_add_u32 v33, v32, 2, v33
	ds_read_b32 v33, v33 offset:896
	s_waitcnt lgkmcnt(0)
	v_add_f32_e32 v22, v22, v33
	s_or_b64 exec, exec, s[4:5]
	s_and_saveexec_b64 s[4:5], vcc
	s_cbranch_execz .LBB53_152
.LBB53_188:
	v_mov_b32_e32 v33, 0x410
	v_lshl_add_u32 v33, v32, 2, v33
	ds_read_b32 v33, v33 offset:928
	s_waitcnt lgkmcnt(0)
	v_add_f32_e32 v23, v23, v33
	s_or_b64 exec, exec, s[4:5]
	s_and_saveexec_b64 s[4:5], vcc
	s_cbranch_execz .LBB53_153
.LBB53_189:
	v_mov_b32_e32 v33, 0x410
	v_lshl_add_u32 v33, v32, 2, v33
	ds_read_b32 v33, v33 offset:960
	s_waitcnt lgkmcnt(0)
	v_add_f32_e32 v30, v30, v33
	s_or_b64 exec, exec, s[4:5]
	s_and_saveexec_b64 s[4:5], vcc
	s_cbranch_execnz .LBB53_154
	s_branch .LBB53_155
	.section	.rodata,"a",@progbits
	.p2align	6, 0x0
	.amdhsa_kernel _ZN4vllm25paged_attention_v2_kernelIffLi256ELi32ELi128ELNS_18Fp8KVCacheDataTypeE0ELb1ELi512EEEvPfS2_PT_PKS3_PKT0_S9_ifPKiSB_iPKfiiiSD_SD_iiiii
		.amdhsa_group_segment_fixed_size 1040
		.amdhsa_private_segment_fixed_size 340
		.amdhsa_kernarg_size 400
		.amdhsa_user_sgpr_count 6
		.amdhsa_user_sgpr_private_segment_buffer 1
		.amdhsa_user_sgpr_dispatch_ptr 0
		.amdhsa_user_sgpr_queue_ptr 0
		.amdhsa_user_sgpr_kernarg_segment_ptr 1
		.amdhsa_user_sgpr_dispatch_id 0
		.amdhsa_user_sgpr_flat_scratch_init 0
		.amdhsa_user_sgpr_kernarg_preload_length 0
		.amdhsa_user_sgpr_kernarg_preload_offset 0
		.amdhsa_user_sgpr_private_segment_size 0
		.amdhsa_uses_dynamic_stack 0
		.amdhsa_system_sgpr_private_segment_wavefront_offset 1
		.amdhsa_system_sgpr_workgroup_id_x 1
		.amdhsa_system_sgpr_workgroup_id_y 1
		.amdhsa_system_sgpr_workgroup_id_z 1
		.amdhsa_system_sgpr_workgroup_info 0
		.amdhsa_system_vgpr_workitem_id 0
		.amdhsa_next_free_vgpr 128
		.amdhsa_next_free_sgpr 64
		.amdhsa_accum_offset 128
		.amdhsa_reserve_vcc 1
		.amdhsa_reserve_flat_scratch 0
		.amdhsa_float_round_mode_32 0
		.amdhsa_float_round_mode_16_64 0
		.amdhsa_float_denorm_mode_32 3
		.amdhsa_float_denorm_mode_16_64 3
		.amdhsa_dx10_clamp 1
		.amdhsa_ieee_mode 1
		.amdhsa_fp16_overflow 0
		.amdhsa_tg_split 0
		.amdhsa_exception_fp_ieee_invalid_op 0
		.amdhsa_exception_fp_denorm_src 0
		.amdhsa_exception_fp_ieee_div_zero 0
		.amdhsa_exception_fp_ieee_overflow 0
		.amdhsa_exception_fp_ieee_underflow 0
		.amdhsa_exception_fp_ieee_inexact 0
		.amdhsa_exception_int_div_zero 0
	.end_amdhsa_kernel
	.section	.text._ZN4vllm25paged_attention_v2_kernelIffLi256ELi32ELi128ELNS_18Fp8KVCacheDataTypeE0ELb1ELi512EEEvPfS2_PT_PKS3_PKT0_S9_ifPKiSB_iPKfiiiSD_SD_iiiii,"axG",@progbits,_ZN4vllm25paged_attention_v2_kernelIffLi256ELi32ELi128ELNS_18Fp8KVCacheDataTypeE0ELb1ELi512EEEvPfS2_PT_PKS3_PKT0_S9_ifPKiSB_iPKfiiiSD_SD_iiiii,comdat
.Lfunc_end53:
	.size	_ZN4vllm25paged_attention_v2_kernelIffLi256ELi32ELi128ELNS_18Fp8KVCacheDataTypeE0ELb1ELi512EEEvPfS2_PT_PKS3_PKT0_S9_ifPKiSB_iPKfiiiSD_SD_iiiii, .Lfunc_end53-_ZN4vllm25paged_attention_v2_kernelIffLi256ELi32ELi128ELNS_18Fp8KVCacheDataTypeE0ELb1ELi512EEEvPfS2_PT_PKS3_PKT0_S9_ifPKiSB_iPKfiiiSD_SD_iiiii
                                        ; -- End function
	.section	.AMDGPU.csdata,"",@progbits
; Kernel info:
; codeLenInByte = 15788
; NumSgprs: 68
; NumVgprs: 128
; NumAgprs: 0
; TotalNumVgprs: 128
; ScratchSize: 340
; MemoryBound: 0
; FloatMode: 240
; IeeeMode: 1
; LDSByteSize: 1040 bytes/workgroup (compile time only)
; SGPRBlocks: 8
; VGPRBlocks: 15
; NumSGPRsForWavesPerEU: 68
; NumVGPRsForWavesPerEU: 128
; AccumOffset: 128
; Occupancy: 4
; WaveLimiterHint : 1
; COMPUTE_PGM_RSRC2:SCRATCH_EN: 1
; COMPUTE_PGM_RSRC2:USER_SGPR: 6
; COMPUTE_PGM_RSRC2:TRAP_HANDLER: 0
; COMPUTE_PGM_RSRC2:TGID_X_EN: 1
; COMPUTE_PGM_RSRC2:TGID_Y_EN: 1
; COMPUTE_PGM_RSRC2:TGID_Z_EN: 1
; COMPUTE_PGM_RSRC2:TIDIG_COMP_CNT: 0
; COMPUTE_PGM_RSRC3_GFX90A:ACCUM_OFFSET: 31
; COMPUTE_PGM_RSRC3_GFX90A:TG_SPLIT: 0
	.section	.text._ZN4vllm25paged_attention_v2_kernelIffLi32ELi32ELi128ELNS_18Fp8KVCacheDataTypeE0ELb0ELi512EEEvPfS2_PT_PKS3_PKT0_S9_ifPKiSB_iPKfiiiSD_SD_iiiii,"axG",@progbits,_ZN4vllm25paged_attention_v2_kernelIffLi32ELi32ELi128ELNS_18Fp8KVCacheDataTypeE0ELb0ELi512EEEvPfS2_PT_PKS3_PKT0_S9_ifPKiSB_iPKfiiiSD_SD_iiiii,comdat
	.protected	_ZN4vllm25paged_attention_v2_kernelIffLi32ELi32ELi128ELNS_18Fp8KVCacheDataTypeE0ELb0ELi512EEEvPfS2_PT_PKS3_PKT0_S9_ifPKiSB_iPKfiiiSD_SD_iiiii ; -- Begin function _ZN4vllm25paged_attention_v2_kernelIffLi32ELi32ELi128ELNS_18Fp8KVCacheDataTypeE0ELb0ELi512EEEvPfS2_PT_PKS3_PKT0_S9_ifPKiSB_iPKfiiiSD_SD_iiiii
	.globl	_ZN4vllm25paged_attention_v2_kernelIffLi32ELi32ELi128ELNS_18Fp8KVCacheDataTypeE0ELb0ELi512EEEvPfS2_PT_PKS3_PKT0_S9_ifPKiSB_iPKfiiiSD_SD_iiiii
	.p2align	8
	.type	_ZN4vllm25paged_attention_v2_kernelIffLi32ELi32ELi128ELNS_18Fp8KVCacheDataTypeE0ELb0ELi512EEEvPfS2_PT_PKS3_PKT0_S9_ifPKiSB_iPKfiiiSD_SD_iiiii,@function
_ZN4vllm25paged_attention_v2_kernelIffLi32ELi32ELi128ELNS_18Fp8KVCacheDataTypeE0ELb0ELi512EEEvPfS2_PT_PKS3_PKT0_S9_ifPKiSB_iPKfiiiSD_SD_iiiii: ; @_ZN4vllm25paged_attention_v2_kernelIffLi32ELi32ELi128ELNS_18Fp8KVCacheDataTypeE0ELb0ELi512EEEvPfS2_PT_PKS3_PKT0_S9_ifPKiSB_iPKfiiiSD_SD_iiiii
; %bb.0:
	s_load_dwordx2 s[0:1], s[4:5], 0x40
	s_mov_b32 s24, s7
	s_ashr_i32 s25, s7, 31
	s_lshl_b64 s[2:3], s[24:25], 2
	s_waitcnt lgkmcnt(0)
	s_add_u32 s0, s0, s2
	s_addc_u32 s1, s1, s3
	s_load_dword s25, s[0:1], 0x0
	s_lshl_b32 s33, s8, 9
	s_waitcnt lgkmcnt(0)
	s_cmp_ge_i32 s33, s25
	s_cbranch_scc1 .LBB54_63
; %bb.1:
	s_load_dword s9, s[4:5], 0x90
	s_load_dwordx2 s[10:11], s[4:5], 0x30
	s_mov_b32 s40, 0
	s_waitcnt lgkmcnt(0)
	s_abs_i32 s2, s9
	s_abs_i32 s0, s10
	v_cvt_f32_u32_e32 v1, s0
	s_sub_i32 s3, 0, s0
	s_xor_b32 s1, s9, s10
	s_ashr_i32 s1, s1, 31
	v_rcp_iflag_f32_e32 v1, v1
	v_mul_f32_e32 v1, 0x4f7ffffe, v1
	v_cvt_u32_f32_e32 v1, v1
	v_readfirstlane_b32 s7, v1
	s_mul_i32 s3, s3, s7
	s_mul_hi_u32 s3, s7, s3
	s_add_i32 s7, s7, s3
	s_mul_hi_u32 s3, s2, s7
	s_mul_i32 s7, s3, s0
	s_sub_i32 s2, s2, s7
	s_add_i32 s10, s3, 1
	s_sub_i32 s7, s2, s0
	s_cmp_ge_u32 s2, s0
	s_cselect_b32 s3, s10, s3
	s_cselect_b32 s2, s7, s2
	s_add_i32 s7, s3, 1
	s_cmp_ge_u32 s2, s0
	s_cselect_b32 s0, s7, s3
	s_xor_b32 s0, s0, s1
	s_sub_i32 s10, s0, s1
	s_abs_i32 s2, s10
	v_cvt_f32_u32_e32 v1, s2
	s_load_dwordx2 s[0:1], s[4:5], 0x50
	s_sub_i32 s7, 0, s2
	s_abs_i32 s3, s6
	v_rcp_iflag_f32_e32 v1, v1
	v_mul_f32_e32 v1, 0x4f7ffffe, v1
	v_cvt_u32_f32_e32 v1, v1
	v_readfirstlane_b32 s12, v1
	s_mul_i32 s7, s7, s12
	s_mul_hi_u32 s7, s12, s7
	s_add_i32 s12, s12, s7
	s_waitcnt lgkmcnt(0)
	s_cmp_eq_u64 s[0:1], 0
	s_mul_hi_u32 s16, s3, s12
	s_cbranch_scc1 .LBB54_3
; %bb.2:
	s_ashr_i32 s7, s6, 31
	s_lshl_b64 s[12:13], s[6:7], 2
	s_add_u32 s0, s0, s12
	s_addc_u32 s1, s1, s13
	s_load_dword s40, s[0:1], 0x0
.LBB54_3:
	s_load_dwordx4 s[12:15], s[4:5], 0x58
	s_ashr_i32 s17, s6, 31
	s_ashr_i32 s18, s10, 31
	v_and_b32_e32 v18, 1, v0
	s_lshl_b32 s20, s6, 5
	v_cmp_gt_u32_e32 vcc, 16, v0
	v_lshlrev_b32_e32 v2, 3, v0
	v_lshlrev_b32_e32 v1, 2, v0
	s_and_saveexec_b64 s[0:1], vcc
	s_cbranch_execz .LBB54_5
; %bb.4:
	s_load_dwordx2 s[22:23], s[4:5], 0x18
	s_waitcnt lgkmcnt(0)
	s_mul_i32 s26, s24, s12
	s_ashr_i32 s27, s26, 31
	s_lshl_b64 s[26:27], s[26:27], 2
	v_and_b32_e32 v3, 0xff8, v1
	s_add_u32 s7, s22, s26
	s_addc_u32 s10, s23, s27
	s_ashr_i32 s21, s20, 31
	s_lshl_b64 s[22:23], s[20:21], 2
	s_add_u32 s22, s7, s22
	s_addc_u32 s23, s10, s23
	global_load_dwordx2 v[4:5], v2, s[22:23]
	v_lshl_add_u32 v3, v18, 6, v3
	s_waitcnt vmcnt(0)
	ds_write_b64 v3, v[4:5]
.LBB54_5:
	s_or_b64 exec, exec, s[0:1]
	s_add_i32 s0, s25, 31
	s_ashr_i32 s1, s0, 31
	s_lshr_b32 s1, s1, 27
	s_add_i32 s0, s0, s1
	s_lshl_b32 s10, s8, 4
	s_mul_i32 s1, s16, s2
	s_ashr_i32 s7, s0, 5
	s_add_i32 s0, s10, 16
	s_sub_i32 s1, s3, s1
	s_min_i32 s21, s0, s7
	s_xor_b32 s0, s17, s18
	s_add_i32 s3, s16, 1
	s_waitcnt lgkmcnt(0)
	s_sub_i32 s12, s1, s2
	s_cmp_ge_u32 s1, s2
	s_cselect_b32 s3, s3, s16
	s_cselect_b32 s1, s12, s1
	s_add_i32 s12, s3, 1
	s_cmp_ge_u32 s1, s2
	s_load_dwordx2 s[26:27], s[4:5], 0x38
	s_load_dword s2, s[4:5], 0x48
	v_lshrrev_b32_e32 v20, 6, v0
	s_cselect_b32 s1, s12, s3
	s_xor_b32 s1, s1, s0
	v_or_b32_e32 v22, s10, v20
	s_waitcnt lgkmcnt(0)
	s_mul_i32 s28, s24, s2
	s_sub_i32 s15, s1, s0
	s_ashr_i32 s29, s28, 31
	v_cmp_gt_i32_e64 s[0:1], s21, v22
	v_cmp_le_i32_e32 vcc, s21, v22
	v_mbcnt_lo_u32_b32 v19, -1, 0
	s_barrier
	s_waitcnt lgkmcnt(0)
                                        ; implicit-def: $sgpr36
                                        ; implicit-def: $vgpr21
                                        ; implicit-def: $vgpr24
	s_and_saveexec_b64 s[2:3], vcc
	s_xor_b64 s[2:3], exec, s[2:3]
; %bb.6:
	v_mbcnt_hi_u32_b32 v21, -1, v19
	v_and_b32_e32 v2, 64, v21
	v_add_u32_e32 v24, 64, v2
	s_mov_b32 s36, 0xff7fffff
                                        ; implicit-def: $vgpr2
                                        ; implicit-def: $vgpr18
                                        ; implicit-def: $vgpr19
; %bb.7:
	s_or_saveexec_b64 s[34:35], s[2:3]
	s_load_dwordx4 s[16:19], s[4:5], 0x0
	s_load_dwordx2 s[22:23], s[4:5], 0x10
	s_load_dwordx2 s[30:31], s[4:5], 0x28
	s_load_dword s12, s[4:5], 0x98
	v_mov_b32_e32 v27, s36
	s_mul_i32 s14, s15, s14
	v_ashrrev_i32_e32 v23, 31, v22
	s_xor_b64 exec, exec, s[34:35]
	s_cbranch_execz .LBB54_13
; %bb.8:
	s_load_dwordx2 s[2:3], s[4:5], 0x20
	s_ashr_i32 s15, s14, 31
	s_lshl_b64 s[4:5], s[14:15], 2
	v_bfe_u32 v27, v0, 1, 5
	v_lshlrev_b32_e32 v3, 4, v27
	s_waitcnt lgkmcnt(0)
	s_add_u32 s2, s2, s4
	s_addc_u32 s3, s3, s5
	v_mov_b32_e32 v4, s3
	v_add_co_u32_e32 v3, vcc, s2, v3
	v_addc_co_u32_e32 v4, vcc, 0, v4, vcc
	v_and_b32_e32 v2, 8, v2
	v_mbcnt_hi_u32_b32 v21, -1, v19
	v_add_co_u32_e32 v25, vcc, v3, v2
	v_lshlrev_b32_e32 v14, 6, v18
	v_and_b32_e32 v24, 64, v21
	v_addc_co_u32_e32 v26, vcc, 0, v4, vcc
	ds_read_b128 v[2:5], v14
	ds_read_b128 v[6:9], v14 offset:16
	ds_read_b128 v[10:13], v14 offset:32
	;; [unrolled: 1-line block ×3, first 2 shown]
	v_xor_b32_e32 v19, 1, v21
	v_add_u32_e32 v24, 64, v24
	v_cmp_lt_i32_e32 vcc, v19, v24
	v_lshlrev_b32_e32 v30, 2, v27
	v_cndmask_b32_e32 v19, v21, v19, vcc
	v_cmp_eq_u32_e32 vcc, 0, v18
	s_sub_i32 s15, 1, s25
	v_lshlrev_b32_e32 v18, 5, v20
	s_lshl_b64 s[4:5], s[28:29], 2
	v_add3_u32 v29, s33, v18, v27
	v_lshl_or_b32 v18, v20, 7, v30
	s_add_u32 s4, s26, s4
	v_lshlrev_b32_e32 v28, 2, v19
	v_add_u32_e32 v30, 0x90, v18
	v_lshlrev_b64 v[18:19], 2, v[22:23]
	s_addc_u32 s5, s27, s5
	v_mov_b32_e32 v27, s5
	v_add_co_u32_e64 v18, s[4:5], s4, v18
	s_mov_b32 s41, s13
	v_cmp_neq_f32_e64 s[2:3], s40, 0
	v_addc_co_u32_e64 v19, s[4:5], v27, v19, s[4:5]
	s_mov_b64 s[36:37], 0
	v_mov_b32_e32 v27, 0xff7fffff
	v_mov_b32_e32 v31, v22
	s_branch .LBB54_10
.LBB54_9:                               ;   in Loop: Header=BB54_10 Depth=1
	s_or_b64 exec, exec, s[38:39]
	v_add_u32_e32 v31, 2, v31
	v_cmp_le_i32_e64 s[4:5], s21, v31
	s_or_b64 s[36:37], s[4:5], s[36:37]
	v_add_co_u32_e64 v18, s[4:5], 8, v18
	v_add_u32_e32 v29, 64, v29
	v_add_u32_e32 v30, 0x100, v30
	v_addc_co_u32_e64 v19, s[4:5], 0, v19, s[4:5]
	s_andn2_b64 exec, exec, s[36:37]
	s_cbranch_execz .LBB54_12
.LBB54_10:                              ; =>This Inner Loop Header: Depth=1
	global_load_dword v32, v[18:19], off
	s_waitcnt vmcnt(0) lgkmcnt(0)
	v_mad_i64_i32 v[32:33], s[4:5], v32, s41, 0
	v_lshlrev_b64 v[32:33], 2, v[32:33]
	v_add_co_u32_e64 v32, s[4:5], v25, v32
	v_addc_co_u32_e64 v33, s[4:5], v26, v33, s[4:5]
	global_load_dwordx2 v[34:35], v[32:33], off offset:512
	global_load_dwordx2 v[36:37], v[32:33], off
	global_load_dwordx2 v[38:39], v[32:33], off offset:1024
	global_load_dwordx2 v[40:41], v[32:33], off offset:1536
	global_load_dwordx2 v[42:43], v[32:33], off offset:2048
	global_load_dwordx2 v[44:45], v[32:33], off offset:2560
	global_load_dwordx2 v[46:47], v[32:33], off offset:3072
	global_load_dwordx2 v[48:49], v[32:33], off offset:3584
	s_waitcnt vmcnt(7) lgkmcnt(3)
	v_mul_f32_e32 v32, v4, v34
	v_mul_f32_e32 v33, v5, v35
	s_waitcnt vmcnt(6)
	v_fmac_f32_e32 v32, v2, v36
	v_fmac_f32_e32 v33, v3, v37
	s_waitcnt vmcnt(5) lgkmcnt(2)
	v_fmac_f32_e32 v32, v6, v38
	v_fmac_f32_e32 v33, v7, v39
	s_waitcnt vmcnt(4)
	v_fmac_f32_e32 v32, v8, v40
	v_fmac_f32_e32 v33, v9, v41
	s_waitcnt vmcnt(3) lgkmcnt(1)
	v_fmac_f32_e32 v32, v10, v42
	v_fmac_f32_e32 v33, v11, v43
	;; [unrolled: 6-line block ×3, first 2 shown]
	s_waitcnt vmcnt(0)
	v_fmac_f32_e32 v32, v16, v48
	v_fmac_f32_e32 v33, v17, v49
	v_add_f32_e32 v32, v32, v33
	ds_bpermute_b32 v33, v28, v32
	s_and_saveexec_b64 s[38:39], vcc
	s_cbranch_execz .LBB54_9
; %bb.11:                               ;   in Loop: Header=BB54_10 Depth=1
	v_add_u32_e32 v34, s15, v29
	v_cvt_f32_i32_e32 v34, v34
	s_waitcnt lgkmcnt(0)
	v_add_f32_e32 v32, v32, v33
	v_cmp_gt_i32_e64 s[4:5], s25, v29
	v_max_f32_e32 v33, v27, v27
	v_mul_f32_e32 v34, s40, v34
	v_cndmask_b32_e64 v34, 0, v34, s[2:3]
	v_fmac_f32_e32 v34, s11, v32
	v_cndmask_b32_e64 v32, 0, v34, s[4:5]
	ds_write_b32 v30, v32
	v_max_f32_e32 v32, v33, v34
	v_cndmask_b32_e64 v27, v27, v32, s[4:5]
	s_branch .LBB54_9
.LBB54_12:
	s_or_b64 exec, exec, s[36:37]
.LBB54_13:
	s_or_b64 exec, exec, s[34:35]
	v_xor_b32_e32 v2, 32, v21
	v_cmp_lt_i32_e32 vcc, v2, v24
	v_cndmask_b32_e32 v2, v21, v2, vcc
	v_lshlrev_b32_e32 v2, 2, v2
	ds_bpermute_b32 v3, v2, v27
	v_xor_b32_e32 v5, 16, v21
	v_max_f32_e32 v4, v27, v27
	v_cmp_lt_i32_e32 vcc, v5, v24
	v_xor_b32_e32 v6, 8, v21
	s_waitcnt lgkmcnt(0)
	v_max_f32_e32 v3, v3, v3
	v_max_f32_e32 v4, v4, v3
	v_cndmask_b32_e32 v3, v21, v5, vcc
	v_lshlrev_b32_e32 v3, 2, v3
	ds_bpermute_b32 v5, v3, v4
	v_cmp_lt_i32_e32 vcc, v6, v24
	v_xor_b32_e32 v7, 4, v21
	v_and_b32_e32 v30, 63, v0
	s_waitcnt lgkmcnt(0)
	v_max_f32_e32 v5, v5, v5
	v_max_f32_e32 v4, v4, v5
	v_cndmask_b32_e32 v5, v21, v6, vcc
	v_lshlrev_b32_e32 v5, 2, v5
	ds_bpermute_b32 v6, v5, v4
	v_cmp_lt_i32_e32 vcc, v7, v24
	s_waitcnt lgkmcnt(0)
	v_max_f32_e32 v6, v6, v6
	v_max_f32_e32 v4, v4, v6
	v_cndmask_b32_e32 v6, v21, v7, vcc
	v_lshlrev_b32_e32 v32, 2, v6
	ds_bpermute_b32 v6, v32, v4
	v_xor_b32_e32 v7, 2, v21
	v_cmp_lt_i32_e32 vcc, v7, v24
	s_waitcnt lgkmcnt(0)
	v_max_f32_e32 v6, v6, v6
	v_max_f32_e32 v4, v4, v6
	v_cndmask_b32_e32 v6, v21, v7, vcc
	v_lshlrev_b32_e32 v31, 2, v6
	ds_bpermute_b32 v7, v31, v4
	v_cmp_eq_u32_e32 vcc, 0, v30
	v_lshlrev_b32_e32 v6, 2, v20
	s_and_saveexec_b64 s[2:3], vcc
	s_cbranch_execz .LBB54_15
; %bb.14:
	s_waitcnt lgkmcnt(0)
	v_max_f32_e32 v7, v7, v7
	v_max_f32_e32 v4, v4, v4
	;; [unrolled: 1-line block ×3, first 2 shown]
	ds_write_b32 v6, v4 offset:128
.LBB54_15:
	s_or_b64 exec, exec, s[2:3]
	v_cmp_gt_u32_e64 s[2:3], 2, v30
	v_mov_b32_e32 v4, 0xff7fffff
	s_waitcnt lgkmcnt(0)
	v_lshlrev_b32_e32 v7, 2, v30
	s_barrier
	s_and_saveexec_b64 s[4:5], s[2:3]
	s_cbranch_execz .LBB54_17
; %bb.16:
	ds_read_b32 v4, v7 offset:128
.LBB54_17:
	s_or_b64 exec, exec, s[4:5]
	v_xor_b32_e32 v8, 1, v21
	v_cmp_lt_i32_e64 s[4:5], v8, v24
	v_cndmask_b32_e64 v8, v21, v8, s[4:5]
	v_lshlrev_b32_e32 v33, 2, v8
	s_waitcnt lgkmcnt(0)
	ds_bpermute_b32 v8, v33, v4
	v_max_f32_e32 v4, v4, v4
	s_sub_i32 s4, s21, s10
	s_lshl_b32 s4, s4, 5
	s_add_i32 s4, s4, s33
	s_waitcnt lgkmcnt(0)
	v_max_f32_e32 v8, v8, v8
	v_max_f32_e32 v4, v4, v8
	v_lshlrev_b32_e32 v8, 2, v21
	v_and_b32_e32 v8, 0xffffff00, v8
	ds_bpermute_b32 v4, v8, v4
	s_min_i32 s38, s4, s25
	s_sub_i32 s15, s38, s33
	v_cmp_gt_i32_e64 s[4:5], s15, v0
	v_mov_b32_e32 v9, 0
	s_and_saveexec_b64 s[34:35], s[4:5]
	s_cbranch_execz .LBB54_21
; %bb.18:
	v_mov_b32_e32 v9, 0x90
	v_lshl_add_u32 v10, v0, 2, v9
	s_mov_b64 s[36:37], 0
	v_mov_b32_e32 v9, 0
	v_mov_b32_e32 v11, v0
.LBB54_19:                              ; =>This Inner Loop Header: Depth=1
	ds_read_b32 v12, v10
	v_add_u32_e32 v11, 0x80, v11
	v_cmp_le_i32_e64 s[10:11], s15, v11
	s_or_b64 s[36:37], s[10:11], s[36:37]
	s_waitcnt lgkmcnt(0)
	v_sub_f32_e32 v12, v12, v4
	v_mul_f32_e32 v12, 0x3fb8aa3b, v12
	v_exp_f32_e32 v12, v12
	ds_write_b32 v10, v12
	v_add_f32_e32 v9, v9, v12
	v_add_u32_e32 v10, 0x200, v10
	s_andn2_b64 exec, exec, s[36:37]
	s_cbranch_execnz .LBB54_19
; %bb.20:
	s_or_b64 exec, exec, s[36:37]
.LBB54_21:
	s_or_b64 exec, exec, s[34:35]
	ds_bpermute_b32 v2, v2, v9
	s_waitcnt lgkmcnt(0)
	v_add_f32_e32 v2, v9, v2
	ds_bpermute_b32 v3, v3, v2
	s_waitcnt lgkmcnt(0)
	v_add_f32_e32 v2, v2, v3
	;; [unrolled: 3-line block ×6, first 2 shown]
	s_and_saveexec_b64 s[10:11], vcc
	s_cbranch_execz .LBB54_23
; %bb.22:
	ds_write_b32 v6, v2 offset:136
.LBB54_23:
	s_or_b64 exec, exec, s[10:11]
	s_waitcnt lgkmcnt(0)
	s_barrier
	s_and_saveexec_b64 s[10:11], s[2:3]
	s_cbranch_execz .LBB54_25
; %bb.24:
	ds_read_b32 v2, v7 offset:136
.LBB54_25:
	s_or_b64 exec, exec, s[10:11]
	s_waitcnt lgkmcnt(0)
	ds_bpermute_b32 v3, v33, v2
	s_waitcnt lgkmcnt(0)
	v_add_f32_e32 v2, v2, v3
	ds_bpermute_b32 v5, v8, v2
	s_and_saveexec_b64 s[2:3], s[4:5]
	s_cbranch_execz .LBB54_38
; %bb.26:
	s_waitcnt lgkmcnt(0)
	v_add_f32_e32 v2, 0x358637bd, v5
	v_div_scale_f32 v3, s[4:5], v2, v2, 1.0
	v_rcp_f32_e32 v6, v3
	v_div_scale_f32 v7, vcc, 1.0, v2, 1.0
	s_movk_i32 s4, 0x7f
	v_fma_f32 v8, -v3, v6, 1.0
	v_fmac_f32_e32 v6, v8, v6
	v_mul_f32_e32 v8, v7, v6
	v_fma_f32 v9, -v3, v8, v7
	v_fmac_f32_e32 v8, v9, v6
	v_fma_f32 v3, -v3, v8, v7
	v_div_fmas_f32 v3, v3, v6, v8
	v_div_fixup_f32 v2, v3, v2, 1.0
	v_xad_u32 v3, v0, -1, s38
	v_subrev_u32_e32 v6, s33, v3
	v_cmp_lt_u32_e32 vcc, s4, v6
	s_mov_b64 s[10:11], -1
	v_mov_b32_e32 v3, v0
	s_and_saveexec_b64 s[4:5], vcc
	s_cbranch_execz .LBB54_35
; %bb.27:
	v_lshrrev_b32_e32 v6, 7, v6
	v_add_u32_e32 v8, -1, v6
	v_lshrrev_b32_e32 v7, 1, v8
	v_mov_b32_e32 v3, v2
	v_add_u32_e32 v7, 1, v7
	v_cmp_lt_u32_e32 vcc, 13, v8
	v_mov_b32_e32 v10, 0
	s_and_saveexec_b64 s[10:11], vcc
	s_cbranch_execz .LBB54_31
; %bb.28:
	v_mov_b32_e32 v9, 0x90
	v_and_b32_e32 v8, -8, v7
	v_lshl_add_u32 v9, v0, 2, v9
	s_mov_b32 s36, 0
	s_mov_b64 s[34:35], 0
.LBB54_29:                              ; =>This Inner Loop Header: Depth=1
	ds_read2st64_b32 v[10:11], v9 offset1:2
	ds_read2st64_b32 v[12:13], v9 offset0:4 offset1:6
	ds_read2st64_b32 v[14:15], v9 offset0:8 offset1:10
	;; [unrolled: 1-line block ×3, first 2 shown]
	v_add_u32_e32 v8, -8, v8
	s_waitcnt lgkmcnt(3)
	v_pk_mul_f32 v[10:11], v[2:3], v[10:11]
	s_waitcnt lgkmcnt(2)
	v_pk_mul_f32 v[12:13], v[2:3], v[12:13]
	ds_write2st64_b32 v9, v10, v11 offset1:2
	ds_write2st64_b32 v9, v12, v13 offset0:4 offset1:6
	ds_read2st64_b32 v[12:13], v9 offset0:16 offset1:18
	s_waitcnt lgkmcnt(4)
	v_pk_mul_f32 v[10:11], v[2:3], v[14:15]
	ds_write2st64_b32 v9, v10, v11 offset0:8 offset1:10
	s_waitcnt lgkmcnt(4)
	v_pk_mul_f32 v[10:11], v[2:3], v[16:17]
	ds_write2st64_b32 v9, v10, v11 offset0:12 offset1:14
	ds_read2st64_b32 v[10:11], v9 offset0:20 offset1:22
	s_waitcnt lgkmcnt(3)
	v_pk_mul_f32 v[12:13], v[2:3], v[12:13]
	ds_read2st64_b32 v[14:15], v9 offset0:24 offset1:26
	ds_write2st64_b32 v9, v12, v13 offset0:16 offset1:18
	ds_read2st64_b32 v[12:13], v9 offset0:28 offset1:30
	s_waitcnt lgkmcnt(3)
	v_pk_mul_f32 v[10:11], v[2:3], v[10:11]
	ds_write2st64_b32 v9, v10, v11 offset0:20 offset1:22
	s_waitcnt lgkmcnt(3)
	v_pk_mul_f32 v[10:11], v[2:3], v[14:15]
	ds_write2st64_b32 v9, v10, v11 offset0:24 offset1:26
	s_waitcnt lgkmcnt(2)
	v_pk_mul_f32 v[10:11], v[2:3], v[12:13]
	s_add_i32 s36, s36, 16
	v_cmp_eq_u32_e32 vcc, 0, v8
	ds_write2st64_b32 v9, v10, v11 offset0:28 offset1:30
	v_add_u32_e32 v9, 0x2000, v9
	s_or_b64 s[34:35], vcc, s[34:35]
	v_mov_b32_e32 v10, s36
	s_andn2_b64 exec, exec, s[34:35]
	s_cbranch_execnz .LBB54_29
; %bb.30:
	s_or_b64 exec, exec, s[34:35]
.LBB54_31:
	s_or_b64 exec, exec, s[10:11]
	v_and_b32_e32 v7, 7, v7
	v_cmp_ne_u32_e32 vcc, 0, v7
	s_and_saveexec_b64 s[10:11], vcc
	s_cbranch_execz .LBB54_34
; %bb.32:
	v_lshlrev_b32_e32 v8, 9, v10
	s_movk_i32 s34, 0x90
	v_add3_u32 v8, v8, v1, s34
	s_mov_b64 s[34:35], 0
.LBB54_33:                              ; =>This Inner Loop Header: Depth=1
	ds_read2st64_b32 v[10:11], v8 offset1:2
	v_add_u32_e32 v7, -1, v7
	v_cmp_eq_u32_e32 vcc, 0, v7
	s_or_b64 s[34:35], vcc, s[34:35]
	s_waitcnt lgkmcnt(0)
	v_pk_mul_f32 v[10:11], v[2:3], v[10:11]
	ds_write2st64_b32 v8, v10, v11 offset1:2
	v_add_u32_e32 v8, 0x400, v8
	s_andn2_b64 exec, exec, s[34:35]
	s_cbranch_execnz .LBB54_33
.LBB54_34:
	s_or_b64 exec, exec, s[10:11]
	v_add_u32_e32 v6, 1, v6
	v_and_b32_e32 v7, 0x3fffffe, v6
	v_cmp_ne_u32_e32 vcc, v6, v7
	v_lshl_add_u32 v3, v7, 7, v0
	s_orn2_b64 s[10:11], vcc, exec
.LBB54_35:
	s_or_b64 exec, exec, s[4:5]
	s_and_b64 exec, exec, s[10:11]
	s_cbranch_execz .LBB54_38
; %bb.36:
	v_mov_b32_e32 v6, 0x90
	v_lshl_add_u32 v6, v3, 2, v6
	s_mov_b64 s[4:5], 0
.LBB54_37:                              ; =>This Inner Loop Header: Depth=1
	ds_read_b32 v7, v6
	v_add_u32_e32 v3, 0x80, v3
	v_cmp_le_i32_e32 vcc, s15, v3
	s_or_b64 s[4:5], vcc, s[4:5]
	s_waitcnt lgkmcnt(0)
	v_mul_f32_e32 v7, v2, v7
	ds_write_b32 v6, v7
	v_add_u32_e32 v6, 0x200, v6
	s_andn2_b64 exec, exec, s[4:5]
	s_cbranch_execnz .LBB54_37
.LBB54_38:
	s_or_b64 exec, exec, s[2:3]
	s_mul_i32 s2, s12, s24
	v_cmp_eq_u32_e32 vcc, 0, v0
	s_mul_i32 s2, s2, s9
	s_waitcnt lgkmcnt(0)
	s_barrier
	s_and_saveexec_b64 s[4:5], vcc
	s_cbranch_execz .LBB54_40
; %bb.39:
	s_ashr_i32 s3, s2, 31
	s_lshl_b64 s[10:11], s[2:3], 2
	s_add_u32 s3, s18, s10
	s_mul_i32 s18, s12, s6
	s_addc_u32 s9, s19, s11
	s_ashr_i32 s19, s18, 31
	s_lshl_b64 s[18:19], s[18:19], 2
	s_add_u32 s3, s3, s18
	s_addc_u32 s6, s9, s19
	s_ashr_i32 s9, s8, 31
	s_lshl_b64 s[34:35], s[8:9], 2
	s_add_u32 s36, s3, s34
	s_addc_u32 s37, s6, s35
	s_add_u32 s3, s16, s10
	s_addc_u32 s6, s17, s11
	;; [unrolled: 2-line block ×3, first 2 shown]
	s_add_u32 s10, s3, s34
	v_mov_b32_e32 v2, 0
	s_addc_u32 s11, s6, s35
	global_store_dword v2, v4, s[36:37]
	global_store_dword v2, v5, s[10:11]
.LBB54_40:
	s_or_b64 exec, exec, s[4:5]
	v_mov_b32_e32 v25, 0
	v_and_b32_e32 v34, 7, v0
	v_mov_b32_e32 v24, 0
	v_mov_b32_e32 v27, 0
	;; [unrolled: 1-line block ×3, first 2 shown]
	s_and_saveexec_b64 s[4:5], s[0:1]
	s_cbranch_execz .LBB54_52
; %bb.41:
	s_ashr_i32 s15, s14, 31
	s_lshl_b64 s[0:1], s[14:15], 2
	v_and_b32_e32 v2, 28, v1
	s_add_u32 s0, s30, s0
	v_lshlrev_b32_e32 v1, 4, v0
	s_addc_u32 s1, s31, s1
	v_and_b32_e32 v1, 0x3f0, v1
	v_mov_b32_e32 v3, s1
	v_add_co_u32_e32 v1, vcc, s0, v1
	v_addc_co_u32_e32 v35, vcc, 0, v3, vcc
	v_lshl_add_u32 v3, v20, 5, s33
	s_add_i32 s9, s7, -1
	v_add3_u32 v36, v3, v2, 3
	v_lshlrev_b32_e32 v2, 4, v34
	s_lshl_b64 s[0:1], s[28:29], 2
	v_lshl_or_b32 v2, v20, 7, v2
	s_add_u32 s0, s26, s0
	v_add_u32_e32 v37, 0x90, v2
	v_lshlrev_b64 v[2:3], 2, v[22:23]
	s_addc_u32 s1, s27, s1
	v_mov_b32_e32 v4, s1
	v_add_co_u32_e32 v28, vcc, s0, v2
	v_mov_b32_e32 v26, 0
	s_mov_b32 s3, s13
	v_addc_co_u32_e32 v29, vcc, v4, v3, vcc
	s_mov_b64 s[6:7], 0
	v_mov_b32_e32 v27, v26
	v_mov_b32_e32 v24, v26
	;; [unrolled: 1-line block ×3, first 2 shown]
	s_branch .LBB54_43
.LBB54_42:                              ;   in Loop: Header=BB54_43 Depth=1
	s_or_b64 exec, exec, s[0:1]
	s_waitcnt vmcnt(3) lgkmcnt(0)
	v_mul_f32_e32 v7, v3, v7
	v_fmac_f32_e32 v7, v2, v6
	s_waitcnt vmcnt(2)
	v_mul_f32_e32 v6, v3, v11
	v_fmac_f32_e32 v6, v2, v10
	v_fmac_f32_e32 v6, v4, v12
	;; [unrolled: 1-line block ×3, first 2 shown]
	v_add_f32_e32 v27, v27, v6
	s_waitcnt vmcnt(1)
	v_mul_f32_e32 v6, v3, v15
	s_waitcnt vmcnt(0)
	v_mul_f32_e32 v3, v3, v19
	v_fmac_f32_e32 v6, v2, v14
	v_fmac_f32_e32 v3, v2, v18
	v_add_u32_e32 v22, 2, v22
	v_fmac_f32_e32 v7, v4, v8
	v_fmac_f32_e32 v6, v4, v16
	;; [unrolled: 1-line block ×3, first 2 shown]
	v_cmp_le_i32_e32 vcc, s21, v22
	v_fmac_f32_e32 v7, v5, v9
	v_fmac_f32_e32 v6, v5, v17
	;; [unrolled: 1-line block ×3, first 2 shown]
	s_or_b64 s[6:7], vcc, s[6:7]
	v_add_co_u32_e32 v28, vcc, 8, v28
	v_add_f32_e32 v26, v26, v7
	v_add_f32_e32 v24, v24, v6
	;; [unrolled: 1-line block ×3, first 2 shown]
	v_add_u32_e32 v36, 64, v36
	v_add_u32_e32 v37, 0x100, v37
	v_addc_co_u32_e32 v29, vcc, 0, v29, vcc
	s_andn2_b64 exec, exec, s[6:7]
	s_cbranch_execz .LBB54_51
.LBB54_43:                              ; =>This Inner Loop Header: Depth=1
	global_load_dword v2, v[28:29], off
	v_add_u32_e32 v23, -3, v36
	v_add_u32_e32 v39, -2, v36
	;; [unrolled: 1-line block ×3, first 2 shown]
	s_waitcnt vmcnt(0)
	v_mad_i64_i32 v[2:3], s[0:1], v2, s3, 0
	v_lshlrev_b64 v[2:3], 2, v[2:3]
	v_add_co_u32_e32 v18, vcc, v1, v2
	v_addc_co_u32_e32 v19, vcc, v35, v3, vcc
	global_load_dwordx4 v[6:9], v[18:19], off
	ds_read_b128 v[2:5], v37
	v_cmp_eq_u32_e32 vcc, s9, v22
	s_and_saveexec_b64 s[10:11], vcc
	s_cbranch_execnz .LBB54_47
; %bb.44:                               ;   in Loop: Header=BB54_43 Depth=1
	s_or_b64 exec, exec, s[10:11]
	global_load_dwordx4 v[10:13], v[18:19], off offset:1024
	s_and_saveexec_b64 s[10:11], vcc
	s_cbranch_execnz .LBB54_48
.LBB54_45:                              ;   in Loop: Header=BB54_43 Depth=1
	s_or_b64 exec, exec, s[10:11]
	global_load_dwordx4 v[14:17], v[18:19], off offset:2048
	s_and_saveexec_b64 s[10:11], vcc
	s_cbranch_execnz .LBB54_49
.LBB54_46:                              ;   in Loop: Header=BB54_43 Depth=1
	s_or_b64 exec, exec, s[10:11]
	global_load_dwordx4 v[18:21], v[18:19], off offset:3072
	s_and_saveexec_b64 s[0:1], vcc
	s_cbranch_execz .LBB54_42
	s_branch .LBB54_50
.LBB54_47:                              ;   in Loop: Header=BB54_43 Depth=1
	v_cmp_gt_i32_e64 s[0:1], s25, v23
	s_waitcnt vmcnt(0)
	v_cndmask_b32_e64 v6, 0, v6, s[0:1]
	v_cmp_gt_i32_e64 s[0:1], s25, v39
	v_cndmask_b32_e64 v7, 0, v7, s[0:1]
	v_cmp_gt_i32_e64 s[0:1], s25, v38
	;; [unrolled: 2-line block ×3, first 2 shown]
	v_cndmask_b32_e64 v9, 0, v9, s[0:1]
	s_or_b64 exec, exec, s[10:11]
	global_load_dwordx4 v[10:13], v[18:19], off offset:1024
	s_and_saveexec_b64 s[10:11], vcc
	s_cbranch_execz .LBB54_45
.LBB54_48:                              ;   in Loop: Header=BB54_43 Depth=1
	v_cmp_gt_i32_e64 s[0:1], s25, v23
	s_waitcnt vmcnt(0)
	v_cndmask_b32_e64 v10, 0, v10, s[0:1]
	v_cmp_gt_i32_e64 s[0:1], s25, v39
	v_cndmask_b32_e64 v11, 0, v11, s[0:1]
	v_cmp_gt_i32_e64 s[0:1], s25, v38
	;; [unrolled: 2-line block ×3, first 2 shown]
	v_cndmask_b32_e64 v13, 0, v13, s[0:1]
	s_or_b64 exec, exec, s[10:11]
	global_load_dwordx4 v[14:17], v[18:19], off offset:2048
	s_and_saveexec_b64 s[10:11], vcc
	s_cbranch_execz .LBB54_46
.LBB54_49:                              ;   in Loop: Header=BB54_43 Depth=1
	v_cmp_gt_i32_e64 s[0:1], s25, v23
	s_waitcnt vmcnt(0)
	v_cndmask_b32_e64 v14, 0, v14, s[0:1]
	v_cmp_gt_i32_e64 s[0:1], s25, v39
	v_cndmask_b32_e64 v15, 0, v15, s[0:1]
	v_cmp_gt_i32_e64 s[0:1], s25, v38
	;; [unrolled: 2-line block ×3, first 2 shown]
	v_cndmask_b32_e64 v17, 0, v17, s[0:1]
	s_or_b64 exec, exec, s[10:11]
	global_load_dwordx4 v[18:21], v[18:19], off offset:3072
	s_and_saveexec_b64 s[0:1], vcc
	s_cbranch_execz .LBB54_42
.LBB54_50:                              ;   in Loop: Header=BB54_43 Depth=1
	v_cmp_gt_i32_e32 vcc, s25, v23
	s_waitcnt vmcnt(0)
	v_cndmask_b32_e32 v18, 0, v18, vcc
	v_cmp_gt_i32_e32 vcc, s25, v39
	v_cndmask_b32_e32 v19, 0, v19, vcc
	v_cmp_gt_i32_e32 vcc, s25, v38
	;; [unrolled: 2-line block ×3, first 2 shown]
	v_cndmask_b32_e32 v21, 0, v21, vcc
	s_branch .LBB54_42
.LBB54_51:
	s_or_b64 exec, exec, s[6:7]
.LBB54_52:
	s_or_b64 exec, exec, s[4:5]
	ds_bpermute_b32 v2, v32, v26
	ds_bpermute_b32 v3, v32, v27
	;; [unrolled: 1-line block ×4, first 2 shown]
	v_and_b32_e32 v1, 0x3c7, v0
	v_cmp_eq_u32_e32 vcc, 64, v1
	s_waitcnt lgkmcnt(2)
	v_pk_add_f32 v[2:3], v[26:27], v[2:3]
	ds_bpermute_b32 v6, v31, v2
	s_waitcnt lgkmcnt(1)
	v_pk_add_f32 v[4:5], v[24:25], v[4:5]
	ds_bpermute_b32 v7, v31, v3
	ds_bpermute_b32 v8, v31, v4
	;; [unrolled: 1-line block ×3, first 2 shown]
	s_waitcnt lgkmcnt(0)
	s_barrier
	v_pk_add_f32 v[2:3], v[2:3], v[6:7]
	ds_bpermute_b32 v6, v33, v2
	v_pk_add_f32 v[4:5], v[4:5], v[8:9]
	ds_bpermute_b32 v7, v33, v3
	ds_bpermute_b32 v8, v33, v4
	;; [unrolled: 1-line block ×3, first 2 shown]
	s_waitcnt lgkmcnt(0)
	v_pk_add_f32 v[2:3], v[2:3], v[6:7]
	v_pk_add_f32 v[4:5], v[4:5], v[8:9]
	s_and_saveexec_b64 s[0:1], vcc
	s_cbranch_execz .LBB54_54
; %bb.53:
	v_lshrrev_b32_e32 v6, 1, v30
	v_add_u32_e32 v6, 0x90, v6
	ds_write2_b32 v6, v2, v3 offset1:8
	ds_write2_b32 v6, v4, v5 offset0:16 offset1:24
.LBB54_54:
	s_or_b64 exec, exec, s[0:1]
	v_cmp_gt_u32_e32 vcc, 64, v0
	s_waitcnt lgkmcnt(0)
	s_barrier
	s_and_saveexec_b64 s[0:1], vcc
	s_cbranch_execz .LBB54_61
; %bb.55:
	v_cmp_eq_u32_e32 vcc, 0, v34
	v_lshrrev_b32_e32 v6, 3, v0
	s_and_saveexec_b64 s[4:5], vcc
	s_cbranch_execnz .LBB54_64
; %bb.56:
	s_or_b64 exec, exec, s[4:5]
	s_and_saveexec_b64 s[4:5], vcc
	s_cbranch_execnz .LBB54_65
.LBB54_57:
	s_or_b64 exec, exec, s[4:5]
	s_and_saveexec_b64 s[4:5], vcc
	s_cbranch_execnz .LBB54_66
.LBB54_58:
	s_or_b64 exec, exec, s[4:5]
	s_and_saveexec_b64 s[4:5], vcc
	s_cbranch_execz .LBB54_60
.LBB54_59:
	v_mov_b32_e32 v7, 0x90
	v_lshl_add_u32 v6, v6, 2, v7
	ds_read_b32 v6, v6 offset:96
	s_waitcnt lgkmcnt(0)
	v_add_f32_e32 v5, v5, v6
.LBB54_60:
	s_or_b64 exec, exec, s[4:5]
.LBB54_61:
	s_or_b64 exec, exec, s[0:1]
	v_cmp_eq_u32_e32 vcc, 0, v1
	s_barrier
	s_and_saveexec_b64 s[0:1], vcc
	s_cbranch_execz .LBB54_63
; %bb.62:
	s_lshl_b32 s0, s2, 5
	s_ashr_i32 s1, s0, 31
	s_lshl_b64 s[0:1], s[0:1], 2
	s_add_u32 s2, s22, s0
	s_mul_i32 s0, s12, s20
	s_addc_u32 s3, s23, s1
	s_ashr_i32 s1, s0, 31
	s_lshl_b64 s[0:1], s[0:1], 2
	s_add_u32 s2, s2, s0
	s_addc_u32 s3, s3, s1
	s_lshl_b32 s0, s8, 5
	s_ashr_i32 s1, s0, 31
	s_lshl_b64 s[0:1], s[0:1], 2
	s_add_u32 s0, s2, s0
	s_addc_u32 s1, s3, s1
	v_lshrrev_b32_e32 v0, 1, v0
	global_store_dword v0, v2, s[0:1]
	global_store_dword v0, v3, s[0:1] offset:32
	global_store_dword v0, v4, s[0:1] offset:64
	;; [unrolled: 1-line block ×3, first 2 shown]
.LBB54_63:
	s_endpgm
.LBB54_64:
	v_mov_b32_e32 v7, 0x90
	v_lshl_add_u32 v7, v6, 2, v7
	ds_read_b32 v7, v7
	s_waitcnt lgkmcnt(0)
	v_add_f32_e32 v2, v2, v7
	s_or_b64 exec, exec, s[4:5]
	s_and_saveexec_b64 s[4:5], vcc
	s_cbranch_execz .LBB54_57
.LBB54_65:
	v_mov_b32_e32 v7, 0x90
	v_lshl_add_u32 v7, v6, 2, v7
	ds_read_b32 v7, v7 offset:32
	s_waitcnt lgkmcnt(0)
	v_add_f32_e32 v3, v3, v7
	s_or_b64 exec, exec, s[4:5]
	s_and_saveexec_b64 s[4:5], vcc
	s_cbranch_execz .LBB54_58
.LBB54_66:
	v_mov_b32_e32 v7, 0x90
	v_lshl_add_u32 v7, v6, 2, v7
	ds_read_b32 v7, v7 offset:64
	s_waitcnt lgkmcnt(0)
	v_add_f32_e32 v4, v4, v7
	s_or_b64 exec, exec, s[4:5]
	s_and_saveexec_b64 s[4:5], vcc
	s_cbranch_execnz .LBB54_59
	s_branch .LBB54_60
	.section	.rodata,"a",@progbits
	.p2align	6, 0x0
	.amdhsa_kernel _ZN4vllm25paged_attention_v2_kernelIffLi32ELi32ELi128ELNS_18Fp8KVCacheDataTypeE0ELb0ELi512EEEvPfS2_PT_PKS3_PKT0_S9_ifPKiSB_iPKfiiiSD_SD_iiiii
		.amdhsa_group_segment_fixed_size 144
		.amdhsa_private_segment_fixed_size 0
		.amdhsa_kernarg_size 400
		.amdhsa_user_sgpr_count 6
		.amdhsa_user_sgpr_private_segment_buffer 1
		.amdhsa_user_sgpr_dispatch_ptr 0
		.amdhsa_user_sgpr_queue_ptr 0
		.amdhsa_user_sgpr_kernarg_segment_ptr 1
		.amdhsa_user_sgpr_dispatch_id 0
		.amdhsa_user_sgpr_flat_scratch_init 0
		.amdhsa_user_sgpr_kernarg_preload_length 0
		.amdhsa_user_sgpr_kernarg_preload_offset 0
		.amdhsa_user_sgpr_private_segment_size 0
		.amdhsa_uses_dynamic_stack 0
		.amdhsa_system_sgpr_private_segment_wavefront_offset 0
		.amdhsa_system_sgpr_workgroup_id_x 1
		.amdhsa_system_sgpr_workgroup_id_y 1
		.amdhsa_system_sgpr_workgroup_id_z 1
		.amdhsa_system_sgpr_workgroup_info 0
		.amdhsa_system_vgpr_workitem_id 0
		.amdhsa_next_free_vgpr 50
		.amdhsa_next_free_sgpr 42
		.amdhsa_accum_offset 52
		.amdhsa_reserve_vcc 1
		.amdhsa_reserve_flat_scratch 0
		.amdhsa_float_round_mode_32 0
		.amdhsa_float_round_mode_16_64 0
		.amdhsa_float_denorm_mode_32 3
		.amdhsa_float_denorm_mode_16_64 3
		.amdhsa_dx10_clamp 1
		.amdhsa_ieee_mode 1
		.amdhsa_fp16_overflow 0
		.amdhsa_tg_split 0
		.amdhsa_exception_fp_ieee_invalid_op 0
		.amdhsa_exception_fp_denorm_src 0
		.amdhsa_exception_fp_ieee_div_zero 0
		.amdhsa_exception_fp_ieee_overflow 0
		.amdhsa_exception_fp_ieee_underflow 0
		.amdhsa_exception_fp_ieee_inexact 0
		.amdhsa_exception_int_div_zero 0
	.end_amdhsa_kernel
	.section	.text._ZN4vllm25paged_attention_v2_kernelIffLi32ELi32ELi128ELNS_18Fp8KVCacheDataTypeE0ELb0ELi512EEEvPfS2_PT_PKS3_PKT0_S9_ifPKiSB_iPKfiiiSD_SD_iiiii,"axG",@progbits,_ZN4vllm25paged_attention_v2_kernelIffLi32ELi32ELi128ELNS_18Fp8KVCacheDataTypeE0ELb0ELi512EEEvPfS2_PT_PKS3_PKT0_S9_ifPKiSB_iPKfiiiSD_SD_iiiii,comdat
.Lfunc_end54:
	.size	_ZN4vllm25paged_attention_v2_kernelIffLi32ELi32ELi128ELNS_18Fp8KVCacheDataTypeE0ELb0ELi512EEEvPfS2_PT_PKS3_PKT0_S9_ifPKiSB_iPKfiiiSD_SD_iiiii, .Lfunc_end54-_ZN4vllm25paged_attention_v2_kernelIffLi32ELi32ELi128ELNS_18Fp8KVCacheDataTypeE0ELb0ELi512EEEvPfS2_PT_PKS3_PKT0_S9_ifPKiSB_iPKfiiiSD_SD_iiiii
                                        ; -- End function
	.section	.AMDGPU.csdata,"",@progbits
; Kernel info:
; codeLenInByte = 4076
; NumSgprs: 46
; NumVgprs: 50
; NumAgprs: 0
; TotalNumVgprs: 50
; ScratchSize: 0
; MemoryBound: 0
; FloatMode: 240
; IeeeMode: 1
; LDSByteSize: 144 bytes/workgroup (compile time only)
; SGPRBlocks: 5
; VGPRBlocks: 6
; NumSGPRsForWavesPerEU: 46
; NumVGPRsForWavesPerEU: 50
; AccumOffset: 52
; Occupancy: 8
; WaveLimiterHint : 1
; COMPUTE_PGM_RSRC2:SCRATCH_EN: 0
; COMPUTE_PGM_RSRC2:USER_SGPR: 6
; COMPUTE_PGM_RSRC2:TRAP_HANDLER: 0
; COMPUTE_PGM_RSRC2:TGID_X_EN: 1
; COMPUTE_PGM_RSRC2:TGID_Y_EN: 1
; COMPUTE_PGM_RSRC2:TGID_Z_EN: 1
; COMPUTE_PGM_RSRC2:TIDIG_COMP_CNT: 0
; COMPUTE_PGM_RSRC3_GFX90A:ACCUM_OFFSET: 12
; COMPUTE_PGM_RSRC3_GFX90A:TG_SPLIT: 0
	.section	.text._ZN4vllm25paged_attention_v2_kernelIffLi64ELi32ELi128ELNS_18Fp8KVCacheDataTypeE0ELb0ELi512EEEvPfS2_PT_PKS3_PKT0_S9_ifPKiSB_iPKfiiiSD_SD_iiiii,"axG",@progbits,_ZN4vllm25paged_attention_v2_kernelIffLi64ELi32ELi128ELNS_18Fp8KVCacheDataTypeE0ELb0ELi512EEEvPfS2_PT_PKS3_PKT0_S9_ifPKiSB_iPKfiiiSD_SD_iiiii,comdat
	.protected	_ZN4vllm25paged_attention_v2_kernelIffLi64ELi32ELi128ELNS_18Fp8KVCacheDataTypeE0ELb0ELi512EEEvPfS2_PT_PKS3_PKT0_S9_ifPKiSB_iPKfiiiSD_SD_iiiii ; -- Begin function _ZN4vllm25paged_attention_v2_kernelIffLi64ELi32ELi128ELNS_18Fp8KVCacheDataTypeE0ELb0ELi512EEEvPfS2_PT_PKS3_PKT0_S9_ifPKiSB_iPKfiiiSD_SD_iiiii
	.globl	_ZN4vllm25paged_attention_v2_kernelIffLi64ELi32ELi128ELNS_18Fp8KVCacheDataTypeE0ELb0ELi512EEEvPfS2_PT_PKS3_PKT0_S9_ifPKiSB_iPKfiiiSD_SD_iiiii
	.p2align	8
	.type	_ZN4vllm25paged_attention_v2_kernelIffLi64ELi32ELi128ELNS_18Fp8KVCacheDataTypeE0ELb0ELi512EEEvPfS2_PT_PKS3_PKT0_S9_ifPKiSB_iPKfiiiSD_SD_iiiii,@function
_ZN4vllm25paged_attention_v2_kernelIffLi64ELi32ELi128ELNS_18Fp8KVCacheDataTypeE0ELb0ELi512EEEvPfS2_PT_PKS3_PKT0_S9_ifPKiSB_iPKfiiiSD_SD_iiiii: ; @_ZN4vllm25paged_attention_v2_kernelIffLi64ELi32ELi128ELNS_18Fp8KVCacheDataTypeE0ELb0ELi512EEEvPfS2_PT_PKS3_PKT0_S9_ifPKiSB_iPKfiiiSD_SD_iiiii
; %bb.0:
	s_load_dwordx2 s[0:1], s[4:5], 0x40
	s_mov_b32 s24, s7
	s_ashr_i32 s25, s7, 31
	s_lshl_b64 s[2:3], s[24:25], 2
	s_waitcnt lgkmcnt(0)
	s_add_u32 s0, s0, s2
	s_addc_u32 s1, s1, s3
	s_load_dword s25, s[0:1], 0x0
	s_lshl_b32 s33, s8, 9
	s_waitcnt lgkmcnt(0)
	s_cmp_ge_i32 s33, s25
	s_cbranch_scc1 .LBB55_75
; %bb.1:
	s_load_dword s9, s[4:5], 0x90
	s_load_dwordx2 s[10:11], s[4:5], 0x30
	s_mov_b32 s40, 0
	s_waitcnt lgkmcnt(0)
	s_abs_i32 s2, s9
	s_abs_i32 s0, s10
	v_cvt_f32_u32_e32 v1, s0
	s_sub_i32 s3, 0, s0
	s_xor_b32 s1, s9, s10
	s_ashr_i32 s1, s1, 31
	v_rcp_iflag_f32_e32 v1, v1
	v_mul_f32_e32 v1, 0x4f7ffffe, v1
	v_cvt_u32_f32_e32 v1, v1
	v_readfirstlane_b32 s7, v1
	s_mul_i32 s3, s3, s7
	s_mul_hi_u32 s3, s7, s3
	s_add_i32 s7, s7, s3
	s_mul_hi_u32 s3, s2, s7
	s_mul_i32 s7, s3, s0
	s_sub_i32 s2, s2, s7
	s_add_i32 s10, s3, 1
	s_sub_i32 s7, s2, s0
	s_cmp_ge_u32 s2, s0
	s_cselect_b32 s3, s10, s3
	s_cselect_b32 s2, s7, s2
	s_add_i32 s7, s3, 1
	s_cmp_ge_u32 s2, s0
	s_cselect_b32 s0, s7, s3
	s_xor_b32 s0, s0, s1
	s_sub_i32 s10, s0, s1
	s_abs_i32 s2, s10
	v_cvt_f32_u32_e32 v1, s2
	s_load_dwordx2 s[0:1], s[4:5], 0x50
	s_sub_i32 s7, 0, s2
	s_abs_i32 s3, s6
	v_rcp_iflag_f32_e32 v1, v1
	v_mul_f32_e32 v1, 0x4f7ffffe, v1
	v_cvt_u32_f32_e32 v1, v1
	v_readfirstlane_b32 s12, v1
	s_mul_i32 s7, s7, s12
	s_mul_hi_u32 s7, s12, s7
	s_add_i32 s12, s12, s7
	s_waitcnt lgkmcnt(0)
	s_cmp_eq_u64 s[0:1], 0
	s_mul_hi_u32 s16, s3, s12
	s_cbranch_scc1 .LBB55_3
; %bb.2:
	s_ashr_i32 s7, s6, 31
	s_lshl_b64 s[12:13], s[6:7], 2
	s_add_u32 s0, s0, s12
	s_addc_u32 s1, s1, s13
	s_load_dword s40, s[0:1], 0x0
.LBB55_3:
	s_load_dwordx4 s[12:15], s[4:5], 0x58
	s_ashr_i32 s17, s6, 31
	s_ashr_i32 s18, s10, 31
	v_and_b32_e32 v34, 1, v0
	s_lshl_b32 s20, s6, 6
	v_cmp_gt_u32_e32 vcc, 32, v0
	v_lshlrev_b32_e32 v1, 3, v0
	v_lshlrev_b32_e32 v36, 2, v0
	s_and_saveexec_b64 s[0:1], vcc
	s_cbranch_execz .LBB55_5
; %bb.4:
	s_load_dwordx2 s[22:23], s[4:5], 0x18
	s_waitcnt lgkmcnt(0)
	s_mul_i32 s26, s24, s12
	s_ashr_i32 s27, s26, 31
	s_lshl_b64 s[26:27], s[26:27], 2
	v_and_b32_e32 v4, 0xff8, v36
	s_add_u32 s7, s22, s26
	s_addc_u32 s10, s23, s27
	s_ashr_i32 s21, s20, 31
	s_lshl_b64 s[22:23], s[20:21], 2
	s_add_u32 s22, s7, s22
	s_addc_u32 s23, s10, s23
	global_load_dwordx2 v[2:3], v1, s[22:23]
	v_lshl_add_u32 v4, v34, 7, v4
	s_waitcnt vmcnt(0)
	ds_write_b64 v4, v[2:3]
.LBB55_5:
	s_or_b64 exec, exec, s[0:1]
	s_add_i32 s0, s25, 31
	s_ashr_i32 s1, s0, 31
	s_lshr_b32 s1, s1, 27
	s_add_i32 s0, s0, s1
	s_lshl_b32 s10, s8, 4
	s_mul_i32 s1, s16, s2
	s_ashr_i32 s7, s0, 5
	s_add_i32 s0, s10, 16
	s_sub_i32 s1, s3, s1
	s_min_i32 s21, s0, s7
	s_xor_b32 s0, s17, s18
	s_add_i32 s3, s16, 1
	s_waitcnt lgkmcnt(0)
	s_sub_i32 s12, s1, s2
	s_cmp_ge_u32 s1, s2
	s_cselect_b32 s3, s3, s16
	s_cselect_b32 s1, s12, s1
	s_add_i32 s12, s3, 1
	s_cmp_ge_u32 s1, s2
	s_load_dwordx2 s[26:27], s[4:5], 0x38
	s_load_dword s2, s[4:5], 0x48
	v_lshrrev_b32_e32 v37, 6, v0
	s_cselect_b32 s1, s12, s3
	s_xor_b32 s1, s1, s0
	v_or_b32_e32 v38, s10, v37
	s_waitcnt lgkmcnt(0)
	s_mul_i32 s28, s24, s2
	s_sub_i32 s15, s1, s0
	s_ashr_i32 s29, s28, 31
	v_cmp_gt_i32_e64 s[0:1], s21, v38
	v_cmp_le_i32_e32 vcc, s21, v38
	v_mbcnt_lo_u32_b32 v35, -1, 0
	s_barrier
	s_waitcnt lgkmcnt(0)
                                        ; implicit-def: $sgpr36
                                        ; implicit-def: $vgpr40
                                        ; implicit-def: $vgpr41
	s_and_saveexec_b64 s[2:3], vcc
	s_xor_b64 s[2:3], exec, s[2:3]
; %bb.6:
	v_mbcnt_hi_u32_b32 v40, -1, v35
	v_and_b32_e32 v1, 64, v40
	v_add_u32_e32 v41, 64, v1
	s_mov_b32 s36, 0xff7fffff
                                        ; implicit-def: $vgpr1
                                        ; implicit-def: $vgpr34
                                        ; implicit-def: $vgpr35
; %bb.7:
	s_or_saveexec_b64 s[34:35], s[2:3]
	s_load_dwordx4 s[16:19], s[4:5], 0x0
	s_load_dwordx2 s[22:23], s[4:5], 0x10
	s_load_dwordx2 s[30:31], s[4:5], 0x28
	s_load_dword s12, s[4:5], 0x98
	v_mov_b32_e32 v43, s36
	s_mul_i32 s14, s15, s14
	v_ashrrev_i32_e32 v39, 31, v38
	s_xor_b64 exec, exec, s[34:35]
	s_cbranch_execz .LBB55_13
; %bb.8:
	s_load_dwordx2 s[2:3], s[4:5], 0x20
	s_ashr_i32 s15, s14, 31
	s_lshl_b64 s[4:5], s[14:15], 2
	v_bfe_u32 v43, v0, 1, 5
	v_lshlrev_b32_e32 v2, 4, v43
	s_waitcnt lgkmcnt(0)
	s_add_u32 s2, s2, s4
	s_addc_u32 s3, s3, s5
	v_mov_b32_e32 v3, s3
	v_add_co_u32_e32 v2, vcc, s2, v2
	v_addc_co_u32_e32 v3, vcc, 0, v3, vcc
	v_and_b32_e32 v1, 8, v1
	v_add_co_u32_e32 v1, vcc, v2, v1
	v_lshlrev_b32_e32 v30, 7, v34
	v_addc_co_u32_e32 v42, vcc, 0, v3, vcc
	ds_read_b128 v[2:5], v30
	ds_read_b128 v[6:9], v30 offset:16
	ds_read_b128 v[10:13], v30 offset:32
	;; [unrolled: 1-line block ×7, first 2 shown]
	v_mbcnt_hi_u32_b32 v40, -1, v35
	v_and_b32_e32 v41, 64, v40
	v_xor_b32_e32 v35, 1, v40
	v_add_u32_e32 v41, 64, v41
	v_cmp_lt_i32_e32 vcc, v35, v41
	v_lshlrev_b32_e32 v46, 2, v43
	v_cndmask_b32_e32 v35, v40, v35, vcc
	v_cmp_eq_u32_e32 vcc, 0, v34
	s_sub_i32 s15, 1, s25
	v_lshlrev_b32_e32 v34, 5, v37
	s_lshl_b64 s[4:5], s[28:29], 2
	v_add3_u32 v45, s33, v34, v43
	v_lshl_or_b32 v34, v37, 7, v46
	s_add_u32 s4, s26, s4
	v_lshlrev_b32_e32 v44, 2, v35
	v_add_u32_e32 v46, 0x110, v34
	v_lshlrev_b64 v[34:35], 2, v[38:39]
	s_addc_u32 s5, s27, s5
	v_mov_b32_e32 v43, s5
	v_add_co_u32_e64 v34, s[4:5], s4, v34
	s_mov_b32 s41, s13
	v_cmp_neq_f32_e64 s[2:3], s40, 0
	v_addc_co_u32_e64 v35, s[4:5], v43, v35, s[4:5]
	s_mov_b64 s[36:37], 0
	v_mov_b32_e32 v43, 0xff7fffff
	s_movk_i32 s42, 0x1000
	v_mov_b32_e32 v47, v38
	s_branch .LBB55_10
.LBB55_9:                               ;   in Loop: Header=BB55_10 Depth=1
	s_or_b64 exec, exec, s[38:39]
	v_add_u32_e32 v47, 2, v47
	v_cmp_le_i32_e64 s[4:5], s21, v47
	s_or_b64 s[36:37], s[4:5], s[36:37]
	v_add_co_u32_e64 v34, s[4:5], 8, v34
	v_add_u32_e32 v45, 64, v45
	v_add_u32_e32 v46, 0x100, v46
	v_addc_co_u32_e64 v35, s[4:5], 0, v35, s[4:5]
	s_andn2_b64 exec, exec, s[36:37]
	s_cbranch_execz .LBB55_12
.LBB55_10:                              ; =>This Inner Loop Header: Depth=1
	global_load_dword v48, v[34:35], off
	s_waitcnt vmcnt(0) lgkmcnt(0)
	v_mad_i64_i32 v[48:49], s[4:5], v48, s41, 0
	v_lshlrev_b64 v[48:49], 2, v[48:49]
	v_add_co_u32_e64 v48, s[4:5], v1, v48
	v_addc_co_u32_e64 v49, s[4:5], v42, v49, s[4:5]
	global_load_dwordx2 v[50:51], v[48:49], off offset:512
	global_load_dwordx2 v[52:53], v[48:49], off offset:1024
	;; [unrolled: 1-line block ×3, first 2 shown]
	global_load_dwordx2 v[56:57], v[48:49], off
	global_load_dwordx2 v[58:59], v[48:49], off offset:2048
	global_load_dwordx2 v[60:61], v[48:49], off offset:2560
	;; [unrolled: 1-line block ×4, first 2 shown]
	v_add_co_u32_e64 v48, s[4:5], s42, v48
	v_addc_co_u32_e64 v49, s[4:5], 0, v49, s[4:5]
	global_load_dwordx2 v[66:67], v[48:49], off
	global_load_dwordx2 v[68:69], v[48:49], off offset:512
	global_load_dwordx2 v[70:71], v[48:49], off offset:1024
	;; [unrolled: 1-line block ×4, first 2 shown]
	s_waitcnt vmcnt(12) lgkmcnt(7)
	v_mul_f32_e32 v76, v4, v50
	v_mul_f32_e32 v77, v5, v51
	global_load_dwordx2 v[50:51], v[48:49], off offset:2048
	s_waitcnt vmcnt(10)
	v_fmac_f32_e32 v76, v2, v56
	v_fmac_f32_e32 v77, v3, v57
	global_load_dwordx2 v[56:57], v[48:49], off offset:3072
	s_nop 0
	global_load_dwordx2 v[48:49], v[48:49], off offset:3584
	s_waitcnt lgkmcnt(6)
	v_fmac_f32_e32 v76, v6, v52
	v_fmac_f32_e32 v77, v7, v53
	;; [unrolled: 1-line block ×4, first 2 shown]
	s_waitcnt vmcnt(11) lgkmcnt(5)
	v_fmac_f32_e32 v76, v10, v58
	v_fmac_f32_e32 v77, v11, v59
	s_waitcnt vmcnt(10)
	v_fmac_f32_e32 v76, v12, v60
	v_fmac_f32_e32 v77, v13, v61
	s_waitcnt vmcnt(9) lgkmcnt(4)
	v_fmac_f32_e32 v76, v14, v62
	v_fmac_f32_e32 v77, v15, v63
	s_waitcnt vmcnt(8)
	v_fmac_f32_e32 v76, v16, v64
	v_fmac_f32_e32 v77, v17, v65
	;; [unrolled: 6-line block ×4, first 2 shown]
	s_waitcnt vmcnt(2) lgkmcnt(1)
	v_fmac_f32_e32 v76, v26, v50
	v_fmac_f32_e32 v77, v27, v51
	v_fmac_f32_e32 v76, v28, v74
	v_fmac_f32_e32 v77, v29, v75
	s_waitcnt vmcnt(1) lgkmcnt(0)
	v_fmac_f32_e32 v76, v30, v56
	v_fmac_f32_e32 v77, v31, v57
	s_waitcnt vmcnt(0)
	v_fmac_f32_e32 v76, v32, v48
	v_fmac_f32_e32 v77, v33, v49
	v_add_f32_e32 v48, v76, v77
	ds_bpermute_b32 v49, v44, v48
	s_and_saveexec_b64 s[38:39], vcc
	s_cbranch_execz .LBB55_9
; %bb.11:                               ;   in Loop: Header=BB55_10 Depth=1
	v_add_u32_e32 v50, s15, v45
	v_cvt_f32_i32_e32 v50, v50
	s_waitcnt lgkmcnt(0)
	v_add_f32_e32 v48, v48, v49
	v_cmp_gt_i32_e64 s[4:5], s25, v45
	v_max_f32_e32 v49, v43, v43
	v_mul_f32_e32 v50, s40, v50
	v_cndmask_b32_e64 v50, 0, v50, s[2:3]
	v_fmac_f32_e32 v50, s11, v48
	v_cndmask_b32_e64 v48, 0, v50, s[4:5]
	ds_write_b32 v46, v48
	v_max_f32_e32 v48, v49, v50
	v_cndmask_b32_e64 v43, v43, v48, s[4:5]
	s_branch .LBB55_9
.LBB55_12:
	s_or_b64 exec, exec, s[36:37]
.LBB55_13:
	s_or_b64 exec, exec, s[34:35]
	v_xor_b32_e32 v1, 32, v40
	v_cmp_lt_i32_e32 vcc, v1, v41
	v_cndmask_b32_e32 v1, v40, v1, vcc
	v_lshlrev_b32_e32 v2, 2, v1
	ds_bpermute_b32 v1, v2, v43
	v_xor_b32_e32 v4, 16, v40
	v_max_f32_e32 v3, v43, v43
	v_cmp_lt_i32_e32 vcc, v4, v41
	v_xor_b32_e32 v5, 8, v40
	s_waitcnt lgkmcnt(0)
	v_max_f32_e32 v1, v1, v1
	v_max_f32_e32 v1, v3, v1
	v_cndmask_b32_e32 v3, v40, v4, vcc
	v_lshlrev_b32_e32 v3, 2, v3
	ds_bpermute_b32 v4, v3, v1
	v_cmp_lt_i32_e32 vcc, v5, v41
	v_xor_b32_e32 v6, 4, v40
	s_waitcnt lgkmcnt(0)
	v_max_f32_e32 v4, v4, v4
	v_max_f32_e32 v1, v1, v4
	v_cndmask_b32_e32 v4, v40, v5, vcc
	v_lshlrev_b32_e32 v5, 2, v4
	ds_bpermute_b32 v4, v5, v1
	v_cmp_lt_i32_e32 vcc, v6, v41
	s_waitcnt lgkmcnt(0)
	v_max_f32_e32 v4, v4, v4
	v_max_f32_e32 v1, v1, v4
	v_cndmask_b32_e32 v4, v40, v6, vcc
	v_lshlrev_b32_e32 v51, 2, v4
	ds_bpermute_b32 v4, v51, v1
	v_xor_b32_e32 v6, 2, v40
	v_cmp_lt_i32_e32 vcc, v6, v41
	s_waitcnt lgkmcnt(0)
	v_max_f32_e32 v4, v4, v4
	v_max_f32_e32 v4, v1, v4
	v_cndmask_b32_e32 v1, v40, v6, vcc
	v_lshlrev_b32_e32 v50, 2, v1
	ds_bpermute_b32 v7, v50, v4
	v_and_b32_e32 v1, 63, v0
	v_cmp_eq_u32_e32 vcc, 0, v1
	v_lshlrev_b32_e32 v6, 2, v37
	s_and_saveexec_b64 s[2:3], vcc
	s_cbranch_execz .LBB55_15
; %bb.14:
	s_waitcnt lgkmcnt(0)
	v_max_f32_e32 v7, v7, v7
	v_max_f32_e32 v4, v4, v4
	;; [unrolled: 1-line block ×3, first 2 shown]
	ds_write_b32 v6, v4 offset:256
.LBB55_15:
	s_or_b64 exec, exec, s[2:3]
	v_cmp_gt_u32_e64 s[2:3], 2, v1
	v_mov_b32_e32 v4, 0xff7fffff
	s_waitcnt lgkmcnt(0)
	v_lshlrev_b32_e32 v7, 2, v1
	s_barrier
	s_and_saveexec_b64 s[4:5], s[2:3]
	s_cbranch_execz .LBB55_17
; %bb.16:
	ds_read_b32 v4, v7 offset:256
.LBB55_17:
	s_or_b64 exec, exec, s[4:5]
	v_xor_b32_e32 v8, 1, v40
	v_cmp_lt_i32_e64 s[4:5], v8, v41
	v_cndmask_b32_e64 v8, v40, v8, s[4:5]
	v_lshlrev_b32_e32 v52, 2, v8
	s_waitcnt lgkmcnt(0)
	ds_bpermute_b32 v8, v52, v4
	v_max_f32_e32 v4, v4, v4
	s_sub_i32 s4, s21, s10
	s_lshl_b32 s4, s4, 5
	s_add_i32 s4, s4, s33
	s_waitcnt lgkmcnt(0)
	v_max_f32_e32 v8, v8, v8
	v_max_f32_e32 v4, v4, v8
	v_lshlrev_b32_e32 v8, 2, v40
	v_and_b32_e32 v8, 0xffffff00, v8
	ds_bpermute_b32 v4, v8, v4
	s_min_i32 s38, s4, s25
	s_sub_i32 s15, s38, s33
	v_cmp_gt_i32_e64 s[4:5], s15, v0
	v_mov_b32_e32 v9, 0
	s_and_saveexec_b64 s[34:35], s[4:5]
	s_cbranch_execz .LBB55_21
; %bb.18:
	v_mov_b32_e32 v9, 0x110
	v_lshl_add_u32 v10, v0, 2, v9
	s_mov_b64 s[36:37], 0
	v_mov_b32_e32 v9, 0
	v_mov_b32_e32 v11, v0
.LBB55_19:                              ; =>This Inner Loop Header: Depth=1
	ds_read_b32 v12, v10
	v_add_u32_e32 v11, 0x80, v11
	v_cmp_le_i32_e64 s[10:11], s15, v11
	s_or_b64 s[36:37], s[10:11], s[36:37]
	s_waitcnt lgkmcnt(0)
	v_sub_f32_e32 v12, v12, v4
	v_mul_f32_e32 v12, 0x3fb8aa3b, v12
	v_exp_f32_e32 v12, v12
	ds_write_b32 v10, v12
	v_add_f32_e32 v9, v9, v12
	v_add_u32_e32 v10, 0x200, v10
	s_andn2_b64 exec, exec, s[36:37]
	s_cbranch_execnz .LBB55_19
; %bb.20:
	s_or_b64 exec, exec, s[36:37]
.LBB55_21:
	s_or_b64 exec, exec, s[34:35]
	ds_bpermute_b32 v2, v2, v9
	s_waitcnt lgkmcnt(0)
	v_add_f32_e32 v2, v9, v2
	ds_bpermute_b32 v3, v3, v2
	s_waitcnt lgkmcnt(0)
	v_add_f32_e32 v2, v2, v3
	;; [unrolled: 3-line block ×6, first 2 shown]
	s_and_saveexec_b64 s[10:11], vcc
	s_cbranch_execz .LBB55_23
; %bb.22:
	ds_write_b32 v6, v2 offset:264
.LBB55_23:
	s_or_b64 exec, exec, s[10:11]
	s_waitcnt lgkmcnt(0)
	s_barrier
	s_and_saveexec_b64 s[10:11], s[2:3]
	s_cbranch_execz .LBB55_25
; %bb.24:
	ds_read_b32 v2, v7 offset:264
.LBB55_25:
	s_or_b64 exec, exec, s[10:11]
	s_waitcnt lgkmcnt(0)
	ds_bpermute_b32 v3, v52, v2
	s_waitcnt lgkmcnt(0)
	v_add_f32_e32 v2, v2, v3
	ds_bpermute_b32 v5, v8, v2
	s_and_saveexec_b64 s[2:3], s[4:5]
	s_cbranch_execz .LBB55_38
; %bb.26:
	s_waitcnt lgkmcnt(0)
	v_add_f32_e32 v2, 0x358637bd, v5
	v_div_scale_f32 v3, s[4:5], v2, v2, 1.0
	v_rcp_f32_e32 v6, v3
	v_div_scale_f32 v7, vcc, 1.0, v2, 1.0
	s_movk_i32 s4, 0x7f
	v_fma_f32 v8, -v3, v6, 1.0
	v_fmac_f32_e32 v6, v8, v6
	v_mul_f32_e32 v8, v7, v6
	v_fma_f32 v9, -v3, v8, v7
	v_fmac_f32_e32 v8, v9, v6
	v_fma_f32 v3, -v3, v8, v7
	v_div_fmas_f32 v3, v3, v6, v8
	v_div_fixup_f32 v2, v3, v2, 1.0
	v_xad_u32 v3, v0, -1, s38
	v_subrev_u32_e32 v6, s33, v3
	v_cmp_lt_u32_e32 vcc, s4, v6
	s_mov_b64 s[10:11], -1
	v_mov_b32_e32 v3, v0
	s_and_saveexec_b64 s[4:5], vcc
	s_cbranch_execz .LBB55_35
; %bb.27:
	v_lshrrev_b32_e32 v6, 7, v6
	v_add_u32_e32 v8, -1, v6
	v_lshrrev_b32_e32 v7, 1, v8
	v_mov_b32_e32 v3, v2
	v_add_u32_e32 v7, 1, v7
	v_cmp_lt_u32_e32 vcc, 13, v8
	v_mov_b32_e32 v10, 0
	s_and_saveexec_b64 s[10:11], vcc
	s_cbranch_execz .LBB55_31
; %bb.28:
	v_mov_b32_e32 v9, 0x110
	v_and_b32_e32 v8, -8, v7
	v_lshl_add_u32 v9, v0, 2, v9
	s_mov_b32 s36, 0
	s_mov_b64 s[34:35], 0
.LBB55_29:                              ; =>This Inner Loop Header: Depth=1
	ds_read2st64_b32 v[10:11], v9 offset1:2
	ds_read2st64_b32 v[12:13], v9 offset0:4 offset1:6
	ds_read2st64_b32 v[14:15], v9 offset0:8 offset1:10
	;; [unrolled: 1-line block ×3, first 2 shown]
	v_add_u32_e32 v8, -8, v8
	s_waitcnt lgkmcnt(3)
	v_pk_mul_f32 v[10:11], v[2:3], v[10:11]
	s_waitcnt lgkmcnt(2)
	v_pk_mul_f32 v[12:13], v[2:3], v[12:13]
	ds_write2st64_b32 v9, v10, v11 offset1:2
	ds_write2st64_b32 v9, v12, v13 offset0:4 offset1:6
	ds_read2st64_b32 v[12:13], v9 offset0:16 offset1:18
	s_waitcnt lgkmcnt(4)
	v_pk_mul_f32 v[10:11], v[2:3], v[14:15]
	ds_write2st64_b32 v9, v10, v11 offset0:8 offset1:10
	s_waitcnt lgkmcnt(4)
	v_pk_mul_f32 v[10:11], v[2:3], v[16:17]
	ds_write2st64_b32 v9, v10, v11 offset0:12 offset1:14
	ds_read2st64_b32 v[10:11], v9 offset0:20 offset1:22
	s_waitcnt lgkmcnt(3)
	v_pk_mul_f32 v[12:13], v[2:3], v[12:13]
	ds_read2st64_b32 v[14:15], v9 offset0:24 offset1:26
	ds_write2st64_b32 v9, v12, v13 offset0:16 offset1:18
	ds_read2st64_b32 v[12:13], v9 offset0:28 offset1:30
	s_waitcnt lgkmcnt(3)
	v_pk_mul_f32 v[10:11], v[2:3], v[10:11]
	ds_write2st64_b32 v9, v10, v11 offset0:20 offset1:22
	s_waitcnt lgkmcnt(3)
	v_pk_mul_f32 v[10:11], v[2:3], v[14:15]
	ds_write2st64_b32 v9, v10, v11 offset0:24 offset1:26
	s_waitcnt lgkmcnt(2)
	v_pk_mul_f32 v[10:11], v[2:3], v[12:13]
	s_add_i32 s36, s36, 16
	v_cmp_eq_u32_e32 vcc, 0, v8
	ds_write2st64_b32 v9, v10, v11 offset0:28 offset1:30
	v_add_u32_e32 v9, 0x2000, v9
	s_or_b64 s[34:35], vcc, s[34:35]
	v_mov_b32_e32 v10, s36
	s_andn2_b64 exec, exec, s[34:35]
	s_cbranch_execnz .LBB55_29
; %bb.30:
	s_or_b64 exec, exec, s[34:35]
.LBB55_31:
	s_or_b64 exec, exec, s[10:11]
	v_and_b32_e32 v7, 7, v7
	v_cmp_ne_u32_e32 vcc, 0, v7
	s_and_saveexec_b64 s[10:11], vcc
	s_cbranch_execz .LBB55_34
; %bb.32:
	v_lshlrev_b32_e32 v8, 9, v10
	s_movk_i32 s34, 0x110
	v_add3_u32 v8, v8, v36, s34
	s_mov_b64 s[34:35], 0
.LBB55_33:                              ; =>This Inner Loop Header: Depth=1
	ds_read2st64_b32 v[10:11], v8 offset1:2
	v_add_u32_e32 v7, -1, v7
	v_cmp_eq_u32_e32 vcc, 0, v7
	s_or_b64 s[34:35], vcc, s[34:35]
	s_waitcnt lgkmcnt(0)
	v_pk_mul_f32 v[10:11], v[2:3], v[10:11]
	ds_write2st64_b32 v8, v10, v11 offset1:2
	v_add_u32_e32 v8, 0x400, v8
	s_andn2_b64 exec, exec, s[34:35]
	s_cbranch_execnz .LBB55_33
.LBB55_34:
	s_or_b64 exec, exec, s[10:11]
	v_add_u32_e32 v6, 1, v6
	v_and_b32_e32 v7, 0x3fffffe, v6
	v_cmp_ne_u32_e32 vcc, v6, v7
	v_lshl_add_u32 v3, v7, 7, v0
	s_orn2_b64 s[10:11], vcc, exec
.LBB55_35:
	s_or_b64 exec, exec, s[4:5]
	s_and_b64 exec, exec, s[10:11]
	s_cbranch_execz .LBB55_38
; %bb.36:
	v_mov_b32_e32 v6, 0x110
	v_lshl_add_u32 v6, v3, 2, v6
	s_mov_b64 s[4:5], 0
.LBB55_37:                              ; =>This Inner Loop Header: Depth=1
	ds_read_b32 v7, v6
	v_add_u32_e32 v3, 0x80, v3
	v_cmp_le_i32_e32 vcc, s15, v3
	s_or_b64 s[4:5], vcc, s[4:5]
	s_waitcnt lgkmcnt(0)
	v_mul_f32_e32 v7, v2, v7
	ds_write_b32 v6, v7
	v_add_u32_e32 v6, 0x200, v6
	s_andn2_b64 exec, exec, s[4:5]
	s_cbranch_execnz .LBB55_37
.LBB55_38:
	s_or_b64 exec, exec, s[2:3]
	s_mul_i32 s2, s12, s24
	v_cmp_eq_u32_e32 vcc, 0, v0
	s_mul_i32 s2, s2, s9
	s_waitcnt lgkmcnt(0)
	s_barrier
	s_and_saveexec_b64 s[4:5], vcc
	s_cbranch_execz .LBB55_40
; %bb.39:
	s_ashr_i32 s3, s2, 31
	s_lshl_b64 s[10:11], s[2:3], 2
	s_add_u32 s3, s18, s10
	s_mul_i32 s18, s12, s6
	s_addc_u32 s9, s19, s11
	s_ashr_i32 s19, s18, 31
	s_lshl_b64 s[18:19], s[18:19], 2
	s_add_u32 s3, s3, s18
	s_addc_u32 s6, s9, s19
	s_ashr_i32 s9, s8, 31
	s_lshl_b64 s[34:35], s[8:9], 2
	s_add_u32 s36, s3, s34
	s_addc_u32 s37, s6, s35
	s_add_u32 s3, s16, s10
	s_addc_u32 s6, s17, s11
	;; [unrolled: 2-line block ×3, first 2 shown]
	s_add_u32 s10, s3, s34
	v_mov_b32_e32 v2, 0
	s_addc_u32 s11, s6, s35
	global_store_dword v2, v4, s[36:37]
	global_store_dword v2, v5, s[10:11]
.LBB55_40:
	s_or_b64 exec, exec, s[4:5]
	v_mov_b32_e32 v41, 0
	v_and_b32_e32 v53, 7, v0
	v_mov_b32_e32 v40, 0
	v_mov_b32_e32 v43, 0
	;; [unrolled: 1-line block ×7, first 2 shown]
	s_and_saveexec_b64 s[4:5], s[0:1]
	s_cbranch_execz .LBB55_60
; %bb.41:
	s_ashr_i32 s15, s14, 31
	s_lshl_b64 s[0:1], s[14:15], 2
	s_add_u32 s9, s30, s0
	v_and_b32_e32 v3, 28, v36
	s_mov_b32 s3, s13
	s_addc_u32 s10, s31, s1
	s_add_i32 s13, s7, -1
	v_lshl_add_u32 v5, v37, 5, s33
	s_lshl_b64 s[0:1], s[28:29], 2
	v_add3_u32 v54, v5, v3, 3
	v_lshlrev_b32_e32 v3, 4, v53
	s_add_u32 s0, s26, s0
	v_and_b32_e32 v2, 0xfc, v36
	v_lshl_or_b32 v3, v37, 7, v3
	v_lshlrev_b64 v[12:13], 2, v[38:39]
	s_addc_u32 s1, s27, s1
	v_mov_b32_e32 v44, 0
	v_or_b32_e32 v4, 0x400, v2
	v_or_b32_e32 v6, 0x500, v2
	;; [unrolled: 1-line block ×4, first 2 shown]
	v_add_u32_e32 v55, 0x110, v3
	v_mov_b32_e32 v3, s1
	v_add_co_u32_e32 v48, vcc, s0, v12
	v_addc_co_u32_e32 v49, vcc, v3, v13, vcc
	s_mov_b64 s[6:7], 0
	v_mov_b32_e32 v39, s10
	v_lshlrev_b32_e32 v56, 2, v2
	v_lshlrev_b32_e32 v57, 2, v4
	;; [unrolled: 1-line block ×5, first 2 shown]
	v_mov_b32_e32 v45, v44
	v_mov_b32_e32 v46, v44
	;; [unrolled: 1-line block ×7, first 2 shown]
	s_branch .LBB55_43
.LBB55_42:                              ;   in Loop: Header=BB55_43 Depth=1
	s_or_b64 exec, exec, s[0:1]
	s_waitcnt vmcnt(7) lgkmcnt(0)
	v_mul_f32_e32 v7, v3, v7
	v_fmac_f32_e32 v7, v2, v6
	s_waitcnt vmcnt(6)
	v_mul_f32_e32 v6, v3, v11
	v_fmac_f32_e32 v6, v2, v10
	v_fmac_f32_e32 v6, v4, v12
	v_fmac_f32_e32 v6, v5, v13
	v_add_f32_e32 v45, v45, v6
	s_waitcnt vmcnt(5)
	v_mul_f32_e32 v6, v3, v15
	v_fmac_f32_e32 v6, v2, v14
	v_fmac_f32_e32 v6, v4, v16
	v_fmac_f32_e32 v6, v5, v17
	v_add_f32_e32 v46, v46, v6
	;; [unrolled: 6-line block ×5, first 2 shown]
	s_waitcnt vmcnt(1)
	v_mul_f32_e32 v6, v3, v31
	s_waitcnt vmcnt(0)
	v_mul_f32_e32 v3, v3, v35
	v_fmac_f32_e32 v6, v2, v30
	v_fmac_f32_e32 v3, v2, v34
	v_add_u32_e32 v38, 2, v38
	v_fmac_f32_e32 v7, v4, v8
	v_fmac_f32_e32 v6, v4, v32
	;; [unrolled: 1-line block ×3, first 2 shown]
	v_cmp_le_i32_e32 vcc, s21, v38
	v_fmac_f32_e32 v7, v5, v9
	v_fmac_f32_e32 v6, v5, v33
	;; [unrolled: 1-line block ×3, first 2 shown]
	s_or_b64 s[6:7], vcc, s[6:7]
	v_add_co_u32_e32 v48, vcc, 8, v48
	v_add_f32_e32 v44, v44, v7
	v_add_f32_e32 v40, v40, v6
	;; [unrolled: 1-line block ×3, first 2 shown]
	v_add_u32_e32 v54, 64, v54
	v_add_u32_e32 v55, 0x100, v55
	v_addc_co_u32_e32 v49, vcc, 0, v49, vcc
	s_andn2_b64 exec, exec, s[6:7]
	s_cbranch_execz .LBB55_59
.LBB55_43:                              ; =>This Inner Loop Header: Depth=1
	global_load_dword v2, v[48:49], off
	v_add_u32_e32 v61, -3, v54
	v_add_u32_e32 v63, -2, v54
	;; [unrolled: 1-line block ×3, first 2 shown]
	s_waitcnt vmcnt(0)
	v_mad_i64_i32 v[2:3], s[0:1], v2, s3, 0
	v_lshlrev_b64 v[2:3], 2, v[2:3]
	v_add_co_u32_e32 v34, vcc, s9, v2
	v_addc_co_u32_e32 v35, vcc, v39, v3, vcc
	v_add_co_u32_e32 v18, vcc, v34, v56
	v_addc_co_u32_e32 v19, vcc, 0, v35, vcc
	global_load_dwordx4 v[6:9], v[18:19], off
	ds_read_b128 v[2:5], v55
	v_cmp_eq_u32_e32 vcc, s13, v38
	s_and_saveexec_b64 s[10:11], vcc
	s_cbranch_execnz .LBB55_56
; %bb.44:                               ;   in Loop: Header=BB55_43 Depth=1
	s_or_b64 exec, exec, s[10:11]
	global_load_dwordx4 v[10:13], v[18:19], off offset:1024
	s_and_saveexec_b64 s[10:11], vcc
	s_cbranch_execnz .LBB55_57
.LBB55_45:                              ;   in Loop: Header=BB55_43 Depth=1
	s_or_b64 exec, exec, s[10:11]
	global_load_dwordx4 v[14:17], v[18:19], off offset:2048
	s_and_saveexec_b64 s[10:11], vcc
	s_cbranch_execnz .LBB55_58
.LBB55_46:                              ;   in Loop: Header=BB55_43 Depth=1
	s_or_b64 exec, exec, s[10:11]
	global_load_dwordx4 v[18:21], v[18:19], off offset:3072
	s_and_saveexec_b64 s[10:11], vcc
	s_cbranch_execz .LBB55_48
.LBB55_47:                              ;   in Loop: Header=BB55_43 Depth=1
	v_cmp_gt_i32_e64 s[0:1], s25, v61
	s_waitcnt vmcnt(0)
	v_cndmask_b32_e64 v18, 0, v18, s[0:1]
	v_cmp_gt_i32_e64 s[0:1], s25, v63
	v_cndmask_b32_e64 v19, 0, v19, s[0:1]
	v_cmp_gt_i32_e64 s[0:1], s25, v62
	;; [unrolled: 2-line block ×3, first 2 shown]
	v_cndmask_b32_e64 v21, 0, v21, s[0:1]
.LBB55_48:                              ;   in Loop: Header=BB55_43 Depth=1
	s_or_b64 exec, exec, s[10:11]
	v_add_co_u32_e64 v22, s[0:1], v34, v57
	v_addc_co_u32_e64 v23, s[0:1], 0, v35, s[0:1]
	global_load_dwordx4 v[22:25], v[22:23], off
	s_and_saveexec_b64 s[10:11], vcc
	s_cbranch_execz .LBB55_50
; %bb.49:                               ;   in Loop: Header=BB55_43 Depth=1
	v_cmp_gt_i32_e64 s[0:1], s25, v61
	s_waitcnt vmcnt(0)
	v_cndmask_b32_e64 v22, 0, v22, s[0:1]
	v_cmp_gt_i32_e64 s[0:1], s25, v63
	v_cndmask_b32_e64 v23, 0, v23, s[0:1]
	v_cmp_gt_i32_e64 s[0:1], s25, v62
	v_cndmask_b32_e64 v24, 0, v24, s[0:1]
	v_cmp_gt_i32_e64 s[0:1], s25, v54
	v_cndmask_b32_e64 v25, 0, v25, s[0:1]
.LBB55_50:                              ;   in Loop: Header=BB55_43 Depth=1
	s_or_b64 exec, exec, s[10:11]
	v_add_co_u32_e64 v26, s[0:1], v34, v58
	v_addc_co_u32_e64 v27, s[0:1], 0, v35, s[0:1]
	global_load_dwordx4 v[26:29], v[26:27], off
	s_and_saveexec_b64 s[10:11], vcc
	s_cbranch_execz .LBB55_52
; %bb.51:                               ;   in Loop: Header=BB55_43 Depth=1
	v_cmp_gt_i32_e64 s[0:1], s25, v61
	s_waitcnt vmcnt(0)
	v_cndmask_b32_e64 v26, 0, v26, s[0:1]
	v_cmp_gt_i32_e64 s[0:1], s25, v63
	v_cndmask_b32_e64 v27, 0, v27, s[0:1]
	v_cmp_gt_i32_e64 s[0:1], s25, v62
	v_cndmask_b32_e64 v28, 0, v28, s[0:1]
	v_cmp_gt_i32_e64 s[0:1], s25, v54
	v_cndmask_b32_e64 v29, 0, v29, s[0:1]
.LBB55_52:                              ;   in Loop: Header=BB55_43 Depth=1
	;; [unrolled: 17-line block ×3, first 2 shown]
	s_or_b64 exec, exec, s[10:11]
	v_add_co_u32_e64 v34, s[0:1], v34, v60
	v_addc_co_u32_e64 v35, s[0:1], 0, v35, s[0:1]
	global_load_dwordx4 v[34:37], v[34:35], off
	s_and_saveexec_b64 s[0:1], vcc
	s_cbranch_execz .LBB55_42
; %bb.55:                               ;   in Loop: Header=BB55_43 Depth=1
	v_cmp_gt_i32_e32 vcc, s25, v61
	s_waitcnt vmcnt(0)
	v_cndmask_b32_e32 v34, 0, v34, vcc
	v_cmp_gt_i32_e32 vcc, s25, v63
	v_cndmask_b32_e32 v35, 0, v35, vcc
	v_cmp_gt_i32_e32 vcc, s25, v62
	;; [unrolled: 2-line block ×3, first 2 shown]
	v_cndmask_b32_e32 v37, 0, v37, vcc
	s_branch .LBB55_42
.LBB55_56:                              ;   in Loop: Header=BB55_43 Depth=1
	v_cmp_gt_i32_e64 s[0:1], s25, v61
	s_waitcnt vmcnt(0)
	v_cndmask_b32_e64 v6, 0, v6, s[0:1]
	v_cmp_gt_i32_e64 s[0:1], s25, v63
	v_cndmask_b32_e64 v7, 0, v7, s[0:1]
	v_cmp_gt_i32_e64 s[0:1], s25, v62
	;; [unrolled: 2-line block ×3, first 2 shown]
	v_cndmask_b32_e64 v9, 0, v9, s[0:1]
	s_or_b64 exec, exec, s[10:11]
	global_load_dwordx4 v[10:13], v[18:19], off offset:1024
	s_and_saveexec_b64 s[10:11], vcc
	s_cbranch_execz .LBB55_45
.LBB55_57:                              ;   in Loop: Header=BB55_43 Depth=1
	v_cmp_gt_i32_e64 s[0:1], s25, v61
	s_waitcnt vmcnt(0)
	v_cndmask_b32_e64 v10, 0, v10, s[0:1]
	v_cmp_gt_i32_e64 s[0:1], s25, v63
	v_cndmask_b32_e64 v11, 0, v11, s[0:1]
	v_cmp_gt_i32_e64 s[0:1], s25, v62
	;; [unrolled: 2-line block ×3, first 2 shown]
	v_cndmask_b32_e64 v13, 0, v13, s[0:1]
	s_or_b64 exec, exec, s[10:11]
	global_load_dwordx4 v[14:17], v[18:19], off offset:2048
	s_and_saveexec_b64 s[10:11], vcc
	s_cbranch_execz .LBB55_46
.LBB55_58:                              ;   in Loop: Header=BB55_43 Depth=1
	v_cmp_gt_i32_e64 s[0:1], s25, v61
	s_waitcnt vmcnt(0)
	v_cndmask_b32_e64 v14, 0, v14, s[0:1]
	v_cmp_gt_i32_e64 s[0:1], s25, v63
	v_cndmask_b32_e64 v15, 0, v15, s[0:1]
	v_cmp_gt_i32_e64 s[0:1], s25, v62
	;; [unrolled: 2-line block ×3, first 2 shown]
	v_cndmask_b32_e64 v17, 0, v17, s[0:1]
	s_or_b64 exec, exec, s[10:11]
	global_load_dwordx4 v[18:21], v[18:19], off offset:3072
	s_and_saveexec_b64 s[10:11], vcc
	s_cbranch_execnz .LBB55_47
	s_branch .LBB55_48
.LBB55_59:
	s_or_b64 exec, exec, s[6:7]
.LBB55_60:
	s_or_b64 exec, exec, s[4:5]
	ds_bpermute_b32 v4, v51, v46
	ds_bpermute_b32 v5, v51, v47
	;; [unrolled: 1-line block ×6, first 2 shown]
	s_waitcnt lgkmcnt(4)
	v_pk_add_f32 v[4:5], v[46:47], v[4:5]
	ds_bpermute_b32 v8, v50, v4
	ds_bpermute_b32 v9, v50, v5
	s_waitcnt lgkmcnt(4)
	v_pk_add_f32 v[2:3], v[44:45], v[2:3]
	s_waitcnt lgkmcnt(2)
	v_pk_add_f32 v[10:11], v[42:43], v[10:11]
	ds_bpermute_b32 v6, v50, v2
	ds_bpermute_b32 v7, v50, v3
	s_waitcnt lgkmcnt(2)
	v_pk_add_f32 v[4:5], v[4:5], v[8:9]
	ds_bpermute_b32 v8, v51, v40
	ds_bpermute_b32 v9, v51, v41
	;; [unrolled: 1-line block ×4, first 2 shown]
	s_waitcnt lgkmcnt(4)
	v_pk_add_f32 v[2:3], v[2:3], v[6:7]
	ds_bpermute_b32 v6, v52, v2
	s_waitcnt lgkmcnt(3)
	v_pk_add_f32 v[8:9], v[40:41], v[8:9]
	ds_bpermute_b32 v16, v50, v8
	ds_bpermute_b32 v17, v50, v9
	s_waitcnt lgkmcnt(3)
	v_pk_add_f32 v[10:11], v[10:11], v[14:15]
	ds_bpermute_b32 v7, v52, v3
	ds_bpermute_b32 v14, v52, v10
	;; [unrolled: 1-line block ×3, first 2 shown]
	s_waitcnt lgkmcnt(3)
	v_pk_add_f32 v[16:17], v[8:9], v[16:17]
	ds_bpermute_b32 v12, v52, v4
	ds_bpermute_b32 v13, v52, v5
	;; [unrolled: 1-line block ×4, first 2 shown]
	s_waitcnt lgkmcnt(6)
	v_pk_add_f32 v[8:9], v[2:3], v[6:7]
	s_waitcnt lgkmcnt(4)
	v_pk_add_f32 v[2:3], v[10:11], v[14:15]
	v_and_b32_e32 v10, 0x3c7, v0
	s_waitcnt lgkmcnt(2)
	v_pk_add_f32 v[6:7], v[4:5], v[12:13]
	s_waitcnt lgkmcnt(0)
	v_pk_add_f32 v[4:5], v[16:17], v[18:19]
	v_cmp_eq_u32_e32 vcc, 64, v10
	s_barrier
	s_and_saveexec_b64 s[0:1], vcc
	s_cbranch_execz .LBB55_62
; %bb.61:
	v_lshrrev_b32_e32 v1, 1, v1
	v_add_u32_e32 v1, 0x110, v1
	ds_write2_b32 v1, v8, v9 offset1:8
	ds_write2_b32 v1, v6, v7 offset0:16 offset1:24
	ds_write2_b32 v1, v2, v3 offset0:32 offset1:40
	;; [unrolled: 1-line block ×3, first 2 shown]
.LBB55_62:
	s_or_b64 exec, exec, s[0:1]
	v_cmp_gt_u32_e32 vcc, 64, v0
	s_waitcnt lgkmcnt(0)
	s_barrier
	s_and_saveexec_b64 s[0:1], vcc
	s_cbranch_execz .LBB55_73
; %bb.63:
	v_cmp_eq_u32_e32 vcc, 0, v53
	v_lshrrev_b32_e32 v1, 3, v0
	s_and_saveexec_b64 s[4:5], vcc
	s_cbranch_execnz .LBB55_76
; %bb.64:
	s_or_b64 exec, exec, s[4:5]
	s_and_saveexec_b64 s[4:5], vcc
	s_cbranch_execnz .LBB55_77
.LBB55_65:
	s_or_b64 exec, exec, s[4:5]
	s_and_saveexec_b64 s[4:5], vcc
	s_cbranch_execnz .LBB55_78
.LBB55_66:
	s_or_b64 exec, exec, s[4:5]
	s_and_saveexec_b64 s[4:5], vcc
	s_cbranch_execnz .LBB55_79
.LBB55_67:
	s_or_b64 exec, exec, s[4:5]
	s_and_saveexec_b64 s[4:5], vcc
	s_cbranch_execnz .LBB55_80
.LBB55_68:
	s_or_b64 exec, exec, s[4:5]
	s_and_saveexec_b64 s[4:5], vcc
	s_cbranch_execnz .LBB55_81
.LBB55_69:
	s_or_b64 exec, exec, s[4:5]
	s_and_saveexec_b64 s[4:5], vcc
	s_cbranch_execnz .LBB55_82
.LBB55_70:
	s_or_b64 exec, exec, s[4:5]
	s_and_saveexec_b64 s[4:5], vcc
	s_cbranch_execz .LBB55_72
.LBB55_71:
	v_mov_b32_e32 v11, 0x110
	v_lshl_add_u32 v1, v1, 2, v11
	ds_read_b32 v1, v1 offset:224
	s_waitcnt lgkmcnt(0)
	v_add_f32_e32 v5, v5, v1
.LBB55_72:
	s_or_b64 exec, exec, s[4:5]
.LBB55_73:
	s_or_b64 exec, exec, s[0:1]
	v_cmp_eq_u32_e32 vcc, 0, v10
	s_barrier
	s_and_saveexec_b64 s[0:1], vcc
	s_cbranch_execz .LBB55_75
; %bb.74:
	s_lshl_b32 s0, s2, 6
	s_ashr_i32 s1, s0, 31
	s_lshl_b64 s[0:1], s[0:1], 2
	s_add_u32 s2, s22, s0
	s_mul_i32 s0, s12, s20
	s_addc_u32 s3, s23, s1
	s_ashr_i32 s1, s0, 31
	s_lshl_b64 s[0:1], s[0:1], 2
	s_add_u32 s2, s2, s0
	s_addc_u32 s3, s3, s1
	s_lshl_b32 s0, s8, 6
	s_ashr_i32 s1, s0, 31
	s_lshl_b64 s[0:1], s[0:1], 2
	s_add_u32 s0, s2, s0
	s_addc_u32 s1, s3, s1
	v_lshrrev_b32_e32 v0, 1, v0
	global_store_dword v0, v8, s[0:1]
	global_store_dword v0, v9, s[0:1] offset:32
	global_store_dword v0, v6, s[0:1] offset:64
	;; [unrolled: 1-line block ×7, first 2 shown]
.LBB55_75:
	s_endpgm
.LBB55_76:
	v_mov_b32_e32 v11, 0x110
	v_lshl_add_u32 v11, v1, 2, v11
	ds_read_b32 v11, v11
	s_waitcnt lgkmcnt(0)
	v_add_f32_e32 v8, v8, v11
	s_or_b64 exec, exec, s[4:5]
	s_and_saveexec_b64 s[4:5], vcc
	s_cbranch_execz .LBB55_65
.LBB55_77:
	v_mov_b32_e32 v11, 0x110
	v_lshl_add_u32 v11, v1, 2, v11
	ds_read_b32 v11, v11 offset:32
	s_waitcnt lgkmcnt(0)
	v_add_f32_e32 v9, v9, v11
	s_or_b64 exec, exec, s[4:5]
	s_and_saveexec_b64 s[4:5], vcc
	s_cbranch_execz .LBB55_66
.LBB55_78:
	v_mov_b32_e32 v11, 0x110
	v_lshl_add_u32 v11, v1, 2, v11
	ds_read_b32 v11, v11 offset:64
	s_waitcnt lgkmcnt(0)
	v_add_f32_e32 v6, v6, v11
	s_or_b64 exec, exec, s[4:5]
	s_and_saveexec_b64 s[4:5], vcc
	s_cbranch_execz .LBB55_67
.LBB55_79:
	v_mov_b32_e32 v11, 0x110
	v_lshl_add_u32 v11, v1, 2, v11
	ds_read_b32 v11, v11 offset:96
	s_waitcnt lgkmcnt(0)
	v_add_f32_e32 v7, v7, v11
	s_or_b64 exec, exec, s[4:5]
	s_and_saveexec_b64 s[4:5], vcc
	s_cbranch_execz .LBB55_68
.LBB55_80:
	v_mov_b32_e32 v11, 0x110
	v_lshl_add_u32 v11, v1, 2, v11
	ds_read_b32 v11, v11 offset:128
	s_waitcnt lgkmcnt(0)
	v_add_f32_e32 v2, v2, v11
	s_or_b64 exec, exec, s[4:5]
	s_and_saveexec_b64 s[4:5], vcc
	s_cbranch_execz .LBB55_69
.LBB55_81:
	v_mov_b32_e32 v11, 0x110
	v_lshl_add_u32 v11, v1, 2, v11
	ds_read_b32 v11, v11 offset:160
	s_waitcnt lgkmcnt(0)
	v_add_f32_e32 v3, v3, v11
	s_or_b64 exec, exec, s[4:5]
	s_and_saveexec_b64 s[4:5], vcc
	s_cbranch_execz .LBB55_70
.LBB55_82:
	v_mov_b32_e32 v11, 0x110
	v_lshl_add_u32 v11, v1, 2, v11
	ds_read_b32 v11, v11 offset:192
	s_waitcnt lgkmcnt(0)
	v_add_f32_e32 v4, v4, v11
	s_or_b64 exec, exec, s[4:5]
	s_and_saveexec_b64 s[4:5], vcc
	s_cbranch_execnz .LBB55_71
	s_branch .LBB55_72
	.section	.rodata,"a",@progbits
	.p2align	6, 0x0
	.amdhsa_kernel _ZN4vllm25paged_attention_v2_kernelIffLi64ELi32ELi128ELNS_18Fp8KVCacheDataTypeE0ELb0ELi512EEEvPfS2_PT_PKS3_PKT0_S9_ifPKiSB_iPKfiiiSD_SD_iiiii
		.amdhsa_group_segment_fixed_size 272
		.amdhsa_private_segment_fixed_size 0
		.amdhsa_kernarg_size 400
		.amdhsa_user_sgpr_count 6
		.amdhsa_user_sgpr_private_segment_buffer 1
		.amdhsa_user_sgpr_dispatch_ptr 0
		.amdhsa_user_sgpr_queue_ptr 0
		.amdhsa_user_sgpr_kernarg_segment_ptr 1
		.amdhsa_user_sgpr_dispatch_id 0
		.amdhsa_user_sgpr_flat_scratch_init 0
		.amdhsa_user_sgpr_kernarg_preload_length 0
		.amdhsa_user_sgpr_kernarg_preload_offset 0
		.amdhsa_user_sgpr_private_segment_size 0
		.amdhsa_uses_dynamic_stack 0
		.amdhsa_system_sgpr_private_segment_wavefront_offset 0
		.amdhsa_system_sgpr_workgroup_id_x 1
		.amdhsa_system_sgpr_workgroup_id_y 1
		.amdhsa_system_sgpr_workgroup_id_z 1
		.amdhsa_system_sgpr_workgroup_info 0
		.amdhsa_system_vgpr_workitem_id 0
		.amdhsa_next_free_vgpr 78
		.amdhsa_next_free_sgpr 43
		.amdhsa_accum_offset 80
		.amdhsa_reserve_vcc 1
		.amdhsa_reserve_flat_scratch 0
		.amdhsa_float_round_mode_32 0
		.amdhsa_float_round_mode_16_64 0
		.amdhsa_float_denorm_mode_32 3
		.amdhsa_float_denorm_mode_16_64 3
		.amdhsa_dx10_clamp 1
		.amdhsa_ieee_mode 1
		.amdhsa_fp16_overflow 0
		.amdhsa_tg_split 0
		.amdhsa_exception_fp_ieee_invalid_op 0
		.amdhsa_exception_fp_denorm_src 0
		.amdhsa_exception_fp_ieee_div_zero 0
		.amdhsa_exception_fp_ieee_overflow 0
		.amdhsa_exception_fp_ieee_underflow 0
		.amdhsa_exception_fp_ieee_inexact 0
		.amdhsa_exception_int_div_zero 0
	.end_amdhsa_kernel
	.section	.text._ZN4vllm25paged_attention_v2_kernelIffLi64ELi32ELi128ELNS_18Fp8KVCacheDataTypeE0ELb0ELi512EEEvPfS2_PT_PKS3_PKT0_S9_ifPKiSB_iPKfiiiSD_SD_iiiii,"axG",@progbits,_ZN4vllm25paged_attention_v2_kernelIffLi64ELi32ELi128ELNS_18Fp8KVCacheDataTypeE0ELb0ELi512EEEvPfS2_PT_PKS3_PKT0_S9_ifPKiSB_iPKfiiiSD_SD_iiiii,comdat
.Lfunc_end55:
	.size	_ZN4vllm25paged_attention_v2_kernelIffLi64ELi32ELi128ELNS_18Fp8KVCacheDataTypeE0ELb0ELi512EEEvPfS2_PT_PKS3_PKT0_S9_ifPKiSB_iPKfiiiSD_SD_iiiii, .Lfunc_end55-_ZN4vllm25paged_attention_v2_kernelIffLi64ELi32ELi128ELNS_18Fp8KVCacheDataTypeE0ELb0ELi512EEEvPfS2_PT_PKS3_PKT0_S9_ifPKiSB_iPKfiiiSD_SD_iiiii
                                        ; -- End function
	.section	.AMDGPU.csdata,"",@progbits
; Kernel info:
; codeLenInByte = 5324
; NumSgprs: 47
; NumVgprs: 78
; NumAgprs: 0
; TotalNumVgprs: 78
; ScratchSize: 0
; MemoryBound: 0
; FloatMode: 240
; IeeeMode: 1
; LDSByteSize: 272 bytes/workgroup (compile time only)
; SGPRBlocks: 5
; VGPRBlocks: 9
; NumSGPRsForWavesPerEU: 47
; NumVGPRsForWavesPerEU: 78
; AccumOffset: 80
; Occupancy: 6
; WaveLimiterHint : 1
; COMPUTE_PGM_RSRC2:SCRATCH_EN: 0
; COMPUTE_PGM_RSRC2:USER_SGPR: 6
; COMPUTE_PGM_RSRC2:TRAP_HANDLER: 0
; COMPUTE_PGM_RSRC2:TGID_X_EN: 1
; COMPUTE_PGM_RSRC2:TGID_Y_EN: 1
; COMPUTE_PGM_RSRC2:TGID_Z_EN: 1
; COMPUTE_PGM_RSRC2:TIDIG_COMP_CNT: 0
; COMPUTE_PGM_RSRC3_GFX90A:ACCUM_OFFSET: 19
; COMPUTE_PGM_RSRC3_GFX90A:TG_SPLIT: 0
	.section	.text._ZN4vllm25paged_attention_v2_kernelIffLi80ELi32ELi128ELNS_18Fp8KVCacheDataTypeE0ELb0ELi512EEEvPfS2_PT_PKS3_PKT0_S9_ifPKiSB_iPKfiiiSD_SD_iiiii,"axG",@progbits,_ZN4vllm25paged_attention_v2_kernelIffLi80ELi32ELi128ELNS_18Fp8KVCacheDataTypeE0ELb0ELi512EEEvPfS2_PT_PKS3_PKT0_S9_ifPKiSB_iPKfiiiSD_SD_iiiii,comdat
	.protected	_ZN4vllm25paged_attention_v2_kernelIffLi80ELi32ELi128ELNS_18Fp8KVCacheDataTypeE0ELb0ELi512EEEvPfS2_PT_PKS3_PKT0_S9_ifPKiSB_iPKfiiiSD_SD_iiiii ; -- Begin function _ZN4vllm25paged_attention_v2_kernelIffLi80ELi32ELi128ELNS_18Fp8KVCacheDataTypeE0ELb0ELi512EEEvPfS2_PT_PKS3_PKT0_S9_ifPKiSB_iPKfiiiSD_SD_iiiii
	.globl	_ZN4vllm25paged_attention_v2_kernelIffLi80ELi32ELi128ELNS_18Fp8KVCacheDataTypeE0ELb0ELi512EEEvPfS2_PT_PKS3_PKT0_S9_ifPKiSB_iPKfiiiSD_SD_iiiii
	.p2align	8
	.type	_ZN4vllm25paged_attention_v2_kernelIffLi80ELi32ELi128ELNS_18Fp8KVCacheDataTypeE0ELb0ELi512EEEvPfS2_PT_PKS3_PKT0_S9_ifPKiSB_iPKfiiiSD_SD_iiiii,@function
_ZN4vllm25paged_attention_v2_kernelIffLi80ELi32ELi128ELNS_18Fp8KVCacheDataTypeE0ELb0ELi512EEEvPfS2_PT_PKS3_PKT0_S9_ifPKiSB_iPKfiiiSD_SD_iiiii: ; @_ZN4vllm25paged_attention_v2_kernelIffLi80ELi32ELi128ELNS_18Fp8KVCacheDataTypeE0ELb0ELi512EEEvPfS2_PT_PKS3_PKT0_S9_ifPKiSB_iPKfiiiSD_SD_iiiii
; %bb.0:
	s_load_dwordx2 s[0:1], s[4:5], 0x40
	s_mov_b32 s24, s7
	s_ashr_i32 s25, s7, 31
	s_lshl_b64 s[2:3], s[24:25], 2
	s_waitcnt lgkmcnt(0)
	s_add_u32 s0, s0, s2
	s_addc_u32 s1, s1, s3
	s_load_dword s25, s[0:1], 0x0
	s_lshl_b32 s33, s8, 9
	s_waitcnt lgkmcnt(0)
	s_cmp_ge_i32 s33, s25
	s_cbranch_scc1 .LBB56_83
; %bb.1:
	s_load_dword s9, s[4:5], 0x90
	s_load_dwordx2 s[10:11], s[4:5], 0x30
	s_mov_b32 s40, 0
	s_waitcnt lgkmcnt(0)
	s_abs_i32 s2, s9
	s_abs_i32 s0, s10
	v_cvt_f32_u32_e32 v1, s0
	s_sub_i32 s3, 0, s0
	s_xor_b32 s1, s9, s10
	s_ashr_i32 s1, s1, 31
	v_rcp_iflag_f32_e32 v1, v1
	v_mul_f32_e32 v1, 0x4f7ffffe, v1
	v_cvt_u32_f32_e32 v1, v1
	v_readfirstlane_b32 s7, v1
	s_mul_i32 s3, s3, s7
	s_mul_hi_u32 s3, s7, s3
	s_add_i32 s7, s7, s3
	s_mul_hi_u32 s3, s2, s7
	s_mul_i32 s7, s3, s0
	s_sub_i32 s2, s2, s7
	s_add_i32 s10, s3, 1
	s_sub_i32 s7, s2, s0
	s_cmp_ge_u32 s2, s0
	s_cselect_b32 s3, s10, s3
	s_cselect_b32 s2, s7, s2
	s_add_i32 s7, s3, 1
	s_cmp_ge_u32 s2, s0
	s_cselect_b32 s0, s7, s3
	s_xor_b32 s0, s0, s1
	s_sub_i32 s10, s0, s1
	s_abs_i32 s2, s10
	v_cvt_f32_u32_e32 v1, s2
	s_load_dwordx2 s[0:1], s[4:5], 0x50
	s_sub_i32 s7, 0, s2
	s_abs_i32 s3, s6
	v_rcp_iflag_f32_e32 v1, v1
	v_mul_f32_e32 v1, 0x4f7ffffe, v1
	v_cvt_u32_f32_e32 v1, v1
	v_readfirstlane_b32 s12, v1
	s_mul_i32 s7, s7, s12
	s_mul_hi_u32 s7, s12, s7
	s_add_i32 s12, s12, s7
	s_waitcnt lgkmcnt(0)
	s_cmp_eq_u64 s[0:1], 0
	s_mul_hi_u32 s16, s3, s12
	s_cbranch_scc1 .LBB56_3
; %bb.2:
	s_ashr_i32 s7, s6, 31
	s_lshl_b64 s[12:13], s[6:7], 2
	s_add_u32 s0, s0, s12
	s_addc_u32 s1, s1, s13
	s_load_dword s40, s[0:1], 0x0
.LBB56_3:
	s_load_dwordx4 s[12:15], s[4:5], 0x58
	s_ashr_i32 s17, s6, 31
	s_ashr_i32 s18, s10, 31
	v_and_b32_e32 v42, 1, v0
	s_mul_i32 s20, s6, 0x50
	v_cmp_gt_u32_e32 vcc, 40, v0
	v_lshlrev_b32_e32 v1, 3, v0
	v_lshlrev_b32_e32 v44, 2, v0
	s_and_saveexec_b64 s[0:1], vcc
	s_cbranch_execz .LBB56_5
; %bb.4:
	s_load_dwordx2 s[22:23], s[4:5], 0x18
	s_waitcnt lgkmcnt(0)
	s_mul_i32 s26, s24, s12
	s_ashr_i32 s27, s26, 31
	s_lshl_b64 s[26:27], s[26:27], 2
	v_and_b32_e32 v4, 0xff8, v44
	s_add_u32 s7, s22, s26
	s_addc_u32 s10, s23, s27
	s_ashr_i32 s21, s20, 31
	s_lshl_b64 s[22:23], s[20:21], 2
	s_add_u32 s22, s7, s22
	s_addc_u32 s23, s10, s23
	global_load_dwordx2 v[2:3], v1, s[22:23]
	s_movk_i32 s7, 0xa0
	v_mad_u32_u24 v4, v42, s7, v4
	s_waitcnt vmcnt(0)
	ds_write_b64 v4, v[2:3]
.LBB56_5:
	s_or_b64 exec, exec, s[0:1]
	s_add_i32 s0, s25, 31
	s_ashr_i32 s1, s0, 31
	s_lshr_b32 s1, s1, 27
	s_add_i32 s0, s0, s1
	s_lshl_b32 s10, s8, 4
	s_mul_i32 s1, s16, s2
	s_ashr_i32 s7, s0, 5
	s_add_i32 s0, s10, 16
	s_sub_i32 s1, s3, s1
	s_min_i32 s21, s0, s7
	s_xor_b32 s0, s17, s18
	s_add_i32 s3, s16, 1
	s_waitcnt lgkmcnt(0)
	s_sub_i32 s12, s1, s2
	s_cmp_ge_u32 s1, s2
	s_cselect_b32 s3, s3, s16
	s_cselect_b32 s1, s12, s1
	s_add_i32 s12, s3, 1
	s_cmp_ge_u32 s1, s2
	s_load_dwordx2 s[26:27], s[4:5], 0x38
	s_load_dword s2, s[4:5], 0x48
	v_lshrrev_b32_e32 v45, 6, v0
	s_cselect_b32 s1, s12, s3
	s_xor_b32 s1, s1, s0
	v_or_b32_e32 v46, s10, v45
	s_waitcnt lgkmcnt(0)
	s_mul_i32 s28, s24, s2
	s_sub_i32 s15, s1, s0
	s_ashr_i32 s29, s28, 31
	v_cmp_gt_i32_e64 s[0:1], s21, v46
	v_cmp_le_i32_e32 vcc, s21, v46
	v_mbcnt_lo_u32_b32 v43, -1, 0
	s_barrier
	s_waitcnt lgkmcnt(0)
                                        ; implicit-def: $sgpr36
                                        ; implicit-def: $vgpr48
                                        ; implicit-def: $vgpr49
	s_and_saveexec_b64 s[2:3], vcc
	s_xor_b64 s[2:3], exec, s[2:3]
; %bb.6:
	v_mbcnt_hi_u32_b32 v48, -1, v43
	v_and_b32_e32 v1, 64, v48
	v_add_u32_e32 v49, 64, v1
	s_mov_b32 s36, 0xff7fffff
                                        ; implicit-def: $vgpr1
                                        ; implicit-def: $vgpr42
                                        ; implicit-def: $vgpr43
; %bb.7:
	s_or_saveexec_b64 s[34:35], s[2:3]
	s_load_dwordx4 s[16:19], s[4:5], 0x0
	s_load_dwordx2 s[22:23], s[4:5], 0x10
	s_load_dwordx2 s[30:31], s[4:5], 0x28
	s_load_dword s12, s[4:5], 0x98
	v_mov_b32_e32 v51, s36
	s_mul_i32 s14, s15, s14
	v_ashrrev_i32_e32 v47, 31, v46
	s_xor_b64 exec, exec, s[34:35]
	s_cbranch_execz .LBB56_13
; %bb.8:
	s_load_dwordx2 s[2:3], s[4:5], 0x20
	s_ashr_i32 s15, s14, 31
	s_lshl_b64 s[4:5], s[14:15], 2
	v_bfe_u32 v51, v0, 1, 5
	v_lshlrev_b32_e32 v2, 4, v51
	s_waitcnt lgkmcnt(0)
	s_add_u32 s2, s2, s4
	s_addc_u32 s3, s3, s5
	v_mov_b32_e32 v3, s3
	v_add_co_u32_e32 v2, vcc, s2, v2
	v_addc_co_u32_e32 v3, vcc, 0, v3, vcc
	v_and_b32_e32 v1, 8, v1
	v_add_co_u32_e32 v1, vcc, v2, v1
	v_mul_u32_u24_e32 v38, 0xa0, v42
	v_addc_co_u32_e32 v50, vcc, 0, v3, vcc
	ds_read_b128 v[2:5], v38
	ds_read_b128 v[6:9], v38 offset:16
	ds_read_b128 v[10:13], v38 offset:32
	;; [unrolled: 1-line block ×9, first 2 shown]
	v_mbcnt_hi_u32_b32 v48, -1, v43
	v_and_b32_e32 v49, 64, v48
	v_xor_b32_e32 v43, 1, v48
	v_add_u32_e32 v49, 64, v49
	v_cmp_lt_i32_e32 vcc, v43, v49
	v_lshlrev_b32_e32 v54, 2, v51
	v_cndmask_b32_e32 v43, v48, v43, vcc
	v_cmp_eq_u32_e32 vcc, 0, v42
	s_sub_i32 s15, 1, s25
	v_lshlrev_b32_e32 v42, 5, v45
	s_lshl_b64 s[4:5], s[28:29], 2
	v_add3_u32 v53, s33, v42, v51
	v_lshl_or_b32 v42, v45, 7, v54
	s_add_u32 s4, s26, s4
	v_lshlrev_b32_e32 v52, 2, v43
	v_add_u32_e32 v54, 0x150, v42
	v_lshlrev_b64 v[42:43], 2, v[46:47]
	s_addc_u32 s5, s27, s5
	v_mov_b32_e32 v51, s5
	v_add_co_u32_e64 v42, s[4:5], s4, v42
	s_mov_b32 s41, s13
	v_cmp_neq_f32_e64 s[2:3], s40, 0
	v_addc_co_u32_e64 v43, s[4:5], v51, v43, s[4:5]
	s_mov_b64 s[36:37], 0
	v_mov_b32_e32 v51, 0xff7fffff
	s_movk_i32 s42, 0x1000
	s_movk_i32 s43, 0x2000
	v_mov_b32_e32 v55, v46
	s_branch .LBB56_10
.LBB56_9:                               ;   in Loop: Header=BB56_10 Depth=1
	s_or_b64 exec, exec, s[38:39]
	v_add_u32_e32 v55, 2, v55
	v_cmp_le_i32_e64 s[4:5], s21, v55
	s_or_b64 s[36:37], s[4:5], s[36:37]
	v_add_co_u32_e64 v42, s[4:5], 8, v42
	v_add_u32_e32 v53, 64, v53
	v_add_u32_e32 v54, 0x100, v54
	v_addc_co_u32_e64 v43, s[4:5], 0, v43, s[4:5]
	s_andn2_b64 exec, exec, s[36:37]
	s_cbranch_execz .LBB56_12
.LBB56_10:                              ; =>This Inner Loop Header: Depth=1
	global_load_dword v56, v[42:43], off
	s_waitcnt vmcnt(0) lgkmcnt(0)
	v_mad_i64_i32 v[56:57], s[4:5], v56, s41, 0
	v_lshlrev_b64 v[56:57], 2, v[56:57]
	v_add_co_u32_e64 v56, s[4:5], v1, v56
	v_addc_co_u32_e64 v57, s[4:5], v50, v57, s[4:5]
	global_load_dwordx2 v[58:59], v[56:57], off offset:512
	global_load_dwordx2 v[60:61], v[56:57], off offset:1024
	;; [unrolled: 1-line block ×3, first 2 shown]
	global_load_dwordx2 v[64:65], v[56:57], off
	global_load_dwordx2 v[66:67], v[56:57], off offset:2048
	global_load_dwordx2 v[68:69], v[56:57], off offset:2560
	v_add_co_u32_e64 v70, s[4:5], s42, v56
	v_addc_co_u32_e64 v71, s[4:5], 0, v57, s[4:5]
	v_add_co_u32_e64 v72, s[4:5], s43, v56
	v_addc_co_u32_e64 v73, s[4:5], 0, v57, s[4:5]
	global_load_dwordx2 v[74:75], v[56:57], off offset:3072
	s_nop 0
	global_load_dwordx2 v[56:57], v[56:57], off offset:3584
	s_nop 0
	global_load_dwordx2 v[76:77], v[72:73], off offset:-4096
	global_load_dwordx2 v[78:79], v[70:71], off offset:512
	global_load_dwordx2 v[80:81], v[70:71], off offset:1024
	;; [unrolled: 1-line block ×4, first 2 shown]
	s_waitcnt vmcnt(12) lgkmcnt(9)
	v_mul_f32_e32 v86, v4, v58
	v_mul_f32_e32 v87, v5, v59
	global_load_dwordx2 v[58:59], v[70:71], off offset:2560
	s_waitcnt vmcnt(10)
	v_fmac_f32_e32 v86, v2, v64
	v_fmac_f32_e32 v87, v3, v65
	s_waitcnt lgkmcnt(8)
	v_fmac_f32_e32 v86, v6, v60
	v_fmac_f32_e32 v87, v7, v61
	global_load_dwordx2 v[60:61], v[70:71], off offset:3584
	global_load_dwordx2 v[64:65], v[70:71], off offset:3072
	v_fmac_f32_e32 v86, v8, v62
	v_fmac_f32_e32 v87, v9, v63
	global_load_dwordx2 v[62:63], v[72:73], off
	s_waitcnt vmcnt(12) lgkmcnt(7)
	v_fmac_f32_e32 v86, v10, v66
	v_fmac_f32_e32 v87, v11, v67
	global_load_dwordx2 v[66:67], v[72:73], off offset:512
	s_waitcnt vmcnt(12)
	v_fmac_f32_e32 v86, v12, v68
	v_fmac_f32_e32 v87, v13, v69
	global_load_dwordx2 v[68:69], v[72:73], off offset:1024
	global_load_dwordx2 v[70:71], v[72:73], off offset:1536
	s_waitcnt vmcnt(13) lgkmcnt(6)
	v_fmac_f32_e32 v86, v14, v74
	v_fmac_f32_e32 v87, v15, v75
	s_waitcnt vmcnt(12)
	v_fmac_f32_e32 v86, v16, v56
	v_fmac_f32_e32 v87, v17, v57
	s_waitcnt vmcnt(11) lgkmcnt(5)
	v_fmac_f32_e32 v86, v18, v76
	v_fmac_f32_e32 v87, v19, v77
	s_waitcnt vmcnt(10)
	v_fmac_f32_e32 v86, v20, v78
	v_fmac_f32_e32 v87, v21, v79
	;; [unrolled: 6-line block ×4, first 2 shown]
	s_waitcnt vmcnt(4) lgkmcnt(2)
	v_fmac_f32_e32 v86, v30, v64
	v_fmac_f32_e32 v87, v31, v65
	;; [unrolled: 1-line block ×4, first 2 shown]
	s_waitcnt vmcnt(3) lgkmcnt(1)
	v_fmac_f32_e32 v86, v34, v62
	v_fmac_f32_e32 v87, v35, v63
	s_waitcnt vmcnt(2)
	v_fmac_f32_e32 v86, v36, v66
	v_fmac_f32_e32 v87, v37, v67
	s_waitcnt vmcnt(1) lgkmcnt(0)
	v_fmac_f32_e32 v86, v38, v68
	v_fmac_f32_e32 v87, v39, v69
	s_waitcnt vmcnt(0)
	v_fmac_f32_e32 v86, v40, v70
	v_fmac_f32_e32 v87, v41, v71
	v_add_f32_e32 v56, v86, v87
	ds_bpermute_b32 v57, v52, v56
	s_and_saveexec_b64 s[38:39], vcc
	s_cbranch_execz .LBB56_9
; %bb.11:                               ;   in Loop: Header=BB56_10 Depth=1
	v_add_u32_e32 v58, s15, v53
	v_cvt_f32_i32_e32 v58, v58
	s_waitcnt lgkmcnt(0)
	v_add_f32_e32 v56, v56, v57
	v_cmp_gt_i32_e64 s[4:5], s25, v53
	v_max_f32_e32 v57, v51, v51
	v_mul_f32_e32 v58, s40, v58
	v_cndmask_b32_e64 v58, 0, v58, s[2:3]
	v_fmac_f32_e32 v58, s11, v56
	v_cndmask_b32_e64 v56, 0, v58, s[4:5]
	ds_write_b32 v54, v56
	v_max_f32_e32 v56, v57, v58
	v_cndmask_b32_e64 v51, v51, v56, s[4:5]
	s_branch .LBB56_9
.LBB56_12:
	s_or_b64 exec, exec, s[36:37]
.LBB56_13:
	s_or_b64 exec, exec, s[34:35]
	v_xor_b32_e32 v1, 32, v48
	v_cmp_lt_i32_e32 vcc, v1, v49
	v_cndmask_b32_e32 v1, v48, v1, vcc
	v_lshlrev_b32_e32 v2, 2, v1
	ds_bpermute_b32 v1, v2, v51
	v_xor_b32_e32 v4, 16, v48
	v_max_f32_e32 v3, v51, v51
	v_cmp_lt_i32_e32 vcc, v4, v49
	v_xor_b32_e32 v5, 8, v48
	s_waitcnt lgkmcnt(0)
	v_max_f32_e32 v1, v1, v1
	v_max_f32_e32 v1, v3, v1
	v_cndmask_b32_e32 v3, v48, v4, vcc
	v_lshlrev_b32_e32 v3, 2, v3
	ds_bpermute_b32 v4, v3, v1
	v_cmp_lt_i32_e32 vcc, v5, v49
	v_xor_b32_e32 v6, 4, v48
	s_waitcnt lgkmcnt(0)
	v_max_f32_e32 v4, v4, v4
	v_max_f32_e32 v1, v1, v4
	v_cndmask_b32_e32 v4, v48, v5, vcc
	v_lshlrev_b32_e32 v5, 2, v4
	ds_bpermute_b32 v4, v5, v1
	v_cmp_lt_i32_e32 vcc, v6, v49
	s_waitcnt lgkmcnt(0)
	v_max_f32_e32 v4, v4, v4
	v_max_f32_e32 v1, v1, v4
	v_cndmask_b32_e32 v4, v48, v6, vcc
	v_lshlrev_b32_e32 v60, 2, v4
	ds_bpermute_b32 v4, v60, v1
	v_xor_b32_e32 v6, 2, v48
	v_cmp_lt_i32_e32 vcc, v6, v49
	s_waitcnt lgkmcnt(0)
	v_max_f32_e32 v4, v4, v4
	v_max_f32_e32 v4, v1, v4
	v_cndmask_b32_e32 v1, v48, v6, vcc
	v_lshlrev_b32_e32 v61, 2, v1
	ds_bpermute_b32 v7, v61, v4
	v_and_b32_e32 v1, 63, v0
	v_cmp_eq_u32_e32 vcc, 0, v1
	v_lshlrev_b32_e32 v6, 2, v45
	s_and_saveexec_b64 s[2:3], vcc
	s_cbranch_execz .LBB56_15
; %bb.14:
	s_waitcnt lgkmcnt(0)
	v_max_f32_e32 v7, v7, v7
	v_max_f32_e32 v4, v4, v4
	;; [unrolled: 1-line block ×3, first 2 shown]
	ds_write_b32 v6, v4 offset:320
.LBB56_15:
	s_or_b64 exec, exec, s[2:3]
	v_cmp_gt_u32_e64 s[2:3], 2, v1
	v_mov_b32_e32 v4, 0xff7fffff
	s_waitcnt lgkmcnt(0)
	v_lshlrev_b32_e32 v7, 2, v1
	s_barrier
	s_and_saveexec_b64 s[4:5], s[2:3]
	s_cbranch_execz .LBB56_17
; %bb.16:
	ds_read_b32 v4, v7 offset:320
.LBB56_17:
	s_or_b64 exec, exec, s[4:5]
	v_xor_b32_e32 v8, 1, v48
	v_cmp_lt_i32_e64 s[4:5], v8, v49
	v_cndmask_b32_e64 v8, v48, v8, s[4:5]
	v_lshlrev_b32_e32 v62, 2, v8
	s_waitcnt lgkmcnt(0)
	ds_bpermute_b32 v8, v62, v4
	v_max_f32_e32 v4, v4, v4
	s_sub_i32 s4, s21, s10
	s_lshl_b32 s4, s4, 5
	s_add_i32 s4, s4, s33
	s_waitcnt lgkmcnt(0)
	v_max_f32_e32 v8, v8, v8
	v_max_f32_e32 v4, v4, v8
	v_lshlrev_b32_e32 v8, 2, v48
	v_and_b32_e32 v8, 0xffffff00, v8
	ds_bpermute_b32 v4, v8, v4
	s_min_i32 s38, s4, s25
	s_sub_i32 s15, s38, s33
	v_cmp_gt_i32_e64 s[4:5], s15, v0
	v_mov_b32_e32 v9, 0
	s_and_saveexec_b64 s[34:35], s[4:5]
	s_cbranch_execz .LBB56_21
; %bb.18:
	v_mov_b32_e32 v9, 0x150
	v_lshl_add_u32 v10, v0, 2, v9
	s_mov_b64 s[36:37], 0
	v_mov_b32_e32 v9, 0
	v_mov_b32_e32 v11, v0
.LBB56_19:                              ; =>This Inner Loop Header: Depth=1
	ds_read_b32 v12, v10
	v_add_u32_e32 v11, 0x80, v11
	v_cmp_le_i32_e64 s[10:11], s15, v11
	s_or_b64 s[36:37], s[10:11], s[36:37]
	s_waitcnt lgkmcnt(0)
	v_sub_f32_e32 v12, v12, v4
	v_mul_f32_e32 v12, 0x3fb8aa3b, v12
	v_exp_f32_e32 v12, v12
	ds_write_b32 v10, v12
	v_add_f32_e32 v9, v9, v12
	v_add_u32_e32 v10, 0x200, v10
	s_andn2_b64 exec, exec, s[36:37]
	s_cbranch_execnz .LBB56_19
; %bb.20:
	s_or_b64 exec, exec, s[36:37]
.LBB56_21:
	s_or_b64 exec, exec, s[34:35]
	ds_bpermute_b32 v2, v2, v9
	s_waitcnt lgkmcnt(0)
	v_add_f32_e32 v2, v9, v2
	ds_bpermute_b32 v3, v3, v2
	s_waitcnt lgkmcnt(0)
	v_add_f32_e32 v2, v2, v3
	;; [unrolled: 3-line block ×6, first 2 shown]
	s_and_saveexec_b64 s[10:11], vcc
	s_cbranch_execz .LBB56_23
; %bb.22:
	ds_write_b32 v6, v2 offset:328
.LBB56_23:
	s_or_b64 exec, exec, s[10:11]
	s_waitcnt lgkmcnt(0)
	s_barrier
	s_and_saveexec_b64 s[10:11], s[2:3]
	s_cbranch_execz .LBB56_25
; %bb.24:
	ds_read_b32 v2, v7 offset:328
.LBB56_25:
	s_or_b64 exec, exec, s[10:11]
	s_waitcnt lgkmcnt(0)
	ds_bpermute_b32 v3, v62, v2
	s_waitcnt lgkmcnt(0)
	v_add_f32_e32 v2, v2, v3
	ds_bpermute_b32 v5, v8, v2
	s_and_saveexec_b64 s[2:3], s[4:5]
	s_cbranch_execz .LBB56_38
; %bb.26:
	s_waitcnt lgkmcnt(0)
	v_add_f32_e32 v2, 0x358637bd, v5
	v_div_scale_f32 v3, s[4:5], v2, v2, 1.0
	v_rcp_f32_e32 v6, v3
	v_div_scale_f32 v7, vcc, 1.0, v2, 1.0
	s_movk_i32 s4, 0x7f
	v_fma_f32 v8, -v3, v6, 1.0
	v_fmac_f32_e32 v6, v8, v6
	v_mul_f32_e32 v8, v7, v6
	v_fma_f32 v9, -v3, v8, v7
	v_fmac_f32_e32 v8, v9, v6
	v_fma_f32 v3, -v3, v8, v7
	v_div_fmas_f32 v3, v3, v6, v8
	v_div_fixup_f32 v2, v3, v2, 1.0
	v_xad_u32 v3, v0, -1, s38
	v_subrev_u32_e32 v6, s33, v3
	v_cmp_lt_u32_e32 vcc, s4, v6
	s_mov_b64 s[10:11], -1
	v_mov_b32_e32 v3, v0
	s_and_saveexec_b64 s[4:5], vcc
	s_cbranch_execz .LBB56_35
; %bb.27:
	v_lshrrev_b32_e32 v6, 7, v6
	v_add_u32_e32 v8, -1, v6
	v_lshrrev_b32_e32 v7, 1, v8
	v_mov_b32_e32 v3, v2
	v_add_u32_e32 v7, 1, v7
	v_cmp_lt_u32_e32 vcc, 13, v8
	v_mov_b32_e32 v10, 0
	s_and_saveexec_b64 s[10:11], vcc
	s_cbranch_execz .LBB56_31
; %bb.28:
	v_mov_b32_e32 v9, 0x150
	v_and_b32_e32 v8, -8, v7
	v_lshl_add_u32 v9, v0, 2, v9
	s_mov_b32 s36, 0
	s_mov_b64 s[34:35], 0
.LBB56_29:                              ; =>This Inner Loop Header: Depth=1
	ds_read2st64_b32 v[10:11], v9 offset1:2
	ds_read2st64_b32 v[12:13], v9 offset0:4 offset1:6
	ds_read2st64_b32 v[14:15], v9 offset0:8 offset1:10
	;; [unrolled: 1-line block ×3, first 2 shown]
	v_add_u32_e32 v8, -8, v8
	s_waitcnt lgkmcnt(3)
	v_pk_mul_f32 v[10:11], v[2:3], v[10:11]
	s_waitcnt lgkmcnt(2)
	v_pk_mul_f32 v[12:13], v[2:3], v[12:13]
	ds_write2st64_b32 v9, v10, v11 offset1:2
	ds_write2st64_b32 v9, v12, v13 offset0:4 offset1:6
	ds_read2st64_b32 v[12:13], v9 offset0:16 offset1:18
	s_waitcnt lgkmcnt(4)
	v_pk_mul_f32 v[10:11], v[2:3], v[14:15]
	ds_write2st64_b32 v9, v10, v11 offset0:8 offset1:10
	s_waitcnt lgkmcnt(4)
	v_pk_mul_f32 v[10:11], v[2:3], v[16:17]
	ds_write2st64_b32 v9, v10, v11 offset0:12 offset1:14
	ds_read2st64_b32 v[10:11], v9 offset0:20 offset1:22
	s_waitcnt lgkmcnt(3)
	v_pk_mul_f32 v[12:13], v[2:3], v[12:13]
	ds_read2st64_b32 v[14:15], v9 offset0:24 offset1:26
	ds_write2st64_b32 v9, v12, v13 offset0:16 offset1:18
	ds_read2st64_b32 v[12:13], v9 offset0:28 offset1:30
	s_waitcnt lgkmcnt(3)
	v_pk_mul_f32 v[10:11], v[2:3], v[10:11]
	ds_write2st64_b32 v9, v10, v11 offset0:20 offset1:22
	s_waitcnt lgkmcnt(3)
	v_pk_mul_f32 v[10:11], v[2:3], v[14:15]
	ds_write2st64_b32 v9, v10, v11 offset0:24 offset1:26
	s_waitcnt lgkmcnt(2)
	v_pk_mul_f32 v[10:11], v[2:3], v[12:13]
	s_add_i32 s36, s36, 16
	v_cmp_eq_u32_e32 vcc, 0, v8
	ds_write2st64_b32 v9, v10, v11 offset0:28 offset1:30
	v_add_u32_e32 v9, 0x2000, v9
	s_or_b64 s[34:35], vcc, s[34:35]
	v_mov_b32_e32 v10, s36
	s_andn2_b64 exec, exec, s[34:35]
	s_cbranch_execnz .LBB56_29
; %bb.30:
	s_or_b64 exec, exec, s[34:35]
.LBB56_31:
	s_or_b64 exec, exec, s[10:11]
	v_and_b32_e32 v7, 7, v7
	v_cmp_ne_u32_e32 vcc, 0, v7
	s_and_saveexec_b64 s[10:11], vcc
	s_cbranch_execz .LBB56_34
; %bb.32:
	v_lshlrev_b32_e32 v8, 9, v10
	s_movk_i32 s34, 0x150
	v_add3_u32 v8, v8, v44, s34
	s_mov_b64 s[34:35], 0
.LBB56_33:                              ; =>This Inner Loop Header: Depth=1
	ds_read2st64_b32 v[10:11], v8 offset1:2
	v_add_u32_e32 v7, -1, v7
	v_cmp_eq_u32_e32 vcc, 0, v7
	s_or_b64 s[34:35], vcc, s[34:35]
	s_waitcnt lgkmcnt(0)
	v_pk_mul_f32 v[10:11], v[2:3], v[10:11]
	ds_write2st64_b32 v8, v10, v11 offset1:2
	v_add_u32_e32 v8, 0x400, v8
	s_andn2_b64 exec, exec, s[34:35]
	s_cbranch_execnz .LBB56_33
.LBB56_34:
	s_or_b64 exec, exec, s[10:11]
	v_add_u32_e32 v6, 1, v6
	v_and_b32_e32 v7, 0x3fffffe, v6
	v_cmp_ne_u32_e32 vcc, v6, v7
	v_lshl_add_u32 v3, v7, 7, v0
	s_orn2_b64 s[10:11], vcc, exec
.LBB56_35:
	s_or_b64 exec, exec, s[4:5]
	s_and_b64 exec, exec, s[10:11]
	s_cbranch_execz .LBB56_38
; %bb.36:
	v_mov_b32_e32 v6, 0x150
	v_lshl_add_u32 v6, v3, 2, v6
	s_mov_b64 s[4:5], 0
.LBB56_37:                              ; =>This Inner Loop Header: Depth=1
	ds_read_b32 v7, v6
	v_add_u32_e32 v3, 0x80, v3
	v_cmp_le_i32_e32 vcc, s15, v3
	s_or_b64 s[4:5], vcc, s[4:5]
	s_waitcnt lgkmcnt(0)
	v_mul_f32_e32 v7, v2, v7
	ds_write_b32 v6, v7
	v_add_u32_e32 v6, 0x200, v6
	s_andn2_b64 exec, exec, s[4:5]
	s_cbranch_execnz .LBB56_37
.LBB56_38:
	s_or_b64 exec, exec, s[2:3]
	s_mul_i32 s2, s12, s24
	v_cmp_eq_u32_e32 vcc, 0, v0
	s_mul_i32 s2, s2, s9
	s_waitcnt lgkmcnt(0)
	s_barrier
	s_and_saveexec_b64 s[4:5], vcc
	s_cbranch_execz .LBB56_40
; %bb.39:
	s_ashr_i32 s3, s2, 31
	s_lshl_b64 s[10:11], s[2:3], 2
	s_add_u32 s3, s18, s10
	s_mul_i32 s18, s12, s6
	s_addc_u32 s9, s19, s11
	s_ashr_i32 s19, s18, 31
	s_lshl_b64 s[18:19], s[18:19], 2
	s_add_u32 s3, s3, s18
	s_addc_u32 s6, s9, s19
	s_ashr_i32 s9, s8, 31
	s_lshl_b64 s[34:35], s[8:9], 2
	s_add_u32 s36, s3, s34
	s_addc_u32 s37, s6, s35
	s_add_u32 s3, s16, s10
	s_addc_u32 s6, s17, s11
	s_add_u32 s3, s3, s18
	s_addc_u32 s6, s6, s19
	s_add_u32 s10, s3, s34
	v_mov_b32_e32 v2, 0
	s_addc_u32 s11, s6, s35
	global_store_dword v2, v4, s[36:37]
	global_store_dword v2, v5, s[10:11]
.LBB56_40:
	s_or_b64 exec, exec, s[4:5]
	v_mov_b32_e32 v49, 0
	v_and_b32_e32 v63, 7, v0
	v_mov_b32_e32 v48, 0
	v_mov_b32_e32 v51, 0
	;; [unrolled: 1-line block ×9, first 2 shown]
	s_and_saveexec_b64 s[4:5], s[0:1]
	s_cbranch_execz .LBB56_64
; %bb.41:
	s_ashr_i32 s15, s14, 31
	s_lshl_b64 s[0:1], s[14:15], 2
	s_add_u32 s9, s30, s0
	v_and_b32_e32 v3, 28, v44
	s_mov_b32 s3, s13
	s_addc_u32 s10, s31, s1
	s_add_i32 s13, s7, -1
	v_lshl_add_u32 v5, v45, 5, s33
	s_lshl_b64 s[0:1], s[28:29], 2
	v_add3_u32 v64, v5, v3, 3
	v_lshlrev_b32_e32 v3, 4, v63
	s_add_u32 s0, s26, s0
	v_and_b32_e32 v2, 0xfc, v44
	v_lshl_or_b32 v3, v45, 7, v3
	v_lshlrev_b64 v[16:17], 2, v[46:47]
	s_addc_u32 s1, s27, s1
	v_mov_b32_e32 v49, 0
	v_or_b32_e32 v4, 0x400, v2
	v_or_b32_e32 v6, 0x500, v2
	;; [unrolled: 1-line block ×6, first 2 shown]
	v_add_u32_e32 v65, 0x150, v3
	v_mov_b32_e32 v3, s1
	v_add_co_u32_e32 v58, vcc, s0, v16
	v_addc_co_u32_e32 v59, vcc, v3, v17, vcc
	s_mov_b64 s[6:7], 0
	v_mov_b32_e32 v47, s10
	v_lshlrev_b32_e32 v66, 2, v2
	v_lshlrev_b32_e32 v67, 2, v4
	;; [unrolled: 1-line block ×7, first 2 shown]
	v_mov_b32_e32 v48, v49
	v_mov_b32_e32 v51, v49
	;; [unrolled: 1-line block ×9, first 2 shown]
	s_branch .LBB56_43
.LBB56_42:                              ;   in Loop: Header=BB56_43 Depth=1
	s_or_b64 exec, exec, s[0:1]
	s_waitcnt vmcnt(1) lgkmcnt(0)
	v_mul_f32_e32 v43, v3, v43
	v_mul_f32_e32 v35, v3, v35
	;; [unrolled: 1-line block ×9, first 2 shown]
	s_waitcnt vmcnt(0)
	v_mul_f32_e32 v3, v3, v39
	v_fmac_f32_e32 v43, v2, v42
	v_fmac_f32_e32 v35, v2, v34
	;; [unrolled: 1-line block ×10, first 2 shown]
	v_add_u32_e32 v46, 2, v46
	v_fmac_f32_e32 v43, v4, v44
	v_fmac_f32_e32 v35, v4, v36
	;; [unrolled: 1-line block ×10, first 2 shown]
	v_cmp_le_i32_e32 vcc, s21, v46
	v_fmac_f32_e32 v43, v5, v45
	v_fmac_f32_e32 v35, v5, v37
	;; [unrolled: 1-line block ×10, first 2 shown]
	s_or_b64 s[6:7], vcc, s[6:7]
	v_add_co_u32_e32 v58, vcc, 8, v58
	v_add_f32_e32 v48, v48, v43
	v_add_f32_e32 v51, v51, v35
	;; [unrolled: 1-line block ×10, first 2 shown]
	v_add_u32_e32 v64, 64, v64
	v_add_u32_e32 v65, 0x100, v65
	v_addc_co_u32_e32 v59, vcc, 0, v59, vcc
	s_andn2_b64 exec, exec, s[6:7]
	s_cbranch_execz .LBB56_63
.LBB56_43:                              ; =>This Inner Loop Header: Depth=1
	global_load_dword v2, v[58:59], off
	v_add_u32_e32 v73, -3, v64
	v_add_u32_e32 v75, -2, v64
	;; [unrolled: 1-line block ×3, first 2 shown]
	s_waitcnt vmcnt(0)
	v_mad_i64_i32 v[2:3], s[0:1], v2, s3, 0
	v_lshlrev_b64 v[2:3], 2, v[2:3]
	v_add_co_u32_e32 v38, vcc, s9, v2
	v_addc_co_u32_e32 v39, vcc, v47, v3, vcc
	v_add_co_u32_e32 v18, vcc, v38, v66
	v_addc_co_u32_e32 v19, vcc, 0, v39, vcc
	global_load_dwordx4 v[6:9], v[18:19], off
	ds_read_b128 v[2:5], v65
	v_cmp_eq_u32_e32 vcc, s13, v46
	s_and_saveexec_b64 s[10:11], vcc
	s_cbranch_execnz .LBB56_60
; %bb.44:                               ;   in Loop: Header=BB56_43 Depth=1
	s_or_b64 exec, exec, s[10:11]
	global_load_dwordx4 v[10:13], v[18:19], off offset:1024
	s_and_saveexec_b64 s[10:11], vcc
	s_cbranch_execnz .LBB56_61
.LBB56_45:                              ;   in Loop: Header=BB56_43 Depth=1
	s_or_b64 exec, exec, s[10:11]
	global_load_dwordx4 v[14:17], v[18:19], off offset:2048
	s_and_saveexec_b64 s[10:11], vcc
	s_cbranch_execnz .LBB56_62
.LBB56_46:                              ;   in Loop: Header=BB56_43 Depth=1
	s_or_b64 exec, exec, s[10:11]
	global_load_dwordx4 v[18:21], v[18:19], off offset:3072
	s_and_saveexec_b64 s[10:11], vcc
	s_cbranch_execz .LBB56_48
.LBB56_47:                              ;   in Loop: Header=BB56_43 Depth=1
	v_cmp_gt_i32_e64 s[0:1], s25, v73
	s_waitcnt vmcnt(0)
	v_cndmask_b32_e64 v18, 0, v18, s[0:1]
	v_cmp_gt_i32_e64 s[0:1], s25, v75
	v_cndmask_b32_e64 v19, 0, v19, s[0:1]
	v_cmp_gt_i32_e64 s[0:1], s25, v74
	;; [unrolled: 2-line block ×3, first 2 shown]
	v_cndmask_b32_e64 v21, 0, v21, s[0:1]
.LBB56_48:                              ;   in Loop: Header=BB56_43 Depth=1
	s_or_b64 exec, exec, s[10:11]
	v_add_co_u32_e64 v22, s[0:1], v38, v67
	v_addc_co_u32_e64 v23, s[0:1], 0, v39, s[0:1]
	global_load_dwordx4 v[22:25], v[22:23], off
	s_and_saveexec_b64 s[10:11], vcc
	s_cbranch_execz .LBB56_50
; %bb.49:                               ;   in Loop: Header=BB56_43 Depth=1
	v_cmp_gt_i32_e64 s[0:1], s25, v73
	s_waitcnt vmcnt(0)
	v_cndmask_b32_e64 v22, 0, v22, s[0:1]
	v_cmp_gt_i32_e64 s[0:1], s25, v75
	v_cndmask_b32_e64 v23, 0, v23, s[0:1]
	v_cmp_gt_i32_e64 s[0:1], s25, v74
	v_cndmask_b32_e64 v24, 0, v24, s[0:1]
	v_cmp_gt_i32_e64 s[0:1], s25, v64
	v_cndmask_b32_e64 v25, 0, v25, s[0:1]
.LBB56_50:                              ;   in Loop: Header=BB56_43 Depth=1
	s_or_b64 exec, exec, s[10:11]
	v_add_co_u32_e64 v26, s[0:1], v38, v68
	v_addc_co_u32_e64 v27, s[0:1], 0, v39, s[0:1]
	global_load_dwordx4 v[26:29], v[26:27], off
	s_and_saveexec_b64 s[10:11], vcc
	s_cbranch_execz .LBB56_52
; %bb.51:                               ;   in Loop: Header=BB56_43 Depth=1
	v_cmp_gt_i32_e64 s[0:1], s25, v73
	s_waitcnt vmcnt(0)
	v_cndmask_b32_e64 v26, 0, v26, s[0:1]
	v_cmp_gt_i32_e64 s[0:1], s25, v75
	v_cndmask_b32_e64 v27, 0, v27, s[0:1]
	v_cmp_gt_i32_e64 s[0:1], s25, v74
	v_cndmask_b32_e64 v28, 0, v28, s[0:1]
	v_cmp_gt_i32_e64 s[0:1], s25, v64
	v_cndmask_b32_e64 v29, 0, v29, s[0:1]
.LBB56_52:                              ;   in Loop: Header=BB56_43 Depth=1
	;; [unrolled: 17-line block ×5, first 2 shown]
	s_or_b64 exec, exec, s[10:11]
	v_add_co_u32_e64 v38, s[0:1], v38, v72
	v_addc_co_u32_e64 v39, s[0:1], 0, v39, s[0:1]
	global_load_dwordx4 v[38:41], v[38:39], off
	s_and_saveexec_b64 s[0:1], vcc
	s_cbranch_execz .LBB56_42
; %bb.59:                               ;   in Loop: Header=BB56_43 Depth=1
	v_cmp_gt_i32_e32 vcc, s25, v73
	s_waitcnt vmcnt(0)
	v_cndmask_b32_e32 v38, 0, v38, vcc
	v_cmp_gt_i32_e32 vcc, s25, v75
	v_cndmask_b32_e32 v39, 0, v39, vcc
	v_cmp_gt_i32_e32 vcc, s25, v74
	;; [unrolled: 2-line block ×3, first 2 shown]
	v_cndmask_b32_e32 v41, 0, v41, vcc
	s_branch .LBB56_42
.LBB56_60:                              ;   in Loop: Header=BB56_43 Depth=1
	v_cmp_gt_i32_e64 s[0:1], s25, v73
	s_waitcnt vmcnt(0)
	v_cndmask_b32_e64 v6, 0, v6, s[0:1]
	v_cmp_gt_i32_e64 s[0:1], s25, v75
	v_cndmask_b32_e64 v7, 0, v7, s[0:1]
	v_cmp_gt_i32_e64 s[0:1], s25, v74
	;; [unrolled: 2-line block ×3, first 2 shown]
	v_cndmask_b32_e64 v9, 0, v9, s[0:1]
	s_or_b64 exec, exec, s[10:11]
	global_load_dwordx4 v[10:13], v[18:19], off offset:1024
	s_and_saveexec_b64 s[10:11], vcc
	s_cbranch_execz .LBB56_45
.LBB56_61:                              ;   in Loop: Header=BB56_43 Depth=1
	v_cmp_gt_i32_e64 s[0:1], s25, v73
	s_waitcnt vmcnt(0)
	v_cndmask_b32_e64 v10, 0, v10, s[0:1]
	v_cmp_gt_i32_e64 s[0:1], s25, v75
	v_cndmask_b32_e64 v11, 0, v11, s[0:1]
	v_cmp_gt_i32_e64 s[0:1], s25, v74
	;; [unrolled: 2-line block ×3, first 2 shown]
	v_cndmask_b32_e64 v13, 0, v13, s[0:1]
	s_or_b64 exec, exec, s[10:11]
	global_load_dwordx4 v[14:17], v[18:19], off offset:2048
	s_and_saveexec_b64 s[10:11], vcc
	s_cbranch_execz .LBB56_46
.LBB56_62:                              ;   in Loop: Header=BB56_43 Depth=1
	v_cmp_gt_i32_e64 s[0:1], s25, v73
	s_waitcnt vmcnt(0)
	v_cndmask_b32_e64 v14, 0, v14, s[0:1]
	v_cmp_gt_i32_e64 s[0:1], s25, v75
	v_cndmask_b32_e64 v15, 0, v15, s[0:1]
	v_cmp_gt_i32_e64 s[0:1], s25, v74
	;; [unrolled: 2-line block ×3, first 2 shown]
	v_cndmask_b32_e64 v17, 0, v17, s[0:1]
	s_or_b64 exec, exec, s[10:11]
	global_load_dwordx4 v[18:21], v[18:19], off offset:3072
	s_and_saveexec_b64 s[10:11], vcc
	s_cbranch_execnz .LBB56_47
	s_branch .LBB56_48
.LBB56_63:
	s_or_b64 exec, exec, s[6:7]
.LBB56_64:
	s_or_b64 exec, exec, s[4:5]
	ds_bpermute_b32 v8, v60, v52
	ds_bpermute_b32 v9, v60, v53
	;; [unrolled: 1-line block ×6, first 2 shown]
	s_waitcnt lgkmcnt(4)
	v_pk_add_f32 v[8:9], v[52:53], v[8:9]
	ds_bpermute_b32 v12, v61, v8
	ds_bpermute_b32 v13, v61, v9
	;; [unrolled: 1-line block ×4, first 2 shown]
	s_waitcnt lgkmcnt(6)
	v_pk_add_f32 v[2:3], v[56:57], v[2:3]
	s_waitcnt lgkmcnt(4)
	v_pk_add_f32 v[4:5], v[54:55], v[4:5]
	ds_bpermute_b32 v6, v61, v2
	ds_bpermute_b32 v7, v61, v3
	;; [unrolled: 1-line block ×6, first 2 shown]
	s_waitcnt lgkmcnt(8)
	v_pk_add_f32 v[12:13], v[8:9], v[12:13]
	s_waitcnt lgkmcnt(6)
	v_pk_add_f32 v[8:9], v[50:51], v[14:15]
	ds_bpermute_b32 v14, v61, v8
	ds_bpermute_b32 v15, v61, v9
	s_waitcnt lgkmcnt(6)
	v_pk_add_f32 v[2:3], v[2:3], v[6:7]
	s_waitcnt lgkmcnt(4)
	v_pk_add_f32 v[4:5], v[4:5], v[10:11]
	;; [unrolled: 2-line block ×3, first 2 shown]
	ds_bpermute_b32 v6, v62, v2
	ds_bpermute_b32 v7, v62, v3
	;; [unrolled: 1-line block ×8, first 2 shown]
	s_waitcnt lgkmcnt(8)
	v_pk_add_f32 v[14:15], v[8:9], v[14:15]
	ds_bpermute_b32 v20, v62, v14
	ds_bpermute_b32 v21, v62, v15
	s_waitcnt lgkmcnt(8)
	v_pk_add_f32 v[8:9], v[2:3], v[6:7]
	s_waitcnt lgkmcnt(6)
	v_pk_add_f32 v[6:7], v[4:5], v[10:11]
	;; [unrolled: 2-line block ×4, first 2 shown]
	ds_bpermute_b32 v12, v62, v10
	ds_bpermute_b32 v13, v62, v11
	s_waitcnt lgkmcnt(2)
	v_pk_add_f32 v[2:3], v[14:15], v[20:21]
	v_and_b32_e32 v14, 0x3c7, v0
	v_cmp_ne_u32_e32 vcc, 64, v14
	s_waitcnt lgkmcnt(0)
	s_barrier
	s_and_saveexec_b64 s[0:1], vcc
	s_xor_b64 s[0:1], exec, s[0:1]
; %bb.65:
                                        ; implicit-def: $vgpr1
; %bb.66:
	s_or_saveexec_b64 s[0:1], s[0:1]
	v_pk_add_f32 v[10:11], v[10:11], v[12:13]
	s_xor_b64 exec, exec, s[0:1]
	s_cbranch_execz .LBB56_68
; %bb.67:
	v_lshrrev_b32_e32 v1, 1, v1
	v_add_u32_e32 v1, 0x150, v1
	ds_write2_b32 v1, v8, v9 offset1:8
	ds_write2_b32 v1, v6, v7 offset0:16 offset1:24
	ds_write2_b32 v1, v4, v5 offset0:32 offset1:40
	;; [unrolled: 1-line block ×4, first 2 shown]
.LBB56_68:
	s_or_b64 exec, exec, s[0:1]
	v_cmp_gt_u32_e32 vcc, 64, v0
	s_waitcnt lgkmcnt(0)
	s_barrier
	s_and_saveexec_b64 s[0:1], vcc
	s_cbranch_execz .LBB56_81
; %bb.69:
	v_cmp_eq_u32_e32 vcc, 0, v63
	v_lshrrev_b32_e32 v1, 3, v0
	s_and_saveexec_b64 s[4:5], vcc
	s_cbranch_execnz .LBB56_84
; %bb.70:
	s_or_b64 exec, exec, s[4:5]
	s_and_saveexec_b64 s[4:5], vcc
	s_cbranch_execnz .LBB56_85
.LBB56_71:
	s_or_b64 exec, exec, s[4:5]
	s_and_saveexec_b64 s[4:5], vcc
	s_cbranch_execnz .LBB56_86
.LBB56_72:
	s_or_b64 exec, exec, s[4:5]
	s_and_saveexec_b64 s[4:5], vcc
	s_cbranch_execnz .LBB56_87
.LBB56_73:
	s_or_b64 exec, exec, s[4:5]
	s_and_saveexec_b64 s[4:5], vcc
	s_cbranch_execnz .LBB56_88
.LBB56_74:
	s_or_b64 exec, exec, s[4:5]
	s_and_saveexec_b64 s[4:5], vcc
	s_cbranch_execnz .LBB56_89
.LBB56_75:
	s_or_b64 exec, exec, s[4:5]
	s_and_saveexec_b64 s[4:5], vcc
	s_cbranch_execnz .LBB56_90
.LBB56_76:
	s_or_b64 exec, exec, s[4:5]
	s_and_saveexec_b64 s[4:5], vcc
	s_cbranch_execnz .LBB56_91
.LBB56_77:
	s_or_b64 exec, exec, s[4:5]
	s_and_saveexec_b64 s[4:5], vcc
	s_cbranch_execnz .LBB56_92
.LBB56_78:
	s_or_b64 exec, exec, s[4:5]
	s_and_saveexec_b64 s[4:5], vcc
	s_cbranch_execz .LBB56_80
.LBB56_79:
	v_mov_b32_e32 v12, 0x150
	v_lshl_add_u32 v1, v1, 2, v12
	ds_read_b32 v1, v1 offset:288
	s_waitcnt lgkmcnt(0)
	v_add_f32_e32 v11, v11, v1
.LBB56_80:
	s_or_b64 exec, exec, s[4:5]
.LBB56_81:
	s_or_b64 exec, exec, s[0:1]
	v_cmp_eq_u32_e32 vcc, 0, v14
	s_barrier
	s_and_saveexec_b64 s[0:1], vcc
	s_cbranch_execz .LBB56_83
; %bb.82:
	s_mul_i32 s0, s2, 0x50
	s_ashr_i32 s1, s0, 31
	s_lshl_b64 s[0:1], s[0:1], 2
	s_add_u32 s2, s22, s0
	s_mul_i32 s0, s12, s20
	s_addc_u32 s3, s23, s1
	s_ashr_i32 s1, s0, 31
	s_lshl_b64 s[0:1], s[0:1], 2
	s_add_u32 s2, s2, s0
	s_mul_i32 s0, s8, 0x50
	s_addc_u32 s3, s3, s1
	s_ashr_i32 s1, s0, 31
	s_lshl_b64 s[0:1], s[0:1], 2
	s_add_u32 s0, s2, s0
	s_addc_u32 s1, s3, s1
	v_lshrrev_b32_e32 v0, 1, v0
	global_store_dword v0, v8, s[0:1]
	global_store_dword v0, v9, s[0:1] offset:32
	global_store_dword v0, v6, s[0:1] offset:64
	;; [unrolled: 1-line block ×9, first 2 shown]
.LBB56_83:
	s_endpgm
.LBB56_84:
	v_mov_b32_e32 v12, 0x150
	v_lshl_add_u32 v12, v1, 2, v12
	ds_read_b32 v12, v12
	s_waitcnt lgkmcnt(0)
	v_add_f32_e32 v8, v8, v12
	s_or_b64 exec, exec, s[4:5]
	s_and_saveexec_b64 s[4:5], vcc
	s_cbranch_execz .LBB56_71
.LBB56_85:
	v_mov_b32_e32 v12, 0x150
	v_lshl_add_u32 v12, v1, 2, v12
	ds_read_b32 v12, v12 offset:32
	s_waitcnt lgkmcnt(0)
	v_add_f32_e32 v9, v9, v12
	s_or_b64 exec, exec, s[4:5]
	s_and_saveexec_b64 s[4:5], vcc
	s_cbranch_execz .LBB56_72
.LBB56_86:
	v_mov_b32_e32 v12, 0x150
	v_lshl_add_u32 v12, v1, 2, v12
	ds_read_b32 v12, v12 offset:64
	s_waitcnt lgkmcnt(0)
	v_add_f32_e32 v6, v6, v12
	s_or_b64 exec, exec, s[4:5]
	s_and_saveexec_b64 s[4:5], vcc
	s_cbranch_execz .LBB56_73
.LBB56_87:
	v_mov_b32_e32 v12, 0x150
	v_lshl_add_u32 v12, v1, 2, v12
	ds_read_b32 v12, v12 offset:96
	s_waitcnt lgkmcnt(0)
	v_add_f32_e32 v7, v7, v12
	s_or_b64 exec, exec, s[4:5]
	s_and_saveexec_b64 s[4:5], vcc
	s_cbranch_execz .LBB56_74
.LBB56_88:
	v_mov_b32_e32 v12, 0x150
	v_lshl_add_u32 v12, v1, 2, v12
	ds_read_b32 v12, v12 offset:128
	s_waitcnt lgkmcnt(0)
	v_add_f32_e32 v4, v4, v12
	s_or_b64 exec, exec, s[4:5]
	s_and_saveexec_b64 s[4:5], vcc
	s_cbranch_execz .LBB56_75
.LBB56_89:
	v_mov_b32_e32 v12, 0x150
	v_lshl_add_u32 v12, v1, 2, v12
	ds_read_b32 v12, v12 offset:160
	s_waitcnt lgkmcnt(0)
	v_add_f32_e32 v5, v5, v12
	s_or_b64 exec, exec, s[4:5]
	s_and_saveexec_b64 s[4:5], vcc
	s_cbranch_execz .LBB56_76
.LBB56_90:
	v_mov_b32_e32 v12, 0x150
	v_lshl_add_u32 v12, v1, 2, v12
	ds_read_b32 v12, v12 offset:192
	s_waitcnt lgkmcnt(0)
	v_add_f32_e32 v2, v2, v12
	s_or_b64 exec, exec, s[4:5]
	s_and_saveexec_b64 s[4:5], vcc
	s_cbranch_execz .LBB56_77
.LBB56_91:
	v_mov_b32_e32 v12, 0x150
	v_lshl_add_u32 v12, v1, 2, v12
	ds_read_b32 v12, v12 offset:224
	s_waitcnt lgkmcnt(0)
	v_add_f32_e32 v3, v3, v12
	s_or_b64 exec, exec, s[4:5]
	s_and_saveexec_b64 s[4:5], vcc
	s_cbranch_execz .LBB56_78
.LBB56_92:
	v_mov_b32_e32 v12, 0x150
	v_lshl_add_u32 v12, v1, 2, v12
	ds_read_b32 v12, v12 offset:256
	s_waitcnt lgkmcnt(0)
	v_add_f32_e32 v10, v10, v12
	s_or_b64 exec, exec, s[4:5]
	s_and_saveexec_b64 s[4:5], vcc
	s_cbranch_execnz .LBB56_79
	s_branch .LBB56_80
	.section	.rodata,"a",@progbits
	.p2align	6, 0x0
	.amdhsa_kernel _ZN4vllm25paged_attention_v2_kernelIffLi80ELi32ELi128ELNS_18Fp8KVCacheDataTypeE0ELb0ELi512EEEvPfS2_PT_PKS3_PKT0_S9_ifPKiSB_iPKfiiiSD_SD_iiiii
		.amdhsa_group_segment_fixed_size 336
		.amdhsa_private_segment_fixed_size 0
		.amdhsa_kernarg_size 400
		.amdhsa_user_sgpr_count 6
		.amdhsa_user_sgpr_private_segment_buffer 1
		.amdhsa_user_sgpr_dispatch_ptr 0
		.amdhsa_user_sgpr_queue_ptr 0
		.amdhsa_user_sgpr_kernarg_segment_ptr 1
		.amdhsa_user_sgpr_dispatch_id 0
		.amdhsa_user_sgpr_flat_scratch_init 0
		.amdhsa_user_sgpr_kernarg_preload_length 0
		.amdhsa_user_sgpr_kernarg_preload_offset 0
		.amdhsa_user_sgpr_private_segment_size 0
		.amdhsa_uses_dynamic_stack 0
		.amdhsa_system_sgpr_private_segment_wavefront_offset 0
		.amdhsa_system_sgpr_workgroup_id_x 1
		.amdhsa_system_sgpr_workgroup_id_y 1
		.amdhsa_system_sgpr_workgroup_id_z 1
		.amdhsa_system_sgpr_workgroup_info 0
		.amdhsa_system_vgpr_workitem_id 0
		.amdhsa_next_free_vgpr 88
		.amdhsa_next_free_sgpr 44
		.amdhsa_accum_offset 88
		.amdhsa_reserve_vcc 1
		.amdhsa_reserve_flat_scratch 0
		.amdhsa_float_round_mode_32 0
		.amdhsa_float_round_mode_16_64 0
		.amdhsa_float_denorm_mode_32 3
		.amdhsa_float_denorm_mode_16_64 3
		.amdhsa_dx10_clamp 1
		.amdhsa_ieee_mode 1
		.amdhsa_fp16_overflow 0
		.amdhsa_tg_split 0
		.amdhsa_exception_fp_ieee_invalid_op 0
		.amdhsa_exception_fp_denorm_src 0
		.amdhsa_exception_fp_ieee_div_zero 0
		.amdhsa_exception_fp_ieee_overflow 0
		.amdhsa_exception_fp_ieee_underflow 0
		.amdhsa_exception_fp_ieee_inexact 0
		.amdhsa_exception_int_div_zero 0
	.end_amdhsa_kernel
	.section	.text._ZN4vllm25paged_attention_v2_kernelIffLi80ELi32ELi128ELNS_18Fp8KVCacheDataTypeE0ELb0ELi512EEEvPfS2_PT_PKS3_PKT0_S9_ifPKiSB_iPKfiiiSD_SD_iiiii,"axG",@progbits,_ZN4vllm25paged_attention_v2_kernelIffLi80ELi32ELi128ELNS_18Fp8KVCacheDataTypeE0ELb0ELi512EEEvPfS2_PT_PKS3_PKT0_S9_ifPKiSB_iPKfiiiSD_SD_iiiii,comdat
.Lfunc_end56:
	.size	_ZN4vllm25paged_attention_v2_kernelIffLi80ELi32ELi128ELNS_18Fp8KVCacheDataTypeE0ELb0ELi512EEEvPfS2_PT_PKS3_PKT0_S9_ifPKiSB_iPKfiiiSD_SD_iiiii, .Lfunc_end56-_ZN4vllm25paged_attention_v2_kernelIffLi80ELi32ELi128ELNS_18Fp8KVCacheDataTypeE0ELb0ELi512EEEvPfS2_PT_PKS3_PKT0_S9_ifPKiSB_iPKfiiiSD_SD_iiiii
                                        ; -- End function
	.section	.AMDGPU.csdata,"",@progbits
; Kernel info:
; codeLenInByte = 5960
; NumSgprs: 48
; NumVgprs: 88
; NumAgprs: 0
; TotalNumVgprs: 88
; ScratchSize: 0
; MemoryBound: 0
; FloatMode: 240
; IeeeMode: 1
; LDSByteSize: 336 bytes/workgroup (compile time only)
; SGPRBlocks: 5
; VGPRBlocks: 10
; NumSGPRsForWavesPerEU: 48
; NumVGPRsForWavesPerEU: 88
; AccumOffset: 88
; Occupancy: 5
; WaveLimiterHint : 1
; COMPUTE_PGM_RSRC2:SCRATCH_EN: 0
; COMPUTE_PGM_RSRC2:USER_SGPR: 6
; COMPUTE_PGM_RSRC2:TRAP_HANDLER: 0
; COMPUTE_PGM_RSRC2:TGID_X_EN: 1
; COMPUTE_PGM_RSRC2:TGID_Y_EN: 1
; COMPUTE_PGM_RSRC2:TGID_Z_EN: 1
; COMPUTE_PGM_RSRC2:TIDIG_COMP_CNT: 0
; COMPUTE_PGM_RSRC3_GFX90A:ACCUM_OFFSET: 21
; COMPUTE_PGM_RSRC3_GFX90A:TG_SPLIT: 0
	.section	.text._ZN4vllm25paged_attention_v2_kernelIffLi96ELi32ELi128ELNS_18Fp8KVCacheDataTypeE0ELb0ELi512EEEvPfS2_PT_PKS3_PKT0_S9_ifPKiSB_iPKfiiiSD_SD_iiiii,"axG",@progbits,_ZN4vllm25paged_attention_v2_kernelIffLi96ELi32ELi128ELNS_18Fp8KVCacheDataTypeE0ELb0ELi512EEEvPfS2_PT_PKS3_PKT0_S9_ifPKiSB_iPKfiiiSD_SD_iiiii,comdat
	.protected	_ZN4vllm25paged_attention_v2_kernelIffLi96ELi32ELi128ELNS_18Fp8KVCacheDataTypeE0ELb0ELi512EEEvPfS2_PT_PKS3_PKT0_S9_ifPKiSB_iPKfiiiSD_SD_iiiii ; -- Begin function _ZN4vllm25paged_attention_v2_kernelIffLi96ELi32ELi128ELNS_18Fp8KVCacheDataTypeE0ELb0ELi512EEEvPfS2_PT_PKS3_PKT0_S9_ifPKiSB_iPKfiiiSD_SD_iiiii
	.globl	_ZN4vllm25paged_attention_v2_kernelIffLi96ELi32ELi128ELNS_18Fp8KVCacheDataTypeE0ELb0ELi512EEEvPfS2_PT_PKS3_PKT0_S9_ifPKiSB_iPKfiiiSD_SD_iiiii
	.p2align	8
	.type	_ZN4vllm25paged_attention_v2_kernelIffLi96ELi32ELi128ELNS_18Fp8KVCacheDataTypeE0ELb0ELi512EEEvPfS2_PT_PKS3_PKT0_S9_ifPKiSB_iPKfiiiSD_SD_iiiii,@function
_ZN4vllm25paged_attention_v2_kernelIffLi96ELi32ELi128ELNS_18Fp8KVCacheDataTypeE0ELb0ELi512EEEvPfS2_PT_PKS3_PKT0_S9_ifPKiSB_iPKfiiiSD_SD_iiiii: ; @_ZN4vllm25paged_attention_v2_kernelIffLi96ELi32ELi128ELNS_18Fp8KVCacheDataTypeE0ELb0ELi512EEEvPfS2_PT_PKS3_PKT0_S9_ifPKiSB_iPKfiiiSD_SD_iiiii
; %bb.0:
	s_load_dwordx2 s[0:1], s[4:5], 0x40
	s_mov_b32 s24, s7
	s_ashr_i32 s25, s7, 31
	s_lshl_b64 s[2:3], s[24:25], 2
	s_waitcnt lgkmcnt(0)
	s_add_u32 s0, s0, s2
	s_addc_u32 s1, s1, s3
	s_load_dword s25, s[0:1], 0x0
	s_lshl_b32 s33, s8, 9
	s_waitcnt lgkmcnt(0)
	s_cmp_ge_i32 s33, s25
	s_cbranch_scc1 .LBB57_89
; %bb.1:
	s_load_dword s9, s[4:5], 0x90
	s_load_dwordx2 s[10:11], s[4:5], 0x30
	s_mov_b32 s40, 0
	s_waitcnt lgkmcnt(0)
	s_abs_i32 s2, s9
	s_abs_i32 s0, s10
	v_cvt_f32_u32_e32 v1, s0
	s_sub_i32 s3, 0, s0
	s_xor_b32 s1, s9, s10
	s_ashr_i32 s1, s1, 31
	v_rcp_iflag_f32_e32 v1, v1
	v_mul_f32_e32 v1, 0x4f7ffffe, v1
	v_cvt_u32_f32_e32 v1, v1
	v_readfirstlane_b32 s7, v1
	s_mul_i32 s3, s3, s7
	s_mul_hi_u32 s3, s7, s3
	s_add_i32 s7, s7, s3
	s_mul_hi_u32 s3, s2, s7
	s_mul_i32 s7, s3, s0
	s_sub_i32 s2, s2, s7
	s_add_i32 s10, s3, 1
	s_sub_i32 s7, s2, s0
	s_cmp_ge_u32 s2, s0
	s_cselect_b32 s3, s10, s3
	s_cselect_b32 s2, s7, s2
	s_add_i32 s7, s3, 1
	s_cmp_ge_u32 s2, s0
	s_cselect_b32 s0, s7, s3
	s_xor_b32 s0, s0, s1
	s_sub_i32 s10, s0, s1
	s_abs_i32 s2, s10
	v_cvt_f32_u32_e32 v1, s2
	s_load_dwordx2 s[0:1], s[4:5], 0x50
	s_sub_i32 s7, 0, s2
	s_abs_i32 s3, s6
	v_rcp_iflag_f32_e32 v1, v1
	v_mul_f32_e32 v1, 0x4f7ffffe, v1
	v_cvt_u32_f32_e32 v1, v1
	v_readfirstlane_b32 s12, v1
	s_mul_i32 s7, s7, s12
	s_mul_hi_u32 s7, s12, s7
	s_add_i32 s12, s12, s7
	s_waitcnt lgkmcnt(0)
	s_cmp_eq_u64 s[0:1], 0
	s_mul_hi_u32 s16, s3, s12
	s_cbranch_scc1 .LBB57_3
; %bb.2:
	s_ashr_i32 s7, s6, 31
	s_lshl_b64 s[12:13], s[6:7], 2
	s_add_u32 s0, s0, s12
	s_addc_u32 s1, s1, s13
	s_load_dword s40, s[0:1], 0x0
.LBB57_3:
	s_load_dwordx4 s[12:15], s[4:5], 0x58
	s_ashr_i32 s17, s6, 31
	s_ashr_i32 s18, s10, 31
	v_and_b32_e32 v42, 1, v0
	s_mul_i32 s20, s6, 0x60
	v_cmp_gt_u32_e32 vcc, 48, v0
	v_lshlrev_b32_e32 v1, 3, v0
	v_lshlrev_b32_e32 v52, 2, v0
	s_and_saveexec_b64 s[0:1], vcc
	s_cbranch_execz .LBB57_5
; %bb.4:
	s_load_dwordx2 s[22:23], s[4:5], 0x18
	s_waitcnt lgkmcnt(0)
	s_mul_i32 s26, s24, s12
	s_ashr_i32 s27, s26, 31
	s_lshl_b64 s[26:27], s[26:27], 2
	v_and_b32_e32 v4, 0xff8, v52
	s_add_u32 s7, s22, s26
	s_addc_u32 s10, s23, s27
	s_ashr_i32 s21, s20, 31
	s_lshl_b64 s[22:23], s[20:21], 2
	s_add_u32 s22, s7, s22
	s_addc_u32 s23, s10, s23
	global_load_dwordx2 v[2:3], v1, s[22:23]
	s_movk_i32 s7, 0xc0
	v_mad_u32_u24 v4, v42, s7, v4
	s_waitcnt vmcnt(0)
	ds_write_b64 v4, v[2:3]
.LBB57_5:
	s_or_b64 exec, exec, s[0:1]
	s_add_i32 s0, s25, 31
	s_ashr_i32 s1, s0, 31
	s_lshr_b32 s1, s1, 27
	s_add_i32 s0, s0, s1
	s_lshl_b32 s10, s8, 4
	s_mul_i32 s1, s16, s2
	s_ashr_i32 s7, s0, 5
	s_add_i32 s0, s10, 16
	s_sub_i32 s1, s3, s1
	s_min_i32 s21, s0, s7
	s_xor_b32 s0, s17, s18
	s_add_i32 s3, s16, 1
	s_waitcnt lgkmcnt(0)
	s_sub_i32 s12, s1, s2
	s_cmp_ge_u32 s1, s2
	s_cselect_b32 s3, s3, s16
	s_cselect_b32 s1, s12, s1
	s_add_i32 s12, s3, 1
	s_cmp_ge_u32 s1, s2
	s_load_dwordx2 s[26:27], s[4:5], 0x38
	s_load_dword s2, s[4:5], 0x48
	v_lshrrev_b32_e32 v53, 6, v0
	s_cselect_b32 s1, s12, s3
	s_xor_b32 s1, s1, s0
	v_or_b32_e32 v54, s10, v53
	s_waitcnt lgkmcnt(0)
	s_mul_i32 s28, s24, s2
	s_sub_i32 s15, s1, s0
	s_ashr_i32 s29, s28, 31
	v_cmp_gt_i32_e64 s[0:1], s21, v54
	v_cmp_le_i32_e32 vcc, s21, v54
	v_mbcnt_lo_u32_b32 v43, -1, 0
	s_barrier
	s_waitcnt lgkmcnt(0)
                                        ; implicit-def: $sgpr36
                                        ; implicit-def: $vgpr56
                                        ; implicit-def: $vgpr57
	s_and_saveexec_b64 s[2:3], vcc
	s_xor_b64 s[2:3], exec, s[2:3]
; %bb.6:
	v_mbcnt_hi_u32_b32 v56, -1, v43
	v_and_b32_e32 v1, 64, v56
	v_add_u32_e32 v57, 64, v1
	s_mov_b32 s36, 0xff7fffff
                                        ; implicit-def: $vgpr1
                                        ; implicit-def: $vgpr42
                                        ; implicit-def: $vgpr43
; %bb.7:
	s_or_saveexec_b64 s[34:35], s[2:3]
	s_load_dwordx4 s[16:19], s[4:5], 0x0
	s_load_dwordx2 s[22:23], s[4:5], 0x10
	s_load_dwordx2 s[30:31], s[4:5], 0x28
	s_load_dword s12, s[4:5], 0x98
	v_mov_b32_e32 v60, s36
	s_mul_i32 s14, s15, s14
	v_ashrrev_i32_e32 v55, 31, v54
	s_xor_b64 exec, exec, s[34:35]
	s_cbranch_execz .LBB57_13
; %bb.8:
	s_load_dwordx2 s[2:3], s[4:5], 0x20
	s_ashr_i32 s15, s14, 31
	s_lshl_b64 s[4:5], s[14:15], 2
	v_bfe_u32 v44, v0, 1, 5
	v_lshlrev_b32_e32 v2, 4, v44
	s_waitcnt lgkmcnt(0)
	s_add_u32 s2, s2, s4
	s_addc_u32 s3, s3, s5
	v_mov_b32_e32 v3, s3
	v_add_co_u32_e32 v2, vcc, s2, v2
	v_addc_co_u32_e32 v3, vcc, 0, v3, vcc
	v_and_b32_e32 v1, 8, v1
	v_add_co_u32_e32 v1, vcc, v2, v1
	v_mul_u32_u24_e32 v46, 0xc0, v42
	v_addc_co_u32_e32 v58, vcc, 0, v3, vcc
	ds_read_b128 v[2:5], v46
	ds_read_b128 v[6:9], v46 offset:16
	ds_read_b128 v[10:13], v46 offset:32
	;; [unrolled: 1-line block ×9, first 2 shown]
	v_mbcnt_hi_u32_b32 v56, -1, v43
	v_and_b32_e32 v47, 64, v56
	v_xor_b32_e32 v43, 1, v56
	v_add_u32_e32 v57, 64, v47
	v_cmp_lt_i32_e32 vcc, v43, v57
	v_lshlrev_b32_e32 v45, 2, v44
	v_cndmask_b32_e32 v43, v56, v43, vcc
	v_cmp_eq_u32_e32 vcc, 0, v42
	s_sub_i32 s15, 1, s25
	v_lshlrev_b32_e32 v42, 5, v53
	s_lshl_b64 s[4:5], s[28:29], 2
	v_add3_u32 v61, s33, v42, v44
	v_lshl_or_b32 v42, v53, 7, v45
	s_add_u32 s4, s26, s4
	v_lshlrev_b32_e32 v59, 2, v43
	v_add_u32_e32 v62, 0x190, v42
	v_lshlrev_b64 v[42:43], 2, v[54:55]
	s_addc_u32 s5, s27, s5
	v_mov_b32_e32 v44, s5
	v_add_co_u32_e64 v50, s[4:5], s4, v42
	v_addc_co_u32_e64 v51, s[4:5], v44, v43, s[4:5]
	ds_read_b128 v[42:45], v46 offset:160
	ds_read_b128 v[46:49], v46 offset:176
	s_mov_b32 s41, s13
	v_cmp_neq_f32_e64 s[2:3], s40, 0
	s_mov_b64 s[36:37], 0
	v_mov_b32_e32 v60, 0xff7fffff
	s_movk_i32 s42, 0x1000
	s_movk_i32 s43, 0x2000
	v_mov_b32_e32 v63, v54
	s_branch .LBB57_10
.LBB57_9:                               ;   in Loop: Header=BB57_10 Depth=1
	s_or_b64 exec, exec, s[38:39]
	v_add_u32_e32 v63, 2, v63
	v_cmp_le_i32_e64 s[4:5], s21, v63
	s_or_b64 s[36:37], s[4:5], s[36:37]
	v_add_co_u32_e64 v50, s[4:5], 8, v50
	v_add_u32_e32 v61, 64, v61
	v_add_u32_e32 v62, 0x100, v62
	v_addc_co_u32_e64 v51, s[4:5], 0, v51, s[4:5]
	s_andn2_b64 exec, exec, s[36:37]
	s_cbranch_execz .LBB57_12
.LBB57_10:                              ; =>This Inner Loop Header: Depth=1
	global_load_dword v64, v[50:51], off
	s_waitcnt vmcnt(0) lgkmcnt(0)
	v_mad_i64_i32 v[64:65], s[4:5], v64, s41, 0
	v_lshlrev_b64 v[64:65], 2, v[64:65]
	v_add_co_u32_e64 v64, s[4:5], v1, v64
	v_addc_co_u32_e64 v65, s[4:5], v58, v65, s[4:5]
	global_load_dwordx2 v[66:67], v[64:65], off offset:512
	global_load_dwordx2 v[68:69], v[64:65], off offset:1024
	;; [unrolled: 1-line block ×3, first 2 shown]
	global_load_dwordx2 v[72:73], v[64:65], off
	global_load_dwordx2 v[74:75], v[64:65], off offset:2048
	global_load_dwordx2 v[76:77], v[64:65], off offset:2560
	v_add_co_u32_e64 v78, s[4:5], s43, v64
	v_addc_co_u32_e64 v79, s[4:5], 0, v65, s[4:5]
	global_load_dwordx2 v[80:81], v[64:65], off offset:3072
	global_load_dwordx2 v[82:83], v[64:65], off offset:3584
	global_load_dwordx2 v[84:85], v[78:79], off offset:-4096
	v_add_co_u32_e64 v64, s[4:5], s42, v64
	v_addc_co_u32_e64 v65, s[4:5], 0, v65, s[4:5]
	global_load_dwordx2 v[86:87], v[64:65], off offset:512
	global_load_dwordx2 v[88:89], v[64:65], off offset:1024
	;; [unrolled: 1-line block ×6, first 2 shown]
	s_nop 0
	global_load_dwordx2 v[64:65], v[64:65], off offset:3072
	s_waitcnt vmcnt(15) lgkmcnt(11)
	v_mul_f32_e32 v100, v4, v66
	v_mul_f32_e32 v101, v5, v67
	s_waitcnt vmcnt(12)
	v_fmac_f32_e32 v100, v2, v72
	v_fmac_f32_e32 v101, v3, v73
	s_waitcnt lgkmcnt(10)
	v_fmac_f32_e32 v100, v6, v68
	v_fmac_f32_e32 v101, v7, v69
	global_load_dwordx2 v[66:67], v[78:79], off
	global_load_dwordx2 v[68:69], v[78:79], off offset:512
	global_load_dwordx2 v[72:73], v[78:79], off offset:1024
	;; [unrolled: 1-line block ×3, first 2 shown]
	v_fmac_f32_e32 v100, v8, v70
	v_fmac_f32_e32 v101, v9, v71
	global_load_dwordx2 v[70:71], v[78:79], off offset:2048
	s_waitcnt vmcnt(16) lgkmcnt(9)
	v_fmac_f32_e32 v100, v10, v74
	v_fmac_f32_e32 v101, v11, v75
	global_load_dwordx2 v[74:75], v[78:79], off offset:2560
	s_waitcnt vmcnt(16)
	v_fmac_f32_e32 v100, v12, v76
	v_fmac_f32_e32 v101, v13, v77
	global_load_dwordx2 v[76:77], v[78:79], off offset:3072
	s_nop 0
	global_load_dwordx2 v[78:79], v[78:79], off offset:3584
	s_waitcnt vmcnt(17) lgkmcnt(8)
	v_fmac_f32_e32 v100, v14, v80
	v_fmac_f32_e32 v101, v15, v81
	s_waitcnt vmcnt(16)
	v_fmac_f32_e32 v100, v16, v82
	v_fmac_f32_e32 v101, v17, v83
	s_waitcnt vmcnt(15) lgkmcnt(7)
	v_fmac_f32_e32 v100, v18, v84
	v_fmac_f32_e32 v101, v19, v85
	s_waitcnt vmcnt(14)
	v_fmac_f32_e32 v100, v20, v86
	v_fmac_f32_e32 v101, v21, v87
	;; [unrolled: 6-line block ×4, first 2 shown]
	s_waitcnt vmcnt(8) lgkmcnt(4)
	v_fmac_f32_e32 v100, v30, v64
	v_fmac_f32_e32 v101, v31, v65
	;; [unrolled: 1-line block ×4, first 2 shown]
	s_waitcnt vmcnt(7) lgkmcnt(3)
	v_fmac_f32_e32 v100, v34, v66
	v_fmac_f32_e32 v101, v35, v67
	s_waitcnt vmcnt(6)
	v_fmac_f32_e32 v100, v36, v68
	v_fmac_f32_e32 v101, v37, v69
	s_waitcnt vmcnt(5) lgkmcnt(2)
	v_fmac_f32_e32 v100, v38, v72
	v_fmac_f32_e32 v101, v39, v73
	s_waitcnt vmcnt(4)
	v_fmac_f32_e32 v100, v40, v98
	v_fmac_f32_e32 v101, v41, v99
	;; [unrolled: 6-line block ×4, first 2 shown]
	v_add_f32_e32 v64, v100, v101
	ds_bpermute_b32 v65, v59, v64
	s_and_saveexec_b64 s[38:39], vcc
	s_cbranch_execz .LBB57_9
; %bb.11:                               ;   in Loop: Header=BB57_10 Depth=1
	v_add_u32_e32 v66, s15, v61
	v_cvt_f32_i32_e32 v66, v66
	s_waitcnt lgkmcnt(0)
	v_add_f32_e32 v64, v64, v65
	v_cmp_gt_i32_e64 s[4:5], s25, v61
	v_max_f32_e32 v65, v60, v60
	v_mul_f32_e32 v66, s40, v66
	v_cndmask_b32_e64 v66, 0, v66, s[2:3]
	v_fmac_f32_e32 v66, s11, v64
	v_cndmask_b32_e64 v64, 0, v66, s[4:5]
	ds_write_b32 v62, v64
	v_max_f32_e32 v64, v65, v66
	v_cndmask_b32_e64 v60, v60, v64, s[4:5]
	s_branch .LBB57_9
.LBB57_12:
	s_or_b64 exec, exec, s[36:37]
.LBB57_13:
	s_or_b64 exec, exec, s[34:35]
	v_xor_b32_e32 v1, 32, v56
	v_cmp_lt_i32_e32 vcc, v1, v57
	v_cndmask_b32_e32 v1, v56, v1, vcc
	v_lshlrev_b32_e32 v2, 2, v1
	ds_bpermute_b32 v1, v2, v60
	v_xor_b32_e32 v4, 16, v56
	v_max_f32_e32 v3, v60, v60
	v_cmp_lt_i32_e32 vcc, v4, v57
	v_xor_b32_e32 v5, 8, v56
	s_waitcnt lgkmcnt(0)
	v_max_f32_e32 v1, v1, v1
	v_max_f32_e32 v1, v3, v1
	v_cndmask_b32_e32 v3, v56, v4, vcc
	v_lshlrev_b32_e32 v3, 2, v3
	ds_bpermute_b32 v4, v3, v1
	v_cmp_lt_i32_e32 vcc, v5, v57
	v_xor_b32_e32 v6, 4, v56
	s_waitcnt lgkmcnt(0)
	v_max_f32_e32 v4, v4, v4
	v_max_f32_e32 v1, v1, v4
	v_cndmask_b32_e32 v4, v56, v5, vcc
	v_lshlrev_b32_e32 v5, 2, v4
	ds_bpermute_b32 v4, v5, v1
	v_cmp_lt_i32_e32 vcc, v6, v57
	s_waitcnt lgkmcnt(0)
	v_max_f32_e32 v4, v4, v4
	v_max_f32_e32 v1, v1, v4
	v_cndmask_b32_e32 v4, v56, v6, vcc
	v_lshlrev_b32_e32 v70, 2, v4
	ds_bpermute_b32 v4, v70, v1
	v_xor_b32_e32 v6, 2, v56
	v_cmp_lt_i32_e32 vcc, v6, v57
	s_waitcnt lgkmcnt(0)
	v_max_f32_e32 v4, v4, v4
	v_max_f32_e32 v4, v1, v4
	v_cndmask_b32_e32 v1, v56, v6, vcc
	v_lshlrev_b32_e32 v71, 2, v1
	ds_bpermute_b32 v7, v71, v4
	v_and_b32_e32 v1, 63, v0
	v_cmp_eq_u32_e32 vcc, 0, v1
	v_lshlrev_b32_e32 v6, 2, v53
	s_and_saveexec_b64 s[2:3], vcc
	s_cbranch_execz .LBB57_15
; %bb.14:
	s_waitcnt lgkmcnt(0)
	v_max_f32_e32 v7, v7, v7
	v_max_f32_e32 v4, v4, v4
	;; [unrolled: 1-line block ×3, first 2 shown]
	ds_write_b32 v6, v4 offset:384
.LBB57_15:
	s_or_b64 exec, exec, s[2:3]
	v_cmp_gt_u32_e64 s[2:3], 2, v1
	v_mov_b32_e32 v4, 0xff7fffff
	s_waitcnt lgkmcnt(0)
	v_lshlrev_b32_e32 v7, 2, v1
	s_barrier
	s_and_saveexec_b64 s[4:5], s[2:3]
	s_cbranch_execz .LBB57_17
; %bb.16:
	ds_read_b32 v4, v7 offset:384
.LBB57_17:
	s_or_b64 exec, exec, s[4:5]
	v_xor_b32_e32 v8, 1, v56
	v_cmp_lt_i32_e64 s[4:5], v8, v57
	v_cndmask_b32_e64 v8, v56, v8, s[4:5]
	v_lshlrev_b32_e32 v72, 2, v8
	s_waitcnt lgkmcnt(0)
	ds_bpermute_b32 v8, v72, v4
	v_max_f32_e32 v4, v4, v4
	s_sub_i32 s4, s21, s10
	s_lshl_b32 s4, s4, 5
	s_add_i32 s4, s4, s33
	s_waitcnt lgkmcnt(0)
	v_max_f32_e32 v8, v8, v8
	v_max_f32_e32 v4, v4, v8
	v_lshlrev_b32_e32 v8, 2, v56
	v_and_b32_e32 v8, 0xffffff00, v8
	ds_bpermute_b32 v4, v8, v4
	s_min_i32 s38, s4, s25
	s_sub_i32 s15, s38, s33
	v_cmp_gt_i32_e64 s[4:5], s15, v0
	v_mov_b32_e32 v9, 0
	s_and_saveexec_b64 s[34:35], s[4:5]
	s_cbranch_execz .LBB57_21
; %bb.18:
	v_mov_b32_e32 v9, 0x190
	v_lshl_add_u32 v10, v0, 2, v9
	s_mov_b64 s[36:37], 0
	v_mov_b32_e32 v9, 0
	v_mov_b32_e32 v11, v0
.LBB57_19:                              ; =>This Inner Loop Header: Depth=1
	ds_read_b32 v12, v10
	v_add_u32_e32 v11, 0x80, v11
	v_cmp_le_i32_e64 s[10:11], s15, v11
	s_or_b64 s[36:37], s[10:11], s[36:37]
	s_waitcnt lgkmcnt(0)
	v_sub_f32_e32 v12, v12, v4
	v_mul_f32_e32 v12, 0x3fb8aa3b, v12
	v_exp_f32_e32 v12, v12
	ds_write_b32 v10, v12
	v_add_f32_e32 v9, v9, v12
	v_add_u32_e32 v10, 0x200, v10
	s_andn2_b64 exec, exec, s[36:37]
	s_cbranch_execnz .LBB57_19
; %bb.20:
	s_or_b64 exec, exec, s[36:37]
.LBB57_21:
	s_or_b64 exec, exec, s[34:35]
	ds_bpermute_b32 v2, v2, v9
	s_waitcnt lgkmcnt(0)
	v_add_f32_e32 v2, v9, v2
	ds_bpermute_b32 v3, v3, v2
	s_waitcnt lgkmcnt(0)
	v_add_f32_e32 v2, v2, v3
	;; [unrolled: 3-line block ×6, first 2 shown]
	s_and_saveexec_b64 s[10:11], vcc
	s_cbranch_execz .LBB57_23
; %bb.22:
	ds_write_b32 v6, v2 offset:392
.LBB57_23:
	s_or_b64 exec, exec, s[10:11]
	s_waitcnt lgkmcnt(0)
	s_barrier
	s_and_saveexec_b64 s[10:11], s[2:3]
	s_cbranch_execz .LBB57_25
; %bb.24:
	ds_read_b32 v2, v7 offset:392
.LBB57_25:
	s_or_b64 exec, exec, s[10:11]
	s_waitcnt lgkmcnt(0)
	ds_bpermute_b32 v3, v72, v2
	s_waitcnt lgkmcnt(0)
	v_add_f32_e32 v2, v2, v3
	ds_bpermute_b32 v5, v8, v2
	s_and_saveexec_b64 s[2:3], s[4:5]
	s_cbranch_execz .LBB57_38
; %bb.26:
	s_waitcnt lgkmcnt(0)
	v_add_f32_e32 v2, 0x358637bd, v5
	v_div_scale_f32 v3, s[4:5], v2, v2, 1.0
	v_rcp_f32_e32 v6, v3
	v_div_scale_f32 v7, vcc, 1.0, v2, 1.0
	s_movk_i32 s4, 0x7f
	v_fma_f32 v8, -v3, v6, 1.0
	v_fmac_f32_e32 v6, v8, v6
	v_mul_f32_e32 v8, v7, v6
	v_fma_f32 v9, -v3, v8, v7
	v_fmac_f32_e32 v8, v9, v6
	v_fma_f32 v3, -v3, v8, v7
	v_div_fmas_f32 v3, v3, v6, v8
	v_div_fixup_f32 v2, v3, v2, 1.0
	v_xad_u32 v3, v0, -1, s38
	v_subrev_u32_e32 v6, s33, v3
	v_cmp_lt_u32_e32 vcc, s4, v6
	s_mov_b64 s[10:11], -1
	v_mov_b32_e32 v3, v0
	s_and_saveexec_b64 s[4:5], vcc
	s_cbranch_execz .LBB57_35
; %bb.27:
	v_lshrrev_b32_e32 v6, 7, v6
	v_add_u32_e32 v8, -1, v6
	v_lshrrev_b32_e32 v7, 1, v8
	v_mov_b32_e32 v3, v2
	v_add_u32_e32 v7, 1, v7
	v_cmp_lt_u32_e32 vcc, 13, v8
	v_mov_b32_e32 v10, 0
	s_and_saveexec_b64 s[10:11], vcc
	s_cbranch_execz .LBB57_31
; %bb.28:
	v_mov_b32_e32 v9, 0x190
	v_and_b32_e32 v8, -8, v7
	v_lshl_add_u32 v9, v0, 2, v9
	s_mov_b32 s36, 0
	s_mov_b64 s[34:35], 0
.LBB57_29:                              ; =>This Inner Loop Header: Depth=1
	ds_read2st64_b32 v[10:11], v9 offset1:2
	ds_read2st64_b32 v[12:13], v9 offset0:4 offset1:6
	ds_read2st64_b32 v[14:15], v9 offset0:8 offset1:10
	;; [unrolled: 1-line block ×3, first 2 shown]
	v_add_u32_e32 v8, -8, v8
	s_waitcnt lgkmcnt(3)
	v_pk_mul_f32 v[10:11], v[2:3], v[10:11]
	s_waitcnt lgkmcnt(2)
	v_pk_mul_f32 v[12:13], v[2:3], v[12:13]
	ds_write2st64_b32 v9, v10, v11 offset1:2
	ds_write2st64_b32 v9, v12, v13 offset0:4 offset1:6
	ds_read2st64_b32 v[12:13], v9 offset0:16 offset1:18
	s_waitcnt lgkmcnt(4)
	v_pk_mul_f32 v[10:11], v[2:3], v[14:15]
	ds_write2st64_b32 v9, v10, v11 offset0:8 offset1:10
	s_waitcnt lgkmcnt(4)
	v_pk_mul_f32 v[10:11], v[2:3], v[16:17]
	ds_write2st64_b32 v9, v10, v11 offset0:12 offset1:14
	ds_read2st64_b32 v[10:11], v9 offset0:20 offset1:22
	s_waitcnt lgkmcnt(3)
	v_pk_mul_f32 v[12:13], v[2:3], v[12:13]
	ds_read2st64_b32 v[14:15], v9 offset0:24 offset1:26
	ds_write2st64_b32 v9, v12, v13 offset0:16 offset1:18
	ds_read2st64_b32 v[12:13], v9 offset0:28 offset1:30
	s_waitcnt lgkmcnt(3)
	v_pk_mul_f32 v[10:11], v[2:3], v[10:11]
	ds_write2st64_b32 v9, v10, v11 offset0:20 offset1:22
	s_waitcnt lgkmcnt(3)
	v_pk_mul_f32 v[10:11], v[2:3], v[14:15]
	ds_write2st64_b32 v9, v10, v11 offset0:24 offset1:26
	s_waitcnt lgkmcnt(2)
	v_pk_mul_f32 v[10:11], v[2:3], v[12:13]
	s_add_i32 s36, s36, 16
	v_cmp_eq_u32_e32 vcc, 0, v8
	ds_write2st64_b32 v9, v10, v11 offset0:28 offset1:30
	v_add_u32_e32 v9, 0x2000, v9
	s_or_b64 s[34:35], vcc, s[34:35]
	v_mov_b32_e32 v10, s36
	s_andn2_b64 exec, exec, s[34:35]
	s_cbranch_execnz .LBB57_29
; %bb.30:
	s_or_b64 exec, exec, s[34:35]
.LBB57_31:
	s_or_b64 exec, exec, s[10:11]
	v_and_b32_e32 v7, 7, v7
	v_cmp_ne_u32_e32 vcc, 0, v7
	s_and_saveexec_b64 s[10:11], vcc
	s_cbranch_execz .LBB57_34
; %bb.32:
	v_lshlrev_b32_e32 v8, 9, v10
	s_movk_i32 s34, 0x190
	v_add3_u32 v8, v8, v52, s34
	s_mov_b64 s[34:35], 0
.LBB57_33:                              ; =>This Inner Loop Header: Depth=1
	ds_read2st64_b32 v[10:11], v8 offset1:2
	v_add_u32_e32 v7, -1, v7
	v_cmp_eq_u32_e32 vcc, 0, v7
	s_or_b64 s[34:35], vcc, s[34:35]
	s_waitcnt lgkmcnt(0)
	v_pk_mul_f32 v[10:11], v[2:3], v[10:11]
	ds_write2st64_b32 v8, v10, v11 offset1:2
	v_add_u32_e32 v8, 0x400, v8
	s_andn2_b64 exec, exec, s[34:35]
	s_cbranch_execnz .LBB57_33
.LBB57_34:
	s_or_b64 exec, exec, s[10:11]
	v_add_u32_e32 v6, 1, v6
	v_and_b32_e32 v7, 0x3fffffe, v6
	v_cmp_ne_u32_e32 vcc, v6, v7
	v_lshl_add_u32 v3, v7, 7, v0
	s_orn2_b64 s[10:11], vcc, exec
.LBB57_35:
	s_or_b64 exec, exec, s[4:5]
	s_and_b64 exec, exec, s[10:11]
	s_cbranch_execz .LBB57_38
; %bb.36:
	v_mov_b32_e32 v6, 0x190
	v_lshl_add_u32 v6, v3, 2, v6
	s_mov_b64 s[4:5], 0
.LBB57_37:                              ; =>This Inner Loop Header: Depth=1
	ds_read_b32 v7, v6
	v_add_u32_e32 v3, 0x80, v3
	v_cmp_le_i32_e32 vcc, s15, v3
	s_or_b64 s[4:5], vcc, s[4:5]
	s_waitcnt lgkmcnt(0)
	v_mul_f32_e32 v7, v2, v7
	ds_write_b32 v6, v7
	v_add_u32_e32 v6, 0x200, v6
	s_andn2_b64 exec, exec, s[4:5]
	s_cbranch_execnz .LBB57_37
.LBB57_38:
	s_or_b64 exec, exec, s[2:3]
	s_mul_i32 s2, s12, s24
	v_cmp_eq_u32_e32 vcc, 0, v0
	s_mul_i32 s2, s2, s9
	s_waitcnt lgkmcnt(0)
	s_barrier
	s_and_saveexec_b64 s[4:5], vcc
	s_cbranch_execz .LBB57_40
; %bb.39:
	s_ashr_i32 s3, s2, 31
	s_lshl_b64 s[10:11], s[2:3], 2
	s_add_u32 s3, s18, s10
	s_mul_i32 s18, s12, s6
	s_addc_u32 s9, s19, s11
	s_ashr_i32 s19, s18, 31
	s_lshl_b64 s[18:19], s[18:19], 2
	s_add_u32 s3, s3, s18
	s_addc_u32 s6, s9, s19
	s_ashr_i32 s9, s8, 31
	s_lshl_b64 s[34:35], s[8:9], 2
	s_add_u32 s36, s3, s34
	s_addc_u32 s37, s6, s35
	s_add_u32 s3, s16, s10
	s_addc_u32 s6, s17, s11
	s_add_u32 s3, s3, s18
	s_addc_u32 s6, s6, s19
	s_add_u32 s10, s3, s34
	v_mov_b32_e32 v2, 0
	s_addc_u32 s11, s6, s35
	global_store_dword v2, v4, s[36:37]
	global_store_dword v2, v5, s[10:11]
.LBB57_40:
	s_or_b64 exec, exec, s[4:5]
	v_mov_b32_e32 v57, 0
	v_and_b32_e32 v73, 7, v0
	v_mov_b32_e32 v56, 0
	v_mov_b32_e32 v59, 0
	;; [unrolled: 1-line block ×11, first 2 shown]
	s_and_saveexec_b64 s[4:5], s[0:1]
	s_cbranch_execz .LBB57_68
; %bb.41:
	s_ashr_i32 s15, s14, 31
	s_lshl_b64 s[0:1], s[14:15], 2
	s_add_u32 s9, s30, s0
	v_and_b32_e32 v3, 28, v52
	s_mov_b32 s3, s13
	s_addc_u32 s10, s31, s1
	s_add_i32 s13, s7, -1
	v_lshl_add_u32 v5, v53, 5, s33
	s_lshl_b64 s[0:1], s[28:29], 2
	v_add3_u32 v74, v5, v3, 3
	v_lshlrev_b32_e32 v3, 4, v73
	s_add_u32 s0, s26, s0
	v_and_b32_e32 v2, 0xfc, v52
	v_lshl_or_b32 v3, v53, 7, v3
	v_lshlrev_b64 v[20:21], 2, v[54:55]
	s_addc_u32 s1, s27, s1
	v_mov_b32_e32 v57, 0
	v_or_b32_e32 v4, 0x400, v2
	v_or_b32_e32 v6, 0x500, v2
	;; [unrolled: 1-line block ×8, first 2 shown]
	v_add_u32_e32 v75, 0x190, v3
	v_mov_b32_e32 v3, s1
	v_add_co_u32_e32 v68, vcc, s0, v20
	v_addc_co_u32_e32 v69, vcc, v3, v21, vcc
	s_mov_b64 s[6:7], 0
	v_lshlrev_b32_e32 v55, 2, v2
	v_lshlrev_b32_e32 v76, 2, v4
	;; [unrolled: 1-line block ×9, first 2 shown]
	v_mov_b32_e32 v84, s10
	v_mov_b32_e32 v56, v57
	;; [unrolled: 1-line block ×12, first 2 shown]
	s_branch .LBB57_43
.LBB57_42:                              ;   in Loop: Header=BB57_43 Depth=1
	s_or_b64 exec, exec, s[0:1]
	s_waitcnt vmcnt(1) lgkmcnt(0)
	v_mul_f32_e32 v51, v3, v51
	v_mul_f32_e32 v47, v3, v47
	;; [unrolled: 1-line block ×11, first 2 shown]
	s_waitcnt vmcnt(0)
	v_mul_f32_e32 v3, v3, v43
	v_fmac_f32_e32 v51, v2, v50
	v_fmac_f32_e32 v47, v2, v46
	;; [unrolled: 1-line block ×12, first 2 shown]
	v_add_u32_e32 v54, 2, v54
	v_fmac_f32_e32 v51, v4, v52
	v_fmac_f32_e32 v47, v4, v48
	;; [unrolled: 1-line block ×12, first 2 shown]
	v_cmp_le_i32_e32 vcc, s21, v54
	v_fmac_f32_e32 v51, v5, v53
	v_fmac_f32_e32 v47, v5, v49
	;; [unrolled: 1-line block ×12, first 2 shown]
	s_or_b64 s[6:7], vcc, s[6:7]
	v_add_co_u32_e32 v68, vcc, 8, v68
	v_add_f32_e32 v56, v56, v51
	v_add_f32_e32 v59, v59, v47
	;; [unrolled: 1-line block ×12, first 2 shown]
	v_add_u32_e32 v74, 64, v74
	v_add_u32_e32 v75, 0x100, v75
	v_addc_co_u32_e32 v69, vcc, 0, v69, vcc
	s_andn2_b64 exec, exec, s[6:7]
	s_cbranch_execz .LBB57_67
.LBB57_43:                              ; =>This Inner Loop Header: Depth=1
	global_load_dword v2, v[68:69], off
	v_add_u32_e32 v85, -3, v74
	v_add_u32_e32 v87, -2, v74
	;; [unrolled: 1-line block ×3, first 2 shown]
	s_waitcnt vmcnt(0)
	v_mad_i64_i32 v[2:3], s[0:1], v2, s3, 0
	v_lshlrev_b64 v[2:3], 2, v[2:3]
	v_add_co_u32_e32 v42, vcc, s9, v2
	v_addc_co_u32_e32 v43, vcc, v84, v3, vcc
	v_add_co_u32_e32 v18, vcc, v42, v55
	v_addc_co_u32_e32 v19, vcc, 0, v43, vcc
	global_load_dwordx4 v[6:9], v[18:19], off
	ds_read_b128 v[2:5], v75
	v_cmp_eq_u32_e32 vcc, s13, v54
	s_and_saveexec_b64 s[10:11], vcc
	s_cbranch_execnz .LBB57_64
; %bb.44:                               ;   in Loop: Header=BB57_43 Depth=1
	s_or_b64 exec, exec, s[10:11]
	global_load_dwordx4 v[10:13], v[18:19], off offset:1024
	s_and_saveexec_b64 s[10:11], vcc
	s_cbranch_execnz .LBB57_65
.LBB57_45:                              ;   in Loop: Header=BB57_43 Depth=1
	s_or_b64 exec, exec, s[10:11]
	global_load_dwordx4 v[14:17], v[18:19], off offset:2048
	s_and_saveexec_b64 s[10:11], vcc
	s_cbranch_execnz .LBB57_66
.LBB57_46:                              ;   in Loop: Header=BB57_43 Depth=1
	s_or_b64 exec, exec, s[10:11]
	global_load_dwordx4 v[18:21], v[18:19], off offset:3072
	s_and_saveexec_b64 s[10:11], vcc
	s_cbranch_execz .LBB57_48
.LBB57_47:                              ;   in Loop: Header=BB57_43 Depth=1
	v_cmp_gt_i32_e64 s[0:1], s25, v85
	s_waitcnt vmcnt(0)
	v_cndmask_b32_e64 v18, 0, v18, s[0:1]
	v_cmp_gt_i32_e64 s[0:1], s25, v87
	v_cndmask_b32_e64 v19, 0, v19, s[0:1]
	v_cmp_gt_i32_e64 s[0:1], s25, v86
	;; [unrolled: 2-line block ×3, first 2 shown]
	v_cndmask_b32_e64 v21, 0, v21, s[0:1]
.LBB57_48:                              ;   in Loop: Header=BB57_43 Depth=1
	s_or_b64 exec, exec, s[10:11]
	v_add_co_u32_e64 v22, s[0:1], v42, v76
	v_addc_co_u32_e64 v23, s[0:1], 0, v43, s[0:1]
	global_load_dwordx4 v[22:25], v[22:23], off
	s_and_saveexec_b64 s[10:11], vcc
	s_cbranch_execz .LBB57_50
; %bb.49:                               ;   in Loop: Header=BB57_43 Depth=1
	v_cmp_gt_i32_e64 s[0:1], s25, v85
	s_waitcnt vmcnt(0)
	v_cndmask_b32_e64 v22, 0, v22, s[0:1]
	v_cmp_gt_i32_e64 s[0:1], s25, v87
	v_cndmask_b32_e64 v23, 0, v23, s[0:1]
	v_cmp_gt_i32_e64 s[0:1], s25, v86
	v_cndmask_b32_e64 v24, 0, v24, s[0:1]
	v_cmp_gt_i32_e64 s[0:1], s25, v74
	v_cndmask_b32_e64 v25, 0, v25, s[0:1]
.LBB57_50:                              ;   in Loop: Header=BB57_43 Depth=1
	s_or_b64 exec, exec, s[10:11]
	v_add_co_u32_e64 v26, s[0:1], v42, v77
	v_addc_co_u32_e64 v27, s[0:1], 0, v43, s[0:1]
	global_load_dwordx4 v[26:29], v[26:27], off
	s_and_saveexec_b64 s[10:11], vcc
	s_cbranch_execz .LBB57_52
; %bb.51:                               ;   in Loop: Header=BB57_43 Depth=1
	v_cmp_gt_i32_e64 s[0:1], s25, v85
	s_waitcnt vmcnt(0)
	v_cndmask_b32_e64 v26, 0, v26, s[0:1]
	v_cmp_gt_i32_e64 s[0:1], s25, v87
	v_cndmask_b32_e64 v27, 0, v27, s[0:1]
	v_cmp_gt_i32_e64 s[0:1], s25, v86
	v_cndmask_b32_e64 v28, 0, v28, s[0:1]
	v_cmp_gt_i32_e64 s[0:1], s25, v74
	v_cndmask_b32_e64 v29, 0, v29, s[0:1]
.LBB57_52:                              ;   in Loop: Header=BB57_43 Depth=1
	;; [unrolled: 17-line block ×7, first 2 shown]
	s_or_b64 exec, exec, s[10:11]
	v_add_co_u32_e64 v42, s[0:1], v42, v83
	v_addc_co_u32_e64 v43, s[0:1], 0, v43, s[0:1]
	global_load_dwordx4 v[42:45], v[42:43], off
	s_and_saveexec_b64 s[0:1], vcc
	s_cbranch_execz .LBB57_42
; %bb.63:                               ;   in Loop: Header=BB57_43 Depth=1
	v_cmp_gt_i32_e32 vcc, s25, v85
	s_waitcnt vmcnt(0)
	v_cndmask_b32_e32 v42, 0, v42, vcc
	v_cmp_gt_i32_e32 vcc, s25, v87
	v_cndmask_b32_e32 v43, 0, v43, vcc
	v_cmp_gt_i32_e32 vcc, s25, v86
	;; [unrolled: 2-line block ×3, first 2 shown]
	v_cndmask_b32_e32 v45, 0, v45, vcc
	s_branch .LBB57_42
.LBB57_64:                              ;   in Loop: Header=BB57_43 Depth=1
	v_cmp_gt_i32_e64 s[0:1], s25, v85
	s_waitcnt vmcnt(0)
	v_cndmask_b32_e64 v6, 0, v6, s[0:1]
	v_cmp_gt_i32_e64 s[0:1], s25, v87
	v_cndmask_b32_e64 v7, 0, v7, s[0:1]
	v_cmp_gt_i32_e64 s[0:1], s25, v86
	;; [unrolled: 2-line block ×3, first 2 shown]
	v_cndmask_b32_e64 v9, 0, v9, s[0:1]
	s_or_b64 exec, exec, s[10:11]
	global_load_dwordx4 v[10:13], v[18:19], off offset:1024
	s_and_saveexec_b64 s[10:11], vcc
	s_cbranch_execz .LBB57_45
.LBB57_65:                              ;   in Loop: Header=BB57_43 Depth=1
	v_cmp_gt_i32_e64 s[0:1], s25, v85
	s_waitcnt vmcnt(0)
	v_cndmask_b32_e64 v10, 0, v10, s[0:1]
	v_cmp_gt_i32_e64 s[0:1], s25, v87
	v_cndmask_b32_e64 v11, 0, v11, s[0:1]
	v_cmp_gt_i32_e64 s[0:1], s25, v86
	;; [unrolled: 2-line block ×3, first 2 shown]
	v_cndmask_b32_e64 v13, 0, v13, s[0:1]
	s_or_b64 exec, exec, s[10:11]
	global_load_dwordx4 v[14:17], v[18:19], off offset:2048
	s_and_saveexec_b64 s[10:11], vcc
	s_cbranch_execz .LBB57_46
.LBB57_66:                              ;   in Loop: Header=BB57_43 Depth=1
	v_cmp_gt_i32_e64 s[0:1], s25, v85
	s_waitcnt vmcnt(0)
	v_cndmask_b32_e64 v14, 0, v14, s[0:1]
	v_cmp_gt_i32_e64 s[0:1], s25, v87
	v_cndmask_b32_e64 v15, 0, v15, s[0:1]
	v_cmp_gt_i32_e64 s[0:1], s25, v86
	v_cndmask_b32_e64 v16, 0, v16, s[0:1]
	v_cmp_gt_i32_e64 s[0:1], s25, v74
	v_cndmask_b32_e64 v17, 0, v17, s[0:1]
	s_or_b64 exec, exec, s[10:11]
	global_load_dwordx4 v[18:21], v[18:19], off offset:3072
	s_and_saveexec_b64 s[10:11], vcc
	s_cbranch_execnz .LBB57_47
	s_branch .LBB57_48
.LBB57_67:
	s_or_b64 exec, exec, s[6:7]
.LBB57_68:
	s_or_b64 exec, exec, s[4:5]
	ds_bpermute_b32 v2, v70, v66
	ds_bpermute_b32 v3, v70, v67
	;; [unrolled: 1-line block ×6, first 2 shown]
	s_waitcnt lgkmcnt(4)
	v_pk_add_f32 v[2:3], v[66:67], v[2:3]
	ds_bpermute_b32 v6, v71, v2
	ds_bpermute_b32 v7, v71, v3
	s_waitcnt lgkmcnt(4)
	v_pk_add_f32 v[10:11], v[62:63], v[10:11]
	ds_bpermute_b32 v12, v71, v10
	ds_bpermute_b32 v13, v71, v11
	;; [unrolled: 1-line block ×3, first 2 shown]
	s_waitcnt lgkmcnt(3)
	v_pk_add_f32 v[2:3], v[2:3], v[6:7]
	ds_bpermute_b32 v6, v72, v2
	ds_bpermute_b32 v7, v72, v3
	;; [unrolled: 1-line block ×3, first 2 shown]
	v_pk_add_f32 v[4:5], v[64:65], v[4:5]
	ds_bpermute_b32 v8, v71, v4
	ds_bpermute_b32 v9, v71, v5
	s_waitcnt lgkmcnt(3)
	v_pk_add_f32 v[2:3], v[2:3], v[6:7]
	ds_bpermute_b32 v6, v70, v60
	ds_bpermute_b32 v7, v70, v61
	v_pk_add_f32 v[12:13], v[10:11], v[12:13]
	s_waitcnt lgkmcnt(4)
	v_pk_add_f32 v[10:11], v[58:59], v[16:17]
	ds_bpermute_b32 v20, v70, v56
	ds_bpermute_b32 v21, v70, v57
	s_waitcnt lgkmcnt(2)
	v_pk_add_f32 v[6:7], v[60:61], v[6:7]
	ds_bpermute_b32 v14, v71, v6
	ds_bpermute_b32 v15, v71, v7
	v_pk_add_f32 v[4:5], v[4:5], v[8:9]
	s_waitcnt lgkmcnt(2)
	v_pk_add_f32 v[20:21], v[56:57], v[20:21]
	ds_bpermute_b32 v8, v72, v4
	ds_bpermute_b32 v9, v72, v5
	s_waitcnt lgkmcnt(2)
	v_pk_add_f32 v[6:7], v[6:7], v[14:15]
	ds_bpermute_b32 v14, v71, v10
	ds_bpermute_b32 v15, v71, v11
	ds_bpermute_b32 v18, v72, v12
	ds_bpermute_b32 v19, v72, v13
	ds_bpermute_b32 v24, v71, v20
	ds_bpermute_b32 v25, v71, v21
	s_waitcnt lgkmcnt(4)
	v_pk_add_f32 v[14:15], v[10:11], v[14:15]
	ds_bpermute_b32 v22, v72, v14
	ds_bpermute_b32 v23, v72, v15
	;; [unrolled: 1-line block ×4, first 2 shown]
	v_pk_add_f32 v[10:11], v[4:5], v[8:9]
	s_waitcnt lgkmcnt(6)
	v_pk_add_f32 v[8:9], v[12:13], v[18:19]
	s_waitcnt lgkmcnt(4)
	;; [unrolled: 2-line block ×3, first 2 shown]
	v_pk_add_f32 v[4:5], v[14:15], v[22:23]
	ds_bpermute_b32 v14, v72, v12
	ds_bpermute_b32 v15, v72, v13
	s_waitcnt lgkmcnt(2)
	v_pk_add_f32 v[6:7], v[6:7], v[16:17]
	v_and_b32_e32 v16, 0x3c7, v0
	v_cmp_ne_u32_e32 vcc, 64, v16
	s_waitcnt lgkmcnt(0)
	s_barrier
	s_and_saveexec_b64 s[0:1], vcc
	s_xor_b64 s[0:1], exec, s[0:1]
; %bb.69:
                                        ; implicit-def: $vgpr1
; %bb.70:
	s_or_saveexec_b64 s[0:1], s[0:1]
	v_pk_add_f32 v[12:13], v[12:13], v[14:15]
	s_xor_b64 exec, exec, s[0:1]
	s_cbranch_execz .LBB57_72
; %bb.71:
	v_lshrrev_b32_e32 v1, 1, v1
	v_add_u32_e32 v1, 0x190, v1
	ds_write2_b32 v1, v2, v3 offset1:8
	ds_write2_b32 v1, v10, v11 offset0:16 offset1:24
	ds_write2_b32 v1, v8, v9 offset0:32 offset1:40
	;; [unrolled: 1-line block ×5, first 2 shown]
.LBB57_72:
	s_or_b64 exec, exec, s[0:1]
	v_cmp_gt_u32_e32 vcc, 64, v0
	s_waitcnt lgkmcnt(0)
	s_barrier
	s_and_saveexec_b64 s[0:1], vcc
	s_cbranch_execz .LBB57_87
; %bb.73:
	v_cmp_eq_u32_e32 vcc, 0, v73
	v_lshrrev_b32_e32 v1, 3, v0
	s_and_saveexec_b64 s[4:5], vcc
	s_cbranch_execnz .LBB57_90
; %bb.74:
	s_or_b64 exec, exec, s[4:5]
	s_and_saveexec_b64 s[4:5], vcc
	s_cbranch_execnz .LBB57_91
.LBB57_75:
	s_or_b64 exec, exec, s[4:5]
	s_and_saveexec_b64 s[4:5], vcc
	s_cbranch_execnz .LBB57_92
.LBB57_76:
	s_or_b64 exec, exec, s[4:5]
	s_and_saveexec_b64 s[4:5], vcc
	s_cbranch_execnz .LBB57_93
.LBB57_77:
	s_or_b64 exec, exec, s[4:5]
	s_and_saveexec_b64 s[4:5], vcc
	s_cbranch_execnz .LBB57_94
.LBB57_78:
	s_or_b64 exec, exec, s[4:5]
	s_and_saveexec_b64 s[4:5], vcc
	s_cbranch_execnz .LBB57_95
.LBB57_79:
	s_or_b64 exec, exec, s[4:5]
	s_and_saveexec_b64 s[4:5], vcc
	s_cbranch_execnz .LBB57_96
.LBB57_80:
	s_or_b64 exec, exec, s[4:5]
	s_and_saveexec_b64 s[4:5], vcc
	s_cbranch_execnz .LBB57_97
.LBB57_81:
	s_or_b64 exec, exec, s[4:5]
	s_and_saveexec_b64 s[4:5], vcc
	s_cbranch_execnz .LBB57_98
.LBB57_82:
	s_or_b64 exec, exec, s[4:5]
	s_and_saveexec_b64 s[4:5], vcc
	s_cbranch_execnz .LBB57_99
.LBB57_83:
	s_or_b64 exec, exec, s[4:5]
	s_and_saveexec_b64 s[4:5], vcc
	s_cbranch_execnz .LBB57_100
.LBB57_84:
	s_or_b64 exec, exec, s[4:5]
	s_and_saveexec_b64 s[4:5], vcc
	s_cbranch_execz .LBB57_86
.LBB57_85:
	v_mov_b32_e32 v14, 0x190
	v_lshl_add_u32 v1, v1, 2, v14
	ds_read_b32 v1, v1 offset:352
	s_waitcnt lgkmcnt(0)
	v_add_f32_e32 v13, v13, v1
.LBB57_86:
	s_or_b64 exec, exec, s[4:5]
.LBB57_87:
	s_or_b64 exec, exec, s[0:1]
	v_cmp_eq_u32_e32 vcc, 0, v16
	s_barrier
	s_and_saveexec_b64 s[0:1], vcc
	s_cbranch_execz .LBB57_89
; %bb.88:
	s_mul_i32 s0, s2, 0x60
	s_ashr_i32 s1, s0, 31
	s_lshl_b64 s[0:1], s[0:1], 2
	s_add_u32 s2, s22, s0
	s_mul_i32 s0, s12, s20
	s_addc_u32 s3, s23, s1
	s_ashr_i32 s1, s0, 31
	s_lshl_b64 s[0:1], s[0:1], 2
	s_add_u32 s2, s2, s0
	s_mul_i32 s0, s8, 0x60
	s_addc_u32 s3, s3, s1
	s_ashr_i32 s1, s0, 31
	s_lshl_b64 s[0:1], s[0:1], 2
	s_add_u32 s0, s2, s0
	s_addc_u32 s1, s3, s1
	v_lshrrev_b32_e32 v0, 1, v0
	global_store_dword v0, v2, s[0:1]
	global_store_dword v0, v3, s[0:1] offset:32
	global_store_dword v0, v10, s[0:1] offset:64
	global_store_dword v0, v11, s[0:1] offset:96
	global_store_dword v0, v8, s[0:1] offset:128
	global_store_dword v0, v9, s[0:1] offset:160
	global_store_dword v0, v6, s[0:1] offset:192
	global_store_dword v0, v7, s[0:1] offset:224
	global_store_dword v0, v4, s[0:1] offset:256
	global_store_dword v0, v5, s[0:1] offset:288
	global_store_dword v0, v12, s[0:1] offset:320
	global_store_dword v0, v13, s[0:1] offset:352
.LBB57_89:
	s_endpgm
.LBB57_90:
	v_mov_b32_e32 v14, 0x190
	v_lshl_add_u32 v14, v1, 2, v14
	ds_read_b32 v14, v14
	s_waitcnt lgkmcnt(0)
	v_add_f32_e32 v2, v2, v14
	s_or_b64 exec, exec, s[4:5]
	s_and_saveexec_b64 s[4:5], vcc
	s_cbranch_execz .LBB57_75
.LBB57_91:
	v_mov_b32_e32 v14, 0x190
	v_lshl_add_u32 v14, v1, 2, v14
	ds_read_b32 v14, v14 offset:32
	s_waitcnt lgkmcnt(0)
	v_add_f32_e32 v3, v3, v14
	s_or_b64 exec, exec, s[4:5]
	s_and_saveexec_b64 s[4:5], vcc
	s_cbranch_execz .LBB57_76
.LBB57_92:
	v_mov_b32_e32 v14, 0x190
	v_lshl_add_u32 v14, v1, 2, v14
	ds_read_b32 v14, v14 offset:64
	s_waitcnt lgkmcnt(0)
	v_add_f32_e32 v10, v10, v14
	s_or_b64 exec, exec, s[4:5]
	s_and_saveexec_b64 s[4:5], vcc
	s_cbranch_execz .LBB57_77
.LBB57_93:
	v_mov_b32_e32 v14, 0x190
	v_lshl_add_u32 v14, v1, 2, v14
	ds_read_b32 v14, v14 offset:96
	s_waitcnt lgkmcnt(0)
	v_add_f32_e32 v11, v11, v14
	s_or_b64 exec, exec, s[4:5]
	s_and_saveexec_b64 s[4:5], vcc
	s_cbranch_execz .LBB57_78
.LBB57_94:
	v_mov_b32_e32 v14, 0x190
	v_lshl_add_u32 v14, v1, 2, v14
	ds_read_b32 v14, v14 offset:128
	s_waitcnt lgkmcnt(0)
	v_add_f32_e32 v8, v8, v14
	s_or_b64 exec, exec, s[4:5]
	s_and_saveexec_b64 s[4:5], vcc
	s_cbranch_execz .LBB57_79
.LBB57_95:
	v_mov_b32_e32 v14, 0x190
	v_lshl_add_u32 v14, v1, 2, v14
	ds_read_b32 v14, v14 offset:160
	s_waitcnt lgkmcnt(0)
	v_add_f32_e32 v9, v9, v14
	s_or_b64 exec, exec, s[4:5]
	s_and_saveexec_b64 s[4:5], vcc
	s_cbranch_execz .LBB57_80
.LBB57_96:
	v_mov_b32_e32 v14, 0x190
	v_lshl_add_u32 v14, v1, 2, v14
	ds_read_b32 v14, v14 offset:192
	s_waitcnt lgkmcnt(0)
	v_add_f32_e32 v6, v6, v14
	s_or_b64 exec, exec, s[4:5]
	s_and_saveexec_b64 s[4:5], vcc
	s_cbranch_execz .LBB57_81
.LBB57_97:
	v_mov_b32_e32 v14, 0x190
	v_lshl_add_u32 v14, v1, 2, v14
	ds_read_b32 v14, v14 offset:224
	s_waitcnt lgkmcnt(0)
	v_add_f32_e32 v7, v7, v14
	s_or_b64 exec, exec, s[4:5]
	s_and_saveexec_b64 s[4:5], vcc
	s_cbranch_execz .LBB57_82
.LBB57_98:
	v_mov_b32_e32 v14, 0x190
	v_lshl_add_u32 v14, v1, 2, v14
	ds_read_b32 v14, v14 offset:256
	s_waitcnt lgkmcnt(0)
	v_add_f32_e32 v4, v4, v14
	s_or_b64 exec, exec, s[4:5]
	s_and_saveexec_b64 s[4:5], vcc
	s_cbranch_execz .LBB57_83
.LBB57_99:
	v_mov_b32_e32 v14, 0x190
	v_lshl_add_u32 v14, v1, 2, v14
	ds_read_b32 v14, v14 offset:288
	s_waitcnt lgkmcnt(0)
	v_add_f32_e32 v5, v5, v14
	s_or_b64 exec, exec, s[4:5]
	s_and_saveexec_b64 s[4:5], vcc
	s_cbranch_execz .LBB57_84
.LBB57_100:
	v_mov_b32_e32 v14, 0x190
	v_lshl_add_u32 v14, v1, 2, v14
	ds_read_b32 v14, v14 offset:320
	s_waitcnt lgkmcnt(0)
	v_add_f32_e32 v12, v12, v14
	s_or_b64 exec, exec, s[4:5]
	s_and_saveexec_b64 s[4:5], vcc
	s_cbranch_execnz .LBB57_85
	s_branch .LBB57_86
	.section	.rodata,"a",@progbits
	.p2align	6, 0x0
	.amdhsa_kernel _ZN4vllm25paged_attention_v2_kernelIffLi96ELi32ELi128ELNS_18Fp8KVCacheDataTypeE0ELb0ELi512EEEvPfS2_PT_PKS3_PKT0_S9_ifPKiSB_iPKfiiiSD_SD_iiiii
		.amdhsa_group_segment_fixed_size 400
		.amdhsa_private_segment_fixed_size 0
		.amdhsa_kernarg_size 400
		.amdhsa_user_sgpr_count 6
		.amdhsa_user_sgpr_private_segment_buffer 1
		.amdhsa_user_sgpr_dispatch_ptr 0
		.amdhsa_user_sgpr_queue_ptr 0
		.amdhsa_user_sgpr_kernarg_segment_ptr 1
		.amdhsa_user_sgpr_dispatch_id 0
		.amdhsa_user_sgpr_flat_scratch_init 0
		.amdhsa_user_sgpr_kernarg_preload_length 0
		.amdhsa_user_sgpr_kernarg_preload_offset 0
		.amdhsa_user_sgpr_private_segment_size 0
		.amdhsa_uses_dynamic_stack 0
		.amdhsa_system_sgpr_private_segment_wavefront_offset 0
		.amdhsa_system_sgpr_workgroup_id_x 1
		.amdhsa_system_sgpr_workgroup_id_y 1
		.amdhsa_system_sgpr_workgroup_id_z 1
		.amdhsa_system_sgpr_workgroup_info 0
		.amdhsa_system_vgpr_workitem_id 0
		.amdhsa_next_free_vgpr 102
		.amdhsa_next_free_sgpr 44
		.amdhsa_accum_offset 104
		.amdhsa_reserve_vcc 1
		.amdhsa_reserve_flat_scratch 0
		.amdhsa_float_round_mode_32 0
		.amdhsa_float_round_mode_16_64 0
		.amdhsa_float_denorm_mode_32 3
		.amdhsa_float_denorm_mode_16_64 3
		.amdhsa_dx10_clamp 1
		.amdhsa_ieee_mode 1
		.amdhsa_fp16_overflow 0
		.amdhsa_tg_split 0
		.amdhsa_exception_fp_ieee_invalid_op 0
		.amdhsa_exception_fp_denorm_src 0
		.amdhsa_exception_fp_ieee_div_zero 0
		.amdhsa_exception_fp_ieee_overflow 0
		.amdhsa_exception_fp_ieee_underflow 0
		.amdhsa_exception_fp_ieee_inexact 0
		.amdhsa_exception_int_div_zero 0
	.end_amdhsa_kernel
	.section	.text._ZN4vllm25paged_attention_v2_kernelIffLi96ELi32ELi128ELNS_18Fp8KVCacheDataTypeE0ELb0ELi512EEEvPfS2_PT_PKS3_PKT0_S9_ifPKiSB_iPKfiiiSD_SD_iiiii,"axG",@progbits,_ZN4vllm25paged_attention_v2_kernelIffLi96ELi32ELi128ELNS_18Fp8KVCacheDataTypeE0ELb0ELi512EEEvPfS2_PT_PKS3_PKT0_S9_ifPKiSB_iPKfiiiSD_SD_iiiii,comdat
.Lfunc_end57:
	.size	_ZN4vllm25paged_attention_v2_kernelIffLi96ELi32ELi128ELNS_18Fp8KVCacheDataTypeE0ELb0ELi512EEEvPfS2_PT_PKS3_PKT0_S9_ifPKiSB_iPKfiiiSD_SD_iiiii, .Lfunc_end57-_ZN4vllm25paged_attention_v2_kernelIffLi96ELi32ELi128ELNS_18Fp8KVCacheDataTypeE0ELb0ELi512EEEvPfS2_PT_PKS3_PKT0_S9_ifPKiSB_iPKfiiiSD_SD_iiiii
                                        ; -- End function
	.section	.AMDGPU.csdata,"",@progbits
; Kernel info:
; codeLenInByte = 6548
; NumSgprs: 48
; NumVgprs: 102
; NumAgprs: 0
; TotalNumVgprs: 102
; ScratchSize: 0
; MemoryBound: 0
; FloatMode: 240
; IeeeMode: 1
; LDSByteSize: 400 bytes/workgroup (compile time only)
; SGPRBlocks: 5
; VGPRBlocks: 12
; NumSGPRsForWavesPerEU: 48
; NumVGPRsForWavesPerEU: 102
; AccumOffset: 104
; Occupancy: 4
; WaveLimiterHint : 1
; COMPUTE_PGM_RSRC2:SCRATCH_EN: 0
; COMPUTE_PGM_RSRC2:USER_SGPR: 6
; COMPUTE_PGM_RSRC2:TRAP_HANDLER: 0
; COMPUTE_PGM_RSRC2:TGID_X_EN: 1
; COMPUTE_PGM_RSRC2:TGID_Y_EN: 1
; COMPUTE_PGM_RSRC2:TGID_Z_EN: 1
; COMPUTE_PGM_RSRC2:TIDIG_COMP_CNT: 0
; COMPUTE_PGM_RSRC3_GFX90A:ACCUM_OFFSET: 25
; COMPUTE_PGM_RSRC3_GFX90A:TG_SPLIT: 0
	.section	.text._ZN4vllm25paged_attention_v2_kernelIffLi112ELi32ELi128ELNS_18Fp8KVCacheDataTypeE0ELb0ELi512EEEvPfS2_PT_PKS3_PKT0_S9_ifPKiSB_iPKfiiiSD_SD_iiiii,"axG",@progbits,_ZN4vllm25paged_attention_v2_kernelIffLi112ELi32ELi128ELNS_18Fp8KVCacheDataTypeE0ELb0ELi512EEEvPfS2_PT_PKS3_PKT0_S9_ifPKiSB_iPKfiiiSD_SD_iiiii,comdat
	.protected	_ZN4vllm25paged_attention_v2_kernelIffLi112ELi32ELi128ELNS_18Fp8KVCacheDataTypeE0ELb0ELi512EEEvPfS2_PT_PKS3_PKT0_S9_ifPKiSB_iPKfiiiSD_SD_iiiii ; -- Begin function _ZN4vllm25paged_attention_v2_kernelIffLi112ELi32ELi128ELNS_18Fp8KVCacheDataTypeE0ELb0ELi512EEEvPfS2_PT_PKS3_PKT0_S9_ifPKiSB_iPKfiiiSD_SD_iiiii
	.globl	_ZN4vllm25paged_attention_v2_kernelIffLi112ELi32ELi128ELNS_18Fp8KVCacheDataTypeE0ELb0ELi512EEEvPfS2_PT_PKS3_PKT0_S9_ifPKiSB_iPKfiiiSD_SD_iiiii
	.p2align	8
	.type	_ZN4vllm25paged_attention_v2_kernelIffLi112ELi32ELi128ELNS_18Fp8KVCacheDataTypeE0ELb0ELi512EEEvPfS2_PT_PKS3_PKT0_S9_ifPKiSB_iPKfiiiSD_SD_iiiii,@function
_ZN4vllm25paged_attention_v2_kernelIffLi112ELi32ELi128ELNS_18Fp8KVCacheDataTypeE0ELb0ELi512EEEvPfS2_PT_PKS3_PKT0_S9_ifPKiSB_iPKfiiiSD_SD_iiiii: ; @_ZN4vllm25paged_attention_v2_kernelIffLi112ELi32ELi128ELNS_18Fp8KVCacheDataTypeE0ELb0ELi512EEEvPfS2_PT_PKS3_PKT0_S9_ifPKiSB_iPKfiiiSD_SD_iiiii
; %bb.0:
	s_load_dwordx2 s[0:1], s[4:5], 0x40
	s_mov_b32 s24, s7
	s_ashr_i32 s25, s7, 31
	s_lshl_b64 s[2:3], s[24:25], 2
	s_waitcnt lgkmcnt(0)
	s_add_u32 s0, s0, s2
	s_addc_u32 s1, s1, s3
	s_load_dword s25, s[0:1], 0x0
	s_lshl_b32 s33, s8, 9
	s_waitcnt lgkmcnt(0)
	s_cmp_ge_i32 s33, s25
	s_cbranch_scc1 .LBB58_95
; %bb.1:
	s_load_dword s9, s[4:5], 0x90
	s_load_dwordx2 s[10:11], s[4:5], 0x30
	s_mov_b32 s40, 0
	s_waitcnt lgkmcnt(0)
	s_abs_i32 s2, s9
	s_abs_i32 s0, s10
	v_cvt_f32_u32_e32 v1, s0
	s_sub_i32 s3, 0, s0
	s_xor_b32 s1, s9, s10
	s_ashr_i32 s1, s1, 31
	v_rcp_iflag_f32_e32 v1, v1
	v_mul_f32_e32 v1, 0x4f7ffffe, v1
	v_cvt_u32_f32_e32 v1, v1
	v_readfirstlane_b32 s7, v1
	s_mul_i32 s3, s3, s7
	s_mul_hi_u32 s3, s7, s3
	s_add_i32 s7, s7, s3
	s_mul_hi_u32 s3, s2, s7
	s_mul_i32 s7, s3, s0
	s_sub_i32 s2, s2, s7
	s_add_i32 s10, s3, 1
	s_sub_i32 s7, s2, s0
	s_cmp_ge_u32 s2, s0
	s_cselect_b32 s3, s10, s3
	s_cselect_b32 s2, s7, s2
	s_add_i32 s7, s3, 1
	s_cmp_ge_u32 s2, s0
	s_cselect_b32 s0, s7, s3
	s_xor_b32 s0, s0, s1
	s_sub_i32 s10, s0, s1
	s_abs_i32 s2, s10
	v_cvt_f32_u32_e32 v1, s2
	s_load_dwordx2 s[0:1], s[4:5], 0x50
	s_sub_i32 s7, 0, s2
	s_abs_i32 s3, s6
	v_rcp_iflag_f32_e32 v1, v1
	v_mul_f32_e32 v1, 0x4f7ffffe, v1
	v_cvt_u32_f32_e32 v1, v1
	v_readfirstlane_b32 s12, v1
	s_mul_i32 s7, s7, s12
	s_mul_hi_u32 s7, s12, s7
	s_add_i32 s12, s12, s7
	s_waitcnt lgkmcnt(0)
	s_cmp_eq_u64 s[0:1], 0
	s_mul_hi_u32 s16, s3, s12
	s_cbranch_scc1 .LBB58_3
; %bb.2:
	s_ashr_i32 s7, s6, 31
	s_lshl_b64 s[12:13], s[6:7], 2
	s_add_u32 s0, s0, s12
	s_addc_u32 s1, s1, s13
	s_load_dword s40, s[0:1], 0x0
.LBB58_3:
	s_load_dwordx4 s[12:15], s[4:5], 0x58
	s_ashr_i32 s17, s6, 31
	s_ashr_i32 s18, s10, 31
	v_and_b32_e32 v42, 1, v0
	s_mul_i32 s20, s6, 0x70
	v_cmp_gt_u32_e32 vcc, 56, v0
	v_lshlrev_b32_e32 v1, 3, v0
	v_lshlrev_b32_e32 v78, 2, v0
	s_and_saveexec_b64 s[0:1], vcc
	s_cbranch_execz .LBB58_5
; %bb.4:
	s_load_dwordx2 s[22:23], s[4:5], 0x18
	s_waitcnt lgkmcnt(0)
	s_mul_i32 s26, s24, s12
	s_ashr_i32 s27, s26, 31
	s_lshl_b64 s[26:27], s[26:27], 2
	v_and_b32_e32 v4, 0xff8, v78
	s_add_u32 s7, s22, s26
	s_addc_u32 s10, s23, s27
	s_ashr_i32 s21, s20, 31
	s_lshl_b64 s[22:23], s[20:21], 2
	s_add_u32 s22, s7, s22
	s_addc_u32 s23, s10, s23
	global_load_dwordx2 v[2:3], v1, s[22:23]
	s_movk_i32 s7, 0xe0
	v_mad_u32_u24 v4, v42, s7, v4
	s_waitcnt vmcnt(0)
	ds_write_b64 v4, v[2:3]
.LBB58_5:
	s_or_b64 exec, exec, s[0:1]
	s_add_i32 s0, s25, 31
	s_ashr_i32 s1, s0, 31
	s_lshr_b32 s1, s1, 27
	s_add_i32 s0, s0, s1
	s_lshl_b32 s10, s8, 4
	s_mul_i32 s1, s16, s2
	s_ashr_i32 s7, s0, 5
	s_add_i32 s0, s10, 16
	s_sub_i32 s1, s3, s1
	s_min_i32 s21, s0, s7
	s_xor_b32 s0, s17, s18
	s_add_i32 s3, s16, 1
	s_waitcnt lgkmcnt(0)
	s_sub_i32 s12, s1, s2
	s_cmp_ge_u32 s1, s2
	s_cselect_b32 s3, s3, s16
	s_cselect_b32 s1, s12, s1
	s_add_i32 s12, s3, 1
	s_cmp_ge_u32 s1, s2
	s_load_dwordx2 s[26:27], s[4:5], 0x38
	s_load_dword s2, s[4:5], 0x48
	v_lshrrev_b32_e32 v79, 6, v0
	s_cselect_b32 s1, s12, s3
	s_xor_b32 s1, s1, s0
	v_or_b32_e32 v62, s10, v79
	s_waitcnt lgkmcnt(0)
	s_mul_i32 s28, s24, s2
	s_sub_i32 s15, s1, s0
	s_ashr_i32 s29, s28, 31
	v_cmp_gt_i32_e64 s[0:1], s21, v62
	v_cmp_le_i32_e32 vcc, s21, v62
	v_mbcnt_lo_u32_b32 v43, -1, 0
	s_barrier
	s_waitcnt lgkmcnt(0)
                                        ; implicit-def: $sgpr36
                                        ; implicit-def: $vgpr70
                                        ; implicit-def: $vgpr71
	s_and_saveexec_b64 s[2:3], vcc
	s_xor_b64 s[2:3], exec, s[2:3]
; %bb.6:
	v_mbcnt_hi_u32_b32 v70, -1, v43
	v_and_b32_e32 v1, 64, v70
	v_add_u32_e32 v71, 64, v1
	s_mov_b32 s36, 0xff7fffff
                                        ; implicit-def: $vgpr1
                                        ; implicit-def: $vgpr42
                                        ; implicit-def: $vgpr43
; %bb.7:
	s_or_saveexec_b64 s[34:35], s[2:3]
	s_load_dwordx4 s[16:19], s[4:5], 0x0
	s_load_dwordx2 s[22:23], s[4:5], 0x10
	s_load_dwordx2 s[30:31], s[4:5], 0x28
	s_load_dword s12, s[4:5], 0x98
	v_mov_b32_e32 v73, s36
	s_mul_i32 s14, s15, s14
	v_ashrrev_i32_e32 v63, 31, v62
	s_xor_b64 exec, exec, s[34:35]
	s_cbranch_execz .LBB58_13
; %bb.8:
	s_load_dwordx2 s[2:3], s[4:5], 0x20
	s_ashr_i32 s15, s14, 31
	s_lshl_b64 s[4:5], s[14:15], 2
	v_bfe_u32 v44, v0, 1, 5
	v_lshlrev_b32_e32 v2, 4, v44
	s_waitcnt lgkmcnt(0)
	s_add_u32 s2, s2, s4
	s_addc_u32 s3, s3, s5
	v_mov_b32_e32 v3, s3
	v_add_co_u32_e32 v2, vcc, s2, v2
	v_addc_co_u32_e32 v3, vcc, 0, v3, vcc
	v_and_b32_e32 v1, 8, v1
	v_mbcnt_hi_u32_b32 v70, -1, v43
	v_add_co_u32_e32 v1, vcc, v2, v1
	v_mul_u32_u24_e32 v54, 0xe0, v42
	v_and_b32_e32 v46, 64, v70
	v_addc_co_u32_e32 v72, vcc, 0, v3, vcc
	ds_read_b128 v[2:5], v54
	ds_read_b128 v[6:9], v54 offset:16
	ds_read_b128 v[10:13], v54 offset:32
	;; [unrolled: 1-line block ×9, first 2 shown]
	v_xor_b32_e32 v43, 1, v70
	v_add_u32_e32 v71, 64, v46
	v_cmp_lt_i32_e32 vcc, v43, v71
	v_lshlrev_b32_e32 v45, 2, v44
	v_cndmask_b32_e32 v43, v70, v43, vcc
	v_cmp_eq_u32_e32 vcc, 0, v42
	s_sub_i32 s15, 1, s25
	v_lshlrev_b32_e32 v42, 5, v79
	s_lshl_b64 s[4:5], s[28:29], 2
	v_add3_u32 v75, s33, v42, v44
	v_lshl_or_b32 v42, v79, 7, v45
	s_add_u32 s4, s26, s4
	v_lshlrev_b32_e32 v74, 2, v43
	v_add_u32_e32 v76, 0x1d0, v42
	v_lshlrev_b64 v[42:43], 2, v[62:63]
	s_addc_u32 s5, s27, s5
	v_mov_b32_e32 v44, s5
	v_add_co_u32_e64 v58, s[4:5], s4, v42
	v_addc_co_u32_e64 v59, s[4:5], v44, v43, s[4:5]
	ds_read_b128 v[42:45], v54 offset:160
	ds_read_b128 v[46:49], v54 offset:176
	;; [unrolled: 1-line block ×4, first 2 shown]
	s_mov_b32 s41, s13
	v_cmp_neq_f32_e64 s[2:3], s40, 0
	s_mov_b64 s[36:37], 0
	v_mov_b32_e32 v73, 0xff7fffff
	s_movk_i32 s42, 0x1000
	s_movk_i32 s43, 0x2000
	;; [unrolled: 1-line block ×3, first 2 shown]
	v_mov_b32_e32 v77, v62
	s_branch .LBB58_10
.LBB58_9:                               ;   in Loop: Header=BB58_10 Depth=1
	s_or_b64 exec, exec, s[38:39]
	v_add_u32_e32 v77, 2, v77
	v_cmp_le_i32_e64 s[4:5], s21, v77
	s_or_b64 s[36:37], s[4:5], s[36:37]
	v_add_co_u32_e64 v58, s[4:5], 8, v58
	v_add_u32_e32 v75, 64, v75
	v_add_u32_e32 v76, 0x100, v76
	v_addc_co_u32_e64 v59, s[4:5], 0, v59, s[4:5]
	s_andn2_b64 exec, exec, s[36:37]
	s_cbranch_execz .LBB58_12
.LBB58_10:                              ; =>This Inner Loop Header: Depth=1
	global_load_dword v60, v[58:59], off
	s_waitcnt vmcnt(0) lgkmcnt(0)
	v_mad_i64_i32 v[60:61], s[4:5], v60, s41, 0
	v_lshlrev_b64 v[60:61], 2, v[60:61]
	v_add_co_u32_e64 v60, s[4:5], v1, v60
	v_addc_co_u32_e64 v61, s[4:5], v72, v61, s[4:5]
	global_load_dwordx2 v[64:65], v[60:61], off offset:512
	global_load_dwordx2 v[66:67], v[60:61], off
	global_load_dwordx2 v[68:69], v[60:61], off offset:1024
	global_load_dwordx2 v[82:83], v[60:61], off offset:1536
	;; [unrolled: 1-line block ×4, first 2 shown]
	s_waitcnt vmcnt(5) lgkmcnt(13)
	v_mul_f32_e32 v80, v4, v64
	v_mul_f32_e32 v81, v5, v65
	s_waitcnt vmcnt(4)
	v_fmac_f32_e32 v80, v2, v66
	v_fmac_f32_e32 v81, v3, v67
	s_waitcnt vmcnt(3) lgkmcnt(12)
	v_fmac_f32_e32 v80, v6, v68
	v_fmac_f32_e32 v81, v7, v69
	v_add_co_u32_e64 v66, s[4:5], s42, v60
	s_waitcnt vmcnt(2)
	v_fmac_f32_e32 v80, v8, v82
	v_fmac_f32_e32 v81, v9, v83
	global_load_dwordx2 v[82:83], v[60:61], off offset:3072
	global_load_dwordx2 v[88:89], v[60:61], off offset:3584
	v_addc_co_u32_e64 v67, s[4:5], 0, v61, s[4:5]
	v_add_co_u32_e64 v68, s[4:5], s43, v60
	v_addc_co_u32_e64 v69, s[4:5], 0, v61, s[4:5]
	s_waitcnt vmcnt(3) lgkmcnt(11)
	v_fmac_f32_e32 v80, v10, v84
	v_fmac_f32_e32 v81, v11, v85
	global_load_dwordx2 v[84:85], v[68:69], off offset:-4096
	v_add_co_u32_e64 v64, s[4:5], s44, v60
	v_addc_co_u32_e64 v65, s[4:5], 0, v61, s[4:5]
	s_waitcnt vmcnt(3)
	v_fmac_f32_e32 v80, v12, v86
	v_fmac_f32_e32 v81, v13, v87
	global_load_dwordx2 v[60:61], v[64:65], off offset:1536
	s_waitcnt vmcnt(3) lgkmcnt(10)
	v_fmac_f32_e32 v80, v14, v82
	v_fmac_f32_e32 v81, v15, v83
	global_load_dwordx2 v[82:83], v[66:67], off offset:512
	s_waitcnt vmcnt(3)
	v_fmac_f32_e32 v80, v16, v88
	v_fmac_f32_e32 v81, v17, v89
	s_waitcnt vmcnt(2) lgkmcnt(9)
	v_fmac_f32_e32 v80, v18, v84
	v_fmac_f32_e32 v81, v19, v85
	global_load_dwordx2 v[84:85], v[66:67], off offset:1024
	global_load_dwordx2 v[86:87], v[66:67], off offset:1536
	;; [unrolled: 1-line block ×3, first 2 shown]
	s_waitcnt vmcnt(3)
	v_fmac_f32_e32 v80, v20, v82
	v_fmac_f32_e32 v81, v21, v83
	global_load_dwordx2 v[82:83], v[66:67], off offset:2560
	s_waitcnt vmcnt(3) lgkmcnt(8)
	v_fmac_f32_e32 v80, v22, v84
	v_fmac_f32_e32 v81, v23, v85
	s_waitcnt vmcnt(2)
	v_fmac_f32_e32 v80, v24, v86
	v_fmac_f32_e32 v81, v25, v87
	global_load_dwordx2 v[84:85], v[66:67], off offset:3072
	s_nop 0
	global_load_dwordx2 v[66:67], v[66:67], off offset:3584
	s_nop 0
	global_load_dwordx2 v[86:87], v[64:65], off
	s_waitcnt vmcnt(4) lgkmcnt(7)
	v_fmac_f32_e32 v80, v26, v88
	v_fmac_f32_e32 v81, v27, v89
	s_waitcnt vmcnt(3)
	v_fmac_f32_e32 v80, v28, v82
	v_fmac_f32_e32 v81, v29, v83
	global_load_dwordx2 v[82:83], v[68:69], off
	s_waitcnt vmcnt(3) lgkmcnt(6)
	v_fmac_f32_e32 v80, v30, v84
	v_fmac_f32_e32 v81, v31, v85
	s_waitcnt vmcnt(2)
	v_fmac_f32_e32 v80, v32, v66
	v_fmac_f32_e32 v81, v33, v67
	global_load_dwordx2 v[66:67], v[68:69], off offset:512
	global_load_dwordx2 v[84:85], v[68:69], off offset:1024
	;; [unrolled: 1-line block ×3, first 2 shown]
	s_waitcnt vmcnt(3) lgkmcnt(5)
	v_fmac_f32_e32 v80, v34, v82
	v_fmac_f32_e32 v81, v35, v83
	s_waitcnt vmcnt(2)
	v_fmac_f32_e32 v80, v36, v66
	v_fmac_f32_e32 v81, v37, v67
	global_load_dwordx2 v[66:67], v[68:69], off offset:2048
	s_waitcnt vmcnt(2) lgkmcnt(4)
	v_fmac_f32_e32 v80, v38, v84
	v_fmac_f32_e32 v81, v39, v85
	global_load_dwordx2 v[82:83], v[68:69], off offset:2560
	global_load_dwordx2 v[84:85], v[68:69], off offset:3072
	s_nop 0
	global_load_dwordx2 v[68:69], v[68:69], off offset:3584
	s_waitcnt vmcnt(4)
	v_fmac_f32_e32 v80, v40, v88
	v_fmac_f32_e32 v81, v41, v89
	s_waitcnt vmcnt(3) lgkmcnt(3)
	v_fmac_f32_e32 v80, v42, v66
	v_fmac_f32_e32 v81, v43, v67
	global_load_dwordx2 v[66:67], v[64:65], off offset:512
	s_nop 0
	global_load_dwordx2 v[64:65], v[64:65], off offset:1024
	s_waitcnt vmcnt(4)
	v_fmac_f32_e32 v80, v44, v82
	v_fmac_f32_e32 v81, v45, v83
	s_waitcnt vmcnt(3) lgkmcnt(2)
	v_fmac_f32_e32 v80, v46, v84
	v_fmac_f32_e32 v81, v47, v85
	s_waitcnt vmcnt(2)
	v_fmac_f32_e32 v80, v48, v68
	v_fmac_f32_e32 v81, v49, v69
	s_waitcnt lgkmcnt(1)
	v_fmac_f32_e32 v80, v50, v86
	v_fmac_f32_e32 v81, v51, v87
	s_waitcnt vmcnt(1)
	v_fmac_f32_e32 v80, v52, v66
	v_fmac_f32_e32 v81, v53, v67
	s_waitcnt vmcnt(0) lgkmcnt(0)
	v_fmac_f32_e32 v80, v54, v64
	v_fmac_f32_e32 v81, v55, v65
	;; [unrolled: 1-line block ×4, first 2 shown]
	v_add_f32_e32 v60, v80, v81
	ds_bpermute_b32 v61, v74, v60
	s_and_saveexec_b64 s[38:39], vcc
	s_cbranch_execz .LBB58_9
; %bb.11:                               ;   in Loop: Header=BB58_10 Depth=1
	v_add_u32_e32 v64, s15, v75
	v_cvt_f32_i32_e32 v64, v64
	s_waitcnt lgkmcnt(0)
	v_add_f32_e32 v60, v60, v61
	v_cmp_gt_i32_e64 s[4:5], s25, v75
	v_max_f32_e32 v61, v73, v73
	v_mul_f32_e32 v64, s40, v64
	v_cndmask_b32_e64 v64, 0, v64, s[2:3]
	v_fmac_f32_e32 v64, s11, v60
	v_cndmask_b32_e64 v60, 0, v64, s[4:5]
	ds_write_b32 v76, v60
	v_max_f32_e32 v60, v61, v64
	v_cndmask_b32_e64 v73, v73, v60, s[4:5]
	s_branch .LBB58_9
.LBB58_12:
	s_or_b64 exec, exec, s[36:37]
.LBB58_13:
	s_or_b64 exec, exec, s[34:35]
	v_xor_b32_e32 v1, 32, v70
	v_cmp_lt_i32_e32 vcc, v1, v71
	v_cndmask_b32_e32 v1, v70, v1, vcc
	v_lshlrev_b32_e32 v2, 2, v1
	ds_bpermute_b32 v1, v2, v73
	v_xor_b32_e32 v4, 16, v70
	v_max_f32_e32 v3, v73, v73
	v_cmp_lt_i32_e32 vcc, v4, v71
	v_xor_b32_e32 v5, 8, v70
	s_waitcnt lgkmcnt(0)
	v_max_f32_e32 v1, v1, v1
	v_max_f32_e32 v1, v3, v1
	v_cndmask_b32_e32 v3, v70, v4, vcc
	v_lshlrev_b32_e32 v3, 2, v3
	ds_bpermute_b32 v4, v3, v1
	v_cmp_lt_i32_e32 vcc, v5, v71
	v_xor_b32_e32 v6, 4, v70
	s_waitcnt lgkmcnt(0)
	v_max_f32_e32 v4, v4, v4
	v_max_f32_e32 v1, v1, v4
	v_cndmask_b32_e32 v4, v70, v5, vcc
	v_lshlrev_b32_e32 v5, 2, v4
	ds_bpermute_b32 v4, v5, v1
	v_cmp_lt_i32_e32 vcc, v6, v71
	s_waitcnt lgkmcnt(0)
	v_max_f32_e32 v4, v4, v4
	v_max_f32_e32 v1, v1, v4
	v_cndmask_b32_e32 v4, v70, v6, vcc
	v_lshlrev_b32_e32 v81, 2, v4
	ds_bpermute_b32 v4, v81, v1
	v_xor_b32_e32 v6, 2, v70
	v_cmp_lt_i32_e32 vcc, v6, v71
	s_waitcnt lgkmcnt(0)
	v_max_f32_e32 v4, v4, v4
	v_max_f32_e32 v4, v1, v4
	v_cndmask_b32_e32 v1, v70, v6, vcc
	v_lshlrev_b32_e32 v80, 2, v1
	ds_bpermute_b32 v7, v80, v4
	v_and_b32_e32 v1, 63, v0
	v_cmp_eq_u32_e32 vcc, 0, v1
	v_lshlrev_b32_e32 v6, 2, v79
	s_and_saveexec_b64 s[2:3], vcc
	s_cbranch_execz .LBB58_15
; %bb.14:
	s_waitcnt lgkmcnt(0)
	v_max_f32_e32 v7, v7, v7
	v_max_f32_e32 v4, v4, v4
	;; [unrolled: 1-line block ×3, first 2 shown]
	ds_write_b32 v6, v4 offset:448
.LBB58_15:
	s_or_b64 exec, exec, s[2:3]
	v_cmp_gt_u32_e64 s[2:3], 2, v1
	v_mov_b32_e32 v4, 0xff7fffff
	s_waitcnt lgkmcnt(0)
	v_lshlrev_b32_e32 v7, 2, v1
	s_barrier
	s_and_saveexec_b64 s[4:5], s[2:3]
	s_cbranch_execz .LBB58_17
; %bb.16:
	ds_read_b32 v4, v7 offset:448
.LBB58_17:
	s_or_b64 exec, exec, s[4:5]
	v_xor_b32_e32 v8, 1, v70
	v_cmp_lt_i32_e64 s[4:5], v8, v71
	v_cndmask_b32_e64 v8, v70, v8, s[4:5]
	v_lshlrev_b32_e32 v82, 2, v8
	s_waitcnt lgkmcnt(0)
	ds_bpermute_b32 v8, v82, v4
	v_max_f32_e32 v4, v4, v4
	s_sub_i32 s4, s21, s10
	s_lshl_b32 s4, s4, 5
	s_add_i32 s4, s4, s33
	s_waitcnt lgkmcnt(0)
	v_max_f32_e32 v8, v8, v8
	v_max_f32_e32 v4, v4, v8
	v_lshlrev_b32_e32 v8, 2, v70
	v_and_b32_e32 v8, 0xffffff00, v8
	ds_bpermute_b32 v4, v8, v4
	s_min_i32 s38, s4, s25
	s_sub_i32 s15, s38, s33
	v_cmp_gt_i32_e64 s[4:5], s15, v0
	v_mov_b32_e32 v9, 0
	s_and_saveexec_b64 s[34:35], s[4:5]
	s_cbranch_execz .LBB58_21
; %bb.18:
	v_mov_b32_e32 v9, 0x1d0
	v_lshl_add_u32 v10, v0, 2, v9
	s_mov_b64 s[36:37], 0
	v_mov_b32_e32 v9, 0
	v_mov_b32_e32 v11, v0
.LBB58_19:                              ; =>This Inner Loop Header: Depth=1
	ds_read_b32 v12, v10
	v_add_u32_e32 v11, 0x80, v11
	v_cmp_le_i32_e64 s[10:11], s15, v11
	s_or_b64 s[36:37], s[10:11], s[36:37]
	s_waitcnt lgkmcnt(0)
	v_sub_f32_e32 v12, v12, v4
	v_mul_f32_e32 v12, 0x3fb8aa3b, v12
	v_exp_f32_e32 v12, v12
	ds_write_b32 v10, v12
	v_add_f32_e32 v9, v9, v12
	v_add_u32_e32 v10, 0x200, v10
	s_andn2_b64 exec, exec, s[36:37]
	s_cbranch_execnz .LBB58_19
; %bb.20:
	s_or_b64 exec, exec, s[36:37]
.LBB58_21:
	s_or_b64 exec, exec, s[34:35]
	ds_bpermute_b32 v2, v2, v9
	s_waitcnt lgkmcnt(0)
	v_add_f32_e32 v2, v9, v2
	ds_bpermute_b32 v3, v3, v2
	s_waitcnt lgkmcnt(0)
	v_add_f32_e32 v2, v2, v3
	;; [unrolled: 3-line block ×6, first 2 shown]
	s_and_saveexec_b64 s[10:11], vcc
	s_cbranch_execz .LBB58_23
; %bb.22:
	ds_write_b32 v6, v2 offset:456
.LBB58_23:
	s_or_b64 exec, exec, s[10:11]
	s_waitcnt lgkmcnt(0)
	s_barrier
	s_and_saveexec_b64 s[10:11], s[2:3]
	s_cbranch_execz .LBB58_25
; %bb.24:
	ds_read_b32 v2, v7 offset:456
.LBB58_25:
	s_or_b64 exec, exec, s[10:11]
	s_waitcnt lgkmcnt(0)
	ds_bpermute_b32 v3, v82, v2
	s_waitcnt lgkmcnt(0)
	v_add_f32_e32 v2, v2, v3
	ds_bpermute_b32 v5, v8, v2
	s_and_saveexec_b64 s[2:3], s[4:5]
	s_cbranch_execz .LBB58_38
; %bb.26:
	s_waitcnt lgkmcnt(0)
	v_add_f32_e32 v2, 0x358637bd, v5
	v_div_scale_f32 v3, s[4:5], v2, v2, 1.0
	v_rcp_f32_e32 v6, v3
	v_div_scale_f32 v7, vcc, 1.0, v2, 1.0
	s_movk_i32 s4, 0x7f
	v_fma_f32 v8, -v3, v6, 1.0
	v_fmac_f32_e32 v6, v8, v6
	v_mul_f32_e32 v8, v7, v6
	v_fma_f32 v9, -v3, v8, v7
	v_fmac_f32_e32 v8, v9, v6
	v_fma_f32 v3, -v3, v8, v7
	v_div_fmas_f32 v3, v3, v6, v8
	v_div_fixup_f32 v2, v3, v2, 1.0
	v_xad_u32 v3, v0, -1, s38
	v_subrev_u32_e32 v6, s33, v3
	v_cmp_lt_u32_e32 vcc, s4, v6
	s_mov_b64 s[10:11], -1
	v_mov_b32_e32 v3, v0
	s_and_saveexec_b64 s[4:5], vcc
	s_cbranch_execz .LBB58_35
; %bb.27:
	v_lshrrev_b32_e32 v6, 7, v6
	v_add_u32_e32 v8, -1, v6
	v_lshrrev_b32_e32 v7, 1, v8
	v_mov_b32_e32 v3, v2
	v_add_u32_e32 v7, 1, v7
	v_cmp_lt_u32_e32 vcc, 13, v8
	v_mov_b32_e32 v10, 0
	s_and_saveexec_b64 s[10:11], vcc
	s_cbranch_execz .LBB58_31
; %bb.28:
	v_mov_b32_e32 v9, 0x1d0
	v_and_b32_e32 v8, -8, v7
	v_lshl_add_u32 v9, v0, 2, v9
	s_mov_b32 s36, 0
	s_mov_b64 s[34:35], 0
.LBB58_29:                              ; =>This Inner Loop Header: Depth=1
	ds_read2st64_b32 v[10:11], v9 offset1:2
	ds_read2st64_b32 v[12:13], v9 offset0:4 offset1:6
	ds_read2st64_b32 v[14:15], v9 offset0:8 offset1:10
	;; [unrolled: 1-line block ×3, first 2 shown]
	v_add_u32_e32 v8, -8, v8
	s_waitcnt lgkmcnt(3)
	v_pk_mul_f32 v[10:11], v[2:3], v[10:11]
	s_waitcnt lgkmcnt(2)
	v_pk_mul_f32 v[12:13], v[2:3], v[12:13]
	ds_write2st64_b32 v9, v10, v11 offset1:2
	ds_write2st64_b32 v9, v12, v13 offset0:4 offset1:6
	ds_read2st64_b32 v[12:13], v9 offset0:16 offset1:18
	s_waitcnt lgkmcnt(4)
	v_pk_mul_f32 v[10:11], v[2:3], v[14:15]
	ds_write2st64_b32 v9, v10, v11 offset0:8 offset1:10
	s_waitcnt lgkmcnt(4)
	v_pk_mul_f32 v[10:11], v[2:3], v[16:17]
	ds_write2st64_b32 v9, v10, v11 offset0:12 offset1:14
	ds_read2st64_b32 v[10:11], v9 offset0:20 offset1:22
	s_waitcnt lgkmcnt(3)
	v_pk_mul_f32 v[12:13], v[2:3], v[12:13]
	ds_read2st64_b32 v[14:15], v9 offset0:24 offset1:26
	ds_write2st64_b32 v9, v12, v13 offset0:16 offset1:18
	ds_read2st64_b32 v[12:13], v9 offset0:28 offset1:30
	s_waitcnt lgkmcnt(3)
	v_pk_mul_f32 v[10:11], v[2:3], v[10:11]
	ds_write2st64_b32 v9, v10, v11 offset0:20 offset1:22
	s_waitcnt lgkmcnt(3)
	v_pk_mul_f32 v[10:11], v[2:3], v[14:15]
	ds_write2st64_b32 v9, v10, v11 offset0:24 offset1:26
	s_waitcnt lgkmcnt(2)
	v_pk_mul_f32 v[10:11], v[2:3], v[12:13]
	s_add_i32 s36, s36, 16
	v_cmp_eq_u32_e32 vcc, 0, v8
	ds_write2st64_b32 v9, v10, v11 offset0:28 offset1:30
	v_add_u32_e32 v9, 0x2000, v9
	s_or_b64 s[34:35], vcc, s[34:35]
	v_mov_b32_e32 v10, s36
	s_andn2_b64 exec, exec, s[34:35]
	s_cbranch_execnz .LBB58_29
; %bb.30:
	s_or_b64 exec, exec, s[34:35]
.LBB58_31:
	s_or_b64 exec, exec, s[10:11]
	v_and_b32_e32 v7, 7, v7
	v_cmp_ne_u32_e32 vcc, 0, v7
	s_and_saveexec_b64 s[10:11], vcc
	s_cbranch_execz .LBB58_34
; %bb.32:
	v_lshlrev_b32_e32 v8, 9, v10
	s_movk_i32 s34, 0x1d0
	v_add3_u32 v8, v8, v78, s34
	s_mov_b64 s[34:35], 0
.LBB58_33:                              ; =>This Inner Loop Header: Depth=1
	ds_read2st64_b32 v[10:11], v8 offset1:2
	v_add_u32_e32 v7, -1, v7
	v_cmp_eq_u32_e32 vcc, 0, v7
	s_or_b64 s[34:35], vcc, s[34:35]
	s_waitcnt lgkmcnt(0)
	v_pk_mul_f32 v[10:11], v[2:3], v[10:11]
	ds_write2st64_b32 v8, v10, v11 offset1:2
	v_add_u32_e32 v8, 0x400, v8
	s_andn2_b64 exec, exec, s[34:35]
	s_cbranch_execnz .LBB58_33
.LBB58_34:
	s_or_b64 exec, exec, s[10:11]
	v_add_u32_e32 v6, 1, v6
	v_and_b32_e32 v7, 0x3fffffe, v6
	v_cmp_ne_u32_e32 vcc, v6, v7
	v_lshl_add_u32 v3, v7, 7, v0
	s_orn2_b64 s[10:11], vcc, exec
.LBB58_35:
	s_or_b64 exec, exec, s[4:5]
	s_and_b64 exec, exec, s[10:11]
	s_cbranch_execz .LBB58_38
; %bb.36:
	v_mov_b32_e32 v6, 0x1d0
	v_lshl_add_u32 v6, v3, 2, v6
	s_mov_b64 s[4:5], 0
.LBB58_37:                              ; =>This Inner Loop Header: Depth=1
	ds_read_b32 v7, v6
	v_add_u32_e32 v3, 0x80, v3
	v_cmp_le_i32_e32 vcc, s15, v3
	s_or_b64 s[4:5], vcc, s[4:5]
	s_waitcnt lgkmcnt(0)
	v_mul_f32_e32 v7, v2, v7
	ds_write_b32 v6, v7
	v_add_u32_e32 v6, 0x200, v6
	s_andn2_b64 exec, exec, s[4:5]
	s_cbranch_execnz .LBB58_37
.LBB58_38:
	s_or_b64 exec, exec, s[2:3]
	s_mul_i32 s2, s12, s24
	v_cmp_eq_u32_e32 vcc, 0, v0
	s_mul_i32 s2, s2, s9
	s_waitcnt lgkmcnt(0)
	s_barrier
	s_and_saveexec_b64 s[4:5], vcc
	s_cbranch_execz .LBB58_40
; %bb.39:
	s_ashr_i32 s3, s2, 31
	s_lshl_b64 s[10:11], s[2:3], 2
	s_add_u32 s3, s18, s10
	s_mul_i32 s18, s12, s6
	s_addc_u32 s9, s19, s11
	s_ashr_i32 s19, s18, 31
	s_lshl_b64 s[18:19], s[18:19], 2
	s_add_u32 s3, s3, s18
	s_addc_u32 s6, s9, s19
	s_ashr_i32 s9, s8, 31
	s_lshl_b64 s[34:35], s[8:9], 2
	s_add_u32 s36, s3, s34
	s_addc_u32 s37, s6, s35
	s_add_u32 s3, s16, s10
	s_addc_u32 s6, s17, s11
	;; [unrolled: 2-line block ×3, first 2 shown]
	s_add_u32 s10, s3, s34
	v_mov_b32_e32 v2, 0
	s_addc_u32 s11, s6, s35
	global_store_dword v2, v4, s[36:37]
	global_store_dword v2, v5, s[10:11]
.LBB58_40:
	s_or_b64 exec, exec, s[4:5]
	v_mov_b32_e32 v76, 0
	v_and_b32_e32 v83, 7, v0
	v_mov_b32_e32 v77, 0
	v_mov_b32_e32 v74, 0
	;; [unrolled: 1-line block ×13, first 2 shown]
	s_and_saveexec_b64 s[4:5], s[0:1]
	s_cbranch_execz .LBB58_72
; %bb.41:
	s_ashr_i32 s15, s14, 31
	s_lshl_b64 s[0:1], s[14:15], 2
	s_add_u32 s9, s30, s0
	v_and_b32_e32 v3, 28, v78
	s_mov_b32 s3, s13
	s_addc_u32 s10, s31, s1
	s_add_i32 s13, s7, -1
	v_lshl_add_u32 v5, v79, 5, s33
	s_lshl_b64 s[0:1], s[28:29], 2
	v_add3_u32 v84, v5, v3, 3
	v_lshlrev_b32_e32 v3, 4, v83
	s_add_u32 s0, s26, s0
	v_and_b32_e32 v2, 0xfc, v78
	v_lshl_or_b32 v3, v79, 7, v3
	v_lshlrev_b64 v[24:25], 2, v[62:63]
	s_addc_u32 s1, s27, s1
	v_mov_b32_e32 v65, 0
	v_or_b32_e32 v4, 0x400, v2
	v_or_b32_e32 v6, 0x500, v2
	;; [unrolled: 1-line block ×10, first 2 shown]
	v_add_u32_e32 v85, 0x1d0, v3
	v_mov_b32_e32 v3, s1
	v_add_co_u32_e32 v78, vcc, s0, v24
	v_addc_co_u32_e32 v79, vcc, v3, v25, vcc
	s_mov_b64 s[6:7], 0
	v_lshlrev_b32_e32 v63, 2, v2
	v_lshlrev_b32_e32 v86, 2, v4
	;; [unrolled: 1-line block ×11, first 2 shown]
	v_mov_b32_e32 v96, s10
	v_mov_b32_e32 v64, v65
	;; [unrolled: 1-line block ×14, first 2 shown]
	s_branch .LBB58_43
.LBB58_42:                              ;   in Loop: Header=BB58_43 Depth=1
	s_or_b64 exec, exec, s[0:1]
	s_waitcnt vmcnt(1) lgkmcnt(0)
	v_mul_f32_e32 v59, v3, v59
	v_mul_f32_e32 v55, v3, v55
	;; [unrolled: 1-line block ×13, first 2 shown]
	s_waitcnt vmcnt(0)
	v_mul_f32_e32 v3, v3, v51
	v_fmac_f32_e32 v59, v2, v58
	v_fmac_f32_e32 v55, v2, v54
	;; [unrolled: 1-line block ×14, first 2 shown]
	v_add_u32_e32 v62, 2, v62
	v_fmac_f32_e32 v59, v4, v60
	v_fmac_f32_e32 v55, v4, v56
	;; [unrolled: 1-line block ×14, first 2 shown]
	v_cmp_le_i32_e32 vcc, s21, v62
	v_fmac_f32_e32 v59, v5, v61
	v_fmac_f32_e32 v55, v5, v57
	v_fmac_f32_e32 v47, v5, v49
	v_fmac_f32_e32 v43, v5, v45
	v_fmac_f32_e32 v39, v5, v41
	v_fmac_f32_e32 v35, v5, v37
	v_fmac_f32_e32 v31, v5, v33
	v_fmac_f32_e32 v27, v5, v29
	v_fmac_f32_e32 v23, v5, v25
	v_fmac_f32_e32 v19, v5, v21
	v_fmac_f32_e32 v15, v5, v17
	v_fmac_f32_e32 v11, v5, v13
	v_fmac_f32_e32 v7, v5, v9
	v_fmac_f32_e32 v3, v5, v53
	s_or_b64 s[6:7], vcc, s[6:7]
	v_add_co_u32_e32 v78, vcc, 8, v78
	v_add_f32_e32 v64, v64, v59
	v_add_f32_e32 v67, v67, v55
	;; [unrolled: 1-line block ×14, first 2 shown]
	v_add_u32_e32 v84, 64, v84
	v_add_u32_e32 v85, 0x100, v85
	v_addc_co_u32_e32 v79, vcc, 0, v79, vcc
	s_andn2_b64 exec, exec, s[6:7]
	s_cbranch_execz .LBB58_71
.LBB58_43:                              ; =>This Inner Loop Header: Depth=1
	global_load_dword v2, v[78:79], off
	v_add_u32_e32 v97, -3, v84
	v_add_u32_e32 v99, -2, v84
	;; [unrolled: 1-line block ×3, first 2 shown]
	s_waitcnt vmcnt(0)
	v_mad_i64_i32 v[2:3], s[0:1], v2, s3, 0
	v_lshlrev_b64 v[2:3], 2, v[2:3]
	v_add_co_u32_e32 v50, vcc, s9, v2
	v_addc_co_u32_e32 v51, vcc, v96, v3, vcc
	v_add_co_u32_e32 v18, vcc, v50, v63
	v_addc_co_u32_e32 v19, vcc, 0, v51, vcc
	global_load_dwordx4 v[6:9], v[18:19], off
	ds_read_b128 v[2:5], v85
	v_cmp_eq_u32_e32 vcc, s13, v62
	s_and_saveexec_b64 s[10:11], vcc
	s_cbranch_execnz .LBB58_68
; %bb.44:                               ;   in Loop: Header=BB58_43 Depth=1
	s_or_b64 exec, exec, s[10:11]
	global_load_dwordx4 v[10:13], v[18:19], off offset:1024
	s_and_saveexec_b64 s[10:11], vcc
	s_cbranch_execnz .LBB58_69
.LBB58_45:                              ;   in Loop: Header=BB58_43 Depth=1
	s_or_b64 exec, exec, s[10:11]
	global_load_dwordx4 v[14:17], v[18:19], off offset:2048
	s_and_saveexec_b64 s[10:11], vcc
	s_cbranch_execnz .LBB58_70
.LBB58_46:                              ;   in Loop: Header=BB58_43 Depth=1
	s_or_b64 exec, exec, s[10:11]
	global_load_dwordx4 v[18:21], v[18:19], off offset:3072
	s_and_saveexec_b64 s[10:11], vcc
	s_cbranch_execz .LBB58_48
.LBB58_47:                              ;   in Loop: Header=BB58_43 Depth=1
	v_cmp_gt_i32_e64 s[0:1], s25, v97
	s_waitcnt vmcnt(0)
	v_cndmask_b32_e64 v18, 0, v18, s[0:1]
	v_cmp_gt_i32_e64 s[0:1], s25, v99
	v_cndmask_b32_e64 v19, 0, v19, s[0:1]
	v_cmp_gt_i32_e64 s[0:1], s25, v98
	;; [unrolled: 2-line block ×3, first 2 shown]
	v_cndmask_b32_e64 v21, 0, v21, s[0:1]
.LBB58_48:                              ;   in Loop: Header=BB58_43 Depth=1
	s_or_b64 exec, exec, s[10:11]
	v_add_co_u32_e64 v22, s[0:1], v50, v86
	v_addc_co_u32_e64 v23, s[0:1], 0, v51, s[0:1]
	global_load_dwordx4 v[22:25], v[22:23], off
	s_and_saveexec_b64 s[10:11], vcc
	s_cbranch_execz .LBB58_50
; %bb.49:                               ;   in Loop: Header=BB58_43 Depth=1
	v_cmp_gt_i32_e64 s[0:1], s25, v97
	s_waitcnt vmcnt(0)
	v_cndmask_b32_e64 v22, 0, v22, s[0:1]
	v_cmp_gt_i32_e64 s[0:1], s25, v99
	v_cndmask_b32_e64 v23, 0, v23, s[0:1]
	v_cmp_gt_i32_e64 s[0:1], s25, v98
	v_cndmask_b32_e64 v24, 0, v24, s[0:1]
	v_cmp_gt_i32_e64 s[0:1], s25, v84
	v_cndmask_b32_e64 v25, 0, v25, s[0:1]
.LBB58_50:                              ;   in Loop: Header=BB58_43 Depth=1
	s_or_b64 exec, exec, s[10:11]
	v_add_co_u32_e64 v26, s[0:1], v50, v87
	v_addc_co_u32_e64 v27, s[0:1], 0, v51, s[0:1]
	global_load_dwordx4 v[26:29], v[26:27], off
	s_and_saveexec_b64 s[10:11], vcc
	s_cbranch_execz .LBB58_52
; %bb.51:                               ;   in Loop: Header=BB58_43 Depth=1
	v_cmp_gt_i32_e64 s[0:1], s25, v97
	s_waitcnt vmcnt(0)
	v_cndmask_b32_e64 v26, 0, v26, s[0:1]
	v_cmp_gt_i32_e64 s[0:1], s25, v99
	v_cndmask_b32_e64 v27, 0, v27, s[0:1]
	v_cmp_gt_i32_e64 s[0:1], s25, v98
	v_cndmask_b32_e64 v28, 0, v28, s[0:1]
	v_cmp_gt_i32_e64 s[0:1], s25, v84
	v_cndmask_b32_e64 v29, 0, v29, s[0:1]
.LBB58_52:                              ;   in Loop: Header=BB58_43 Depth=1
	;; [unrolled: 17-line block ×9, first 2 shown]
	s_or_b64 exec, exec, s[10:11]
	v_add_co_u32_e64 v50, s[0:1], v50, v95
	v_addc_co_u32_e64 v51, s[0:1], 0, v51, s[0:1]
	global_load_dwordx4 v[50:53], v[50:51], off
	s_and_saveexec_b64 s[0:1], vcc
	s_cbranch_execz .LBB58_42
; %bb.67:                               ;   in Loop: Header=BB58_43 Depth=1
	v_cmp_gt_i32_e32 vcc, s25, v97
	s_waitcnt vmcnt(0)
	v_cndmask_b32_e32 v50, 0, v50, vcc
	v_cmp_gt_i32_e32 vcc, s25, v99
	v_cndmask_b32_e32 v51, 0, v51, vcc
	v_cmp_gt_i32_e32 vcc, s25, v98
	;; [unrolled: 2-line block ×3, first 2 shown]
	v_cndmask_b32_e32 v53, 0, v53, vcc
	s_branch .LBB58_42
.LBB58_68:                              ;   in Loop: Header=BB58_43 Depth=1
	v_cmp_gt_i32_e64 s[0:1], s25, v97
	s_waitcnt vmcnt(0)
	v_cndmask_b32_e64 v6, 0, v6, s[0:1]
	v_cmp_gt_i32_e64 s[0:1], s25, v99
	v_cndmask_b32_e64 v7, 0, v7, s[0:1]
	v_cmp_gt_i32_e64 s[0:1], s25, v98
	;; [unrolled: 2-line block ×3, first 2 shown]
	v_cndmask_b32_e64 v9, 0, v9, s[0:1]
	s_or_b64 exec, exec, s[10:11]
	global_load_dwordx4 v[10:13], v[18:19], off offset:1024
	s_and_saveexec_b64 s[10:11], vcc
	s_cbranch_execz .LBB58_45
.LBB58_69:                              ;   in Loop: Header=BB58_43 Depth=1
	v_cmp_gt_i32_e64 s[0:1], s25, v97
	s_waitcnt vmcnt(0)
	v_cndmask_b32_e64 v10, 0, v10, s[0:1]
	v_cmp_gt_i32_e64 s[0:1], s25, v99
	v_cndmask_b32_e64 v11, 0, v11, s[0:1]
	v_cmp_gt_i32_e64 s[0:1], s25, v98
	;; [unrolled: 2-line block ×3, first 2 shown]
	v_cndmask_b32_e64 v13, 0, v13, s[0:1]
	s_or_b64 exec, exec, s[10:11]
	global_load_dwordx4 v[14:17], v[18:19], off offset:2048
	s_and_saveexec_b64 s[10:11], vcc
	s_cbranch_execz .LBB58_46
.LBB58_70:                              ;   in Loop: Header=BB58_43 Depth=1
	v_cmp_gt_i32_e64 s[0:1], s25, v97
	s_waitcnt vmcnt(0)
	v_cndmask_b32_e64 v14, 0, v14, s[0:1]
	v_cmp_gt_i32_e64 s[0:1], s25, v99
	v_cndmask_b32_e64 v15, 0, v15, s[0:1]
	v_cmp_gt_i32_e64 s[0:1], s25, v98
	;; [unrolled: 2-line block ×3, first 2 shown]
	v_cndmask_b32_e64 v17, 0, v17, s[0:1]
	s_or_b64 exec, exec, s[10:11]
	global_load_dwordx4 v[18:21], v[18:19], off offset:3072
	s_and_saveexec_b64 s[10:11], vcc
	s_cbranch_execnz .LBB58_47
	s_branch .LBB58_48
.LBB58_71:
	s_or_b64 exec, exec, s[6:7]
.LBB58_72:
	s_or_b64 exec, exec, s[4:5]
	ds_bpermute_b32 v2, v81, v76
	ds_bpermute_b32 v3, v81, v77
	;; [unrolled: 1-line block ×6, first 2 shown]
	s_waitcnt lgkmcnt(4)
	v_pk_add_f32 v[2:3], v[76:77], v[2:3]
	ds_bpermute_b32 v6, v80, v2
	s_waitcnt lgkmcnt(3)
	v_pk_add_f32 v[4:5], v[74:75], v[4:5]
	ds_bpermute_b32 v7, v80, v3
	ds_bpermute_b32 v10, v80, v4
	;; [unrolled: 1-line block ×3, first 2 shown]
	s_waitcnt lgkmcnt(4)
	v_pk_add_f32 v[8:9], v[72:73], v[8:9]
	ds_bpermute_b32 v14, v80, v8
	s_waitcnt lgkmcnt(3)
	v_pk_add_f32 v[2:3], v[2:3], v[6:7]
	ds_bpermute_b32 v6, v82, v2
	;; [unrolled: 3-line block ×3, first 2 shown]
	ds_bpermute_b32 v12, v82, v10
	ds_bpermute_b32 v13, v82, v11
	ds_bpermute_b32 v15, v80, v9
	ds_bpermute_b32 v18, v81, v66
	s_waitcnt lgkmcnt(4)
	v_pk_add_f32 v[4:5], v[2:3], v[6:7]
	ds_bpermute_b32 v19, v81, v67
	s_waitcnt lgkmcnt(3)
	v_pk_add_f32 v[2:3], v[10:11], v[12:13]
	ds_bpermute_b32 v12, v81, v68
	ds_bpermute_b32 v13, v81, v69
	s_waitcnt lgkmcnt(4)
	v_pk_add_f32 v[6:7], v[8:9], v[14:15]
	ds_bpermute_b32 v8, v81, v70
	ds_bpermute_b32 v9, v81, v71
	;; [unrolled: 1-line block ×3, first 2 shown]
	s_waitcnt lgkmcnt(3)
	v_pk_add_f32 v[12:13], v[68:69], v[12:13]
	ds_bpermute_b32 v16, v80, v12
	ds_bpermute_b32 v17, v80, v13
	s_waitcnt lgkmcnt(3)
	v_pk_add_f32 v[8:9], v[70:71], v[8:9]
	ds_bpermute_b32 v14, v80, v8
	ds_bpermute_b32 v15, v80, v9
	;; [unrolled: 1-line block ×3, first 2 shown]
	s_waitcnt lgkmcnt(3)
	v_pk_add_f32 v[16:17], v[12:13], v[16:17]
	v_pk_add_f32 v[12:13], v[66:67], v[18:19]
	ds_bpermute_b32 v18, v80, v12
	ds_bpermute_b32 v19, v80, v13
	s_waitcnt lgkmcnt(3)
	v_pk_add_f32 v[8:9], v[8:9], v[14:15]
	s_waitcnt lgkmcnt(2)
	v_pk_add_f32 v[22:23], v[64:65], v[22:23]
	ds_bpermute_b32 v10, v82, v6
	ds_bpermute_b32 v11, v82, v7
	;; [unrolled: 1-line block ×8, first 2 shown]
	s_waitcnt lgkmcnt(8)
	v_pk_add_f32 v[18:19], v[12:13], v[18:19]
	ds_bpermute_b32 v24, v82, v18
	ds_bpermute_b32 v25, v82, v19
	s_waitcnt lgkmcnt(8)
	v_pk_add_f32 v[12:13], v[6:7], v[10:11]
	s_waitcnt lgkmcnt(6)
	v_pk_add_f32 v[10:11], v[8:9], v[14:15]
	s_waitcnt lgkmcnt(4)
	v_pk_add_f32 v[14:15], v[22:23], v[26:27]
	s_waitcnt lgkmcnt(2)
	v_pk_add_f32 v[8:9], v[16:17], v[20:21]
	ds_bpermute_b32 v16, v82, v14
	ds_bpermute_b32 v17, v82, v15
	s_waitcnt lgkmcnt(2)
	v_pk_add_f32 v[6:7], v[18:19], v[24:25]
	v_and_b32_e32 v18, 0x3c7, v0
	v_cmp_ne_u32_e32 vcc, 64, v18
	s_waitcnt lgkmcnt(0)
	s_barrier
	s_and_saveexec_b64 s[0:1], vcc
	s_xor_b64 s[0:1], exec, s[0:1]
; %bb.73:
                                        ; implicit-def: $vgpr1
; %bb.74:
	s_or_saveexec_b64 s[0:1], s[0:1]
	v_pk_add_f32 v[14:15], v[14:15], v[16:17]
	s_xor_b64 exec, exec, s[0:1]
	s_cbranch_execz .LBB58_76
; %bb.75:
	v_lshrrev_b32_e32 v1, 1, v1
	v_add_u32_e32 v1, 0x1d0, v1
	ds_write2_b32 v1, v4, v5 offset1:8
	ds_write2_b32 v1, v2, v3 offset0:16 offset1:24
	ds_write2_b32 v1, v12, v13 offset0:32 offset1:40
	;; [unrolled: 1-line block ×6, first 2 shown]
.LBB58_76:
	s_or_b64 exec, exec, s[0:1]
	v_cmp_gt_u32_e32 vcc, 64, v0
	s_waitcnt lgkmcnt(0)
	s_barrier
	s_and_saveexec_b64 s[0:1], vcc
	s_cbranch_execz .LBB58_93
; %bb.77:
	v_cmp_eq_u32_e32 vcc, 0, v83
	v_lshrrev_b32_e32 v1, 3, v0
	s_and_saveexec_b64 s[4:5], vcc
	s_cbranch_execnz .LBB58_96
; %bb.78:
	s_or_b64 exec, exec, s[4:5]
	s_and_saveexec_b64 s[4:5], vcc
	s_cbranch_execnz .LBB58_97
.LBB58_79:
	s_or_b64 exec, exec, s[4:5]
	s_and_saveexec_b64 s[4:5], vcc
	s_cbranch_execnz .LBB58_98
.LBB58_80:
	s_or_b64 exec, exec, s[4:5]
	s_and_saveexec_b64 s[4:5], vcc
	s_cbranch_execnz .LBB58_99
.LBB58_81:
	s_or_b64 exec, exec, s[4:5]
	s_and_saveexec_b64 s[4:5], vcc
	s_cbranch_execnz .LBB58_100
.LBB58_82:
	s_or_b64 exec, exec, s[4:5]
	s_and_saveexec_b64 s[4:5], vcc
	s_cbranch_execnz .LBB58_101
.LBB58_83:
	s_or_b64 exec, exec, s[4:5]
	s_and_saveexec_b64 s[4:5], vcc
	s_cbranch_execnz .LBB58_102
.LBB58_84:
	s_or_b64 exec, exec, s[4:5]
	s_and_saveexec_b64 s[4:5], vcc
	s_cbranch_execnz .LBB58_103
.LBB58_85:
	s_or_b64 exec, exec, s[4:5]
	s_and_saveexec_b64 s[4:5], vcc
	s_cbranch_execnz .LBB58_104
.LBB58_86:
	s_or_b64 exec, exec, s[4:5]
	s_and_saveexec_b64 s[4:5], vcc
	s_cbranch_execnz .LBB58_105
.LBB58_87:
	s_or_b64 exec, exec, s[4:5]
	s_and_saveexec_b64 s[4:5], vcc
	s_cbranch_execnz .LBB58_106
.LBB58_88:
	s_or_b64 exec, exec, s[4:5]
	s_and_saveexec_b64 s[4:5], vcc
	s_cbranch_execnz .LBB58_107
.LBB58_89:
	s_or_b64 exec, exec, s[4:5]
	s_and_saveexec_b64 s[4:5], vcc
	s_cbranch_execnz .LBB58_108
.LBB58_90:
	s_or_b64 exec, exec, s[4:5]
	s_and_saveexec_b64 s[4:5], vcc
	s_cbranch_execz .LBB58_92
.LBB58_91:
	v_mov_b32_e32 v16, 0x1d0
	v_lshl_add_u32 v1, v1, 2, v16
	ds_read_b32 v1, v1 offset:416
	s_waitcnt lgkmcnt(0)
	v_add_f32_e32 v15, v15, v1
.LBB58_92:
	s_or_b64 exec, exec, s[4:5]
.LBB58_93:
	s_or_b64 exec, exec, s[0:1]
	v_cmp_eq_u32_e32 vcc, 0, v18
	s_barrier
	s_and_saveexec_b64 s[0:1], vcc
	s_cbranch_execz .LBB58_95
; %bb.94:
	s_mul_i32 s0, s2, 0x70
	s_ashr_i32 s1, s0, 31
	s_lshl_b64 s[0:1], s[0:1], 2
	s_add_u32 s2, s22, s0
	s_mul_i32 s0, s12, s20
	s_addc_u32 s3, s23, s1
	s_ashr_i32 s1, s0, 31
	s_lshl_b64 s[0:1], s[0:1], 2
	s_add_u32 s2, s2, s0
	s_mul_i32 s0, s8, 0x70
	s_addc_u32 s3, s3, s1
	s_ashr_i32 s1, s0, 31
	s_lshl_b64 s[0:1], s[0:1], 2
	s_add_u32 s0, s2, s0
	s_addc_u32 s1, s3, s1
	v_lshrrev_b32_e32 v0, 1, v0
	global_store_dword v0, v4, s[0:1]
	global_store_dword v0, v5, s[0:1] offset:32
	global_store_dword v0, v2, s[0:1] offset:64
	;; [unrolled: 1-line block ×13, first 2 shown]
.LBB58_95:
	s_endpgm
.LBB58_96:
	v_mov_b32_e32 v16, 0x1d0
	v_lshl_add_u32 v16, v1, 2, v16
	ds_read_b32 v16, v16
	s_waitcnt lgkmcnt(0)
	v_add_f32_e32 v4, v4, v16
	s_or_b64 exec, exec, s[4:5]
	s_and_saveexec_b64 s[4:5], vcc
	s_cbranch_execz .LBB58_79
.LBB58_97:
	v_mov_b32_e32 v16, 0x1d0
	v_lshl_add_u32 v16, v1, 2, v16
	ds_read_b32 v16, v16 offset:32
	s_waitcnt lgkmcnt(0)
	v_add_f32_e32 v5, v5, v16
	s_or_b64 exec, exec, s[4:5]
	s_and_saveexec_b64 s[4:5], vcc
	s_cbranch_execz .LBB58_80
.LBB58_98:
	v_mov_b32_e32 v16, 0x1d0
	v_lshl_add_u32 v16, v1, 2, v16
	ds_read_b32 v16, v16 offset:64
	s_waitcnt lgkmcnt(0)
	v_add_f32_e32 v2, v2, v16
	s_or_b64 exec, exec, s[4:5]
	s_and_saveexec_b64 s[4:5], vcc
	s_cbranch_execz .LBB58_81
.LBB58_99:
	v_mov_b32_e32 v16, 0x1d0
	v_lshl_add_u32 v16, v1, 2, v16
	ds_read_b32 v16, v16 offset:96
	s_waitcnt lgkmcnt(0)
	v_add_f32_e32 v3, v3, v16
	s_or_b64 exec, exec, s[4:5]
	s_and_saveexec_b64 s[4:5], vcc
	s_cbranch_execz .LBB58_82
.LBB58_100:
	v_mov_b32_e32 v16, 0x1d0
	v_lshl_add_u32 v16, v1, 2, v16
	ds_read_b32 v16, v16 offset:128
	s_waitcnt lgkmcnt(0)
	v_add_f32_e32 v12, v12, v16
	s_or_b64 exec, exec, s[4:5]
	s_and_saveexec_b64 s[4:5], vcc
	s_cbranch_execz .LBB58_83
.LBB58_101:
	v_mov_b32_e32 v16, 0x1d0
	v_lshl_add_u32 v16, v1, 2, v16
	ds_read_b32 v16, v16 offset:160
	s_waitcnt lgkmcnt(0)
	v_add_f32_e32 v13, v13, v16
	s_or_b64 exec, exec, s[4:5]
	s_and_saveexec_b64 s[4:5], vcc
	s_cbranch_execz .LBB58_84
.LBB58_102:
	v_mov_b32_e32 v16, 0x1d0
	v_lshl_add_u32 v16, v1, 2, v16
	ds_read_b32 v16, v16 offset:192
	s_waitcnt lgkmcnt(0)
	v_add_f32_e32 v10, v10, v16
	s_or_b64 exec, exec, s[4:5]
	s_and_saveexec_b64 s[4:5], vcc
	s_cbranch_execz .LBB58_85
.LBB58_103:
	v_mov_b32_e32 v16, 0x1d0
	v_lshl_add_u32 v16, v1, 2, v16
	ds_read_b32 v16, v16 offset:224
	s_waitcnt lgkmcnt(0)
	v_add_f32_e32 v11, v11, v16
	s_or_b64 exec, exec, s[4:5]
	s_and_saveexec_b64 s[4:5], vcc
	s_cbranch_execz .LBB58_86
.LBB58_104:
	v_mov_b32_e32 v16, 0x1d0
	v_lshl_add_u32 v16, v1, 2, v16
	ds_read_b32 v16, v16 offset:256
	s_waitcnt lgkmcnt(0)
	v_add_f32_e32 v8, v8, v16
	s_or_b64 exec, exec, s[4:5]
	s_and_saveexec_b64 s[4:5], vcc
	s_cbranch_execz .LBB58_87
.LBB58_105:
	v_mov_b32_e32 v16, 0x1d0
	v_lshl_add_u32 v16, v1, 2, v16
	ds_read_b32 v16, v16 offset:288
	s_waitcnt lgkmcnt(0)
	v_add_f32_e32 v9, v9, v16
	s_or_b64 exec, exec, s[4:5]
	s_and_saveexec_b64 s[4:5], vcc
	s_cbranch_execz .LBB58_88
.LBB58_106:
	v_mov_b32_e32 v16, 0x1d0
	v_lshl_add_u32 v16, v1, 2, v16
	ds_read_b32 v16, v16 offset:320
	s_waitcnt lgkmcnt(0)
	v_add_f32_e32 v6, v6, v16
	s_or_b64 exec, exec, s[4:5]
	s_and_saveexec_b64 s[4:5], vcc
	s_cbranch_execz .LBB58_89
.LBB58_107:
	v_mov_b32_e32 v16, 0x1d0
	v_lshl_add_u32 v16, v1, 2, v16
	ds_read_b32 v16, v16 offset:352
	s_waitcnt lgkmcnt(0)
	v_add_f32_e32 v7, v7, v16
	s_or_b64 exec, exec, s[4:5]
	s_and_saveexec_b64 s[4:5], vcc
	s_cbranch_execz .LBB58_90
.LBB58_108:
	v_mov_b32_e32 v16, 0x1d0
	v_lshl_add_u32 v16, v1, 2, v16
	ds_read_b32 v16, v16 offset:384
	s_waitcnt lgkmcnt(0)
	v_add_f32_e32 v14, v14, v16
	s_or_b64 exec, exec, s[4:5]
	s_and_saveexec_b64 s[4:5], vcc
	s_cbranch_execnz .LBB58_91
	s_branch .LBB58_92
	.section	.rodata,"a",@progbits
	.p2align	6, 0x0
	.amdhsa_kernel _ZN4vllm25paged_attention_v2_kernelIffLi112ELi32ELi128ELNS_18Fp8KVCacheDataTypeE0ELb0ELi512EEEvPfS2_PT_PKS3_PKT0_S9_ifPKiSB_iPKfiiiSD_SD_iiiii
		.amdhsa_group_segment_fixed_size 464
		.amdhsa_private_segment_fixed_size 0
		.amdhsa_kernarg_size 400
		.amdhsa_user_sgpr_count 6
		.amdhsa_user_sgpr_private_segment_buffer 1
		.amdhsa_user_sgpr_dispatch_ptr 0
		.amdhsa_user_sgpr_queue_ptr 0
		.amdhsa_user_sgpr_kernarg_segment_ptr 1
		.amdhsa_user_sgpr_dispatch_id 0
		.amdhsa_user_sgpr_flat_scratch_init 0
		.amdhsa_user_sgpr_kernarg_preload_length 0
		.amdhsa_user_sgpr_kernarg_preload_offset 0
		.amdhsa_user_sgpr_private_segment_size 0
		.amdhsa_uses_dynamic_stack 0
		.amdhsa_system_sgpr_private_segment_wavefront_offset 0
		.amdhsa_system_sgpr_workgroup_id_x 1
		.amdhsa_system_sgpr_workgroup_id_y 1
		.amdhsa_system_sgpr_workgroup_id_z 1
		.amdhsa_system_sgpr_workgroup_info 0
		.amdhsa_system_vgpr_workitem_id 0
		.amdhsa_next_free_vgpr 100
		.amdhsa_next_free_sgpr 45
		.amdhsa_accum_offset 100
		.amdhsa_reserve_vcc 1
		.amdhsa_reserve_flat_scratch 0
		.amdhsa_float_round_mode_32 0
		.amdhsa_float_round_mode_16_64 0
		.amdhsa_float_denorm_mode_32 3
		.amdhsa_float_denorm_mode_16_64 3
		.amdhsa_dx10_clamp 1
		.amdhsa_ieee_mode 1
		.amdhsa_fp16_overflow 0
		.amdhsa_tg_split 0
		.amdhsa_exception_fp_ieee_invalid_op 0
		.amdhsa_exception_fp_denorm_src 0
		.amdhsa_exception_fp_ieee_div_zero 0
		.amdhsa_exception_fp_ieee_overflow 0
		.amdhsa_exception_fp_ieee_underflow 0
		.amdhsa_exception_fp_ieee_inexact 0
		.amdhsa_exception_int_div_zero 0
	.end_amdhsa_kernel
	.section	.text._ZN4vllm25paged_attention_v2_kernelIffLi112ELi32ELi128ELNS_18Fp8KVCacheDataTypeE0ELb0ELi512EEEvPfS2_PT_PKS3_PKT0_S9_ifPKiSB_iPKfiiiSD_SD_iiiii,"axG",@progbits,_ZN4vllm25paged_attention_v2_kernelIffLi112ELi32ELi128ELNS_18Fp8KVCacheDataTypeE0ELb0ELi512EEEvPfS2_PT_PKS3_PKT0_S9_ifPKiSB_iPKfiiiSD_SD_iiiii,comdat
.Lfunc_end58:
	.size	_ZN4vllm25paged_attention_v2_kernelIffLi112ELi32ELi128ELNS_18Fp8KVCacheDataTypeE0ELb0ELi512EEEvPfS2_PT_PKS3_PKT0_S9_ifPKiSB_iPKfiiiSD_SD_iiiii, .Lfunc_end58-_ZN4vllm25paged_attention_v2_kernelIffLi112ELi32ELi128ELNS_18Fp8KVCacheDataTypeE0ELb0ELi512EEEvPfS2_PT_PKS3_PKT0_S9_ifPKiSB_iPKfiiiSD_SD_iiiii
                                        ; -- End function
	.section	.AMDGPU.csdata,"",@progbits
; Kernel info:
; codeLenInByte = 7196
; NumSgprs: 49
; NumVgprs: 100
; NumAgprs: 0
; TotalNumVgprs: 100
; ScratchSize: 0
; MemoryBound: 0
; FloatMode: 240
; IeeeMode: 1
; LDSByteSize: 464 bytes/workgroup (compile time only)
; SGPRBlocks: 6
; VGPRBlocks: 12
; NumSGPRsForWavesPerEU: 49
; NumVGPRsForWavesPerEU: 100
; AccumOffset: 100
; Occupancy: 4
; WaveLimiterHint : 1
; COMPUTE_PGM_RSRC2:SCRATCH_EN: 0
; COMPUTE_PGM_RSRC2:USER_SGPR: 6
; COMPUTE_PGM_RSRC2:TRAP_HANDLER: 0
; COMPUTE_PGM_RSRC2:TGID_X_EN: 1
; COMPUTE_PGM_RSRC2:TGID_Y_EN: 1
; COMPUTE_PGM_RSRC2:TGID_Z_EN: 1
; COMPUTE_PGM_RSRC2:TIDIG_COMP_CNT: 0
; COMPUTE_PGM_RSRC3_GFX90A:ACCUM_OFFSET: 24
; COMPUTE_PGM_RSRC3_GFX90A:TG_SPLIT: 0
	.section	.text._ZN4vllm25paged_attention_v2_kernelIffLi120ELi32ELi128ELNS_18Fp8KVCacheDataTypeE0ELb0ELi512EEEvPfS2_PT_PKS3_PKT0_S9_ifPKiSB_iPKfiiiSD_SD_iiiii,"axG",@progbits,_ZN4vllm25paged_attention_v2_kernelIffLi120ELi32ELi128ELNS_18Fp8KVCacheDataTypeE0ELb0ELi512EEEvPfS2_PT_PKS3_PKT0_S9_ifPKiSB_iPKfiiiSD_SD_iiiii,comdat
	.protected	_ZN4vllm25paged_attention_v2_kernelIffLi120ELi32ELi128ELNS_18Fp8KVCacheDataTypeE0ELb0ELi512EEEvPfS2_PT_PKS3_PKT0_S9_ifPKiSB_iPKfiiiSD_SD_iiiii ; -- Begin function _ZN4vllm25paged_attention_v2_kernelIffLi120ELi32ELi128ELNS_18Fp8KVCacheDataTypeE0ELb0ELi512EEEvPfS2_PT_PKS3_PKT0_S9_ifPKiSB_iPKfiiiSD_SD_iiiii
	.globl	_ZN4vllm25paged_attention_v2_kernelIffLi120ELi32ELi128ELNS_18Fp8KVCacheDataTypeE0ELb0ELi512EEEvPfS2_PT_PKS3_PKT0_S9_ifPKiSB_iPKfiiiSD_SD_iiiii
	.p2align	8
	.type	_ZN4vllm25paged_attention_v2_kernelIffLi120ELi32ELi128ELNS_18Fp8KVCacheDataTypeE0ELb0ELi512EEEvPfS2_PT_PKS3_PKT0_S9_ifPKiSB_iPKfiiiSD_SD_iiiii,@function
_ZN4vllm25paged_attention_v2_kernelIffLi120ELi32ELi128ELNS_18Fp8KVCacheDataTypeE0ELb0ELi512EEEvPfS2_PT_PKS3_PKT0_S9_ifPKiSB_iPKfiiiSD_SD_iiiii: ; @_ZN4vllm25paged_attention_v2_kernelIffLi120ELi32ELi128ELNS_18Fp8KVCacheDataTypeE0ELb0ELi512EEEvPfS2_PT_PKS3_PKT0_S9_ifPKiSB_iPKfiiiSD_SD_iiiii
; %bb.0:
	s_load_dwordx2 s[0:1], s[4:5], 0x40
	s_mov_b32 s26, s7
	s_ashr_i32 s27, s7, 31
	s_lshl_b64 s[2:3], s[26:27], 2
	s_waitcnt lgkmcnt(0)
	s_add_u32 s0, s0, s2
	s_addc_u32 s1, s1, s3
	s_load_dword s27, s[0:1], 0x0
	s_lshl_b32 s33, s8, 9
	s_waitcnt lgkmcnt(0)
	s_cmp_ge_i32 s33, s27
	s_cbranch_scc1 .LBB59_98
; %bb.1:
	s_load_dword s9, s[4:5], 0x90
	s_load_dwordx2 s[36:37], s[4:5], 0x30
	s_mov_b32 s42, 0
	s_waitcnt lgkmcnt(0)
	s_abs_i32 s2, s9
	s_abs_i32 s0, s36
	v_cvt_f32_u32_e32 v1, s0
	s_sub_i32 s3, 0, s0
	s_xor_b32 s1, s9, s36
	s_ashr_i32 s1, s1, 31
	v_rcp_iflag_f32_e32 v1, v1
	v_mul_f32_e32 v1, 0x4f7ffffe, v1
	v_cvt_u32_f32_e32 v1, v1
	v_readfirstlane_b32 s7, v1
	s_mul_i32 s3, s3, s7
	s_mul_hi_u32 s3, s7, s3
	s_add_i32 s7, s7, s3
	s_mul_hi_u32 s3, s2, s7
	s_mul_i32 s7, s3, s0
	s_sub_i32 s2, s2, s7
	s_add_i32 s10, s3, 1
	s_sub_i32 s7, s2, s0
	s_cmp_ge_u32 s2, s0
	s_cselect_b32 s3, s10, s3
	s_cselect_b32 s2, s7, s2
	s_add_i32 s7, s3, 1
	s_cmp_ge_u32 s2, s0
	s_cselect_b32 s0, s7, s3
	s_xor_b32 s0, s0, s1
	s_sub_i32 s12, s0, s1
	s_abs_i32 s2, s12
	v_cvt_f32_u32_e32 v1, s2
	s_load_dwordx2 s[0:1], s[4:5], 0x50
	s_sub_i32 s7, 0, s2
	s_abs_i32 s3, s6
	v_rcp_iflag_f32_e32 v1, v1
	v_mul_f32_e32 v1, 0x4f7ffffe, v1
	v_cvt_u32_f32_e32 v1, v1
	v_readfirstlane_b32 s10, v1
	s_mul_i32 s7, s7, s10
	s_mul_hi_u32 s7, s10, s7
	s_add_i32 s10, s10, s7
	s_waitcnt lgkmcnt(0)
	s_cmp_eq_u64 s[0:1], 0
	s_mul_hi_u32 s10, s3, s10
	s_cbranch_scc1 .LBB59_3
; %bb.2:
	s_ashr_i32 s7, s6, 31
	s_lshl_b64 s[14:15], s[6:7], 2
	s_add_u32 s0, s0, s14
	s_addc_u32 s1, s1, s15
	s_load_dword s42, s[0:1], 0x0
.LBB59_3:
	s_load_dwordx4 s[16:19], s[4:5], 0x58
	s_ashr_i32 s11, s6, 31
	s_ashr_i32 s12, s12, 31
	v_and_b32_e32 v42, 1, v0
	s_mul_i32 s14, s6, 0x78
	v_cmp_gt_u32_e32 vcc, 60, v0
	v_lshlrev_b32_e32 v1, 3, v0
	v_lshlrev_b32_e32 v82, 2, v0
	s_and_saveexec_b64 s[0:1], vcc
	s_cbranch_execz .LBB59_5
; %bb.4:
	s_load_dwordx2 s[20:21], s[4:5], 0x18
	s_waitcnt lgkmcnt(0)
	s_mul_i32 s22, s26, s16
	s_ashr_i32 s23, s22, 31
	s_lshl_b64 s[22:23], s[22:23], 2
	v_and_b32_e32 v4, 0xff8, v82
	s_add_u32 s7, s20, s22
	s_addc_u32 s13, s21, s23
	s_ashr_i32 s15, s14, 31
	s_lshl_b64 s[20:21], s[14:15], 2
	s_add_u32 s20, s7, s20
	s_addc_u32 s21, s13, s21
	global_load_dwordx2 v[2:3], v1, s[20:21]
	s_movk_i32 s7, 0xf0
	v_mad_u32_u24 v4, v42, s7, v4
	s_waitcnt vmcnt(0)
	ds_write_b64 v4, v[2:3]
.LBB59_5:
	s_or_b64 exec, exec, s[0:1]
	s_add_i32 s0, s27, 31
	s_ashr_i32 s1, s0, 31
	s_lshr_b32 s1, s1, 27
	s_add_i32 s0, s0, s1
	s_lshl_b32 s36, s8, 4
	s_mul_i32 s1, s10, s2
	s_ashr_i32 s7, s0, 5
	s_add_i32 s0, s36, 16
	s_sub_i32 s1, s3, s1
	s_waitcnt lgkmcnt(0)
	s_min_i32 s16, s0, s7
	s_xor_b32 s0, s11, s12
	s_add_i32 s3, s10, 1
	s_sub_i32 s11, s1, s2
	s_cmp_ge_u32 s1, s2
	s_cselect_b32 s3, s3, s10
	s_cselect_b32 s1, s11, s1
	s_add_i32 s10, s3, 1
	s_cmp_ge_u32 s1, s2
	s_load_dwordx2 s[28:29], s[4:5], 0x38
	s_load_dword s2, s[4:5], 0x48
	v_lshrrev_b32_e32 v83, 6, v0
	s_cselect_b32 s1, s10, s3
	s_xor_b32 s1, s1, s0
	v_or_b32_e32 v66, s36, v83
	s_waitcnt lgkmcnt(0)
	s_mul_i32 s30, s26, s2
	s_sub_i32 s10, s1, s0
	s_ashr_i32 s31, s30, 31
	v_cmp_gt_i32_e64 s[0:1], s16, v66
	v_cmp_le_i32_e32 vcc, s16, v66
	v_mbcnt_lo_u32_b32 v43, -1, 0
	s_barrier
	s_waitcnt lgkmcnt(0)
                                        ; implicit-def: $sgpr11
                                        ; implicit-def: $vgpr72
                                        ; implicit-def: $vgpr73
	s_and_saveexec_b64 s[2:3], vcc
	s_xor_b64 s[2:3], exec, s[2:3]
; %bb.6:
	v_mbcnt_hi_u32_b32 v72, -1, v43
	v_and_b32_e32 v1, 64, v72
	v_add_u32_e32 v73, 64, v1
	s_mov_b32 s11, 0xff7fffff
                                        ; implicit-def: $vgpr1
                                        ; implicit-def: $vgpr42
                                        ; implicit-def: $vgpr43
; %bb.7:
	s_or_saveexec_b64 s[38:39], s[2:3]
	s_load_dwordx4 s[20:23], s[4:5], 0x0
	s_load_dwordx2 s[24:25], s[4:5], 0x10
	s_load_dwordx2 s[34:35], s[4:5], 0x28
	s_load_dword s15, s[4:5], 0x98
	v_mov_b32_e32 v75, s11
	s_mul_i32 s18, s10, s18
	v_ashrrev_i32_e32 v67, 31, v66
	s_xor_b64 exec, exec, s[38:39]
	s_cbranch_execz .LBB59_13
; %bb.8:
	s_load_dwordx2 s[2:3], s[4:5], 0x20
	s_ashr_i32 s19, s18, 31
	s_lshl_b64 s[4:5], s[18:19], 2
	v_bfe_u32 v44, v0, 1, 5
	v_lshlrev_b32_e32 v2, 4, v44
	s_waitcnt lgkmcnt(0)
	s_add_u32 s2, s2, s4
	s_addc_u32 s3, s3, s5
	v_mov_b32_e32 v3, s3
	v_add_co_u32_e32 v2, vcc, s2, v2
	v_addc_co_u32_e32 v3, vcc, 0, v3, vcc
	v_and_b32_e32 v1, 8, v1
	v_mbcnt_hi_u32_b32 v72, -1, v43
	v_add_co_u32_e32 v1, vcc, v2, v1
	v_and_b32_e32 v46, 64, v72
	v_addc_co_u32_e32 v74, vcc, 0, v3, vcc
	v_mul_u32_u24_e32 v58, 0xf0, v42
	v_xor_b32_e32 v43, 1, v72
	v_add_u32_e32 v73, 64, v46
	ds_read_b128 v[2:5], v58
	ds_read_b128 v[6:9], v58 offset:16
	ds_read_b128 v[10:13], v58 offset:32
	ds_read_b128 v[14:17], v58 offset:48
	ds_read_b128 v[18:21], v58 offset:64
	ds_read_b128 v[22:25], v58 offset:80
	ds_read_b128 v[26:29], v58 offset:96
	ds_read_b128 v[30:33], v58 offset:112
	ds_read_b128 v[34:37], v58 offset:128
	ds_read_b128 v[38:41], v58 offset:144
	v_cmp_lt_i32_e32 vcc, v43, v73
	v_lshlrev_b32_e32 v45, 2, v44
	v_cndmask_b32_e32 v43, v72, v43, vcc
	v_cmp_eq_u32_e32 vcc, 0, v42
	s_sub_i32 s19, 1, s27
	v_lshlrev_b32_e32 v42, 5, v83
	s_lshl_b64 s[4:5], s[30:31], 2
	v_add3_u32 v77, s33, v42, v44
	v_lshl_or_b32 v42, v83, 7, v45
	s_add_u32 s4, s28, s4
	v_lshlrev_b32_e32 v76, 2, v43
	v_add_u32_e32 v78, 0x1f0, v42
	v_lshlrev_b64 v[42:43], 2, v[66:67]
	s_addc_u32 s5, s29, s5
	v_mov_b32_e32 v44, s5
	v_add_co_u32_e64 v62, s[4:5], s4, v42
	v_addc_co_u32_e64 v63, s[4:5], v44, v43, s[4:5]
	ds_read_b128 v[42:45], v58 offset:160
	ds_read_b128 v[46:49], v58 offset:176
	;; [unrolled: 1-line block ×5, first 2 shown]
	s_mov_b32 s43, s17
	v_cmp_neq_f32_e64 s[2:3], s42, 0
	s_mov_b64 s[40:41], 0
	v_mov_b32_e32 v75, 0xff7fffff
	s_movk_i32 s44, 0x1000
	s_movk_i32 s45, 0x2000
	;; [unrolled: 1-line block ×3, first 2 shown]
	v_mov_b32_e32 v79, v66
	s_branch .LBB59_10
.LBB59_9:                               ;   in Loop: Header=BB59_10 Depth=1
	s_or_b64 exec, exec, s[10:11]
	v_add_u32_e32 v79, 2, v79
	v_cmp_le_i32_e64 s[4:5], s16, v79
	s_or_b64 s[40:41], s[4:5], s[40:41]
	v_add_co_u32_e64 v62, s[4:5], 8, v62
	v_add_u32_e32 v77, 64, v77
	v_add_u32_e32 v78, 0x100, v78
	v_addc_co_u32_e64 v63, s[4:5], 0, v63, s[4:5]
	s_andn2_b64 exec, exec, s[40:41]
	s_cbranch_execz .LBB59_12
.LBB59_10:                              ; =>This Inner Loop Header: Depth=1
	global_load_dword v64, v[62:63], off
	s_waitcnt vmcnt(0) lgkmcnt(0)
	v_mad_i64_i32 v[64:65], s[4:5], v64, s43, 0
	v_lshlrev_b64 v[64:65], 2, v[64:65]
	v_add_co_u32_e64 v84, s[4:5], v1, v64
	v_addc_co_u32_e64 v85, s[4:5], v74, v65, s[4:5]
	global_load_dwordx2 v[80:81], v[84:85], off offset:512
	global_load_dwordx2 v[86:87], v[84:85], off
	global_load_dwordx2 v[88:89], v[84:85], off offset:1024
	global_load_dwordx2 v[90:91], v[84:85], off offset:1536
	;; [unrolled: 1-line block ×4, first 2 shown]
	v_add_co_u32_e64 v70, s[4:5], s44, v84
	v_add_co_u32_e64 v68, s[10:11], s45, v84
	;; [unrolled: 1-line block ×3, first 2 shown]
	v_addc_co_u32_e64 v71, s[4:5], 0, v85, s[4:5]
	v_addc_co_u32_e64 v69, s[4:5], 0, v85, s[10:11]
	;; [unrolled: 1-line block ×3, first 2 shown]
	s_waitcnt vmcnt(5) lgkmcnt(14)
	v_mul_f32_e32 v80, v4, v80
	v_mul_f32_e32 v81, v5, v81
	s_waitcnt vmcnt(4)
	v_fmac_f32_e32 v80, v2, v86
	v_fmac_f32_e32 v81, v3, v87
	global_load_dwordx2 v[86:87], v[84:85], off offset:3072
	s_waitcnt vmcnt(4) lgkmcnt(13)
	v_fmac_f32_e32 v80, v6, v88
	global_load_dwordx2 v[84:85], v[84:85], off offset:3584
	v_fmac_f32_e32 v81, v7, v89
	global_load_dwordx2 v[88:89], v[68:69], off offset:-4096
	s_waitcnt vmcnt(5)
	v_fmac_f32_e32 v80, v8, v90
	v_fmac_f32_e32 v81, v9, v91
	global_load_dwordx2 v[90:91], v[70:71], off offset:512
	s_waitcnt vmcnt(5) lgkmcnt(12)
	v_fmac_f32_e32 v80, v10, v92
	v_fmac_f32_e32 v81, v11, v93
	global_load_dwordx2 v[92:93], v[70:71], off offset:1024
	s_waitcnt vmcnt(5)
	v_fmac_f32_e32 v80, v12, v94
	v_fmac_f32_e32 v81, v13, v95
	global_load_dwordx2 v[94:95], v[70:71], off offset:1536
	s_waitcnt vmcnt(5) lgkmcnt(11)
	v_fmac_f32_e32 v80, v14, v86
	v_fmac_f32_e32 v81, v15, v87
	global_load_dwordx2 v[86:87], v[70:71], off offset:2048
	;; [unrolled: 8-line block ×3, first 2 shown]
	s_nop 0
	global_load_dwordx2 v[70:71], v[70:71], off offset:3584
	s_waitcnt vmcnt(6)
	v_fmac_f32_e32 v80, v20, v90
	v_fmac_f32_e32 v81, v21, v91
	global_load_dwordx2 v[90:91], v[68:69], off
	s_waitcnt vmcnt(6) lgkmcnt(9)
	v_fmac_f32_e32 v80, v22, v92
	v_fmac_f32_e32 v81, v23, v93
	global_load_dwordx2 v[92:93], v[68:69], off offset:512
	s_waitcnt vmcnt(6)
	v_fmac_f32_e32 v80, v24, v94
	v_fmac_f32_e32 v81, v25, v95
	global_load_dwordx2 v[94:95], v[68:69], off offset:1024
	s_waitcnt vmcnt(6) lgkmcnt(8)
	v_fmac_f32_e32 v80, v26, v86
	v_fmac_f32_e32 v81, v27, v87
	global_load_dwordx2 v[86:87], v[68:69], off offset:1536
	s_waitcnt vmcnt(6)
	v_fmac_f32_e32 v80, v28, v84
	v_fmac_f32_e32 v81, v29, v85
	global_load_dwordx2 v[84:85], v[68:69], off offset:2048
	s_waitcnt vmcnt(6) lgkmcnt(7)
	v_fmac_f32_e32 v80, v30, v88
	v_fmac_f32_e32 v81, v31, v89
	s_waitcnt vmcnt(5)
	v_fmac_f32_e32 v80, v32, v70
	v_fmac_f32_e32 v81, v33, v71
	global_load_dwordx2 v[70:71], v[68:69], off offset:2560
	global_load_dwordx2 v[88:89], v[64:65], off
	s_waitcnt vmcnt(6) lgkmcnt(6)
	v_fmac_f32_e32 v80, v34, v90
	v_fmac_f32_e32 v81, v35, v91
	global_load_dwordx2 v[90:91], v[68:69], off offset:3072
	s_nop 0
	global_load_dwordx2 v[68:69], v[68:69], off offset:3584
	s_waitcnt vmcnt(7)
	v_fmac_f32_e32 v80, v36, v92
	v_fmac_f32_e32 v81, v37, v93
	global_load_dwordx2 v[92:93], v[64:65], off offset:512
	s_waitcnt vmcnt(7) lgkmcnt(5)
	v_fmac_f32_e32 v80, v38, v94
	v_fmac_f32_e32 v81, v39, v95
	global_load_dwordx2 v[94:95], v[64:65], off offset:1024
	s_waitcnt vmcnt(7)
	v_fmac_f32_e32 v80, v40, v86
	v_fmac_f32_e32 v81, v41, v87
	global_load_dwordx2 v[86:87], v[64:65], off offset:1536
	s_waitcnt vmcnt(7) lgkmcnt(4)
	v_fmac_f32_e32 v80, v42, v84
	v_fmac_f32_e32 v81, v43, v85
	global_load_dwordx2 v[84:85], v[64:65], off offset:2048
	s_nop 0
	global_load_dwordx2 v[64:65], v[64:65], off offset:2560
	s_waitcnt vmcnt(8)
	v_fmac_f32_e32 v80, v44, v70
	v_fmac_f32_e32 v81, v45, v71
	s_waitcnt vmcnt(6) lgkmcnt(3)
	v_fmac_f32_e32 v80, v46, v90
	v_fmac_f32_e32 v81, v47, v91
	s_waitcnt vmcnt(5)
	v_fmac_f32_e32 v80, v48, v68
	v_fmac_f32_e32 v81, v49, v69
	s_waitcnt lgkmcnt(2)
	v_fmac_f32_e32 v80, v50, v88
	v_fmac_f32_e32 v81, v51, v89
	s_waitcnt vmcnt(4)
	v_fmac_f32_e32 v80, v52, v92
	v_fmac_f32_e32 v81, v53, v93
	s_waitcnt vmcnt(3) lgkmcnt(1)
	v_fmac_f32_e32 v80, v54, v94
	v_fmac_f32_e32 v81, v55, v95
	s_waitcnt vmcnt(2)
	v_fmac_f32_e32 v80, v56, v86
	v_fmac_f32_e32 v81, v57, v87
	s_waitcnt vmcnt(1) lgkmcnt(0)
	v_fmac_f32_e32 v80, v58, v84
	v_fmac_f32_e32 v81, v59, v85
	s_waitcnt vmcnt(0)
	v_fmac_f32_e32 v80, v60, v64
	v_fmac_f32_e32 v81, v61, v65
	v_add_f32_e32 v64, v80, v81
	ds_bpermute_b32 v65, v76, v64
	s_and_saveexec_b64 s[10:11], vcc
	s_cbranch_execz .LBB59_9
; %bb.11:                               ;   in Loop: Header=BB59_10 Depth=1
	v_add_u32_e32 v68, s19, v77
	v_cvt_f32_i32_e32 v68, v68
	s_waitcnt lgkmcnt(0)
	v_add_f32_e32 v64, v64, v65
	v_cmp_gt_i32_e64 s[4:5], s27, v77
	v_max_f32_e32 v65, v75, v75
	v_mul_f32_e32 v68, s42, v68
	v_cndmask_b32_e64 v68, 0, v68, s[2:3]
	v_fmac_f32_e32 v68, s37, v64
	v_cndmask_b32_e64 v64, 0, v68, s[4:5]
	ds_write_b32 v78, v64
	v_max_f32_e32 v64, v65, v68
	v_cndmask_b32_e64 v75, v75, v64, s[4:5]
	s_branch .LBB59_9
.LBB59_12:
	s_or_b64 exec, exec, s[40:41]
.LBB59_13:
	s_or_b64 exec, exec, s[38:39]
	v_xor_b32_e32 v1, 32, v72
	v_cmp_lt_i32_e32 vcc, v1, v73
	v_cndmask_b32_e32 v1, v72, v1, vcc
	v_lshlrev_b32_e32 v2, 2, v1
	ds_bpermute_b32 v1, v2, v75
	v_xor_b32_e32 v4, 16, v72
	v_max_f32_e32 v3, v75, v75
	v_cmp_lt_i32_e32 vcc, v4, v73
	v_xor_b32_e32 v5, 8, v72
	s_waitcnt lgkmcnt(0)
	v_max_f32_e32 v1, v1, v1
	v_max_f32_e32 v1, v3, v1
	v_cndmask_b32_e32 v3, v72, v4, vcc
	v_lshlrev_b32_e32 v3, 2, v3
	ds_bpermute_b32 v4, v3, v1
	v_cmp_lt_i32_e32 vcc, v5, v73
	v_xor_b32_e32 v6, 4, v72
	s_waitcnt lgkmcnt(0)
	v_max_f32_e32 v4, v4, v4
	v_max_f32_e32 v1, v1, v4
	v_cndmask_b32_e32 v4, v72, v5, vcc
	v_lshlrev_b32_e32 v5, 2, v4
	ds_bpermute_b32 v4, v5, v1
	v_cmp_lt_i32_e32 vcc, v6, v73
	s_waitcnt lgkmcnt(0)
	v_max_f32_e32 v4, v4, v4
	v_max_f32_e32 v1, v1, v4
	v_cndmask_b32_e32 v4, v72, v6, vcc
	v_lshlrev_b32_e32 v84, 2, v4
	ds_bpermute_b32 v4, v84, v1
	v_xor_b32_e32 v6, 2, v72
	v_cmp_lt_i32_e32 vcc, v6, v73
	s_waitcnt lgkmcnt(0)
	v_max_f32_e32 v4, v4, v4
	v_max_f32_e32 v4, v1, v4
	v_cndmask_b32_e32 v1, v72, v6, vcc
	v_lshlrev_b32_e32 v85, 2, v1
	ds_bpermute_b32 v7, v85, v4
	v_and_b32_e32 v1, 63, v0
	v_cmp_eq_u32_e32 vcc, 0, v1
	v_lshlrev_b32_e32 v6, 2, v83
	s_and_saveexec_b64 s[2:3], vcc
	s_cbranch_execz .LBB59_15
; %bb.14:
	s_waitcnt lgkmcnt(0)
	v_max_f32_e32 v7, v7, v7
	v_max_f32_e32 v4, v4, v4
	;; [unrolled: 1-line block ×3, first 2 shown]
	ds_write_b32 v6, v4 offset:480
.LBB59_15:
	s_or_b64 exec, exec, s[2:3]
	v_cmp_gt_u32_e64 s[2:3], 2, v1
	v_mov_b32_e32 v4, 0xff7fffff
	s_waitcnt lgkmcnt(0)
	v_lshlrev_b32_e32 v7, 2, v1
	s_barrier
	s_and_saveexec_b64 s[4:5], s[2:3]
	s_cbranch_execz .LBB59_17
; %bb.16:
	ds_read_b32 v4, v7 offset:480
.LBB59_17:
	s_or_b64 exec, exec, s[4:5]
	v_xor_b32_e32 v8, 1, v72
	v_cmp_lt_i32_e64 s[4:5], v8, v73
	v_cndmask_b32_e64 v8, v72, v8, s[4:5]
	v_lshlrev_b32_e32 v86, 2, v8
	s_waitcnt lgkmcnt(0)
	ds_bpermute_b32 v8, v86, v4
	v_max_f32_e32 v4, v4, v4
	s_sub_i32 s4, s16, s36
	s_lshl_b32 s4, s4, 5
	s_add_i32 s4, s4, s33
	s_waitcnt lgkmcnt(0)
	v_max_f32_e32 v8, v8, v8
	v_max_f32_e32 v4, v4, v8
	v_lshlrev_b32_e32 v8, 2, v72
	v_and_b32_e32 v8, 0xffffff00, v8
	ds_bpermute_b32 v4, v8, v4
	s_min_i32 s38, s4, s27
	s_sub_i32 s19, s38, s33
	v_cmp_gt_i32_e64 s[4:5], s19, v0
	v_mov_b32_e32 v9, 0
	s_and_saveexec_b64 s[12:13], s[4:5]
	s_cbranch_execz .LBB59_21
; %bb.18:
	v_mov_b32_e32 v9, 0x1f0
	v_lshl_add_u32 v10, v0, 2, v9
	s_mov_b64 s[36:37], 0
	v_mov_b32_e32 v9, 0
	v_mov_b32_e32 v11, v0
.LBB59_19:                              ; =>This Inner Loop Header: Depth=1
	ds_read_b32 v12, v10
	v_add_u32_e32 v11, 0x80, v11
	v_cmp_le_i32_e64 s[10:11], s19, v11
	s_or_b64 s[36:37], s[10:11], s[36:37]
	s_waitcnt lgkmcnt(0)
	v_sub_f32_e32 v12, v12, v4
	v_mul_f32_e32 v12, 0x3fb8aa3b, v12
	v_exp_f32_e32 v12, v12
	ds_write_b32 v10, v12
	v_add_f32_e32 v9, v9, v12
	v_add_u32_e32 v10, 0x200, v10
	s_andn2_b64 exec, exec, s[36:37]
	s_cbranch_execnz .LBB59_19
; %bb.20:
	s_or_b64 exec, exec, s[36:37]
.LBB59_21:
	s_or_b64 exec, exec, s[12:13]
	ds_bpermute_b32 v2, v2, v9
	s_waitcnt lgkmcnt(0)
	v_add_f32_e32 v2, v9, v2
	ds_bpermute_b32 v3, v3, v2
	s_waitcnt lgkmcnt(0)
	v_add_f32_e32 v2, v2, v3
	;; [unrolled: 3-line block ×6, first 2 shown]
	s_and_saveexec_b64 s[10:11], vcc
	s_cbranch_execz .LBB59_23
; %bb.22:
	ds_write_b32 v6, v2 offset:488
.LBB59_23:
	s_or_b64 exec, exec, s[10:11]
	s_waitcnt lgkmcnt(0)
	s_barrier
	s_and_saveexec_b64 s[10:11], s[2:3]
	s_cbranch_execz .LBB59_25
; %bb.24:
	ds_read_b32 v2, v7 offset:488
.LBB59_25:
	s_or_b64 exec, exec, s[10:11]
	s_waitcnt lgkmcnt(0)
	ds_bpermute_b32 v3, v86, v2
	s_waitcnt lgkmcnt(0)
	v_add_f32_e32 v2, v2, v3
	ds_bpermute_b32 v5, v8, v2
	s_and_saveexec_b64 s[2:3], s[4:5]
	s_cbranch_execz .LBB59_38
; %bb.26:
	s_waitcnt lgkmcnt(0)
	v_add_f32_e32 v2, 0x358637bd, v5
	v_div_scale_f32 v3, s[4:5], v2, v2, 1.0
	v_rcp_f32_e32 v6, v3
	v_div_scale_f32 v7, vcc, 1.0, v2, 1.0
	s_movk_i32 s4, 0x7f
	v_fma_f32 v8, -v3, v6, 1.0
	v_fmac_f32_e32 v6, v8, v6
	v_mul_f32_e32 v8, v7, v6
	v_fma_f32 v9, -v3, v8, v7
	v_fmac_f32_e32 v8, v9, v6
	v_fma_f32 v3, -v3, v8, v7
	v_div_fmas_f32 v3, v3, v6, v8
	v_div_fixup_f32 v2, v3, v2, 1.0
	v_xad_u32 v3, v0, -1, s38
	v_subrev_u32_e32 v6, s33, v3
	v_cmp_lt_u32_e32 vcc, s4, v6
	s_mov_b64 s[10:11], -1
	v_mov_b32_e32 v3, v0
	s_and_saveexec_b64 s[4:5], vcc
	s_cbranch_execz .LBB59_35
; %bb.27:
	v_lshrrev_b32_e32 v6, 7, v6
	v_add_u32_e32 v8, -1, v6
	v_lshrrev_b32_e32 v7, 1, v8
	v_mov_b32_e32 v3, v2
	v_add_u32_e32 v7, 1, v7
	v_cmp_lt_u32_e32 vcc, 13, v8
	v_mov_b32_e32 v10, 0
	s_and_saveexec_b64 s[10:11], vcc
	s_cbranch_execz .LBB59_31
; %bb.28:
	v_mov_b32_e32 v9, 0x1f0
	v_and_b32_e32 v8, -8, v7
	v_lshl_add_u32 v9, v0, 2, v9
	s_mov_b32 s36, 0
	s_mov_b64 s[12:13], 0
.LBB59_29:                              ; =>This Inner Loop Header: Depth=1
	ds_read2st64_b32 v[10:11], v9 offset1:2
	ds_read2st64_b32 v[12:13], v9 offset0:4 offset1:6
	ds_read2st64_b32 v[14:15], v9 offset0:8 offset1:10
	;; [unrolled: 1-line block ×3, first 2 shown]
	v_add_u32_e32 v8, -8, v8
	s_waitcnt lgkmcnt(3)
	v_pk_mul_f32 v[10:11], v[2:3], v[10:11]
	s_waitcnt lgkmcnt(2)
	v_pk_mul_f32 v[12:13], v[2:3], v[12:13]
	ds_write2st64_b32 v9, v10, v11 offset1:2
	ds_write2st64_b32 v9, v12, v13 offset0:4 offset1:6
	ds_read2st64_b32 v[12:13], v9 offset0:16 offset1:18
	s_waitcnt lgkmcnt(4)
	v_pk_mul_f32 v[10:11], v[2:3], v[14:15]
	ds_write2st64_b32 v9, v10, v11 offset0:8 offset1:10
	s_waitcnt lgkmcnt(4)
	v_pk_mul_f32 v[10:11], v[2:3], v[16:17]
	ds_write2st64_b32 v9, v10, v11 offset0:12 offset1:14
	ds_read2st64_b32 v[10:11], v9 offset0:20 offset1:22
	s_waitcnt lgkmcnt(3)
	v_pk_mul_f32 v[12:13], v[2:3], v[12:13]
	ds_read2st64_b32 v[14:15], v9 offset0:24 offset1:26
	ds_write2st64_b32 v9, v12, v13 offset0:16 offset1:18
	ds_read2st64_b32 v[12:13], v9 offset0:28 offset1:30
	s_waitcnt lgkmcnt(3)
	v_pk_mul_f32 v[10:11], v[2:3], v[10:11]
	ds_write2st64_b32 v9, v10, v11 offset0:20 offset1:22
	s_waitcnt lgkmcnt(3)
	v_pk_mul_f32 v[10:11], v[2:3], v[14:15]
	ds_write2st64_b32 v9, v10, v11 offset0:24 offset1:26
	s_waitcnt lgkmcnt(2)
	v_pk_mul_f32 v[10:11], v[2:3], v[12:13]
	s_add_i32 s36, s36, 16
	v_cmp_eq_u32_e32 vcc, 0, v8
	ds_write2st64_b32 v9, v10, v11 offset0:28 offset1:30
	v_add_u32_e32 v9, 0x2000, v9
	s_or_b64 s[12:13], vcc, s[12:13]
	v_mov_b32_e32 v10, s36
	s_andn2_b64 exec, exec, s[12:13]
	s_cbranch_execnz .LBB59_29
; %bb.30:
	s_or_b64 exec, exec, s[12:13]
.LBB59_31:
	s_or_b64 exec, exec, s[10:11]
	v_and_b32_e32 v7, 7, v7
	v_cmp_ne_u32_e32 vcc, 0, v7
	s_and_saveexec_b64 s[10:11], vcc
	s_cbranch_execz .LBB59_34
; %bb.32:
	v_lshlrev_b32_e32 v8, 9, v10
	s_movk_i32 s12, 0x1f0
	v_add3_u32 v8, v8, v82, s12
	s_mov_b64 s[12:13], 0
.LBB59_33:                              ; =>This Inner Loop Header: Depth=1
	ds_read2st64_b32 v[10:11], v8 offset1:2
	v_add_u32_e32 v7, -1, v7
	v_cmp_eq_u32_e32 vcc, 0, v7
	s_or_b64 s[12:13], vcc, s[12:13]
	s_waitcnt lgkmcnt(0)
	v_pk_mul_f32 v[10:11], v[2:3], v[10:11]
	ds_write2st64_b32 v8, v10, v11 offset1:2
	v_add_u32_e32 v8, 0x400, v8
	s_andn2_b64 exec, exec, s[12:13]
	s_cbranch_execnz .LBB59_33
.LBB59_34:
	s_or_b64 exec, exec, s[10:11]
	v_add_u32_e32 v6, 1, v6
	v_and_b32_e32 v7, 0x3fffffe, v6
	v_cmp_ne_u32_e32 vcc, v6, v7
	v_lshl_add_u32 v3, v7, 7, v0
	s_orn2_b64 s[10:11], vcc, exec
.LBB59_35:
	s_or_b64 exec, exec, s[4:5]
	s_and_b64 exec, exec, s[10:11]
	s_cbranch_execz .LBB59_38
; %bb.36:
	v_mov_b32_e32 v6, 0x1f0
	v_lshl_add_u32 v6, v3, 2, v6
	s_mov_b64 s[4:5], 0
.LBB59_37:                              ; =>This Inner Loop Header: Depth=1
	ds_read_b32 v7, v6
	v_add_u32_e32 v3, 0x80, v3
	v_cmp_le_i32_e32 vcc, s19, v3
	s_or_b64 s[4:5], vcc, s[4:5]
	s_waitcnt lgkmcnt(0)
	v_mul_f32_e32 v7, v2, v7
	ds_write_b32 v6, v7
	v_add_u32_e32 v6, 0x200, v6
	s_andn2_b64 exec, exec, s[4:5]
	s_cbranch_execnz .LBB59_37
.LBB59_38:
	s_or_b64 exec, exec, s[2:3]
	s_mul_i32 s2, s15, s26
	v_cmp_eq_u32_e32 vcc, 0, v0
	s_mul_i32 s2, s2, s9
	s_waitcnt lgkmcnt(0)
	s_barrier
	s_and_saveexec_b64 s[4:5], vcc
	s_cbranch_execz .LBB59_40
; %bb.39:
	s_ashr_i32 s3, s2, 31
	s_lshl_b64 s[10:11], s[2:3], 2
	s_add_u32 s3, s22, s10
	s_mul_i32 s12, s15, s6
	s_addc_u32 s9, s23, s11
	s_ashr_i32 s13, s12, 31
	s_lshl_b64 s[12:13], s[12:13], 2
	s_add_u32 s3, s3, s12
	s_addc_u32 s6, s9, s13
	s_ashr_i32 s9, s8, 31
	s_lshl_b64 s[22:23], s[8:9], 2
	s_add_u32 s36, s3, s22
	s_addc_u32 s37, s6, s23
	s_add_u32 s3, s20, s10
	s_addc_u32 s6, s21, s11
	;; [unrolled: 2-line block ×3, first 2 shown]
	s_add_u32 s10, s3, s22
	v_mov_b32_e32 v2, 0
	s_addc_u32 s11, s6, s23
	global_store_dword v2, v4, s[36:37]
	global_store_dword v2, v5, s[10:11]
.LBB59_40:
	s_or_b64 exec, exec, s[4:5]
	v_mov_b32_e32 v80, 0
	v_and_b32_e32 v87, 7, v0
	v_mov_b32_e32 v81, 0
	v_mov_b32_e32 v78, 0
	;; [unrolled: 1-line block ×14, first 2 shown]
	s_and_saveexec_b64 s[4:5], s[0:1]
	s_cbranch_execz .LBB59_74
; %bb.41:
	s_ashr_i32 s19, s18, 31
	s_lshl_b64 s[0:1], s[18:19], 2
	s_add_u32 s9, s34, s0
	v_and_b32_e32 v3, 28, v82
	s_addc_u32 s10, s35, s1
	s_add_i32 s12, s7, -1
	v_lshl_add_u32 v5, v83, 5, s33
	s_lshl_b64 s[0:1], s[30:31], 2
	v_add3_u32 v89, v5, v3, 3
	v_lshlrev_b32_e32 v3, 4, v87
	s_add_u32 s0, s28, s0
	v_and_b32_e32 v2, 0xfc, v82
	v_lshl_or_b32 v3, v83, 7, v3
	v_lshlrev_b64 v[26:27], 2, v[66:67]
	s_addc_u32 s1, s29, s1
	v_mov_b32_e32 v88, 0
	v_or_b32_e32 v4, 0x400, v2
	v_or_b32_e32 v6, 0x500, v2
	;; [unrolled: 1-line block ×11, first 2 shown]
	v_add_u32_e32 v90, 0x1f0, v3
	v_mov_b32_e32 v3, s1
	v_add_co_u32_e32 v82, vcc, s0, v26
	s_mov_b32 s3, s17
	v_addc_co_u32_e32 v83, vcc, v3, v27, vcc
	s_mov_b64 s[6:7], 0
	v_lshlrev_b32_e32 v67, 2, v2
	v_lshlrev_b32_e32 v91, 2, v4
	;; [unrolled: 1-line block ×12, first 2 shown]
	v_mov_b32_e32 v102, s10
	v_mov_b32_e32 v69, 0
	;; [unrolled: 1-line block ×15, first 2 shown]
	s_branch .LBB59_43
.LBB59_42:                              ;   in Loop: Header=BB59_43 Depth=1
	s_or_b64 exec, exec, s[0:1]
	s_waitcnt vmcnt(1) lgkmcnt(0)
	v_mul_f32_e32 v63, v3, v63
	v_mul_f32_e32 v59, v3, v59
	;; [unrolled: 1-line block ×14, first 2 shown]
	s_waitcnt vmcnt(0)
	v_mul_f32_e32 v3, v3, v55
	v_fmac_f32_e32 v63, v2, v62
	v_fmac_f32_e32 v59, v2, v58
	v_fmac_f32_e32 v51, v2, v50
	v_fmac_f32_e32 v47, v2, v46
	v_fmac_f32_e32 v43, v2, v42
	v_fmac_f32_e32 v39, v2, v38
	v_fmac_f32_e32 v35, v2, v34
	v_fmac_f32_e32 v31, v2, v30
	v_fmac_f32_e32 v27, v2, v26
	v_fmac_f32_e32 v23, v2, v22
	v_fmac_f32_e32 v19, v2, v18
	v_fmac_f32_e32 v15, v2, v14
	v_fmac_f32_e32 v11, v2, v10
	v_fmac_f32_e32 v7, v2, v6
	v_fmac_f32_e32 v3, v2, v54
	v_add_u32_e32 v66, 2, v66
	v_fmac_f32_e32 v63, v4, v64
	v_fmac_f32_e32 v59, v4, v60
	;; [unrolled: 1-line block ×15, first 2 shown]
	v_cmp_le_i32_e32 vcc, s16, v66
	v_fmac_f32_e32 v63, v5, v65
	v_fmac_f32_e32 v59, v5, v61
	;; [unrolled: 1-line block ×15, first 2 shown]
	s_or_b64 s[6:7], vcc, s[6:7]
	v_add_co_u32_e32 v82, vcc, 8, v82
	v_add_f32_e32 v69, v69, v63
	v_add_f32_e32 v68, v68, v59
	;; [unrolled: 1-line block ×15, first 2 shown]
	v_add_u32_e32 v89, 64, v89
	v_add_u32_e32 v90, 0x100, v90
	v_addc_co_u32_e32 v83, vcc, 0, v83, vcc
	s_andn2_b64 exec, exec, s[6:7]
	s_cbranch_execz .LBB59_73
.LBB59_43:                              ; =>This Inner Loop Header: Depth=1
	global_load_dword v2, v[82:83], off
	v_add_u32_e32 v103, -3, v89
	v_add_u32_e32 v105, -2, v89
	;; [unrolled: 1-line block ×3, first 2 shown]
	s_waitcnt vmcnt(0)
	v_mad_i64_i32 v[2:3], s[0:1], v2, s3, 0
	v_lshlrev_b64 v[2:3], 2, v[2:3]
	v_add_co_u32_e32 v54, vcc, s9, v2
	v_addc_co_u32_e32 v55, vcc, v102, v3, vcc
	v_add_co_u32_e32 v18, vcc, v54, v67
	v_addc_co_u32_e32 v19, vcc, 0, v55, vcc
	global_load_dwordx4 v[6:9], v[18:19], off
	ds_read_b128 v[2:5], v90
	v_cmp_eq_u32_e32 vcc, s12, v66
	s_and_saveexec_b64 s[10:11], vcc
	s_cbranch_execnz .LBB59_70
; %bb.44:                               ;   in Loop: Header=BB59_43 Depth=1
	s_or_b64 exec, exec, s[10:11]
	global_load_dwordx4 v[10:13], v[18:19], off offset:1024
	s_and_saveexec_b64 s[10:11], vcc
	s_cbranch_execnz .LBB59_71
.LBB59_45:                              ;   in Loop: Header=BB59_43 Depth=1
	s_or_b64 exec, exec, s[10:11]
	global_load_dwordx4 v[14:17], v[18:19], off offset:2048
	s_and_saveexec_b64 s[10:11], vcc
	s_cbranch_execnz .LBB59_72
.LBB59_46:                              ;   in Loop: Header=BB59_43 Depth=1
	s_or_b64 exec, exec, s[10:11]
	global_load_dwordx4 v[18:21], v[18:19], off offset:3072
	s_and_saveexec_b64 s[10:11], vcc
	s_cbranch_execz .LBB59_48
.LBB59_47:                              ;   in Loop: Header=BB59_43 Depth=1
	v_cmp_gt_i32_e64 s[0:1], s27, v103
	s_waitcnt vmcnt(0)
	v_cndmask_b32_e64 v18, 0, v18, s[0:1]
	v_cmp_gt_i32_e64 s[0:1], s27, v105
	v_cndmask_b32_e64 v19, 0, v19, s[0:1]
	v_cmp_gt_i32_e64 s[0:1], s27, v104
	;; [unrolled: 2-line block ×3, first 2 shown]
	v_cndmask_b32_e64 v21, 0, v21, s[0:1]
.LBB59_48:                              ;   in Loop: Header=BB59_43 Depth=1
	s_or_b64 exec, exec, s[10:11]
	v_add_co_u32_e64 v22, s[0:1], v54, v91
	v_addc_co_u32_e64 v23, s[0:1], 0, v55, s[0:1]
	global_load_dwordx4 v[22:25], v[22:23], off
	s_and_saveexec_b64 s[10:11], vcc
	s_cbranch_execz .LBB59_50
; %bb.49:                               ;   in Loop: Header=BB59_43 Depth=1
	v_cmp_gt_i32_e64 s[0:1], s27, v103
	s_waitcnt vmcnt(0)
	v_cndmask_b32_e64 v22, 0, v22, s[0:1]
	v_cmp_gt_i32_e64 s[0:1], s27, v105
	v_cndmask_b32_e64 v23, 0, v23, s[0:1]
	v_cmp_gt_i32_e64 s[0:1], s27, v104
	v_cndmask_b32_e64 v24, 0, v24, s[0:1]
	v_cmp_gt_i32_e64 s[0:1], s27, v89
	v_cndmask_b32_e64 v25, 0, v25, s[0:1]
.LBB59_50:                              ;   in Loop: Header=BB59_43 Depth=1
	s_or_b64 exec, exec, s[10:11]
	v_add_co_u32_e64 v26, s[0:1], v54, v92
	v_addc_co_u32_e64 v27, s[0:1], 0, v55, s[0:1]
	global_load_dwordx4 v[26:29], v[26:27], off
	s_and_saveexec_b64 s[10:11], vcc
	s_cbranch_execz .LBB59_52
; %bb.51:                               ;   in Loop: Header=BB59_43 Depth=1
	v_cmp_gt_i32_e64 s[0:1], s27, v103
	s_waitcnt vmcnt(0)
	v_cndmask_b32_e64 v26, 0, v26, s[0:1]
	v_cmp_gt_i32_e64 s[0:1], s27, v105
	v_cndmask_b32_e64 v27, 0, v27, s[0:1]
	v_cmp_gt_i32_e64 s[0:1], s27, v104
	v_cndmask_b32_e64 v28, 0, v28, s[0:1]
	v_cmp_gt_i32_e64 s[0:1], s27, v89
	v_cndmask_b32_e64 v29, 0, v29, s[0:1]
.LBB59_52:                              ;   in Loop: Header=BB59_43 Depth=1
	;; [unrolled: 17-line block ×10, first 2 shown]
	s_or_b64 exec, exec, s[10:11]
	v_add_co_u32_e64 v54, s[0:1], v54, v101
	v_addc_co_u32_e64 v55, s[0:1], 0, v55, s[0:1]
	global_load_dwordx4 v[54:57], v[54:55], off
	s_and_saveexec_b64 s[0:1], vcc
	s_cbranch_execz .LBB59_42
; %bb.69:                               ;   in Loop: Header=BB59_43 Depth=1
	v_cmp_gt_i32_e32 vcc, s27, v103
	s_waitcnt vmcnt(0)
	v_cndmask_b32_e32 v54, 0, v54, vcc
	v_cmp_gt_i32_e32 vcc, s27, v105
	v_cndmask_b32_e32 v55, 0, v55, vcc
	v_cmp_gt_i32_e32 vcc, s27, v104
	;; [unrolled: 2-line block ×3, first 2 shown]
	v_cndmask_b32_e32 v57, 0, v57, vcc
	s_branch .LBB59_42
.LBB59_70:                              ;   in Loop: Header=BB59_43 Depth=1
	v_cmp_gt_i32_e64 s[0:1], s27, v103
	s_waitcnt vmcnt(0)
	v_cndmask_b32_e64 v6, 0, v6, s[0:1]
	v_cmp_gt_i32_e64 s[0:1], s27, v105
	v_cndmask_b32_e64 v7, 0, v7, s[0:1]
	v_cmp_gt_i32_e64 s[0:1], s27, v104
	v_cndmask_b32_e64 v8, 0, v8, s[0:1]
	v_cmp_gt_i32_e64 s[0:1], s27, v89
	v_cndmask_b32_e64 v9, 0, v9, s[0:1]
	s_or_b64 exec, exec, s[10:11]
	global_load_dwordx4 v[10:13], v[18:19], off offset:1024
	s_and_saveexec_b64 s[10:11], vcc
	s_cbranch_execz .LBB59_45
.LBB59_71:                              ;   in Loop: Header=BB59_43 Depth=1
	v_cmp_gt_i32_e64 s[0:1], s27, v103
	s_waitcnt vmcnt(0)
	v_cndmask_b32_e64 v10, 0, v10, s[0:1]
	v_cmp_gt_i32_e64 s[0:1], s27, v105
	v_cndmask_b32_e64 v11, 0, v11, s[0:1]
	v_cmp_gt_i32_e64 s[0:1], s27, v104
	;; [unrolled: 2-line block ×3, first 2 shown]
	v_cndmask_b32_e64 v13, 0, v13, s[0:1]
	s_or_b64 exec, exec, s[10:11]
	global_load_dwordx4 v[14:17], v[18:19], off offset:2048
	s_and_saveexec_b64 s[10:11], vcc
	s_cbranch_execz .LBB59_46
.LBB59_72:                              ;   in Loop: Header=BB59_43 Depth=1
	v_cmp_gt_i32_e64 s[0:1], s27, v103
	s_waitcnt vmcnt(0)
	v_cndmask_b32_e64 v14, 0, v14, s[0:1]
	v_cmp_gt_i32_e64 s[0:1], s27, v105
	v_cndmask_b32_e64 v15, 0, v15, s[0:1]
	v_cmp_gt_i32_e64 s[0:1], s27, v104
	;; [unrolled: 2-line block ×3, first 2 shown]
	v_cndmask_b32_e64 v17, 0, v17, s[0:1]
	s_or_b64 exec, exec, s[10:11]
	global_load_dwordx4 v[18:21], v[18:19], off offset:3072
	s_and_saveexec_b64 s[10:11], vcc
	s_cbranch_execnz .LBB59_47
	s_branch .LBB59_48
.LBB59_73:
	s_or_b64 exec, exec, s[6:7]
.LBB59_74:
	s_or_b64 exec, exec, s[4:5]
	ds_bpermute_b32 v4, v84, v78
	ds_bpermute_b32 v5, v84, v79
	;; [unrolled: 1-line block ×6, first 2 shown]
	s_waitcnt lgkmcnt(4)
	v_pk_add_f32 v[4:5], v[78:79], v[4:5]
	ds_bpermute_b32 v8, v85, v4
	ds_bpermute_b32 v9, v85, v5
	s_waitcnt lgkmcnt(4)
	v_pk_add_f32 v[2:3], v[80:81], v[2:3]
	ds_bpermute_b32 v6, v85, v2
	ds_bpermute_b32 v7, v85, v3
	;; [unrolled: 1-line block ×3, first 2 shown]
	s_waitcnt lgkmcnt(3)
	v_pk_add_f32 v[4:5], v[4:5], v[8:9]
	v_pk_add_f32 v[8:9], v[76:77], v[10:11]
	ds_bpermute_b32 v10, v85, v8
	ds_bpermute_b32 v11, v85, v9
	;; [unrolled: 1-line block ×3, first 2 shown]
	s_waitcnt lgkmcnt(4)
	v_pk_add_f32 v[2:3], v[2:3], v[6:7]
	ds_bpermute_b32 v6, v86, v2
	ds_bpermute_b32 v7, v86, v3
	s_waitcnt lgkmcnt(3)
	v_pk_add_f32 v[8:9], v[8:9], v[10:11]
	s_waitcnt lgkmcnt(2)
	v_pk_add_f32 v[14:15], v[74:75], v[14:15]
	ds_bpermute_b32 v10, v86, v8
	ds_bpermute_b32 v11, v86, v9
	ds_bpermute_b32 v16, v85, v14
	ds_bpermute_b32 v17, v85, v15
	ds_bpermute_b32 v18, v84, v72
	ds_bpermute_b32 v19, v84, v73
	s_waitcnt lgkmcnt(6)
	v_pk_add_f32 v[6:7], v[2:3], v[6:7]
	s_waitcnt lgkmcnt(4)
	v_pk_add_f32 v[2:3], v[8:9], v[10:11]
	;; [unrolled: 2-line block ×3, first 2 shown]
	ds_bpermute_b32 v16, v84, v70
	ds_bpermute_b32 v17, v84, v71
	;; [unrolled: 1-line block ×4, first 2 shown]
	s_waitcnt lgkmcnt(4)
	v_pk_add_f32 v[10:11], v[72:73], v[18:19]
	ds_bpermute_b32 v18, v84, v68
	ds_bpermute_b32 v19, v84, v69
	s_waitcnt lgkmcnt(4)
	v_pk_add_f32 v[16:17], v[70:71], v[16:17]
	s_waitcnt lgkmcnt(2)
	v_pk_add_f32 v[4:5], v[4:5], v[12:13]
	ds_bpermute_b32 v12, v85, v10
	ds_bpermute_b32 v13, v85, v11
	;; [unrolled: 1-line block ×4, first 2 shown]
	s_waitcnt lgkmcnt(4)
	v_pk_add_f32 v[18:19], v[68:69], v[18:19]
	ds_bpermute_b32 v24, v84, v88
	ds_bpermute_b32 v22, v85, v18
	;; [unrolled: 1-line block ×3, first 2 shown]
	s_waitcnt lgkmcnt(5)
	v_pk_add_f32 v[10:11], v[10:11], v[12:13]
	s_waitcnt lgkmcnt(3)
	v_pk_add_f32 v[16:17], v[16:17], v[20:21]
	s_waitcnt lgkmcnt(2)
	v_add_f32_e32 v24, v88, v24
	ds_bpermute_b32 v12, v86, v10
	ds_bpermute_b32 v13, v86, v11
	;; [unrolled: 1-line block ×4, first 2 shown]
	s_waitcnt lgkmcnt(4)
	v_pk_add_f32 v[18:19], v[18:19], v[22:23]
	ds_bpermute_b32 v25, v85, v24
	ds_bpermute_b32 v14, v86, v8
	;; [unrolled: 1-line block ×5, first 2 shown]
	s_waitcnt lgkmcnt(7)
	v_pk_add_f32 v[12:13], v[10:11], v[12:13]
	s_waitcnt lgkmcnt(5)
	v_pk_add_f32 v[10:11], v[16:17], v[20:21]
	s_waitcnt lgkmcnt(4)
	v_add_f32_e32 v17, v24, v25
	s_waitcnt lgkmcnt(2)
	v_pk_add_f32 v[14:15], v[8:9], v[14:15]
	s_waitcnt lgkmcnt(0)
	v_pk_add_f32 v[8:9], v[18:19], v[22:23]
	ds_bpermute_b32 v18, v86, v17
	v_and_b32_e32 v16, 0x3c7, v0
	v_cmp_ne_u32_e32 vcc, 64, v16
	s_waitcnt lgkmcnt(0)
	s_barrier
	s_and_saveexec_b64 s[0:1], vcc
	s_xor_b64 s[0:1], exec, s[0:1]
; %bb.75:
                                        ; implicit-def: $vgpr1
; %bb.76:
	s_or_saveexec_b64 s[0:1], s[0:1]
	v_add_f32_e32 v17, v17, v18
	s_xor_b64 exec, exec, s[0:1]
	s_cbranch_execz .LBB59_78
; %bb.77:
	v_lshrrev_b32_e32 v1, 1, v1
	v_add_u32_e32 v1, 0x1f0, v1
	ds_write2_b32 v1, v6, v7 offset1:8
	ds_write2_b32 v1, v4, v5 offset0:16 offset1:24
	ds_write2_b32 v1, v2, v3 offset0:32 offset1:40
	;; [unrolled: 1-line block ×6, first 2 shown]
	ds_write_b32 v1, v17 offset:448
.LBB59_78:
	s_or_b64 exec, exec, s[0:1]
	v_cmp_gt_u32_e32 vcc, 64, v0
	s_waitcnt lgkmcnt(0)
	s_barrier
	s_and_saveexec_b64 s[0:1], vcc
	s_cbranch_execz .LBB59_96
; %bb.79:
	v_cmp_eq_u32_e32 vcc, 0, v87
	v_lshrrev_b32_e32 v1, 3, v0
	s_and_saveexec_b64 s[4:5], vcc
	s_cbranch_execnz .LBB59_99
; %bb.80:
	s_or_b64 exec, exec, s[4:5]
	s_and_saveexec_b64 s[4:5], vcc
	s_cbranch_execnz .LBB59_100
.LBB59_81:
	s_or_b64 exec, exec, s[4:5]
	s_and_saveexec_b64 s[4:5], vcc
	s_cbranch_execnz .LBB59_101
.LBB59_82:
	s_or_b64 exec, exec, s[4:5]
	s_and_saveexec_b64 s[4:5], vcc
	s_cbranch_execnz .LBB59_102
.LBB59_83:
	s_or_b64 exec, exec, s[4:5]
	s_and_saveexec_b64 s[4:5], vcc
	s_cbranch_execnz .LBB59_103
.LBB59_84:
	s_or_b64 exec, exec, s[4:5]
	s_and_saveexec_b64 s[4:5], vcc
	s_cbranch_execnz .LBB59_104
.LBB59_85:
	s_or_b64 exec, exec, s[4:5]
	s_and_saveexec_b64 s[4:5], vcc
	s_cbranch_execnz .LBB59_105
.LBB59_86:
	s_or_b64 exec, exec, s[4:5]
	s_and_saveexec_b64 s[4:5], vcc
	s_cbranch_execnz .LBB59_106
.LBB59_87:
	s_or_b64 exec, exec, s[4:5]
	s_and_saveexec_b64 s[4:5], vcc
	s_cbranch_execnz .LBB59_107
.LBB59_88:
	s_or_b64 exec, exec, s[4:5]
	s_and_saveexec_b64 s[4:5], vcc
	s_cbranch_execnz .LBB59_108
.LBB59_89:
	s_or_b64 exec, exec, s[4:5]
	s_and_saveexec_b64 s[4:5], vcc
	s_cbranch_execnz .LBB59_109
.LBB59_90:
	s_or_b64 exec, exec, s[4:5]
	s_and_saveexec_b64 s[4:5], vcc
	s_cbranch_execnz .LBB59_110
.LBB59_91:
	s_or_b64 exec, exec, s[4:5]
	s_and_saveexec_b64 s[4:5], vcc
	s_cbranch_execnz .LBB59_111
.LBB59_92:
	s_or_b64 exec, exec, s[4:5]
	s_and_saveexec_b64 s[4:5], vcc
	s_cbranch_execnz .LBB59_112
.LBB59_93:
	s_or_b64 exec, exec, s[4:5]
	s_and_saveexec_b64 s[4:5], vcc
	s_cbranch_execz .LBB59_95
.LBB59_94:
	v_mov_b32_e32 v18, 0x1f0
	v_lshl_add_u32 v1, v1, 2, v18
	ds_read_b32 v1, v1 offset:448
	s_waitcnt lgkmcnt(0)
	v_add_f32_e32 v17, v17, v1
.LBB59_95:
	s_or_b64 exec, exec, s[4:5]
.LBB59_96:
	s_or_b64 exec, exec, s[0:1]
	v_cmp_eq_u32_e32 vcc, 0, v16
	s_barrier
	s_and_saveexec_b64 s[0:1], vcc
	s_cbranch_execz .LBB59_98
; %bb.97:
	s_mul_i32 s0, s2, 0x78
	s_ashr_i32 s1, s0, 31
	s_lshl_b64 s[0:1], s[0:1], 2
	s_add_u32 s2, s24, s0
	s_mul_i32 s0, s15, s14
	s_addc_u32 s3, s25, s1
	s_ashr_i32 s1, s0, 31
	s_lshl_b64 s[0:1], s[0:1], 2
	s_add_u32 s2, s2, s0
	s_mul_i32 s0, s8, 0x78
	s_addc_u32 s3, s3, s1
	s_ashr_i32 s1, s0, 31
	s_lshl_b64 s[0:1], s[0:1], 2
	s_add_u32 s0, s2, s0
	s_addc_u32 s1, s3, s1
	v_lshrrev_b32_e32 v0, 1, v0
	global_store_dword v0, v6, s[0:1]
	global_store_dword v0, v7, s[0:1] offset:32
	global_store_dword v0, v4, s[0:1] offset:64
	;; [unrolled: 1-line block ×14, first 2 shown]
.LBB59_98:
	s_endpgm
.LBB59_99:
	v_mov_b32_e32 v18, 0x1f0
	v_lshl_add_u32 v18, v1, 2, v18
	ds_read_b32 v18, v18
	s_waitcnt lgkmcnt(0)
	v_add_f32_e32 v6, v6, v18
	s_or_b64 exec, exec, s[4:5]
	s_and_saveexec_b64 s[4:5], vcc
	s_cbranch_execz .LBB59_81
.LBB59_100:
	v_mov_b32_e32 v18, 0x1f0
	v_lshl_add_u32 v18, v1, 2, v18
	ds_read_b32 v18, v18 offset:32
	s_waitcnt lgkmcnt(0)
	v_add_f32_e32 v7, v7, v18
	s_or_b64 exec, exec, s[4:5]
	s_and_saveexec_b64 s[4:5], vcc
	s_cbranch_execz .LBB59_82
.LBB59_101:
	v_mov_b32_e32 v18, 0x1f0
	v_lshl_add_u32 v18, v1, 2, v18
	ds_read_b32 v18, v18 offset:64
	s_waitcnt lgkmcnt(0)
	v_add_f32_e32 v4, v4, v18
	s_or_b64 exec, exec, s[4:5]
	s_and_saveexec_b64 s[4:5], vcc
	s_cbranch_execz .LBB59_83
.LBB59_102:
	v_mov_b32_e32 v18, 0x1f0
	v_lshl_add_u32 v18, v1, 2, v18
	ds_read_b32 v18, v18 offset:96
	s_waitcnt lgkmcnt(0)
	v_add_f32_e32 v5, v5, v18
	s_or_b64 exec, exec, s[4:5]
	s_and_saveexec_b64 s[4:5], vcc
	s_cbranch_execz .LBB59_84
.LBB59_103:
	v_mov_b32_e32 v18, 0x1f0
	v_lshl_add_u32 v18, v1, 2, v18
	ds_read_b32 v18, v18 offset:128
	s_waitcnt lgkmcnt(0)
	v_add_f32_e32 v2, v2, v18
	s_or_b64 exec, exec, s[4:5]
	s_and_saveexec_b64 s[4:5], vcc
	s_cbranch_execz .LBB59_85
.LBB59_104:
	v_mov_b32_e32 v18, 0x1f0
	v_lshl_add_u32 v18, v1, 2, v18
	ds_read_b32 v18, v18 offset:160
	s_waitcnt lgkmcnt(0)
	v_add_f32_e32 v3, v3, v18
	s_or_b64 exec, exec, s[4:5]
	s_and_saveexec_b64 s[4:5], vcc
	s_cbranch_execz .LBB59_86
.LBB59_105:
	v_mov_b32_e32 v18, 0x1f0
	v_lshl_add_u32 v18, v1, 2, v18
	ds_read_b32 v18, v18 offset:192
	s_waitcnt lgkmcnt(0)
	v_add_f32_e32 v14, v14, v18
	s_or_b64 exec, exec, s[4:5]
	s_and_saveexec_b64 s[4:5], vcc
	s_cbranch_execz .LBB59_87
.LBB59_106:
	v_mov_b32_e32 v18, 0x1f0
	v_lshl_add_u32 v18, v1, 2, v18
	ds_read_b32 v18, v18 offset:224
	s_waitcnt lgkmcnt(0)
	v_add_f32_e32 v15, v15, v18
	s_or_b64 exec, exec, s[4:5]
	s_and_saveexec_b64 s[4:5], vcc
	s_cbranch_execz .LBB59_88
.LBB59_107:
	v_mov_b32_e32 v18, 0x1f0
	v_lshl_add_u32 v18, v1, 2, v18
	ds_read_b32 v18, v18 offset:256
	s_waitcnt lgkmcnt(0)
	v_add_f32_e32 v12, v12, v18
	s_or_b64 exec, exec, s[4:5]
	s_and_saveexec_b64 s[4:5], vcc
	s_cbranch_execz .LBB59_89
.LBB59_108:
	v_mov_b32_e32 v18, 0x1f0
	v_lshl_add_u32 v18, v1, 2, v18
	ds_read_b32 v18, v18 offset:288
	s_waitcnt lgkmcnt(0)
	v_add_f32_e32 v13, v13, v18
	s_or_b64 exec, exec, s[4:5]
	s_and_saveexec_b64 s[4:5], vcc
	s_cbranch_execz .LBB59_90
.LBB59_109:
	v_mov_b32_e32 v18, 0x1f0
	v_lshl_add_u32 v18, v1, 2, v18
	ds_read_b32 v18, v18 offset:320
	s_waitcnt lgkmcnt(0)
	v_add_f32_e32 v10, v10, v18
	s_or_b64 exec, exec, s[4:5]
	s_and_saveexec_b64 s[4:5], vcc
	s_cbranch_execz .LBB59_91
.LBB59_110:
	v_mov_b32_e32 v18, 0x1f0
	v_lshl_add_u32 v18, v1, 2, v18
	ds_read_b32 v18, v18 offset:352
	s_waitcnt lgkmcnt(0)
	v_add_f32_e32 v11, v11, v18
	s_or_b64 exec, exec, s[4:5]
	s_and_saveexec_b64 s[4:5], vcc
	s_cbranch_execz .LBB59_92
.LBB59_111:
	v_mov_b32_e32 v18, 0x1f0
	v_lshl_add_u32 v18, v1, 2, v18
	ds_read_b32 v18, v18 offset:384
	s_waitcnt lgkmcnt(0)
	v_add_f32_e32 v8, v8, v18
	s_or_b64 exec, exec, s[4:5]
	s_and_saveexec_b64 s[4:5], vcc
	s_cbranch_execz .LBB59_93
.LBB59_112:
	v_mov_b32_e32 v18, 0x1f0
	v_lshl_add_u32 v18, v1, 2, v18
	ds_read_b32 v18, v18 offset:416
	s_waitcnt lgkmcnt(0)
	v_add_f32_e32 v9, v9, v18
	s_or_b64 exec, exec, s[4:5]
	s_and_saveexec_b64 s[4:5], vcc
	s_cbranch_execnz .LBB59_94
	s_branch .LBB59_95
	.section	.rodata,"a",@progbits
	.p2align	6, 0x0
	.amdhsa_kernel _ZN4vllm25paged_attention_v2_kernelIffLi120ELi32ELi128ELNS_18Fp8KVCacheDataTypeE0ELb0ELi512EEEvPfS2_PT_PKS3_PKT0_S9_ifPKiSB_iPKfiiiSD_SD_iiiii
		.amdhsa_group_segment_fixed_size 496
		.amdhsa_private_segment_fixed_size 0
		.amdhsa_kernarg_size 400
		.amdhsa_user_sgpr_count 6
		.amdhsa_user_sgpr_private_segment_buffer 1
		.amdhsa_user_sgpr_dispatch_ptr 0
		.amdhsa_user_sgpr_queue_ptr 0
		.amdhsa_user_sgpr_kernarg_segment_ptr 1
		.amdhsa_user_sgpr_dispatch_id 0
		.amdhsa_user_sgpr_flat_scratch_init 0
		.amdhsa_user_sgpr_kernarg_preload_length 0
		.amdhsa_user_sgpr_kernarg_preload_offset 0
		.amdhsa_user_sgpr_private_segment_size 0
		.amdhsa_uses_dynamic_stack 0
		.amdhsa_system_sgpr_private_segment_wavefront_offset 0
		.amdhsa_system_sgpr_workgroup_id_x 1
		.amdhsa_system_sgpr_workgroup_id_y 1
		.amdhsa_system_sgpr_workgroup_id_z 1
		.amdhsa_system_sgpr_workgroup_info 0
		.amdhsa_system_vgpr_workitem_id 0
		.amdhsa_next_free_vgpr 106
		.amdhsa_next_free_sgpr 47
		.amdhsa_accum_offset 108
		.amdhsa_reserve_vcc 1
		.amdhsa_reserve_flat_scratch 0
		.amdhsa_float_round_mode_32 0
		.amdhsa_float_round_mode_16_64 0
		.amdhsa_float_denorm_mode_32 3
		.amdhsa_float_denorm_mode_16_64 3
		.amdhsa_dx10_clamp 1
		.amdhsa_ieee_mode 1
		.amdhsa_fp16_overflow 0
		.amdhsa_tg_split 0
		.amdhsa_exception_fp_ieee_invalid_op 0
		.amdhsa_exception_fp_denorm_src 0
		.amdhsa_exception_fp_ieee_div_zero 0
		.amdhsa_exception_fp_ieee_overflow 0
		.amdhsa_exception_fp_ieee_underflow 0
		.amdhsa_exception_fp_ieee_inexact 0
		.amdhsa_exception_int_div_zero 0
	.end_amdhsa_kernel
	.section	.text._ZN4vllm25paged_attention_v2_kernelIffLi120ELi32ELi128ELNS_18Fp8KVCacheDataTypeE0ELb0ELi512EEEvPfS2_PT_PKS3_PKT0_S9_ifPKiSB_iPKfiiiSD_SD_iiiii,"axG",@progbits,_ZN4vllm25paged_attention_v2_kernelIffLi120ELi32ELi128ELNS_18Fp8KVCacheDataTypeE0ELb0ELi512EEEvPfS2_PT_PKS3_PKT0_S9_ifPKiSB_iPKfiiiSD_SD_iiiii,comdat
.Lfunc_end59:
	.size	_ZN4vllm25paged_attention_v2_kernelIffLi120ELi32ELi128ELNS_18Fp8KVCacheDataTypeE0ELb0ELi512EEEvPfS2_PT_PKS3_PKT0_S9_ifPKiSB_iPKfiiiSD_SD_iiiii, .Lfunc_end59-_ZN4vllm25paged_attention_v2_kernelIffLi120ELi32ELi128ELNS_18Fp8KVCacheDataTypeE0ELb0ELi512EEEvPfS2_PT_PKS3_PKT0_S9_ifPKiSB_iPKfiiiSD_SD_iiiii
                                        ; -- End function
	.section	.AMDGPU.csdata,"",@progbits
; Kernel info:
; codeLenInByte = 7508
; NumSgprs: 51
; NumVgprs: 106
; NumAgprs: 0
; TotalNumVgprs: 106
; ScratchSize: 0
; MemoryBound: 0
; FloatMode: 240
; IeeeMode: 1
; LDSByteSize: 496 bytes/workgroup (compile time only)
; SGPRBlocks: 6
; VGPRBlocks: 13
; NumSGPRsForWavesPerEU: 51
; NumVGPRsForWavesPerEU: 106
; AccumOffset: 108
; Occupancy: 4
; WaveLimiterHint : 1
; COMPUTE_PGM_RSRC2:SCRATCH_EN: 0
; COMPUTE_PGM_RSRC2:USER_SGPR: 6
; COMPUTE_PGM_RSRC2:TRAP_HANDLER: 0
; COMPUTE_PGM_RSRC2:TGID_X_EN: 1
; COMPUTE_PGM_RSRC2:TGID_Y_EN: 1
; COMPUTE_PGM_RSRC2:TGID_Z_EN: 1
; COMPUTE_PGM_RSRC2:TIDIG_COMP_CNT: 0
; COMPUTE_PGM_RSRC3_GFX90A:ACCUM_OFFSET: 26
; COMPUTE_PGM_RSRC3_GFX90A:TG_SPLIT: 0
	.section	.text._ZN4vllm25paged_attention_v2_kernelIffLi128ELi32ELi128ELNS_18Fp8KVCacheDataTypeE0ELb0ELi512EEEvPfS2_PT_PKS3_PKT0_S9_ifPKiSB_iPKfiiiSD_SD_iiiii,"axG",@progbits,_ZN4vllm25paged_attention_v2_kernelIffLi128ELi32ELi128ELNS_18Fp8KVCacheDataTypeE0ELb0ELi512EEEvPfS2_PT_PKS3_PKT0_S9_ifPKiSB_iPKfiiiSD_SD_iiiii,comdat
	.protected	_ZN4vllm25paged_attention_v2_kernelIffLi128ELi32ELi128ELNS_18Fp8KVCacheDataTypeE0ELb0ELi512EEEvPfS2_PT_PKS3_PKT0_S9_ifPKiSB_iPKfiiiSD_SD_iiiii ; -- Begin function _ZN4vllm25paged_attention_v2_kernelIffLi128ELi32ELi128ELNS_18Fp8KVCacheDataTypeE0ELb0ELi512EEEvPfS2_PT_PKS3_PKT0_S9_ifPKiSB_iPKfiiiSD_SD_iiiii
	.globl	_ZN4vllm25paged_attention_v2_kernelIffLi128ELi32ELi128ELNS_18Fp8KVCacheDataTypeE0ELb0ELi512EEEvPfS2_PT_PKS3_PKT0_S9_ifPKiSB_iPKfiiiSD_SD_iiiii
	.p2align	8
	.type	_ZN4vllm25paged_attention_v2_kernelIffLi128ELi32ELi128ELNS_18Fp8KVCacheDataTypeE0ELb0ELi512EEEvPfS2_PT_PKS3_PKT0_S9_ifPKiSB_iPKfiiiSD_SD_iiiii,@function
_ZN4vllm25paged_attention_v2_kernelIffLi128ELi32ELi128ELNS_18Fp8KVCacheDataTypeE0ELb0ELi512EEEvPfS2_PT_PKS3_PKT0_S9_ifPKiSB_iPKfiiiSD_SD_iiiii: ; @_ZN4vllm25paged_attention_v2_kernelIffLi128ELi32ELi128ELNS_18Fp8KVCacheDataTypeE0ELb0ELi512EEEvPfS2_PT_PKS3_PKT0_S9_ifPKiSB_iPKfiiiSD_SD_iiiii
; %bb.0:
	s_load_dwordx2 s[0:1], s[4:5], 0x40
	s_mov_b32 s28, s7
	s_ashr_i32 s29, s7, 31
	s_lshl_b64 s[2:3], s[28:29], 2
	s_waitcnt lgkmcnt(0)
	s_add_u32 s0, s0, s2
	s_addc_u32 s1, s1, s3
	s_load_dword s29, s[0:1], 0x0
	s_lshl_b32 s33, s8, 9
	s_waitcnt lgkmcnt(0)
	s_cmp_ge_i32 s33, s29
	s_cbranch_scc1 .LBB60_101
; %bb.1:
	s_load_dword s9, s[4:5], 0x90
	s_load_dwordx2 s[38:39], s[4:5], 0x30
	s_waitcnt lgkmcnt(0)
	s_abs_i32 s2, s9
	s_abs_i32 s0, s38
	v_cvt_f32_u32_e32 v1, s0
	s_sub_i32 s3, 0, s0
	s_xor_b32 s1, s9, s38
	s_ashr_i32 s1, s1, 31
	v_rcp_iflag_f32_e32 v1, v1
	s_mov_b32 s38, 0
	v_mul_f32_e32 v1, 0x4f7ffffe, v1
	v_cvt_u32_f32_e32 v1, v1
	v_readfirstlane_b32 s7, v1
	s_mul_i32 s3, s3, s7
	s_mul_hi_u32 s3, s7, s3
	s_add_i32 s7, s7, s3
	s_mul_hi_u32 s3, s2, s7
	s_mul_i32 s7, s3, s0
	s_sub_i32 s2, s2, s7
	s_add_i32 s10, s3, 1
	s_sub_i32 s7, s2, s0
	s_cmp_ge_u32 s2, s0
	s_cselect_b32 s3, s10, s3
	s_cselect_b32 s2, s7, s2
	s_add_i32 s7, s3, 1
	s_cmp_ge_u32 s2, s0
	s_cselect_b32 s0, s7, s3
	s_xor_b32 s0, s0, s1
	s_sub_i32 s2, s0, s1
	s_abs_i32 s10, s2
	v_cvt_f32_u32_e32 v1, s10
	s_load_dwordx2 s[0:1], s[4:5], 0x50
	s_sub_i32 s3, 0, s10
	s_abs_i32 s11, s6
	v_rcp_iflag_f32_e32 v1, v1
	v_mul_f32_e32 v1, 0x4f7ffffe, v1
	v_cvt_u32_f32_e32 v1, v1
	v_readfirstlane_b32 s7, v1
	s_mul_i32 s3, s3, s7
	s_mul_hi_u32 s3, s7, s3
	s_add_i32 s7, s7, s3
	s_waitcnt lgkmcnt(0)
	s_cmp_eq_u64 s[0:1], 0
	s_mul_hi_u32 s12, s11, s7
	s_cbranch_scc1 .LBB60_3
; %bb.2:
	s_ashr_i32 s7, s6, 31
	s_lshl_b64 s[14:15], s[6:7], 2
	s_add_u32 s0, s0, s14
	s_addc_u32 s1, s1, s15
	s_load_dword s38, s[0:1], 0x0
.LBB60_3:
	s_load_dwordx4 s[16:19], s[4:5], 0x58
	s_ashr_i32 s13, s6, 31
	s_ashr_i32 s14, s2, 31
	v_and_b32_e32 v42, 1, v0
	s_lshl_b32 s24, s6, 7
	v_cmp_gt_u32_e64 s[0:1], 64, v0
	v_lshlrev_b32_e32 v1, 3, v0
	v_lshlrev_b32_e32 v88, 2, v0
	s_and_saveexec_b64 s[2:3], s[0:1]
	s_cbranch_execz .LBB60_5
; %bb.4:
	s_load_dwordx2 s[20:21], s[4:5], 0x18
	s_waitcnt lgkmcnt(0)
	s_mul_i32 s22, s28, s16
	s_ashr_i32 s23, s22, 31
	s_lshl_b64 s[22:23], s[22:23], 2
	v_and_b32_e32 v4, 0xff8, v88
	s_add_u32 s7, s20, s22
	s_addc_u32 s15, s21, s23
	s_ashr_i32 s25, s24, 31
	s_lshl_b64 s[20:21], s[24:25], 2
	s_add_u32 s20, s7, s20
	s_addc_u32 s21, s15, s21
	global_load_dwordx2 v[2:3], v1, s[20:21]
	v_lshl_add_u32 v4, v42, 8, v4
	s_waitcnt vmcnt(0)
	ds_write_b64 v4, v[2:3]
.LBB60_5:
	s_or_b64 exec, exec, s[2:3]
	s_add_i32 s2, s29, 31
	s_ashr_i32 s3, s2, 31
	s_lshr_b32 s3, s3, 27
	s_add_i32 s2, s2, s3
	s_lshl_b32 s7, s8, 4
	s_mul_i32 s3, s12, s10
	s_ashr_i32 s44, s2, 5
	s_add_i32 s2, s7, 16
	s_sub_i32 s3, s11, s3
	s_min_i32 s25, s2, s44
	s_xor_b32 s2, s13, s14
	s_add_i32 s11, s12, 1
	s_sub_i32 s13, s3, s10
	s_cmp_ge_u32 s3, s10
	s_cselect_b32 s11, s11, s12
	s_cselect_b32 s3, s13, s3
	s_add_i32 s12, s11, 1
	s_cmp_ge_u32 s3, s10
	s_load_dwordx2 s[30:31], s[4:5], 0x38
	s_load_dword s10, s[4:5], 0x48
	v_lshrrev_b32_e32 v89, 6, v0
	s_cselect_b32 s3, s12, s11
	s_xor_b32 s3, s3, s2
	v_or_b32_e32 v70, s7, v89
	s_waitcnt lgkmcnt(0)
	s_mul_i32 s34, s28, s10
	s_sub_i32 s12, s3, s2
	s_ashr_i32 s35, s34, 31
	v_cmp_gt_i32_e64 s[2:3], s25, v70
	v_cmp_le_i32_e32 vcc, s25, v70
	v_mbcnt_lo_u32_b32 v43, -1, 0
	s_barrier
	s_waitcnt lgkmcnt(0)
                                        ; implicit-def: $sgpr13
                                        ; implicit-def: $vgpr76
                                        ; implicit-def: $vgpr77
	s_and_saveexec_b64 s[10:11], vcc
	s_xor_b64 s[10:11], exec, s[10:11]
; %bb.6:
	v_mbcnt_hi_u32_b32 v76, -1, v43
	v_and_b32_e32 v1, 64, v76
	v_add_u32_e32 v77, 64, v1
	s_mov_b32 s13, 0xff7fffff
                                        ; implicit-def: $vgpr1
                                        ; implicit-def: $vgpr42
                                        ; implicit-def: $vgpr43
; %bb.7:
	s_or_saveexec_b64 s[40:41], s[10:11]
	s_load_dwordx4 s[20:23], s[4:5], 0x0
	s_load_dwordx2 s[26:27], s[4:5], 0x10
	s_load_dwordx2 s[36:37], s[4:5], 0x28
	s_load_dword s16, s[4:5], 0x98
	v_mov_b32_e32 v79, s13
	s_mul_i32 s18, s12, s18
	v_ashrrev_i32_e32 v71, 31, v70
	s_xor_b64 exec, exec, s[40:41]
	s_cbranch_execz .LBB60_13
; %bb.8:
	s_load_dwordx2 s[4:5], s[4:5], 0x20
	s_ashr_i32 s19, s18, 31
	s_lshl_b64 s[10:11], s[18:19], 2
	v_bfe_u32 v44, v0, 1, 5
	v_lshlrev_b32_e32 v2, 4, v44
	s_waitcnt lgkmcnt(0)
	s_add_u32 s4, s4, s10
	s_addc_u32 s5, s5, s11
	v_mov_b32_e32 v3, s5
	v_add_co_u32_e32 v2, vcc, s4, v2
	v_addc_co_u32_e32 v3, vcc, 0, v3, vcc
	v_and_b32_e32 v1, 8, v1
	v_mbcnt_hi_u32_b32 v76, -1, v43
	v_add_co_u32_e32 v1, vcc, v2, v1
	v_and_b32_e32 v46, 64, v76
	v_addc_co_u32_e32 v78, vcc, 0, v3, vcc
	v_xor_b32_e32 v43, 1, v76
	v_add_u32_e32 v77, 64, v46
	v_lshlrev_b32_e32 v62, 8, v42
	v_cmp_lt_i32_e32 vcc, v43, v77
	v_lshlrev_b32_e32 v45, 2, v44
	ds_read_b128 v[2:5], v62
	ds_read_b128 v[6:9], v62 offset:16
	ds_read_b128 v[10:13], v62 offset:32
	;; [unrolled: 1-line block ×9, first 2 shown]
	v_cndmask_b32_e32 v43, v76, v43, vcc
	v_cmp_eq_u32_e32 vcc, 0, v42
	s_sub_i32 s19, 1, s29
	v_lshlrev_b32_e32 v42, 5, v89
	s_lshl_b64 s[10:11], s[34:35], 2
	v_add3_u32 v81, s33, v42, v44
	v_lshl_or_b32 v42, v89, 7, v45
	s_add_u32 s10, s30, s10
	v_lshlrev_b32_e32 v80, 2, v43
	v_add_u32_e32 v82, 0x210, v42
	v_lshlrev_b64 v[42:43], 2, v[70:71]
	s_addc_u32 s11, s31, s11
	v_mov_b32_e32 v44, s11
	v_add_co_u32_e64 v66, s[10:11], s10, v42
	v_addc_co_u32_e64 v67, s[10:11], v44, v43, s[10:11]
	ds_read_b128 v[42:45], v62 offset:160
	ds_read_b128 v[46:49], v62 offset:176
	;; [unrolled: 1-line block ×6, first 2 shown]
	s_mov_b32 s45, s17
	v_cmp_neq_f32_e64 s[4:5], s38, 0
	s_mov_b64 s[42:43], 0
	v_mov_b32_e32 v79, 0xff7fffff
	s_movk_i32 s46, 0x1000
	s_movk_i32 s47, 0x2000
	;; [unrolled: 1-line block ×3, first 2 shown]
	v_mov_b32_e32 v83, v70
	s_branch .LBB60_10
.LBB60_9:                               ;   in Loop: Header=BB60_10 Depth=1
	s_or_b64 exec, exec, s[12:13]
	v_add_u32_e32 v83, 2, v83
	v_cmp_le_i32_e64 s[10:11], s25, v83
	s_or_b64 s[42:43], s[10:11], s[42:43]
	v_add_co_u32_e64 v66, s[10:11], 8, v66
	v_add_u32_e32 v81, 64, v81
	v_add_u32_e32 v82, 0x100, v82
	v_addc_co_u32_e64 v67, s[10:11], 0, v67, s[10:11]
	s_andn2_b64 exec, exec, s[42:43]
	s_cbranch_execz .LBB60_12
.LBB60_10:                              ; =>This Inner Loop Header: Depth=1
	global_load_dword v68, v[66:67], off
	s_waitcnt vmcnt(0) lgkmcnt(0)
	v_mad_i64_i32 v[68:69], s[10:11], v68, s45, 0
	v_lshlrev_b64 v[68:69], 2, v[68:69]
	v_add_co_u32_e64 v86, s[10:11], v1, v68
	v_addc_co_u32_e64 v87, s[10:11], v78, v69, s[10:11]
	global_load_dwordx2 v[68:69], v[86:87], off offset:512
	global_load_dwordx2 v[72:73], v[86:87], off
	global_load_dwordx2 v[90:91], v[86:87], off offset:1024
	global_load_dwordx2 v[92:93], v[86:87], off offset:1536
	global_load_dwordx2 v[94:95], v[86:87], off offset:2048
	global_load_dwordx2 v[96:97], v[86:87], off offset:2560
	v_add_co_u32_e64 v74, s[10:11], s46, v86
	v_addc_co_u32_e64 v75, s[10:11], 0, v87, s[10:11]
	s_waitcnt vmcnt(5) lgkmcnt(14)
	v_mul_f32_e32 v84, v4, v68
	v_mul_f32_e32 v85, v5, v69
	s_waitcnt vmcnt(4)
	v_fmac_f32_e32 v84, v2, v72
	v_fmac_f32_e32 v85, v3, v73
	v_add_co_u32_e64 v72, s[12:13], s47, v86
	s_waitcnt vmcnt(3)
	v_fmac_f32_e32 v84, v6, v90
	v_fmac_f32_e32 v85, v7, v91
	v_add_co_u32_e64 v68, s[14:15], s48, v86
	global_load_dwordx2 v[90:91], v[86:87], off offset:3072
	v_addc_co_u32_e64 v73, s[10:11], 0, v87, s[12:13]
	v_addc_co_u32_e64 v69, s[10:11], 0, v87, s[14:15]
	global_load_dwordx2 v[86:87], v[86:87], off offset:3584
	s_waitcnt vmcnt(4)
	v_fmac_f32_e32 v84, v8, v92
	v_fmac_f32_e32 v85, v9, v93
	global_load_dwordx2 v[92:93], v[72:73], off offset:-4096
	s_waitcnt vmcnt(4) lgkmcnt(13)
	v_fmac_f32_e32 v84, v10, v94
	v_fmac_f32_e32 v85, v11, v95
	global_load_dwordx2 v[94:95], v[74:75], off offset:512
	s_waitcnt vmcnt(4)
	v_fmac_f32_e32 v84, v12, v96
	v_fmac_f32_e32 v85, v13, v97
	s_waitcnt vmcnt(3) lgkmcnt(12)
	v_fmac_f32_e32 v84, v14, v90
	v_fmac_f32_e32 v85, v15, v91
	global_load_dwordx2 v[90:91], v[74:75], off offset:1024
	s_waitcnt vmcnt(3)
	v_fmac_f32_e32 v84, v16, v86
	v_fmac_f32_e32 v85, v17, v87
	global_load_dwordx2 v[86:87], v[74:75], off offset:1536
	s_waitcnt vmcnt(3) lgkmcnt(11)
	v_fmac_f32_e32 v84, v18, v92
	v_fmac_f32_e32 v85, v19, v93
	global_load_dwordx2 v[92:93], v[74:75], off offset:2048
	s_waitcnt vmcnt(3)
	v_fmac_f32_e32 v84, v20, v94
	v_fmac_f32_e32 v85, v21, v95
	global_load_dwordx2 v[94:95], v[74:75], off offset:2560
	s_waitcnt vmcnt(3) lgkmcnt(10)
	v_fmac_f32_e32 v84, v22, v90
	v_fmac_f32_e32 v85, v23, v91
	global_load_dwordx2 v[90:91], v[74:75], off offset:3072
	s_nop 0
	global_load_dwordx2 v[74:75], v[74:75], off offset:3584
	s_waitcnt vmcnt(4)
	v_fmac_f32_e32 v84, v24, v86
	v_fmac_f32_e32 v85, v25, v87
	global_load_dwordx2 v[86:87], v[72:73], off
	s_waitcnt vmcnt(4) lgkmcnt(9)
	v_fmac_f32_e32 v84, v26, v92
	v_fmac_f32_e32 v85, v27, v93
	global_load_dwordx2 v[92:93], v[72:73], off offset:512
	s_waitcnt vmcnt(4)
	v_fmac_f32_e32 v84, v28, v94
	v_fmac_f32_e32 v85, v29, v95
	global_load_dwordx2 v[94:95], v[72:73], off offset:1024
	s_waitcnt vmcnt(4) lgkmcnt(8)
	v_fmac_f32_e32 v84, v30, v90
	v_fmac_f32_e32 v85, v31, v91
	global_load_dwordx2 v[90:91], v[72:73], off offset:1536
	s_waitcnt vmcnt(4)
	v_fmac_f32_e32 v84, v32, v74
	v_fmac_f32_e32 v85, v33, v75
	global_load_dwordx2 v[74:75], v[72:73], off offset:2048
	;; [unrolled: 8-line block ×3, first 2 shown]
	s_nop 0
	global_load_dwordx2 v[72:73], v[72:73], off offset:3584
	s_waitcnt vmcnt(5) lgkmcnt(6)
	v_fmac_f32_e32 v84, v38, v94
	v_fmac_f32_e32 v85, v39, v95
	global_load_dwordx2 v[94:95], v[68:69], off
	s_waitcnt vmcnt(5)
	v_fmac_f32_e32 v84, v40, v90
	v_fmac_f32_e32 v85, v41, v91
	global_load_dwordx2 v[90:91], v[68:69], off offset:512
	s_waitcnt vmcnt(5) lgkmcnt(5)
	v_fmac_f32_e32 v84, v42, v74
	v_fmac_f32_e32 v85, v43, v75
	global_load_dwordx2 v[74:75], v[68:69], off offset:1024
	s_waitcnt vmcnt(5)
	v_fmac_f32_e32 v84, v44, v86
	v_fmac_f32_e32 v85, v45, v87
	global_load_dwordx2 v[86:87], v[68:69], off offset:1536
	s_waitcnt vmcnt(5) lgkmcnt(4)
	v_fmac_f32_e32 v84, v46, v92
	v_fmac_f32_e32 v85, v47, v93
	global_load_dwordx2 v[92:93], v[68:69], off offset:2048
	;; [unrolled: 8-line block ×3, first 2 shown]
	s_nop 0
	global_load_dwordx2 v[68:69], v[68:69], off offset:3584
	s_waitcnt vmcnt(6)
	v_fmac_f32_e32 v84, v52, v90
	v_fmac_f32_e32 v85, v53, v91
	s_waitcnt vmcnt(5) lgkmcnt(2)
	v_fmac_f32_e32 v84, v54, v74
	v_fmac_f32_e32 v85, v55, v75
	s_waitcnt vmcnt(4)
	v_fmac_f32_e32 v84, v56, v86
	v_fmac_f32_e32 v85, v57, v87
	s_waitcnt vmcnt(3) lgkmcnt(1)
	v_fmac_f32_e32 v84, v58, v92
	v_fmac_f32_e32 v85, v59, v93
	;; [unrolled: 6-line block ×3, first 2 shown]
	s_waitcnt vmcnt(0)
	v_fmac_f32_e32 v84, v64, v68
	v_fmac_f32_e32 v85, v65, v69
	v_add_f32_e32 v68, v84, v85
	ds_bpermute_b32 v69, v80, v68
	s_and_saveexec_b64 s[12:13], vcc
	s_cbranch_execz .LBB60_9
; %bb.11:                               ;   in Loop: Header=BB60_10 Depth=1
	v_add_u32_e32 v72, s19, v81
	v_cvt_f32_i32_e32 v72, v72
	s_waitcnt lgkmcnt(0)
	v_add_f32_e32 v68, v68, v69
	v_cmp_gt_i32_e64 s[10:11], s29, v81
	v_max_f32_e32 v69, v79, v79
	v_mul_f32_e32 v72, s38, v72
	v_cndmask_b32_e64 v72, 0, v72, s[4:5]
	v_fmac_f32_e32 v72, s39, v68
	v_cndmask_b32_e64 v68, 0, v72, s[10:11]
	ds_write_b32 v82, v68
	v_max_f32_e32 v68, v69, v72
	v_cndmask_b32_e64 v79, v79, v68, s[10:11]
	s_branch .LBB60_9
.LBB60_12:
	s_or_b64 exec, exec, s[42:43]
.LBB60_13:
	s_or_b64 exec, exec, s[40:41]
	v_xor_b32_e32 v1, 32, v76
	v_cmp_lt_i32_e32 vcc, v1, v77
	v_cndmask_b32_e32 v1, v76, v1, vcc
	v_lshlrev_b32_e32 v2, 2, v1
	ds_bpermute_b32 v1, v2, v79
	v_xor_b32_e32 v4, 16, v76
	v_max_f32_e32 v3, v79, v79
	v_cmp_lt_i32_e32 vcc, v4, v77
	v_xor_b32_e32 v5, 8, v76
	s_waitcnt lgkmcnt(0)
	v_max_f32_e32 v1, v1, v1
	v_max_f32_e32 v1, v3, v1
	v_cndmask_b32_e32 v3, v76, v4, vcc
	v_lshlrev_b32_e32 v3, 2, v3
	ds_bpermute_b32 v4, v3, v1
	v_cmp_lt_i32_e32 vcc, v5, v77
	v_xor_b32_e32 v6, 4, v76
	s_waitcnt lgkmcnt(0)
	v_max_f32_e32 v4, v4, v4
	v_max_f32_e32 v1, v1, v4
	v_cndmask_b32_e32 v4, v76, v5, vcc
	v_lshlrev_b32_e32 v5, 2, v4
	ds_bpermute_b32 v4, v5, v1
	v_cmp_lt_i32_e32 vcc, v6, v77
	s_waitcnt lgkmcnt(0)
	v_max_f32_e32 v4, v4, v4
	v_max_f32_e32 v1, v1, v4
	v_cndmask_b32_e32 v4, v76, v6, vcc
	v_lshlrev_b32_e32 v91, 2, v4
	ds_bpermute_b32 v4, v91, v1
	v_xor_b32_e32 v6, 2, v76
	v_cmp_lt_i32_e32 vcc, v6, v77
	s_waitcnt lgkmcnt(0)
	v_max_f32_e32 v4, v4, v4
	v_max_f32_e32 v4, v1, v4
	v_cndmask_b32_e32 v1, v76, v6, vcc
	v_lshlrev_b32_e32 v90, 2, v1
	ds_bpermute_b32 v7, v90, v4
	v_and_b32_e32 v1, 63, v0
	v_cmp_eq_u32_e32 vcc, 0, v1
	v_lshlrev_b32_e32 v6, 2, v89
	s_and_saveexec_b64 s[4:5], vcc
	s_cbranch_execz .LBB60_15
; %bb.14:
	s_waitcnt lgkmcnt(0)
	v_max_f32_e32 v7, v7, v7
	v_max_f32_e32 v4, v4, v4
	;; [unrolled: 1-line block ×3, first 2 shown]
	ds_write_b32 v6, v4 offset:512
.LBB60_15:
	s_or_b64 exec, exec, s[4:5]
	v_cmp_gt_u32_e64 s[4:5], 2, v1
	v_mov_b32_e32 v4, 0xff7fffff
	s_waitcnt lgkmcnt(0)
	v_lshlrev_b32_e32 v7, 2, v1
	s_barrier
	s_and_saveexec_b64 s[10:11], s[4:5]
	s_cbranch_execz .LBB60_17
; %bb.16:
	ds_read_b32 v4, v7 offset:512
.LBB60_17:
	s_or_b64 exec, exec, s[10:11]
	v_xor_b32_e32 v8, 1, v76
	v_cmp_lt_i32_e64 s[10:11], v8, v77
	v_cndmask_b32_e64 v8, v76, v8, s[10:11]
	v_lshlrev_b32_e32 v92, 2, v8
	s_waitcnt lgkmcnt(0)
	ds_bpermute_b32 v8, v92, v4
	v_max_f32_e32 v4, v4, v4
	s_sub_i32 s7, s25, s7
	s_lshl_b32 s7, s7, 5
	s_add_i32 s7, s7, s33
	s_waitcnt lgkmcnt(0)
	v_max_f32_e32 v8, v8, v8
	v_max_f32_e32 v4, v4, v8
	v_lshlrev_b32_e32 v8, 2, v76
	v_and_b32_e32 v8, 0xffffff00, v8
	ds_bpermute_b32 v4, v8, v4
	s_min_i32 s19, s7, s29
	s_sub_i32 s7, s19, s33
	v_cmp_gt_i32_e64 s[10:11], s7, v0
	v_mov_b32_e32 v9, 0
	s_and_saveexec_b64 s[14:15], s[10:11]
	s_cbranch_execz .LBB60_21
; %bb.18:
	v_mov_b32_e32 v9, 0x210
	v_lshl_add_u32 v10, v0, 2, v9
	s_mov_b64 s[38:39], 0
	v_mov_b32_e32 v9, 0
	v_mov_b32_e32 v11, v0
.LBB60_19:                              ; =>This Inner Loop Header: Depth=1
	ds_read_b32 v12, v10
	v_add_u32_e32 v11, 0x80, v11
	v_cmp_le_i32_e64 s[12:13], s7, v11
	s_or_b64 s[38:39], s[12:13], s[38:39]
	s_waitcnt lgkmcnt(0)
	v_sub_f32_e32 v12, v12, v4
	v_mul_f32_e32 v12, 0x3fb8aa3b, v12
	v_exp_f32_e32 v12, v12
	ds_write_b32 v10, v12
	v_add_f32_e32 v9, v9, v12
	v_add_u32_e32 v10, 0x200, v10
	s_andn2_b64 exec, exec, s[38:39]
	s_cbranch_execnz .LBB60_19
; %bb.20:
	s_or_b64 exec, exec, s[38:39]
.LBB60_21:
	s_or_b64 exec, exec, s[14:15]
	ds_bpermute_b32 v2, v2, v9
	s_waitcnt lgkmcnt(0)
	v_add_f32_e32 v2, v9, v2
	ds_bpermute_b32 v3, v3, v2
	s_waitcnt lgkmcnt(0)
	v_add_f32_e32 v2, v2, v3
	;; [unrolled: 3-line block ×6, first 2 shown]
	s_and_saveexec_b64 s[12:13], vcc
	s_cbranch_execz .LBB60_23
; %bb.22:
	ds_write_b32 v6, v2 offset:520
.LBB60_23:
	s_or_b64 exec, exec, s[12:13]
	s_waitcnt lgkmcnt(0)
	s_barrier
	s_and_saveexec_b64 s[12:13], s[4:5]
	s_cbranch_execz .LBB60_25
; %bb.24:
	ds_read_b32 v2, v7 offset:520
.LBB60_25:
	s_or_b64 exec, exec, s[12:13]
	s_waitcnt lgkmcnt(0)
	ds_bpermute_b32 v3, v92, v2
	s_waitcnt lgkmcnt(0)
	v_add_f32_e32 v2, v2, v3
	ds_bpermute_b32 v5, v8, v2
	s_and_saveexec_b64 s[4:5], s[10:11]
	s_cbranch_execz .LBB60_38
; %bb.26:
	s_waitcnt lgkmcnt(0)
	v_add_f32_e32 v2, 0x358637bd, v5
	v_div_scale_f32 v3, s[10:11], v2, v2, 1.0
	v_rcp_f32_e32 v6, v3
	v_div_scale_f32 v7, vcc, 1.0, v2, 1.0
	s_movk_i32 s10, 0x7f
	v_fma_f32 v8, -v3, v6, 1.0
	v_fmac_f32_e32 v6, v8, v6
	v_mul_f32_e32 v8, v7, v6
	v_fma_f32 v9, -v3, v8, v7
	v_fmac_f32_e32 v8, v9, v6
	v_fma_f32 v3, -v3, v8, v7
	v_div_fmas_f32 v3, v3, v6, v8
	v_div_fixup_f32 v2, v3, v2, 1.0
	v_xad_u32 v3, v0, -1, s19
	v_subrev_u32_e32 v6, s33, v3
	v_cmp_lt_u32_e32 vcc, s10, v6
	s_mov_b64 s[12:13], -1
	v_mov_b32_e32 v3, v0
	s_and_saveexec_b64 s[10:11], vcc
	s_cbranch_execz .LBB60_35
; %bb.27:
	v_lshrrev_b32_e32 v6, 7, v6
	v_add_u32_e32 v8, -1, v6
	v_lshrrev_b32_e32 v7, 1, v8
	v_mov_b32_e32 v3, v2
	v_add_u32_e32 v7, 1, v7
	v_cmp_lt_u32_e32 vcc, 13, v8
	v_mov_b32_e32 v10, 0
	s_and_saveexec_b64 s[12:13], vcc
	s_cbranch_execz .LBB60_31
; %bb.28:
	v_mov_b32_e32 v9, 0x210
	v_and_b32_e32 v8, -8, v7
	v_lshl_add_u32 v9, v0, 2, v9
	s_mov_b32 s19, 0
	s_mov_b64 s[14:15], 0
.LBB60_29:                              ; =>This Inner Loop Header: Depth=1
	ds_read2st64_b32 v[10:11], v9 offset1:2
	ds_read2st64_b32 v[12:13], v9 offset0:4 offset1:6
	ds_read2st64_b32 v[14:15], v9 offset0:8 offset1:10
	;; [unrolled: 1-line block ×3, first 2 shown]
	v_add_u32_e32 v8, -8, v8
	s_waitcnt lgkmcnt(3)
	v_pk_mul_f32 v[10:11], v[2:3], v[10:11]
	s_waitcnt lgkmcnt(2)
	v_pk_mul_f32 v[12:13], v[2:3], v[12:13]
	ds_write2st64_b32 v9, v10, v11 offset1:2
	ds_write2st64_b32 v9, v12, v13 offset0:4 offset1:6
	ds_read2st64_b32 v[12:13], v9 offset0:16 offset1:18
	s_waitcnt lgkmcnt(4)
	v_pk_mul_f32 v[10:11], v[2:3], v[14:15]
	ds_write2st64_b32 v9, v10, v11 offset0:8 offset1:10
	s_waitcnt lgkmcnt(4)
	v_pk_mul_f32 v[10:11], v[2:3], v[16:17]
	ds_write2st64_b32 v9, v10, v11 offset0:12 offset1:14
	ds_read2st64_b32 v[10:11], v9 offset0:20 offset1:22
	s_waitcnt lgkmcnt(3)
	v_pk_mul_f32 v[12:13], v[2:3], v[12:13]
	ds_read2st64_b32 v[14:15], v9 offset0:24 offset1:26
	ds_write2st64_b32 v9, v12, v13 offset0:16 offset1:18
	ds_read2st64_b32 v[12:13], v9 offset0:28 offset1:30
	s_waitcnt lgkmcnt(3)
	v_pk_mul_f32 v[10:11], v[2:3], v[10:11]
	ds_write2st64_b32 v9, v10, v11 offset0:20 offset1:22
	s_waitcnt lgkmcnt(3)
	v_pk_mul_f32 v[10:11], v[2:3], v[14:15]
	ds_write2st64_b32 v9, v10, v11 offset0:24 offset1:26
	s_waitcnt lgkmcnt(2)
	v_pk_mul_f32 v[10:11], v[2:3], v[12:13]
	s_add_i32 s19, s19, 16
	v_cmp_eq_u32_e32 vcc, 0, v8
	ds_write2st64_b32 v9, v10, v11 offset0:28 offset1:30
	v_add_u32_e32 v9, 0x2000, v9
	s_or_b64 s[14:15], vcc, s[14:15]
	v_mov_b32_e32 v10, s19
	s_andn2_b64 exec, exec, s[14:15]
	s_cbranch_execnz .LBB60_29
; %bb.30:
	s_or_b64 exec, exec, s[14:15]
.LBB60_31:
	s_or_b64 exec, exec, s[12:13]
	v_and_b32_e32 v7, 7, v7
	v_cmp_ne_u32_e32 vcc, 0, v7
	s_and_saveexec_b64 s[12:13], vcc
	s_cbranch_execz .LBB60_34
; %bb.32:
	v_lshlrev_b32_e32 v8, 9, v10
	s_movk_i32 s14, 0x210
	v_add3_u32 v8, v8, v88, s14
	s_mov_b64 s[14:15], 0
.LBB60_33:                              ; =>This Inner Loop Header: Depth=1
	ds_read2st64_b32 v[10:11], v8 offset1:2
	v_add_u32_e32 v7, -1, v7
	v_cmp_eq_u32_e32 vcc, 0, v7
	s_or_b64 s[14:15], vcc, s[14:15]
	s_waitcnt lgkmcnt(0)
	v_pk_mul_f32 v[10:11], v[2:3], v[10:11]
	ds_write2st64_b32 v8, v10, v11 offset1:2
	v_add_u32_e32 v8, 0x400, v8
	s_andn2_b64 exec, exec, s[14:15]
	s_cbranch_execnz .LBB60_33
.LBB60_34:
	s_or_b64 exec, exec, s[12:13]
	v_add_u32_e32 v6, 1, v6
	v_and_b32_e32 v7, 0x3fffffe, v6
	v_cmp_ne_u32_e32 vcc, v6, v7
	v_lshl_add_u32 v3, v7, 7, v0
	s_orn2_b64 s[12:13], vcc, exec
.LBB60_35:
	s_or_b64 exec, exec, s[10:11]
	s_and_b64 exec, exec, s[12:13]
	s_cbranch_execz .LBB60_38
; %bb.36:
	v_mov_b32_e32 v6, 0x210
	v_lshl_add_u32 v6, v3, 2, v6
	s_mov_b64 s[10:11], 0
.LBB60_37:                              ; =>This Inner Loop Header: Depth=1
	ds_read_b32 v7, v6
	v_add_u32_e32 v3, 0x80, v3
	v_cmp_le_i32_e32 vcc, s7, v3
	s_or_b64 s[10:11], vcc, s[10:11]
	s_waitcnt lgkmcnt(0)
	v_mul_f32_e32 v7, v2, v7
	ds_write_b32 v6, v7
	v_add_u32_e32 v6, 0x200, v6
	s_andn2_b64 exec, exec, s[10:11]
	s_cbranch_execnz .LBB60_37
.LBB60_38:
	s_or_b64 exec, exec, s[4:5]
	s_mul_i32 s4, s16, s28
	v_cmp_eq_u32_e32 vcc, 0, v0
	s_mul_i32 s4, s4, s9
	s_waitcnt lgkmcnt(0)
	s_barrier
	s_and_saveexec_b64 s[10:11], vcc
	s_cbranch_execz .LBB60_40
; %bb.39:
	s_ashr_i32 s5, s4, 31
	s_lshl_b64 s[12:13], s[4:5], 2
	s_add_u32 s5, s22, s12
	s_mul_i32 s6, s16, s6
	s_addc_u32 s9, s23, s13
	s_ashr_i32 s7, s6, 31
	s_lshl_b64 s[6:7], s[6:7], 2
	s_add_u32 s5, s5, s6
	s_addc_u32 s19, s9, s7
	s_ashr_i32 s9, s8, 31
	s_lshl_b64 s[14:15], s[8:9], 2
	s_add_u32 s22, s5, s14
	s_addc_u32 s23, s19, s15
	s_add_u32 s5, s20, s12
	s_addc_u32 s9, s21, s13
	;; [unrolled: 2-line block ×3, first 2 shown]
	s_add_u32 s6, s5, s14
	v_mov_b32_e32 v2, 0
	s_addc_u32 s7, s7, s15
	global_store_dword v2, v4, s[22:23]
	global_store_dword v2, v5, s[6:7]
.LBB60_40:
	s_or_b64 exec, exec, s[10:11]
	v_mov_b32_e32 v86, 0
	v_and_b32_e32 v93, 7, v0
	v_mov_b32_e32 v87, 0
	v_mov_b32_e32 v84, 0
	;; [unrolled: 1-line block ×15, first 2 shown]
	s_and_saveexec_b64 s[6:7], s[2:3]
	s_cbranch_execz .LBB60_76
; %bb.41:
	s_ashr_i32 s19, s18, 31
	s_lshl_b64 s[2:3], s[18:19], 2
	s_add_u32 s9, s36, s2
	v_and_b32_e32 v3, 28, v88
	s_addc_u32 s12, s37, s3
	s_add_i32 s44, s44, -1
	v_lshl_add_u32 v5, v89, 5, s33
	s_lshl_b64 s[2:3], s[34:35], 2
	v_add3_u32 v94, v5, v3, 3
	v_lshlrev_b32_e32 v3, 4, v93
	s_add_u32 s2, s30, s2
	v_and_b32_e32 v2, 0xfc, v88
	v_lshl_or_b32 v3, v89, 7, v3
	v_lshlrev_b64 v[28:29], 2, v[70:71]
	s_addc_u32 s3, s31, s3
	v_mov_b32_e32 v73, 0
	v_or_b32_e32 v4, 0x400, v2
	v_or_b32_e32 v6, 0x500, v2
	;; [unrolled: 1-line block ×12, first 2 shown]
	v_add_u32_e32 v95, 0x210, v3
	v_mov_b32_e32 v3, s3
	v_add_co_u32_e32 v88, vcc, s2, v28
	s_mov_b32 s5, s17
	v_addc_co_u32_e32 v89, vcc, v3, v29, vcc
	s_mov_b64 s[10:11], 0
	v_lshlrev_b32_e32 v71, 2, v2
	v_lshlrev_b32_e32 v96, 2, v4
	;; [unrolled: 1-line block ×13, first 2 shown]
	v_mov_b32_e32 v108, s12
	v_mov_b32_e32 v72, v73
	;; [unrolled: 1-line block ×16, first 2 shown]
	s_branch .LBB60_43
.LBB60_42:                              ;   in Loop: Header=BB60_43 Depth=1
	s_or_b64 exec, exec, s[2:3]
	s_waitcnt vmcnt(1) lgkmcnt(0)
	v_mul_f32_e32 v67, v3, v67
	v_mul_f32_e32 v63, v3, v63
	;; [unrolled: 1-line block ×15, first 2 shown]
	s_waitcnt vmcnt(0)
	v_mul_f32_e32 v3, v3, v59
	v_fmac_f32_e32 v67, v2, v66
	v_fmac_f32_e32 v63, v2, v62
	;; [unrolled: 1-line block ×16, first 2 shown]
	v_add_u32_e32 v70, 2, v70
	v_fmac_f32_e32 v67, v4, v68
	v_fmac_f32_e32 v63, v4, v64
	;; [unrolled: 1-line block ×16, first 2 shown]
	v_cmp_le_i32_e32 vcc, s25, v70
	v_fmac_f32_e32 v67, v5, v69
	v_fmac_f32_e32 v63, v5, v65
	;; [unrolled: 1-line block ×16, first 2 shown]
	s_or_b64 s[10:11], vcc, s[10:11]
	v_add_co_u32_e32 v88, vcc, 8, v88
	v_add_f32_e32 v72, v72, v67
	v_add_f32_e32 v75, v75, v63
	;; [unrolled: 1-line block ×16, first 2 shown]
	v_add_u32_e32 v94, 64, v94
	v_add_u32_e32 v95, 0x100, v95
	v_addc_co_u32_e32 v89, vcc, 0, v89, vcc
	s_andn2_b64 exec, exec, s[10:11]
	s_cbranch_execz .LBB60_75
.LBB60_43:                              ; =>This Inner Loop Header: Depth=1
	global_load_dword v2, v[88:89], off
	v_add_u32_e32 v109, -3, v94
	v_add_u32_e32 v111, -2, v94
	;; [unrolled: 1-line block ×3, first 2 shown]
	s_waitcnt vmcnt(0)
	v_mad_i64_i32 v[2:3], s[2:3], v2, s5, 0
	v_lshlrev_b64 v[2:3], 2, v[2:3]
	v_add_co_u32_e32 v58, vcc, s9, v2
	v_addc_co_u32_e32 v59, vcc, v108, v3, vcc
	v_add_co_u32_e32 v18, vcc, v58, v71
	v_addc_co_u32_e32 v19, vcc, 0, v59, vcc
	global_load_dwordx4 v[6:9], v[18:19], off
	ds_read_b128 v[2:5], v95
	v_cmp_eq_u32_e32 vcc, s44, v70
	s_and_saveexec_b64 s[12:13], vcc
	s_cbranch_execnz .LBB60_72
; %bb.44:                               ;   in Loop: Header=BB60_43 Depth=1
	s_or_b64 exec, exec, s[12:13]
	global_load_dwordx4 v[10:13], v[18:19], off offset:1024
	s_and_saveexec_b64 s[12:13], vcc
	s_cbranch_execnz .LBB60_73
.LBB60_45:                              ;   in Loop: Header=BB60_43 Depth=1
	s_or_b64 exec, exec, s[12:13]
	global_load_dwordx4 v[14:17], v[18:19], off offset:2048
	s_and_saveexec_b64 s[12:13], vcc
	s_cbranch_execnz .LBB60_74
.LBB60_46:                              ;   in Loop: Header=BB60_43 Depth=1
	s_or_b64 exec, exec, s[12:13]
	global_load_dwordx4 v[18:21], v[18:19], off offset:3072
	s_and_saveexec_b64 s[12:13], vcc
	s_cbranch_execz .LBB60_48
.LBB60_47:                              ;   in Loop: Header=BB60_43 Depth=1
	v_cmp_gt_i32_e64 s[2:3], s29, v109
	s_waitcnt vmcnt(0)
	v_cndmask_b32_e64 v18, 0, v18, s[2:3]
	v_cmp_gt_i32_e64 s[2:3], s29, v111
	v_cndmask_b32_e64 v19, 0, v19, s[2:3]
	v_cmp_gt_i32_e64 s[2:3], s29, v110
	;; [unrolled: 2-line block ×3, first 2 shown]
	v_cndmask_b32_e64 v21, 0, v21, s[2:3]
.LBB60_48:                              ;   in Loop: Header=BB60_43 Depth=1
	s_or_b64 exec, exec, s[12:13]
	v_add_co_u32_e64 v22, s[2:3], v58, v96
	v_addc_co_u32_e64 v23, s[2:3], 0, v59, s[2:3]
	global_load_dwordx4 v[22:25], v[22:23], off
	s_and_saveexec_b64 s[12:13], vcc
	s_cbranch_execz .LBB60_50
; %bb.49:                               ;   in Loop: Header=BB60_43 Depth=1
	v_cmp_gt_i32_e64 s[2:3], s29, v109
	s_waitcnt vmcnt(0)
	v_cndmask_b32_e64 v22, 0, v22, s[2:3]
	v_cmp_gt_i32_e64 s[2:3], s29, v111
	v_cndmask_b32_e64 v23, 0, v23, s[2:3]
	v_cmp_gt_i32_e64 s[2:3], s29, v110
	v_cndmask_b32_e64 v24, 0, v24, s[2:3]
	v_cmp_gt_i32_e64 s[2:3], s29, v94
	v_cndmask_b32_e64 v25, 0, v25, s[2:3]
.LBB60_50:                              ;   in Loop: Header=BB60_43 Depth=1
	s_or_b64 exec, exec, s[12:13]
	v_add_co_u32_e64 v26, s[2:3], v58, v97
	v_addc_co_u32_e64 v27, s[2:3], 0, v59, s[2:3]
	global_load_dwordx4 v[26:29], v[26:27], off
	s_and_saveexec_b64 s[12:13], vcc
	s_cbranch_execz .LBB60_52
; %bb.51:                               ;   in Loop: Header=BB60_43 Depth=1
	v_cmp_gt_i32_e64 s[2:3], s29, v109
	s_waitcnt vmcnt(0)
	v_cndmask_b32_e64 v26, 0, v26, s[2:3]
	v_cmp_gt_i32_e64 s[2:3], s29, v111
	v_cndmask_b32_e64 v27, 0, v27, s[2:3]
	v_cmp_gt_i32_e64 s[2:3], s29, v110
	v_cndmask_b32_e64 v28, 0, v28, s[2:3]
	v_cmp_gt_i32_e64 s[2:3], s29, v94
	v_cndmask_b32_e64 v29, 0, v29, s[2:3]
.LBB60_52:                              ;   in Loop: Header=BB60_43 Depth=1
	;; [unrolled: 17-line block ×11, first 2 shown]
	s_or_b64 exec, exec, s[12:13]
	v_add_co_u32_e64 v58, s[2:3], v58, v107
	v_addc_co_u32_e64 v59, s[2:3], 0, v59, s[2:3]
	global_load_dwordx4 v[58:61], v[58:59], off
	s_and_saveexec_b64 s[2:3], vcc
	s_cbranch_execz .LBB60_42
; %bb.71:                               ;   in Loop: Header=BB60_43 Depth=1
	v_cmp_gt_i32_e32 vcc, s29, v109
	s_waitcnt vmcnt(0)
	v_cndmask_b32_e32 v58, 0, v58, vcc
	v_cmp_gt_i32_e32 vcc, s29, v111
	v_cndmask_b32_e32 v59, 0, v59, vcc
	v_cmp_gt_i32_e32 vcc, s29, v110
	;; [unrolled: 2-line block ×3, first 2 shown]
	v_cndmask_b32_e32 v61, 0, v61, vcc
	s_branch .LBB60_42
.LBB60_72:                              ;   in Loop: Header=BB60_43 Depth=1
	v_cmp_gt_i32_e64 s[2:3], s29, v109
	s_waitcnt vmcnt(0)
	v_cndmask_b32_e64 v6, 0, v6, s[2:3]
	v_cmp_gt_i32_e64 s[2:3], s29, v111
	v_cndmask_b32_e64 v7, 0, v7, s[2:3]
	v_cmp_gt_i32_e64 s[2:3], s29, v110
	;; [unrolled: 2-line block ×3, first 2 shown]
	v_cndmask_b32_e64 v9, 0, v9, s[2:3]
	s_or_b64 exec, exec, s[12:13]
	global_load_dwordx4 v[10:13], v[18:19], off offset:1024
	s_and_saveexec_b64 s[12:13], vcc
	s_cbranch_execz .LBB60_45
.LBB60_73:                              ;   in Loop: Header=BB60_43 Depth=1
	v_cmp_gt_i32_e64 s[2:3], s29, v109
	s_waitcnt vmcnt(0)
	v_cndmask_b32_e64 v10, 0, v10, s[2:3]
	v_cmp_gt_i32_e64 s[2:3], s29, v111
	v_cndmask_b32_e64 v11, 0, v11, s[2:3]
	v_cmp_gt_i32_e64 s[2:3], s29, v110
	;; [unrolled: 2-line block ×3, first 2 shown]
	v_cndmask_b32_e64 v13, 0, v13, s[2:3]
	s_or_b64 exec, exec, s[12:13]
	global_load_dwordx4 v[14:17], v[18:19], off offset:2048
	s_and_saveexec_b64 s[12:13], vcc
	s_cbranch_execz .LBB60_46
.LBB60_74:                              ;   in Loop: Header=BB60_43 Depth=1
	v_cmp_gt_i32_e64 s[2:3], s29, v109
	s_waitcnt vmcnt(0)
	v_cndmask_b32_e64 v14, 0, v14, s[2:3]
	v_cmp_gt_i32_e64 s[2:3], s29, v111
	v_cndmask_b32_e64 v15, 0, v15, s[2:3]
	v_cmp_gt_i32_e64 s[2:3], s29, v110
	;; [unrolled: 2-line block ×3, first 2 shown]
	v_cndmask_b32_e64 v17, 0, v17, s[2:3]
	s_or_b64 exec, exec, s[12:13]
	global_load_dwordx4 v[18:21], v[18:19], off offset:3072
	s_and_saveexec_b64 s[12:13], vcc
	s_cbranch_execnz .LBB60_47
	s_branch .LBB60_48
.LBB60_75:
	s_or_b64 exec, exec, s[10:11]
.LBB60_76:
	s_or_b64 exec, exec, s[6:7]
	ds_bpermute_b32 v4, v91, v84
	ds_bpermute_b32 v5, v91, v85
	;; [unrolled: 1-line block ×6, first 2 shown]
	s_waitcnt lgkmcnt(4)
	v_pk_add_f32 v[4:5], v[84:85], v[4:5]
	ds_bpermute_b32 v8, v90, v4
	ds_bpermute_b32 v9, v90, v5
	s_waitcnt lgkmcnt(4)
	v_pk_add_f32 v[2:3], v[86:87], v[2:3]
	ds_bpermute_b32 v6, v90, v2
	ds_bpermute_b32 v7, v90, v3
	;; [unrolled: 1-line block ×3, first 2 shown]
	s_waitcnt lgkmcnt(3)
	v_pk_add_f32 v[4:5], v[4:5], v[8:9]
	v_pk_add_f32 v[8:9], v[82:83], v[10:11]
	ds_bpermute_b32 v10, v90, v8
	ds_bpermute_b32 v11, v90, v9
	;; [unrolled: 1-line block ×3, first 2 shown]
	s_waitcnt lgkmcnt(4)
	v_pk_add_f32 v[2:3], v[2:3], v[6:7]
	ds_bpermute_b32 v6, v92, v2
	ds_bpermute_b32 v7, v92, v3
	s_waitcnt lgkmcnt(3)
	v_pk_add_f32 v[8:9], v[8:9], v[10:11]
	s_waitcnt lgkmcnt(2)
	v_pk_add_f32 v[14:15], v[80:81], v[14:15]
	ds_bpermute_b32 v10, v92, v8
	ds_bpermute_b32 v11, v92, v9
	;; [unrolled: 1-line block ×4, first 2 shown]
	s_waitcnt lgkmcnt(4)
	v_pk_add_f32 v[6:7], v[2:3], v[6:7]
	ds_bpermute_b32 v20, v91, v74
	s_waitcnt lgkmcnt(3)
	v_pk_add_f32 v[2:3], v[8:9], v[10:11]
	ds_bpermute_b32 v10, v91, v78
	;; [unrolled: 3-line block ×3, first 2 shown]
	ds_bpermute_b32 v15, v91, v77
	ds_bpermute_b32 v11, v91, v79
	;; [unrolled: 1-line block ×5, first 2 shown]
	s_waitcnt lgkmcnt(4)
	v_pk_add_f32 v[14:15], v[76:77], v[14:15]
	ds_bpermute_b32 v18, v90, v14
	ds_bpermute_b32 v19, v90, v15
	s_waitcnt lgkmcnt(5)
	v_pk_add_f32 v[10:11], v[78:79], v[10:11]
	ds_bpermute_b32 v16, v90, v10
	ds_bpermute_b32 v17, v90, v11
	;; [unrolled: 1-line block ×4, first 2 shown]
	s_waitcnt lgkmcnt(4)
	v_pk_add_f32 v[18:19], v[14:15], v[18:19]
	v_pk_add_f32 v[14:15], v[74:75], v[20:21]
	ds_bpermute_b32 v20, v90, v14
	ds_bpermute_b32 v21, v90, v15
	s_waitcnt lgkmcnt(4)
	v_pk_add_f32 v[10:11], v[10:11], v[16:17]
	v_pk_add_f32 v[24:25], v[72:73], v[24:25]
	s_waitcnt lgkmcnt(2)
	v_pk_add_f32 v[4:5], v[4:5], v[12:13]
	ds_bpermute_b32 v12, v92, v8
	ds_bpermute_b32 v13, v92, v9
	;; [unrolled: 1-line block ×8, first 2 shown]
	s_waitcnt lgkmcnt(8)
	v_pk_add_f32 v[20:21], v[14:15], v[20:21]
	ds_bpermute_b32 v26, v92, v20
	ds_bpermute_b32 v27, v92, v21
	s_waitcnt lgkmcnt(8)
	v_pk_add_f32 v[14:15], v[8:9], v[12:13]
	s_waitcnt lgkmcnt(6)
	v_pk_add_f32 v[12:13], v[10:11], v[16:17]
	;; [unrolled: 2-line block ×4, first 2 shown]
	ds_bpermute_b32 v18, v92, v16
	ds_bpermute_b32 v19, v92, v17
	s_waitcnt lgkmcnt(2)
	v_pk_add_f32 v[8:9], v[20:21], v[26:27]
	v_and_b32_e32 v20, 0x3c7, v0
	v_cmp_ne_u32_e32 vcc, 64, v20
	s_waitcnt lgkmcnt(0)
	s_barrier
	s_and_saveexec_b64 s[2:3], vcc
	s_xor_b64 s[2:3], exec, s[2:3]
; %bb.77:
                                        ; implicit-def: $vgpr1
; %bb.78:
	s_or_saveexec_b64 s[2:3], s[2:3]
	v_pk_add_f32 v[16:17], v[16:17], v[18:19]
	s_xor_b64 exec, exec, s[2:3]
	s_cbranch_execz .LBB60_80
; %bb.79:
	v_lshrrev_b32_e32 v1, 1, v1
	v_add_u32_e32 v1, 0x210, v1
	ds_write2_b32 v1, v6, v7 offset1:8
	ds_write2_b32 v1, v4, v5 offset0:16 offset1:24
	ds_write2_b32 v1, v2, v3 offset0:32 offset1:40
	;; [unrolled: 1-line block ×7, first 2 shown]
.LBB60_80:
	s_or_b64 exec, exec, s[2:3]
	s_waitcnt lgkmcnt(0)
	s_barrier
	s_and_saveexec_b64 s[2:3], s[0:1]
	s_cbranch_execz .LBB60_99
; %bb.81:
	v_cmp_eq_u32_e32 vcc, 0, v93
	v_lshrrev_b32_e32 v1, 3, v0
	s_and_saveexec_b64 s[0:1], vcc
	s_cbranch_execnz .LBB60_102
; %bb.82:
	s_or_b64 exec, exec, s[0:1]
	s_and_saveexec_b64 s[0:1], vcc
	s_cbranch_execnz .LBB60_103
.LBB60_83:
	s_or_b64 exec, exec, s[0:1]
	s_and_saveexec_b64 s[0:1], vcc
	s_cbranch_execnz .LBB60_104
.LBB60_84:
	s_or_b64 exec, exec, s[0:1]
	s_and_saveexec_b64 s[0:1], vcc
	s_cbranch_execnz .LBB60_105
.LBB60_85:
	s_or_b64 exec, exec, s[0:1]
	s_and_saveexec_b64 s[0:1], vcc
	s_cbranch_execnz .LBB60_106
.LBB60_86:
	s_or_b64 exec, exec, s[0:1]
	s_and_saveexec_b64 s[0:1], vcc
	s_cbranch_execnz .LBB60_107
.LBB60_87:
	s_or_b64 exec, exec, s[0:1]
	s_and_saveexec_b64 s[0:1], vcc
	s_cbranch_execnz .LBB60_108
.LBB60_88:
	s_or_b64 exec, exec, s[0:1]
	s_and_saveexec_b64 s[0:1], vcc
	s_cbranch_execnz .LBB60_109
.LBB60_89:
	s_or_b64 exec, exec, s[0:1]
	s_and_saveexec_b64 s[0:1], vcc
	s_cbranch_execnz .LBB60_110
.LBB60_90:
	s_or_b64 exec, exec, s[0:1]
	s_and_saveexec_b64 s[0:1], vcc
	s_cbranch_execnz .LBB60_111
.LBB60_91:
	s_or_b64 exec, exec, s[0:1]
	s_and_saveexec_b64 s[0:1], vcc
	s_cbranch_execnz .LBB60_112
.LBB60_92:
	s_or_b64 exec, exec, s[0:1]
	s_and_saveexec_b64 s[0:1], vcc
	s_cbranch_execnz .LBB60_113
.LBB60_93:
	s_or_b64 exec, exec, s[0:1]
	s_and_saveexec_b64 s[0:1], vcc
	s_cbranch_execnz .LBB60_114
.LBB60_94:
	s_or_b64 exec, exec, s[0:1]
	s_and_saveexec_b64 s[0:1], vcc
	s_cbranch_execnz .LBB60_115
.LBB60_95:
	s_or_b64 exec, exec, s[0:1]
	s_and_saveexec_b64 s[0:1], vcc
	s_cbranch_execnz .LBB60_116
.LBB60_96:
	s_or_b64 exec, exec, s[0:1]
	s_and_saveexec_b64 s[0:1], vcc
	s_cbranch_execz .LBB60_98
.LBB60_97:
	v_mov_b32_e32 v18, 0x210
	v_lshl_add_u32 v1, v1, 2, v18
	ds_read_b32 v1, v1 offset:480
	s_waitcnt lgkmcnt(0)
	v_add_f32_e32 v17, v17, v1
.LBB60_98:
	s_or_b64 exec, exec, s[0:1]
.LBB60_99:
	s_or_b64 exec, exec, s[2:3]
	v_cmp_eq_u32_e32 vcc, 0, v20
	s_barrier
	s_and_saveexec_b64 s[0:1], vcc
	s_cbranch_execz .LBB60_101
; %bb.100:
	s_lshl_b32 s0, s4, 7
	s_ashr_i32 s1, s0, 31
	s_lshl_b64 s[0:1], s[0:1], 2
	s_add_u32 s2, s26, s0
	s_mul_i32 s0, s16, s24
	s_addc_u32 s3, s27, s1
	s_ashr_i32 s1, s0, 31
	s_lshl_b64 s[0:1], s[0:1], 2
	s_add_u32 s2, s2, s0
	s_addc_u32 s3, s3, s1
	s_lshl_b32 s0, s8, 7
	s_ashr_i32 s1, s0, 31
	s_lshl_b64 s[0:1], s[0:1], 2
	s_add_u32 s0, s2, s0
	s_addc_u32 s1, s3, s1
	v_lshrrev_b32_e32 v0, 1, v0
	global_store_dword v0, v6, s[0:1]
	global_store_dword v0, v7, s[0:1] offset:32
	global_store_dword v0, v4, s[0:1] offset:64
	;; [unrolled: 1-line block ×15, first 2 shown]
.LBB60_101:
	s_endpgm
.LBB60_102:
	v_mov_b32_e32 v18, 0x210
	v_lshl_add_u32 v18, v1, 2, v18
	ds_read_b32 v18, v18
	s_waitcnt lgkmcnt(0)
	v_add_f32_e32 v6, v6, v18
	s_or_b64 exec, exec, s[0:1]
	s_and_saveexec_b64 s[0:1], vcc
	s_cbranch_execz .LBB60_83
.LBB60_103:
	v_mov_b32_e32 v18, 0x210
	v_lshl_add_u32 v18, v1, 2, v18
	ds_read_b32 v18, v18 offset:32
	s_waitcnt lgkmcnt(0)
	v_add_f32_e32 v7, v7, v18
	s_or_b64 exec, exec, s[0:1]
	s_and_saveexec_b64 s[0:1], vcc
	s_cbranch_execz .LBB60_84
.LBB60_104:
	v_mov_b32_e32 v18, 0x210
	v_lshl_add_u32 v18, v1, 2, v18
	ds_read_b32 v18, v18 offset:64
	s_waitcnt lgkmcnt(0)
	v_add_f32_e32 v4, v4, v18
	s_or_b64 exec, exec, s[0:1]
	s_and_saveexec_b64 s[0:1], vcc
	s_cbranch_execz .LBB60_85
.LBB60_105:
	v_mov_b32_e32 v18, 0x210
	v_lshl_add_u32 v18, v1, 2, v18
	ds_read_b32 v18, v18 offset:96
	s_waitcnt lgkmcnt(0)
	v_add_f32_e32 v5, v5, v18
	s_or_b64 exec, exec, s[0:1]
	s_and_saveexec_b64 s[0:1], vcc
	s_cbranch_execz .LBB60_86
.LBB60_106:
	v_mov_b32_e32 v18, 0x210
	v_lshl_add_u32 v18, v1, 2, v18
	ds_read_b32 v18, v18 offset:128
	s_waitcnt lgkmcnt(0)
	v_add_f32_e32 v2, v2, v18
	s_or_b64 exec, exec, s[0:1]
	s_and_saveexec_b64 s[0:1], vcc
	s_cbranch_execz .LBB60_87
.LBB60_107:
	v_mov_b32_e32 v18, 0x210
	v_lshl_add_u32 v18, v1, 2, v18
	ds_read_b32 v18, v18 offset:160
	s_waitcnt lgkmcnt(0)
	v_add_f32_e32 v3, v3, v18
	s_or_b64 exec, exec, s[0:1]
	s_and_saveexec_b64 s[0:1], vcc
	s_cbranch_execz .LBB60_88
.LBB60_108:
	v_mov_b32_e32 v18, 0x210
	v_lshl_add_u32 v18, v1, 2, v18
	ds_read_b32 v18, v18 offset:192
	s_waitcnt lgkmcnt(0)
	v_add_f32_e32 v14, v14, v18
	s_or_b64 exec, exec, s[0:1]
	s_and_saveexec_b64 s[0:1], vcc
	s_cbranch_execz .LBB60_89
.LBB60_109:
	v_mov_b32_e32 v18, 0x210
	v_lshl_add_u32 v18, v1, 2, v18
	ds_read_b32 v18, v18 offset:224
	s_waitcnt lgkmcnt(0)
	v_add_f32_e32 v15, v15, v18
	s_or_b64 exec, exec, s[0:1]
	s_and_saveexec_b64 s[0:1], vcc
	s_cbranch_execz .LBB60_90
.LBB60_110:
	v_mov_b32_e32 v18, 0x210
	v_lshl_add_u32 v18, v1, 2, v18
	ds_read_b32 v18, v18 offset:256
	s_waitcnt lgkmcnt(0)
	v_add_f32_e32 v12, v12, v18
	s_or_b64 exec, exec, s[0:1]
	s_and_saveexec_b64 s[0:1], vcc
	s_cbranch_execz .LBB60_91
.LBB60_111:
	v_mov_b32_e32 v18, 0x210
	v_lshl_add_u32 v18, v1, 2, v18
	ds_read_b32 v18, v18 offset:288
	s_waitcnt lgkmcnt(0)
	v_add_f32_e32 v13, v13, v18
	s_or_b64 exec, exec, s[0:1]
	s_and_saveexec_b64 s[0:1], vcc
	s_cbranch_execz .LBB60_92
.LBB60_112:
	v_mov_b32_e32 v18, 0x210
	v_lshl_add_u32 v18, v1, 2, v18
	ds_read_b32 v18, v18 offset:320
	s_waitcnt lgkmcnt(0)
	v_add_f32_e32 v10, v10, v18
	s_or_b64 exec, exec, s[0:1]
	s_and_saveexec_b64 s[0:1], vcc
	s_cbranch_execz .LBB60_93
.LBB60_113:
	v_mov_b32_e32 v18, 0x210
	v_lshl_add_u32 v18, v1, 2, v18
	ds_read_b32 v18, v18 offset:352
	s_waitcnt lgkmcnt(0)
	v_add_f32_e32 v11, v11, v18
	s_or_b64 exec, exec, s[0:1]
	s_and_saveexec_b64 s[0:1], vcc
	s_cbranch_execz .LBB60_94
.LBB60_114:
	v_mov_b32_e32 v18, 0x210
	v_lshl_add_u32 v18, v1, 2, v18
	ds_read_b32 v18, v18 offset:384
	s_waitcnt lgkmcnt(0)
	v_add_f32_e32 v8, v8, v18
	s_or_b64 exec, exec, s[0:1]
	s_and_saveexec_b64 s[0:1], vcc
	s_cbranch_execz .LBB60_95
.LBB60_115:
	v_mov_b32_e32 v18, 0x210
	v_lshl_add_u32 v18, v1, 2, v18
	ds_read_b32 v18, v18 offset:416
	s_waitcnt lgkmcnt(0)
	v_add_f32_e32 v9, v9, v18
	s_or_b64 exec, exec, s[0:1]
	s_and_saveexec_b64 s[0:1], vcc
	s_cbranch_execz .LBB60_96
.LBB60_116:
	v_mov_b32_e32 v18, 0x210
	v_lshl_add_u32 v18, v1, 2, v18
	ds_read_b32 v18, v18 offset:448
	s_waitcnt lgkmcnt(0)
	v_add_f32_e32 v16, v16, v18
	s_or_b64 exec, exec, s[0:1]
	s_and_saveexec_b64 s[0:1], vcc
	s_cbranch_execnz .LBB60_97
	s_branch .LBB60_98
	.section	.rodata,"a",@progbits
	.p2align	6, 0x0
	.amdhsa_kernel _ZN4vllm25paged_attention_v2_kernelIffLi128ELi32ELi128ELNS_18Fp8KVCacheDataTypeE0ELb0ELi512EEEvPfS2_PT_PKS3_PKT0_S9_ifPKiSB_iPKfiiiSD_SD_iiiii
		.amdhsa_group_segment_fixed_size 528
		.amdhsa_private_segment_fixed_size 0
		.amdhsa_kernarg_size 400
		.amdhsa_user_sgpr_count 6
		.amdhsa_user_sgpr_private_segment_buffer 1
		.amdhsa_user_sgpr_dispatch_ptr 0
		.amdhsa_user_sgpr_queue_ptr 0
		.amdhsa_user_sgpr_kernarg_segment_ptr 1
		.amdhsa_user_sgpr_dispatch_id 0
		.amdhsa_user_sgpr_flat_scratch_init 0
		.amdhsa_user_sgpr_kernarg_preload_length 0
		.amdhsa_user_sgpr_kernarg_preload_offset 0
		.amdhsa_user_sgpr_private_segment_size 0
		.amdhsa_uses_dynamic_stack 0
		.amdhsa_system_sgpr_private_segment_wavefront_offset 0
		.amdhsa_system_sgpr_workgroup_id_x 1
		.amdhsa_system_sgpr_workgroup_id_y 1
		.amdhsa_system_sgpr_workgroup_id_z 1
		.amdhsa_system_sgpr_workgroup_info 0
		.amdhsa_system_vgpr_workitem_id 0
		.amdhsa_next_free_vgpr 112
		.amdhsa_next_free_sgpr 49
		.amdhsa_accum_offset 112
		.amdhsa_reserve_vcc 1
		.amdhsa_reserve_flat_scratch 0
		.amdhsa_float_round_mode_32 0
		.amdhsa_float_round_mode_16_64 0
		.amdhsa_float_denorm_mode_32 3
		.amdhsa_float_denorm_mode_16_64 3
		.amdhsa_dx10_clamp 1
		.amdhsa_ieee_mode 1
		.amdhsa_fp16_overflow 0
		.amdhsa_tg_split 0
		.amdhsa_exception_fp_ieee_invalid_op 0
		.amdhsa_exception_fp_denorm_src 0
		.amdhsa_exception_fp_ieee_div_zero 0
		.amdhsa_exception_fp_ieee_overflow 0
		.amdhsa_exception_fp_ieee_underflow 0
		.amdhsa_exception_fp_ieee_inexact 0
		.amdhsa_exception_int_div_zero 0
	.end_amdhsa_kernel
	.section	.text._ZN4vllm25paged_attention_v2_kernelIffLi128ELi32ELi128ELNS_18Fp8KVCacheDataTypeE0ELb0ELi512EEEvPfS2_PT_PKS3_PKT0_S9_ifPKiSB_iPKfiiiSD_SD_iiiii,"axG",@progbits,_ZN4vllm25paged_attention_v2_kernelIffLi128ELi32ELi128ELNS_18Fp8KVCacheDataTypeE0ELb0ELi512EEEvPfS2_PT_PKS3_PKT0_S9_ifPKiSB_iPKfiiiSD_SD_iiiii,comdat
.Lfunc_end60:
	.size	_ZN4vllm25paged_attention_v2_kernelIffLi128ELi32ELi128ELNS_18Fp8KVCacheDataTypeE0ELb0ELi512EEEvPfS2_PT_PKS3_PKT0_S9_ifPKiSB_iPKfiiiSD_SD_iiiii, .Lfunc_end60-_ZN4vllm25paged_attention_v2_kernelIffLi128ELi32ELi128ELNS_18Fp8KVCacheDataTypeE0ELb0ELi512EEEvPfS2_PT_PKS3_PKT0_S9_ifPKiSB_iPKfiiiSD_SD_iiiii
                                        ; -- End function
	.section	.AMDGPU.csdata,"",@progbits
; Kernel info:
; codeLenInByte = 7768
; NumSgprs: 53
; NumVgprs: 112
; NumAgprs: 0
; TotalNumVgprs: 112
; ScratchSize: 0
; MemoryBound: 0
; FloatMode: 240
; IeeeMode: 1
; LDSByteSize: 528 bytes/workgroup (compile time only)
; SGPRBlocks: 6
; VGPRBlocks: 13
; NumSGPRsForWavesPerEU: 53
; NumVGPRsForWavesPerEU: 112
; AccumOffset: 112
; Occupancy: 4
; WaveLimiterHint : 1
; COMPUTE_PGM_RSRC2:SCRATCH_EN: 0
; COMPUTE_PGM_RSRC2:USER_SGPR: 6
; COMPUTE_PGM_RSRC2:TRAP_HANDLER: 0
; COMPUTE_PGM_RSRC2:TGID_X_EN: 1
; COMPUTE_PGM_RSRC2:TGID_Y_EN: 1
; COMPUTE_PGM_RSRC2:TGID_Z_EN: 1
; COMPUTE_PGM_RSRC2:TIDIG_COMP_CNT: 0
; COMPUTE_PGM_RSRC3_GFX90A:ACCUM_OFFSET: 27
; COMPUTE_PGM_RSRC3_GFX90A:TG_SPLIT: 0
	.section	.text._ZN4vllm25paged_attention_v2_kernelIffLi192ELi32ELi128ELNS_18Fp8KVCacheDataTypeE0ELb0ELi512EEEvPfS2_PT_PKS3_PKT0_S9_ifPKiSB_iPKfiiiSD_SD_iiiii,"axG",@progbits,_ZN4vllm25paged_attention_v2_kernelIffLi192ELi32ELi128ELNS_18Fp8KVCacheDataTypeE0ELb0ELi512EEEvPfS2_PT_PKS3_PKT0_S9_ifPKiSB_iPKfiiiSD_SD_iiiii,comdat
	.protected	_ZN4vllm25paged_attention_v2_kernelIffLi192ELi32ELi128ELNS_18Fp8KVCacheDataTypeE0ELb0ELi512EEEvPfS2_PT_PKS3_PKT0_S9_ifPKiSB_iPKfiiiSD_SD_iiiii ; -- Begin function _ZN4vllm25paged_attention_v2_kernelIffLi192ELi32ELi128ELNS_18Fp8KVCacheDataTypeE0ELb0ELi512EEEvPfS2_PT_PKS3_PKT0_S9_ifPKiSB_iPKfiiiSD_SD_iiiii
	.globl	_ZN4vllm25paged_attention_v2_kernelIffLi192ELi32ELi128ELNS_18Fp8KVCacheDataTypeE0ELb0ELi512EEEvPfS2_PT_PKS3_PKT0_S9_ifPKiSB_iPKfiiiSD_SD_iiiii
	.p2align	8
	.type	_ZN4vllm25paged_attention_v2_kernelIffLi192ELi32ELi128ELNS_18Fp8KVCacheDataTypeE0ELb0ELi512EEEvPfS2_PT_PKS3_PKT0_S9_ifPKiSB_iPKfiiiSD_SD_iiiii,@function
_ZN4vllm25paged_attention_v2_kernelIffLi192ELi32ELi128ELNS_18Fp8KVCacheDataTypeE0ELb0ELi512EEEvPfS2_PT_PKS3_PKT0_S9_ifPKiSB_iPKfiiiSD_SD_iiiii: ; @_ZN4vllm25paged_attention_v2_kernelIffLi192ELi32ELi128ELNS_18Fp8KVCacheDataTypeE0ELb0ELi512EEEvPfS2_PT_PKS3_PKT0_S9_ifPKiSB_iPKfiiiSD_SD_iiiii
; %bb.0:
	s_mov_b64 s[58:59], s[2:3]
	s_mov_b64 s[56:57], s[0:1]
	s_load_dwordx2 s[0:1], s[4:5], 0x40
	s_add_u32 s56, s56, s9
	s_addc_u32 s57, s57, 0
	s_mov_b32 s30, s7
	s_ashr_i32 s31, s7, 31
	s_lshl_b64 s[2:3], s[30:31], 2
	s_waitcnt lgkmcnt(0)
	s_add_u32 s0, s0, s2
	s_addc_u32 s1, s1, s3
	s_load_dword s31, s[0:1], 0x0
	s_lshl_b32 s33, s8, 9
	s_waitcnt lgkmcnt(0)
	s_cmp_ge_i32 s33, s31
	s_cbranch_scc1 .LBB61_125
; %bb.1:
	s_load_dword s9, s[4:5], 0x90
	s_load_dwordx2 s[40:41], s[4:5], 0x30
	v_mov_b32_e32 v36, v0
	s_mov_b32 s46, 0
	s_waitcnt lgkmcnt(0)
	s_abs_i32 s2, s9
	s_abs_i32 s0, s40
	v_cvt_f32_u32_e32 v0, s0
	s_sub_i32 s3, 0, s0
	s_xor_b32 s1, s9, s40
	s_ashr_i32 s1, s1, 31
	v_rcp_iflag_f32_e32 v0, v0
	v_mul_f32_e32 v0, 0x4f7ffffe, v0
	v_cvt_u32_f32_e32 v0, v0
	v_readfirstlane_b32 s7, v0
	s_mul_i32 s3, s3, s7
	s_mul_hi_u32 s3, s7, s3
	s_add_i32 s7, s7, s3
	s_mul_hi_u32 s3, s2, s7
	s_mul_i32 s7, s3, s0
	s_sub_i32 s2, s2, s7
	s_add_i32 s10, s3, 1
	s_sub_i32 s7, s2, s0
	s_cmp_ge_u32 s2, s0
	s_cselect_b32 s3, s10, s3
	s_cselect_b32 s2, s7, s2
	s_add_i32 s7, s3, 1
	s_cmp_ge_u32 s2, s0
	s_cselect_b32 s0, s7, s3
	s_xor_b32 s0, s0, s1
	s_sub_i32 s12, s0, s1
	s_abs_i32 s2, s12
	v_cvt_f32_u32_e32 v0, s2
	s_load_dwordx2 s[0:1], s[4:5], 0x50
	s_sub_i32 s7, 0, s2
	s_abs_i32 s3, s6
	v_rcp_iflag_f32_e32 v0, v0
	v_mul_f32_e32 v0, 0x4f7ffffe, v0
	v_cvt_u32_f32_e32 v0, v0
	v_readfirstlane_b32 s10, v0
	s_mul_i32 s7, s7, s10
	s_mul_hi_u32 s7, s10, s7
	s_add_i32 s10, s10, s7
	s_waitcnt lgkmcnt(0)
	s_cmp_eq_u64 s[0:1], 0
	s_mul_hi_u32 s10, s3, s10
	s_cbranch_scc1 .LBB61_3
; %bb.2:
	s_ashr_i32 s7, s6, 31
	s_lshl_b64 s[14:15], s[6:7], 2
	s_add_u32 s0, s0, s14
	s_addc_u32 s1, s1, s15
	s_load_dword s46, s[0:1], 0x0
.LBB61_3:
	s_load_dwordx4 s[20:23], s[4:5], 0x58
	s_movk_i32 s0, 0x60
	s_ashr_i32 s11, s6, 31
	s_ashr_i32 s12, s12, 31
	v_and_b32_e32 v42, 1, v36
	s_mul_i32 s18, s6, 0xc0
	v_cmp_gt_u32_e32 vcc, s0, v36
	v_lshlrev_b32_e32 v2, 3, v36
	v_lshlrev_b32_e32 v17, 2, v36
	s_and_saveexec_b64 s[0:1], vcc
	s_cbranch_execz .LBB61_5
; %bb.4:
	s_load_dwordx2 s[14:15], s[4:5], 0x18
	s_waitcnt lgkmcnt(0)
	s_mul_i32 s16, s30, s20
	s_ashr_i32 s17, s16, 31
	s_lshl_b64 s[16:17], s[16:17], 2
	v_and_b32_e32 v3, 0xff8, v17
	s_add_u32 s7, s14, s16
	s_addc_u32 s13, s15, s17
	s_ashr_i32 s19, s18, 31
	s_lshl_b64 s[14:15], s[18:19], 2
	s_add_u32 s14, s7, s14
	s_addc_u32 s15, s13, s15
	global_load_dwordx2 v[0:1], v2, s[14:15]
	s_movk_i32 s7, 0x180
	v_mad_u32_u24 v3, v42, s7, v3
	s_waitcnt vmcnt(0)
	ds_write_b64 v3, v[0:1]
.LBB61_5:
	s_or_b64 exec, exec, s[0:1]
	s_add_i32 s0, s31, 31
	s_ashr_i32 s1, s0, 31
	s_lshr_b32 s1, s1, 27
	s_add_i32 s0, s0, s1
	s_lshl_b32 s40, s8, 4
	s_mul_i32 s1, s10, s2
	s_ashr_i32 s7, s0, 5
	s_add_i32 s0, s40, 16
	s_sub_i32 s1, s3, s1
	s_waitcnt lgkmcnt(0)
	s_min_i32 s20, s0, s7
	s_xor_b32 s0, s11, s12
	s_add_i32 s3, s10, 1
	s_sub_i32 s11, s1, s2
	s_cmp_ge_u32 s1, s2
	s_cselect_b32 s3, s3, s10
	s_cselect_b32 s1, s11, s1
	s_add_i32 s10, s3, 1
	s_cmp_ge_u32 s1, s2
	s_load_dwordx2 s[34:35], s[4:5], 0x38
	s_load_dword s2, s[4:5], 0x48
	v_lshrrev_b32_e32 v45, 6, v36
	s_cselect_b32 s1, s10, s3
	s_xor_b32 s1, s1, s0
	v_or_b32_e32 v82, s40, v45
	s_waitcnt lgkmcnt(0)
	s_mul_i32 s36, s30, s2
	s_sub_i32 s10, s1, s0
	s_ashr_i32 s37, s36, 31
	v_cmp_gt_i32_e64 s[0:1], s20, v82
	v_cmp_le_i32_e32 vcc, s20, v82
	v_mbcnt_lo_u32_b32 v43, -1, 0
	s_barrier
	s_waitcnt lgkmcnt(0)
                                        ; implicit-def: $sgpr11
                                        ; implicit-def: $vgpr123
                                        ; implicit-def: $vgpr8
	s_and_saveexec_b64 s[2:3], vcc
	s_xor_b64 s[2:3], exec, s[2:3]
; %bb.6:
	v_mbcnt_hi_u32_b32 v123, -1, v43
	v_and_b32_e32 v0, 64, v123
	v_add_u32_e32 v8, 64, v0
	s_mov_b32 s11, 0xff7fffff
                                        ; implicit-def: $vgpr2
                                        ; implicit-def: $vgpr42
                                        ; implicit-def: $vgpr43
; %bb.7:
	s_or_saveexec_b64 s[42:43], s[2:3]
	s_load_dwordx4 s[24:27], s[4:5], 0x0
	s_load_dwordx2 s[28:29], s[4:5], 0x10
	s_load_dwordx2 s[38:39], s[4:5], 0x28
	s_load_dword s19, s[4:5], 0x98
	v_mov_b32_e32 v117, s11
	s_mul_i32 s22, s10, s22
	v_ashrrev_i32_e32 v83, 31, v82
	buffer_store_dword v36, off, s[56:59], 0 offset:116 ; 4-byte Folded Spill
	s_xor_b64 exec, exec, s[42:43]
	s_cbranch_execz .LBB61_13
; %bb.8:
	s_load_dwordx2 s[2:3], s[4:5], 0x20
	s_ashr_i32 s23, s22, 31
	s_lshl_b64 s[4:5], s[22:23], 2
	v_bfe_u32 v0, v36, 1, 5
	v_lshlrev_b32_e32 v3, 4, v0
	s_waitcnt lgkmcnt(0)
	s_add_u32 s2, s2, s4
	s_addc_u32 s3, s3, s5
	v_mov_b32_e32 v4, s3
	v_add_co_u32_e32 v3, vcc, s2, v3
	v_addc_co_u32_e32 v4, vcc, 0, v4, vcc
	v_and_b32_e32 v2, 8, v2
	v_mbcnt_hi_u32_b32 v123, -1, v43
	v_add_co_u32_e32 v114, vcc, v3, v2
	v_and_b32_e32 v44, 64, v123
	v_addc_co_u32_e32 v115, vcc, 0, v4, vcc
	v_xor_b32_e32 v43, 1, v123
	v_add_u32_e32 v44, 64, v44
	v_cmp_lt_i32_e32 vcc, v43, v44
	s_sub_i32 s23, 1, s31
	s_lshl_b64 s[4:5], s[36:37], 2
	v_lshlrev_b32_e32 v1, 2, v0
	v_mul_u32_u24_e32 v94, 0x180, v42
	v_cndmask_b32_e32 v43, v123, v43, vcc
	v_cmp_eq_u32_e32 vcc, 0, v42
	v_lshlrev_b32_e32 v42, 5, v45
	s_add_u32 s4, s34, s4
	v_lshlrev_b32_e32 v116, 2, v43
	v_add3_u32 v118, s33, v42, v0
	v_lshl_or_b32 v0, v45, 7, v1
	v_lshlrev_b64 v[42:43], 2, v[82:83]
	s_addc_u32 s5, s35, s5
	buffer_store_dword v17, off, s[56:59], 0 ; 4-byte Folded Spill
	v_add_u32_e32 v119, 0x310, v0
	v_mov_b32_e32 v0, s5
	v_add_co_u32_e64 v98, s[4:5], s4, v42
	ds_read_b128 v[2:5], v94
	ds_read_b128 v[6:9], v94 offset:16
	ds_read_b128 v[10:13], v94 offset:32
	;; [unrolled: 1-line block ×9, first 2 shown]
	buffer_store_dword v44, off, s[56:59], 0 offset:28 ; 4-byte Folded Spill
	buffer_store_dword v45, off, s[56:59], 0 offset:24 ; 4-byte Folded Spill
	v_addc_co_u32_e64 v99, s[4:5], v0, v43, s[4:5]
	v_pk_mov_b32 v[0:1], v[82:83], v[82:83] op_sel:[0,1]
	ds_read_b128 v[42:45], v94 offset:160
	ds_read_b128 v[46:49], v94 offset:176
	;; [unrolled: 1-line block ×14, first 2 shown]
	buffer_store_dword v0, off, s[56:59], 0 offset:16 ; 4-byte Folded Spill
	s_nop 0
	buffer_store_dword v1, off, s[56:59], 0 offset:20 ; 4-byte Folded Spill
	s_mov_b32 s47, s21
	v_cmp_neq_f32_e64 s[2:3], s46, 0
	s_mov_b64 s[44:45], 0
	v_mov_b32_e32 v117, 0xff7fffff
	s_movk_i32 s48, 0x1000
	s_movk_i32 s49, 0x2000
	;; [unrolled: 1-line block ×5, first 2 shown]
	v_mov_b32_e32 v120, v0
	s_branch .LBB61_10
.LBB61_9:                               ;   in Loop: Header=BB61_10 Depth=1
	s_or_b64 exec, exec, s[10:11]
	v_add_u32_e32 v120, 2, v120
	v_cmp_le_i32_e64 s[4:5], s20, v120
	s_or_b64 s[44:45], s[4:5], s[44:45]
	v_add_co_u32_e64 v98, s[4:5], 8, v98
	v_add_u32_e32 v118, 64, v118
	v_add_u32_e32 v119, 0x100, v119
	v_addc_co_u32_e64 v99, s[4:5], 0, v99, s[4:5]
	s_andn2_b64 exec, exec, s[44:45]
	s_cbranch_execz .LBB61_12
.LBB61_10:                              ; =>This Inner Loop Header: Depth=1
	global_load_dword v0, v[98:99], off
	s_waitcnt vmcnt(0) lgkmcnt(0)
	v_mad_i64_i32 v[100:101], s[4:5], v0, s47, 0
	v_lshlrev_b64 v[100:101], 2, v[100:101]
	v_add_co_u32_e64 v108, s[4:5], v114, v100
	v_addc_co_u32_e64 v109, s[4:5], v115, v101, s[4:5]
	global_load_dwordx2 v[100:101], v[108:109], off offset:512
	global_load_dwordx2 v[102:103], v[108:109], off
	global_load_dwordx2 v[104:105], v[108:109], off offset:1024
	global_load_dwordx2 v[110:111], v[108:109], off offset:1536
	;; [unrolled: 1-line block ×4, first 2 shown]
	v_add_co_u32_e64 v0, s[4:5], s48, v108
	v_add_co_u32_e64 v106, s[10:11], s49, v108
	global_load_dwordx2 v[126:127], v[108:109], off offset:3072
	v_addc_co_u32_e64 v1, s[4:5], 0, v109, s[4:5]
	v_addc_co_u32_e64 v107, s[4:5], 0, v109, s[10:11]
	s_waitcnt vmcnt(6) lgkmcnt(14)
	v_mul_f32_e32 v121, v4, v100
	v_mul_f32_e32 v122, v5, v101
	s_waitcnt vmcnt(5)
	v_fmac_f32_e32 v121, v2, v102
	v_fmac_f32_e32 v122, v3, v103
	s_waitcnt vmcnt(4)
	v_fmac_f32_e32 v121, v6, v104
	v_fmac_f32_e32 v122, v7, v105
	v_add_co_u32_e64 v104, s[12:13], s50, v108
	v_add_co_u32_e64 v102, s[14:15], s51, v108
	;; [unrolled: 1-line block ×3, first 2 shown]
	s_waitcnt vmcnt(3)
	v_fmac_f32_e32 v121, v8, v110
	v_fmac_f32_e32 v122, v9, v111
	global_load_dwordx2 v[110:111], v[106:107], off offset:-4096
	v_addc_co_u32_e64 v105, s[4:5], 0, v109, s[12:13]
	v_addc_co_u32_e64 v103, s[4:5], 0, v109, s[14:15]
	;; [unrolled: 1-line block ×3, first 2 shown]
	global_load_dwordx2 v[108:109], v[108:109], off offset:3584
	s_waitcnt vmcnt(4)
	v_fmac_f32_e32 v121, v10, v112
	v_fmac_f32_e32 v122, v11, v113
	s_waitcnt vmcnt(3)
	v_fmac_f32_e32 v121, v12, v124
	v_fmac_f32_e32 v122, v13, v125
	;; [unrolled: 3-line block ×4, first 2 shown]
	global_load_dwordx2 v[108:109], v[0:1], off offset:512
	v_fmac_f32_e32 v121, v18, v110
	v_fmac_f32_e32 v122, v19, v111
	global_load_dwordx2 v[110:111], v[0:1], off offset:1024
	s_waitcnt vmcnt(1)
	v_fmac_f32_e32 v121, v20, v108
	v_fmac_f32_e32 v122, v21, v109
	global_load_dwordx2 v[108:109], v[0:1], off offset:1536
	s_waitcnt vmcnt(1)
	;; [unrolled: 4-line block ×4, first 2 shown]
	v_fmac_f32_e32 v121, v26, v110
	v_fmac_f32_e32 v122, v27, v111
	global_load_dwordx2 v[110:111], v[0:1], off offset:3072
	s_nop 0
	global_load_dwordx2 v[0:1], v[0:1], off offset:3584
	s_waitcnt vmcnt(2)
	v_fmac_f32_e32 v121, v28, v108
	v_fmac_f32_e32 v122, v29, v109
	global_load_dwordx2 v[108:109], v[106:107], off
	s_waitcnt vmcnt(2)
	v_fmac_f32_e32 v121, v30, v110
	v_fmac_f32_e32 v122, v31, v111
	global_load_dwordx2 v[110:111], v[106:107], off offset:512
	s_waitcnt vmcnt(2)
	v_fmac_f32_e32 v121, v32, v0
	v_fmac_f32_e32 v122, v33, v1
	global_load_dwordx2 v[0:1], v[106:107], off offset:1024
	;; [unrolled: 4-line block ×6, first 2 shown]
	s_nop 0
	global_load_dwordx2 v[106:107], v[106:107], off offset:3584
	s_waitcnt vmcnt(3) lgkmcnt(13)
	v_fmac_f32_e32 v121, v42, v110
	v_fmac_f32_e32 v122, v43, v111
	global_load_dwordx2 v[110:111], v[102:103], off offset:-4096
	s_waitcnt vmcnt(3)
	v_fmac_f32_e32 v121, v44, v0
	v_fmac_f32_e32 v122, v45, v1
	global_load_dwordx2 v[0:1], v[104:105], off offset:512
	s_waitcnt vmcnt(3) lgkmcnt(12)
	v_fmac_f32_e32 v121, v46, v108
	v_fmac_f32_e32 v122, v47, v109
	global_load_dwordx2 v[108:109], v[104:105], off offset:1024
	s_waitcnt vmcnt(3)
	v_fmac_f32_e32 v121, v48, v106
	v_fmac_f32_e32 v122, v49, v107
	global_load_dwordx2 v[106:107], v[104:105], off offset:1536
	s_waitcnt vmcnt(3) lgkmcnt(11)
	v_fmac_f32_e32 v121, v50, v110
	v_fmac_f32_e32 v122, v51, v111
	global_load_dwordx2 v[110:111], v[104:105], off offset:2048
	;; [unrolled: 8-line block ×3, first 2 shown]
	s_nop 0
	global_load_dwordx2 v[104:105], v[104:105], off offset:3584
	s_waitcnt vmcnt(4)
	v_fmac_f32_e32 v121, v56, v106
	v_fmac_f32_e32 v122, v57, v107
	global_load_dwordx2 v[106:107], v[102:103], off
	s_waitcnt vmcnt(4) lgkmcnt(9)
	v_fmac_f32_e32 v121, v58, v110
	v_fmac_f32_e32 v122, v59, v111
	global_load_dwordx2 v[110:111], v[102:103], off offset:512
	s_waitcnt vmcnt(4)
	v_fmac_f32_e32 v121, v60, v0
	v_fmac_f32_e32 v122, v61, v1
	global_load_dwordx2 v[0:1], v[102:103], off offset:1024
	s_waitcnt vmcnt(4) lgkmcnt(8)
	v_fmac_f32_e32 v121, v62, v108
	v_fmac_f32_e32 v122, v63, v109
	global_load_dwordx2 v[108:109], v[102:103], off offset:1536
	s_waitcnt vmcnt(4)
	v_fmac_f32_e32 v121, v64, v104
	v_fmac_f32_e32 v122, v65, v105
	global_load_dwordx2 v[104:105], v[102:103], off offset:2048
	s_waitcnt vmcnt(4) lgkmcnt(7)
	v_fmac_f32_e32 v121, v66, v106
	v_fmac_f32_e32 v122, v67, v107
	global_load_dwordx2 v[106:107], v[102:103], off offset:2560
	global_load_dwordx2 v[124:125], v[102:103], off offset:3072
	s_nop 0
	global_load_dwordx2 v[102:103], v[102:103], off offset:3584
	s_waitcnt vmcnt(6)
	v_fmac_f32_e32 v121, v68, v110
	v_fmac_f32_e32 v122, v69, v111
	s_waitcnt vmcnt(5) lgkmcnt(6)
	v_fmac_f32_e32 v121, v70, v0
	v_fmac_f32_e32 v122, v71, v1
	global_load_dwordx2 v[0:1], v[100:101], off
	global_load_dwordx2 v[112:113], v[100:101], off offset:512
	global_load_dwordx2 v[110:111], v[100:101], off offset:1024
	s_waitcnt vmcnt(7)
	v_fmac_f32_e32 v121, v72, v108
	v_fmac_f32_e32 v122, v73, v109
	global_load_dwordx2 v[108:109], v[100:101], off offset:1536
	s_waitcnt vmcnt(7) lgkmcnt(5)
	v_fmac_f32_e32 v121, v74, v104
	v_fmac_f32_e32 v122, v75, v105
	global_load_dwordx2 v[104:105], v[100:101], off offset:2560
	s_waitcnt vmcnt(7)
	v_fmac_f32_e32 v121, v76, v106
	v_fmac_f32_e32 v122, v77, v107
	global_load_dwordx2 v[106:107], v[100:101], off offset:2048
	s_waitcnt vmcnt(7) lgkmcnt(4)
	v_fmac_f32_e32 v121, v78, v124
	v_fmac_f32_e32 v122, v79, v125
	s_waitcnt vmcnt(6)
	v_fmac_f32_e32 v121, v80, v102
	v_fmac_f32_e32 v122, v81, v103
	global_load_dwordx2 v[102:103], v[100:101], off offset:3072
	s_nop 0
	global_load_dwordx2 v[100:101], v[100:101], off offset:3584
	s_waitcnt vmcnt(7) lgkmcnt(3)
	v_fmac_f32_e32 v121, v82, v0
	v_fmac_f32_e32 v122, v83, v1
	s_waitcnt vmcnt(6)
	v_fmac_f32_e32 v121, v84, v112
	v_fmac_f32_e32 v122, v85, v113
	s_waitcnt vmcnt(5) lgkmcnt(2)
	v_fmac_f32_e32 v121, v86, v110
	v_fmac_f32_e32 v122, v87, v111
	s_waitcnt vmcnt(4)
	v_fmac_f32_e32 v121, v88, v108
	v_fmac_f32_e32 v122, v89, v109
	s_waitcnt vmcnt(2) lgkmcnt(1)
	v_fmac_f32_e32 v121, v90, v106
	v_fmac_f32_e32 v122, v91, v107
	;; [unrolled: 1-line block ×4, first 2 shown]
	s_waitcnt vmcnt(1) lgkmcnt(0)
	v_fmac_f32_e32 v121, v94, v102
	v_fmac_f32_e32 v122, v95, v103
	s_waitcnt vmcnt(0)
	v_fmac_f32_e32 v121, v96, v100
	v_fmac_f32_e32 v122, v97, v101
	v_add_f32_e32 v100, v121, v122
	ds_bpermute_b32 v101, v116, v100
	s_and_saveexec_b64 s[10:11], vcc
	s_cbranch_execz .LBB61_9
; %bb.11:                               ;   in Loop: Header=BB61_10 Depth=1
	v_add_u32_e32 v0, s23, v118
	v_cvt_f32_i32_e32 v0, v0
	s_waitcnt lgkmcnt(0)
	v_add_f32_e32 v1, v100, v101
	v_max_f32_e32 v100, v117, v117
	v_cmp_gt_i32_e64 s[4:5], s31, v118
	v_mul_f32_e32 v0, s46, v0
	v_cndmask_b32_e64 v0, 0, v0, s[2:3]
	v_fmac_f32_e32 v0, s41, v1
	v_cndmask_b32_e64 v1, 0, v0, s[4:5]
	v_max_f32_e32 v0, v100, v0
	v_cndmask_b32_e64 v117, v117, v0, s[4:5]
	ds_write_b32 v119, v1
	s_branch .LBB61_9
.LBB61_12:
	s_or_b64 exec, exec, s[44:45]
	buffer_load_dword v36, off, s[56:59], 0 offset:116 ; 4-byte Folded Reload
	buffer_load_dword v82, off, s[56:59], 0 offset:16 ; 4-byte Folded Reload
	;; [unrolled: 1-line block ×3, first 2 shown]
	buffer_load_dword v17, off, s[56:59], 0 ; 4-byte Folded Reload
	buffer_load_dword v45, off, s[56:59], 0 offset:24 ; 4-byte Folded Reload
	buffer_load_dword v8, off, s[56:59], 0 offset:28 ; 4-byte Folded Reload
.LBB61_13:
	s_or_b64 exec, exec, s[42:43]
	v_xor_b32_e32 v0, 32, v123
	s_waitcnt vmcnt(0)
	v_cmp_lt_i32_e32 vcc, v0, v8
	v_cndmask_b32_e32 v0, v123, v0, vcc
	v_lshlrev_b32_e32 v2, 2, v0
	ds_bpermute_b32 v0, v2, v117
	v_xor_b32_e32 v3, 16, v123
	v_max_f32_e32 v1, v117, v117
	v_cmp_lt_i32_e32 vcc, v3, v8
	v_xor_b32_e32 v4, 8, v123
	s_waitcnt lgkmcnt(0)
	v_max_f32_e32 v0, v0, v0
	v_max_f32_e32 v0, v1, v0
	v_cndmask_b32_e32 v1, v123, v3, vcc
	v_lshlrev_b32_e32 v3, 2, v1
	ds_bpermute_b32 v1, v3, v0
	v_cmp_lt_i32_e32 vcc, v4, v8
	v_xor_b32_e32 v5, 4, v123
	v_and_b32_e32 v37, 63, v36
	s_waitcnt lgkmcnt(0)
	v_max_f32_e32 v1, v1, v1
	v_max_f32_e32 v0, v0, v1
	v_cndmask_b32_e32 v1, v123, v4, vcc
	v_lshlrev_b32_e32 v4, 2, v1
	ds_bpermute_b32 v1, v4, v0
	v_cmp_lt_i32_e32 vcc, v5, v8
	s_waitcnt lgkmcnt(0)
	v_max_f32_e32 v1, v1, v1
	v_max_f32_e32 v0, v0, v1
	v_cndmask_b32_e32 v1, v123, v5, vcc
	v_lshlrev_b32_e32 v29, 2, v1
	ds_bpermute_b32 v1, v29, v0
	v_xor_b32_e32 v5, 2, v123
	v_cmp_lt_i32_e32 vcc, v5, v8
	s_waitcnt lgkmcnt(0)
	v_max_f32_e32 v1, v1, v1
	v_max_f32_e32 v6, v0, v1
	v_cndmask_b32_e32 v0, v123, v5, vcc
	v_lshlrev_b32_e32 v35, 2, v0
	ds_bpermute_b32 v7, v35, v6
	v_cmp_eq_u32_e32 vcc, 0, v37
	v_lshlrev_b32_e32 v5, 2, v45
	s_and_saveexec_b64 s[2:3], vcc
	s_cbranch_execz .LBB61_15
; %bb.14:
	s_waitcnt lgkmcnt(0)
	v_max_f32_e32 v0, v7, v7
	v_max_f32_e32 v1, v6, v6
	;; [unrolled: 1-line block ×3, first 2 shown]
	ds_write_b32 v5, v0 offset:768
.LBB61_15:
	s_or_b64 exec, exec, s[2:3]
	v_cmp_gt_u32_e64 s[2:3], 2, v37
	s_waitcnt lgkmcnt(0)
	v_mov_b32_e32 v7, 0xff7fffff
	v_lshlrev_b32_e32 v6, 2, v37
	s_barrier
	s_and_saveexec_b64 s[4:5], s[2:3]
	s_cbranch_execz .LBB61_17
; %bb.16:
	ds_read_b32 v7, v6 offset:768
.LBB61_17:
	s_or_b64 exec, exec, s[4:5]
	v_xor_b32_e32 v0, 1, v123
	v_cmp_lt_i32_e64 s[4:5], v0, v8
	v_cndmask_b32_e64 v0, v123, v0, s[4:5]
	v_lshlrev_b32_e32 v38, 2, v0
	s_waitcnt lgkmcnt(0)
	ds_bpermute_b32 v0, v38, v7
	v_max_f32_e32 v1, v7, v7
	s_sub_i32 s4, s20, s40
	s_lshl_b32 s4, s4, 5
	s_add_i32 s4, s4, s33
	s_waitcnt lgkmcnt(0)
	v_max_f32_e32 v0, v0, v0
	v_max_f32_e32 v0, v1, v0
	v_lshlrev_b32_e32 v1, 2, v123
	v_and_b32_e32 v1, 0xffffff00, v1
	ds_bpermute_b32 v0, v1, v0
	s_min_i32 s17, s4, s31
	s_sub_i32 s16, s17, s33
	v_cmp_gt_i32_e64 s[4:5], s16, v36
	v_mov_b32_e32 v7, 0
	s_and_saveexec_b64 s[12:13], s[4:5]
	s_cbranch_execz .LBB61_21
; %bb.18:
	v_mov_b32_e32 v7, 0x310
	v_lshl_add_u32 v8, v36, 2, v7
	s_mov_b64 s[14:15], 0
	v_mov_b32_e32 v7, 0
	v_mov_b32_e32 v9, v36
.LBB61_19:                              ; =>This Inner Loop Header: Depth=1
	ds_read_b32 v10, v8
	v_add_u32_e32 v9, 0x80, v9
	v_cmp_le_i32_e64 s[10:11], s16, v9
	s_or_b64 s[14:15], s[10:11], s[14:15]
	s_waitcnt lgkmcnt(0)
	v_sub_f32_e32 v10, v10, v0
	v_mul_f32_e32 v10, 0x3fb8aa3b, v10
	v_exp_f32_e32 v10, v10
	ds_write_b32 v8, v10
	v_add_f32_e32 v7, v7, v10
	v_add_u32_e32 v8, 0x200, v8
	s_andn2_b64 exec, exec, s[14:15]
	s_cbranch_execnz .LBB61_19
; %bb.20:
	s_or_b64 exec, exec, s[14:15]
.LBB61_21:
	s_or_b64 exec, exec, s[12:13]
	ds_bpermute_b32 v2, v2, v7
	s_waitcnt lgkmcnt(0)
	v_add_f32_e32 v2, v7, v2
	ds_bpermute_b32 v3, v3, v2
	s_waitcnt lgkmcnt(0)
	v_add_f32_e32 v2, v2, v3
	;; [unrolled: 3-line block ×6, first 2 shown]
	s_and_saveexec_b64 s[10:11], vcc
	s_cbranch_execz .LBB61_23
; %bb.22:
	ds_write_b32 v5, v2 offset:776
.LBB61_23:
	s_or_b64 exec, exec, s[10:11]
	s_waitcnt lgkmcnt(0)
	s_barrier
	s_and_saveexec_b64 s[10:11], s[2:3]
	s_cbranch_execz .LBB61_25
; %bb.24:
	ds_read_b32 v2, v6 offset:776
.LBB61_25:
	s_or_b64 exec, exec, s[10:11]
	s_waitcnt lgkmcnt(0)
	ds_bpermute_b32 v3, v38, v2
	s_waitcnt lgkmcnt(0)
	v_add_f32_e32 v2, v2, v3
	ds_bpermute_b32 v1, v1, v2
	s_and_saveexec_b64 s[2:3], s[4:5]
	s_cbranch_execz .LBB61_38
; %bb.26:
	s_waitcnt lgkmcnt(0)
	v_add_f32_e32 v2, 0x358637bd, v1
	v_div_scale_f32 v3, s[4:5], v2, v2, 1.0
	v_rcp_f32_e32 v4, v3
	v_div_scale_f32 v5, vcc, 1.0, v2, 1.0
	s_movk_i32 s4, 0x7f
	v_fma_f32 v6, -v3, v4, 1.0
	v_fmac_f32_e32 v4, v6, v4
	v_mul_f32_e32 v6, v5, v4
	v_fma_f32 v7, -v3, v6, v5
	v_fmac_f32_e32 v6, v7, v4
	v_fma_f32 v3, -v3, v6, v5
	v_div_fmas_f32 v3, v3, v4, v6
	v_div_fixup_f32 v2, v3, v2, 1.0
	v_xad_u32 v3, v36, -1, s17
	v_subrev_u32_e32 v4, s33, v3
	v_cmp_lt_u32_e32 vcc, s4, v4
	s_mov_b64 s[10:11], -1
	v_mov_b32_e32 v3, v36
	s_and_saveexec_b64 s[4:5], vcc
	s_cbranch_execz .LBB61_35
; %bb.27:
	v_lshrrev_b32_e32 v4, 7, v4
	v_add_u32_e32 v6, -1, v4
	v_lshrrev_b32_e32 v5, 1, v6
	v_mov_b32_e32 v3, v2
	v_add_u32_e32 v5, 1, v5
	v_cmp_lt_u32_e32 vcc, 13, v6
	v_mov_b32_e32 v8, 0
	s_and_saveexec_b64 s[10:11], vcc
	s_cbranch_execz .LBB61_31
; %bb.28:
	v_mov_b32_e32 v7, 0x310
	v_and_b32_e32 v6, -8, v5
	v_lshl_add_u32 v7, v36, 2, v7
	s_mov_b32 s14, 0
	s_mov_b64 s[12:13], 0
.LBB61_29:                              ; =>This Inner Loop Header: Depth=1
	ds_read2st64_b32 v[8:9], v7 offset1:2
	ds_read2st64_b32 v[10:11], v7 offset0:4 offset1:6
	ds_read2st64_b32 v[12:13], v7 offset0:8 offset1:10
	;; [unrolled: 1-line block ×3, first 2 shown]
	v_add_u32_e32 v6, -8, v6
	s_waitcnt lgkmcnt(3)
	v_pk_mul_f32 v[8:9], v[2:3], v[8:9]
	s_waitcnt lgkmcnt(2)
	v_pk_mul_f32 v[10:11], v[2:3], v[10:11]
	ds_write2st64_b32 v7, v8, v9 offset1:2
	ds_write2st64_b32 v7, v10, v11 offset0:4 offset1:6
	ds_read2st64_b32 v[10:11], v7 offset0:16 offset1:18
	s_waitcnt lgkmcnt(4)
	v_pk_mul_f32 v[8:9], v[2:3], v[12:13]
	ds_write2st64_b32 v7, v8, v9 offset0:8 offset1:10
	s_waitcnt lgkmcnt(4)
	v_pk_mul_f32 v[8:9], v[2:3], v[14:15]
	ds_write2st64_b32 v7, v8, v9 offset0:12 offset1:14
	ds_read2st64_b32 v[8:9], v7 offset0:20 offset1:22
	s_waitcnt lgkmcnt(3)
	v_pk_mul_f32 v[10:11], v[2:3], v[10:11]
	ds_read2st64_b32 v[12:13], v7 offset0:24 offset1:26
	ds_write2st64_b32 v7, v10, v11 offset0:16 offset1:18
	ds_read2st64_b32 v[10:11], v7 offset0:28 offset1:30
	s_waitcnt lgkmcnt(3)
	v_pk_mul_f32 v[8:9], v[2:3], v[8:9]
	ds_write2st64_b32 v7, v8, v9 offset0:20 offset1:22
	s_waitcnt lgkmcnt(3)
	v_pk_mul_f32 v[8:9], v[2:3], v[12:13]
	ds_write2st64_b32 v7, v8, v9 offset0:24 offset1:26
	s_waitcnt lgkmcnt(2)
	v_pk_mul_f32 v[8:9], v[2:3], v[10:11]
	s_add_i32 s14, s14, 16
	v_cmp_eq_u32_e32 vcc, 0, v6
	ds_write2st64_b32 v7, v8, v9 offset0:28 offset1:30
	v_add_u32_e32 v7, 0x2000, v7
	s_or_b64 s[12:13], vcc, s[12:13]
	v_mov_b32_e32 v8, s14
	s_andn2_b64 exec, exec, s[12:13]
	s_cbranch_execnz .LBB61_29
; %bb.30:
	s_or_b64 exec, exec, s[12:13]
.LBB61_31:
	s_or_b64 exec, exec, s[10:11]
	v_and_b32_e32 v5, 7, v5
	v_cmp_ne_u32_e32 vcc, 0, v5
	s_and_saveexec_b64 s[10:11], vcc
	s_cbranch_execz .LBB61_34
; %bb.32:
	v_lshlrev_b32_e32 v6, 9, v8
	s_movk_i32 s12, 0x310
	v_add3_u32 v6, v6, v17, s12
	s_mov_b64 s[12:13], 0
.LBB61_33:                              ; =>This Inner Loop Header: Depth=1
	ds_read2st64_b32 v[8:9], v6 offset1:2
	v_add_u32_e32 v5, -1, v5
	v_cmp_eq_u32_e32 vcc, 0, v5
	s_or_b64 s[12:13], vcc, s[12:13]
	s_waitcnt lgkmcnt(0)
	v_pk_mul_f32 v[8:9], v[2:3], v[8:9]
	ds_write2st64_b32 v6, v8, v9 offset1:2
	v_add_u32_e32 v6, 0x400, v6
	s_andn2_b64 exec, exec, s[12:13]
	s_cbranch_execnz .LBB61_33
.LBB61_34:
	s_or_b64 exec, exec, s[10:11]
	v_add_u32_e32 v4, 1, v4
	v_and_b32_e32 v5, 0x3fffffe, v4
	v_cmp_ne_u32_e32 vcc, v4, v5
	v_lshl_add_u32 v3, v5, 7, v36
	s_orn2_b64 s[10:11], vcc, exec
.LBB61_35:
	s_or_b64 exec, exec, s[4:5]
	s_and_b64 exec, exec, s[10:11]
	s_cbranch_execz .LBB61_38
; %bb.36:
	v_mov_b32_e32 v4, 0x310
	v_lshl_add_u32 v4, v3, 2, v4
	s_mov_b64 s[4:5], 0
.LBB61_37:                              ; =>This Inner Loop Header: Depth=1
	ds_read_b32 v5, v4
	v_add_u32_e32 v3, 0x80, v3
	v_cmp_le_i32_e32 vcc, s16, v3
	s_or_b64 s[4:5], vcc, s[4:5]
	s_waitcnt lgkmcnt(0)
	v_mul_f32_e32 v5, v2, v5
	ds_write_b32 v4, v5
	v_add_u32_e32 v4, 0x200, v4
	s_andn2_b64 exec, exec, s[4:5]
	s_cbranch_execnz .LBB61_37
.LBB61_38:
	s_or_b64 exec, exec, s[2:3]
	s_mul_i32 s2, s19, s30
	v_cmp_eq_u32_e32 vcc, 0, v36
	s_mul_i32 s2, s2, s9
	s_waitcnt lgkmcnt(0)
	s_barrier
	s_and_saveexec_b64 s[4:5], vcc
	s_cbranch_execz .LBB61_40
; %bb.39:
	s_ashr_i32 s3, s2, 31
	s_lshl_b64 s[10:11], s[2:3], 2
	s_add_u32 s3, s26, s10
	s_mul_i32 s12, s19, s6
	s_addc_u32 s9, s27, s11
	s_ashr_i32 s13, s12, 31
	s_lshl_b64 s[12:13], s[12:13], 2
	s_add_u32 s3, s3, s12
	s_addc_u32 s6, s9, s13
	s_ashr_i32 s9, s8, 31
	s_lshl_b64 s[14:15], s[8:9], 2
	s_add_u32 s16, s3, s14
	s_addc_u32 s17, s6, s15
	s_add_u32 s3, s24, s10
	s_addc_u32 s6, s25, s11
	;; [unrolled: 2-line block ×3, first 2 shown]
	s_add_u32 s10, s3, s14
	v_mov_b32_e32 v2, 0
	s_addc_u32 s11, s6, s15
	global_store_dword v2, v0, s[16:17]
	global_store_dword v2, v1, s[10:11]
.LBB61_40:
	s_or_b64 exec, exec, s[4:5]
	v_mov_b32_e32 v126, 0
	v_and_b32_e32 v39, 7, v36
	v_mov_b32_e32 v127, 0
	v_mov_b32_e32 v124, 0
	;; [unrolled: 1-line block ×23, first 2 shown]
	s_and_saveexec_b64 s[4:5], s[0:1]
	s_cbranch_execz .LBB61_92
; %bb.41:
	s_ashr_i32 s23, s22, 31
	s_lshl_b64 s[0:1], s[22:23], 2
	s_add_u32 s9, s38, s0
	v_and_b32_e32 v0, 28, v17
	s_addc_u32 s10, s39, s1
	s_add_i32 s12, s7, -1
	v_lshl_add_u32 v1, v45, 5, s33
	s_lshl_b64 s[0:1], s[36:37], 2
	v_add3_u32 v0, v1, v0, 3
	v_lshlrev_b32_e32 v1, 4, v39
	s_add_u32 s0, s34, s0
	v_lshl_or_b32 v1, v45, 7, v1
	v_lshlrev_b64 v[44:45], 2, v[82:83]
	s_addc_u32 s1, s35, s1
	v_and_b32_e32 v2, 0xfc, v17
	v_add_u32_e32 v5, 0x310, v1
	v_mov_b32_e32 v1, s1
	v_add_co_u32_e32 v102, vcc, s0, v44
	v_or_b32_e32 v4, 0x400, v2
	v_addc_co_u32_e32 v103, vcc, v1, v45, vcc
	v_lshlrev_b32_e32 v1, 2, v2
	buffer_store_dword v38, off, s[56:59], 0 offset:132 ; 4-byte Folded Spill
	buffer_store_dword v29, off, s[56:59], 0 offset:128 ; 4-byte Folded Spill
	;; [unrolled: 1-line block ×4, first 2 shown]
	v_or_b32_e32 v6, 0x500, v2
	buffer_store_dword v1, off, s[56:59], 0 offset:28 ; 4-byte Folded Spill
	v_lshlrev_b32_e32 v1, 2, v4
	v_or_b32_e32 v8, 0x600, v2
	buffer_store_dword v1, off, s[56:59], 0 offset:32 ; 4-byte Folded Spill
	v_lshlrev_b32_e32 v1, 2, v6
	;; [unrolled: 3-line block ×19, first 2 shown]
	v_mov_b32_e32 v105, 0
	buffer_store_dword v1, off, s[56:59], 0 offset:104 ; 4-byte Folded Spill
	v_lshlrev_b32_e32 v1, 2, v42
	s_mov_b32 s3, s21
	s_mov_b64 s[6:7], 0
	buffer_store_dword v1, off, s[56:59], 0 offset:108 ; 4-byte Folded Spill
	v_mov_b32_e32 v1, s10
	v_mov_b32_e32 v104, v105
	;; [unrolled: 1-line block ×24, first 2 shown]
	buffer_store_dword v39, off, s[56:59], 0 offset:136 ; 4-byte Folded Spill
	buffer_store_dword v1, off, s[56:59], 0 offset:112 ; 4-byte Folded Spill
	s_branch .LBB61_43
.LBB61_42:                              ;   in Loop: Header=BB61_43 Depth=1
	s_or_b64 exec, exec, s[0:1]
	buffer_load_dword v26, off, s[56:59], 0 ; 4-byte Folded Reload
	buffer_load_dword v27, off, s[56:59], 0 offset:4 ; 4-byte Folded Reload
	buffer_load_dword v28, off, s[56:59], 0 offset:8 ; 4-byte Folded Reload
	;; [unrolled: 1-line block ×3, first 2 shown]
	s_waitcnt lgkmcnt(0)
	v_mul_f32_e32 v1, v3, v99
	v_fmac_f32_e32 v1, v2, v98
	v_fmac_f32_e32 v1, v4, v100
	v_fmac_f32_e32 v1, v5, v101
	v_add_f32_e32 v104, v104, v1
	v_mul_f32_e32 v1, v3, v91
	v_fmac_f32_e32 v1, v2, v90
	v_fmac_f32_e32 v1, v4, v92
	v_fmac_f32_e32 v1, v5, v93
	v_add_f32_e32 v106, v106, v1
	;; [unrolled: 5-line block ×16, first 2 shown]
	s_waitcnt vmcnt(2)
	v_mul_f32_e32 v1, v3, v27
	v_fmac_f32_e32 v1, v2, v26
	s_waitcnt vmcnt(1)
	v_fmac_f32_e32 v1, v4, v28
	s_waitcnt vmcnt(0)
	v_fmac_f32_e32 v1, v5, v29
	v_add_f32_e32 v123, v123, v1
	v_mul_f32_e32 v1, v3, v23
	v_fmac_f32_e32 v1, v2, v22
	v_fmac_f32_e32 v1, v4, v24
	v_fmac_f32_e32 v1, v5, v25
	v_add_f32_e32 v122, v122, v1
	v_mul_f32_e32 v1, v3, v19
	v_fmac_f32_e32 v1, v2, v18
	v_fmac_f32_e32 v1, v4, v20
	;; [unrolled: 5-line block ×5, first 2 shown]
	v_fmac_f32_e32 v1, v5, v9
	v_add_f32_e32 v126, v126, v1
	v_mul_f32_e32 v1, v3, v83
	v_mul_f32_e32 v95, v3, v95
	v_fmac_f32_e32 v1, v2, v82
	buffer_load_dword v82, off, s[56:59], 0 offset:16 ; 4-byte Folded Reload
	buffer_load_dword v83, off, s[56:59], 0 offset:20 ; 4-byte Folded Reload
	v_fmac_f32_e32 v95, v2, v94
	v_fmac_f32_e32 v95, v4, v96
	;; [unrolled: 1-line block ×5, first 2 shown]
	buffer_load_dword v5, off, s[56:59], 0 offset:24 ; 4-byte Folded Reload
	v_add_f32_e32 v107, v107, v95
	v_add_f32_e32 v105, v105, v1
	v_add_u32_e32 v0, 64, v0
	s_waitcnt vmcnt(2)
	v_add_u32_e32 v82, 2, v82
	v_cmp_le_i32_e32 vcc, s20, v82
	s_or_b64 s[6:7], vcc, s[6:7]
	v_add_co_u32_e32 v102, vcc, 8, v102
	v_addc_co_u32_e32 v103, vcc, 0, v103, vcc
	s_waitcnt vmcnt(0)
	v_add_u32_e32 v5, 0x100, v5
	s_andn2_b64 exec, exec, s[6:7]
	s_cbranch_execz .LBB61_91
.LBB61_43:                              ; =>This Inner Loop Header: Depth=1
	global_load_dword v1, v[102:103], off
	v_mov_b32_e32 v12, v82
	buffer_store_dword v5, off, s[56:59], 0 offset:24 ; 4-byte Folded Spill
	v_mov_b32_e32 v10, v12
	v_add_u32_e32 v28, -2, v0
	s_waitcnt vmcnt(1)
	v_mad_i64_i32 v[2:3], s[0:1], v1, s3, 0
	buffer_load_dword v1, off, s[56:59], 0 offset:112 ; 4-byte Folded Reload
	v_lshlrev_b64 v[2:3], 2, v[2:3]
	v_add_co_u32_e32 v82, vcc, s9, v2
	s_waitcnt vmcnt(0)
	v_addc_co_u32_e32 v83, vcc, v1, v3, vcc
	buffer_load_dword v1, off, s[56:59], 0 offset:28 ; 4-byte Folded Reload
	ds_read_b128 v[2:5], v5
	s_waitcnt vmcnt(0)
	v_add_co_u32_e32 v18, vcc, v82, v1
	v_addc_co_u32_e32 v19, vcc, 0, v83, vcc
	global_load_dwordx4 v[6:9], v[18:19], off
	v_cmp_eq_u32_e32 vcc, s12, v12
	v_add_u32_e32 v1, -1, v0
	buffer_store_dword v10, off, s[56:59], 0 offset:16 ; 4-byte Folded Spill
	s_nop 0
	buffer_store_dword v11, off, s[56:59], 0 offset:20 ; 4-byte Folded Spill
	s_and_saveexec_b64 s[10:11], vcc
	s_cbranch_execnz .LBB61_88
; %bb.44:                               ;   in Loop: Header=BB61_43 Depth=1
	s_or_b64 exec, exec, s[10:11]
	global_load_dwordx4 v[10:13], v[18:19], off offset:1024
	s_and_saveexec_b64 s[10:11], vcc
	s_cbranch_execnz .LBB61_89
.LBB61_45:                              ;   in Loop: Header=BB61_43 Depth=1
	s_or_b64 exec, exec, s[10:11]
	global_load_dwordx4 v[14:17], v[18:19], off offset:2048
	s_and_saveexec_b64 s[10:11], vcc
	s_cbranch_execnz .LBB61_90
.LBB61_46:                              ;   in Loop: Header=BB61_43 Depth=1
	s_or_b64 exec, exec, s[10:11]
	global_load_dwordx4 v[18:21], v[18:19], off offset:3072
	s_and_saveexec_b64 s[10:11], vcc
	s_cbranch_execz .LBB61_48
.LBB61_47:                              ;   in Loop: Header=BB61_43 Depth=1
	v_add_u32_e32 v22, -3, v0
	v_cmp_gt_i32_e64 s[0:1], s31, v22
	s_waitcnt vmcnt(0)
	v_cndmask_b32_e64 v18, 0, v18, s[0:1]
	v_cmp_gt_i32_e64 s[0:1], s31, v28
	v_cndmask_b32_e64 v19, 0, v19, s[0:1]
	v_cmp_gt_i32_e64 s[0:1], s31, v1
	v_cndmask_b32_e64 v20, 0, v20, s[0:1]
	v_cmp_gt_i32_e64 s[0:1], s31, v0
	v_cndmask_b32_e64 v21, 0, v21, s[0:1]
.LBB61_48:                              ;   in Loop: Header=BB61_43 Depth=1
	s_or_b64 exec, exec, s[10:11]
	buffer_load_dword v22, off, s[56:59], 0 offset:32 ; 4-byte Folded Reload
	s_waitcnt vmcnt(0)
	v_add_co_u32_e64 v22, s[0:1], v82, v22
	v_addc_co_u32_e64 v23, s[0:1], 0, v83, s[0:1]
	global_load_dwordx4 v[22:25], v[22:23], off
	s_and_saveexec_b64 s[10:11], vcc
	s_cbranch_execz .LBB61_50
; %bb.49:                               ;   in Loop: Header=BB61_43 Depth=1
	v_add_u32_e32 v26, -3, v0
	v_cmp_gt_i32_e64 s[0:1], s31, v26
	s_waitcnt vmcnt(0)
	v_cndmask_b32_e64 v22, 0, v22, s[0:1]
	v_cmp_gt_i32_e64 s[0:1], s31, v28
	v_cndmask_b32_e64 v23, 0, v23, s[0:1]
	v_cmp_gt_i32_e64 s[0:1], s31, v1
	;; [unrolled: 2-line block ×3, first 2 shown]
	v_cndmask_b32_e64 v25, 0, v25, s[0:1]
.LBB61_50:                              ;   in Loop: Header=BB61_43 Depth=1
	s_or_b64 exec, exec, s[10:11]
	buffer_load_dword v26, off, s[56:59], 0 offset:36 ; 4-byte Folded Reload
	s_waitcnt vmcnt(0)
	v_add_co_u32_e64 v26, s[0:1], v82, v26
	v_addc_co_u32_e64 v27, s[0:1], 0, v83, s[0:1]
	global_load_dwordx4 v[30:33], v[26:27], off
	s_waitcnt vmcnt(0)
	buffer_store_dword v30, off, s[56:59], 0 ; 4-byte Folded Spill
	s_nop 0
	buffer_store_dword v31, off, s[56:59], 0 offset:4 ; 4-byte Folded Spill
	buffer_store_dword v32, off, s[56:59], 0 offset:8 ; 4-byte Folded Spill
	;; [unrolled: 1-line block ×3, first 2 shown]
	s_and_saveexec_b64 s[10:11], vcc
	s_cbranch_execz .LBB61_52
; %bb.51:                               ;   in Loop: Header=BB61_43 Depth=1
	v_add_u32_e32 v30, -3, v0
	v_cmp_gt_i32_e64 s[0:1], s31, v30
	buffer_load_dword v30, off, s[56:59], 0 ; 4-byte Folded Reload
	buffer_load_dword v31, off, s[56:59], 0 offset:4 ; 4-byte Folded Reload
	buffer_load_dword v32, off, s[56:59], 0 offset:8 ; 4-byte Folded Reload
	;; [unrolled: 1-line block ×3, first 2 shown]
	s_waitcnt vmcnt(3)
	v_cndmask_b32_e64 v30, 0, v30, s[0:1]
	v_cmp_gt_i32_e64 s[0:1], s31, v28
	s_waitcnt vmcnt(2)
	v_cndmask_b32_e64 v31, 0, v31, s[0:1]
	v_cmp_gt_i32_e64 s[0:1], s31, v1
	;; [unrolled: 3-line block ×3, first 2 shown]
	s_waitcnt vmcnt(0)
	v_cndmask_b32_e64 v33, 0, v33, s[0:1]
	buffer_store_dword v30, off, s[56:59], 0 ; 4-byte Folded Spill
	s_nop 0
	buffer_store_dword v31, off, s[56:59], 0 offset:4 ; 4-byte Folded Spill
	buffer_store_dword v32, off, s[56:59], 0 offset:8 ; 4-byte Folded Spill
	;; [unrolled: 1-line block ×3, first 2 shown]
.LBB61_52:                              ;   in Loop: Header=BB61_43 Depth=1
	s_or_b64 exec, exec, s[10:11]
	buffer_load_dword v30, off, s[56:59], 0 offset:40 ; 4-byte Folded Reload
	s_waitcnt vmcnt(0)
	v_add_co_u32_e64 v30, s[0:1], v82, v30
	v_addc_co_u32_e64 v31, s[0:1], 0, v83, s[0:1]
	global_load_dwordx4 v[30:33], v[30:31], off
	s_and_saveexec_b64 s[10:11], vcc
	s_cbranch_execz .LBB61_54
; %bb.53:                               ;   in Loop: Header=BB61_43 Depth=1
	v_add_u32_e32 v34, -3, v0
	v_cmp_gt_i32_e64 s[0:1], s31, v34
	s_waitcnt vmcnt(0)
	v_cndmask_b32_e64 v30, 0, v30, s[0:1]
	v_cmp_gt_i32_e64 s[0:1], s31, v28
	v_cndmask_b32_e64 v31, 0, v31, s[0:1]
	v_cmp_gt_i32_e64 s[0:1], s31, v1
	v_cndmask_b32_e64 v32, 0, v32, s[0:1]
	v_cmp_gt_i32_e64 s[0:1], s31, v0
	v_cndmask_b32_e64 v33, 0, v33, s[0:1]
.LBB61_54:                              ;   in Loop: Header=BB61_43 Depth=1
	s_or_b64 exec, exec, s[10:11]
	buffer_load_dword v34, off, s[56:59], 0 offset:44 ; 4-byte Folded Reload
	s_waitcnt vmcnt(0)
	v_add_co_u32_e64 v34, s[0:1], v82, v34
	v_addc_co_u32_e64 v35, s[0:1], 0, v83, s[0:1]
	global_load_dwordx4 v[34:37], v[34:35], off
	s_and_saveexec_b64 s[10:11], vcc
	s_cbranch_execz .LBB61_56
; %bb.55:                               ;   in Loop: Header=BB61_43 Depth=1
	v_add_u32_e32 v38, -3, v0
	v_cmp_gt_i32_e64 s[0:1], s31, v38
	s_waitcnt vmcnt(0)
	v_cndmask_b32_e64 v34, 0, v34, s[0:1]
	v_cmp_gt_i32_e64 s[0:1], s31, v28
	v_cndmask_b32_e64 v35, 0, v35, s[0:1]
	v_cmp_gt_i32_e64 s[0:1], s31, v1
	v_cndmask_b32_e64 v36, 0, v36, s[0:1]
	v_cmp_gt_i32_e64 s[0:1], s31, v0
	v_cndmask_b32_e64 v37, 0, v37, s[0:1]
.LBB61_56:                              ;   in Loop: Header=BB61_43 Depth=1
	;; [unrolled: 20-line block ×17, first 2 shown]
	s_or_b64 exec, exec, s[10:11]
	buffer_load_dword v84, off, s[56:59], 0 offset:108 ; 4-byte Folded Reload
	s_waitcnt vmcnt(0)
	v_add_co_u32_e64 v82, s[0:1], v82, v84
	v_addc_co_u32_e64 v83, s[0:1], 0, v83, s[0:1]
	global_load_dwordx4 v[82:85], v[82:83], off
	s_and_saveexec_b64 s[0:1], vcc
	s_cbranch_execz .LBB61_42
; %bb.87:                               ;   in Loop: Header=BB61_43 Depth=1
	v_mov_b32_e32 v26, v1
	v_add_u32_e32 v1, -3, v0
	v_cmp_gt_i32_e32 vcc, s31, v1
	s_waitcnt vmcnt(0)
	v_cndmask_b32_e32 v82, 0, v82, vcc
	v_cmp_gt_i32_e32 vcc, s31, v28
	v_cndmask_b32_e32 v83, 0, v83, vcc
	v_cmp_gt_i32_e32 vcc, s31, v26
	v_cndmask_b32_e32 v84, 0, v84, vcc
	v_cmp_gt_i32_e32 vcc, s31, v0
	v_cndmask_b32_e32 v85, 0, v85, vcc
	s_branch .LBB61_42
.LBB61_88:                              ;   in Loop: Header=BB61_43 Depth=1
	v_add_u32_e32 v10, -3, v0
	v_cmp_gt_i32_e64 s[0:1], s31, v10
	s_waitcnt vmcnt(2)
	v_cndmask_b32_e64 v6, 0, v6, s[0:1]
	v_cmp_gt_i32_e64 s[0:1], s31, v28
	v_cndmask_b32_e64 v7, 0, v7, s[0:1]
	v_cmp_gt_i32_e64 s[0:1], s31, v1
	;; [unrolled: 2-line block ×3, first 2 shown]
	v_cndmask_b32_e64 v9, 0, v9, s[0:1]
	s_or_b64 exec, exec, s[10:11]
	global_load_dwordx4 v[10:13], v[18:19], off offset:1024
	s_and_saveexec_b64 s[10:11], vcc
	s_cbranch_execz .LBB61_45
.LBB61_89:                              ;   in Loop: Header=BB61_43 Depth=1
	v_add_u32_e32 v14, -3, v0
	v_cmp_gt_i32_e64 s[0:1], s31, v14
	s_waitcnt vmcnt(0)
	v_cndmask_b32_e64 v10, 0, v10, s[0:1]
	v_cmp_gt_i32_e64 s[0:1], s31, v28
	v_cndmask_b32_e64 v11, 0, v11, s[0:1]
	v_cmp_gt_i32_e64 s[0:1], s31, v1
	;; [unrolled: 2-line block ×3, first 2 shown]
	v_cndmask_b32_e64 v13, 0, v13, s[0:1]
	s_or_b64 exec, exec, s[10:11]
	global_load_dwordx4 v[14:17], v[18:19], off offset:2048
	s_and_saveexec_b64 s[10:11], vcc
	s_cbranch_execz .LBB61_46
.LBB61_90:                              ;   in Loop: Header=BB61_43 Depth=1
	v_add_u32_e32 v20, -3, v0
	v_cmp_gt_i32_e64 s[0:1], s31, v20
	s_waitcnt vmcnt(0)
	v_cndmask_b32_e64 v14, 0, v14, s[0:1]
	v_cmp_gt_i32_e64 s[0:1], s31, v28
	v_cndmask_b32_e64 v15, 0, v15, s[0:1]
	v_cmp_gt_i32_e64 s[0:1], s31, v1
	;; [unrolled: 2-line block ×3, first 2 shown]
	v_cndmask_b32_e64 v17, 0, v17, s[0:1]
	s_or_b64 exec, exec, s[10:11]
	global_load_dwordx4 v[18:21], v[18:19], off offset:3072
	s_and_saveexec_b64 s[10:11], vcc
	s_cbranch_execnz .LBB61_47
	s_branch .LBB61_48
.LBB61_91:
	s_or_b64 exec, exec, s[6:7]
	buffer_load_dword v36, off, s[56:59], 0 offset:116 ; 4-byte Folded Reload
	buffer_load_dword v37, off, s[56:59], 0 offset:120 ; 4-byte Folded Reload
	;; [unrolled: 1-line block ×6, first 2 shown]
.LBB61_92:
	s_or_b64 exec, exec, s[4:5]
	s_waitcnt vmcnt(2)
	ds_bpermute_b32 v2, v29, v124
	ds_bpermute_b32 v3, v29, v125
	;; [unrolled: 1-line block ×6, first 2 shown]
	s_waitcnt lgkmcnt(4)
	v_pk_add_f32 v[2:3], v[124:125], v[2:3]
	ds_bpermute_b32 v6, v35, v2
	ds_bpermute_b32 v7, v35, v3
	s_waitcnt lgkmcnt(4)
	v_pk_add_f32 v[0:1], v[126:127], v[0:1]
	ds_bpermute_b32 v4, v35, v0
	ds_bpermute_b32 v5, v35, v1
	;; [unrolled: 1-line block ×3, first 2 shown]
	s_waitcnt lgkmcnt(3)
	v_pk_add_f32 v[2:3], v[2:3], v[6:7]
	v_pk_add_f32 v[6:7], v[122:123], v[8:9]
	ds_bpermute_b32 v8, v35, v6
	ds_bpermute_b32 v9, v35, v7
	;; [unrolled: 1-line block ×3, first 2 shown]
	s_waitcnt lgkmcnt(4)
	v_pk_add_f32 v[0:1], v[0:1], v[4:5]
	s_waitcnt vmcnt(1)
	ds_bpermute_b32 v4, v38, v0
	ds_bpermute_b32 v5, v38, v1
	s_waitcnt lgkmcnt(3)
	v_pk_add_f32 v[6:7], v[6:7], v[8:9]
	s_waitcnt lgkmcnt(2)
	v_pk_add_f32 v[12:13], v[120:121], v[12:13]
	ds_bpermute_b32 v8, v38, v6
	ds_bpermute_b32 v9, v38, v7
	;; [unrolled: 1-line block ×4, first 2 shown]
	s_waitcnt lgkmcnt(4)
	v_pk_add_f32 v[4:5], v[0:1], v[4:5]
	ds_bpermute_b32 v18, v29, v114
	s_waitcnt lgkmcnt(3)
	v_pk_add_f32 v[0:1], v[6:7], v[8:9]
	ds_bpermute_b32 v8, v29, v118
	;; [unrolled: 3-line block ×3, first 2 shown]
	ds_bpermute_b32 v12, v29, v116
	ds_bpermute_b32 v13, v29, v117
	;; [unrolled: 1-line block ×4, first 2 shown]
	s_waitcnt lgkmcnt(4)
	v_pk_add_f32 v[8:9], v[118:119], v[8:9]
	ds_bpermute_b32 v14, v35, v8
	s_waitcnt lgkmcnt(3)
	v_pk_add_f32 v[12:13], v[116:117], v[12:13]
	ds_bpermute_b32 v15, v35, v9
	ds_bpermute_b32 v16, v35, v12
	;; [unrolled: 1-line block ×5, first 2 shown]
	s_waitcnt lgkmcnt(4)
	v_pk_add_f32 v[8:9], v[8:9], v[14:15]
	ds_bpermute_b32 v14, v38, v8
	s_waitcnt lgkmcnt(3)
	v_pk_add_f32 v[16:17], v[12:13], v[16:17]
	v_pk_add_f32 v[12:13], v[114:115], v[18:19]
	s_waitcnt lgkmcnt(2)
	v_pk_add_f32 v[2:3], v[2:3], v[10:11]
	ds_bpermute_b32 v10, v38, v6
	ds_bpermute_b32 v11, v38, v7
	;; [unrolled: 1-line block ×9, first 2 shown]
	s_waitcnt lgkmcnt(4)
	v_pk_add_f32 v[18:19], v[12:13], v[18:19]
	v_pk_add_f32 v[12:13], v[6:7], v[10:11]
	s_waitcnt lgkmcnt(2)
	v_pk_add_f32 v[22:23], v[112:113], v[22:23]
	v_pk_add_f32 v[10:11], v[8:9], v[14:15]
	s_waitcnt lgkmcnt(1)
	v_pk_add_f32 v[8:9], v[16:17], v[20:21]
	ds_bpermute_b32 v20, v29, v108
	ds_bpermute_b32 v21, v29, v109
	;; [unrolled: 1-line block ×8, first 2 shown]
	s_waitcnt lgkmcnt(6)
	v_pk_add_f32 v[20:21], v[108:109], v[20:21]
	s_waitcnt lgkmcnt(4)
	v_pk_add_f32 v[6:7], v[18:19], v[24:25]
	;; [unrolled: 2-line block ×3, first 2 shown]
	ds_bpermute_b32 v24, v35, v20
	ds_bpermute_b32 v25, v35, v21
	;; [unrolled: 1-line block ×4, first 2 shown]
	s_waitcnt lgkmcnt(4)
	v_pk_add_f32 v[16:17], v[110:111], v[16:17]
	ds_bpermute_b32 v22, v35, v16
	ds_bpermute_b32 v23, v35, v17
	;; [unrolled: 1-line block ×3, first 2 shown]
	s_waitcnt lgkmcnt(5)
	v_pk_add_f32 v[24:25], v[20:21], v[24:25]
	s_waitcnt lgkmcnt(3)
	v_pk_add_f32 v[20:21], v[106:107], v[26:27]
	ds_bpermute_b32 v26, v35, v20
	ds_bpermute_b32 v27, v35, v21
	s_waitcnt lgkmcnt(3)
	v_pk_add_f32 v[16:17], v[16:17], v[22:23]
	s_waitcnt lgkmcnt(2)
	v_pk_add_f32 v[30:31], v[104:105], v[30:31]
	ds_bpermute_b32 v18, v38, v14
	ds_bpermute_b32 v19, v38, v15
	;; [unrolled: 1-line block ×8, first 2 shown]
	s_waitcnt lgkmcnt(8)
	v_pk_add_f32 v[26:27], v[20:21], v[26:27]
	ds_bpermute_b32 v32, v38, v26
	ds_bpermute_b32 v33, v38, v27
	s_waitcnt lgkmcnt(8)
	v_pk_add_f32 v[20:21], v[14:15], v[18:19]
	s_waitcnt lgkmcnt(6)
	v_pk_add_f32 v[18:19], v[16:17], v[22:23]
	;; [unrolled: 2-line block ×4, first 2 shown]
	ds_bpermute_b32 v24, v38, v22
	ds_bpermute_b32 v25, v38, v23
	s_waitcnt lgkmcnt(2)
	v_pk_add_f32 v[14:15], v[26:27], v[32:33]
	v_and_b32_e32 v26, 0x3c7, v36
	v_cmp_ne_u32_e32 vcc, 64, v26
	s_waitcnt lgkmcnt(0)
	s_barrier
	s_and_saveexec_b64 s[0:1], vcc
	s_xor_b64 s[0:1], exec, s[0:1]
; %bb.93:
                                        ; implicit-def: $vgpr37
; %bb.94:
	s_or_saveexec_b64 s[0:1], s[0:1]
	v_pk_add_f32 v[22:23], v[22:23], v[24:25]
	s_xor_b64 exec, exec, s[0:1]
	s_cbranch_execz .LBB61_96
; %bb.95:
	v_lshrrev_b32_e32 v24, 1, v37
	v_add_u32_e32 v24, 0x310, v24
	ds_write2_b32 v24, v4, v5 offset1:8
	ds_write2_b32 v24, v2, v3 offset0:16 offset1:24
	ds_write2_b32 v24, v0, v1 offset0:32 offset1:40
	;; [unrolled: 1-line block ×11, first 2 shown]
.LBB61_96:
	s_or_b64 exec, exec, s[0:1]
	v_cmp_gt_u32_e32 vcc, 64, v36
	s_waitcnt lgkmcnt(0)
	s_barrier
	s_and_saveexec_b64 s[0:1], vcc
	s_cbranch_execz .LBB61_123
; %bb.97:
	s_waitcnt vmcnt(0)
	v_cmp_eq_u32_e32 vcc, 0, v39
	v_lshrrev_b32_e32 v24, 3, v36
	s_and_saveexec_b64 s[4:5], vcc
	s_cbranch_execnz .LBB61_126
; %bb.98:
	s_or_b64 exec, exec, s[4:5]
	s_and_saveexec_b64 s[4:5], vcc
	s_cbranch_execnz .LBB61_127
.LBB61_99:
	s_or_b64 exec, exec, s[4:5]
	s_and_saveexec_b64 s[4:5], vcc
	s_cbranch_execnz .LBB61_128
.LBB61_100:
	s_or_b64 exec, exec, s[4:5]
	s_and_saveexec_b64 s[4:5], vcc
	s_cbranch_execnz .LBB61_129
.LBB61_101:
	s_or_b64 exec, exec, s[4:5]
	s_and_saveexec_b64 s[4:5], vcc
	s_cbranch_execnz .LBB61_130
.LBB61_102:
	s_or_b64 exec, exec, s[4:5]
	s_and_saveexec_b64 s[4:5], vcc
	s_cbranch_execnz .LBB61_131
.LBB61_103:
	s_or_b64 exec, exec, s[4:5]
	s_and_saveexec_b64 s[4:5], vcc
	s_cbranch_execnz .LBB61_132
.LBB61_104:
	s_or_b64 exec, exec, s[4:5]
	s_and_saveexec_b64 s[4:5], vcc
	s_cbranch_execnz .LBB61_133
.LBB61_105:
	s_or_b64 exec, exec, s[4:5]
	s_and_saveexec_b64 s[4:5], vcc
	s_cbranch_execnz .LBB61_134
.LBB61_106:
	s_or_b64 exec, exec, s[4:5]
	s_and_saveexec_b64 s[4:5], vcc
	s_cbranch_execnz .LBB61_135
.LBB61_107:
	s_or_b64 exec, exec, s[4:5]
	s_and_saveexec_b64 s[4:5], vcc
	s_cbranch_execnz .LBB61_136
.LBB61_108:
	s_or_b64 exec, exec, s[4:5]
	s_and_saveexec_b64 s[4:5], vcc
	s_cbranch_execnz .LBB61_137
.LBB61_109:
	s_or_b64 exec, exec, s[4:5]
	s_and_saveexec_b64 s[4:5], vcc
	s_cbranch_execnz .LBB61_138
.LBB61_110:
	s_or_b64 exec, exec, s[4:5]
	s_and_saveexec_b64 s[4:5], vcc
	s_cbranch_execnz .LBB61_139
.LBB61_111:
	s_or_b64 exec, exec, s[4:5]
	s_and_saveexec_b64 s[4:5], vcc
	s_cbranch_execnz .LBB61_140
.LBB61_112:
	s_or_b64 exec, exec, s[4:5]
	s_and_saveexec_b64 s[4:5], vcc
	s_cbranch_execnz .LBB61_141
.LBB61_113:
	s_or_b64 exec, exec, s[4:5]
	s_and_saveexec_b64 s[4:5], vcc
	s_cbranch_execnz .LBB61_142
.LBB61_114:
	s_or_b64 exec, exec, s[4:5]
	s_and_saveexec_b64 s[4:5], vcc
	s_cbranch_execnz .LBB61_143
.LBB61_115:
	s_or_b64 exec, exec, s[4:5]
	s_and_saveexec_b64 s[4:5], vcc
	s_cbranch_execnz .LBB61_144
.LBB61_116:
	s_or_b64 exec, exec, s[4:5]
	s_and_saveexec_b64 s[4:5], vcc
	s_cbranch_execnz .LBB61_145
.LBB61_117:
	s_or_b64 exec, exec, s[4:5]
	s_and_saveexec_b64 s[4:5], vcc
	s_cbranch_execnz .LBB61_146
.LBB61_118:
	s_or_b64 exec, exec, s[4:5]
	s_and_saveexec_b64 s[4:5], vcc
	s_cbranch_execnz .LBB61_147
.LBB61_119:
	s_or_b64 exec, exec, s[4:5]
	s_and_saveexec_b64 s[4:5], vcc
	s_cbranch_execnz .LBB61_148
.LBB61_120:
	s_or_b64 exec, exec, s[4:5]
	s_and_saveexec_b64 s[4:5], vcc
	s_cbranch_execz .LBB61_122
.LBB61_121:
	v_mov_b32_e32 v25, 0x310
	v_lshl_add_u32 v24, v24, 2, v25
	ds_read_b32 v24, v24 offset:736
	s_waitcnt lgkmcnt(0)
	v_add_f32_e32 v23, v23, v24
.LBB61_122:
	s_or_b64 exec, exec, s[4:5]
.LBB61_123:
	s_or_b64 exec, exec, s[0:1]
	v_cmp_eq_u32_e32 vcc, 0, v26
	s_barrier
	s_and_saveexec_b64 s[0:1], vcc
	s_cbranch_execz .LBB61_125
; %bb.124:
	s_mul_i32 s0, s2, 0xc0
	s_ashr_i32 s1, s0, 31
	s_lshl_b64 s[0:1], s[0:1], 2
	s_add_u32 s2, s28, s0
	s_mul_i32 s0, s19, s18
	s_addc_u32 s3, s29, s1
	s_ashr_i32 s1, s0, 31
	s_lshl_b64 s[0:1], s[0:1], 2
	s_add_u32 s2, s2, s0
	s_mul_i32 s0, s8, 0xc0
	s_addc_u32 s3, s3, s1
	s_ashr_i32 s1, s0, 31
	s_lshl_b64 s[0:1], s[0:1], 2
	s_add_u32 s0, s2, s0
	s_addc_u32 s1, s3, s1
	v_lshrrev_b32_e32 v24, 1, v36
	global_store_dword v24, v4, s[0:1]
	global_store_dword v24, v5, s[0:1] offset:32
	global_store_dword v24, v2, s[0:1] offset:64
	;; [unrolled: 1-line block ×23, first 2 shown]
.LBB61_125:
	s_endpgm
.LBB61_126:
	v_mov_b32_e32 v25, 0x310
	v_lshl_add_u32 v25, v24, 2, v25
	ds_read_b32 v25, v25
	s_waitcnt lgkmcnt(0)
	v_add_f32_e32 v4, v4, v25
	s_or_b64 exec, exec, s[4:5]
	s_and_saveexec_b64 s[4:5], vcc
	s_cbranch_execz .LBB61_99
.LBB61_127:
	v_mov_b32_e32 v25, 0x310
	v_lshl_add_u32 v25, v24, 2, v25
	ds_read_b32 v25, v25 offset:32
	s_waitcnt lgkmcnt(0)
	v_add_f32_e32 v5, v5, v25
	s_or_b64 exec, exec, s[4:5]
	s_and_saveexec_b64 s[4:5], vcc
	s_cbranch_execz .LBB61_100
.LBB61_128:
	v_mov_b32_e32 v25, 0x310
	v_lshl_add_u32 v25, v24, 2, v25
	ds_read_b32 v25, v25 offset:64
	s_waitcnt lgkmcnt(0)
	v_add_f32_e32 v2, v2, v25
	s_or_b64 exec, exec, s[4:5]
	s_and_saveexec_b64 s[4:5], vcc
	s_cbranch_execz .LBB61_101
.LBB61_129:
	v_mov_b32_e32 v25, 0x310
	v_lshl_add_u32 v25, v24, 2, v25
	ds_read_b32 v25, v25 offset:96
	s_waitcnt lgkmcnt(0)
	v_add_f32_e32 v3, v3, v25
	s_or_b64 exec, exec, s[4:5]
	s_and_saveexec_b64 s[4:5], vcc
	s_cbranch_execz .LBB61_102
.LBB61_130:
	v_mov_b32_e32 v25, 0x310
	v_lshl_add_u32 v25, v24, 2, v25
	ds_read_b32 v25, v25 offset:128
	s_waitcnt lgkmcnt(0)
	v_add_f32_e32 v0, v0, v25
	s_or_b64 exec, exec, s[4:5]
	s_and_saveexec_b64 s[4:5], vcc
	s_cbranch_execz .LBB61_103
.LBB61_131:
	v_mov_b32_e32 v25, 0x310
	v_lshl_add_u32 v25, v24, 2, v25
	ds_read_b32 v25, v25 offset:160
	s_waitcnt lgkmcnt(0)
	v_add_f32_e32 v1, v1, v25
	s_or_b64 exec, exec, s[4:5]
	s_and_saveexec_b64 s[4:5], vcc
	s_cbranch_execz .LBB61_104
.LBB61_132:
	v_mov_b32_e32 v25, 0x310
	v_lshl_add_u32 v25, v24, 2, v25
	ds_read_b32 v25, v25 offset:192
	s_waitcnt lgkmcnt(0)
	v_add_f32_e32 v12, v12, v25
	s_or_b64 exec, exec, s[4:5]
	s_and_saveexec_b64 s[4:5], vcc
	s_cbranch_execz .LBB61_105
.LBB61_133:
	v_mov_b32_e32 v25, 0x310
	v_lshl_add_u32 v25, v24, 2, v25
	ds_read_b32 v25, v25 offset:224
	s_waitcnt lgkmcnt(0)
	v_add_f32_e32 v13, v13, v25
	s_or_b64 exec, exec, s[4:5]
	s_and_saveexec_b64 s[4:5], vcc
	s_cbranch_execz .LBB61_106
.LBB61_134:
	v_mov_b32_e32 v25, 0x310
	v_lshl_add_u32 v25, v24, 2, v25
	ds_read_b32 v25, v25 offset:256
	s_waitcnt lgkmcnt(0)
	v_add_f32_e32 v10, v10, v25
	s_or_b64 exec, exec, s[4:5]
	s_and_saveexec_b64 s[4:5], vcc
	s_cbranch_execz .LBB61_107
.LBB61_135:
	v_mov_b32_e32 v25, 0x310
	v_lshl_add_u32 v25, v24, 2, v25
	ds_read_b32 v25, v25 offset:288
	s_waitcnt lgkmcnt(0)
	v_add_f32_e32 v11, v11, v25
	s_or_b64 exec, exec, s[4:5]
	s_and_saveexec_b64 s[4:5], vcc
	s_cbranch_execz .LBB61_108
.LBB61_136:
	v_mov_b32_e32 v25, 0x310
	v_lshl_add_u32 v25, v24, 2, v25
	ds_read_b32 v25, v25 offset:320
	s_waitcnt lgkmcnt(0)
	v_add_f32_e32 v8, v8, v25
	s_or_b64 exec, exec, s[4:5]
	s_and_saveexec_b64 s[4:5], vcc
	s_cbranch_execz .LBB61_109
.LBB61_137:
	v_mov_b32_e32 v25, 0x310
	v_lshl_add_u32 v25, v24, 2, v25
	ds_read_b32 v25, v25 offset:352
	s_waitcnt lgkmcnt(0)
	v_add_f32_e32 v9, v9, v25
	s_or_b64 exec, exec, s[4:5]
	s_and_saveexec_b64 s[4:5], vcc
	s_cbranch_execz .LBB61_110
.LBB61_138:
	v_mov_b32_e32 v25, 0x310
	v_lshl_add_u32 v25, v24, 2, v25
	ds_read_b32 v25, v25 offset:384
	s_waitcnt lgkmcnt(0)
	v_add_f32_e32 v6, v6, v25
	s_or_b64 exec, exec, s[4:5]
	s_and_saveexec_b64 s[4:5], vcc
	s_cbranch_execz .LBB61_111
.LBB61_139:
	v_mov_b32_e32 v25, 0x310
	v_lshl_add_u32 v25, v24, 2, v25
	ds_read_b32 v25, v25 offset:416
	s_waitcnt lgkmcnt(0)
	v_add_f32_e32 v7, v7, v25
	s_or_b64 exec, exec, s[4:5]
	s_and_saveexec_b64 s[4:5], vcc
	s_cbranch_execz .LBB61_112
.LBB61_140:
	v_mov_b32_e32 v25, 0x310
	v_lshl_add_u32 v25, v24, 2, v25
	ds_read_b32 v25, v25 offset:448
	s_waitcnt lgkmcnt(0)
	v_add_f32_e32 v20, v20, v25
	s_or_b64 exec, exec, s[4:5]
	s_and_saveexec_b64 s[4:5], vcc
	s_cbranch_execz .LBB61_113
.LBB61_141:
	v_mov_b32_e32 v25, 0x310
	v_lshl_add_u32 v25, v24, 2, v25
	ds_read_b32 v25, v25 offset:480
	s_waitcnt lgkmcnt(0)
	v_add_f32_e32 v21, v21, v25
	s_or_b64 exec, exec, s[4:5]
	s_and_saveexec_b64 s[4:5], vcc
	s_cbranch_execz .LBB61_114
.LBB61_142:
	v_mov_b32_e32 v25, 0x310
	v_lshl_add_u32 v25, v24, 2, v25
	ds_read_b32 v25, v25 offset:512
	s_waitcnt lgkmcnt(0)
	v_add_f32_e32 v18, v18, v25
	s_or_b64 exec, exec, s[4:5]
	s_and_saveexec_b64 s[4:5], vcc
	s_cbranch_execz .LBB61_115
.LBB61_143:
	v_mov_b32_e32 v25, 0x310
	v_lshl_add_u32 v25, v24, 2, v25
	ds_read_b32 v25, v25 offset:544
	s_waitcnt lgkmcnt(0)
	v_add_f32_e32 v19, v19, v25
	s_or_b64 exec, exec, s[4:5]
	s_and_saveexec_b64 s[4:5], vcc
	s_cbranch_execz .LBB61_116
.LBB61_144:
	v_mov_b32_e32 v25, 0x310
	v_lshl_add_u32 v25, v24, 2, v25
	ds_read_b32 v25, v25 offset:576
	s_waitcnt lgkmcnt(0)
	v_add_f32_e32 v16, v16, v25
	s_or_b64 exec, exec, s[4:5]
	s_and_saveexec_b64 s[4:5], vcc
	s_cbranch_execz .LBB61_117
.LBB61_145:
	v_mov_b32_e32 v25, 0x310
	v_lshl_add_u32 v25, v24, 2, v25
	ds_read_b32 v25, v25 offset:608
	s_waitcnt lgkmcnt(0)
	v_add_f32_e32 v17, v17, v25
	s_or_b64 exec, exec, s[4:5]
	s_and_saveexec_b64 s[4:5], vcc
	s_cbranch_execz .LBB61_118
.LBB61_146:
	v_mov_b32_e32 v25, 0x310
	v_lshl_add_u32 v25, v24, 2, v25
	ds_read_b32 v25, v25 offset:640
	s_waitcnt lgkmcnt(0)
	v_add_f32_e32 v14, v14, v25
	s_or_b64 exec, exec, s[4:5]
	s_and_saveexec_b64 s[4:5], vcc
	s_cbranch_execz .LBB61_119
.LBB61_147:
	v_mov_b32_e32 v25, 0x310
	v_lshl_add_u32 v25, v24, 2, v25
	ds_read_b32 v25, v25 offset:672
	s_waitcnt lgkmcnt(0)
	v_add_f32_e32 v15, v15, v25
	s_or_b64 exec, exec, s[4:5]
	s_and_saveexec_b64 s[4:5], vcc
	s_cbranch_execz .LBB61_120
.LBB61_148:
	v_mov_b32_e32 v25, 0x310
	v_lshl_add_u32 v25, v24, 2, v25
	ds_read_b32 v25, v25 offset:704
	s_waitcnt lgkmcnt(0)
	v_add_f32_e32 v22, v22, v25
	s_or_b64 exec, exec, s[4:5]
	s_and_saveexec_b64 s[4:5], vcc
	s_cbranch_execnz .LBB61_121
	s_branch .LBB61_122
	.section	.rodata,"a",@progbits
	.p2align	6, 0x0
	.amdhsa_kernel _ZN4vllm25paged_attention_v2_kernelIffLi192ELi32ELi128ELNS_18Fp8KVCacheDataTypeE0ELb0ELi512EEEvPfS2_PT_PKS3_PKT0_S9_ifPKiSB_iPKfiiiSD_SD_iiiii
		.amdhsa_group_segment_fixed_size 784
		.amdhsa_private_segment_fixed_size 144
		.amdhsa_kernarg_size 400
		.amdhsa_user_sgpr_count 6
		.amdhsa_user_sgpr_private_segment_buffer 1
		.amdhsa_user_sgpr_dispatch_ptr 0
		.amdhsa_user_sgpr_queue_ptr 0
		.amdhsa_user_sgpr_kernarg_segment_ptr 1
		.amdhsa_user_sgpr_dispatch_id 0
		.amdhsa_user_sgpr_flat_scratch_init 0
		.amdhsa_user_sgpr_kernarg_preload_length 0
		.amdhsa_user_sgpr_kernarg_preload_offset 0
		.amdhsa_user_sgpr_private_segment_size 0
		.amdhsa_uses_dynamic_stack 0
		.amdhsa_system_sgpr_private_segment_wavefront_offset 1
		.amdhsa_system_sgpr_workgroup_id_x 1
		.amdhsa_system_sgpr_workgroup_id_y 1
		.amdhsa_system_sgpr_workgroup_id_z 1
		.amdhsa_system_sgpr_workgroup_info 0
		.amdhsa_system_vgpr_workitem_id 0
		.amdhsa_next_free_vgpr 128
		.amdhsa_next_free_sgpr 60
		.amdhsa_accum_offset 128
		.amdhsa_reserve_vcc 1
		.amdhsa_reserve_flat_scratch 0
		.amdhsa_float_round_mode_32 0
		.amdhsa_float_round_mode_16_64 0
		.amdhsa_float_denorm_mode_32 3
		.amdhsa_float_denorm_mode_16_64 3
		.amdhsa_dx10_clamp 1
		.amdhsa_ieee_mode 1
		.amdhsa_fp16_overflow 0
		.amdhsa_tg_split 0
		.amdhsa_exception_fp_ieee_invalid_op 0
		.amdhsa_exception_fp_denorm_src 0
		.amdhsa_exception_fp_ieee_div_zero 0
		.amdhsa_exception_fp_ieee_overflow 0
		.amdhsa_exception_fp_ieee_underflow 0
		.amdhsa_exception_fp_ieee_inexact 0
		.amdhsa_exception_int_div_zero 0
	.end_amdhsa_kernel
	.section	.text._ZN4vllm25paged_attention_v2_kernelIffLi192ELi32ELi128ELNS_18Fp8KVCacheDataTypeE0ELb0ELi512EEEvPfS2_PT_PKS3_PKT0_S9_ifPKiSB_iPKfiiiSD_SD_iiiii,"axG",@progbits,_ZN4vllm25paged_attention_v2_kernelIffLi192ELi32ELi128ELNS_18Fp8KVCacheDataTypeE0ELb0ELi512EEEvPfS2_PT_PKS3_PKT0_S9_ifPKiSB_iPKfiiiSD_SD_iiiii,comdat
.Lfunc_end61:
	.size	_ZN4vllm25paged_attention_v2_kernelIffLi192ELi32ELi128ELNS_18Fp8KVCacheDataTypeE0ELb0ELi512EEEvPfS2_PT_PKS3_PKT0_S9_ifPKiSB_iPKfiiiSD_SD_iiiii, .Lfunc_end61-_ZN4vllm25paged_attention_v2_kernelIffLi192ELi32ELi128ELNS_18Fp8KVCacheDataTypeE0ELb0ELi512EEEvPfS2_PT_PKS3_PKT0_S9_ifPKiSB_iPKfiiiSD_SD_iiiii
                                        ; -- End function
	.section	.AMDGPU.csdata,"",@progbits
; Kernel info:
; codeLenInByte = 11244
; NumSgprs: 64
; NumVgprs: 128
; NumAgprs: 0
; TotalNumVgprs: 128
; ScratchSize: 144
; MemoryBound: 0
; FloatMode: 240
; IeeeMode: 1
; LDSByteSize: 784 bytes/workgroup (compile time only)
; SGPRBlocks: 7
; VGPRBlocks: 15
; NumSGPRsForWavesPerEU: 64
; NumVGPRsForWavesPerEU: 128
; AccumOffset: 128
; Occupancy: 4
; WaveLimiterHint : 1
; COMPUTE_PGM_RSRC2:SCRATCH_EN: 1
; COMPUTE_PGM_RSRC2:USER_SGPR: 6
; COMPUTE_PGM_RSRC2:TRAP_HANDLER: 0
; COMPUTE_PGM_RSRC2:TGID_X_EN: 1
; COMPUTE_PGM_RSRC2:TGID_Y_EN: 1
; COMPUTE_PGM_RSRC2:TGID_Z_EN: 1
; COMPUTE_PGM_RSRC2:TIDIG_COMP_CNT: 0
; COMPUTE_PGM_RSRC3_GFX90A:ACCUM_OFFSET: 31
; COMPUTE_PGM_RSRC3_GFX90A:TG_SPLIT: 0
	.section	.text._ZN4vllm25paged_attention_v2_kernelIffLi256ELi32ELi128ELNS_18Fp8KVCacheDataTypeE0ELb0ELi512EEEvPfS2_PT_PKS3_PKT0_S9_ifPKiSB_iPKfiiiSD_SD_iiiii,"axG",@progbits,_ZN4vllm25paged_attention_v2_kernelIffLi256ELi32ELi128ELNS_18Fp8KVCacheDataTypeE0ELb0ELi512EEEvPfS2_PT_PKS3_PKT0_S9_ifPKiSB_iPKfiiiSD_SD_iiiii,comdat
	.protected	_ZN4vllm25paged_attention_v2_kernelIffLi256ELi32ELi128ELNS_18Fp8KVCacheDataTypeE0ELb0ELi512EEEvPfS2_PT_PKS3_PKT0_S9_ifPKiSB_iPKfiiiSD_SD_iiiii ; -- Begin function _ZN4vllm25paged_attention_v2_kernelIffLi256ELi32ELi128ELNS_18Fp8KVCacheDataTypeE0ELb0ELi512EEEvPfS2_PT_PKS3_PKT0_S9_ifPKiSB_iPKfiiiSD_SD_iiiii
	.globl	_ZN4vllm25paged_attention_v2_kernelIffLi256ELi32ELi128ELNS_18Fp8KVCacheDataTypeE0ELb0ELi512EEEvPfS2_PT_PKS3_PKT0_S9_ifPKiSB_iPKfiiiSD_SD_iiiii
	.p2align	8
	.type	_ZN4vllm25paged_attention_v2_kernelIffLi256ELi32ELi128ELNS_18Fp8KVCacheDataTypeE0ELb0ELi512EEEvPfS2_PT_PKS3_PKT0_S9_ifPKiSB_iPKfiiiSD_SD_iiiii,@function
_ZN4vllm25paged_attention_v2_kernelIffLi256ELi32ELi128ELNS_18Fp8KVCacheDataTypeE0ELb0ELi512EEEvPfS2_PT_PKS3_PKT0_S9_ifPKiSB_iPKfiiiSD_SD_iiiii: ; @_ZN4vllm25paged_attention_v2_kernelIffLi256ELi32ELi128ELNS_18Fp8KVCacheDataTypeE0ELb0ELi512EEEvPfS2_PT_PKS3_PKT0_S9_ifPKiSB_iPKfiiiSD_SD_iiiii
; %bb.0:
	s_mov_b64 s[54:55], s[2:3]
	s_mov_b64 s[52:53], s[0:1]
	s_load_dwordx2 s[0:1], s[4:5], 0x40
	s_add_u32 s52, s52, s9
	s_addc_u32 s53, s53, 0
	s_mov_b32 s26, s7
	s_ashr_i32 s27, s7, 31
	s_lshl_b64 s[2:3], s[26:27], 2
	s_waitcnt lgkmcnt(0)
	s_add_u32 s0, s0, s2
	s_addc_u32 s1, s1, s3
	s_load_dword s27, s[0:1], 0x0
	s_lshl_b32 s33, s8, 9
	s_waitcnt lgkmcnt(0)
	s_cmp_ge_i32 s33, s27
	s_cbranch_scc1 .LBB62_149
; %bb.1:
	s_load_dword s9, s[4:5], 0x90
	s_load_dwordx2 s[10:11], s[4:5], 0x30
	v_mov_b32_e32 v46, v0
	s_mov_b32 s40, 0
	s_waitcnt lgkmcnt(0)
	s_abs_i32 s2, s9
	s_abs_i32 s0, s10
	v_cvt_f32_u32_e32 v0, s0
	s_sub_i32 s3, 0, s0
	s_xor_b32 s1, s9, s10
	s_ashr_i32 s1, s1, 31
	v_rcp_iflag_f32_e32 v0, v0
	v_mul_f32_e32 v0, 0x4f7ffffe, v0
	v_cvt_u32_f32_e32 v0, v0
	v_readfirstlane_b32 s7, v0
	s_mul_i32 s3, s3, s7
	s_mul_hi_u32 s3, s7, s3
	s_add_i32 s7, s7, s3
	s_mul_hi_u32 s3, s2, s7
	s_mul_i32 s7, s3, s0
	s_sub_i32 s2, s2, s7
	s_add_i32 s10, s3, 1
	s_sub_i32 s7, s2, s0
	s_cmp_ge_u32 s2, s0
	s_cselect_b32 s3, s10, s3
	s_cselect_b32 s2, s7, s2
	s_add_i32 s7, s3, 1
	s_cmp_ge_u32 s2, s0
	s_cselect_b32 s0, s7, s3
	s_xor_b32 s0, s0, s1
	s_sub_i32 s10, s0, s1
	s_abs_i32 s2, s10
	v_cvt_f32_u32_e32 v0, s2
	s_load_dwordx2 s[0:1], s[4:5], 0x50
	s_sub_i32 s7, 0, s2
	s_abs_i32 s3, s6
	v_rcp_iflag_f32_e32 v0, v0
	v_mul_f32_e32 v0, 0x4f7ffffe, v0
	v_cvt_u32_f32_e32 v0, v0
	v_readfirstlane_b32 s12, v0
	s_mul_i32 s7, s7, s12
	s_mul_hi_u32 s7, s12, s7
	s_add_i32 s12, s12, s7
	s_waitcnt lgkmcnt(0)
	s_cmp_eq_u64 s[0:1], 0
	s_mul_hi_u32 s16, s3, s12
	s_cbranch_scc1 .LBB62_3
; %bb.2:
	s_ashr_i32 s7, s6, 31
	s_lshl_b64 s[12:13], s[6:7], 2
	s_add_u32 s0, s0, s12
	s_addc_u32 s1, s1, s13
	s_load_dword s40, s[0:1], 0x0
.LBB62_3:
	s_load_dwordx4 s[12:15], s[4:5], 0x58
	s_movk_i32 s0, 0x80
	s_ashr_i32 s17, s6, 31
	s_ashr_i32 s18, s10, 31
	v_and_b32_e32 v0, 1, v46
	s_lshl_b32 s20, s6, 8
	v_cmp_gt_u32_e32 vcc, s0, v46
	v_lshlrev_b32_e32 v1, 3, v46
	v_lshlrev_b32_e32 v25, 2, v46
	s_and_saveexec_b64 s[0:1], vcc
	s_cbranch_execz .LBB62_5
; %bb.4:
	s_load_dwordx2 s[22:23], s[4:5], 0x18
	s_waitcnt lgkmcnt(0)
	s_mul_i32 s24, s26, s12
	s_ashr_i32 s25, s24, 31
	s_lshl_b64 s[24:25], s[24:25], 2
	v_and_b32_e32 v4, 0xff8, v25
	s_add_u32 s7, s22, s24
	s_addc_u32 s10, s23, s25
	s_ashr_i32 s21, s20, 31
	s_lshl_b64 s[22:23], s[20:21], 2
	s_add_u32 s22, s7, s22
	s_addc_u32 s23, s10, s23
	global_load_dwordx2 v[2:3], v1, s[22:23]
	v_lshl_add_u32 v4, v0, 9, v4
	s_waitcnt vmcnt(0)
	ds_write_b64 v4, v[2:3]
.LBB62_5:
	s_or_b64 exec, exec, s[0:1]
	s_add_i32 s0, s27, 31
	s_ashr_i32 s1, s0, 31
	s_lshr_b32 s1, s1, 27
	s_add_i32 s0, s0, s1
	s_lshl_b32 s10, s8, 4
	s_mul_i32 s1, s16, s2
	s_ashr_i32 s7, s0, 5
	s_add_i32 s0, s10, 16
	s_sub_i32 s1, s3, s1
	s_min_i32 s21, s0, s7
	s_xor_b32 s0, s17, s18
	s_add_i32 s3, s16, 1
	s_waitcnt lgkmcnt(0)
	s_sub_i32 s12, s1, s2
	s_cmp_ge_u32 s1, s2
	s_cselect_b32 s3, s3, s16
	s_cselect_b32 s1, s12, s1
	s_add_i32 s12, s3, 1
	s_cmp_ge_u32 s1, s2
	s_load_dwordx2 s[24:25], s[4:5], 0x38
	s_load_dword s2, s[4:5], 0x48
	v_lshrrev_b32_e32 v11, 6, v46
	s_cselect_b32 s1, s12, s3
	s_xor_b32 s1, s1, s0
	v_or_b32_e32 v14, s10, v11
	s_waitcnt lgkmcnt(0)
	s_mul_i32 s28, s26, s2
	s_sub_i32 s15, s1, s0
	s_ashr_i32 s29, s28, 31
	v_cmp_gt_i32_e64 s[0:1], s21, v14
	v_cmp_le_i32_e32 vcc, s21, v14
	v_mbcnt_lo_u32_b32 v2, -1, 0
	s_barrier
	s_waitcnt lgkmcnt(0)
                                        ; implicit-def: $sgpr36
                                        ; implicit-def: $vgpr7
                                        ; implicit-def: $vgpr8
	s_and_saveexec_b64 s[2:3], vcc
	s_xor_b64 s[2:3], exec, s[2:3]
; %bb.6:
	v_mbcnt_hi_u32_b32 v7, -1, v2
	v_and_b32_e32 v0, 64, v7
	v_add_u32_e32 v8, 64, v0
	s_mov_b32 s36, 0xff7fffff
                                        ; implicit-def: $vgpr1
                                        ; implicit-def: $vgpr0
                                        ; implicit-def: $vgpr2
; %bb.7:
	s_or_saveexec_b64 s[34:35], s[2:3]
	s_load_dwordx4 s[16:19], s[4:5], 0x0
	s_load_dwordx2 s[22:23], s[4:5], 0x10
	s_load_dwordx2 s[30:31], s[4:5], 0x28
	s_load_dword s12, s[4:5], 0x98
	v_mov_b32_e32 v21, s36
	s_mul_i32 s14, s15, s14
	v_ashrrev_i32_e32 v15, 31, v14
	buffer_store_dword v46, off, s[52:55], 0 offset:332 ; 4-byte Folded Spill
	s_xor_b64 exec, exec, s[34:35]
	s_cbranch_execz .LBB62_13
; %bb.8:
	s_load_dwordx2 s[2:3], s[4:5], 0x20
	s_ashr_i32 s15, s14, 31
	s_lshl_b64 s[4:5], s[14:15], 2
	v_bfe_u32 v6, v46, 1, 5
	v_lshlrev_b32_e32 v3, 4, v6
	s_waitcnt lgkmcnt(0)
	s_add_u32 s2, s2, s4
	s_addc_u32 s3, s3, s5
	v_add_co_u32_e32 v3, vcc, s2, v3
	v_mov_b32_e32 v4, s3
	v_addc_co_u32_e32 v4, vcc, 0, v4, vcc
	v_and_b32_e32 v1, 8, v1
	v_add_co_u32_e32 v1, vcc, v3, v1
	buffer_store_dword v1, off, s[52:55], 0 ; 4-byte Folded Spill
	v_addc_co_u32_e32 v1, vcc, 0, v4, vcc
	buffer_store_dword v1, off, s[52:55], 0 offset:16 ; 4-byte Folded Spill
	v_lshlrev_b32_e32 v1, 9, v0
	ds_read_b128 v[16:19], v1
	buffer_store_dword v25, off, s[52:55], 0 offset:160 ; 4-byte Folded Spill
	s_waitcnt lgkmcnt(0)
	buffer_store_dword v16, off, s[52:55], 0 offset:32 ; 4-byte Folded Spill
	s_nop 0
	buffer_store_dword v17, off, s[52:55], 0 offset:36 ; 4-byte Folded Spill
	buffer_store_dword v18, off, s[52:55], 0 offset:40 ; 4-byte Folded Spill
	buffer_store_dword v19, off, s[52:55], 0 offset:44 ; 4-byte Folded Spill
	ds_read_b128 v[16:19], v1 offset:16
	s_waitcnt lgkmcnt(0)
	buffer_store_dword v16, off, s[52:55], 0 offset:48 ; 4-byte Folded Spill
	s_nop 0
	buffer_store_dword v17, off, s[52:55], 0 offset:52 ; 4-byte Folded Spill
	buffer_store_dword v18, off, s[52:55], 0 offset:56 ; 4-byte Folded Spill
	buffer_store_dword v19, off, s[52:55], 0 offset:60 ; 4-byte Folded Spill
	ds_read_b128 v[16:19], v1 offset:32
	;; [unrolled: 7-line block ×6, first 2 shown]
	v_mbcnt_hi_u32_b32 v4, -1, v2
	v_and_b32_e32 v3, 64, v4
	v_xor_b32_e32 v2, 1, v4
	v_add_u32_e32 v3, 64, v3
	v_cmp_lt_i32_e32 vcc, v2, v3
	v_cndmask_b32_e32 v2, v4, v2, vcc
	v_lshlrev_b32_e32 v7, 2, v6
	s_waitcnt lgkmcnt(0)
	buffer_store_dword v16, off, s[52:55], 0 offset:136 ; 4-byte Folded Spill
	s_nop 0
	buffer_store_dword v17, off, s[52:55], 0 offset:140 ; 4-byte Folded Spill
	buffer_store_dword v18, off, s[52:55], 0 offset:144 ; 4-byte Folded Spill
	buffer_store_dword v19, off, s[52:55], 0 offset:148 ; 4-byte Folded Spill
	v_lshlrev_b32_e32 v2, 2, v2
	v_cmp_eq_u32_e32 vcc, 0, v0
	v_lshlrev_b32_e32 v0, 5, v11
	ds_read_b128 v[30:33], v1 offset:112
	ds_read_b128 v[34:37], v1 offset:128
	;; [unrolled: 1-line block ×6, first 2 shown]
	buffer_store_dword v3, off, s[52:55], 0 offset:184 ; 4-byte Folded Spill
	buffer_store_dword v4, off, s[52:55], 0 offset:176 ; 4-byte Folded Spill
	;; [unrolled: 1-line block ×3, first 2 shown]
	v_add3_u32 v16, s33, v0, v6
	v_lshl_or_b32 v0, v11, 7, v7
	ds_read_b128 v[54:57], v1 offset:208
	ds_read_b128 v[58:61], v1 offset:224
	;; [unrolled: 1-line block ×19, first 2 shown]
	buffer_store_dword v11, off, s[52:55], 0 offset:168 ; 4-byte Folded Spill
	v_add_u32_e32 v17, 0x410, v0
	v_lshlrev_b64 v[0:1], 2, v[14:15]
	buffer_store_dword v14, off, s[52:55], 0 offset:96 ; 4-byte Folded Spill
	s_nop 0
	buffer_store_dword v15, off, s[52:55], 0 offset:100 ; 4-byte Folded Spill
	s_sub_i32 s15, 1, s27
	s_lshl_b64 s[4:5], s[28:29], 2
	s_add_u32 s4, s24, s4
	s_addc_u32 s36, s25, s5
	v_add_co_u32_e64 v0, s[4:5], s4, v0
	v_mov_b32_e32 v6, s36
	s_mov_b32 s41, s13
	v_cmp_neq_f32_e64 s[2:3], s40, 0
	v_addc_co_u32_e64 v1, s[4:5], v6, v1, s[4:5]
	s_mov_b64 s[36:37], 0
	v_mov_b32_e32 v21, 0xff7fffff
	s_movk_i32 s42, 0x1000
	s_movk_i32 s43, 0x2000
	;; [unrolled: 1-line block ×7, first 2 shown]
	v_mov_b32_e32 v18, v14
	s_branch .LBB62_10
.LBB62_9:                               ;   in Loop: Header=BB62_10 Depth=1
	s_or_b64 exec, exec, s[38:39]
	v_add_u32_e32 v18, 2, v18
	v_cmp_le_i32_e64 s[4:5], s21, v18
	s_or_b64 s[36:37], s[4:5], s[36:37]
	v_add_co_u32_e64 v0, s[4:5], 8, v0
	v_add_u32_e32 v16, 64, v16
	v_add_u32_e32 v17, 0x100, v17
	v_addc_co_u32_e64 v1, s[4:5], 0, v1, s[4:5]
	s_andn2_b64 exec, exec, s[36:37]
	s_cbranch_execz .LBB62_12
.LBB62_10:                              ; =>This Inner Loop Header: Depth=1
	global_load_dword v6, v[0:1], off
	buffer_load_dword v8, off, s[52:55], 0  ; 4-byte Folded Reload
	s_waitcnt vmcnt(1) lgkmcnt(0)
	v_mad_i64_i32 v[6:7], s[4:5], v6, s41, 0
	v_lshlrev_b64 v[6:7], 2, v[6:7]
	s_waitcnt vmcnt(0)
	v_add_co_u32_e64 v10, s[4:5], v8, v6
	buffer_load_dword v6, off, s[52:55], 0 offset:16 ; 4-byte Folded Reload
	s_waitcnt vmcnt(0)
	v_addc_co_u32_e64 v11, s[4:5], v6, v7, s[4:5]
	global_load_dwordx2 v[6:7], v[10:11], off offset:512
	buffer_load_dword v12, off, s[52:55], 0 offset:32 ; 4-byte Folded Reload
	buffer_load_dword v13, off, s[52:55], 0 offset:36 ; 4-byte Folded Reload
	;; [unrolled: 1-line block ×4, first 2 shown]
	v_add_co_u32_e64 v22, s[4:5], s42, v10
	v_addc_co_u32_e64 v23, s[4:5], 0, v11, s[4:5]
	v_add_co_u32_e64 v24, s[4:5], s43, v10
	v_addc_co_u32_e64 v25, s[4:5], 0, v11, s[4:5]
	s_waitcnt vmcnt(1)
	v_mul_f32_e32 v19, v14, v6
	s_waitcnt vmcnt(0)
	v_mul_f32_e32 v20, v15, v7
	global_load_dwordx2 v[6:7], v[10:11], off
	s_waitcnt vmcnt(0)
	v_fmac_f32_e32 v19, v12, v6
	v_fmac_f32_e32 v20, v13, v7
	global_load_dwordx2 v[6:7], v[10:11], off offset:1024
	buffer_load_dword v12, off, s[52:55], 0 offset:48 ; 4-byte Folded Reload
	buffer_load_dword v13, off, s[52:55], 0 offset:52 ; 4-byte Folded Reload
	;; [unrolled: 1-line block ×4, first 2 shown]
	s_waitcnt vmcnt(3)
	v_fmac_f32_e32 v19, v12, v6
	s_waitcnt vmcnt(2)
	v_fmac_f32_e32 v20, v13, v7
	global_load_dwordx2 v[6:7], v[10:11], off offset:1536
	s_waitcnt vmcnt(0)
	v_fmac_f32_e32 v19, v14, v6
	v_fmac_f32_e32 v20, v15, v7
	global_load_dwordx2 v[6:7], v[10:11], off offset:2048
	buffer_load_dword v12, off, s[52:55], 0 offset:64 ; 4-byte Folded Reload
	buffer_load_dword v13, off, s[52:55], 0 offset:68 ; 4-byte Folded Reload
	;; [unrolled: 1-line block ×4, first 2 shown]
	s_waitcnt vmcnt(3)
	v_fmac_f32_e32 v19, v12, v6
	s_waitcnt vmcnt(2)
	v_fmac_f32_e32 v20, v13, v7
	global_load_dwordx2 v[6:7], v[10:11], off offset:2560
	s_waitcnt vmcnt(0)
	v_fmac_f32_e32 v19, v14, v6
	v_fmac_f32_e32 v20, v15, v7
	global_load_dwordx2 v[6:7], v[10:11], off offset:3072
	buffer_load_dword v26, off, s[52:55], 0 offset:80 ; 4-byte Folded Reload
	buffer_load_dword v27, off, s[52:55], 0 offset:84 ; 4-byte Folded Reload
	;; [unrolled: 1-line block ×4, first 2 shown]
	v_add_co_u32_e64 v14, s[4:5], s44, v10
	v_addc_co_u32_e64 v15, s[4:5], 0, v11, s[4:5]
	v_add_co_u32_e64 v12, s[4:5], s45, v10
	v_addc_co_u32_e64 v13, s[4:5], 0, v11, s[4:5]
	v_add_co_u32_e64 v8, s[4:5], s46, v10
	v_addc_co_u32_e64 v9, s[4:5], 0, v11, s[4:5]
	s_waitcnt vmcnt(3)
	v_fmac_f32_e32 v19, v26, v6
	v_add_co_u32_e64 v6, s[4:5], s47, v10
	s_waitcnt vmcnt(2)
	v_fmac_f32_e32 v20, v27, v7
	v_addc_co_u32_e64 v7, s[4:5], 0, v11, s[4:5]
	v_add_co_u32_e64 v126, s[4:5], s48, v10
	v_addc_co_u32_e64 v127, s[4:5], 0, v11, s[4:5]
	global_load_dwordx2 v[10:11], v[10:11], off offset:3584
	s_waitcnt vmcnt(0)
	v_fmac_f32_e32 v19, v28, v10
	v_fmac_f32_e32 v20, v29, v11
	global_load_dwordx2 v[10:11], v[24:25], off offset:-4096
	buffer_load_dword v26, off, s[52:55], 0 offset:104 ; 4-byte Folded Reload
	buffer_load_dword v27, off, s[52:55], 0 offset:108 ; 4-byte Folded Reload
	buffer_load_dword v28, off, s[52:55], 0 offset:112 ; 4-byte Folded Reload
	buffer_load_dword v29, off, s[52:55], 0 offset:116 ; 4-byte Folded Reload
	s_waitcnt vmcnt(3)
	v_fmac_f32_e32 v19, v26, v10
	s_waitcnt vmcnt(2)
	v_fmac_f32_e32 v20, v27, v11
	global_load_dwordx2 v[10:11], v[22:23], off offset:512
	s_waitcnt vmcnt(0)
	v_fmac_f32_e32 v19, v28, v10
	v_fmac_f32_e32 v20, v29, v11
	global_load_dwordx2 v[10:11], v[22:23], off offset:1024
	buffer_load_dword v26, off, s[52:55], 0 offset:120 ; 4-byte Folded Reload
	buffer_load_dword v27, off, s[52:55], 0 offset:124 ; 4-byte Folded Reload
	buffer_load_dword v28, off, s[52:55], 0 offset:128 ; 4-byte Folded Reload
	buffer_load_dword v29, off, s[52:55], 0 offset:132 ; 4-byte Folded Reload
	s_waitcnt vmcnt(3)
	v_fmac_f32_e32 v19, v26, v10
	s_waitcnt vmcnt(2)
	v_fmac_f32_e32 v20, v27, v11
	global_load_dwordx2 v[10:11], v[22:23], off offset:1536
	s_waitcnt vmcnt(0)
	v_fmac_f32_e32 v19, v28, v10
	v_fmac_f32_e32 v20, v29, v11
	global_load_dwordx2 v[10:11], v[22:23], off offset:2048
	;; [unrolled: 13-line block ×3, first 2 shown]
	s_waitcnt vmcnt(0) lgkmcnt(14)
	v_fmac_f32_e32 v19, v30, v10
	v_fmac_f32_e32 v20, v31, v11
	global_load_dwordx2 v[10:11], v[22:23], off offset:3584
	s_waitcnt vmcnt(0)
	v_fmac_f32_e32 v19, v32, v10
	v_fmac_f32_e32 v20, v33, v11
	global_load_dwordx2 v[10:11], v[24:25], off
	s_waitcnt vmcnt(0)
	v_fmac_f32_e32 v19, v34, v10
	v_fmac_f32_e32 v20, v35, v11
	global_load_dwordx2 v[10:11], v[24:25], off offset:512
	s_waitcnt vmcnt(0)
	v_fmac_f32_e32 v19, v36, v10
	v_fmac_f32_e32 v20, v37, v11
	global_load_dwordx2 v[10:11], v[24:25], off offset:1024
	s_waitcnt vmcnt(0)
	v_fmac_f32_e32 v19, v38, v10
	v_fmac_f32_e32 v20, v39, v11
	global_load_dwordx2 v[10:11], v[24:25], off offset:1536
	s_waitcnt vmcnt(0)
	v_fmac_f32_e32 v19, v40, v10
	v_fmac_f32_e32 v20, v41, v11
	global_load_dwordx2 v[10:11], v[24:25], off offset:2048
	s_waitcnt vmcnt(0)
	v_fmac_f32_e32 v19, v42, v10
	v_fmac_f32_e32 v20, v43, v11
	global_load_dwordx2 v[10:11], v[24:25], off offset:2560
	s_waitcnt vmcnt(0)
	v_fmac_f32_e32 v19, v44, v10
	v_fmac_f32_e32 v20, v45, v11
	global_load_dwordx2 v[10:11], v[24:25], off offset:3072
	s_waitcnt vmcnt(0)
	v_fmac_f32_e32 v19, v46, v10
	v_fmac_f32_e32 v20, v47, v11
	global_load_dwordx2 v[10:11], v[24:25], off offset:3584
	s_waitcnt vmcnt(0)
	v_fmac_f32_e32 v19, v48, v10
	v_fmac_f32_e32 v20, v49, v11
	global_load_dwordx2 v[10:11], v[12:13], off offset:-4096
	s_waitcnt vmcnt(0)
	v_fmac_f32_e32 v19, v50, v10
	v_fmac_f32_e32 v20, v51, v11
	global_load_dwordx2 v[10:11], v[14:15], off offset:512
	s_waitcnt vmcnt(0)
	v_fmac_f32_e32 v19, v52, v10
	v_fmac_f32_e32 v20, v53, v11
	global_load_dwordx2 v[10:11], v[14:15], off offset:1024
	;; [unrolled: 4-line block ×7, first 2 shown]
	s_waitcnt vmcnt(0)
	v_fmac_f32_e32 v19, v64, v10
	v_fmac_f32_e32 v20, v65, v11
	global_load_dwordx2 v[10:11], v[12:13], off
	s_waitcnt vmcnt(0)
	v_fmac_f32_e32 v19, v66, v10
	v_fmac_f32_e32 v20, v67, v11
	global_load_dwordx2 v[10:11], v[12:13], off offset:512
	s_waitcnt vmcnt(0)
	v_fmac_f32_e32 v19, v68, v10
	v_fmac_f32_e32 v20, v69, v11
	global_load_dwordx2 v[10:11], v[12:13], off offset:1024
	;; [unrolled: 4-line block ×4, first 2 shown]
	s_waitcnt vmcnt(0) lgkmcnt(13)
	v_fmac_f32_e32 v19, v74, v10
	v_fmac_f32_e32 v20, v75, v11
	global_load_dwordx2 v[10:11], v[12:13], off offset:2560
	s_waitcnt vmcnt(0)
	v_fmac_f32_e32 v19, v76, v10
	v_fmac_f32_e32 v20, v77, v11
	global_load_dwordx2 v[10:11], v[12:13], off offset:3072
	s_waitcnt vmcnt(0) lgkmcnt(12)
	v_fmac_f32_e32 v19, v78, v10
	v_fmac_f32_e32 v20, v79, v11
	global_load_dwordx2 v[10:11], v[12:13], off offset:3584
	s_waitcnt vmcnt(0)
	v_fmac_f32_e32 v19, v80, v10
	v_fmac_f32_e32 v20, v81, v11
	global_load_dwordx2 v[10:11], v[6:7], off offset:-4096
	s_waitcnt vmcnt(0) lgkmcnt(11)
	v_fmac_f32_e32 v19, v82, v10
	v_fmac_f32_e32 v20, v83, v11
	global_load_dwordx2 v[10:11], v[8:9], off offset:512
	s_waitcnt vmcnt(0)
	v_fmac_f32_e32 v19, v84, v10
	v_fmac_f32_e32 v20, v85, v11
	global_load_dwordx2 v[10:11], v[8:9], off offset:1024
	s_waitcnt vmcnt(0) lgkmcnt(10)
	v_fmac_f32_e32 v19, v86, v10
	v_fmac_f32_e32 v20, v87, v11
	global_load_dwordx2 v[10:11], v[8:9], off offset:1536
	s_waitcnt vmcnt(0)
	v_fmac_f32_e32 v19, v88, v10
	v_fmac_f32_e32 v20, v89, v11
	global_load_dwordx2 v[10:11], v[8:9], off offset:2048
	;; [unrolled: 8-line block ×3, first 2 shown]
	s_waitcnt vmcnt(0) lgkmcnt(8)
	v_fmac_f32_e32 v19, v94, v10
	global_load_dwordx2 v[8:9], v[8:9], off offset:3584
	v_fmac_f32_e32 v20, v95, v11
	s_waitcnt vmcnt(0)
	v_fmac_f32_e32 v19, v96, v8
	v_fmac_f32_e32 v20, v97, v9
	global_load_dwordx2 v[8:9], v[6:7], off
	s_waitcnt vmcnt(0) lgkmcnt(7)
	v_fmac_f32_e32 v19, v98, v8
	v_fmac_f32_e32 v20, v99, v9
	global_load_dwordx2 v[8:9], v[6:7], off offset:512
	s_waitcnt vmcnt(0)
	v_fmac_f32_e32 v19, v100, v8
	v_fmac_f32_e32 v20, v101, v9
	global_load_dwordx2 v[8:9], v[6:7], off offset:1024
	s_waitcnt vmcnt(0) lgkmcnt(6)
	v_fmac_f32_e32 v19, v102, v8
	v_fmac_f32_e32 v20, v103, v9
	global_load_dwordx2 v[8:9], v[6:7], off offset:1536
	s_waitcnt vmcnt(0)
	v_fmac_f32_e32 v19, v104, v8
	v_fmac_f32_e32 v20, v105, v9
	global_load_dwordx2 v[8:9], v[6:7], off offset:2048
	;; [unrolled: 8-line block ×3, first 2 shown]
	s_waitcnt vmcnt(0) lgkmcnt(4)
	v_fmac_f32_e32 v19, v110, v8
	global_load_dwordx2 v[6:7], v[6:7], off offset:3584
	v_fmac_f32_e32 v20, v111, v9
	s_waitcnt vmcnt(0)
	v_fmac_f32_e32 v19, v112, v6
	v_fmac_f32_e32 v20, v113, v7
	global_load_dwordx2 v[6:7], v[126:127], off
	s_waitcnt vmcnt(0) lgkmcnt(3)
	v_fmac_f32_e32 v19, v114, v6
	v_fmac_f32_e32 v20, v115, v7
	global_load_dwordx2 v[6:7], v[126:127], off offset:512
	s_waitcnt vmcnt(0)
	v_fmac_f32_e32 v19, v116, v6
	v_fmac_f32_e32 v20, v117, v7
	global_load_dwordx2 v[6:7], v[126:127], off offset:1024
	s_waitcnt vmcnt(0) lgkmcnt(2)
	v_fmac_f32_e32 v19, v118, v6
	v_fmac_f32_e32 v20, v119, v7
	global_load_dwordx2 v[6:7], v[126:127], off offset:1536
	s_waitcnt vmcnt(0)
	v_fmac_f32_e32 v19, v120, v6
	v_fmac_f32_e32 v20, v121, v7
	global_load_dwordx2 v[6:7], v[126:127], off offset:2048
	;; [unrolled: 8-line block ×3, first 2 shown]
	s_waitcnt vmcnt(0) lgkmcnt(0)
	v_fmac_f32_e32 v19, v2, v6
	v_fmac_f32_e32 v20, v3, v7
	global_load_dwordx2 v[6:7], v[126:127], off offset:3584
	s_waitcnt vmcnt(0)
	v_fmac_f32_e32 v20, v5, v7
	buffer_load_dword v7, off, s[52:55], 0 offset:152 ; 4-byte Folded Reload
	v_fmac_f32_e32 v19, v4, v6
	v_add_f32_e32 v6, v19, v20
	s_waitcnt vmcnt(0)
	ds_bpermute_b32 v7, v7, v6
	s_and_saveexec_b64 s[38:39], vcc
	s_cbranch_execz .LBB62_9
; %bb.11:                               ;   in Loop: Header=BB62_10 Depth=1
	v_add_u32_e32 v8, s15, v16
	v_cvt_f32_i32_e32 v8, v8
	s_waitcnt lgkmcnt(0)
	v_add_f32_e32 v6, v6, v7
	v_cmp_gt_i32_e64 s[4:5], s27, v16
	v_max_f32_e32 v7, v21, v21
	v_mul_f32_e32 v8, s40, v8
	v_cndmask_b32_e64 v8, 0, v8, s[2:3]
	v_fmac_f32_e32 v8, s11, v6
	v_cndmask_b32_e64 v6, 0, v8, s[4:5]
	ds_write_b32 v17, v6
	v_max_f32_e32 v6, v7, v8
	v_cndmask_b32_e64 v21, v21, v6, s[4:5]
	s_branch .LBB62_9
.LBB62_12:
	s_or_b64 exec, exec, s[36:37]
	buffer_load_dword v46, off, s[52:55], 0 offset:332 ; 4-byte Folded Reload
	buffer_load_dword v14, off, s[52:55], 0 offset:96 ; 4-byte Folded Reload
	;; [unrolled: 1-line block ×5, first 2 shown]
	s_waitcnt lgkmcnt(0)
	buffer_load_dword v7, off, s[52:55], 0 offset:176 ; 4-byte Folded Reload
	buffer_load_dword v8, off, s[52:55], 0 offset:184 ; 4-byte Folded Reload
.LBB62_13:
	s_or_b64 exec, exec, s[34:35]
	s_waitcnt vmcnt(1)
	v_xor_b32_e32 v0, 32, v7
	s_waitcnt vmcnt(0)
	v_cmp_lt_i32_e32 vcc, v0, v8
	v_cndmask_b32_e32 v0, v7, v0, vcc
	v_lshlrev_b32_e32 v0, 2, v0
	ds_bpermute_b32 v1, v0, v21
	v_xor_b32_e32 v3, 16, v7
	v_max_f32_e32 v2, v21, v21
	v_cmp_lt_i32_e32 vcc, v3, v8
	v_xor_b32_e32 v4, 8, v7
	s_waitcnt lgkmcnt(0)
	v_max_f32_e32 v1, v1, v1
	v_max_f32_e32 v2, v2, v1
	v_cndmask_b32_e32 v1, v7, v3, vcc
	v_lshlrev_b32_e32 v1, 2, v1
	ds_bpermute_b32 v3, v1, v2
	v_cmp_lt_i32_e32 vcc, v4, v8
	v_xor_b32_e32 v5, 4, v7
	v_and_b32_e32 v47, 63, v46
	s_waitcnt lgkmcnt(0)
	v_max_f32_e32 v3, v3, v3
	v_max_f32_e32 v2, v2, v3
	v_cndmask_b32_e32 v3, v7, v4, vcc
	v_lshlrev_b32_e32 v3, 2, v3
	ds_bpermute_b32 v4, v3, v2
	v_cmp_lt_i32_e32 vcc, v5, v8
	s_waitcnt lgkmcnt(0)
	v_max_f32_e32 v4, v4, v4
	v_max_f32_e32 v2, v2, v4
	v_cndmask_b32_e32 v4, v7, v5, vcc
	v_lshlrev_b32_e32 v37, 2, v4
	ds_bpermute_b32 v4, v37, v2
	v_xor_b32_e32 v5, 2, v7
	v_cmp_lt_i32_e32 vcc, v5, v8
	s_waitcnt lgkmcnt(0)
	v_max_f32_e32 v4, v4, v4
	v_max_f32_e32 v2, v2, v4
	v_cndmask_b32_e32 v4, v7, v5, vcc
	v_lshlrev_b32_e32 v45, 2, v4
	ds_bpermute_b32 v5, v45, v2
	v_cmp_eq_u32_e32 vcc, 0, v47
	v_lshlrev_b32_e32 v4, 2, v11
	s_and_saveexec_b64 s[2:3], vcc
	s_cbranch_execz .LBB62_15
; %bb.14:
	s_waitcnt lgkmcnt(0)
	v_max_f32_e32 v5, v5, v5
	v_max_f32_e32 v2, v2, v2
	;; [unrolled: 1-line block ×3, first 2 shown]
	ds_write_b32 v4, v2 offset:1024
.LBB62_15:
	s_or_b64 exec, exec, s[2:3]
	v_cmp_gt_u32_e64 s[2:3], 2, v47
	v_mov_b32_e32 v2, 0xff7fffff
	s_waitcnt lgkmcnt(0)
	v_lshlrev_b32_e32 v5, 2, v47
	s_barrier
	s_and_saveexec_b64 s[4:5], s[2:3]
	s_cbranch_execz .LBB62_17
; %bb.16:
	ds_read_b32 v2, v5 offset:1024
.LBB62_17:
	s_or_b64 exec, exec, s[4:5]
	v_xor_b32_e32 v6, 1, v7
	v_cmp_lt_i32_e64 s[4:5], v6, v8
	v_cndmask_b32_e64 v6, v7, v6, s[4:5]
	v_lshlrev_b32_e32 v48, 2, v6
	s_waitcnt lgkmcnt(0)
	ds_bpermute_b32 v6, v48, v2
	v_max_f32_e32 v2, v2, v2
	s_sub_i32 s4, s21, s10
	s_lshl_b32 s4, s4, 5
	s_add_i32 s4, s4, s33
	s_waitcnt lgkmcnt(0)
	v_max_f32_e32 v6, v6, v6
	v_max_f32_e32 v2, v2, v6
	v_lshlrev_b32_e32 v6, 2, v7
	v_and_b32_e32 v6, 0xffffff00, v6
	ds_bpermute_b32 v2, v6, v2
	s_min_i32 s38, s4, s27
	s_sub_i32 s15, s38, s33
	v_cmp_gt_i32_e64 s[4:5], s15, v46
	v_mov_b32_e32 v7, 0
	s_and_saveexec_b64 s[34:35], s[4:5]
	s_cbranch_execz .LBB62_21
; %bb.18:
	v_mov_b32_e32 v7, 0x410
	v_lshl_add_u32 v8, v46, 2, v7
	s_mov_b64 s[36:37], 0
	v_mov_b32_e32 v7, 0
	v_mov_b32_e32 v9, v46
.LBB62_19:                              ; =>This Inner Loop Header: Depth=1
	ds_read_b32 v10, v8
	v_add_u32_e32 v9, 0x80, v9
	v_cmp_le_i32_e64 s[10:11], s15, v9
	s_or_b64 s[36:37], s[10:11], s[36:37]
	s_waitcnt lgkmcnt(0)
	v_sub_f32_e32 v10, v10, v2
	v_mul_f32_e32 v10, 0x3fb8aa3b, v10
	v_exp_f32_e32 v10, v10
	ds_write_b32 v8, v10
	v_add_f32_e32 v7, v7, v10
	v_add_u32_e32 v8, 0x200, v8
	s_andn2_b64 exec, exec, s[36:37]
	s_cbranch_execnz .LBB62_19
; %bb.20:
	s_or_b64 exec, exec, s[36:37]
.LBB62_21:
	s_or_b64 exec, exec, s[34:35]
	ds_bpermute_b32 v0, v0, v7
	s_waitcnt lgkmcnt(0)
	v_add_f32_e32 v0, v7, v0
	ds_bpermute_b32 v1, v1, v0
	s_waitcnt lgkmcnt(0)
	v_add_f32_e32 v0, v0, v1
	;; [unrolled: 3-line block ×6, first 2 shown]
	s_and_saveexec_b64 s[10:11], vcc
	s_cbranch_execz .LBB62_23
; %bb.22:
	ds_write_b32 v4, v0 offset:1032
.LBB62_23:
	s_or_b64 exec, exec, s[10:11]
	s_waitcnt lgkmcnt(0)
	s_barrier
	s_and_saveexec_b64 s[10:11], s[2:3]
	s_cbranch_execz .LBB62_25
; %bb.24:
	ds_read_b32 v0, v5 offset:1032
.LBB62_25:
	s_or_b64 exec, exec, s[10:11]
	s_waitcnt lgkmcnt(0)
	ds_bpermute_b32 v1, v48, v0
	s_waitcnt lgkmcnt(0)
	v_add_f32_e32 v0, v0, v1
	ds_bpermute_b32 v3, v6, v0
	s_and_saveexec_b64 s[2:3], s[4:5]
	s_cbranch_execz .LBB62_38
; %bb.26:
	s_waitcnt lgkmcnt(0)
	v_add_f32_e32 v0, 0x358637bd, v3
	v_div_scale_f32 v1, s[4:5], v0, v0, 1.0
	v_rcp_f32_e32 v4, v1
	v_div_scale_f32 v5, vcc, 1.0, v0, 1.0
	s_movk_i32 s4, 0x7f
	v_fma_f32 v6, -v1, v4, 1.0
	v_fmac_f32_e32 v4, v6, v4
	v_mul_f32_e32 v6, v5, v4
	v_fma_f32 v7, -v1, v6, v5
	v_fmac_f32_e32 v6, v7, v4
	v_fma_f32 v1, -v1, v6, v5
	v_div_fmas_f32 v1, v1, v4, v6
	v_div_fixup_f32 v0, v1, v0, 1.0
	v_xad_u32 v1, v46, -1, s38
	v_subrev_u32_e32 v4, s33, v1
	v_cmp_lt_u32_e32 vcc, s4, v4
	s_mov_b64 s[10:11], -1
	v_mov_b32_e32 v1, v46
	s_and_saveexec_b64 s[4:5], vcc
	s_cbranch_execz .LBB62_35
; %bb.27:
	v_lshrrev_b32_e32 v4, 7, v4
	v_add_u32_e32 v6, -1, v4
	v_lshrrev_b32_e32 v5, 1, v6
	v_mov_b32_e32 v1, v0
	v_add_u32_e32 v5, 1, v5
	v_cmp_lt_u32_e32 vcc, 13, v6
	v_mov_b32_e32 v8, 0
	s_and_saveexec_b64 s[10:11], vcc
	s_cbranch_execz .LBB62_31
; %bb.28:
	v_mov_b32_e32 v7, 0x410
	v_mov_b32_e32 v18, v11
	v_pk_mov_b32 v[16:17], v[14:15], v[14:15] op_sel:[0,1]
	v_and_b32_e32 v6, -8, v5
	v_lshl_add_u32 v7, v46, 2, v7
	s_mov_b32 s36, 0
	s_mov_b64 s[34:35], 0
.LBB62_29:                              ; =>This Inner Loop Header: Depth=1
	ds_read2st64_b32 v[8:9], v7 offset1:2
	ds_read2st64_b32 v[10:11], v7 offset0:4 offset1:6
	ds_read2st64_b32 v[12:13], v7 offset0:8 offset1:10
	ds_read2st64_b32 v[14:15], v7 offset0:12 offset1:14
	v_add_u32_e32 v6, -8, v6
	s_waitcnt lgkmcnt(3)
	v_pk_mul_f32 v[8:9], v[0:1], v[8:9]
	s_waitcnt lgkmcnt(2)
	v_pk_mul_f32 v[10:11], v[0:1], v[10:11]
	ds_write2st64_b32 v7, v8, v9 offset1:2
	ds_write2st64_b32 v7, v10, v11 offset0:4 offset1:6
	ds_read2st64_b32 v[10:11], v7 offset0:16 offset1:18
	s_waitcnt lgkmcnt(4)
	v_pk_mul_f32 v[8:9], v[0:1], v[12:13]
	ds_write2st64_b32 v7, v8, v9 offset0:8 offset1:10
	s_waitcnt lgkmcnt(4)
	v_pk_mul_f32 v[8:9], v[0:1], v[14:15]
	ds_write2st64_b32 v7, v8, v9 offset0:12 offset1:14
	ds_read2st64_b32 v[8:9], v7 offset0:20 offset1:22
	s_waitcnt lgkmcnt(3)
	v_pk_mul_f32 v[10:11], v[0:1], v[10:11]
	ds_read2st64_b32 v[12:13], v7 offset0:24 offset1:26
	ds_write2st64_b32 v7, v10, v11 offset0:16 offset1:18
	ds_read2st64_b32 v[10:11], v7 offset0:28 offset1:30
	s_waitcnt lgkmcnt(3)
	v_pk_mul_f32 v[8:9], v[0:1], v[8:9]
	ds_write2st64_b32 v7, v8, v9 offset0:20 offset1:22
	s_waitcnt lgkmcnt(3)
	v_pk_mul_f32 v[8:9], v[0:1], v[12:13]
	ds_write2st64_b32 v7, v8, v9 offset0:24 offset1:26
	s_waitcnt lgkmcnt(2)
	v_pk_mul_f32 v[8:9], v[0:1], v[10:11]
	s_add_i32 s36, s36, 16
	v_cmp_eq_u32_e32 vcc, 0, v6
	ds_write2st64_b32 v7, v8, v9 offset0:28 offset1:30
	v_add_u32_e32 v7, 0x2000, v7
	s_or_b64 s[34:35], vcc, s[34:35]
	v_mov_b32_e32 v8, s36
	s_andn2_b64 exec, exec, s[34:35]
	s_cbranch_execnz .LBB62_29
; %bb.30:
	s_or_b64 exec, exec, s[34:35]
	v_pk_mov_b32 v[14:15], v[16:17], v[16:17] op_sel:[0,1]
	v_mov_b32_e32 v11, v18
.LBB62_31:
	s_or_b64 exec, exec, s[10:11]
	v_and_b32_e32 v5, 7, v5
	v_cmp_ne_u32_e32 vcc, 0, v5
	s_and_saveexec_b64 s[10:11], vcc
	s_cbranch_execz .LBB62_34
; %bb.32:
	v_lshlrev_b32_e32 v6, 9, v8
	s_movk_i32 s34, 0x410
	v_add3_u32 v6, v6, v25, s34
	s_mov_b64 s[34:35], 0
.LBB62_33:                              ; =>This Inner Loop Header: Depth=1
	ds_read2st64_b32 v[8:9], v6 offset1:2
	v_add_u32_e32 v5, -1, v5
	v_cmp_eq_u32_e32 vcc, 0, v5
	s_or_b64 s[34:35], vcc, s[34:35]
	s_waitcnt lgkmcnt(0)
	v_pk_mul_f32 v[8:9], v[0:1], v[8:9]
	ds_write2st64_b32 v6, v8, v9 offset1:2
	v_add_u32_e32 v6, 0x400, v6
	s_andn2_b64 exec, exec, s[34:35]
	s_cbranch_execnz .LBB62_33
.LBB62_34:
	s_or_b64 exec, exec, s[10:11]
	v_add_u32_e32 v4, 1, v4
	v_and_b32_e32 v5, 0x3fffffe, v4
	v_cmp_ne_u32_e32 vcc, v4, v5
	v_lshl_add_u32 v1, v5, 7, v46
	s_orn2_b64 s[10:11], vcc, exec
.LBB62_35:
	s_or_b64 exec, exec, s[4:5]
	s_and_b64 exec, exec, s[10:11]
	s_cbranch_execz .LBB62_38
; %bb.36:
	v_mov_b32_e32 v4, 0x410
	v_lshl_add_u32 v4, v1, 2, v4
	s_mov_b64 s[4:5], 0
.LBB62_37:                              ; =>This Inner Loop Header: Depth=1
	ds_read_b32 v5, v4
	v_add_u32_e32 v1, 0x80, v1
	v_cmp_le_i32_e32 vcc, s15, v1
	s_or_b64 s[4:5], vcc, s[4:5]
	s_waitcnt lgkmcnt(0)
	v_mul_f32_e32 v5, v0, v5
	ds_write_b32 v4, v5
	v_add_u32_e32 v4, 0x200, v4
	s_andn2_b64 exec, exec, s[4:5]
	s_cbranch_execnz .LBB62_37
.LBB62_38:
	s_or_b64 exec, exec, s[2:3]
	s_mul_i32 s2, s12, s26
	v_cmp_eq_u32_e32 vcc, 0, v46
	s_mul_i32 s2, s2, s9
	s_waitcnt lgkmcnt(0)
	s_barrier
	s_and_saveexec_b64 s[4:5], vcc
	s_cbranch_execz .LBB62_40
; %bb.39:
	s_ashr_i32 s3, s2, 31
	s_lshl_b64 s[10:11], s[2:3], 2
	s_add_u32 s3, s18, s10
	s_mul_i32 s18, s12, s6
	s_addc_u32 s9, s19, s11
	s_ashr_i32 s19, s18, 31
	s_lshl_b64 s[18:19], s[18:19], 2
	s_add_u32 s3, s3, s18
	s_addc_u32 s6, s9, s19
	s_ashr_i32 s9, s8, 31
	s_lshl_b64 s[34:35], s[8:9], 2
	s_add_u32 s36, s3, s34
	s_addc_u32 s37, s6, s35
	s_add_u32 s3, s16, s10
	s_addc_u32 s6, s17, s11
	;; [unrolled: 2-line block ×3, first 2 shown]
	s_add_u32 s10, s3, s34
	v_mov_b32_e32 v0, 0
	s_addc_u32 s11, s6, s35
	global_store_dword v0, v2, s[36:37]
	global_store_dword v0, v3, s[10:11]
.LBB62_40:
	s_or_b64 exec, exec, s[4:5]
	v_and_b32_e32 v1, 7, v46
	v_mov_b32_e32 v0, 0
	buffer_store_dword v1, off, s[52:55], 0 offset:336 ; 4-byte Folded Spill
	v_mov_b32_e32 v1, 0
	v_mov_b32_e32 v126, 0
	;; [unrolled: 1-line block ×31, first 2 shown]
	buffer_store_dword v2, off, s[52:55], 0 offset:80 ; 4-byte Folded Spill
	s_nop 0
	buffer_store_dword v3, off, s[52:55], 0 offset:84 ; 4-byte Folded Spill
	s_and_saveexec_b64 s[4:5], s[0:1]
	s_cbranch_execz .LBB62_108
; %bb.41:
	buffer_store_dword v48, off, s[52:55], 0 offset:352 ; 4-byte Folded Spill
	buffer_store_dword v37, off, s[52:55], 0 offset:348 ; 4-byte Folded Spill
	;; [unrolled: 1-line block ×4, first 2 shown]
	v_and_b32_e32 v1, 28, v25
	v_lshl_add_u32 v3, v11, 5, s33
	v_and_b32_e32 v0, 0xfc, v25
	v_or_b32_e32 v26, 0xf00, v25
	v_or_b32_e32 v58, 0x1f00, v25
	v_add3_u32 v25, v3, v1, 3
	buffer_load_dword v1, off, s[52:55], 0 offset:336 ; 4-byte Folded Reload
	v_or_b32_e32 v2, 0x400, v0
	v_or_b32_e32 v4, 0x500, v0
	;; [unrolled: 1-line block ×6, first 2 shown]
	v_pk_mov_b32 v[60:61], v[14:15], v[14:15] op_sel:[0,1]
	v_or_b32_e32 v14, 0xa00, v0
	v_or_b32_e32 v16, 0xb00, v0
	v_or_b32_e32 v18, 0xc00, v0
	v_or_b32_e32 v20, 0xd00, v0
	v_or_b32_e32 v24, 0xe00, v0
	v_or_b32_e32 v28, 0x1000, v0
	v_or_b32_e32 v30, 0x1100, v0
	v_or_b32_e32 v32, 0x1200, v0
	v_or_b32_e32 v34, 0x1300, v0
	v_or_b32_e32 v36, 0x1400, v0
	v_or_b32_e32 v38, 0x1500, v0
	v_or_b32_e32 v40, 0x1600, v0
	v_or_b32_e32 v42, 0x1700, v0
	v_or_b32_e32 v44, 0x1800, v0
	v_or_b32_e32 v46, 0x1900, v0
	v_or_b32_e32 v48, 0x1a00, v0
	v_or_b32_e32 v50, 0x1b00, v0
	v_or_b32_e32 v52, 0x1c00, v0
	v_or_b32_e32 v54, 0x1d00, v0
	v_or_b32_e32 v56, 0x1e00, v0
	v_lshlrev_b32_e32 v0, 2, v0
	buffer_store_dword v0, off, s[52:55], 0 offset:212 ; 4-byte Folded Spill
	v_lshlrev_b32_e32 v0, 2, v2
	buffer_store_dword v0, off, s[52:55], 0 offset:216 ; 4-byte Folded Spill
	;; [unrolled: 2-line block ×22, first 2 shown]
	v_lshlrev_b32_e32 v0, 2, v46
	s_ashr_i32 s15, s14, 31
	buffer_store_dword v0, off, s[52:55], 0 offset:300 ; 4-byte Folded Spill
	v_lshlrev_b32_e32 v0, 2, v48
	s_lshl_b64 s[0:1], s[14:15], 2
	buffer_store_dword v0, off, s[52:55], 0 offset:304 ; 4-byte Folded Spill
	v_lshlrev_b32_e32 v0, 2, v50
	s_add_u32 s9, s30, s0
	buffer_store_dword v0, off, s[52:55], 0 offset:308 ; 4-byte Folded Spill
	v_lshlrev_b32_e32 v0, 2, v52
	s_mov_b32 s3, s13
	s_addc_u32 s10, s31, s1
	s_add_i32 s13, s7, -1
	s_lshl_b64 s[0:1], s[28:29], 2
	buffer_store_dword v0, off, s[52:55], 0 offset:312 ; 4-byte Folded Spill
	v_lshlrev_b32_e32 v0, 2, v54
	s_waitcnt vmcnt(26)
	v_lshlrev_b32_e32 v1, 4, v1
	s_add_u32 s0, s24, s0
	buffer_store_dword v0, off, s[52:55], 0 offset:316 ; 4-byte Folded Spill
	v_lshlrev_b32_e32 v0, 2, v56
	v_lshl_or_b32 v1, v11, 7, v1
	v_lshlrev_b64 v[22:23], 2, v[60:61]
	s_addc_u32 s1, s25, s1
	buffer_store_dword v0, off, s[52:55], 0 offset:320 ; 4-byte Folded Spill
	v_lshlrev_b32_e32 v0, 2, v58
	v_mov_b32_e32 v5, 0
	v_add_u32_e32 v9, 0x410, v1
	v_mov_b32_e32 v1, s1
	v_add_co_u32_e32 v22, vcc, s0, v22
	buffer_store_dword v0, off, s[52:55], 0 offset:324 ; 4-byte Folded Spill
	v_mov_b32_e32 v0, s10
	v_addc_co_u32_e32 v23, vcc, v1, v23, vcc
	s_mov_b64 s[6:7], 0
	v_mov_b32_e32 v8, v60
	buffer_store_dword v0, off, s[52:55], 0 offset:328 ; 4-byte Folded Spill
	v_mov_b32_e32 v4, v5
	v_mov_b32_e32 v1, v5
	;; [unrolled: 1-line block ×11, first 2 shown]
	buffer_store_dword v0, off, s[52:55], 0 offset:104 ; 4-byte Folded Spill
	s_nop 0
	buffer_store_dword v1, off, s[52:55], 0 offset:108 ; 4-byte Folded Spill
	buffer_store_dword v0, off, s[52:55], 0 offset:120 ; 4-byte Folded Spill
	s_nop 0
	buffer_store_dword v1, off, s[52:55], 0 offset:124 ; 4-byte Folded Spill
	;; [unrolled: 3-line block ×11, first 2 shown]
	s_branch .LBB62_43
.LBB62_42:                              ;   in Loop: Header=BB62_43 Depth=1
	s_or_b64 exec, exec, s[0:1]
	s_waitcnt lgkmcnt(0)
	v_mul_f32_e32 v83, v3, v83
	v_fmac_f32_e32 v83, v2, v82
	v_mul_f32_e32 v24, v3, v87
	v_fmac_f32_e32 v83, v4, v84
	v_fmac_f32_e32 v24, v2, v86
	;; [unrolled: 1-line block ×3, first 2 shown]
	buffer_load_dword v84, off, s[52:55], 0 offset:80 ; 4-byte Folded Reload
	buffer_load_dword v85, off, s[52:55], 0 offset:84 ; 4-byte Folded Reload
	;; [unrolled: 1-line block ×4, first 2 shown]
	v_mul_f32_e32 v7, v3, v7
	v_fmac_f32_e32 v7, v2, v6
	v_mul_f32_e32 v6, v3, v123
	v_fmac_f32_e32 v6, v2, v122
	v_fmac_f32_e32 v7, v4, v8
	;; [unrolled: 1-line block ×5, first 2 shown]
	v_mul_f32_e32 v8, v3, v119
	v_mul_f32_e32 v9, v3, v115
	v_fmac_f32_e32 v8, v2, v118
	v_fmac_f32_e32 v9, v2, v114
	;; [unrolled: 1-line block ×6, first 2 shown]
	v_mul_f32_e32 v11, v3, v11
	v_fmac_f32_e32 v11, v2, v10
	v_fmac_f32_e32 v11, v4, v12
	v_mul_f32_e32 v10, v3, v111
	v_mul_f32_e32 v12, v3, v103
	v_fmac_f32_e32 v10, v2, v110
	v_fmac_f32_e32 v12, v2, v102
	;; [unrolled: 1-line block ×7, first 2 shown]
	v_mul_f32_e32 v13, v3, v99
	v_mul_f32_e32 v14, v3, v95
	v_fmac_f32_e32 v13, v2, v98
	v_fmac_f32_e32 v14, v2, v94
	;; [unrolled: 1-line block ×6, first 2 shown]
	v_mul_f32_e32 v15, v3, v91
	v_fmac_f32_e32 v15, v2, v90
	v_fmac_f32_e32 v15, v4, v92
	v_fmac_f32_e32 v24, v4, v88
	v_fmac_f32_e32 v15, v5, v93
	v_fmac_f32_e32 v24, v5, v89
	v_add_u32_e32 v25, 64, v25
	s_waitcnt vmcnt(3)
	v_add_f32_e32 v84, v84, v11
	s_waitcnt vmcnt(0)
	v_add_f32_e32 v87, v87, v7
	v_add_f32_e32 v86, v86, v6
	buffer_store_dword v86, off, s[52:55], 0 offset:104 ; 4-byte Folded Spill
	s_nop 0
	buffer_store_dword v87, off, s[52:55], 0 offset:108 ; 4-byte Folded Spill
	buffer_load_dword v6, off, s[52:55], 0 offset:120 ; 4-byte Folded Reload
	buffer_load_dword v7, off, s[52:55], 0 offset:124 ; 4-byte Folded Reload
	s_waitcnt vmcnt(0)
	v_add_f32_e32 v7, v7, v8
	v_add_f32_e32 v6, v6, v9
	buffer_store_dword v6, off, s[52:55], 0 offset:120 ; 4-byte Folded Spill
	s_nop 0
	buffer_store_dword v7, off, s[52:55], 0 offset:124 ; 4-byte Folded Spill
	buffer_load_dword v6, off, s[52:55], 0 offset:136 ; 4-byte Folded Reload
	s_nop 0
	buffer_load_dword v7, off, s[52:55], 0 offset:140 ; 4-byte Folded Reload
	s_waitcnt vmcnt(0)
	v_add_f32_e32 v7, v7, v10
	v_add_f32_e32 v6, v6, v12
	buffer_store_dword v6, off, s[52:55], 0 offset:136 ; 4-byte Folded Spill
	s_nop 0
	buffer_store_dword v7, off, s[52:55], 0 offset:140 ; 4-byte Folded Spill
	buffer_load_dword v6, off, s[52:55], 0 offset:152 ; 4-byte Folded Reload
	s_nop 0
	;; [unrolled: 9-line block ×3, first 2 shown]
	buffer_load_dword v7, off, s[52:55], 0 offset:164 ; 4-byte Folded Reload
	s_waitcnt vmcnt(0)
	v_add_f32_e32 v7, v7, v15
	v_add_f32_e32 v6, v6, v24
	buffer_store_dword v6, off, s[52:55], 0 offset:160 ; 4-byte Folded Spill
	s_nop 0
	buffer_store_dword v7, off, s[52:55], 0 offset:164 ; 4-byte Folded Spill
	buffer_load_dword v8, off, s[52:55], 0 offset:168 ; 4-byte Folded Reload
	buffer_load_dword v9, off, s[52:55], 0 offset:172 ; 4-byte Folded Reload
	v_mul_f32_e32 v6, v3, v79
	v_fmac_f32_e32 v6, v2, v78
	v_fmac_f32_e32 v6, v4, v80
	;; [unrolled: 1-line block ×3, first 2 shown]
	s_waitcnt vmcnt(0)
	v_add_f32_e32 v9, v9, v83
	v_add_f32_e32 v8, v8, v6
	buffer_store_dword v8, off, s[52:55], 0 offset:168 ; 4-byte Folded Spill
	s_nop 0
	buffer_store_dword v9, off, s[52:55], 0 offset:172 ; 4-byte Folded Spill
	buffer_load_dword v8, off, s[52:55], 0 offset:176 ; 4-byte Folded Reload
	s_nop 0
	buffer_load_dword v9, off, s[52:55], 0 offset:180 ; 4-byte Folded Reload
	v_mul_f32_e32 v6, v3, v75
	v_fmac_f32_e32 v6, v2, v74
	v_fmac_f32_e32 v6, v4, v76
	v_fmac_f32_e32 v6, v5, v77
	s_waitcnt vmcnt(0)
	v_add_f32_e32 v9, v9, v6
	v_mul_f32_e32 v6, v3, v71
	v_fmac_f32_e32 v6, v2, v70
	v_fmac_f32_e32 v6, v4, v72
	v_fmac_f32_e32 v6, v5, v73
	v_add_f32_e32 v8, v8, v6
	buffer_store_dword v8, off, s[52:55], 0 offset:176 ; 4-byte Folded Spill
	s_nop 0
	buffer_store_dword v9, off, s[52:55], 0 offset:180 ; 4-byte Folded Spill
	buffer_load_dword v8, off, s[52:55], 0 offset:184 ; 4-byte Folded Reload
	s_nop 0
	buffer_load_dword v9, off, s[52:55], 0 offset:188 ; 4-byte Folded Reload
	v_mul_f32_e32 v6, v3, v67
	v_fmac_f32_e32 v6, v2, v66
	v_fmac_f32_e32 v6, v4, v68
	v_fmac_f32_e32 v6, v5, v69
	s_waitcnt vmcnt(0)
	v_add_f32_e32 v9, v9, v6
	v_mul_f32_e32 v6, v3, v63
	v_fmac_f32_e32 v6, v2, v62
	v_fmac_f32_e32 v6, v4, v64
	v_fmac_f32_e32 v6, v5, v65
	;; [unrolled: 17-line block ×4, first 2 shown]
	v_add_f32_e32 v8, v8, v6
	buffer_store_dword v8, off, s[52:55], 0 offset:200 ; 4-byte Folded Spill
	s_nop 0
	buffer_store_dword v9, off, s[52:55], 0 offset:204 ; 4-byte Folded Spill
	buffer_load_dword v8, off, s[52:55], 0 offset:64 ; 4-byte Folded Reload
	s_nop 0
	buffer_load_dword v9, off, s[52:55], 0 offset:68 ; 4-byte Folded Reload
	buffer_load_dword v10, off, s[52:55], 0 offset:72 ; 4-byte Folded Reload
	;; [unrolled: 1-line block ×3, first 2 shown]
	v_mul_f32_e32 v6, v3, v43
	v_fmac_f32_e32 v6, v2, v42
	v_fmac_f32_e32 v6, v4, v44
	v_fmac_f32_e32 v6, v5, v45
	v_add_f32_e32 v17, v17, v6
	v_mul_f32_e32 v6, v3, v39
	v_fmac_f32_e32 v6, v2, v38
	v_fmac_f32_e32 v6, v4, v40
	v_fmac_f32_e32 v6, v5, v41
	v_add_f32_e32 v16, v16, v6
	;; [unrolled: 5-line block ×5, first 2 shown]
	s_waitcnt vmcnt(2)
	v_mul_f32_e32 v6, v3, v9
	v_fmac_f32_e32 v6, v2, v8
	s_waitcnt vmcnt(1)
	v_fmac_f32_e32 v6, v4, v10
	s_waitcnt vmcnt(0)
	v_fmac_f32_e32 v6, v5, v11
	buffer_load_dword v8, off, s[52:55], 0 offset:48 ; 4-byte Folded Reload
	buffer_load_dword v9, off, s[52:55], 0 offset:52 ; 4-byte Folded Reload
	buffer_load_dword v10, off, s[52:55], 0 offset:56 ; 4-byte Folded Reload
	buffer_load_dword v11, off, s[52:55], 0 offset:60 ; 4-byte Folded Reload
	v_add_f32_e32 v20, v20, v6
	s_waitcnt vmcnt(2)
	v_mul_f32_e32 v6, v3, v9
	v_fmac_f32_e32 v6, v2, v8
	s_waitcnt vmcnt(1)
	v_fmac_f32_e32 v6, v4, v10
	s_waitcnt vmcnt(0)
	v_fmac_f32_e32 v6, v5, v11
	buffer_load_dword v8, off, s[52:55], 0 offset:32 ; 4-byte Folded Reload
	buffer_load_dword v9, off, s[52:55], 0 offset:36 ; 4-byte Folded Reload
	buffer_load_dword v10, off, s[52:55], 0 offset:40 ; 4-byte Folded Reload
	buffer_load_dword v11, off, s[52:55], 0 offset:44 ; 4-byte Folded Reload
	v_add_f32_e32 v127, v127, v6
	;; [unrolled: 12-line block ×3, first 2 shown]
	s_waitcnt vmcnt(2)
	v_mul_f32_e32 v6, v3, v9
	v_fmac_f32_e32 v6, v2, v8
	s_waitcnt vmcnt(1)
	v_fmac_f32_e32 v6, v4, v10
	s_waitcnt vmcnt(0)
	v_fmac_f32_e32 v6, v5, v11
	buffer_load_dword v8, off, s[52:55], 0  ; 4-byte Folded Reload
	buffer_load_dword v9, off, s[52:55], 0 offset:4 ; 4-byte Folded Reload
	buffer_load_dword v10, off, s[52:55], 0 offset:8 ; 4-byte Folded Reload
	;; [unrolled: 1-line block ×3, first 2 shown]
	v_add_f32_e32 v1, v1, v6
	s_waitcnt vmcnt(2)
	v_mul_f32_e32 v6, v3, v9
	v_mul_f32_e32 v3, v3, v107
	v_fmac_f32_e32 v3, v2, v106
	v_fmac_f32_e32 v3, v4, v108
	;; [unrolled: 1-line block ×3, first 2 shown]
	v_add_f32_e32 v85, v85, v3
	buffer_store_dword v84, off, s[52:55], 0 offset:80 ; 4-byte Folded Spill
	s_nop 0
	buffer_store_dword v85, off, s[52:55], 0 offset:84 ; 4-byte Folded Spill
	v_fmac_f32_e32 v6, v2, v8
	buffer_load_dword v8, off, s[52:55], 0 offset:96 ; 4-byte Folded Reload
	buffer_load_dword v9, off, s[52:55], 0 offset:100 ; 4-byte Folded Reload
	;; [unrolled: 1-line block ×3, first 2 shown]
	s_waitcnt vmcnt(6)
	v_fmac_f32_e32 v6, v4, v10
	s_waitcnt vmcnt(5)
	v_fmac_f32_e32 v6, v5, v11
	v_add_f32_e32 v0, v0, v6
	s_waitcnt vmcnt(2)
	v_add_u32_e32 v8, 2, v8
	v_cmp_le_i32_e32 vcc, s21, v8
	s_or_b64 s[6:7], vcc, s[6:7]
	v_add_co_u32_e32 v22, vcc, 8, v22
	s_waitcnt vmcnt(0)
	v_add_u32_e32 v9, 0x100, v9
	v_addc_co_u32_e32 v23, vcc, 0, v23, vcc
	s_andn2_b64 exec, exec, s[6:7]
	s_cbranch_execz .LBB62_107
.LBB62_43:                              ; =>This Inner Loop Header: Depth=1
	global_load_dword v2, v[22:23], off
	v_add_u32_e32 v24, -3, v25
	v_mov_b32_e32 v10, v8
	v_add_u32_e32 v15, -2, v25
	v_add_u32_e32 v14, -1, v25
	s_waitcnt vmcnt(0)
	v_mad_i64_i32 v[2:3], s[0:1], v2, s3, 0
	v_lshlrev_b64 v[2:3], 2, v[2:3]
	v_add_co_u32_e32 v106, vcc, s9, v2
	buffer_load_dword v2, off, s[52:55], 0 offset:328 ; 4-byte Folded Reload
	s_waitcnt vmcnt(0)
	v_addc_co_u32_e32 v107, vcc, v2, v3, vcc
	buffer_load_dword v2, off, s[52:55], 0 offset:212 ; 4-byte Folded Reload
	s_waitcnt vmcnt(0)
	v_add_co_u32_e32 v6, vcc, v106, v2
	v_addc_co_u32_e32 v7, vcc, 0, v107, vcc
	global_load_dwordx4 v[2:5], v[6:7], off
	v_cmp_eq_u32_e32 vcc, s13, v8
	s_waitcnt vmcnt(0)
	buffer_store_dword v2, off, s[52:55], 0 ; 4-byte Folded Spill
	s_nop 0
	buffer_store_dword v3, off, s[52:55], 0 offset:4 ; 4-byte Folded Spill
	buffer_store_dword v4, off, s[52:55], 0 offset:8 ; 4-byte Folded Spill
	;; [unrolled: 1-line block ×4, first 2 shown]
	ds_read_b128 v[2:5], v9
	buffer_store_dword v10, off, s[52:55], 0 offset:96 ; 4-byte Folded Spill
	s_nop 0
	buffer_store_dword v11, off, s[52:55], 0 offset:100 ; 4-byte Folded Spill
	s_and_saveexec_b64 s[10:11], vcc
	s_cbranch_execz .LBB62_45
; %bb.44:                               ;   in Loop: Header=BB62_43 Depth=1
	buffer_load_dword v8, off, s[52:55], 0  ; 4-byte Folded Reload
	buffer_load_dword v9, off, s[52:55], 0 offset:4 ; 4-byte Folded Reload
	buffer_load_dword v10, off, s[52:55], 0 offset:8 ; 4-byte Folded Reload
	;; [unrolled: 1-line block ×3, first 2 shown]
	v_cmp_gt_i32_e64 s[0:1], s27, v24
	s_waitcnt vmcnt(3)
	v_cndmask_b32_e64 v8, 0, v8, s[0:1]
	v_cmp_gt_i32_e64 s[0:1], s27, v15
	s_waitcnt vmcnt(2)
	v_cndmask_b32_e64 v9, 0, v9, s[0:1]
	;; [unrolled: 3-line block ×4, first 2 shown]
	buffer_store_dword v8, off, s[52:55], 0 ; 4-byte Folded Spill
	s_nop 0
	buffer_store_dword v9, off, s[52:55], 0 offset:4 ; 4-byte Folded Spill
	buffer_store_dword v10, off, s[52:55], 0 offset:8 ; 4-byte Folded Spill
	;; [unrolled: 1-line block ×3, first 2 shown]
.LBB62_45:                              ;   in Loop: Header=BB62_43 Depth=1
	s_or_b64 exec, exec, s[10:11]
	global_load_dwordx4 v[8:11], v[6:7], off offset:1024
	s_waitcnt vmcnt(0)
	buffer_store_dword v8, off, s[52:55], 0 offset:16 ; 4-byte Folded Spill
	s_nop 0
	buffer_store_dword v9, off, s[52:55], 0 offset:20 ; 4-byte Folded Spill
	buffer_store_dword v10, off, s[52:55], 0 offset:24 ; 4-byte Folded Spill
	buffer_store_dword v11, off, s[52:55], 0 offset:28 ; 4-byte Folded Spill
	s_and_saveexec_b64 s[10:11], vcc
	s_cbranch_execz .LBB62_47
; %bb.46:                               ;   in Loop: Header=BB62_43 Depth=1
	buffer_load_dword v8, off, s[52:55], 0 offset:16 ; 4-byte Folded Reload
	buffer_load_dword v9, off, s[52:55], 0 offset:20 ; 4-byte Folded Reload
	buffer_load_dword v10, off, s[52:55], 0 offset:24 ; 4-byte Folded Reload
	buffer_load_dword v11, off, s[52:55], 0 offset:28 ; 4-byte Folded Reload
	v_cmp_gt_i32_e64 s[0:1], s27, v24
	s_waitcnt vmcnt(3)
	v_cndmask_b32_e64 v8, 0, v8, s[0:1]
	v_cmp_gt_i32_e64 s[0:1], s27, v15
	s_waitcnt vmcnt(2)
	v_cndmask_b32_e64 v9, 0, v9, s[0:1]
	v_cmp_gt_i32_e64 s[0:1], s27, v14
	s_waitcnt vmcnt(1)
	v_cndmask_b32_e64 v10, 0, v10, s[0:1]
	v_cmp_gt_i32_e64 s[0:1], s27, v25
	s_waitcnt vmcnt(0)
	v_cndmask_b32_e64 v11, 0, v11, s[0:1]
	buffer_store_dword v8, off, s[52:55], 0 offset:16 ; 4-byte Folded Spill
	s_nop 0
	buffer_store_dword v9, off, s[52:55], 0 offset:20 ; 4-byte Folded Spill
	buffer_store_dword v10, off, s[52:55], 0 offset:24 ; 4-byte Folded Spill
	buffer_store_dword v11, off, s[52:55], 0 offset:28 ; 4-byte Folded Spill
.LBB62_47:                              ;   in Loop: Header=BB62_43 Depth=1
	s_or_b64 exec, exec, s[10:11]
	global_load_dwordx4 v[8:11], v[6:7], off offset:2048
	s_waitcnt vmcnt(0)
	buffer_store_dword v8, off, s[52:55], 0 offset:32 ; 4-byte Folded Spill
	s_nop 0
	buffer_store_dword v9, off, s[52:55], 0 offset:36 ; 4-byte Folded Spill
	buffer_store_dword v10, off, s[52:55], 0 offset:40 ; 4-byte Folded Spill
	buffer_store_dword v11, off, s[52:55], 0 offset:44 ; 4-byte Folded Spill
	s_and_saveexec_b64 s[10:11], vcc
	s_cbranch_execz .LBB62_49
; %bb.48:                               ;   in Loop: Header=BB62_43 Depth=1
	buffer_load_dword v8, off, s[52:55], 0 offset:32 ; 4-byte Folded Reload
	buffer_load_dword v9, off, s[52:55], 0 offset:36 ; 4-byte Folded Reload
	buffer_load_dword v10, off, s[52:55], 0 offset:40 ; 4-byte Folded Reload
	buffer_load_dword v11, off, s[52:55], 0 offset:44 ; 4-byte Folded Reload
	v_cmp_gt_i32_e64 s[0:1], s27, v24
	s_waitcnt vmcnt(3)
	v_cndmask_b32_e64 v8, 0, v8, s[0:1]
	v_cmp_gt_i32_e64 s[0:1], s27, v15
	s_waitcnt vmcnt(2)
	v_cndmask_b32_e64 v9, 0, v9, s[0:1]
	v_cmp_gt_i32_e64 s[0:1], s27, v14
	s_waitcnt vmcnt(1)
	v_cndmask_b32_e64 v10, 0, v10, s[0:1]
	v_cmp_gt_i32_e64 s[0:1], s27, v25
	s_waitcnt vmcnt(0)
	v_cndmask_b32_e64 v11, 0, v11, s[0:1]
	buffer_store_dword v8, off, s[52:55], 0 offset:32 ; 4-byte Folded Spill
	s_nop 0
	buffer_store_dword v9, off, s[52:55], 0 offset:36 ; 4-byte Folded Spill
	buffer_store_dword v10, off, s[52:55], 0 offset:40 ; 4-byte Folded Spill
	buffer_store_dword v11, off, s[52:55], 0 offset:44 ; 4-byte Folded Spill
.LBB62_49:                              ;   in Loop: Header=BB62_43 Depth=1
	;; [unrolled: 33-line block ×3, first 2 shown]
	s_or_b64 exec, exec, s[10:11]
	buffer_load_dword v6, off, s[52:55], 0 offset:216 ; 4-byte Folded Reload
	s_waitcnt vmcnt(0)
	v_add_co_u32_e64 v6, s[0:1], v106, v6
	v_addc_co_u32_e64 v7, s[0:1], 0, v107, s[0:1]
	global_load_dwordx4 v[6:9], v[6:7], off
	s_waitcnt vmcnt(0)
	buffer_store_dword v6, off, s[52:55], 0 offset:64 ; 4-byte Folded Spill
	s_nop 0
	buffer_store_dword v7, off, s[52:55], 0 offset:68 ; 4-byte Folded Spill
	buffer_store_dword v8, off, s[52:55], 0 offset:72 ; 4-byte Folded Spill
	;; [unrolled: 1-line block ×3, first 2 shown]
	s_and_saveexec_b64 s[10:11], vcc
	s_cbranch_execz .LBB62_53
; %bb.52:                               ;   in Loop: Header=BB62_43 Depth=1
	buffer_load_dword v6, off, s[52:55], 0 offset:64 ; 4-byte Folded Reload
	buffer_load_dword v7, off, s[52:55], 0 offset:68 ; 4-byte Folded Reload
	;; [unrolled: 1-line block ×4, first 2 shown]
	v_cmp_gt_i32_e64 s[0:1], s27, v24
	s_waitcnt vmcnt(3)
	v_cndmask_b32_e64 v6, 0, v6, s[0:1]
	v_cmp_gt_i32_e64 s[0:1], s27, v15
	s_waitcnt vmcnt(2)
	v_cndmask_b32_e64 v7, 0, v7, s[0:1]
	;; [unrolled: 3-line block ×4, first 2 shown]
	buffer_store_dword v6, off, s[52:55], 0 offset:64 ; 4-byte Folded Spill
	s_nop 0
	buffer_store_dword v7, off, s[52:55], 0 offset:68 ; 4-byte Folded Spill
	buffer_store_dword v8, off, s[52:55], 0 offset:72 ; 4-byte Folded Spill
	;; [unrolled: 1-line block ×3, first 2 shown]
.LBB62_53:                              ;   in Loop: Header=BB62_43 Depth=1
	s_or_b64 exec, exec, s[10:11]
	buffer_load_dword v6, off, s[52:55], 0 offset:220 ; 4-byte Folded Reload
	s_waitcnt vmcnt(0)
	v_add_co_u32_e64 v6, s[0:1], v106, v6
	v_addc_co_u32_e64 v7, s[0:1], 0, v107, s[0:1]
	global_load_dwordx4 v[26:29], v[6:7], off
	s_and_saveexec_b64 s[10:11], vcc
	s_cbranch_execz .LBB62_55
; %bb.54:                               ;   in Loop: Header=BB62_43 Depth=1
	v_cmp_gt_i32_e64 s[0:1], s27, v24
	s_waitcnt vmcnt(0)
	v_cndmask_b32_e64 v26, 0, v26, s[0:1]
	v_cmp_gt_i32_e64 s[0:1], s27, v15
	v_cndmask_b32_e64 v27, 0, v27, s[0:1]
	v_cmp_gt_i32_e64 s[0:1], s27, v14
	v_cndmask_b32_e64 v28, 0, v28, s[0:1]
	v_cmp_gt_i32_e64 s[0:1], s27, v25
	v_cndmask_b32_e64 v29, 0, v29, s[0:1]
.LBB62_55:                              ;   in Loop: Header=BB62_43 Depth=1
	s_or_b64 exec, exec, s[10:11]
	buffer_load_dword v6, off, s[52:55], 0 offset:224 ; 4-byte Folded Reload
	s_waitcnt vmcnt(0)
	v_add_co_u32_e64 v6, s[0:1], v106, v6
	v_addc_co_u32_e64 v7, s[0:1], 0, v107, s[0:1]
	global_load_dwordx4 v[30:33], v[6:7], off
	s_and_saveexec_b64 s[10:11], vcc
	s_cbranch_execz .LBB62_57
; %bb.56:                               ;   in Loop: Header=BB62_43 Depth=1
	v_cmp_gt_i32_e64 s[0:1], s27, v24
	s_waitcnt vmcnt(0)
	v_cndmask_b32_e64 v30, 0, v30, s[0:1]
	v_cmp_gt_i32_e64 s[0:1], s27, v15
	v_cndmask_b32_e64 v31, 0, v31, s[0:1]
	v_cmp_gt_i32_e64 s[0:1], s27, v14
	v_cndmask_b32_e64 v32, 0, v32, s[0:1]
	v_cmp_gt_i32_e64 s[0:1], s27, v25
	v_cndmask_b32_e64 v33, 0, v33, s[0:1]
.LBB62_57:                              ;   in Loop: Header=BB62_43 Depth=1
	;; [unrolled: 19-line block ×23, first 2 shown]
	s_or_b64 exec, exec, s[10:11]
	buffer_load_dword v6, off, s[52:55], 0 offset:312 ; 4-byte Folded Reload
	s_waitcnt vmcnt(0)
	v_add_co_u32_e64 v6, s[0:1], v106, v6
	v_addc_co_u32_e64 v7, s[0:1], 0, v107, s[0:1]
	global_load_dwordx4 v[122:125], v[6:7], off
	s_and_saveexec_b64 s[10:11], vcc
	s_cbranch_execz .LBB62_101
; %bb.100:                              ;   in Loop: Header=BB62_43 Depth=1
	v_cmp_gt_i32_e64 s[0:1], s27, v24
	s_waitcnt vmcnt(0)
	v_cndmask_b32_e64 v122, 0, v122, s[0:1]
	v_cmp_gt_i32_e64 s[0:1], s27, v15
	v_cndmask_b32_e64 v123, 0, v123, s[0:1]
	v_cmp_gt_i32_e64 s[0:1], s27, v14
	v_cndmask_b32_e64 v124, 0, v124, s[0:1]
	v_cmp_gt_i32_e64 s[0:1], s27, v25
	v_cndmask_b32_e64 v125, 0, v125, s[0:1]
.LBB62_101:                             ;   in Loop: Header=BB62_43 Depth=1
	s_or_b64 exec, exec, s[10:11]
	buffer_load_dword v6, off, s[52:55], 0 offset:316 ; 4-byte Folded Reload
	s_waitcnt vmcnt(0)
	v_add_co_u32_e64 v6, s[0:1], v106, v6
	v_addc_co_u32_e64 v7, s[0:1], 0, v107, s[0:1]
	global_load_dwordx4 v[6:9], v[6:7], off
	s_and_saveexec_b64 s[10:11], vcc
	s_cbranch_execz .LBB62_103
; %bb.102:                              ;   in Loop: Header=BB62_43 Depth=1
	v_cmp_gt_i32_e64 s[0:1], s27, v24
	s_waitcnt vmcnt(0)
	v_cndmask_b32_e64 v6, 0, v6, s[0:1]
	v_cmp_gt_i32_e64 s[0:1], s27, v15
	v_cndmask_b32_e64 v7, 0, v7, s[0:1]
	v_cmp_gt_i32_e64 s[0:1], s27, v14
	v_cndmask_b32_e64 v8, 0, v8, s[0:1]
	v_cmp_gt_i32_e64 s[0:1], s27, v25
	v_cndmask_b32_e64 v9, 0, v9, s[0:1]
.LBB62_103:                             ;   in Loop: Header=BB62_43 Depth=1
	;; [unrolled: 19-line block ×3, first 2 shown]
	s_or_b64 exec, exec, s[10:11]
	buffer_load_dword v108, off, s[52:55], 0 offset:324 ; 4-byte Folded Reload
	s_waitcnt vmcnt(0)
	v_add_co_u32_e64 v106, s[0:1], v106, v108
	v_addc_co_u32_e64 v107, s[0:1], 0, v107, s[0:1]
	global_load_dwordx4 v[106:109], v[106:107], off
	s_and_saveexec_b64 s[0:1], vcc
	s_cbranch_execz .LBB62_42
; %bb.106:                              ;   in Loop: Header=BB62_43 Depth=1
	v_cmp_gt_i32_e32 vcc, s27, v24
	s_waitcnt vmcnt(0)
	v_cndmask_b32_e32 v106, 0, v106, vcc
	v_cmp_gt_i32_e32 vcc, s27, v15
	v_cndmask_b32_e32 v107, 0, v107, vcc
	v_cmp_gt_i32_e32 vcc, s27, v14
	;; [unrolled: 2-line block ×3, first 2 shown]
	v_cndmask_b32_e32 v109, 0, v109, vcc
	s_branch .LBB62_42
.LBB62_107:
	s_or_b64 exec, exec, s[6:7]
	buffer_load_dword v46, off, s[52:55], 0 offset:332 ; 4-byte Folded Reload
	buffer_load_dword v47, off, s[52:55], 0 offset:340 ; 4-byte Folded Reload
	;; [unrolled: 1-line block ×25, first 2 shown]
.LBB62_108:
	s_or_b64 exec, exec, s[4:5]
	s_waitcnt vmcnt(21)
	ds_bpermute_b32 v2, v37, v0
	ds_bpermute_b32 v3, v37, v1
	;; [unrolled: 1-line block ×6, first 2 shown]
	s_waitcnt lgkmcnt(4)
	v_pk_add_f32 v[0:1], v[0:1], v[2:3]
	ds_bpermute_b32 v2, v45, v0
	s_waitcnt lgkmcnt(3)
	v_pk_add_f32 v[4:5], v[126:127], v[4:5]
	ds_bpermute_b32 v3, v45, v1
	ds_bpermute_b32 v6, v45, v4
	;; [unrolled: 1-line block ×5, first 2 shown]
	s_waitcnt lgkmcnt(4)
	v_pk_add_f32 v[0:1], v[0:1], v[2:3]
	s_waitcnt vmcnt(20)
	ds_bpermute_b32 v2, v48, v0
	s_waitcnt lgkmcnt(3)
	v_pk_add_f32 v[6:7], v[4:5], v[6:7]
	v_pk_add_f32 v[4:5], v[20:21], v[8:9]
	s_waitcnt lgkmcnt(1)
	v_pk_add_f32 v[12:13], v[18:19], v[12:13]
	ds_bpermute_b32 v3, v48, v1
	ds_bpermute_b32 v8, v45, v4
	ds_bpermute_b32 v9, v45, v5
	ds_bpermute_b32 v10, v48, v6
	ds_bpermute_b32 v11, v48, v7
	ds_bpermute_b32 v18, v45, v12
	ds_bpermute_b32 v19, v45, v13
	s_waitcnt lgkmcnt(4)
	v_pk_add_f32 v[8:9], v[4:5], v[8:9]
	v_pk_add_f32 v[4:5], v[0:1], v[2:3]
	s_waitcnt lgkmcnt(2)
	v_pk_add_f32 v[2:3], v[6:7], v[10:11]
	ds_bpermute_b32 v14, v48, v8
	s_waitcnt lgkmcnt(1)
	v_pk_add_f32 v[6:7], v[12:13], v[18:19]
	s_waitcnt vmcnt(1)
	ds_bpermute_b32 v12, v37, v50
	s_waitcnt vmcnt(0)
	ds_bpermute_b32 v13, v37, v51
	ds_bpermute_b32 v15, v48, v9
	ds_bpermute_b32 v18, v37, v22
	ds_bpermute_b32 v19, v37, v23
	ds_bpermute_b32 v10, v48, v6
	s_waitcnt lgkmcnt(4)
	v_pk_add_f32 v[12:13], v[50:51], v[12:13]
	buffer_load_dword v50, off, s[52:55], 0 offset:80 ; 4-byte Folded Reload
	buffer_load_dword v51, off, s[52:55], 0 offset:84 ; 4-byte Folded Reload
	s_waitcnt lgkmcnt(3)
	v_pk_add_f32 v[0:1], v[8:9], v[14:15]
	ds_bpermute_b32 v8, v37, v16
	ds_bpermute_b32 v9, v37, v17
	;; [unrolled: 1-line block ×3, first 2 shown]
	s_waitcnt lgkmcnt(0)
	s_barrier
	v_pk_add_f32 v[8:9], v[16:17], v[8:9]
	ds_bpermute_b32 v14, v45, v8
	ds_bpermute_b32 v15, v45, v9
	;; [unrolled: 1-line block ×4, first 2 shown]
	s_waitcnt lgkmcnt(2)
	v_pk_add_f32 v[8:9], v[8:9], v[14:15]
	ds_bpermute_b32 v14, v48, v8
	s_waitcnt lgkmcnt(1)
	v_pk_add_f32 v[16:17], v[12:13], v[16:17]
	v_pk_add_f32 v[12:13], v[22:23], v[18:19]
	ds_bpermute_b32 v15, v48, v9
	ds_bpermute_b32 v18, v45, v12
	;; [unrolled: 1-line block ×7, first 2 shown]
	s_waitcnt lgkmcnt(4)
	v_pk_add_f32 v[18:19], v[12:13], v[18:19]
	v_pk_add_f32 v[12:13], v[6:7], v[10:11]
	;; [unrolled: 1-line block ×3, first 2 shown]
	s_waitcnt lgkmcnt(1)
	v_pk_add_f32 v[22:23], v[26:27], v[22:23]
	s_waitcnt lgkmcnt(0)
	v_pk_add_f32 v[8:9], v[16:17], v[20:21]
	ds_bpermute_b32 v16, v37, v32
	ds_bpermute_b32 v17, v37, v33
	;; [unrolled: 1-line block ×8, first 2 shown]
	s_waitcnt lgkmcnt(6)
	v_pk_add_f32 v[16:17], v[32:33], v[16:17]
	s_waitcnt lgkmcnt(4)
	v_pk_add_f32 v[20:21], v[30:31], v[20:21]
	;; [unrolled: 2-line block ×3, first 2 shown]
	ds_bpermute_b32 v24, v45, v20
	s_waitcnt lgkmcnt(1)
	v_pk_add_f32 v[14:15], v[22:23], v[26:27]
	ds_bpermute_b32 v22, v45, v16
	ds_bpermute_b32 v23, v45, v17
	;; [unrolled: 1-line block ×6, first 2 shown]
	s_waitcnt lgkmcnt(4)
	v_pk_add_f32 v[16:17], v[16:17], v[22:23]
	s_waitcnt lgkmcnt(3)
	v_pk_add_f32 v[24:25], v[20:21], v[24:25]
	ds_bpermute_b32 v19, v48, v15
	s_waitcnt lgkmcnt(2)
	v_pk_add_f32 v[20:21], v[28:29], v[26:27]
	ds_bpermute_b32 v22, v48, v16
	ds_bpermute_b32 v23, v48, v17
	;; [unrolled: 1-line block ×8, first 2 shown]
	s_waitcnt lgkmcnt(4)
	v_pk_add_f32 v[26:27], v[20:21], v[26:27]
	v_pk_add_f32 v[20:21], v[14:15], v[18:19]
	;; [unrolled: 1-line block ×3, first 2 shown]
	s_waitcnt lgkmcnt(1)
	v_pk_add_f32 v[30:31], v[34:35], v[30:31]
	s_waitcnt lgkmcnt(0)
	v_pk_add_f32 v[16:17], v[24:25], v[28:29]
	ds_bpermute_b32 v28, v37, v40
	ds_bpermute_b32 v29, v37, v41
	;; [unrolled: 1-line block ×8, first 2 shown]
	s_waitcnt lgkmcnt(6)
	v_pk_add_f32 v[28:29], v[40:41], v[28:29]
	s_waitcnt lgkmcnt(4)
	v_pk_add_f32 v[14:15], v[26:27], v[32:33]
	;; [unrolled: 2-line block ×3, first 2 shown]
	ds_bpermute_b32 v32, v45, v28
	ds_bpermute_b32 v33, v45, v29
	;; [unrolled: 1-line block ×4, first 2 shown]
	s_waitcnt lgkmcnt(4)
	v_pk_add_f32 v[24:25], v[42:43], v[24:25]
	ds_bpermute_b32 v30, v45, v24
	ds_bpermute_b32 v31, v45, v25
	s_waitcnt lgkmcnt(4)
	v_pk_add_f32 v[32:33], v[28:29], v[32:33]
	s_waitcnt lgkmcnt(2)
	v_pk_add_f32 v[28:29], v[38:39], v[34:35]
	s_waitcnt vmcnt(1)
	ds_bpermute_b32 v38, v37, v50
	s_waitcnt vmcnt(0)
	ds_bpermute_b32 v39, v37, v51
	s_waitcnt lgkmcnt(2)
	v_pk_add_f32 v[24:25], v[24:25], v[30:31]
	ds_bpermute_b32 v34, v45, v28
	ds_bpermute_b32 v35, v45, v29
	;; [unrolled: 1-line block ×3, first 2 shown]
	s_waitcnt lgkmcnt(3)
	v_pk_add_f32 v[38:39], v[50:51], v[38:39]
	ds_bpermute_b32 v27, v48, v23
	ds_bpermute_b32 v30, v48, v24
	;; [unrolled: 1-line block ×7, first 2 shown]
	s_waitcnt lgkmcnt(8)
	v_pk_add_f32 v[40:41], v[28:29], v[34:35]
	ds_bpermute_b32 v42, v48, v40
	ds_bpermute_b32 v43, v48, v41
	s_waitcnt lgkmcnt(8)
	v_pk_add_f32 v[28:29], v[22:23], v[26:27]
	s_waitcnt lgkmcnt(6)
	v_pk_add_f32 v[26:27], v[24:25], v[30:31]
	;; [unrolled: 2-line block ×4, first 2 shown]
	ds_bpermute_b32 v32, v48, v30
	ds_bpermute_b32 v33, v48, v31
	v_and_b32_e32 v24, 0x3c7, v46
	s_waitcnt lgkmcnt(2)
	v_pk_add_f32 v[22:23], v[40:41], v[42:43]
	v_cmp_ne_u32_e32 vcc, 64, v24
	s_and_saveexec_b64 s[0:1], vcc
	s_xor_b64 s[0:1], exec, s[0:1]
; %bb.109:
                                        ; implicit-def: $vgpr47
; %bb.110:
	s_or_saveexec_b64 s[0:1], s[0:1]
	s_waitcnt lgkmcnt(0)
	v_pk_add_f32 v[30:31], v[30:31], v[32:33]
	s_xor_b64 exec, exec, s[0:1]
	s_cbranch_execz .LBB62_112
; %bb.111:
	v_lshrrev_b32_e32 v25, 1, v47
	v_add_u32_e32 v25, 0x410, v25
	ds_write2_b32 v25, v4, v5 offset1:8
	ds_write2_b32 v25, v2, v3 offset0:16 offset1:24
	ds_write2_b32 v25, v0, v1 offset0:32 offset1:40
	;; [unrolled: 1-line block ×15, first 2 shown]
.LBB62_112:
	s_or_b64 exec, exec, s[0:1]
	v_cmp_gt_u32_e32 vcc, 64, v46
	s_waitcnt lgkmcnt(0)
	s_barrier
	s_and_saveexec_b64 s[0:1], vcc
	s_cbranch_execz .LBB62_147
; %bb.113:
	buffer_load_dword v25, off, s[52:55], 0 offset:336 ; 4-byte Folded Reload
	s_waitcnt vmcnt(0)
	v_cmp_eq_u32_e32 vcc, 0, v25
	v_lshrrev_b32_e32 v25, 3, v46
	s_and_saveexec_b64 s[4:5], vcc
	s_cbranch_execnz .LBB62_150
; %bb.114:
	s_or_b64 exec, exec, s[4:5]
	s_and_saveexec_b64 s[4:5], vcc
	s_cbranch_execnz .LBB62_151
.LBB62_115:
	s_or_b64 exec, exec, s[4:5]
	s_and_saveexec_b64 s[4:5], vcc
	s_cbranch_execnz .LBB62_152
.LBB62_116:
	s_or_b64 exec, exec, s[4:5]
	s_and_saveexec_b64 s[4:5], vcc
	s_cbranch_execnz .LBB62_153
.LBB62_117:
	s_or_b64 exec, exec, s[4:5]
	s_and_saveexec_b64 s[4:5], vcc
	s_cbranch_execnz .LBB62_154
.LBB62_118:
	s_or_b64 exec, exec, s[4:5]
	s_and_saveexec_b64 s[4:5], vcc
	s_cbranch_execnz .LBB62_155
.LBB62_119:
	s_or_b64 exec, exec, s[4:5]
	s_and_saveexec_b64 s[4:5], vcc
	s_cbranch_execnz .LBB62_156
.LBB62_120:
	s_or_b64 exec, exec, s[4:5]
	s_and_saveexec_b64 s[4:5], vcc
	s_cbranch_execnz .LBB62_157
.LBB62_121:
	s_or_b64 exec, exec, s[4:5]
	s_and_saveexec_b64 s[4:5], vcc
	s_cbranch_execnz .LBB62_158
.LBB62_122:
	s_or_b64 exec, exec, s[4:5]
	s_and_saveexec_b64 s[4:5], vcc
	s_cbranch_execnz .LBB62_159
.LBB62_123:
	s_or_b64 exec, exec, s[4:5]
	s_and_saveexec_b64 s[4:5], vcc
	s_cbranch_execnz .LBB62_160
.LBB62_124:
	s_or_b64 exec, exec, s[4:5]
	s_and_saveexec_b64 s[4:5], vcc
	s_cbranch_execnz .LBB62_161
.LBB62_125:
	s_or_b64 exec, exec, s[4:5]
	s_and_saveexec_b64 s[4:5], vcc
	s_cbranch_execnz .LBB62_162
.LBB62_126:
	s_or_b64 exec, exec, s[4:5]
	s_and_saveexec_b64 s[4:5], vcc
	s_cbranch_execnz .LBB62_163
.LBB62_127:
	s_or_b64 exec, exec, s[4:5]
	s_and_saveexec_b64 s[4:5], vcc
	s_cbranch_execnz .LBB62_164
.LBB62_128:
	s_or_b64 exec, exec, s[4:5]
	s_and_saveexec_b64 s[4:5], vcc
	s_cbranch_execnz .LBB62_165
.LBB62_129:
	s_or_b64 exec, exec, s[4:5]
	s_and_saveexec_b64 s[4:5], vcc
	s_cbranch_execnz .LBB62_166
.LBB62_130:
	s_or_b64 exec, exec, s[4:5]
	s_and_saveexec_b64 s[4:5], vcc
	s_cbranch_execnz .LBB62_167
.LBB62_131:
	s_or_b64 exec, exec, s[4:5]
	s_and_saveexec_b64 s[4:5], vcc
	s_cbranch_execnz .LBB62_168
.LBB62_132:
	s_or_b64 exec, exec, s[4:5]
	s_and_saveexec_b64 s[4:5], vcc
	s_cbranch_execnz .LBB62_169
.LBB62_133:
	s_or_b64 exec, exec, s[4:5]
	s_and_saveexec_b64 s[4:5], vcc
	s_cbranch_execnz .LBB62_170
.LBB62_134:
	s_or_b64 exec, exec, s[4:5]
	s_and_saveexec_b64 s[4:5], vcc
	s_cbranch_execnz .LBB62_171
.LBB62_135:
	s_or_b64 exec, exec, s[4:5]
	s_and_saveexec_b64 s[4:5], vcc
	s_cbranch_execnz .LBB62_172
.LBB62_136:
	s_or_b64 exec, exec, s[4:5]
	s_and_saveexec_b64 s[4:5], vcc
	s_cbranch_execnz .LBB62_173
.LBB62_137:
	s_or_b64 exec, exec, s[4:5]
	s_and_saveexec_b64 s[4:5], vcc
	s_cbranch_execnz .LBB62_174
.LBB62_138:
	s_or_b64 exec, exec, s[4:5]
	s_and_saveexec_b64 s[4:5], vcc
	s_cbranch_execnz .LBB62_175
.LBB62_139:
	s_or_b64 exec, exec, s[4:5]
	s_and_saveexec_b64 s[4:5], vcc
	s_cbranch_execnz .LBB62_176
.LBB62_140:
	s_or_b64 exec, exec, s[4:5]
	s_and_saveexec_b64 s[4:5], vcc
	s_cbranch_execnz .LBB62_177
.LBB62_141:
	s_or_b64 exec, exec, s[4:5]
	s_and_saveexec_b64 s[4:5], vcc
	s_cbranch_execnz .LBB62_178
.LBB62_142:
	s_or_b64 exec, exec, s[4:5]
	s_and_saveexec_b64 s[4:5], vcc
	s_cbranch_execnz .LBB62_179
.LBB62_143:
	s_or_b64 exec, exec, s[4:5]
	s_and_saveexec_b64 s[4:5], vcc
	s_cbranch_execnz .LBB62_180
.LBB62_144:
	s_or_b64 exec, exec, s[4:5]
	s_and_saveexec_b64 s[4:5], vcc
	s_cbranch_execz .LBB62_146
.LBB62_145:
	v_mov_b32_e32 v32, 0x410
	v_lshl_add_u32 v25, v25, 2, v32
	ds_read_b32 v25, v25 offset:992
	s_waitcnt lgkmcnt(0)
	v_add_f32_e32 v31, v31, v25
.LBB62_146:
	s_or_b64 exec, exec, s[4:5]
.LBB62_147:
	s_or_b64 exec, exec, s[0:1]
	v_cmp_eq_u32_e32 vcc, 0, v24
	s_barrier
	s_and_saveexec_b64 s[0:1], vcc
	s_cbranch_execz .LBB62_149
; %bb.148:
	s_lshl_b32 s0, s2, 8
	s_ashr_i32 s1, s0, 31
	s_lshl_b64 s[0:1], s[0:1], 2
	s_add_u32 s2, s22, s0
	s_mul_i32 s0, s12, s20
	s_addc_u32 s3, s23, s1
	s_ashr_i32 s1, s0, 31
	s_lshl_b64 s[0:1], s[0:1], 2
	s_add_u32 s2, s2, s0
	s_addc_u32 s3, s3, s1
	s_lshl_b32 s0, s8, 8
	s_ashr_i32 s1, s0, 31
	s_lshl_b64 s[0:1], s[0:1], 2
	s_add_u32 s0, s2, s0
	s_addc_u32 s1, s3, s1
	v_lshrrev_b32_e32 v24, 1, v46
	global_store_dword v24, v4, s[0:1]
	global_store_dword v24, v5, s[0:1] offset:32
	global_store_dword v24, v2, s[0:1] offset:64
	;; [unrolled: 1-line block ×31, first 2 shown]
.LBB62_149:
	s_endpgm
.LBB62_150:
	v_mov_b32_e32 v32, 0x410
	v_lshl_add_u32 v32, v25, 2, v32
	ds_read_b32 v32, v32
	s_waitcnt lgkmcnt(0)
	v_add_f32_e32 v4, v4, v32
	s_or_b64 exec, exec, s[4:5]
	s_and_saveexec_b64 s[4:5], vcc
	s_cbranch_execz .LBB62_115
.LBB62_151:
	v_mov_b32_e32 v32, 0x410
	v_lshl_add_u32 v32, v25, 2, v32
	ds_read_b32 v32, v32 offset:32
	s_waitcnt lgkmcnt(0)
	v_add_f32_e32 v5, v5, v32
	s_or_b64 exec, exec, s[4:5]
	s_and_saveexec_b64 s[4:5], vcc
	s_cbranch_execz .LBB62_116
.LBB62_152:
	v_mov_b32_e32 v32, 0x410
	v_lshl_add_u32 v32, v25, 2, v32
	ds_read_b32 v32, v32 offset:64
	s_waitcnt lgkmcnt(0)
	v_add_f32_e32 v2, v2, v32
	s_or_b64 exec, exec, s[4:5]
	s_and_saveexec_b64 s[4:5], vcc
	s_cbranch_execz .LBB62_117
.LBB62_153:
	v_mov_b32_e32 v32, 0x410
	v_lshl_add_u32 v32, v25, 2, v32
	ds_read_b32 v32, v32 offset:96
	s_waitcnt lgkmcnt(0)
	v_add_f32_e32 v3, v3, v32
	s_or_b64 exec, exec, s[4:5]
	s_and_saveexec_b64 s[4:5], vcc
	s_cbranch_execz .LBB62_118
.LBB62_154:
	v_mov_b32_e32 v32, 0x410
	v_lshl_add_u32 v32, v25, 2, v32
	ds_read_b32 v32, v32 offset:128
	s_waitcnt lgkmcnt(0)
	v_add_f32_e32 v0, v0, v32
	s_or_b64 exec, exec, s[4:5]
	s_and_saveexec_b64 s[4:5], vcc
	s_cbranch_execz .LBB62_119
.LBB62_155:
	v_mov_b32_e32 v32, 0x410
	v_lshl_add_u32 v32, v25, 2, v32
	ds_read_b32 v32, v32 offset:160
	s_waitcnt lgkmcnt(0)
	v_add_f32_e32 v1, v1, v32
	s_or_b64 exec, exec, s[4:5]
	s_and_saveexec_b64 s[4:5], vcc
	s_cbranch_execz .LBB62_120
.LBB62_156:
	v_mov_b32_e32 v32, 0x410
	v_lshl_add_u32 v32, v25, 2, v32
	ds_read_b32 v32, v32 offset:192
	s_waitcnt lgkmcnt(0)
	v_add_f32_e32 v12, v12, v32
	s_or_b64 exec, exec, s[4:5]
	s_and_saveexec_b64 s[4:5], vcc
	s_cbranch_execz .LBB62_121
.LBB62_157:
	v_mov_b32_e32 v32, 0x410
	v_lshl_add_u32 v32, v25, 2, v32
	ds_read_b32 v32, v32 offset:224
	s_waitcnt lgkmcnt(0)
	v_add_f32_e32 v13, v13, v32
	s_or_b64 exec, exec, s[4:5]
	s_and_saveexec_b64 s[4:5], vcc
	s_cbranch_execz .LBB62_122
.LBB62_158:
	v_mov_b32_e32 v32, 0x410
	v_lshl_add_u32 v32, v25, 2, v32
	ds_read_b32 v32, v32 offset:256
	s_waitcnt lgkmcnt(0)
	v_add_f32_e32 v10, v10, v32
	s_or_b64 exec, exec, s[4:5]
	s_and_saveexec_b64 s[4:5], vcc
	s_cbranch_execz .LBB62_123
.LBB62_159:
	v_mov_b32_e32 v32, 0x410
	v_lshl_add_u32 v32, v25, 2, v32
	ds_read_b32 v32, v32 offset:288
	s_waitcnt lgkmcnt(0)
	v_add_f32_e32 v11, v11, v32
	s_or_b64 exec, exec, s[4:5]
	s_and_saveexec_b64 s[4:5], vcc
	s_cbranch_execz .LBB62_124
.LBB62_160:
	v_mov_b32_e32 v32, 0x410
	v_lshl_add_u32 v32, v25, 2, v32
	ds_read_b32 v32, v32 offset:320
	s_waitcnt lgkmcnt(0)
	v_add_f32_e32 v8, v8, v32
	s_or_b64 exec, exec, s[4:5]
	s_and_saveexec_b64 s[4:5], vcc
	s_cbranch_execz .LBB62_125
.LBB62_161:
	v_mov_b32_e32 v32, 0x410
	v_lshl_add_u32 v32, v25, 2, v32
	ds_read_b32 v32, v32 offset:352
	s_waitcnt lgkmcnt(0)
	v_add_f32_e32 v9, v9, v32
	s_or_b64 exec, exec, s[4:5]
	s_and_saveexec_b64 s[4:5], vcc
	s_cbranch_execz .LBB62_126
.LBB62_162:
	v_mov_b32_e32 v32, 0x410
	v_lshl_add_u32 v32, v25, 2, v32
	ds_read_b32 v32, v32 offset:384
	s_waitcnt lgkmcnt(0)
	v_add_f32_e32 v6, v6, v32
	s_or_b64 exec, exec, s[4:5]
	s_and_saveexec_b64 s[4:5], vcc
	s_cbranch_execz .LBB62_127
.LBB62_163:
	v_mov_b32_e32 v32, 0x410
	v_lshl_add_u32 v32, v25, 2, v32
	ds_read_b32 v32, v32 offset:416
	s_waitcnt lgkmcnt(0)
	v_add_f32_e32 v7, v7, v32
	s_or_b64 exec, exec, s[4:5]
	s_and_saveexec_b64 s[4:5], vcc
	s_cbranch_execz .LBB62_128
.LBB62_164:
	v_mov_b32_e32 v32, 0x410
	v_lshl_add_u32 v32, v25, 2, v32
	ds_read_b32 v32, v32 offset:448
	s_waitcnt lgkmcnt(0)
	v_add_f32_e32 v20, v20, v32
	s_or_b64 exec, exec, s[4:5]
	s_and_saveexec_b64 s[4:5], vcc
	s_cbranch_execz .LBB62_129
.LBB62_165:
	v_mov_b32_e32 v32, 0x410
	v_lshl_add_u32 v32, v25, 2, v32
	ds_read_b32 v32, v32 offset:480
	s_waitcnt lgkmcnt(0)
	v_add_f32_e32 v21, v21, v32
	s_or_b64 exec, exec, s[4:5]
	s_and_saveexec_b64 s[4:5], vcc
	s_cbranch_execz .LBB62_130
.LBB62_166:
	v_mov_b32_e32 v32, 0x410
	v_lshl_add_u32 v32, v25, 2, v32
	ds_read_b32 v32, v32 offset:512
	s_waitcnt lgkmcnt(0)
	v_add_f32_e32 v18, v18, v32
	s_or_b64 exec, exec, s[4:5]
	s_and_saveexec_b64 s[4:5], vcc
	s_cbranch_execz .LBB62_131
.LBB62_167:
	v_mov_b32_e32 v32, 0x410
	v_lshl_add_u32 v32, v25, 2, v32
	ds_read_b32 v32, v32 offset:544
	s_waitcnt lgkmcnt(0)
	v_add_f32_e32 v19, v19, v32
	s_or_b64 exec, exec, s[4:5]
	s_and_saveexec_b64 s[4:5], vcc
	s_cbranch_execz .LBB62_132
.LBB62_168:
	v_mov_b32_e32 v32, 0x410
	v_lshl_add_u32 v32, v25, 2, v32
	ds_read_b32 v32, v32 offset:576
	s_waitcnt lgkmcnt(0)
	v_add_f32_e32 v16, v16, v32
	s_or_b64 exec, exec, s[4:5]
	s_and_saveexec_b64 s[4:5], vcc
	s_cbranch_execz .LBB62_133
.LBB62_169:
	v_mov_b32_e32 v32, 0x410
	v_lshl_add_u32 v32, v25, 2, v32
	ds_read_b32 v32, v32 offset:608
	s_waitcnt lgkmcnt(0)
	v_add_f32_e32 v17, v17, v32
	s_or_b64 exec, exec, s[4:5]
	s_and_saveexec_b64 s[4:5], vcc
	s_cbranch_execz .LBB62_134
.LBB62_170:
	v_mov_b32_e32 v32, 0x410
	v_lshl_add_u32 v32, v25, 2, v32
	ds_read_b32 v32, v32 offset:640
	s_waitcnt lgkmcnt(0)
	v_add_f32_e32 v14, v14, v32
	s_or_b64 exec, exec, s[4:5]
	s_and_saveexec_b64 s[4:5], vcc
	s_cbranch_execz .LBB62_135
.LBB62_171:
	v_mov_b32_e32 v32, 0x410
	v_lshl_add_u32 v32, v25, 2, v32
	ds_read_b32 v32, v32 offset:672
	s_waitcnt lgkmcnt(0)
	v_add_f32_e32 v15, v15, v32
	s_or_b64 exec, exec, s[4:5]
	s_and_saveexec_b64 s[4:5], vcc
	s_cbranch_execz .LBB62_136
.LBB62_172:
	v_mov_b32_e32 v32, 0x410
	v_lshl_add_u32 v32, v25, 2, v32
	ds_read_b32 v32, v32 offset:704
	s_waitcnt lgkmcnt(0)
	v_add_f32_e32 v28, v28, v32
	s_or_b64 exec, exec, s[4:5]
	s_and_saveexec_b64 s[4:5], vcc
	s_cbranch_execz .LBB62_137
.LBB62_173:
	v_mov_b32_e32 v32, 0x410
	v_lshl_add_u32 v32, v25, 2, v32
	ds_read_b32 v32, v32 offset:736
	s_waitcnt lgkmcnt(0)
	v_add_f32_e32 v29, v29, v32
	s_or_b64 exec, exec, s[4:5]
	s_and_saveexec_b64 s[4:5], vcc
	s_cbranch_execz .LBB62_138
.LBB62_174:
	v_mov_b32_e32 v32, 0x410
	v_lshl_add_u32 v32, v25, 2, v32
	ds_read_b32 v32, v32 offset:768
	s_waitcnt lgkmcnt(0)
	v_add_f32_e32 v26, v26, v32
	s_or_b64 exec, exec, s[4:5]
	s_and_saveexec_b64 s[4:5], vcc
	s_cbranch_execz .LBB62_139
.LBB62_175:
	v_mov_b32_e32 v32, 0x410
	v_lshl_add_u32 v32, v25, 2, v32
	ds_read_b32 v32, v32 offset:800
	s_waitcnt lgkmcnt(0)
	v_add_f32_e32 v27, v27, v32
	s_or_b64 exec, exec, s[4:5]
	s_and_saveexec_b64 s[4:5], vcc
	s_cbranch_execz .LBB62_140
.LBB62_176:
	v_mov_b32_e32 v32, 0x410
	v_lshl_add_u32 v32, v25, 2, v32
	ds_read_b32 v32, v32 offset:832
	s_waitcnt lgkmcnt(0)
	v_add_f32_e32 v34, v34, v32
	s_or_b64 exec, exec, s[4:5]
	s_and_saveexec_b64 s[4:5], vcc
	s_cbranch_execz .LBB62_141
.LBB62_177:
	v_mov_b32_e32 v32, 0x410
	v_lshl_add_u32 v32, v25, 2, v32
	ds_read_b32 v32, v32 offset:864
	s_waitcnt lgkmcnt(0)
	v_add_f32_e32 v35, v35, v32
	s_or_b64 exec, exec, s[4:5]
	s_and_saveexec_b64 s[4:5], vcc
	s_cbranch_execz .LBB62_142
.LBB62_178:
	v_mov_b32_e32 v32, 0x410
	v_lshl_add_u32 v32, v25, 2, v32
	ds_read_b32 v32, v32 offset:896
	s_waitcnt lgkmcnt(0)
	v_add_f32_e32 v22, v22, v32
	s_or_b64 exec, exec, s[4:5]
	s_and_saveexec_b64 s[4:5], vcc
	s_cbranch_execz .LBB62_143
.LBB62_179:
	v_mov_b32_e32 v32, 0x410
	v_lshl_add_u32 v32, v25, 2, v32
	ds_read_b32 v32, v32 offset:928
	s_waitcnt lgkmcnt(0)
	v_add_f32_e32 v23, v23, v32
	s_or_b64 exec, exec, s[4:5]
	s_and_saveexec_b64 s[4:5], vcc
	s_cbranch_execz .LBB62_144
.LBB62_180:
	v_mov_b32_e32 v32, 0x410
	v_lshl_add_u32 v32, v25, 2, v32
	ds_read_b32 v32, v32 offset:960
	s_waitcnt lgkmcnt(0)
	v_add_f32_e32 v30, v30, v32
	s_or_b64 exec, exec, s[4:5]
	s_and_saveexec_b64 s[4:5], vcc
	s_cbranch_execnz .LBB62_145
	s_branch .LBB62_146
	.section	.rodata,"a",@progbits
	.p2align	6, 0x0
	.amdhsa_kernel _ZN4vllm25paged_attention_v2_kernelIffLi256ELi32ELi128ELNS_18Fp8KVCacheDataTypeE0ELb0ELi512EEEvPfS2_PT_PKS3_PKT0_S9_ifPKiSB_iPKfiiiSD_SD_iiiii
		.amdhsa_group_segment_fixed_size 1040
		.amdhsa_private_segment_fixed_size 360
		.amdhsa_kernarg_size 400
		.amdhsa_user_sgpr_count 6
		.amdhsa_user_sgpr_private_segment_buffer 1
		.amdhsa_user_sgpr_dispatch_ptr 0
		.amdhsa_user_sgpr_queue_ptr 0
		.amdhsa_user_sgpr_kernarg_segment_ptr 1
		.amdhsa_user_sgpr_dispatch_id 0
		.amdhsa_user_sgpr_flat_scratch_init 0
		.amdhsa_user_sgpr_kernarg_preload_length 0
		.amdhsa_user_sgpr_kernarg_preload_offset 0
		.amdhsa_user_sgpr_private_segment_size 0
		.amdhsa_uses_dynamic_stack 0
		.amdhsa_system_sgpr_private_segment_wavefront_offset 1
		.amdhsa_system_sgpr_workgroup_id_x 1
		.amdhsa_system_sgpr_workgroup_id_y 1
		.amdhsa_system_sgpr_workgroup_id_z 1
		.amdhsa_system_sgpr_workgroup_info 0
		.amdhsa_system_vgpr_workitem_id 0
		.amdhsa_next_free_vgpr 128
		.amdhsa_next_free_sgpr 56
		.amdhsa_accum_offset 128
		.amdhsa_reserve_vcc 1
		.amdhsa_reserve_flat_scratch 0
		.amdhsa_float_round_mode_32 0
		.amdhsa_float_round_mode_16_64 0
		.amdhsa_float_denorm_mode_32 3
		.amdhsa_float_denorm_mode_16_64 3
		.amdhsa_dx10_clamp 1
		.amdhsa_ieee_mode 1
		.amdhsa_fp16_overflow 0
		.amdhsa_tg_split 0
		.amdhsa_exception_fp_ieee_invalid_op 0
		.amdhsa_exception_fp_denorm_src 0
		.amdhsa_exception_fp_ieee_div_zero 0
		.amdhsa_exception_fp_ieee_overflow 0
		.amdhsa_exception_fp_ieee_underflow 0
		.amdhsa_exception_fp_ieee_inexact 0
		.amdhsa_exception_int_div_zero 0
	.end_amdhsa_kernel
	.section	.text._ZN4vllm25paged_attention_v2_kernelIffLi256ELi32ELi128ELNS_18Fp8KVCacheDataTypeE0ELb0ELi512EEEvPfS2_PT_PKS3_PKT0_S9_ifPKiSB_iPKfiiiSD_SD_iiiii,"axG",@progbits,_ZN4vllm25paged_attention_v2_kernelIffLi256ELi32ELi128ELNS_18Fp8KVCacheDataTypeE0ELb0ELi512EEEvPfS2_PT_PKS3_PKT0_S9_ifPKiSB_iPKfiiiSD_SD_iiiii,comdat
.Lfunc_end62:
	.size	_ZN4vllm25paged_attention_v2_kernelIffLi256ELi32ELi128ELNS_18Fp8KVCacheDataTypeE0ELb0ELi512EEEvPfS2_PT_PKS3_PKT0_S9_ifPKiSB_iPKfiiiSD_SD_iiiii, .Lfunc_end62-_ZN4vllm25paged_attention_v2_kernelIffLi256ELi32ELi128ELNS_18Fp8KVCacheDataTypeE0ELb0ELi512EEEvPfS2_PT_PKS3_PKT0_S9_ifPKiSB_iPKfiiiSD_SD_iiiii
                                        ; -- End function
	.section	.AMDGPU.csdata,"",@progbits
; Kernel info:
; codeLenInByte = 15788
; NumSgprs: 60
; NumVgprs: 128
; NumAgprs: 0
; TotalNumVgprs: 128
; ScratchSize: 360
; MemoryBound: 0
; FloatMode: 240
; IeeeMode: 1
; LDSByteSize: 1040 bytes/workgroup (compile time only)
; SGPRBlocks: 7
; VGPRBlocks: 15
; NumSGPRsForWavesPerEU: 60
; NumVGPRsForWavesPerEU: 128
; AccumOffset: 128
; Occupancy: 4
; WaveLimiterHint : 1
; COMPUTE_PGM_RSRC2:SCRATCH_EN: 1
; COMPUTE_PGM_RSRC2:USER_SGPR: 6
; COMPUTE_PGM_RSRC2:TRAP_HANDLER: 0
; COMPUTE_PGM_RSRC2:TGID_X_EN: 1
; COMPUTE_PGM_RSRC2:TGID_Y_EN: 1
; COMPUTE_PGM_RSRC2:TGID_Z_EN: 1
; COMPUTE_PGM_RSRC2:TIDIG_COMP_CNT: 0
; COMPUTE_PGM_RSRC3_GFX90A:ACCUM_OFFSET: 31
; COMPUTE_PGM_RSRC3_GFX90A:TG_SPLIT: 0
	.section	.text._ZN4vllm25paged_attention_v2_kernelIttLi32ELi8ELi128ELNS_18Fp8KVCacheDataTypeE0ELb1ELi512EEEvPfS2_PT_PKS3_PKT0_S9_ifPKiSB_iPKfiiiSD_SD_iiiii,"axG",@progbits,_ZN4vllm25paged_attention_v2_kernelIttLi32ELi8ELi128ELNS_18Fp8KVCacheDataTypeE0ELb1ELi512EEEvPfS2_PT_PKS3_PKT0_S9_ifPKiSB_iPKfiiiSD_SD_iiiii,comdat
	.protected	_ZN4vllm25paged_attention_v2_kernelIttLi32ELi8ELi128ELNS_18Fp8KVCacheDataTypeE0ELb1ELi512EEEvPfS2_PT_PKS3_PKT0_S9_ifPKiSB_iPKfiiiSD_SD_iiiii ; -- Begin function _ZN4vllm25paged_attention_v2_kernelIttLi32ELi8ELi128ELNS_18Fp8KVCacheDataTypeE0ELb1ELi512EEEvPfS2_PT_PKS3_PKT0_S9_ifPKiSB_iPKfiiiSD_SD_iiiii
	.globl	_ZN4vllm25paged_attention_v2_kernelIttLi32ELi8ELi128ELNS_18Fp8KVCacheDataTypeE0ELb1ELi512EEEvPfS2_PT_PKS3_PKT0_S9_ifPKiSB_iPKfiiiSD_SD_iiiii
	.p2align	8
	.type	_ZN4vllm25paged_attention_v2_kernelIttLi32ELi8ELi128ELNS_18Fp8KVCacheDataTypeE0ELb1ELi512EEEvPfS2_PT_PKS3_PKT0_S9_ifPKiSB_iPKfiiiSD_SD_iiiii,@function
_ZN4vllm25paged_attention_v2_kernelIttLi32ELi8ELi128ELNS_18Fp8KVCacheDataTypeE0ELb1ELi512EEEvPfS2_PT_PKS3_PKT0_S9_ifPKiSB_iPKfiiiSD_SD_iiiii: ; @_ZN4vllm25paged_attention_v2_kernelIttLi32ELi8ELi128ELNS_18Fp8KVCacheDataTypeE0ELb1ELi512EEEvPfS2_PT_PKS3_PKT0_S9_ifPKiSB_iPKfiiiSD_SD_iiiii
; %bb.0:
	s_load_dwordx2 s[0:1], s[4:5], 0x40
	s_mov_b32 s28, s7
	s_ashr_i32 s29, s7, 31
	s_lshl_b64 s[2:3], s[28:29], 2
	s_waitcnt lgkmcnt(0)
	s_add_u32 s0, s0, s2
	s_addc_u32 s1, s1, s3
	s_load_dword s29, s[0:1], 0x0
	s_lshl_b32 s49, s8, 9
	s_waitcnt lgkmcnt(0)
	s_cmp_ge_i32 s49, s29
	s_cbranch_scc1 .LBB63_63
; %bb.1:
	s_load_dword s9, s[4:5], 0x90
	s_load_dwordx2 s[38:39], s[4:5], 0x30
	s_waitcnt lgkmcnt(0)
	s_abs_i32 s2, s9
	s_abs_i32 s0, s38
	v_cvt_f32_u32_e32 v1, s0
	s_sub_i32 s3, 0, s0
	s_xor_b32 s1, s9, s38
	s_ashr_i32 s1, s1, 31
	v_rcp_iflag_f32_e32 v1, v1
	v_mul_f32_e32 v1, 0x4f7ffffe, v1
	v_cvt_u32_f32_e32 v1, v1
	v_readfirstlane_b32 s7, v1
	s_mul_i32 s3, s3, s7
	s_mul_hi_u32 s3, s7, s3
	s_add_i32 s7, s7, s3
	s_mul_hi_u32 s3, s2, s7
	s_mul_i32 s7, s3, s0
	s_sub_i32 s2, s2, s7
	s_add_i32 s10, s3, 1
	s_sub_i32 s7, s2, s0
	s_cmp_ge_u32 s2, s0
	s_cselect_b32 s3, s10, s3
	s_cselect_b32 s2, s7, s2
	s_add_i32 s7, s3, 1
	s_cmp_ge_u32 s2, s0
	s_cselect_b32 s0, s7, s3
	s_xor_b32 s0, s0, s1
	s_sub_i32 s11, s0, s1
	s_abs_i32 s2, s11
	v_cvt_f32_u32_e32 v1, s2
	s_load_dwordx2 s[0:1], s[4:5], 0x50
	s_sub_i32 s10, 0, s2
	s_abs_i32 s3, s6
	v_rcp_iflag_f32_e32 v1, v1
	s_mov_b32 s7, 0
	v_mul_f32_e32 v1, 0x4f7ffffe, v1
	v_cvt_u32_f32_e32 v1, v1
	v_readfirstlane_b32 s12, v1
	s_mul_i32 s10, s10, s12
	s_mul_hi_u32 s10, s12, s10
	s_add_i32 s12, s12, s10
	s_waitcnt lgkmcnt(0)
	s_cmp_eq_u64 s[0:1], 0
	s_mul_hi_u32 s10, s3, s12
	s_cbranch_scc1 .LBB63_3
; %bb.2:
	s_ashr_i32 s7, s6, 31
	s_lshl_b64 s[12:13], s[6:7], 2
	s_add_u32 s0, s0, s12
	s_addc_u32 s1, s1, s13
	s_load_dword s7, s[0:1], 0x0
.LBB63_3:
	s_load_dwordx4 s[12:15], s[4:5], 0x58
	s_ashr_i32 s16, s6, 31
	s_ashr_i32 s11, s11, 31
	v_and_b32_e32 v2, 7, v0
	s_lshl_b32 s24, s6, 5
	v_cmp_gt_u32_e32 vcc, 32, v0
	s_and_saveexec_b64 s[0:1], vcc
	s_cbranch_execz .LBB63_5
; %bb.4:
	s_load_dwordx2 s[18:19], s[4:5], 0x18
	s_waitcnt lgkmcnt(0)
	s_mul_i32 s20, s28, s12
	s_ashr_i32 s21, s20, 31
	s_lshl_b64 s[20:21], s[20:21], 1
	v_lshlrev_b32_e32 v1, 1, v0
	s_add_u32 s12, s18, s20
	s_addc_u32 s15, s19, s21
	s_ashr_i32 s25, s24, 31
	s_lshl_b64 s[18:19], s[24:25], 1
	s_add_u32 s18, s12, s18
	s_addc_u32 s19, s15, s19
	global_load_ushort v1, v1, s[18:19]
	v_lshrrev_b32_e32 v3, 2, v0
	v_and_b32_e32 v3, 0xfe, v3
	v_lshl_add_u32 v3, v2, 3, v3
	s_waitcnt vmcnt(0)
	ds_write_b16 v3, v1
.LBB63_5:
	s_or_b64 exec, exec, s[0:1]
	s_mul_i32 s1, s10, s2
	s_sub_i32 s1, s3, s1
	s_xor_b32 s0, s16, s11
	s_add_i32 s3, s10, 1
	s_sub_i32 s11, s1, s2
	s_load_dwordx4 s[16:19], s[4:5], 0x78
	s_cmp_ge_u32 s1, s2
	s_cselect_b32 s3, s3, s10
	s_cselect_b32 s1, s11, s1
	s_load_dword s11, s[4:5], 0x88
	s_add_i32 s10, s3, 1
	s_cmp_ge_u32 s1, s2
	s_cselect_b32 s1, s10, s3
	s_waitcnt lgkmcnt(0)
	s_abs_i32 s25, s19
	v_cvt_f32_u32_e32 v1, s25
	s_xor_b32 s1, s1, s0
	s_sub_i32 s2, s1, s0
	s_sub_i32 s0, 0, s25
	v_rcp_iflag_f32_e32 v1, v1
	s_add_i32 s12, s29, -1
	s_abs_i32 s3, s12
	v_mul_f32_e32 v1, 0x4f7ffffe, v1
	v_cvt_u32_f32_e32 v1, v1
	s_barrier
	v_readfirstlane_b32 s33, v1
	s_mul_i32 s0, s0, s33
	s_mul_hi_u32 s0, s33, s0
	s_add_i32 s33, s33, s0
	s_cmp_lt_i32 s11, 0
	s_mul_hi_u32 s10, s3, s33
	s_cbranch_scc0 .LBB63_7
; %bb.6:
	s_mul_i32 s0, s16, s38
	s_add_i32 s0, s2, s0
	s_mul_i32 s0, s0, s11
	s_sub_i32 s46, 1, s0
	s_mov_b64 s[0:1], 0
	s_branch .LBB63_8
.LBB63_7:
	s_mov_b64 s[0:1], -1
                                        ; implicit-def: $sgpr46
.LBB63_8:
	s_load_dwordx2 s[30:31], s[4:5], 0x38
	s_ashr_i32 s12, s12, 31
	s_andn2_b64 vcc, exec, s[0:1]
	s_ashr_i32 s19, s19, 31
	s_cbranch_vccnz .LBB63_10
; %bb.9:
	s_mul_i32 s0, s9, s16
	s_add_i32 s0, s0, s6
	s_mul_i32 s0, s0, s11
	s_add_i32 s46, s0, 1
.LBB63_10:
	s_load_dword s0, s[4:5], 0x48
	s_load_dwordx2 s[36:37], s[4:5], 0x28
	s_load_dword s16, s[4:5], 0x98
	s_load_dwordx4 s[20:23], s[4:5], 0x0
	s_load_dwordx2 s[26:27], s[4:5], 0x10
	s_mul_i32 s1, s10, s25
	s_waitcnt lgkmcnt(0)
	s_mul_i32 s34, s28, s0
	s_sub_i32 s1, s3, s1
	s_ashr_i32 s35, s34, 31
	s_xor_b32 s0, s12, s19
	s_add_i32 s3, s10, 1
	s_sub_i32 s11, s1, s25
	s_cmp_ge_u32 s1, s25
	s_cselect_b32 s3, s3, s10
	s_cselect_b32 s1, s11, s1
	s_add_i32 s10, s3, 1
	s_cmp_ge_u32 s1, s25
	s_cselect_b32 s1, s10, s3
	s_xor_b32 s1, s1, s0
	s_sub_i32 s48, s1, s0
	s_add_i32 s0, s29, 7
	s_ashr_i32 s1, s0, 31
	s_lshr_b32 s1, s1, 29
	s_add_i32 s0, s0, s1
	s_lshl_b32 s38, s8, 6
	s_ashr_i32 s12, s0, 3
	s_add_i32 s0, s38, 64
	v_lshrrev_b32_e32 v4, 6, v0
	s_min_i32 s47, s0, s12
	v_or_b32_e32 v6, s38, v4
	v_cmp_gt_i32_e64 s[0:1], s47, v6
	v_mov_b32_e32 v13, 0xff7fffff
	s_mul_i32 s14, s2, s14
	v_ashrrev_i32_e32 v7, 31, v6
	v_lshl_add_u32 v1, v4, 3, s49
	v_mbcnt_lo_u32_b32 v5, -1, 0
	s_and_saveexec_b64 s[40:41], s[0:1]
	s_cbranch_execz .LBB63_20
; %bb.11:
	s_load_dwordx2 s[2:3], s[4:5], 0x20
	s_ashr_i32 s15, s14, 31
	s_sub_i32 s50, s48, s17
	s_lshl_b64 s[4:5], s[14:15], 1
	v_bfe_u32 v8, v0, 3, 3
	s_waitcnt lgkmcnt(0)
	s_add_u32 s2, s2, s4
	s_addc_u32 s3, s3, s5
	s_abs_i32 s15, s18
	v_cvt_f32_u32_e32 v10, s15
	v_lshlrev_b32_e32 v3, 4, v8
	v_mov_b32_e32 v9, s3
	v_add_co_u32_e64 v3, s[2:3], s2, v3
	v_rcp_iflag_f32_e32 v12, v10
	v_addc_co_u32_e64 v11, s[2:3], 0, v9, s[2:3]
	v_lshlrev_b32_e32 v9, 1, v2
	v_add_co_u32_e64 v9, s[2:3], v3, v9
	v_mul_f32_e32 v3, 0x4f7ffffe, v12
	v_cvt_u32_f32_e32 v3, v3
	s_sub_i32 s4, 0, s15
	v_cmp_eq_u32_e32 vcc, 0, v2
	v_addc_co_u32_e64 v10, s[2:3], 0, v11, s[2:3]
	v_lshlrev_b32_e32 v11, 3, v2
	v_mul_lo_u32 v2, s4, v3
	s_lshl_b64 s[4:5], s[34:35], 2
	v_mul_hi_u32 v2, v3, v2
	s_add_u32 s4, s30, s4
	v_add_u32_e32 v12, v3, v2
	v_lshlrev_b64 v[2:3], 2, v[6:7]
	s_addc_u32 s5, s31, s5
	v_mov_b32_e32 v13, s5
	v_add_co_u32_e64 v2, s[4:5], s4, v2
	v_addc_co_u32_e64 v3, s[4:5], v13, v3, s[4:5]
	v_lshlrev_b32_e32 v13, 2, v8
	v_lshl_or_b32 v13, v4, 5, v13
	v_add_u32_e32 v15, 0x50, v13
	v_subrev_u32_e32 v13, s29, v8
	v_mbcnt_hi_u32_b32 v18, -1, v5
	v_add_u32_e32 v16, 1, v13
	v_and_b32_e32 v13, 64, v18
	s_mov_b32 s51, s13
	v_cmp_neq_f32_e64 s[2:3], s7, 0
	v_lshl_add_u32 v14, v4, 3, s49
	s_mov_b64 s[42:43], 0
	v_mov_b32_e32 v17, 0xff7fffff
	v_add_u32_e32 v19, 64, v13
	v_xor_b32_e32 v20, 4, v18
	v_xor_b32_e32 v21, 2, v18
	;; [unrolled: 1-line block ×3, first 2 shown]
	v_mov_b32_e32 v13, 0xff7fffff
	v_mov_b32_e32 v23, v6
	s_branch .LBB63_14
.LBB63_12:                              ;   in Loop: Header=BB63_14 Depth=1
	s_or_b64 exec, exec, s[44:45]
.LBB63_13:                              ;   in Loop: Header=BB63_14 Depth=1
	s_or_b64 exec, exec, s[10:11]
	v_add_co_u32_e64 v2, s[4:5], 8, v2
	v_add_u32_e32 v23, 2, v23
	v_addc_co_u32_e64 v3, s[4:5], 0, v3, s[4:5]
	v_cmp_le_i32_e64 s[4:5], s47, v23
	v_add_u32_e32 v14, 16, v14
	s_or_b64 s[42:43], s[4:5], s[42:43]
	v_add_u32_e32 v15, 64, v15
	s_andn2_b64 exec, exec, s[42:43]
	s_cbranch_execz .LBB63_19
.LBB63_14:                              ; =>This Inner Loop Header: Depth=1
	s_waitcnt lgkmcnt(0)
	v_sub_u32_e32 v25, 0, v14
	v_max_i32_e32 v25, v14, v25
	v_mul_hi_u32 v26, v25, s33
	v_mul_lo_u32 v27, v26, s25
	v_sub_u32_e32 v25, v25, v27
	v_add_u32_e32 v27, 1, v26
	v_cmp_le_u32_e64 s[4:5], s25, v25
	v_cndmask_b32_e64 v26, v26, v27, s[4:5]
	v_subrev_u32_e32 v27, s25, v25
	v_cndmask_b32_e64 v25, v25, v27, s[4:5]
	v_ashrrev_i32_e32 v24, 31, v14
	v_add_u32_e32 v27, 1, v26
	v_cmp_le_u32_e64 s[4:5], s25, v25
	v_xor_b32_e32 v24, s19, v24
	v_cndmask_b32_e64 v25, v26, v27, s[4:5]
	v_xor_b32_e32 v25, v25, v24
	v_sub_u32_e32 v24, v25, v24
	v_add_u32_e32 v25, s46, v24
	v_sub_u32_e32 v27, 0, v25
	v_ashrrev_i32_e32 v26, 31, v25
	v_max_i32_e32 v25, v25, v27
	v_mul_hi_u32 v27, v25, v12
	v_mul_lo_u32 v27, v27, s15
	v_sub_u32_e32 v25, v25, v27
	v_subrev_u32_e32 v27, s15, v25
	v_cmp_le_u32_e64 s[4:5], s15, v25
	v_cndmask_b32_e64 v25, v25, v27, s[4:5]
	v_subrev_u32_e32 v27, s15, v25
	v_cmp_le_u32_e64 s[4:5], s15, v25
	v_cndmask_b32_e64 v25, v25, v27, s[4:5]
	v_xor_b32_e32 v25, v25, v26
	v_sub_u32_e32 v25, v25, v26
	v_cmp_ne_u32_e64 s[4:5], 0, v25
	v_cmp_ge_i32_e64 s[10:11], s50, v24
	s_and_b64 s[4:5], s[4:5], s[10:11]
	s_and_b64 s[44:45], vcc, s[4:5]
	s_and_saveexec_b64 s[10:11], s[44:45]
	s_cbranch_execz .LBB63_16
; %bb.15:                               ;   in Loop: Header=BB63_14 Depth=1
	ds_write_b32 v15, v17
.LBB63_16:                              ;   in Loop: Header=BB63_14 Depth=1
	s_or_b64 exec, exec, s[10:11]
	s_xor_b64 s[4:5], s[4:5], -1
	s_and_saveexec_b64 s[10:11], s[4:5]
	s_cbranch_execz .LBB63_13
; %bb.17:                               ;   in Loop: Header=BB63_14 Depth=1
	global_load_dword v24, v[2:3], off
	s_waitcnt vmcnt(0)
	v_mad_i64_i32 v[24:25], s[4:5], v24, s51, 0
	v_lshlrev_b64 v[24:25], 1, v[24:25]
	v_add_co_u32_e64 v24, s[4:5], v9, v24
	v_addc_co_u32_e64 v25, s[4:5], v10, v25, s[4:5]
	global_load_ushort v26, v[24:25], off
	global_load_ushort v27, v[24:25], off offset:128
	global_load_ushort v28, v[24:25], off offset:256
	s_nop 0
	global_load_ushort v24, v[24:25], off offset:384
	ds_read_u16 v25, v11
	s_waitcnt lgkmcnt(0)
	;;#ASMSTART
	v_cvt_f32_f16 v25, v25;
	;;#ASMEND
	v_cmp_lt_i32_e64 s[4:5], v20, v19
	v_cndmask_b32_e64 v31, v18, v20, s[4:5]
	v_lshlrev_b32_e32 v31, 2, v31
	v_cmp_lt_i32_e64 s[4:5], v21, v19
	s_waitcnt vmcnt(3)
	;;#ASMSTART
	v_cvt_f32_f16 v26, v26;
	;;#ASMEND
	ds_read_u16 v29, v11 offset:2
	s_waitcnt lgkmcnt(0)
	;;#ASMSTART
	v_cvt_f32_f16 v29, v29;
	;;#ASMEND
	s_waitcnt vmcnt(2)
	;;#ASMSTART
	v_cvt_f32_f16 v27, v27;
	;;#ASMEND
	v_mul_f32_e32 v27, v29, v27
	ds_read_u16 v30, v11 offset:4
	v_fmac_f32_e32 v27, v25, v26
	s_waitcnt lgkmcnt(0)
	;;#ASMSTART
	v_cvt_f32_f16 v30, v30;
	;;#ASMEND
	s_waitcnt vmcnt(1)
	;;#ASMSTART
	v_cvt_f32_f16 v28, v28;
	;;#ASMEND
	v_fmac_f32_e32 v27, v30, v28
	ds_read_u16 v32, v11 offset:6
	s_waitcnt lgkmcnt(0)
	;;#ASMSTART
	v_cvt_f32_f16 v25, v32;
	;;#ASMEND
	s_waitcnt vmcnt(0)
	;;#ASMSTART
	v_cvt_f32_f16 v24, v24;
	;;#ASMEND
	v_fmac_f32_e32 v27, v25, v24
	ds_bpermute_b32 v24, v31, v27
	v_cndmask_b32_e64 v25, v18, v21, s[4:5]
	v_lshlrev_b32_e32 v25, 2, v25
	v_cmp_lt_i32_e64 s[4:5], v22, v19
	v_cndmask_b32_e64 v26, v18, v22, s[4:5]
	s_waitcnt lgkmcnt(0)
	v_add_f32_e32 v24, v27, v24
	ds_bpermute_b32 v25, v25, v24
	s_waitcnt lgkmcnt(0)
	v_add_f32_e32 v24, v24, v25
	v_lshlrev_b32_e32 v25, 2, v26
	ds_bpermute_b32 v25, v25, v24
	s_and_saveexec_b64 s[44:45], vcc
	s_cbranch_execz .LBB63_12
; %bb.18:                               ;   in Loop: Header=BB63_14 Depth=1
	v_add_u32_e32 v26, v16, v14
	v_cvt_f32_i32_e32 v26, v26
	s_waitcnt lgkmcnt(0)
	v_add_f32_e32 v24, v24, v25
	v_add_u32_e32 v27, v8, v14
	v_cmp_gt_i32_e64 s[4:5], s29, v27
	v_mul_f32_e32 v25, s7, v26
	v_cndmask_b32_e64 v25, 0, v25, s[2:3]
	v_fmac_f32_e32 v25, s39, v24
	v_cndmask_b32_e64 v24, 0, v25, s[4:5]
	ds_write_b32 v15, v24
	v_max_f32_e32 v24, v13, v13
	v_max_f32_e32 v24, v24, v25
	v_cndmask_b32_e64 v13, v13, v24, s[4:5]
	s_branch .LBB63_12
.LBB63_19:
	s_or_b64 exec, exec, s[42:43]
.LBB63_20:
	s_or_b64 exec, exec, s[40:41]
	v_mbcnt_hi_u32_b32 v2, -1, v5
	v_and_b32_e32 v3, 64, v2
	v_add_u32_e32 v3, 64, v3
	v_xor_b32_e32 v5, 32, v2
	v_cmp_lt_i32_e32 vcc, v5, v3
	v_cndmask_b32_e32 v5, v2, v5, vcc
	v_lshlrev_b32_e32 v9, 2, v5
	ds_bpermute_b32 v5, v9, v13
	v_xor_b32_e32 v10, 16, v2
	v_max_f32_e32 v8, v13, v13
	v_cmp_lt_i32_e32 vcc, v10, v3
	s_waitcnt lgkmcnt(0)
	v_max_f32_e32 v5, v5, v5
	v_max_f32_e32 v5, v8, v5
	v_cndmask_b32_e32 v8, v2, v10, vcc
	v_lshlrev_b32_e32 v12, 2, v8
	ds_bpermute_b32 v8, v12, v5
	v_xor_b32_e32 v10, 8, v2
	v_cmp_lt_i32_e32 vcc, v10, v3
	s_waitcnt lgkmcnt(0)
	v_max_f32_e32 v8, v8, v8
	v_max_f32_e32 v5, v5, v8
	v_cndmask_b32_e32 v8, v2, v10, vcc
	v_lshlrev_b32_e32 v13, 2, v8
	ds_bpermute_b32 v11, v13, v5
	v_and_b32_e32 v10, 63, v0
	v_cmp_eq_u32_e32 vcc, 0, v10
	v_lshlrev_b32_e32 v8, 2, v4
	s_and_saveexec_b64 s[2:3], vcc
	s_cbranch_execz .LBB63_22
; %bb.21:
	s_waitcnt lgkmcnt(0)
	v_max_f32_e32 v11, v11, v11
	v_max_f32_e32 v5, v5, v5
	;; [unrolled: 1-line block ×3, first 2 shown]
	ds_write_b32 v8, v5 offset:64
.LBB63_22:
	s_or_b64 exec, exec, s[2:3]
	v_cmp_gt_u32_e64 s[2:3], 2, v10
	v_mov_b32_e32 v5, 0xff7fffff
	s_waitcnt lgkmcnt(0)
	v_lshlrev_b32_e32 v11, 2, v10
	s_barrier
	s_and_saveexec_b64 s[4:5], s[2:3]
	s_cbranch_execz .LBB63_24
; %bb.23:
	ds_read_b32 v5, v11 offset:64
.LBB63_24:
	s_or_b64 exec, exec, s[4:5]
	v_xor_b32_e32 v14, 1, v2
	v_cmp_lt_i32_e64 s[4:5], v14, v3
	v_cndmask_b32_e64 v14, v2, v14, s[4:5]
	v_lshlrev_b32_e32 v14, 2, v14
	s_waitcnt lgkmcnt(0)
	ds_bpermute_b32 v15, v14, v5
	v_max_f32_e32 v5, v5, v5
	s_sub_i32 s4, s47, s38
	s_lshl_b32 s4, s4, 3
	s_add_i32 s4, s4, s49
	s_waitcnt lgkmcnt(0)
	v_max_f32_e32 v15, v15, v15
	v_max_f32_e32 v5, v5, v15
	v_lshlrev_b32_e32 v15, 2, v2
	v_and_b32_e32 v15, 0x100, v15
	ds_bpermute_b32 v5, v15, v5
	s_min_i32 s15, s4, s29
	s_sub_i32 s7, s15, s49
	v_cmp_gt_i32_e64 s[4:5], s7, v0
	v_mov_b32_e32 v16, 0
	s_and_saveexec_b64 s[38:39], s[4:5]
	s_cbranch_execz .LBB63_28
; %bb.25:
	v_mov_b32_e32 v16, 0x50
	v_lshl_add_u32 v17, v0, 2, v16
	s_mov_b64 s[40:41], 0
	v_mov_b32_e32 v16, 0
	v_mov_b32_e32 v18, v0
.LBB63_26:                              ; =>This Inner Loop Header: Depth=1
	ds_read_b32 v19, v17
	v_add_u32_e32 v18, 0x80, v18
	v_cmp_le_i32_e64 s[10:11], s7, v18
	s_or_b64 s[40:41], s[10:11], s[40:41]
	s_waitcnt lgkmcnt(0)
	v_sub_f32_e32 v19, v19, v5
	v_mul_f32_e32 v19, 0x3fb8aa3b, v19
	v_exp_f32_e32 v19, v19
	ds_write_b32 v17, v19
	v_add_f32_e32 v16, v16, v19
	v_add_u32_e32 v17, 0x200, v17
	s_andn2_b64 exec, exec, s[40:41]
	s_cbranch_execnz .LBB63_26
; %bb.27:
	s_or_b64 exec, exec, s[40:41]
.LBB63_28:
	s_or_b64 exec, exec, s[38:39]
	ds_bpermute_b32 v9, v9, v16
	s_waitcnt lgkmcnt(0)
	v_add_f32_e32 v9, v16, v9
	ds_bpermute_b32 v12, v12, v9
	s_waitcnt lgkmcnt(0)
	v_add_f32_e32 v9, v9, v12
	ds_bpermute_b32 v12, v13, v9
	v_xor_b32_e32 v13, 4, v2
	v_cmp_lt_i32_e64 s[10:11], v13, v3
	v_cndmask_b32_e64 v13, v2, v13, s[10:11]
	v_lshlrev_b32_e32 v13, 2, v13
	s_waitcnt lgkmcnt(0)
	v_add_f32_e32 v9, v9, v12
	ds_bpermute_b32 v12, v13, v9
	v_xor_b32_e32 v13, 2, v2
	v_cmp_lt_i32_e64 s[10:11], v13, v3
	v_cndmask_b32_e64 v2, v2, v13, s[10:11]
	v_lshlrev_b32_e32 v2, 2, v2
	s_waitcnt lgkmcnt(0)
	v_add_f32_e32 v3, v9, v12
	ds_bpermute_b32 v2, v2, v3
	s_waitcnt lgkmcnt(0)
	v_add_f32_e32 v2, v3, v2
	ds_bpermute_b32 v3, v14, v2
	s_waitcnt lgkmcnt(0)
	v_add_f32_e32 v2, v2, v3
	s_and_saveexec_b64 s[10:11], vcc
	s_cbranch_execz .LBB63_30
; %bb.29:
	ds_write_b32 v8, v2 offset:72
.LBB63_30:
	s_or_b64 exec, exec, s[10:11]
	s_waitcnt lgkmcnt(0)
	s_barrier
	s_and_saveexec_b64 s[10:11], s[2:3]
	s_cbranch_execz .LBB63_32
; %bb.31:
	ds_read_b32 v2, v11 offset:72
.LBB63_32:
	s_or_b64 exec, exec, s[10:11]
	s_waitcnt lgkmcnt(0)
	ds_bpermute_b32 v3, v14, v2
	s_waitcnt lgkmcnt(0)
	v_add_f32_e32 v2, v2, v3
	ds_bpermute_b32 v8, v15, v2
	s_and_saveexec_b64 s[2:3], s[4:5]
	s_cbranch_execz .LBB63_45
; %bb.33:
	s_waitcnt lgkmcnt(0)
	v_add_f32_e32 v2, 0x358637bd, v8
	v_div_scale_f32 v3, s[4:5], v2, v2, 1.0
	v_rcp_f32_e32 v9, v3
	v_div_scale_f32 v11, vcc, 1.0, v2, 1.0
	s_movk_i32 s4, 0x7f
	v_fma_f32 v12, -v3, v9, 1.0
	v_fmac_f32_e32 v9, v12, v9
	v_mul_f32_e32 v12, v11, v9
	v_fma_f32 v13, -v3, v12, v11
	v_fmac_f32_e32 v12, v13, v9
	v_fma_f32 v3, -v3, v12, v11
	v_div_fmas_f32 v3, v3, v9, v12
	v_div_fixup_f32 v2, v3, v2, 1.0
	v_xad_u32 v3, v0, -1, s15
	v_subrev_u32_e32 v9, s49, v3
	v_cmp_lt_u32_e32 vcc, s4, v9
	s_mov_b64 s[10:11], -1
	v_mov_b32_e32 v3, v0
	s_and_saveexec_b64 s[4:5], vcc
	s_cbranch_execz .LBB63_42
; %bb.34:
	v_lshrrev_b32_e32 v9, 7, v9
	v_add_u32_e32 v12, -1, v9
	v_lshrrev_b32_e32 v11, 1, v12
	v_mov_b32_e32 v3, v2
	v_add_u32_e32 v11, 1, v11
	v_cmp_lt_u32_e32 vcc, 13, v12
	v_mov_b32_e32 v14, 0
	s_and_saveexec_b64 s[10:11], vcc
	s_cbranch_execz .LBB63_38
; %bb.35:
	v_mov_b32_e32 v13, 0x50
	v_and_b32_e32 v12, -8, v11
	v_lshl_add_u32 v13, v0, 2, v13
	s_mov_b32 s15, 0
	s_mov_b64 s[38:39], 0
.LBB63_36:                              ; =>This Inner Loop Header: Depth=1
	ds_read2st64_b32 v[14:15], v13 offset1:2
	ds_read2st64_b32 v[16:17], v13 offset0:4 offset1:6
	ds_read2st64_b32 v[18:19], v13 offset0:8 offset1:10
	;; [unrolled: 1-line block ×3, first 2 shown]
	v_add_u32_e32 v12, -8, v12
	s_waitcnt lgkmcnt(3)
	v_pk_mul_f32 v[14:15], v[2:3], v[14:15]
	s_waitcnt lgkmcnt(2)
	v_pk_mul_f32 v[16:17], v[2:3], v[16:17]
	ds_write2st64_b32 v13, v14, v15 offset1:2
	ds_write2st64_b32 v13, v16, v17 offset0:4 offset1:6
	ds_read2st64_b32 v[16:17], v13 offset0:16 offset1:18
	s_waitcnt lgkmcnt(4)
	v_pk_mul_f32 v[14:15], v[2:3], v[18:19]
	ds_write2st64_b32 v13, v14, v15 offset0:8 offset1:10
	s_waitcnt lgkmcnt(4)
	v_pk_mul_f32 v[14:15], v[2:3], v[20:21]
	ds_write2st64_b32 v13, v14, v15 offset0:12 offset1:14
	ds_read2st64_b32 v[14:15], v13 offset0:20 offset1:22
	s_waitcnt lgkmcnt(3)
	v_pk_mul_f32 v[16:17], v[2:3], v[16:17]
	ds_read2st64_b32 v[18:19], v13 offset0:24 offset1:26
	ds_write2st64_b32 v13, v16, v17 offset0:16 offset1:18
	ds_read2st64_b32 v[16:17], v13 offset0:28 offset1:30
	s_waitcnt lgkmcnt(3)
	v_pk_mul_f32 v[14:15], v[2:3], v[14:15]
	ds_write2st64_b32 v13, v14, v15 offset0:20 offset1:22
	s_waitcnt lgkmcnt(3)
	v_pk_mul_f32 v[14:15], v[2:3], v[18:19]
	ds_write2st64_b32 v13, v14, v15 offset0:24 offset1:26
	s_waitcnt lgkmcnt(2)
	v_pk_mul_f32 v[14:15], v[2:3], v[16:17]
	s_add_i32 s15, s15, 16
	v_cmp_eq_u32_e32 vcc, 0, v12
	ds_write2st64_b32 v13, v14, v15 offset0:28 offset1:30
	v_add_u32_e32 v13, 0x2000, v13
	s_or_b64 s[38:39], vcc, s[38:39]
	v_mov_b32_e32 v14, s15
	s_andn2_b64 exec, exec, s[38:39]
	s_cbranch_execnz .LBB63_36
; %bb.37:
	s_or_b64 exec, exec, s[38:39]
.LBB63_38:
	s_or_b64 exec, exec, s[10:11]
	v_and_b32_e32 v11, 7, v11
	v_cmp_ne_u32_e32 vcc, 0, v11
	s_and_saveexec_b64 s[10:11], vcc
	s_cbranch_execz .LBB63_41
; %bb.39:
	v_lshlrev_b32_e32 v12, 9, v14
	v_lshlrev_b32_e32 v13, 2, v0
	s_movk_i32 s15, 0x50
	v_add3_u32 v12, v12, v13, s15
	s_mov_b64 s[38:39], 0
.LBB63_40:                              ; =>This Inner Loop Header: Depth=1
	ds_read2st64_b32 v[14:15], v12 offset1:2
	v_add_u32_e32 v11, -1, v11
	v_cmp_eq_u32_e32 vcc, 0, v11
	s_or_b64 s[38:39], vcc, s[38:39]
	s_waitcnt lgkmcnt(0)
	v_pk_mul_f32 v[14:15], v[2:3], v[14:15]
	ds_write2st64_b32 v12, v14, v15 offset1:2
	v_add_u32_e32 v12, 0x400, v12
	s_andn2_b64 exec, exec, s[38:39]
	s_cbranch_execnz .LBB63_40
.LBB63_41:
	s_or_b64 exec, exec, s[10:11]
	v_add_u32_e32 v9, 1, v9
	v_and_b32_e32 v11, 0x3fffffe, v9
	v_cmp_ne_u32_e32 vcc, v9, v11
	v_lshl_add_u32 v3, v11, 7, v0
	s_orn2_b64 s[10:11], vcc, exec
.LBB63_42:
	s_or_b64 exec, exec, s[4:5]
	s_and_b64 exec, exec, s[10:11]
	s_cbranch_execz .LBB63_45
; %bb.43:
	v_mov_b32_e32 v9, 0x50
	v_lshl_add_u32 v9, v3, 2, v9
	s_mov_b64 s[4:5], 0
.LBB63_44:                              ; =>This Inner Loop Header: Depth=1
	ds_read_b32 v11, v9
	v_add_u32_e32 v3, 0x80, v3
	v_cmp_le_i32_e32 vcc, s7, v3
	s_or_b64 s[4:5], vcc, s[4:5]
	s_waitcnt lgkmcnt(0)
	v_mul_f32_e32 v11, v2, v11
	ds_write_b32 v9, v11
	v_add_u32_e32 v9, 0x200, v9
	s_andn2_b64 exec, exec, s[4:5]
	s_cbranch_execnz .LBB63_44
.LBB63_45:
	s_or_b64 exec, exec, s[2:3]
	s_mul_i32 s2, s16, s28
	v_cmp_eq_u32_e32 vcc, 0, v0
	s_mul_i32 s4, s2, s9
	s_waitcnt lgkmcnt(0)
	s_barrier
	s_and_saveexec_b64 s[2:3], vcc
	s_cbranch_execz .LBB63_47
; %bb.46:
	s_ashr_i32 s5, s4, 31
	s_lshl_b64 s[10:11], s[4:5], 2
	s_add_u32 s5, s22, s10
	s_mul_i32 s6, s16, s6
	s_addc_u32 s9, s23, s11
	s_ashr_i32 s7, s6, 31
	s_lshl_b64 s[6:7], s[6:7], 2
	s_add_u32 s5, s5, s6
	s_addc_u32 s15, s9, s7
	s_ashr_i32 s9, s8, 31
	s_lshl_b64 s[22:23], s[8:9], 2
	s_add_u32 s38, s5, s22
	s_addc_u32 s39, s15, s23
	s_add_u32 s5, s20, s10
	s_addc_u32 s9, s21, s11
	;; [unrolled: 2-line block ×3, first 2 shown]
	s_add_u32 s6, s5, s22
	v_mov_b32_e32 v2, 0
	s_addc_u32 s7, s7, s23
	global_store_dword v2, v5, s[38:39]
	global_store_dword v2, v8, s[6:7]
.LBB63_47:
	s_or_b64 exec, exec, s[2:3]
	v_mov_b32_e32 v11, 0
	s_and_saveexec_b64 s[6:7], s[0:1]
	s_cbranch_execz .LBB63_57
; %bb.48:
	s_ashr_i32 s15, s14, 31
	s_sub_i32 s5, s48, s17
	s_lshl_b64 s[0:1], s[14:15], 1
	s_add_u32 s0, s36, s0
	s_addc_u32 s1, s37, s1
	v_lshlrev_b32_e32 v2, 4, v10
	s_abs_i32 s17, s18
	v_mov_b32_e32 v3, s1
	v_add_co_u32_e64 v12, s[0:1], s0, v2
	v_cvt_f32_u32_e32 v2, s17
	v_addc_co_u32_e64 v13, s[0:1], 0, v3, s[0:1]
	s_sub_i32 s0, 0, s17
	v_rcp_iflag_f32_e32 v2, v2
	s_add_i32 s18, s12, -1
	v_cmp_gt_u32_e32 vcc, 32, v10
	s_mov_b32 s9, s13
	v_mul_f32_e32 v2, 0x4f7ffffe, v2
	v_cvt_u32_f32_e32 v2, v2
	s_mov_b32 s20, s29
	s_mov_b32 s21, s29
	s_mov_b32 s22, s29
	v_mul_lo_u32 v3, s0, v2
	s_lshl_b64 s[0:1], s[34:35], 2
	v_mul_hi_u32 v3, v2, v3
	s_add_u32 s0, s30, s0
	v_add_u32_e32 v14, v2, v3
	v_lshlrev_b64 v[2:3], 2, v[6:7]
	s_addc_u32 s1, s31, s1
	v_mov_b32_e32 v5, s1
	v_add_co_u32_e64 v8, s[0:1], s0, v2
	v_mov_b32_e32 v2, 0x50
	s_mov_b32 s23, s29
	s_mov_b32 s28, s29
	;; [unrolled: 1-line block ×4, first 2 shown]
	v_addc_co_u32_e64 v9, s[0:1], v5, v3, s[0:1]
	v_lshl_add_u32 v7, v4, 5, v2
	s_mov_b64 s[10:11], 0
	v_mov_b32_e32 v11, 0
	s_mov_b32 s30, 0x5040100
	s_branch .LBB63_52
.LBB63_49:                              ;   in Loop: Header=BB63_52 Depth=1
	s_or_b64 exec, exec, s[14:15]
	v_and_b32_e32 v15, 0xffff, v15
	v_lshl_or_b32 v15, v16, 16, v15
	v_and_b32_e32 v16, 0xffff, v17
	v_lshl_or_b32 v16, v18, 16, v16
	v_and_b32_e32 v17, 0xffff, v19
	v_and_b32_e32 v18, 0xffff, v21
	s_waitcnt vmcnt(0)
	;;#ASMSTART
	v_pk_mul_f16 v2, v15, v2;

	;;#ASMEND
	v_lshl_or_b32 v17, v20, 16, v17
	v_lshl_or_b32 v18, v22, 16, v18
	;;#ASMSTART
	v_pk_mul_f16 v3, v16, v3;

	;;#ASMEND
	;;#ASMSTART
	v_pk_mul_f16 v4, v17, v4;

	;;#ASMEND
	;; [unrolled: 4-line block ×3, first 2 shown]
	;;#ASMSTART
	v_pk_add_f16 v2, v2, v3;

	;;#ASMEND
	;;#ASMSTART
	v_pk_add_f16 v2, v2, v4;

	;;#ASMEND
	;; [unrolled: 4-line block ×3, first 2 shown]
	v_lshrrev_b32_e32 v3, 16, v2
	v_and_b32_e32 v2, 0xffff, v2
	;;#ASMSTART
	v_cvt_f32_f16 v2, v2;
	;;#ASMEND
	;;#ASMSTART
	v_cvt_f32_f16 v3, v3;
	;;#ASMEND
	v_add_f32_e32 v2, v2, v3
	v_add_f32_e32 v11, v11, v2
.LBB63_50:                              ;   in Loop: Header=BB63_52 Depth=1
	s_or_b64 exec, exec, s[12:13]
.LBB63_51:                              ;   in Loop: Header=BB63_52 Depth=1
	s_or_b64 exec, exec, s[2:3]
	v_add_co_u32_e64 v8, s[0:1], 8, v8
	v_add_u32_e32 v6, 2, v6
	v_addc_co_u32_e64 v9, s[0:1], 0, v9, s[0:1]
	v_cmp_le_i32_e64 s[0:1], s47, v6
	v_add_u32_e32 v1, 16, v1
	s_or_b64 s[10:11], s[0:1], s[10:11]
	v_add_u32_e32 v7, 64, v7
	s_andn2_b64 exec, exec, s[10:11]
	s_cbranch_execz .LBB63_56
.LBB63_52:                              ; =>This Inner Loop Header: Depth=1
	v_sub_u32_e32 v3, 0, v1
	v_max_i32_e32 v3, v1, v3
	v_mul_hi_u32 v4, v3, s33
	v_mul_lo_u32 v5, v4, s25
	v_sub_u32_e32 v3, v3, v5
	v_add_u32_e32 v5, 1, v4
	v_cmp_le_u32_e64 s[0:1], s25, v3
	v_cndmask_b32_e64 v4, v4, v5, s[0:1]
	v_subrev_u32_e32 v5, s25, v3
	v_cndmask_b32_e64 v3, v3, v5, s[0:1]
	v_ashrrev_i32_e32 v2, 31, v1
	v_add_u32_e32 v5, 1, v4
	v_cmp_le_u32_e64 s[0:1], s25, v3
	v_xor_b32_e32 v2, s19, v2
	v_cndmask_b32_e64 v3, v4, v5, s[0:1]
	v_xor_b32_e32 v3, v3, v2
	v_sub_u32_e32 v2, v3, v2
	v_add_u32_e32 v3, s46, v2
	v_sub_u32_e32 v5, 0, v3
	v_ashrrev_i32_e32 v4, 31, v3
	v_max_i32_e32 v3, v3, v5
	v_mul_hi_u32 v5, v3, v14
	v_mul_lo_u32 v5, v5, s17
	v_sub_u32_e32 v3, v3, v5
	v_subrev_u32_e32 v5, s17, v3
	v_cmp_le_u32_e64 s[0:1], s17, v3
	v_cndmask_b32_e64 v3, v3, v5, s[0:1]
	v_subrev_u32_e32 v5, s17, v3
	v_cmp_le_u32_e64 s[0:1], s17, v3
	v_cndmask_b32_e64 v3, v3, v5, s[0:1]
	v_xor_b32_e32 v3, v3, v4
	v_sub_u32_e32 v3, v3, v4
	v_cmp_eq_u32_e64 s[0:1], 0, v3
	v_cmp_lt_i32_e64 s[2:3], s5, v2
	s_or_b64 s[0:1], s[0:1], s[2:3]
	s_and_saveexec_b64 s[2:3], s[0:1]
	s_cbranch_execz .LBB63_51
; %bb.53:                               ;   in Loop: Header=BB63_52 Depth=1
	ds_read2_b64 v[2:5], v7 offset1:1
	ds_read2_b64 v[20:23], v7 offset0:2 offset1:3
	s_waitcnt lgkmcnt(1)
	;;#ASMSTART
	v_cvt_f16_f32 v15, v2;

	;;#ASMEND
	;;#ASMSTART
	v_cvt_f16_f32 v16, v3;

	;;#ASMEND
	;;#ASMSTART
	v_cvt_f16_f32 v17, v4;

	;;#ASMEND
	;;#ASMSTART
	v_cvt_f16_f32 v18, v5;

	;;#ASMEND
	s_waitcnt lgkmcnt(0)
	;;#ASMSTART
	v_cvt_f16_f32 v19, v20;

	;;#ASMEND
	;;#ASMSTART
	v_cvt_f16_f32 v20, v21;

	;;#ASMEND
	;; [unrolled: 4-line block ×4, first 2 shown]
	s_and_saveexec_b64 s[12:13], vcc
	s_cbranch_execz .LBB63_50
; %bb.54:                               ;   in Loop: Header=BB63_52 Depth=1
	global_load_dword v2, v[8:9], off
	s_waitcnt vmcnt(0)
	v_mad_i64_i32 v[2:3], s[0:1], v2, s9, 0
	v_lshlrev_b64 v[2:3], 1, v[2:3]
	v_add_co_u32_e64 v2, s[0:1], v12, v2
	v_addc_co_u32_e64 v3, s[0:1], v13, v3, s[0:1]
	global_load_dwordx4 v[2:5], v[2:3], off
	v_cmp_eq_u32_e64 s[0:1], s18, v6
	s_and_saveexec_b64 s[14:15], s[0:1]
	s_cbranch_execz .LBB63_49
; %bb.55:                               ;   in Loop: Header=BB63_52 Depth=1
	v_or_b32_e32 v28, 7, v1
	v_or_b32_e32 v29, 6, v1
	s_waitcnt vmcnt(0)
	v_lshrrev_b32_e32 v30, 16, v5
	v_cmp_gt_i32_e64 s[0:1], s37, v28
	v_cndmask_b32_e64 v28, 0, v30, s[0:1]
	v_cmp_gt_i32_e64 s[0:1], s36, v29
	v_or_b32_e32 v26, 5, v1
	v_cndmask_b32_e64 v5, 0, v5, s[0:1]
	v_or_b32_e32 v27, 4, v1
	v_perm_b32 v5, v28, v5, s30
	v_lshrrev_b32_e32 v28, 16, v4
	v_cmp_gt_i32_e64 s[0:1], s28, v26
	v_cndmask_b32_e64 v26, 0, v28, s[0:1]
	v_cmp_gt_i32_e64 s[0:1], s23, v27
	v_or_b32_e32 v24, 3, v1
	v_cndmask_b32_e64 v4, 0, v4, s[0:1]
	v_or_b32_e32 v25, 2, v1
	v_perm_b32 v4, v26, v4, s30
	v_lshrrev_b32_e32 v26, 16, v3
	v_cmp_gt_i32_e64 s[0:1], s22, v24
	v_cndmask_b32_e64 v24, 0, v26, s[0:1]
	v_cmp_gt_i32_e64 s[0:1], s21, v25
	v_add_u32_e32 v23, 1, v1
	v_cndmask_b32_e64 v3, 0, v3, s[0:1]
	v_perm_b32 v3, v24, v3, s30
	v_lshrrev_b32_e32 v24, 16, v2
	v_cmp_gt_i32_e64 s[0:1], s20, v23
	v_cndmask_b32_e64 v23, 0, v24, s[0:1]
	v_cmp_gt_i32_e64 s[0:1], s29, v1
	v_cndmask_b32_e64 v2, 0, v2, s[0:1]
	v_perm_b32 v2, v23, v2, s30
	s_branch .LBB63_49
.LBB63_56:
	s_or_b64 exec, exec, s[10:11]
.LBB63_57:
	s_or_b64 exec, exec, s[6:7]
	v_and_b32_e32 v1, 0x3c0, v0
	v_cmp_eq_u32_e64 s[0:1], 64, v1
	v_cmp_gt_u32_e32 vcc, 32, v10
	s_and_b64 s[2:3], s[0:1], vcc
	s_barrier
	s_and_saveexec_b64 s[0:1], s[2:3]
	s_cbranch_execz .LBB63_59
; %bb.58:
	v_mov_b32_e32 v1, 0x50
	v_lshl_add_u32 v1, v10, 2, v1
	ds_write_b32 v1, v11
.LBB63_59:
	s_or_b64 exec, exec, s[0:1]
	v_cmp_gt_u32_e64 s[0:1], 64, v0
	s_and_b64 s[0:1], s[0:1], vcc
	s_waitcnt lgkmcnt(0)
	s_barrier
	s_and_saveexec_b64 s[2:3], s[0:1]
	s_cbranch_execz .LBB63_61
; %bb.60:
	v_mov_b32_e32 v0, 0x50
	v_lshl_add_u32 v0, v10, 2, v0
	ds_read_b32 v0, v0
	s_waitcnt lgkmcnt(0)
	v_add_f32_e32 v11, v11, v0
.LBB63_61:
	s_or_b64 exec, exec, s[2:3]
	s_barrier
	s_and_saveexec_b64 s[2:3], s[0:1]
	s_cbranch_execz .LBB63_63
; %bb.62:
	s_lshl_b32 s0, s4, 5
	s_ashr_i32 s1, s0, 31
	s_lshl_b64 s[0:1], s[0:1], 1
	s_add_u32 s2, s26, s0
	s_mul_i32 s0, s16, s24
	s_addc_u32 s3, s27, s1
	s_ashr_i32 s1, s0, 31
	s_lshl_b64 s[0:1], s[0:1], 1
	s_add_u32 s2, s2, s0
	s_addc_u32 s3, s3, s1
	s_lshl_b32 s0, s8, 5
	s_ashr_i32 s1, s0, 31
	s_lshl_b64 s[0:1], s[0:1], 1
	s_add_u32 s0, s2, s0
	s_addc_u32 s1, s3, s1
	v_lshlrev_b32_e32 v0, 1, v10
	;;#ASMSTART
	v_cvt_f16_f32 v1, v11;

	;;#ASMEND
	global_store_short v0, v1, s[0:1]
.LBB63_63:
	s_endpgm
	.section	.rodata,"a",@progbits
	.p2align	6, 0x0
	.amdhsa_kernel _ZN4vllm25paged_attention_v2_kernelIttLi32ELi8ELi128ELNS_18Fp8KVCacheDataTypeE0ELb1ELi512EEEvPfS2_PT_PKS3_PKT0_S9_ifPKiSB_iPKfiiiSD_SD_iiiii
		.amdhsa_group_segment_fixed_size 80
		.amdhsa_private_segment_fixed_size 0
		.amdhsa_kernarg_size 400
		.amdhsa_user_sgpr_count 6
		.amdhsa_user_sgpr_private_segment_buffer 1
		.amdhsa_user_sgpr_dispatch_ptr 0
		.amdhsa_user_sgpr_queue_ptr 0
		.amdhsa_user_sgpr_kernarg_segment_ptr 1
		.amdhsa_user_sgpr_dispatch_id 0
		.amdhsa_user_sgpr_flat_scratch_init 0
		.amdhsa_user_sgpr_kernarg_preload_length 0
		.amdhsa_user_sgpr_kernarg_preload_offset 0
		.amdhsa_user_sgpr_private_segment_size 0
		.amdhsa_uses_dynamic_stack 0
		.amdhsa_system_sgpr_private_segment_wavefront_offset 0
		.amdhsa_system_sgpr_workgroup_id_x 1
		.amdhsa_system_sgpr_workgroup_id_y 1
		.amdhsa_system_sgpr_workgroup_id_z 1
		.amdhsa_system_sgpr_workgroup_info 0
		.amdhsa_system_vgpr_workitem_id 0
		.amdhsa_next_free_vgpr 33
		.amdhsa_next_free_sgpr 52
		.amdhsa_accum_offset 36
		.amdhsa_reserve_vcc 1
		.amdhsa_reserve_flat_scratch 0
		.amdhsa_float_round_mode_32 0
		.amdhsa_float_round_mode_16_64 0
		.amdhsa_float_denorm_mode_32 3
		.amdhsa_float_denorm_mode_16_64 3
		.amdhsa_dx10_clamp 1
		.amdhsa_ieee_mode 1
		.amdhsa_fp16_overflow 0
		.amdhsa_tg_split 0
		.amdhsa_exception_fp_ieee_invalid_op 0
		.amdhsa_exception_fp_denorm_src 0
		.amdhsa_exception_fp_ieee_div_zero 0
		.amdhsa_exception_fp_ieee_overflow 0
		.amdhsa_exception_fp_ieee_underflow 0
		.amdhsa_exception_fp_ieee_inexact 0
		.amdhsa_exception_int_div_zero 0
	.end_amdhsa_kernel
	.section	.text._ZN4vllm25paged_attention_v2_kernelIttLi32ELi8ELi128ELNS_18Fp8KVCacheDataTypeE0ELb1ELi512EEEvPfS2_PT_PKS3_PKT0_S9_ifPKiSB_iPKfiiiSD_SD_iiiii,"axG",@progbits,_ZN4vllm25paged_attention_v2_kernelIttLi32ELi8ELi128ELNS_18Fp8KVCacheDataTypeE0ELb1ELi512EEEvPfS2_PT_PKS3_PKT0_S9_ifPKiSB_iPKfiiiSD_SD_iiiii,comdat
.Lfunc_end63:
	.size	_ZN4vllm25paged_attention_v2_kernelIttLi32ELi8ELi128ELNS_18Fp8KVCacheDataTypeE0ELb1ELi512EEEvPfS2_PT_PKS3_PKT0_S9_ifPKiSB_iPKfiiiSD_SD_iiiii, .Lfunc_end63-_ZN4vllm25paged_attention_v2_kernelIttLi32ELi8ELi128ELNS_18Fp8KVCacheDataTypeE0ELb1ELi512EEEvPfS2_PT_PKS3_PKT0_S9_ifPKiSB_iPKfiiiSD_SD_iiiii
                                        ; -- End function
	.section	.AMDGPU.csdata,"",@progbits
; Kernel info:
; codeLenInByte = 4536
; NumSgprs: 56
; NumVgprs: 33
; NumAgprs: 0
; TotalNumVgprs: 33
; ScratchSize: 0
; MemoryBound: 0
; FloatMode: 240
; IeeeMode: 1
; LDSByteSize: 80 bytes/workgroup (compile time only)
; SGPRBlocks: 6
; VGPRBlocks: 4
; NumSGPRsForWavesPerEU: 56
; NumVGPRsForWavesPerEU: 33
; AccumOffset: 36
; Occupancy: 8
; WaveLimiterHint : 1
; COMPUTE_PGM_RSRC2:SCRATCH_EN: 0
; COMPUTE_PGM_RSRC2:USER_SGPR: 6
; COMPUTE_PGM_RSRC2:TRAP_HANDLER: 0
; COMPUTE_PGM_RSRC2:TGID_X_EN: 1
; COMPUTE_PGM_RSRC2:TGID_Y_EN: 1
; COMPUTE_PGM_RSRC2:TGID_Z_EN: 1
; COMPUTE_PGM_RSRC2:TIDIG_COMP_CNT: 0
; COMPUTE_PGM_RSRC3_GFX90A:ACCUM_OFFSET: 8
; COMPUTE_PGM_RSRC3_GFX90A:TG_SPLIT: 0
	.section	.text._ZN4vllm32paged_attention_v2_reduce_kernelItLi32ELi128ELi512EEEvPT_PKfS4_PKS1_PKii,"axG",@progbits,_ZN4vllm32paged_attention_v2_reduce_kernelItLi32ELi128ELi512EEEvPT_PKfS4_PKS1_PKii,comdat
	.protected	_ZN4vllm32paged_attention_v2_reduce_kernelItLi32ELi128ELi512EEEvPT_PKfS4_PKS1_PKii ; -- Begin function _ZN4vllm32paged_attention_v2_reduce_kernelItLi32ELi128ELi512EEEvPT_PKfS4_PKS1_PKii
	.globl	_ZN4vllm32paged_attention_v2_reduce_kernelItLi32ELi128ELi512EEEvPT_PKfS4_PKS1_PKii
	.p2align	8
	.type	_ZN4vllm32paged_attention_v2_reduce_kernelItLi32ELi128ELi512EEEvPT_PKfS4_PKS1_PKii,@function
_ZN4vllm32paged_attention_v2_reduce_kernelItLi32ELi128ELi512EEEvPT_PKfS4_PKS1_PKii: ; @_ZN4vllm32paged_attention_v2_reduce_kernelItLi32ELi128ELi512EEEvPT_PKfS4_PKS1_PKii
; %bb.0:
	s_load_dwordx4 s[8:11], s[4:5], 0x18
	s_add_u32 s12, s4, 48
	s_mov_b32 s14, s7
	s_addc_u32 s13, s5, 0
	s_ashr_i32 s15, s7, 31
	s_lshl_b64 s[0:1], s[14:15], 2
	s_waitcnt lgkmcnt(0)
	s_add_u32 s0, s10, s0
	s_addc_u32 s1, s11, s1
	s_load_dword s24, s[0:1], 0x0
	s_load_dwordx2 s[10:11], s[4:5], 0x0
	s_load_dword s7, s[4:5], 0x28
	s_load_dword s15, s[4:5], 0x30
	s_waitcnt lgkmcnt(0)
	s_add_i32 s0, s24, -1
	s_cmpk_gt_u32 s0, 0x1ff
	s_mov_b64 s[0:1], -1
	s_cbranch_scc0 .LBB64_25
; %bb.1:
	s_add_i32 s0, s24, 0x1ff
	s_load_dwordx2 s[20:21], s[4:5], 0x8
	s_ashr_i32 s1, s0, 31
	s_lshr_b32 s1, s1, 23
	s_add_i32 s0, s0, s1
	s_mul_i32 s22, s15, s14
	s_ashr_i32 s23, s0, 9
	s_mul_i32 s16, s22, s7
	s_mul_i32 s18, s6, s7
	s_ashr_i32 s17, s16, 31
	s_ashr_i32 s19, s18, 31
	v_cmp_gt_i32_e32 vcc, s23, v0
	v_mov_b32_e32 v5, 0xff7fffff
	v_lshlrev_b32_e32 v1, 2, v0
	s_and_saveexec_b64 s[2:3], vcc
	s_cbranch_execz .LBB64_5
; %bb.2:
	s_load_dword s25, s[12:13], 0xc
	s_load_dwordx2 s[0:1], s[4:5], 0x10
	s_lshl_b64 s[4:5], s[16:17], 2
	s_lshl_b64 s[26:27], s[18:19], 2
	s_mov_b32 s28, 0
	s_waitcnt lgkmcnt(0)
	s_and_b32 s25, s25, 0xffff
	s_add_u32 s4, s4, s26
	s_addc_u32 s5, s5, s27
	s_add_u32 s0, s0, s4
	s_addc_u32 s1, s1, s5
	v_mov_b32_e32 v3, s1
	v_add_co_u32_e64 v2, s[0:1], s0, v1
	v_addc_co_u32_e64 v3, s[0:1], 0, v3, s[0:1]
	s_lshl_b32 s26, s25, 2
	v_add_u32_e32 v4, 16, v1
	s_mov_b64 s[4:5], 0
	v_mov_b32_e32 v5, 0xff7fffff
	v_mov_b32_e32 v6, s28
	;; [unrolled: 1-line block ×3, first 2 shown]
.LBB64_3:                               ; =>This Inner Loop Header: Depth=1
	global_load_dword v8, v[2:3], off
	v_add_co_u32_e64 v2, s[0:1], s26, v2
	v_add_u32_e32 v7, s25, v7
	v_addc_co_u32_e64 v3, s[0:1], v3, v6, s[0:1]
	v_max_f32_e32 v5, v5, v5
	v_cmp_le_i32_e64 s[0:1], s23, v7
	s_or_b64 s[4:5], s[0:1], s[4:5]
	s_waitcnt vmcnt(0)
	ds_write_b32 v4, v8
	v_max_f32_e32 v8, v8, v8
	v_add_u32_e32 v4, s26, v4
	v_max_f32_e32 v5, v5, v8
	s_andn2_b64 exec, exec, s[4:5]
	s_cbranch_execnz .LBB64_3
; %bb.4:
	s_or_b64 exec, exec, s[4:5]
.LBB64_5:
	s_or_b64 exec, exec, s[2:3]
	v_mbcnt_lo_u32_b32 v2, -1, 0
	v_mbcnt_hi_u32_b32 v2, -1, v2
	v_and_b32_e32 v3, 64, v2
	v_add_u32_e32 v6, 64, v3
	v_xor_b32_e32 v3, 32, v2
	v_cmp_lt_i32_e64 s[0:1], v3, v6
	v_cndmask_b32_e64 v3, v2, v3, s[0:1]
	v_lshlrev_b32_e32 v4, 2, v3
	ds_bpermute_b32 v3, v4, v5
	v_xor_b32_e32 v7, 16, v2
	v_max_f32_e32 v5, v5, v5
	v_cmp_lt_i32_e64 s[0:1], v7, v6
	v_xor_b32_e32 v8, 8, v2
	s_waitcnt lgkmcnt(0)
	v_max_f32_e32 v3, v3, v3
	v_max_f32_e32 v3, v5, v3
	v_cndmask_b32_e64 v5, v2, v7, s[0:1]
	v_lshlrev_b32_e32 v5, 2, v5
	ds_bpermute_b32 v7, v5, v3
	v_cmp_lt_i32_e64 s[0:1], v8, v6
	v_xor_b32_e32 v9, 4, v2
	v_xor_b32_e32 v10, 2, v2
	v_lshrrev_b32_e32 v13, 6, v0
	s_waitcnt lgkmcnt(0)
	v_max_f32_e32 v7, v7, v7
	v_max_f32_e32 v3, v3, v7
	v_cndmask_b32_e64 v7, v2, v8, s[0:1]
	v_lshlrev_b32_e32 v7, 2, v7
	ds_bpermute_b32 v8, v7, v3
	v_cmp_lt_i32_e64 s[0:1], v9, v6
	s_waitcnt lgkmcnt(0)
	s_barrier
	v_max_f32_e32 v8, v8, v8
	v_max_f32_e32 v3, v3, v8
	v_cndmask_b32_e64 v8, v2, v9, s[0:1]
	v_lshlrev_b32_e32 v8, 2, v8
	ds_bpermute_b32 v9, v8, v3
	v_cmp_lt_i32_e64 s[0:1], v10, v6
	s_waitcnt lgkmcnt(0)
	v_max_f32_e32 v9, v9, v9
	v_max_f32_e32 v11, v3, v9
	v_cndmask_b32_e64 v3, v2, v10, s[0:1]
	v_lshlrev_b32_e32 v9, 2, v3
	ds_bpermute_b32 v10, v9, v11
	v_and_b32_e32 v3, 63, v0
	s_waitcnt lgkmcnt(0)
	v_max_f32_e32 v10, v10, v10
	v_max_f32_e32 v11, v11, v10
	v_xor_b32_e32 v10, 1, v2
	v_cmp_lt_i32_e64 s[0:1], v10, v6
	v_cndmask_b32_e64 v6, v2, v10, s[0:1]
	v_lshlrev_b32_e32 v6, 2, v6
	ds_bpermute_b32 v12, v6, v11
	v_cmp_eq_u32_e64 s[0:1], 0, v3
	v_lshlrev_b32_e32 v10, 2, v13
	s_and_saveexec_b64 s[2:3], s[0:1]
	s_cbranch_execz .LBB64_7
; %bb.6:
	s_waitcnt lgkmcnt(0)
	v_max_f32_e32 v12, v12, v12
	v_max_f32_e32 v11, v11, v11
	;; [unrolled: 1-line block ×3, first 2 shown]
	ds_write_b32 v10, v11
.LBB64_7:
	s_or_b64 exec, exec, s[2:3]
	v_cmp_gt_u32_e64 s[2:3], 2, v3
	s_waitcnt lgkmcnt(0)
	v_mov_b32_e32 v12, 0xff7fffff
	v_lshlrev_b32_e32 v11, 2, v3
	s_barrier
	s_and_saveexec_b64 s[4:5], s[2:3]
	s_cbranch_execz .LBB64_9
; %bb.8:
	ds_read_b32 v12, v11
.LBB64_9:
	s_or_b64 exec, exec, s[4:5]
	s_waitcnt lgkmcnt(0)
	ds_bpermute_b32 v3, v6, v12
	v_max_f32_e32 v12, v12, v12
	v_lshlrev_b32_e32 v2, 2, v2
	s_lshl_b32 s25, s23, 2
	v_mov_b32_e32 v14, 0
	s_waitcnt lgkmcnt(0)
	v_max_f32_e32 v3, v3, v3
	v_max_f32_e32 v3, v12, v3
	v_and_b32_e32 v12, 0x100, v2
	ds_bpermute_b32 v13, v12, v3
	s_and_saveexec_b64 s[4:5], vcc
	s_cbranch_execz .LBB64_13
; %bb.10:
	s_load_dword s30, s[12:13], 0xc
	s_lshl_b64 s[26:27], s[16:17], 2
	s_lshl_b64 s[28:29], s[18:19], 2
	s_mov_b32 s31, 0
	v_mov_b32_e32 v14, 0
	s_waitcnt lgkmcnt(0)
	s_and_b32 s17, s30, 0xffff
	s_add_u32 s19, s26, s28
	s_addc_u32 s26, s27, s29
	s_add_u32 s19, s20, s19
	s_addc_u32 s20, s21, s26
	v_mov_b32_e32 v3, s20
	v_add_co_u32_e32 v2, vcc, s19, v1
	v_addc_co_u32_e32 v3, vcc, 0, v3, vcc
	s_lshl_b32 s19, s17, 2
	v_add_u32_e32 v1, 16, v1
	s_mov_b64 s[20:21], 0
	s_mov_b32 s26, 0x3fb8aa3b
	s_mov_b32 s27, 0xc2ce8ed0
	;; [unrolled: 1-line block ×3, first 2 shown]
	v_mov_b32_e32 v15, 0x7f800000
	v_mov_b32_e32 v16, s31
	;; [unrolled: 1-line block ×3, first 2 shown]
.LBB64_11:                              ; =>This Inner Loop Header: Depth=1
	global_load_dword v18, v[2:3], off
	ds_read_b32 v19, v1
	v_add_co_u32_e32 v2, vcc, s19, v2
	v_add_u32_e32 v17, s17, v17
	v_addc_co_u32_e32 v3, vcc, v3, v16, vcc
	s_waitcnt lgkmcnt(0)
	v_sub_f32_e32 v19, v19, v13
	v_mul_f32_e32 v21, 0x3fb8aa3b, v19
	v_fma_f32 v22, v19, s26, -v21
	v_rndne_f32_e32 v23, v21
	v_fmac_f32_e32 v22, 0x32a5705f, v19
	v_sub_f32_e32 v21, v21, v23
	v_add_f32_e32 v21, v21, v22
	v_cvt_i32_f32_e32 v23, v23
	v_exp_f32_e32 v21, v21
	v_cmp_le_i32_e32 vcc, s23, v17
	s_or_b64 s[20:21], vcc, s[20:21]
	v_cmp_ngt_f32_e32 vcc, s27, v19
	v_ldexp_f32 v21, v21, v23
	v_cndmask_b32_e32 v21, 0, v21, vcc
	v_cmp_nlt_f32_e32 vcc, s28, v19
	v_cndmask_b32_e32 v19, v15, v21, vcc
	v_add_u32_e32 v20, s25, v1
	v_add_u32_e32 v1, s19, v1
	s_waitcnt vmcnt(0)
	v_mul_f32_e32 v21, v18, v19
	v_fmac_f32_e32 v14, v18, v19
	ds_write_b32 v20, v21
	s_andn2_b64 exec, exec, s[20:21]
	s_cbranch_execnz .LBB64_11
; %bb.12:
	s_or_b64 exec, exec, s[20:21]
.LBB64_13:
	s_or_b64 exec, exec, s[4:5]
	ds_bpermute_b32 v1, v4, v14
	s_waitcnt lgkmcnt(0)
	s_barrier
	v_add_f32_e32 v1, v14, v1
	ds_bpermute_b32 v2, v5, v1
	s_waitcnt lgkmcnt(0)
	v_add_f32_e32 v1, v1, v2
	ds_bpermute_b32 v2, v7, v1
	s_waitcnt lgkmcnt(0)
	;; [unrolled: 3-line block ×5, first 2 shown]
	v_add_f32_e32 v1, v1, v2
	s_and_saveexec_b64 s[4:5], s[0:1]
	s_cbranch_execz .LBB64_15
; %bb.14:
	ds_write_b32 v10, v1 offset:8
.LBB64_15:
	s_or_b64 exec, exec, s[4:5]
	s_waitcnt lgkmcnt(0)
	s_barrier
	s_and_saveexec_b64 s[0:1], s[2:3]
	s_cbranch_execz .LBB64_17
; %bb.16:
	ds_read_b32 v1, v11 offset:8
.LBB64_17:
	s_or_b64 exec, exec, s[0:1]
	s_waitcnt lgkmcnt(0)
	ds_bpermute_b32 v2, v6, v1
	v_cmp_gt_u32_e32 vcc, 32, v0
	s_waitcnt lgkmcnt(0)
	v_add_f32_e32 v1, v1, v2
	ds_bpermute_b32 v2, v12, v1
	s_and_saveexec_b64 s[0:1], vcc
	s_cbranch_execz .LBB64_24
; %bb.18:
	s_cmp_gt_i32 s24, 0
	s_mov_b32 s4, 0
	s_cbranch_scc1 .LBB64_20
; %bb.19:
	v_mov_b32_e32 v1, 0
	v_mov_b32_e32 v4, s4
	s_cbranch_execz .LBB64_21
	s_branch .LBB64_23
.LBB64_20:
                                        ; implicit-def: $sgpr4
	v_mov_b32_e32 v4, s4
.LBB64_21:
	s_waitcnt lgkmcnt(0)
	v_add_f32_e32 v1, 0x358637bd, v2
	v_div_scale_f32 v2, s[2:3], v1, v1, 1.0
	v_rcp_f32_e32 v3, v2
	s_lshl_b32 s4, s16, 5
	s_lshl_b32 s16, s18, 5
	s_ashr_i32 s5, s4, 31
	v_fma_f32 v4, -v2, v3, 1.0
	v_fmac_f32_e32 v3, v4, v3
	v_div_scale_f32 v4, vcc, 1.0, v1, 1.0
	v_mul_f32_e32 v5, v4, v3
	s_ashr_i32 s17, s16, 31
	s_max_i32 s2, s23, 1
	v_fma_f32 v6, -v2, v5, v4
	s_add_i32 s3, s25, 16
	s_lshl_b64 s[4:5], s[4:5], 1
	s_lshl_b64 s[16:17], s[16:17], 1
	v_fmac_f32_e32 v5, v6, v3
	s_add_u32 s4, s4, s16
	v_fma_f32 v2, -v2, v5, v4
	s_addc_u32 s5, s5, s17
	v_div_fmas_f32 v2, v2, v3, v5
	s_add_u32 s4, s8, s4
	v_div_fixup_f32 v5, v2, v1, 1.0
	v_lshlrev_b32_e32 v2, 1, v0
	s_addc_u32 s5, s9, s5
	v_mov_b32_e32 v1, 0
	v_mov_b32_e32 v3, s5
	v_add_co_u32_e32 v2, vcc, s4, v2
	v_addc_co_u32_e32 v3, vcc, 0, v3, vcc
	v_mov_b32_e32 v4, v1
.LBB64_22:                              ; =>This Inner Loop Header: Depth=1
	global_load_ushort v6, v[2:3], off
	v_mov_b32_e32 v7, s3
	s_waitcnt vmcnt(0)
	;;#ASMSTART
	v_cvt_f32_f16 v6, v6;
	;;#ASMEND
	ds_read_b32 v7, v7
	s_add_i32 s2, s2, -1
	v_add_co_u32_e32 v2, vcc, 64, v2
	s_add_i32 s3, s3, 4
	s_waitcnt lgkmcnt(0)
	v_mul_f32_e32 v6, v6, v7
	v_addc_co_u32_e32 v3, vcc, 0, v3, vcc
	s_cmp_eq_u32 s2, 0
	v_fmac_f32_e32 v4, v5, v6
	s_cbranch_scc0 .LBB64_22
.LBB64_23:
	s_lshl_b32 s2, s22, 5
	s_ashr_i32 s3, s2, 31
	s_lshl_b64 s[2:3], s[2:3], 1
	s_add_u32 s4, s10, s2
	s_addc_u32 s5, s11, s3
	s_lshl_b32 s2, s6, 5
	s_ashr_i32 s3, s2, 31
	s_lshl_b64 s[2:3], s[2:3], 1
	s_add_u32 s2, s4, s2
	s_addc_u32 s3, s5, s3
	s_waitcnt lgkmcnt(0)
	v_lshlrev_b64 v[2:3], 1, v[0:1]
	v_mov_b32_e32 v1, s3
	v_add_co_u32_e32 v2, vcc, s2, v2
	v_addc_co_u32_e32 v3, vcc, v1, v3, vcc
	;;#ASMSTART
	v_cvt_f16_f32 v1, v4;

	;;#ASMEND
	global_store_short v[2:3], v1, off
.LBB64_24:
	s_or_b64 exec, exec, s[0:1]
	s_mov_b64 s[0:1], 0
.LBB64_25:
	s_and_b64 vcc, exec, s[0:1]
	s_cbranch_vccz .LBB64_34
; %bb.26:
	v_cmp_gt_u32_e32 vcc, 32, v0
	s_and_saveexec_b64 s[0:1], vcc
	s_cbranch_execz .LBB64_34
; %bb.27:
	s_mul_i32 s15, s15, s14
	s_lshl_b32 s0, s15, 5
	s_ashr_i32 s1, s0, 31
	s_lshl_b64 s[0:1], s[0:1], 1
	s_add_u32 s2, s10, s0
	s_addc_u32 s3, s11, s1
	s_lshl_b32 s0, s6, 5
	s_ashr_i32 s1, s0, 31
	s_lshl_b64 s[0:1], s[0:1], 1
	s_add_u32 s4, s2, s0
	s_mul_i32 s0, s7, s15
	s_addc_u32 s10, s3, s1
	s_lshl_b32 s0, s0, 5
	s_ashr_i32 s1, s0, 31
	s_lshl_b64 s[0:1], s[0:1], 1
	s_add_u32 s2, s8, s0
	s_mul_i32 s6, s6, s7
	s_addc_u32 s3, s9, s1
	s_lshl_b32 s0, s6, 5
	s_load_dword s6, s[12:13], 0xc
	s_ashr_i32 s1, s0, 31
	s_lshl_b64 s[0:1], s[0:1], 1
	s_add_u32 s5, s2, s0
	s_addc_u32 s7, s3, s1
	s_waitcnt lgkmcnt(0)
	s_and_b32 s6, s6, 0xffff
	v_cvt_f32_u32_e32 v1, s6
	v_add_u32_e32 v2, s6, v0
	v_mov_b32_e32 v4, s6
	v_cmp_gt_u32_e32 vcc, 32, v2
	v_rcp_iflag_f32_e32 v1, v1
	s_cmp_eq_u32 s6, 1
	v_max_u32_e32 v3, 32, v2
	v_addc_co_u32_e64 v2, s[0:1], v0, v4, vcc
	v_mul_f32_e32 v1, 0x4f7ffffe, v1
	v_cvt_u32_f32_e32 v1, v1
	s_cselect_b64 s[2:3], -1, 0
	s_sub_i32 s0, 0, s6
	v_sub_u32_e32 v2, v3, v2
	v_mul_lo_u32 v3, s0, v1
	v_mul_hi_u32 v3, v1, v3
	v_add_u32_e32 v1, v1, v3
	v_mul_hi_u32 v1, v2, v1
	v_mul_lo_u32 v3, v1, s6
	v_sub_u32_e32 v2, v2, v3
	v_add_u32_e32 v3, 1, v1
	v_cmp_le_u32_e64 s[0:1], s6, v2
	v_cndmask_b32_e64 v1, v1, v3, s[0:1]
	v_subrev_u32_e32 v3, s6, v2
	v_cndmask_b32_e64 v2, v2, v3, s[0:1]
	v_add_u32_e32 v3, 1, v1
	v_cmp_le_u32_e64 s[0:1], s6, v2
	v_cndmask_b32_e64 v1, v1, v3, s[0:1]
	v_addc_co_u32_e32 v1, vcc, 1, v1, vcc
	v_cmp_lt_u32_e32 vcc, 7, v1
	s_and_b64 s[8:9], vcc, s[2:3]
	s_mov_b64 s[2:3], -1
	s_and_saveexec_b64 s[0:1], s[8:9]
	s_cbranch_execz .LBB64_31
; %bb.28:
	v_and_b32_e32 v4, -8, v1
	s_mov_b64 s[2:3], 0
	v_mov_b32_e32 v3, 0
	v_mov_b32_e32 v5, s7
	;; [unrolled: 1-line block ×5, first 2 shown]
.LBB64_29:                              ; =>This Inner Loop Header: Depth=1
	v_lshlrev_b64 v[12:13], 1, v[2:3]
	v_add_co_u32_e32 v8, vcc, s5, v12
	v_addc_co_u32_e32 v9, vcc, v5, v13, vcc
	global_load_dwordx4 v[8:11], v[8:9], off
	v_add_co_u32_e32 v12, vcc, s4, v12
	v_add_u32_e32 v7, -8, v7
	v_addc_co_u32_e32 v13, vcc, v6, v13, vcc
	v_cmp_eq_u32_e32 vcc, 0, v7
	v_add_u32_e32 v2, 8, v2
	s_or_b64 s[2:3], vcc, s[2:3]
	s_waitcnt vmcnt(0)
	global_store_dwordx4 v[12:13], v[8:11], off
	s_andn2_b64 exec, exec, s[2:3]
	s_cbranch_execnz .LBB64_29
; %bb.30:
	s_or_b64 exec, exec, s[2:3]
	v_cmp_ne_u32_e32 vcc, v1, v4
	v_add_u32_e32 v0, v0, v4
	s_orn2_b64 s[2:3], vcc, exec
.LBB64_31:
	s_or_b64 exec, exec, s[0:1]
	s_and_b64 exec, exec, s[2:3]
	s_cbranch_execz .LBB64_34
; %bb.32:
	s_mov_b32 s3, 0
	v_mov_b32_e32 v1, 0
	v_lshlrev_b64 v[2:3], 1, v[0:1]
	s_lshl_b32 s2, s6, 1
	s_mov_b64 s[0:1], 0
	v_mov_b32_e32 v1, s7
	v_mov_b32_e32 v4, s10
	;; [unrolled: 1-line block ×3, first 2 shown]
.LBB64_33:                              ; =>This Inner Loop Header: Depth=1
	v_add_co_u32_e32 v6, vcc, s5, v2
	v_addc_co_u32_e32 v7, vcc, v1, v3, vcc
	global_load_ushort v8, v[6:7], off
	v_add_co_u32_e32 v6, vcc, s4, v2
	v_addc_co_u32_e32 v7, vcc, v4, v3, vcc
	v_add_co_u32_e32 v2, vcc, s2, v2
	v_add_u32_e32 v0, s6, v0
	v_addc_co_u32_e32 v3, vcc, v3, v5, vcc
	v_cmp_lt_u32_e32 vcc, 31, v0
	s_or_b64 s[0:1], vcc, s[0:1]
	s_waitcnt vmcnt(0)
	global_store_short v[6:7], v8, off
	s_andn2_b64 exec, exec, s[0:1]
	s_cbranch_execnz .LBB64_33
.LBB64_34:
	s_endpgm
	.section	.rodata,"a",@progbits
	.p2align	6, 0x0
	.amdhsa_kernel _ZN4vllm32paged_attention_v2_reduce_kernelItLi32ELi128ELi512EEEvPT_PKfS4_PKS1_PKii
		.amdhsa_group_segment_fixed_size 16
		.amdhsa_private_segment_fixed_size 0
		.amdhsa_kernarg_size 304
		.amdhsa_user_sgpr_count 6
		.amdhsa_user_sgpr_private_segment_buffer 1
		.amdhsa_user_sgpr_dispatch_ptr 0
		.amdhsa_user_sgpr_queue_ptr 0
		.amdhsa_user_sgpr_kernarg_segment_ptr 1
		.amdhsa_user_sgpr_dispatch_id 0
		.amdhsa_user_sgpr_flat_scratch_init 0
		.amdhsa_user_sgpr_kernarg_preload_length 0
		.amdhsa_user_sgpr_kernarg_preload_offset 0
		.amdhsa_user_sgpr_private_segment_size 0
		.amdhsa_uses_dynamic_stack 0
		.amdhsa_system_sgpr_private_segment_wavefront_offset 0
		.amdhsa_system_sgpr_workgroup_id_x 1
		.amdhsa_system_sgpr_workgroup_id_y 1
		.amdhsa_system_sgpr_workgroup_id_z 0
		.amdhsa_system_sgpr_workgroup_info 0
		.amdhsa_system_vgpr_workitem_id 0
		.amdhsa_next_free_vgpr 24
		.amdhsa_next_free_sgpr 32
		.amdhsa_accum_offset 24
		.amdhsa_reserve_vcc 1
		.amdhsa_reserve_flat_scratch 0
		.amdhsa_float_round_mode_32 0
		.amdhsa_float_round_mode_16_64 0
		.amdhsa_float_denorm_mode_32 3
		.amdhsa_float_denorm_mode_16_64 3
		.amdhsa_dx10_clamp 1
		.amdhsa_ieee_mode 1
		.amdhsa_fp16_overflow 0
		.amdhsa_tg_split 0
		.amdhsa_exception_fp_ieee_invalid_op 0
		.amdhsa_exception_fp_denorm_src 0
		.amdhsa_exception_fp_ieee_div_zero 0
		.amdhsa_exception_fp_ieee_overflow 0
		.amdhsa_exception_fp_ieee_underflow 0
		.amdhsa_exception_fp_ieee_inexact 0
		.amdhsa_exception_int_div_zero 0
	.end_amdhsa_kernel
	.section	.text._ZN4vllm32paged_attention_v2_reduce_kernelItLi32ELi128ELi512EEEvPT_PKfS4_PKS1_PKii,"axG",@progbits,_ZN4vllm32paged_attention_v2_reduce_kernelItLi32ELi128ELi512EEEvPT_PKfS4_PKS1_PKii,comdat
.Lfunc_end64:
	.size	_ZN4vllm32paged_attention_v2_reduce_kernelItLi32ELi128ELi512EEEvPT_PKfS4_PKS1_PKii, .Lfunc_end64-_ZN4vllm32paged_attention_v2_reduce_kernelItLi32ELi128ELi512EEEvPT_PKfS4_PKS1_PKii
                                        ; -- End function
	.section	.AMDGPU.csdata,"",@progbits
; Kernel info:
; codeLenInByte = 2148
; NumSgprs: 36
; NumVgprs: 24
; NumAgprs: 0
; TotalNumVgprs: 24
; ScratchSize: 0
; MemoryBound: 0
; FloatMode: 240
; IeeeMode: 1
; LDSByteSize: 16 bytes/workgroup (compile time only)
; SGPRBlocks: 4
; VGPRBlocks: 2
; NumSGPRsForWavesPerEU: 36
; NumVGPRsForWavesPerEU: 24
; AccumOffset: 24
; Occupancy: 8
; WaveLimiterHint : 0
; COMPUTE_PGM_RSRC2:SCRATCH_EN: 0
; COMPUTE_PGM_RSRC2:USER_SGPR: 6
; COMPUTE_PGM_RSRC2:TRAP_HANDLER: 0
; COMPUTE_PGM_RSRC2:TGID_X_EN: 1
; COMPUTE_PGM_RSRC2:TGID_Y_EN: 1
; COMPUTE_PGM_RSRC2:TGID_Z_EN: 0
; COMPUTE_PGM_RSRC2:TIDIG_COMP_CNT: 0
; COMPUTE_PGM_RSRC3_GFX90A:ACCUM_OFFSET: 5
; COMPUTE_PGM_RSRC3_GFX90A:TG_SPLIT: 0
	.section	.text._ZN4vllm25paged_attention_v2_kernelIttLi64ELi8ELi128ELNS_18Fp8KVCacheDataTypeE0ELb1ELi512EEEvPfS2_PT_PKS3_PKT0_S9_ifPKiSB_iPKfiiiSD_SD_iiiii,"axG",@progbits,_ZN4vllm25paged_attention_v2_kernelIttLi64ELi8ELi128ELNS_18Fp8KVCacheDataTypeE0ELb1ELi512EEEvPfS2_PT_PKS3_PKT0_S9_ifPKiSB_iPKfiiiSD_SD_iiiii,comdat
	.protected	_ZN4vllm25paged_attention_v2_kernelIttLi64ELi8ELi128ELNS_18Fp8KVCacheDataTypeE0ELb1ELi512EEEvPfS2_PT_PKS3_PKT0_S9_ifPKiSB_iPKfiiiSD_SD_iiiii ; -- Begin function _ZN4vllm25paged_attention_v2_kernelIttLi64ELi8ELi128ELNS_18Fp8KVCacheDataTypeE0ELb1ELi512EEEvPfS2_PT_PKS3_PKT0_S9_ifPKiSB_iPKfiiiSD_SD_iiiii
	.globl	_ZN4vllm25paged_attention_v2_kernelIttLi64ELi8ELi128ELNS_18Fp8KVCacheDataTypeE0ELb1ELi512EEEvPfS2_PT_PKS3_PKT0_S9_ifPKiSB_iPKfiiiSD_SD_iiiii
	.p2align	8
	.type	_ZN4vllm25paged_attention_v2_kernelIttLi64ELi8ELi128ELNS_18Fp8KVCacheDataTypeE0ELb1ELi512EEEvPfS2_PT_PKS3_PKT0_S9_ifPKiSB_iPKfiiiSD_SD_iiiii,@function
_ZN4vllm25paged_attention_v2_kernelIttLi64ELi8ELi128ELNS_18Fp8KVCacheDataTypeE0ELb1ELi512EEEvPfS2_PT_PKS3_PKT0_S9_ifPKiSB_iPKfiiiSD_SD_iiiii: ; @_ZN4vllm25paged_attention_v2_kernelIttLi64ELi8ELi128ELNS_18Fp8KVCacheDataTypeE0ELb1ELi512EEEvPfS2_PT_PKS3_PKT0_S9_ifPKiSB_iPKfiiiSD_SD_iiiii
; %bb.0:
	s_load_dwordx2 s[0:1], s[4:5], 0x40
	s_mov_b32 s30, s7
	s_ashr_i32 s31, s7, 31
	s_lshl_b64 s[2:3], s[30:31], 2
	s_waitcnt lgkmcnt(0)
	s_add_u32 s0, s0, s2
	s_addc_u32 s1, s1, s3
	s_load_dword s31, s[0:1], 0x0
	s_lshl_b32 s52, s8, 9
	s_waitcnt lgkmcnt(0)
	s_cmp_ge_i32 s52, s31
	s_cbranch_scc1 .LBB65_61
; %bb.1:
	s_load_dword s9, s[4:5], 0x90
	s_load_dwordx2 s[40:41], s[4:5], 0x30
	s_waitcnt lgkmcnt(0)
	s_abs_i32 s2, s9
	s_abs_i32 s0, s40
	v_cvt_f32_u32_e32 v1, s0
	s_sub_i32 s3, 0, s0
	s_xor_b32 s1, s9, s40
	s_ashr_i32 s1, s1, 31
	v_rcp_iflag_f32_e32 v1, v1
	v_mul_f32_e32 v1, 0x4f7ffffe, v1
	v_cvt_u32_f32_e32 v1, v1
	v_readfirstlane_b32 s7, v1
	s_mul_i32 s3, s3, s7
	s_mul_hi_u32 s3, s7, s3
	s_add_i32 s7, s7, s3
	s_mul_hi_u32 s3, s2, s7
	s_mul_i32 s7, s3, s0
	s_sub_i32 s2, s2, s7
	s_add_i32 s10, s3, 1
	s_sub_i32 s7, s2, s0
	s_cmp_ge_u32 s2, s0
	s_cselect_b32 s3, s10, s3
	s_cselect_b32 s2, s7, s2
	s_add_i32 s7, s3, 1
	s_cmp_ge_u32 s2, s0
	s_cselect_b32 s0, s7, s3
	s_xor_b32 s0, s0, s1
	s_sub_i32 s2, s0, s1
	s_abs_i32 s10, s2
	v_cvt_f32_u32_e32 v1, s10
	s_load_dwordx2 s[0:1], s[4:5], 0x50
	s_sub_i32 s3, 0, s10
	s_abs_i32 s11, s6
	v_rcp_iflag_f32_e32 v1, v1
	s_mov_b32 s7, 0
	v_mul_f32_e32 v1, 0x4f7ffffe, v1
	v_cvt_u32_f32_e32 v1, v1
	v_readfirstlane_b32 s12, v1
	s_mul_i32 s3, s3, s12
	s_mul_hi_u32 s3, s12, s3
	s_add_i32 s12, s12, s3
	s_waitcnt lgkmcnt(0)
	s_cmp_eq_u64 s[0:1], 0
	s_mul_hi_u32 s12, s11, s12
	s_cbranch_scc1 .LBB65_3
; %bb.2:
	s_ashr_i32 s7, s6, 31
	s_lshl_b64 s[14:15], s[6:7], 2
	s_add_u32 s0, s0, s14
	s_addc_u32 s1, s1, s15
	s_load_dword s7, s[0:1], 0x0
.LBB65_3:
	s_load_dwordx4 s[16:19], s[4:5], 0x58
	s_ashr_i32 s13, s6, 31
	s_waitcnt lgkmcnt(0)
	s_ashr_i32 s19, s2, 31
	v_and_b32_e32 v2, 7, v0
	s_lshl_b32 s14, s6, 6
	v_cmp_gt_u32_e64 s[0:1], 64, v0
	s_and_saveexec_b64 s[2:3], s[0:1]
	s_cbranch_execz .LBB65_5
; %bb.4:
	s_load_dwordx2 s[20:21], s[4:5], 0x18
	s_mul_i32 s22, s30, s16
	s_ashr_i32 s23, s22, 31
	s_lshl_b64 s[22:23], s[22:23], 1
	v_lshlrev_b32_e32 v1, 1, v0
	s_waitcnt lgkmcnt(0)
	s_add_u32 s16, s20, s22
	s_addc_u32 s22, s21, s23
	s_ashr_i32 s15, s14, 31
	s_lshl_b64 s[20:21], s[14:15], 1
	s_add_u32 s20, s16, s20
	s_addc_u32 s21, s22, s21
	global_load_ushort v1, v1, s[20:21]
	v_lshrrev_b32_e32 v3, 2, v0
	v_and_b32_e32 v3, 0xfe, v3
	v_lshl_add_u32 v3, v2, 4, v3
	s_waitcnt vmcnt(0)
	ds_write_b16 v3, v1
.LBB65_5:
	s_or_b64 exec, exec, s[2:3]
	s_mul_i32 s3, s12, s10
	s_sub_i32 s3, s11, s3
	s_xor_b32 s2, s13, s19
	s_add_i32 s11, s12, 1
	s_sub_i32 s13, s3, s10
	s_load_dwordx4 s[20:23], s[4:5], 0x78
	s_cmp_ge_u32 s3, s10
	s_cselect_b32 s11, s11, s12
	s_cselect_b32 s3, s13, s3
	s_load_dword s13, s[4:5], 0x88
	s_add_i32 s12, s11, 1
	s_cmp_ge_u32 s3, s10
	s_cselect_b32 s3, s12, s11
	s_waitcnt lgkmcnt(0)
	s_abs_i32 s15, s23
	v_cvt_f32_u32_e32 v1, s15
	s_xor_b32 s3, s3, s2
	s_sub_i32 s10, s3, s2
	s_sub_i32 s2, 0, s15
	v_rcp_iflag_f32_e32 v1, v1
	s_add_i32 s16, s31, -1
	s_abs_i32 s11, s16
	v_mul_f32_e32 v1, 0x4f7ffffe, v1
	v_cvt_u32_f32_e32 v1, v1
	s_barrier
	v_readfirstlane_b32 s33, v1
	s_mul_i32 s2, s2, s33
	s_mul_hi_u32 s2, s33, s2
	s_add_i32 s33, s33, s2
	s_cmp_lt_i32 s13, 0
	s_mul_hi_u32 s12, s11, s33
	s_cbranch_scc0 .LBB65_7
; %bb.6:
	s_mul_i32 s2, s20, s40
	s_add_i32 s2, s10, s2
	s_mul_i32 s2, s2, s13
	s_sub_i32 s48, 1, s2
	s_mov_b64 s[2:3], 0
	s_branch .LBB65_8
.LBB65_7:
	s_mov_b64 s[2:3], -1
                                        ; implicit-def: $sgpr48
.LBB65_8:
	s_load_dwordx2 s[34:35], s[4:5], 0x38
	s_ashr_i32 s16, s16, 31
	s_andn2_b64 vcc, exec, s[2:3]
	s_ashr_i32 s23, s23, 31
	s_cbranch_vccnz .LBB65_10
; %bb.9:
	s_mul_i32 s2, s9, s20
	s_add_i32 s2, s2, s6
	s_mul_i32 s2, s2, s13
	s_add_i32 s48, s2, 1
.LBB65_10:
	s_load_dword s2, s[4:5], 0x48
	s_load_dwordx2 s[38:39], s[4:5], 0x28
	s_load_dword s20, s[4:5], 0x98
	s_load_dwordx4 s[24:27], s[4:5], 0x0
	s_load_dwordx2 s[28:29], s[4:5], 0x10
	s_mul_i32 s3, s12, s15
	s_waitcnt lgkmcnt(0)
	s_mul_i32 s36, s30, s2
	s_sub_i32 s3, s11, s3
	s_ashr_i32 s37, s36, 31
	s_xor_b32 s2, s16, s23
	s_add_i32 s11, s12, 1
	s_sub_i32 s13, s3, s15
	s_cmp_ge_u32 s3, s15
	s_cselect_b32 s11, s11, s12
	s_cselect_b32 s3, s13, s3
	s_add_i32 s12, s11, 1
	s_cmp_ge_u32 s3, s15
	s_cselect_b32 s3, s12, s11
	s_xor_b32 s3, s3, s2
	s_sub_i32 s51, s3, s2
	s_add_i32 s2, s31, 7
	s_ashr_i32 s3, s2, 31
	s_lshr_b32 s3, s3, 29
	s_add_i32 s2, s2, s3
	s_lshl_b32 s16, s8, 6
	s_ashr_i32 s50, s2, 3
	s_add_i32 s2, s16, 64
	v_lshrrev_b32_e32 v4, 6, v0
	s_min_i32 s49, s2, s50
	v_or_b32_e32 v6, s16, v4
	v_cmp_gt_i32_e64 s[2:3], s49, v6
	v_mov_b32_e32 v13, 0xff7fffff
	s_mul_i32 s18, s10, s18
	v_ashrrev_i32_e32 v7, 31, v6
	v_lshl_add_u32 v1, v4, 3, s52
	v_mbcnt_lo_u32_b32 v5, -1, 0
	s_and_saveexec_b64 s[42:43], s[2:3]
	s_cbranch_execz .LBB65_20
; %bb.11:
	s_load_dwordx2 s[4:5], s[4:5], 0x20
	s_ashr_i32 s19, s18, 31
	s_sub_i32 s40, s51, s21
	s_lshl_b64 s[10:11], s[18:19], 1
	v_bfe_u32 v8, v0, 3, 3
	s_waitcnt lgkmcnt(0)
	s_add_u32 s4, s4, s10
	s_addc_u32 s5, s5, s11
	s_abs_i32 s19, s22
	v_cvt_f32_u32_e32 v10, s19
	v_lshlrev_b32_e32 v3, 4, v8
	v_mov_b32_e32 v9, s5
	v_add_co_u32_e64 v3, s[4:5], s4, v3
	v_rcp_iflag_f32_e32 v12, v10
	v_addc_co_u32_e64 v11, s[4:5], 0, v9, s[4:5]
	v_lshlrev_b32_e32 v9, 1, v2
	v_add_co_u32_e64 v9, s[4:5], v3, v9
	v_mul_f32_e32 v3, 0x4f7ffffe, v12
	v_cvt_u32_f32_e32 v3, v3
	s_sub_i32 s10, 0, s19
	v_cmp_eq_u32_e32 vcc, 0, v2
	v_addc_co_u32_e64 v10, s[4:5], 0, v11, s[4:5]
	v_lshlrev_b32_e32 v11, 4, v2
	v_mul_lo_u32 v2, s10, v3
	s_lshl_b64 s[10:11], s[36:37], 2
	v_mul_hi_u32 v2, v3, v2
	s_add_u32 s10, s34, s10
	v_add_u32_e32 v12, v3, v2
	v_lshlrev_b64 v[2:3], 2, v[6:7]
	s_addc_u32 s11, s35, s11
	v_mov_b32_e32 v13, s11
	v_add_co_u32_e64 v2, s[10:11], s10, v2
	v_addc_co_u32_e64 v3, s[10:11], v13, v3, s[10:11]
	v_lshlrev_b32_e32 v13, 2, v8
	v_lshl_or_b32 v13, v4, 5, v13
	v_add_u32_e32 v15, 0x90, v13
	v_subrev_u32_e32 v13, s31, v8
	v_mbcnt_hi_u32_b32 v18, -1, v5
	v_add_u32_e32 v16, 1, v13
	v_and_b32_e32 v13, 64, v18
	s_mov_b32 s53, s17
	v_cmp_neq_f32_e64 s[4:5], s7, 0
	v_lshl_add_u32 v14, v4, 3, s52
	s_mov_b64 s[44:45], 0
	v_mov_b32_e32 v17, 0xff7fffff
	v_add_u32_e32 v19, 64, v13
	v_xor_b32_e32 v20, 4, v18
	v_xor_b32_e32 v21, 2, v18
	;; [unrolled: 1-line block ×3, first 2 shown]
	v_mov_b32_e32 v13, 0xff7fffff
	v_mov_b32_e32 v23, v6
	s_branch .LBB65_14
.LBB65_12:                              ;   in Loop: Header=BB65_14 Depth=1
	s_or_b64 exec, exec, s[46:47]
.LBB65_13:                              ;   in Loop: Header=BB65_14 Depth=1
	s_or_b64 exec, exec, s[12:13]
	v_add_co_u32_e64 v2, s[10:11], 8, v2
	v_add_u32_e32 v23, 2, v23
	v_addc_co_u32_e64 v3, s[10:11], 0, v3, s[10:11]
	v_cmp_le_i32_e64 s[10:11], s49, v23
	v_add_u32_e32 v14, 16, v14
	s_or_b64 s[44:45], s[10:11], s[44:45]
	v_add_u32_e32 v15, 64, v15
	s_andn2_b64 exec, exec, s[44:45]
	s_cbranch_execz .LBB65_19
.LBB65_14:                              ; =>This Inner Loop Header: Depth=1
	s_waitcnt lgkmcnt(0)
	v_sub_u32_e32 v25, 0, v14
	v_max_i32_e32 v25, v14, v25
	v_mul_hi_u32 v26, v25, s33
	v_mul_lo_u32 v27, v26, s15
	v_sub_u32_e32 v25, v25, v27
	v_add_u32_e32 v27, 1, v26
	v_cmp_le_u32_e64 s[10:11], s15, v25
	v_cndmask_b32_e64 v26, v26, v27, s[10:11]
	v_subrev_u32_e32 v27, s15, v25
	v_cndmask_b32_e64 v25, v25, v27, s[10:11]
	v_ashrrev_i32_e32 v24, 31, v14
	v_add_u32_e32 v27, 1, v26
	v_cmp_le_u32_e64 s[10:11], s15, v25
	v_xor_b32_e32 v24, s23, v24
	v_cndmask_b32_e64 v25, v26, v27, s[10:11]
	v_xor_b32_e32 v25, v25, v24
	v_sub_u32_e32 v24, v25, v24
	v_add_u32_e32 v25, s48, v24
	v_sub_u32_e32 v27, 0, v25
	v_ashrrev_i32_e32 v26, 31, v25
	v_max_i32_e32 v25, v25, v27
	v_mul_hi_u32 v27, v25, v12
	v_mul_lo_u32 v27, v27, s19
	v_sub_u32_e32 v25, v25, v27
	v_subrev_u32_e32 v27, s19, v25
	v_cmp_le_u32_e64 s[10:11], s19, v25
	v_cndmask_b32_e64 v25, v25, v27, s[10:11]
	v_subrev_u32_e32 v27, s19, v25
	v_cmp_le_u32_e64 s[10:11], s19, v25
	v_cndmask_b32_e64 v25, v25, v27, s[10:11]
	v_xor_b32_e32 v25, v25, v26
	v_sub_u32_e32 v25, v25, v26
	v_cmp_ne_u32_e64 s[10:11], 0, v25
	v_cmp_ge_i32_e64 s[12:13], s40, v24
	s_and_b64 s[10:11], s[10:11], s[12:13]
	s_and_b64 s[46:47], vcc, s[10:11]
	s_and_saveexec_b64 s[12:13], s[46:47]
	s_cbranch_execz .LBB65_16
; %bb.15:                               ;   in Loop: Header=BB65_14 Depth=1
	ds_write_b32 v15, v17
.LBB65_16:                              ;   in Loop: Header=BB65_14 Depth=1
	s_or_b64 exec, exec, s[12:13]
	s_xor_b64 s[10:11], s[10:11], -1
	s_and_saveexec_b64 s[12:13], s[10:11]
	s_cbranch_execz .LBB65_13
; %bb.17:                               ;   in Loop: Header=BB65_14 Depth=1
	global_load_dword v24, v[2:3], off
	s_waitcnt vmcnt(0)
	v_mad_i64_i32 v[24:25], s[10:11], v24, s53, 0
	v_lshlrev_b64 v[24:25], 1, v[24:25]
	v_add_co_u32_e64 v24, s[10:11], v9, v24
	v_addc_co_u32_e64 v25, s[10:11], v10, v25, s[10:11]
	global_load_ushort v26, v[24:25], off
	global_load_ushort v27, v[24:25], off offset:128
	global_load_ushort v28, v[24:25], off offset:256
	;; [unrolled: 1-line block ×6, first 2 shown]
	s_nop 0
	global_load_ushort v24, v[24:25], off offset:896
	ds_read_u16 v25, v11
	s_waitcnt lgkmcnt(0)
	;;#ASMSTART
	v_cvt_f32_f16 v25, v25;
	;;#ASMEND
	v_cmp_lt_i32_e64 s[10:11], v20, v19
	v_cndmask_b32_e64 v38, v18, v20, s[10:11]
	v_lshlrev_b32_e32 v38, 2, v38
	v_cmp_lt_i32_e64 s[10:11], v21, v19
	s_waitcnt vmcnt(7)
	;;#ASMSTART
	v_cvt_f32_f16 v26, v26;
	;;#ASMEND
	ds_read_u16 v33, v11 offset:2
	s_waitcnt lgkmcnt(0)
	;;#ASMSTART
	v_cvt_f32_f16 v33, v33;
	;;#ASMEND
	s_waitcnt vmcnt(6)
	;;#ASMSTART
	v_cvt_f32_f16 v27, v27;
	;;#ASMEND
	v_mul_f32_e32 v27, v33, v27
	ds_read_u16 v34, v11 offset:4
	v_fmac_f32_e32 v27, v25, v26
	s_waitcnt lgkmcnt(0)
	;;#ASMSTART
	v_cvt_f32_f16 v34, v34;
	;;#ASMEND
	s_waitcnt vmcnt(5)
	;;#ASMSTART
	v_cvt_f32_f16 v28, v28;
	;;#ASMEND
	ds_read_u16 v35, v11 offset:6
	v_fmac_f32_e32 v27, v34, v28
	s_waitcnt lgkmcnt(0)
	;;#ASMSTART
	v_cvt_f32_f16 v35, v35;
	;;#ASMEND
	s_waitcnt vmcnt(4)
	;;#ASMSTART
	v_cvt_f32_f16 v29, v29;
	;;#ASMEND
	;; [unrolled: 10-line block ×4, first 2 shown]
	v_fmac_f32_e32 v27, v37, v31
	ds_read_u16 v39, v11 offset:12
	s_waitcnt lgkmcnt(0)
	;;#ASMSTART
	v_cvt_f32_f16 v25, v39;
	;;#ASMEND
	s_waitcnt vmcnt(1)
	;;#ASMSTART
	v_cvt_f32_f16 v26, v32;
	;;#ASMEND
	v_fmac_f32_e32 v27, v25, v26
	ds_read_u16 v28, v11 offset:14
	s_waitcnt lgkmcnt(0)
	;;#ASMSTART
	v_cvt_f32_f16 v25, v28;
	;;#ASMEND
	s_waitcnt vmcnt(0)
	;;#ASMSTART
	v_cvt_f32_f16 v24, v24;
	;;#ASMEND
	v_fmac_f32_e32 v27, v25, v24
	ds_bpermute_b32 v24, v38, v27
	v_cndmask_b32_e64 v25, v18, v21, s[10:11]
	v_lshlrev_b32_e32 v25, 2, v25
	v_cmp_lt_i32_e64 s[10:11], v22, v19
	v_cndmask_b32_e64 v26, v18, v22, s[10:11]
	s_waitcnt lgkmcnt(0)
	v_add_f32_e32 v24, v27, v24
	ds_bpermute_b32 v25, v25, v24
	s_waitcnt lgkmcnt(0)
	v_add_f32_e32 v24, v24, v25
	v_lshlrev_b32_e32 v25, 2, v26
	ds_bpermute_b32 v25, v25, v24
	s_and_saveexec_b64 s[46:47], vcc
	s_cbranch_execz .LBB65_12
; %bb.18:                               ;   in Loop: Header=BB65_14 Depth=1
	v_add_u32_e32 v26, v16, v14
	v_cvt_f32_i32_e32 v26, v26
	s_waitcnt lgkmcnt(0)
	v_add_f32_e32 v24, v24, v25
	v_add_u32_e32 v27, v8, v14
	v_cmp_gt_i32_e64 s[10:11], s31, v27
	v_mul_f32_e32 v25, s7, v26
	v_cndmask_b32_e64 v25, 0, v25, s[4:5]
	v_fmac_f32_e32 v25, s41, v24
	v_cndmask_b32_e64 v24, 0, v25, s[10:11]
	ds_write_b32 v15, v24
	v_max_f32_e32 v24, v13, v13
	v_max_f32_e32 v24, v24, v25
	v_cndmask_b32_e64 v13, v13, v24, s[10:11]
	s_branch .LBB65_12
.LBB65_19:
	s_or_b64 exec, exec, s[44:45]
.LBB65_20:
	s_or_b64 exec, exec, s[42:43]
	v_mbcnt_hi_u32_b32 v2, -1, v5
	v_and_b32_e32 v3, 64, v2
	v_add_u32_e32 v3, 64, v3
	v_xor_b32_e32 v5, 32, v2
	v_cmp_lt_i32_e32 vcc, v5, v3
	v_cndmask_b32_e32 v5, v2, v5, vcc
	v_lshlrev_b32_e32 v9, 2, v5
	ds_bpermute_b32 v5, v9, v13
	v_xor_b32_e32 v10, 16, v2
	v_max_f32_e32 v8, v13, v13
	v_cmp_lt_i32_e32 vcc, v10, v3
	s_waitcnt lgkmcnt(0)
	v_max_f32_e32 v5, v5, v5
	v_max_f32_e32 v5, v8, v5
	v_cndmask_b32_e32 v8, v2, v10, vcc
	v_lshlrev_b32_e32 v12, 2, v8
	ds_bpermute_b32 v8, v12, v5
	v_xor_b32_e32 v10, 8, v2
	v_cmp_lt_i32_e32 vcc, v10, v3
	s_waitcnt lgkmcnt(0)
	v_max_f32_e32 v8, v8, v8
	v_max_f32_e32 v5, v5, v8
	v_cndmask_b32_e32 v8, v2, v10, vcc
	v_lshlrev_b32_e32 v13, 2, v8
	ds_bpermute_b32 v11, v13, v5
	v_and_b32_e32 v10, 63, v0
	v_cmp_eq_u32_e32 vcc, 0, v10
	v_lshlrev_b32_e32 v8, 2, v4
	s_and_saveexec_b64 s[4:5], vcc
	s_cbranch_execz .LBB65_22
; %bb.21:
	s_waitcnt lgkmcnt(0)
	v_max_f32_e32 v11, v11, v11
	v_max_f32_e32 v5, v5, v5
	;; [unrolled: 1-line block ×3, first 2 shown]
	ds_write_b32 v8, v5 offset:128
.LBB65_22:
	s_or_b64 exec, exec, s[4:5]
	v_cmp_gt_u32_e64 s[4:5], 2, v10
	v_mov_b32_e32 v5, 0xff7fffff
	s_waitcnt lgkmcnt(0)
	v_lshlrev_b32_e32 v11, 2, v10
	s_barrier
	s_and_saveexec_b64 s[10:11], s[4:5]
	s_cbranch_execz .LBB65_24
; %bb.23:
	ds_read_b32 v5, v11 offset:128
.LBB65_24:
	s_or_b64 exec, exec, s[10:11]
	v_xor_b32_e32 v14, 1, v2
	v_cmp_lt_i32_e64 s[10:11], v14, v3
	v_cndmask_b32_e64 v14, v2, v14, s[10:11]
	v_lshlrev_b32_e32 v14, 2, v14
	s_waitcnt lgkmcnt(0)
	ds_bpermute_b32 v15, v14, v5
	v_max_f32_e32 v5, v5, v5
	s_sub_i32 s7, s49, s16
	s_lshl_b32 s7, s7, 3
	s_add_i32 s7, s7, s52
	s_waitcnt lgkmcnt(0)
	v_max_f32_e32 v15, v15, v15
	v_max_f32_e32 v5, v5, v15
	v_lshlrev_b32_e32 v15, 2, v2
	v_and_b32_e32 v15, 0x100, v15
	ds_bpermute_b32 v5, v15, v5
	s_min_i32 s19, s7, s31
	s_sub_i32 s7, s19, s52
	v_cmp_gt_i32_e64 s[10:11], s7, v0
	v_mov_b32_e32 v16, 0
	s_and_saveexec_b64 s[40:41], s[10:11]
	s_cbranch_execz .LBB65_28
; %bb.25:
	v_mov_b32_e32 v16, 0x90
	v_lshl_add_u32 v17, v0, 2, v16
	s_mov_b64 s[42:43], 0
	v_mov_b32_e32 v16, 0
	v_mov_b32_e32 v18, v0
.LBB65_26:                              ; =>This Inner Loop Header: Depth=1
	ds_read_b32 v19, v17
	v_add_u32_e32 v18, 0x80, v18
	v_cmp_le_i32_e64 s[12:13], s7, v18
	s_or_b64 s[42:43], s[12:13], s[42:43]
	s_waitcnt lgkmcnt(0)
	v_sub_f32_e32 v19, v19, v5
	v_mul_f32_e32 v19, 0x3fb8aa3b, v19
	v_exp_f32_e32 v19, v19
	ds_write_b32 v17, v19
	v_add_f32_e32 v16, v16, v19
	v_add_u32_e32 v17, 0x200, v17
	s_andn2_b64 exec, exec, s[42:43]
	s_cbranch_execnz .LBB65_26
; %bb.27:
	s_or_b64 exec, exec, s[42:43]
.LBB65_28:
	s_or_b64 exec, exec, s[40:41]
	ds_bpermute_b32 v9, v9, v16
	s_waitcnt lgkmcnt(0)
	v_add_f32_e32 v9, v16, v9
	ds_bpermute_b32 v12, v12, v9
	s_waitcnt lgkmcnt(0)
	v_add_f32_e32 v9, v9, v12
	ds_bpermute_b32 v12, v13, v9
	v_xor_b32_e32 v13, 4, v2
	v_cmp_lt_i32_e64 s[12:13], v13, v3
	v_cndmask_b32_e64 v13, v2, v13, s[12:13]
	v_lshlrev_b32_e32 v13, 2, v13
	s_waitcnt lgkmcnt(0)
	v_add_f32_e32 v9, v9, v12
	ds_bpermute_b32 v12, v13, v9
	v_xor_b32_e32 v13, 2, v2
	v_cmp_lt_i32_e64 s[12:13], v13, v3
	v_cndmask_b32_e64 v2, v2, v13, s[12:13]
	v_lshlrev_b32_e32 v2, 2, v2
	s_waitcnt lgkmcnt(0)
	v_add_f32_e32 v3, v9, v12
	ds_bpermute_b32 v2, v2, v3
	s_waitcnt lgkmcnt(0)
	v_add_f32_e32 v2, v3, v2
	ds_bpermute_b32 v3, v14, v2
	s_waitcnt lgkmcnt(0)
	v_add_f32_e32 v2, v2, v3
	s_and_saveexec_b64 s[12:13], vcc
	s_cbranch_execz .LBB65_30
; %bb.29:
	ds_write_b32 v8, v2 offset:136
.LBB65_30:
	s_or_b64 exec, exec, s[12:13]
	s_waitcnt lgkmcnt(0)
	s_barrier
	s_and_saveexec_b64 s[12:13], s[4:5]
	s_cbranch_execz .LBB65_32
; %bb.31:
	ds_read_b32 v2, v11 offset:136
.LBB65_32:
	s_or_b64 exec, exec, s[12:13]
	s_waitcnt lgkmcnt(0)
	ds_bpermute_b32 v3, v14, v2
	s_waitcnt lgkmcnt(0)
	v_add_f32_e32 v2, v2, v3
	ds_bpermute_b32 v8, v15, v2
	s_and_saveexec_b64 s[4:5], s[10:11]
	s_cbranch_execz .LBB65_45
; %bb.33:
	s_waitcnt lgkmcnt(0)
	v_add_f32_e32 v2, 0x358637bd, v8
	v_div_scale_f32 v3, s[10:11], v2, v2, 1.0
	v_rcp_f32_e32 v9, v3
	v_div_scale_f32 v11, vcc, 1.0, v2, 1.0
	s_movk_i32 s10, 0x7f
	v_fma_f32 v12, -v3, v9, 1.0
	v_fmac_f32_e32 v9, v12, v9
	v_mul_f32_e32 v12, v11, v9
	v_fma_f32 v13, -v3, v12, v11
	v_fmac_f32_e32 v12, v13, v9
	v_fma_f32 v3, -v3, v12, v11
	v_div_fmas_f32 v3, v3, v9, v12
	v_div_fixup_f32 v2, v3, v2, 1.0
	v_xad_u32 v3, v0, -1, s19
	v_subrev_u32_e32 v9, s52, v3
	v_cmp_lt_u32_e32 vcc, s10, v9
	s_mov_b64 s[12:13], -1
	v_mov_b32_e32 v3, v0
	s_and_saveexec_b64 s[10:11], vcc
	s_cbranch_execz .LBB65_42
; %bb.34:
	v_lshrrev_b32_e32 v9, 7, v9
	v_add_u32_e32 v12, -1, v9
	v_lshrrev_b32_e32 v11, 1, v12
	v_mov_b32_e32 v3, v2
	v_add_u32_e32 v11, 1, v11
	v_cmp_lt_u32_e32 vcc, 13, v12
	v_mov_b32_e32 v14, 0
	s_and_saveexec_b64 s[12:13], vcc
	s_cbranch_execz .LBB65_38
; %bb.35:
	v_mov_b32_e32 v13, 0x90
	v_and_b32_e32 v12, -8, v11
	v_lshl_add_u32 v13, v0, 2, v13
	s_mov_b32 s19, 0
	s_mov_b64 s[40:41], 0
.LBB65_36:                              ; =>This Inner Loop Header: Depth=1
	ds_read2st64_b32 v[14:15], v13 offset1:2
	ds_read2st64_b32 v[16:17], v13 offset0:4 offset1:6
	ds_read2st64_b32 v[18:19], v13 offset0:8 offset1:10
	;; [unrolled: 1-line block ×3, first 2 shown]
	v_add_u32_e32 v12, -8, v12
	s_waitcnt lgkmcnt(3)
	v_pk_mul_f32 v[14:15], v[2:3], v[14:15]
	s_waitcnt lgkmcnt(2)
	v_pk_mul_f32 v[16:17], v[2:3], v[16:17]
	ds_write2st64_b32 v13, v14, v15 offset1:2
	ds_write2st64_b32 v13, v16, v17 offset0:4 offset1:6
	ds_read2st64_b32 v[16:17], v13 offset0:16 offset1:18
	s_waitcnt lgkmcnt(4)
	v_pk_mul_f32 v[14:15], v[2:3], v[18:19]
	ds_write2st64_b32 v13, v14, v15 offset0:8 offset1:10
	s_waitcnt lgkmcnt(4)
	v_pk_mul_f32 v[14:15], v[2:3], v[20:21]
	ds_write2st64_b32 v13, v14, v15 offset0:12 offset1:14
	ds_read2st64_b32 v[14:15], v13 offset0:20 offset1:22
	s_waitcnt lgkmcnt(3)
	v_pk_mul_f32 v[16:17], v[2:3], v[16:17]
	ds_read2st64_b32 v[18:19], v13 offset0:24 offset1:26
	ds_write2st64_b32 v13, v16, v17 offset0:16 offset1:18
	ds_read2st64_b32 v[16:17], v13 offset0:28 offset1:30
	s_waitcnt lgkmcnt(3)
	v_pk_mul_f32 v[14:15], v[2:3], v[14:15]
	ds_write2st64_b32 v13, v14, v15 offset0:20 offset1:22
	s_waitcnt lgkmcnt(3)
	v_pk_mul_f32 v[14:15], v[2:3], v[18:19]
	ds_write2st64_b32 v13, v14, v15 offset0:24 offset1:26
	s_waitcnt lgkmcnt(2)
	v_pk_mul_f32 v[14:15], v[2:3], v[16:17]
	s_add_i32 s19, s19, 16
	v_cmp_eq_u32_e32 vcc, 0, v12
	ds_write2st64_b32 v13, v14, v15 offset0:28 offset1:30
	v_add_u32_e32 v13, 0x2000, v13
	s_or_b64 s[40:41], vcc, s[40:41]
	v_mov_b32_e32 v14, s19
	s_andn2_b64 exec, exec, s[40:41]
	s_cbranch_execnz .LBB65_36
; %bb.37:
	s_or_b64 exec, exec, s[40:41]
.LBB65_38:
	s_or_b64 exec, exec, s[12:13]
	v_and_b32_e32 v11, 7, v11
	v_cmp_ne_u32_e32 vcc, 0, v11
	s_and_saveexec_b64 s[12:13], vcc
	s_cbranch_execz .LBB65_41
; %bb.39:
	v_lshlrev_b32_e32 v12, 9, v14
	v_lshlrev_b32_e32 v13, 2, v0
	s_movk_i32 s19, 0x90
	v_add3_u32 v12, v12, v13, s19
	s_mov_b64 s[40:41], 0
.LBB65_40:                              ; =>This Inner Loop Header: Depth=1
	ds_read2st64_b32 v[14:15], v12 offset1:2
	v_add_u32_e32 v11, -1, v11
	v_cmp_eq_u32_e32 vcc, 0, v11
	s_or_b64 s[40:41], vcc, s[40:41]
	s_waitcnt lgkmcnt(0)
	v_pk_mul_f32 v[14:15], v[2:3], v[14:15]
	ds_write2st64_b32 v12, v14, v15 offset1:2
	v_add_u32_e32 v12, 0x400, v12
	s_andn2_b64 exec, exec, s[40:41]
	s_cbranch_execnz .LBB65_40
.LBB65_41:
	s_or_b64 exec, exec, s[12:13]
	v_add_u32_e32 v9, 1, v9
	v_and_b32_e32 v11, 0x3fffffe, v9
	v_cmp_ne_u32_e32 vcc, v9, v11
	v_lshl_add_u32 v3, v11, 7, v0
	s_orn2_b64 s[12:13], vcc, exec
.LBB65_42:
	s_or_b64 exec, exec, s[10:11]
	s_and_b64 exec, exec, s[12:13]
	s_cbranch_execz .LBB65_45
; %bb.43:
	v_mov_b32_e32 v9, 0x90
	v_lshl_add_u32 v9, v3, 2, v9
	s_mov_b64 s[10:11], 0
.LBB65_44:                              ; =>This Inner Loop Header: Depth=1
	ds_read_b32 v11, v9
	v_add_u32_e32 v3, 0x80, v3
	v_cmp_le_i32_e32 vcc, s7, v3
	s_or_b64 s[10:11], vcc, s[10:11]
	s_waitcnt lgkmcnt(0)
	v_mul_f32_e32 v11, v2, v11
	ds_write_b32 v9, v11
	v_add_u32_e32 v9, 0x200, v9
	s_andn2_b64 exec, exec, s[10:11]
	s_cbranch_execnz .LBB65_44
.LBB65_45:
	s_or_b64 exec, exec, s[4:5]
	s_mul_i32 s4, s20, s30
	v_cmp_eq_u32_e32 vcc, 0, v0
	s_mul_i32 s4, s4, s9
	s_waitcnt lgkmcnt(0)
	s_barrier
	s_and_saveexec_b64 s[10:11], vcc
	s_cbranch_execz .LBB65_47
; %bb.46:
	s_ashr_i32 s5, s4, 31
	s_lshl_b64 s[12:13], s[4:5], 2
	s_add_u32 s5, s26, s12
	s_mul_i32 s6, s20, s6
	s_addc_u32 s9, s27, s13
	s_ashr_i32 s7, s6, 31
	s_lshl_b64 s[6:7], s[6:7], 2
	s_add_u32 s5, s5, s6
	s_addc_u32 s19, s9, s7
	s_ashr_i32 s9, s8, 31
	s_lshl_b64 s[8:9], s[8:9], 2
	s_add_u32 s26, s5, s8
	s_addc_u32 s27, s19, s9
	s_add_u32 s5, s24, s12
	s_addc_u32 s12, s25, s13
	;; [unrolled: 2-line block ×3, first 2 shown]
	s_add_u32 s6, s5, s8
	v_mov_b32_e32 v2, 0
	s_addc_u32 s7, s7, s9
	global_store_dword v2, v5, s[26:27]
	global_store_dword v2, v8, s[6:7]
.LBB65_47:
	s_or_b64 exec, exec, s[10:11]
	v_mov_b32_e32 v11, 0
	s_and_saveexec_b64 s[6:7], s[2:3]
	s_cbranch_execz .LBB65_55
; %bb.48:
	s_ashr_i32 s19, s18, 31
	s_sub_i32 s5, s51, s21
	s_lshl_b64 s[2:3], s[18:19], 1
	s_add_u32 s2, s38, s2
	s_addc_u32 s3, s39, s3
	v_lshlrev_b32_e32 v2, 4, v10
	s_abs_i32 s13, s22
	v_add_co_u32_e32 v12, vcc, s2, v2
	v_cvt_f32_u32_e32 v2, s13
	v_mov_b32_e32 v3, s3
	s_sub_i32 s2, 0, s13
	v_addc_co_u32_e32 v13, vcc, 0, v3, vcc
	v_rcp_iflag_f32_e32 v2, v2
	s_add_i32 s50, s50, -1
	s_mov_b32 s12, s17
	s_mov_b32 s17, s31
	v_mul_f32_e32 v2, 0x4f7ffffe, v2
	v_cvt_u32_f32_e32 v2, v2
	s_mov_b32 s18, s31
	s_mov_b32 s19, s31
	;; [unrolled: 1-line block ×3, first 2 shown]
	v_mul_lo_u32 v3, s2, v2
	s_lshl_b64 s[2:3], s[36:37], 2
	v_mul_hi_u32 v3, v2, v3
	s_add_u32 s2, s34, s2
	v_add_u32_e32 v14, v2, v3
	v_lshlrev_b64 v[2:3], 2, v[6:7]
	s_addc_u32 s3, s35, s3
	v_mov_b32_e32 v5, s3
	v_add_co_u32_e32 v8, vcc, s2, v2
	v_mov_b32_e32 v2, 0x90
	s_mov_b32 s22, s31
	s_mov_b32 s24, s31
	;; [unrolled: 1-line block ×3, first 2 shown]
	v_addc_co_u32_e32 v9, vcc, v5, v3, vcc
	v_lshl_add_u32 v7, v4, 5, v2
	s_mov_b64 s[8:9], 0
	v_mov_b32_e32 v11, 0
	s_mov_b32 s26, 0x5040100
	s_branch .LBB65_51
.LBB65_49:                              ;   in Loop: Header=BB65_51 Depth=1
	s_or_b64 exec, exec, s[10:11]
	v_and_b32_e32 v15, 0xffff, v15
	v_lshl_or_b32 v15, v16, 16, v15
	v_and_b32_e32 v16, 0xffff, v17
	v_lshl_or_b32 v16, v18, 16, v16
	v_and_b32_e32 v17, 0xffff, v19
	v_and_b32_e32 v18, 0xffff, v21
	s_waitcnt vmcnt(0)
	;;#ASMSTART
	v_pk_mul_f16 v2, v15, v2;

	;;#ASMEND
	v_lshl_or_b32 v17, v20, 16, v17
	v_lshl_or_b32 v18, v22, 16, v18
	;;#ASMSTART
	v_pk_mul_f16 v3, v16, v3;

	;;#ASMEND
	;;#ASMSTART
	v_pk_mul_f16 v4, v17, v4;

	;;#ASMEND
	;; [unrolled: 4-line block ×3, first 2 shown]
	;;#ASMSTART
	v_pk_add_f16 v2, v2, v3;

	;;#ASMEND
	;;#ASMSTART
	v_pk_add_f16 v2, v2, v4;

	;;#ASMEND
	;; [unrolled: 4-line block ×3, first 2 shown]
	v_lshrrev_b32_e32 v3, 16, v2
	v_and_b32_e32 v2, 0xffff, v2
	;;#ASMSTART
	v_cvt_f32_f16 v2, v2;
	;;#ASMEND
	;;#ASMSTART
	v_cvt_f32_f16 v3, v3;
	;;#ASMEND
	v_add_f32_e32 v2, v2, v3
	v_add_f32_e32 v11, v11, v2
.LBB65_50:                              ;   in Loop: Header=BB65_51 Depth=1
	s_or_b64 exec, exec, s[2:3]
	v_add_co_u32_e32 v8, vcc, 8, v8
	v_add_u32_e32 v6, 2, v6
	v_addc_co_u32_e32 v9, vcc, 0, v9, vcc
	v_cmp_le_i32_e32 vcc, s49, v6
	v_add_u32_e32 v1, 16, v1
	s_or_b64 s[8:9], vcc, s[8:9]
	v_add_u32_e32 v7, 64, v7
	s_andn2_b64 exec, exec, s[8:9]
	s_cbranch_execz .LBB65_54
.LBB65_51:                              ; =>This Inner Loop Header: Depth=1
	v_sub_u32_e32 v3, 0, v1
	v_max_i32_e32 v3, v1, v3
	v_mul_hi_u32 v4, v3, s33
	v_mul_lo_u32 v5, v4, s15
	v_sub_u32_e32 v3, v3, v5
	v_add_u32_e32 v5, 1, v4
	v_cmp_le_u32_e32 vcc, s15, v3
	v_cndmask_b32_e32 v4, v4, v5, vcc
	v_subrev_u32_e32 v5, s15, v3
	v_cndmask_b32_e32 v3, v3, v5, vcc
	v_ashrrev_i32_e32 v2, 31, v1
	v_add_u32_e32 v5, 1, v4
	v_cmp_le_u32_e32 vcc, s15, v3
	v_xor_b32_e32 v2, s23, v2
	v_cndmask_b32_e32 v3, v4, v5, vcc
	v_xor_b32_e32 v3, v3, v2
	v_sub_u32_e32 v2, v3, v2
	v_add_u32_e32 v3, s48, v2
	v_sub_u32_e32 v5, 0, v3
	v_ashrrev_i32_e32 v4, 31, v3
	v_max_i32_e32 v3, v3, v5
	v_mul_hi_u32 v5, v3, v14
	v_mul_lo_u32 v5, v5, s13
	v_sub_u32_e32 v3, v3, v5
	v_subrev_u32_e32 v5, s13, v3
	v_cmp_le_u32_e32 vcc, s13, v3
	v_cndmask_b32_e32 v3, v3, v5, vcc
	v_subrev_u32_e32 v5, s13, v3
	v_cmp_le_u32_e32 vcc, s13, v3
	v_cndmask_b32_e32 v3, v3, v5, vcc
	v_xor_b32_e32 v3, v3, v4
	v_sub_u32_e32 v3, v3, v4
	v_cmp_eq_u32_e32 vcc, 0, v3
	v_cmp_lt_i32_e64 s[2:3], s5, v2
	s_or_b64 s[10:11], vcc, s[2:3]
	s_and_saveexec_b64 s[2:3], s[10:11]
	s_cbranch_execz .LBB65_50
; %bb.52:                               ;   in Loop: Header=BB65_51 Depth=1
	global_load_dword v24, v[8:9], off
	ds_read2_b64 v[2:5], v7 offset1:1
	ds_read2_b64 v[20:23], v7 offset0:2 offset1:3
	s_waitcnt lgkmcnt(1)
	;;#ASMSTART
	v_cvt_f16_f32 v15, v2;

	;;#ASMEND
	;;#ASMSTART
	v_cvt_f16_f32 v16, v3;

	;;#ASMEND
	;; [unrolled: 4-line block ×4, first 2 shown]
	s_waitcnt lgkmcnt(0)
	;;#ASMSTART
	v_cvt_f16_f32 v19, v20;

	;;#ASMEND
	;;#ASMSTART
	v_cvt_f16_f32 v20, v21;

	;;#ASMEND
	;; [unrolled: 4-line block ×4, first 2 shown]
	s_waitcnt vmcnt(0)
	v_mad_i64_i32 v[2:3], s[10:11], v24, s12, 0
	v_lshlrev_b64 v[2:3], 1, v[2:3]
	v_add_co_u32_e32 v2, vcc, v12, v2
	v_addc_co_u32_e32 v3, vcc, v13, v3, vcc
	global_load_dwordx4 v[2:5], v[2:3], off
	v_cmp_eq_u32_e32 vcc, s50, v6
	s_and_saveexec_b64 s[10:11], vcc
	s_cbranch_execz .LBB65_49
; %bb.53:                               ;   in Loop: Header=BB65_51 Depth=1
	v_or_b32_e32 v28, 7, v1
	v_or_b32_e32 v29, 6, v1
	s_waitcnt vmcnt(0)
	v_lshrrev_b32_e32 v30, 16, v5
	v_cmp_gt_i32_e32 vcc, s25, v28
	v_cndmask_b32_e32 v28, 0, v30, vcc
	v_cmp_gt_i32_e32 vcc, s24, v29
	v_or_b32_e32 v26, 5, v1
	v_cndmask_b32_e32 v5, 0, v5, vcc
	v_or_b32_e32 v27, 4, v1
	v_perm_b32 v5, v28, v5, s26
	v_lshrrev_b32_e32 v28, 16, v4
	v_cmp_gt_i32_e32 vcc, s22, v26
	v_cndmask_b32_e32 v26, 0, v28, vcc
	v_cmp_gt_i32_e32 vcc, s21, v27
	v_or_b32_e32 v24, 3, v1
	v_cndmask_b32_e32 v4, 0, v4, vcc
	v_or_b32_e32 v25, 2, v1
	v_perm_b32 v4, v26, v4, s26
	v_lshrrev_b32_e32 v26, 16, v3
	v_cmp_gt_i32_e32 vcc, s19, v24
	v_cndmask_b32_e32 v24, 0, v26, vcc
	v_cmp_gt_i32_e32 vcc, s18, v25
	v_add_u32_e32 v23, 1, v1
	v_cndmask_b32_e32 v3, 0, v3, vcc
	v_perm_b32 v3, v24, v3, s26
	v_lshrrev_b32_e32 v24, 16, v2
	v_cmp_gt_i32_e32 vcc, s17, v23
	v_cndmask_b32_e32 v23, 0, v24, vcc
	v_cmp_gt_i32_e32 vcc, s31, v1
	v_cndmask_b32_e32 v2, 0, v2, vcc
	v_perm_b32 v2, v23, v2, s26
	s_branch .LBB65_49
.LBB65_54:
	s_or_b64 exec, exec, s[8:9]
.LBB65_55:
	s_or_b64 exec, exec, s[6:7]
	v_and_b32_e32 v0, 0x3c0, v0
	v_cmp_eq_u32_e32 vcc, 64, v0
	s_barrier
	s_and_saveexec_b64 s[2:3], vcc
	s_cbranch_execz .LBB65_57
; %bb.56:
	v_mov_b32_e32 v0, 0x90
	v_lshl_add_u32 v0, v10, 2, v0
	ds_write_b32 v0, v11
.LBB65_57:
	s_or_b64 exec, exec, s[2:3]
	s_waitcnt lgkmcnt(0)
	s_barrier
	s_and_saveexec_b64 s[2:3], s[0:1]
	s_cbranch_execz .LBB65_59
; %bb.58:
	v_mov_b32_e32 v0, 0x90
	v_lshl_add_u32 v0, v10, 2, v0
	ds_read_b32 v0, v0
	s_waitcnt lgkmcnt(0)
	v_add_f32_e32 v11, v11, v0
.LBB65_59:
	s_or_b64 exec, exec, s[2:3]
	s_barrier
	s_and_saveexec_b64 s[2:3], s[0:1]
	s_cbranch_execz .LBB65_61
; %bb.60:
	s_lshl_b32 s0, s4, 6
	s_ashr_i32 s1, s0, 31
	s_lshl_b64 s[0:1], s[0:1], 1
	s_add_u32 s2, s28, s0
	s_mul_i32 s0, s20, s14
	s_addc_u32 s3, s29, s1
	s_ashr_i32 s1, s0, 31
	s_lshl_b64 s[0:1], s[0:1], 1
	s_add_u32 s2, s2, s0
	s_addc_u32 s3, s3, s1
	s_ashr_i32 s17, s16, 31
	s_lshl_b64 s[0:1], s[16:17], 1
	s_add_u32 s0, s2, s0
	s_addc_u32 s1, s3, s1
	v_lshlrev_b32_e32 v0, 1, v10
	;;#ASMSTART
	v_cvt_f16_f32 v1, v11;

	;;#ASMEND
	global_store_short v0, v1, s[0:1]
.LBB65_61:
	s_endpgm
	.section	.rodata,"a",@progbits
	.p2align	6, 0x0
	.amdhsa_kernel _ZN4vllm25paged_attention_v2_kernelIttLi64ELi8ELi128ELNS_18Fp8KVCacheDataTypeE0ELb1ELi512EEEvPfS2_PT_PKS3_PKT0_S9_ifPKiSB_iPKfiiiSD_SD_iiiii
		.amdhsa_group_segment_fixed_size 144
		.amdhsa_private_segment_fixed_size 0
		.amdhsa_kernarg_size 400
		.amdhsa_user_sgpr_count 6
		.amdhsa_user_sgpr_private_segment_buffer 1
		.amdhsa_user_sgpr_dispatch_ptr 0
		.amdhsa_user_sgpr_queue_ptr 0
		.amdhsa_user_sgpr_kernarg_segment_ptr 1
		.amdhsa_user_sgpr_dispatch_id 0
		.amdhsa_user_sgpr_flat_scratch_init 0
		.amdhsa_user_sgpr_kernarg_preload_length 0
		.amdhsa_user_sgpr_kernarg_preload_offset 0
		.amdhsa_user_sgpr_private_segment_size 0
		.amdhsa_uses_dynamic_stack 0
		.amdhsa_system_sgpr_private_segment_wavefront_offset 0
		.amdhsa_system_sgpr_workgroup_id_x 1
		.amdhsa_system_sgpr_workgroup_id_y 1
		.amdhsa_system_sgpr_workgroup_id_z 1
		.amdhsa_system_sgpr_workgroup_info 0
		.amdhsa_system_vgpr_workitem_id 0
		.amdhsa_next_free_vgpr 40
		.amdhsa_next_free_sgpr 54
		.amdhsa_accum_offset 40
		.amdhsa_reserve_vcc 1
		.amdhsa_reserve_flat_scratch 0
		.amdhsa_float_round_mode_32 0
		.amdhsa_float_round_mode_16_64 0
		.amdhsa_float_denorm_mode_32 3
		.amdhsa_float_denorm_mode_16_64 3
		.amdhsa_dx10_clamp 1
		.amdhsa_ieee_mode 1
		.amdhsa_fp16_overflow 0
		.amdhsa_tg_split 0
		.amdhsa_exception_fp_ieee_invalid_op 0
		.amdhsa_exception_fp_denorm_src 0
		.amdhsa_exception_fp_ieee_div_zero 0
		.amdhsa_exception_fp_ieee_overflow 0
		.amdhsa_exception_fp_ieee_underflow 0
		.amdhsa_exception_fp_ieee_inexact 0
		.amdhsa_exception_int_div_zero 0
	.end_amdhsa_kernel
	.section	.text._ZN4vllm25paged_attention_v2_kernelIttLi64ELi8ELi128ELNS_18Fp8KVCacheDataTypeE0ELb1ELi512EEEvPfS2_PT_PKS3_PKT0_S9_ifPKiSB_iPKfiiiSD_SD_iiiii,"axG",@progbits,_ZN4vllm25paged_attention_v2_kernelIttLi64ELi8ELi128ELNS_18Fp8KVCacheDataTypeE0ELb1ELi512EEEvPfS2_PT_PKS3_PKT0_S9_ifPKiSB_iPKfiiiSD_SD_iiiii,comdat
.Lfunc_end65:
	.size	_ZN4vllm25paged_attention_v2_kernelIttLi64ELi8ELi128ELNS_18Fp8KVCacheDataTypeE0ELb1ELi512EEEvPfS2_PT_PKS3_PKT0_S9_ifPKiSB_iPKfiiiSD_SD_iiiii, .Lfunc_end65-_ZN4vllm25paged_attention_v2_kernelIttLi64ELi8ELi128ELNS_18Fp8KVCacheDataTypeE0ELb1ELi512EEEvPfS2_PT_PKS3_PKT0_S9_ifPKiSB_iPKfiiiSD_SD_iiiii
                                        ; -- End function
	.section	.AMDGPU.csdata,"",@progbits
; Kernel info:
; codeLenInByte = 4532
; NumSgprs: 58
; NumVgprs: 40
; NumAgprs: 0
; TotalNumVgprs: 40
; ScratchSize: 0
; MemoryBound: 0
; FloatMode: 240
; IeeeMode: 1
; LDSByteSize: 144 bytes/workgroup (compile time only)
; SGPRBlocks: 7
; VGPRBlocks: 4
; NumSGPRsForWavesPerEU: 58
; NumVGPRsForWavesPerEU: 40
; AccumOffset: 40
; Occupancy: 8
; WaveLimiterHint : 1
; COMPUTE_PGM_RSRC2:SCRATCH_EN: 0
; COMPUTE_PGM_RSRC2:USER_SGPR: 6
; COMPUTE_PGM_RSRC2:TRAP_HANDLER: 0
; COMPUTE_PGM_RSRC2:TGID_X_EN: 1
; COMPUTE_PGM_RSRC2:TGID_Y_EN: 1
; COMPUTE_PGM_RSRC2:TGID_Z_EN: 1
; COMPUTE_PGM_RSRC2:TIDIG_COMP_CNT: 0
; COMPUTE_PGM_RSRC3_GFX90A:ACCUM_OFFSET: 9
; COMPUTE_PGM_RSRC3_GFX90A:TG_SPLIT: 0
	.section	.text._ZN4vllm32paged_attention_v2_reduce_kernelItLi64ELi128ELi512EEEvPT_PKfS4_PKS1_PKii,"axG",@progbits,_ZN4vllm32paged_attention_v2_reduce_kernelItLi64ELi128ELi512EEEvPT_PKfS4_PKS1_PKii,comdat
	.protected	_ZN4vllm32paged_attention_v2_reduce_kernelItLi64ELi128ELi512EEEvPT_PKfS4_PKS1_PKii ; -- Begin function _ZN4vllm32paged_attention_v2_reduce_kernelItLi64ELi128ELi512EEEvPT_PKfS4_PKS1_PKii
	.globl	_ZN4vllm32paged_attention_v2_reduce_kernelItLi64ELi128ELi512EEEvPT_PKfS4_PKS1_PKii
	.p2align	8
	.type	_ZN4vllm32paged_attention_v2_reduce_kernelItLi64ELi128ELi512EEEvPT_PKfS4_PKS1_PKii,@function
_ZN4vllm32paged_attention_v2_reduce_kernelItLi64ELi128ELi512EEEvPT_PKfS4_PKS1_PKii: ; @_ZN4vllm32paged_attention_v2_reduce_kernelItLi64ELi128ELi512EEEvPT_PKfS4_PKS1_PKii
; %bb.0:
	s_load_dwordx4 s[8:11], s[4:5], 0x18
	s_add_u32 s12, s4, 48
	s_mov_b32 s14, s7
	s_addc_u32 s13, s5, 0
	s_ashr_i32 s15, s7, 31
	s_lshl_b64 s[0:1], s[14:15], 2
	s_waitcnt lgkmcnt(0)
	s_add_u32 s0, s10, s0
	s_addc_u32 s1, s11, s1
	s_load_dword s24, s[0:1], 0x0
	s_load_dwordx2 s[10:11], s[4:5], 0x0
	s_load_dword s7, s[4:5], 0x28
	s_load_dword s15, s[4:5], 0x30
	s_waitcnt lgkmcnt(0)
	s_add_i32 s0, s24, -1
	s_cmpk_gt_u32 s0, 0x1ff
	s_mov_b64 s[0:1], -1
	s_cbranch_scc0 .LBB66_25
; %bb.1:
	s_add_i32 s0, s24, 0x1ff
	s_load_dwordx2 s[20:21], s[4:5], 0x8
	s_ashr_i32 s1, s0, 31
	s_lshr_b32 s1, s1, 23
	s_add_i32 s0, s0, s1
	s_mul_i32 s22, s15, s14
	s_ashr_i32 s23, s0, 9
	s_mul_i32 s16, s22, s7
	s_mul_i32 s18, s6, s7
	s_ashr_i32 s17, s16, 31
	s_ashr_i32 s19, s18, 31
	v_cmp_gt_i32_e32 vcc, s23, v0
	v_mov_b32_e32 v5, 0xff7fffff
	v_lshlrev_b32_e32 v1, 2, v0
	s_and_saveexec_b64 s[2:3], vcc
	s_cbranch_execz .LBB66_5
; %bb.2:
	s_load_dword s25, s[12:13], 0xc
	s_load_dwordx2 s[0:1], s[4:5], 0x10
	s_lshl_b64 s[4:5], s[16:17], 2
	s_lshl_b64 s[26:27], s[18:19], 2
	s_mov_b32 s28, 0
	s_waitcnt lgkmcnt(0)
	s_and_b32 s25, s25, 0xffff
	s_add_u32 s4, s4, s26
	s_addc_u32 s5, s5, s27
	s_add_u32 s0, s0, s4
	s_addc_u32 s1, s1, s5
	v_mov_b32_e32 v3, s1
	v_add_co_u32_e64 v2, s[0:1], s0, v1
	v_addc_co_u32_e64 v3, s[0:1], 0, v3, s[0:1]
	s_lshl_b32 s26, s25, 2
	v_add_u32_e32 v4, 16, v1
	s_mov_b64 s[4:5], 0
	v_mov_b32_e32 v5, 0xff7fffff
	v_mov_b32_e32 v6, s28
	;; [unrolled: 1-line block ×3, first 2 shown]
.LBB66_3:                               ; =>This Inner Loop Header: Depth=1
	global_load_dword v8, v[2:3], off
	v_add_co_u32_e64 v2, s[0:1], s26, v2
	v_add_u32_e32 v7, s25, v7
	v_addc_co_u32_e64 v3, s[0:1], v3, v6, s[0:1]
	v_max_f32_e32 v5, v5, v5
	v_cmp_le_i32_e64 s[0:1], s23, v7
	s_or_b64 s[4:5], s[0:1], s[4:5]
	s_waitcnt vmcnt(0)
	ds_write_b32 v4, v8
	v_max_f32_e32 v8, v8, v8
	v_add_u32_e32 v4, s26, v4
	v_max_f32_e32 v5, v5, v8
	s_andn2_b64 exec, exec, s[4:5]
	s_cbranch_execnz .LBB66_3
; %bb.4:
	s_or_b64 exec, exec, s[4:5]
.LBB66_5:
	s_or_b64 exec, exec, s[2:3]
	v_mbcnt_lo_u32_b32 v2, -1, 0
	v_mbcnt_hi_u32_b32 v2, -1, v2
	v_and_b32_e32 v3, 64, v2
	v_add_u32_e32 v6, 64, v3
	v_xor_b32_e32 v3, 32, v2
	v_cmp_lt_i32_e64 s[0:1], v3, v6
	v_cndmask_b32_e64 v3, v2, v3, s[0:1]
	v_lshlrev_b32_e32 v4, 2, v3
	ds_bpermute_b32 v3, v4, v5
	v_xor_b32_e32 v7, 16, v2
	v_max_f32_e32 v5, v5, v5
	v_cmp_lt_i32_e64 s[0:1], v7, v6
	v_xor_b32_e32 v8, 8, v2
	s_waitcnt lgkmcnt(0)
	v_max_f32_e32 v3, v3, v3
	v_max_f32_e32 v3, v5, v3
	v_cndmask_b32_e64 v5, v2, v7, s[0:1]
	v_lshlrev_b32_e32 v5, 2, v5
	ds_bpermute_b32 v7, v5, v3
	v_cmp_lt_i32_e64 s[0:1], v8, v6
	v_xor_b32_e32 v9, 4, v2
	v_xor_b32_e32 v10, 2, v2
	v_lshrrev_b32_e32 v13, 6, v0
	s_waitcnt lgkmcnt(0)
	v_max_f32_e32 v7, v7, v7
	v_max_f32_e32 v3, v3, v7
	v_cndmask_b32_e64 v7, v2, v8, s[0:1]
	v_lshlrev_b32_e32 v7, 2, v7
	ds_bpermute_b32 v8, v7, v3
	v_cmp_lt_i32_e64 s[0:1], v9, v6
	s_waitcnt lgkmcnt(0)
	s_barrier
	v_max_f32_e32 v8, v8, v8
	v_max_f32_e32 v3, v3, v8
	v_cndmask_b32_e64 v8, v2, v9, s[0:1]
	v_lshlrev_b32_e32 v8, 2, v8
	ds_bpermute_b32 v9, v8, v3
	v_cmp_lt_i32_e64 s[0:1], v10, v6
	s_waitcnt lgkmcnt(0)
	v_max_f32_e32 v9, v9, v9
	v_max_f32_e32 v11, v3, v9
	v_cndmask_b32_e64 v3, v2, v10, s[0:1]
	v_lshlrev_b32_e32 v9, 2, v3
	ds_bpermute_b32 v10, v9, v11
	v_and_b32_e32 v3, 63, v0
	s_waitcnt lgkmcnt(0)
	v_max_f32_e32 v10, v10, v10
	v_max_f32_e32 v11, v11, v10
	v_xor_b32_e32 v10, 1, v2
	v_cmp_lt_i32_e64 s[0:1], v10, v6
	v_cndmask_b32_e64 v6, v2, v10, s[0:1]
	v_lshlrev_b32_e32 v6, 2, v6
	ds_bpermute_b32 v12, v6, v11
	v_cmp_eq_u32_e64 s[0:1], 0, v3
	v_lshlrev_b32_e32 v10, 2, v13
	s_and_saveexec_b64 s[2:3], s[0:1]
	s_cbranch_execz .LBB66_7
; %bb.6:
	s_waitcnt lgkmcnt(0)
	v_max_f32_e32 v12, v12, v12
	v_max_f32_e32 v11, v11, v11
	;; [unrolled: 1-line block ×3, first 2 shown]
	ds_write_b32 v10, v11
.LBB66_7:
	s_or_b64 exec, exec, s[2:3]
	v_cmp_gt_u32_e64 s[2:3], 2, v3
	s_waitcnt lgkmcnt(0)
	v_mov_b32_e32 v12, 0xff7fffff
	v_lshlrev_b32_e32 v11, 2, v3
	s_barrier
	s_and_saveexec_b64 s[4:5], s[2:3]
	s_cbranch_execz .LBB66_9
; %bb.8:
	ds_read_b32 v12, v11
.LBB66_9:
	s_or_b64 exec, exec, s[4:5]
	s_waitcnt lgkmcnt(0)
	ds_bpermute_b32 v3, v6, v12
	v_max_f32_e32 v12, v12, v12
	v_lshlrev_b32_e32 v2, 2, v2
	s_lshl_b32 s25, s23, 2
	v_mov_b32_e32 v14, 0
	s_waitcnt lgkmcnt(0)
	v_max_f32_e32 v3, v3, v3
	v_max_f32_e32 v3, v12, v3
	v_and_b32_e32 v12, 0x100, v2
	ds_bpermute_b32 v13, v12, v3
	s_and_saveexec_b64 s[4:5], vcc
	s_cbranch_execz .LBB66_13
; %bb.10:
	s_load_dword s30, s[12:13], 0xc
	s_lshl_b64 s[26:27], s[16:17], 2
	s_lshl_b64 s[28:29], s[18:19], 2
	s_mov_b32 s31, 0
	v_mov_b32_e32 v14, 0
	s_waitcnt lgkmcnt(0)
	s_and_b32 s17, s30, 0xffff
	s_add_u32 s19, s26, s28
	s_addc_u32 s26, s27, s29
	s_add_u32 s19, s20, s19
	s_addc_u32 s20, s21, s26
	v_mov_b32_e32 v3, s20
	v_add_co_u32_e32 v2, vcc, s19, v1
	v_addc_co_u32_e32 v3, vcc, 0, v3, vcc
	s_lshl_b32 s19, s17, 2
	v_add_u32_e32 v1, 16, v1
	s_mov_b64 s[20:21], 0
	s_mov_b32 s26, 0x3fb8aa3b
	s_mov_b32 s27, 0xc2ce8ed0
	s_mov_b32 s28, 0x42b17218
	v_mov_b32_e32 v15, 0x7f800000
	v_mov_b32_e32 v16, s31
	;; [unrolled: 1-line block ×3, first 2 shown]
.LBB66_11:                              ; =>This Inner Loop Header: Depth=1
	global_load_dword v18, v[2:3], off
	ds_read_b32 v19, v1
	v_add_co_u32_e32 v2, vcc, s19, v2
	v_add_u32_e32 v17, s17, v17
	v_addc_co_u32_e32 v3, vcc, v3, v16, vcc
	s_waitcnt lgkmcnt(0)
	v_sub_f32_e32 v19, v19, v13
	v_mul_f32_e32 v21, 0x3fb8aa3b, v19
	v_fma_f32 v22, v19, s26, -v21
	v_rndne_f32_e32 v23, v21
	v_fmac_f32_e32 v22, 0x32a5705f, v19
	v_sub_f32_e32 v21, v21, v23
	v_add_f32_e32 v21, v21, v22
	v_cvt_i32_f32_e32 v23, v23
	v_exp_f32_e32 v21, v21
	v_cmp_le_i32_e32 vcc, s23, v17
	s_or_b64 s[20:21], vcc, s[20:21]
	v_cmp_ngt_f32_e32 vcc, s27, v19
	v_ldexp_f32 v21, v21, v23
	v_cndmask_b32_e32 v21, 0, v21, vcc
	v_cmp_nlt_f32_e32 vcc, s28, v19
	v_cndmask_b32_e32 v19, v15, v21, vcc
	v_add_u32_e32 v20, s25, v1
	v_add_u32_e32 v1, s19, v1
	s_waitcnt vmcnt(0)
	v_mul_f32_e32 v21, v18, v19
	v_fmac_f32_e32 v14, v18, v19
	ds_write_b32 v20, v21
	s_andn2_b64 exec, exec, s[20:21]
	s_cbranch_execnz .LBB66_11
; %bb.12:
	s_or_b64 exec, exec, s[20:21]
.LBB66_13:
	s_or_b64 exec, exec, s[4:5]
	ds_bpermute_b32 v1, v4, v14
	s_waitcnt lgkmcnt(0)
	s_barrier
	v_add_f32_e32 v1, v14, v1
	ds_bpermute_b32 v2, v5, v1
	s_waitcnt lgkmcnt(0)
	v_add_f32_e32 v1, v1, v2
	ds_bpermute_b32 v2, v7, v1
	s_waitcnt lgkmcnt(0)
	;; [unrolled: 3-line block ×5, first 2 shown]
	v_add_f32_e32 v1, v1, v2
	s_and_saveexec_b64 s[4:5], s[0:1]
	s_cbranch_execz .LBB66_15
; %bb.14:
	ds_write_b32 v10, v1 offset:8
.LBB66_15:
	s_or_b64 exec, exec, s[4:5]
	s_waitcnt lgkmcnt(0)
	s_barrier
	s_and_saveexec_b64 s[0:1], s[2:3]
	s_cbranch_execz .LBB66_17
; %bb.16:
	ds_read_b32 v1, v11 offset:8
.LBB66_17:
	s_or_b64 exec, exec, s[0:1]
	s_waitcnt lgkmcnt(0)
	ds_bpermute_b32 v2, v6, v1
	v_cmp_gt_u32_e32 vcc, 64, v0
	s_waitcnt lgkmcnt(0)
	v_add_f32_e32 v1, v1, v2
	ds_bpermute_b32 v2, v12, v1
	s_and_saveexec_b64 s[0:1], vcc
	s_cbranch_execz .LBB66_24
; %bb.18:
	s_cmp_gt_i32 s24, 0
	s_mov_b32 s4, 0
	s_cbranch_scc1 .LBB66_20
; %bb.19:
	v_mov_b32_e32 v1, 0
	v_mov_b32_e32 v4, s4
	s_cbranch_execz .LBB66_21
	s_branch .LBB66_23
.LBB66_20:
                                        ; implicit-def: $sgpr4
	v_mov_b32_e32 v4, s4
.LBB66_21:
	s_waitcnt lgkmcnt(0)
	v_add_f32_e32 v1, 0x358637bd, v2
	v_div_scale_f32 v2, s[2:3], v1, v1, 1.0
	v_rcp_f32_e32 v3, v2
	s_lshl_b32 s4, s16, 6
	s_lshl_b32 s16, s18, 6
	s_ashr_i32 s5, s4, 31
	v_fma_f32 v4, -v2, v3, 1.0
	v_fmac_f32_e32 v3, v4, v3
	v_div_scale_f32 v4, vcc, 1.0, v1, 1.0
	v_mul_f32_e32 v5, v4, v3
	s_ashr_i32 s17, s16, 31
	s_max_i32 s2, s23, 1
	v_fma_f32 v6, -v2, v5, v4
	s_add_i32 s3, s25, 16
	s_lshl_b64 s[4:5], s[4:5], 1
	s_lshl_b64 s[16:17], s[16:17], 1
	v_fmac_f32_e32 v5, v6, v3
	s_add_u32 s4, s4, s16
	v_fma_f32 v2, -v2, v5, v4
	s_addc_u32 s5, s5, s17
	v_div_fmas_f32 v2, v2, v3, v5
	s_add_u32 s4, s8, s4
	v_div_fixup_f32 v5, v2, v1, 1.0
	v_lshlrev_b32_e32 v2, 1, v0
	s_addc_u32 s5, s9, s5
	v_mov_b32_e32 v1, 0
	v_mov_b32_e32 v3, s5
	v_add_co_u32_e32 v2, vcc, s4, v2
	v_addc_co_u32_e32 v3, vcc, 0, v3, vcc
	v_mov_b32_e32 v4, v1
.LBB66_22:                              ; =>This Inner Loop Header: Depth=1
	global_load_ushort v6, v[2:3], off
	v_mov_b32_e32 v7, s3
	s_waitcnt vmcnt(0)
	;;#ASMSTART
	v_cvt_f32_f16 v6, v6;
	;;#ASMEND
	ds_read_b32 v7, v7
	s_add_i32 s2, s2, -1
	v_add_co_u32_e32 v2, vcc, 0x80, v2
	s_add_i32 s3, s3, 4
	s_waitcnt lgkmcnt(0)
	v_mul_f32_e32 v6, v6, v7
	v_addc_co_u32_e32 v3, vcc, 0, v3, vcc
	s_cmp_eq_u32 s2, 0
	v_fmac_f32_e32 v4, v5, v6
	s_cbranch_scc0 .LBB66_22
.LBB66_23:
	s_lshl_b32 s2, s22, 6
	s_ashr_i32 s3, s2, 31
	s_lshl_b64 s[2:3], s[2:3], 1
	s_add_u32 s4, s10, s2
	s_addc_u32 s5, s11, s3
	s_lshl_b32 s2, s6, 6
	s_ashr_i32 s3, s2, 31
	s_lshl_b64 s[2:3], s[2:3], 1
	s_add_u32 s2, s4, s2
	s_addc_u32 s3, s5, s3
	s_waitcnt lgkmcnt(0)
	v_lshlrev_b64 v[2:3], 1, v[0:1]
	v_mov_b32_e32 v1, s3
	v_add_co_u32_e32 v2, vcc, s2, v2
	v_addc_co_u32_e32 v3, vcc, v1, v3, vcc
	;;#ASMSTART
	v_cvt_f16_f32 v1, v4;

	;;#ASMEND
	global_store_short v[2:3], v1, off
.LBB66_24:
	s_or_b64 exec, exec, s[0:1]
	s_mov_b64 s[0:1], 0
.LBB66_25:
	s_and_b64 vcc, exec, s[0:1]
	s_cbranch_vccz .LBB66_34
; %bb.26:
	v_cmp_gt_u32_e32 vcc, 64, v0
	s_and_saveexec_b64 s[0:1], vcc
	s_cbranch_execz .LBB66_34
; %bb.27:
	s_mul_i32 s15, s15, s14
	s_lshl_b32 s0, s15, 6
	s_ashr_i32 s1, s0, 31
	s_lshl_b64 s[0:1], s[0:1], 1
	s_add_u32 s2, s10, s0
	s_addc_u32 s3, s11, s1
	s_lshl_b32 s0, s6, 6
	s_ashr_i32 s1, s0, 31
	s_lshl_b64 s[0:1], s[0:1], 1
	s_add_u32 s4, s2, s0
	s_mul_i32 s0, s7, s15
	s_addc_u32 s10, s3, s1
	s_lshl_b32 s0, s0, 6
	s_ashr_i32 s1, s0, 31
	s_lshl_b64 s[0:1], s[0:1], 1
	s_add_u32 s2, s8, s0
	s_mul_i32 s6, s6, s7
	s_addc_u32 s3, s9, s1
	s_lshl_b32 s0, s6, 6
	s_load_dword s6, s[12:13], 0xc
	s_ashr_i32 s1, s0, 31
	s_lshl_b64 s[0:1], s[0:1], 1
	s_add_u32 s5, s2, s0
	s_addc_u32 s7, s3, s1
	s_waitcnt lgkmcnt(0)
	s_and_b32 s6, s6, 0xffff
	v_cvt_f32_u32_e32 v1, s6
	v_add_u32_e32 v2, s6, v0
	v_mov_b32_e32 v4, s6
	v_cmp_gt_u32_e32 vcc, 64, v2
	v_rcp_iflag_f32_e32 v1, v1
	s_cmp_eq_u32 s6, 1
	v_max_u32_e32 v3, 64, v2
	v_addc_co_u32_e64 v2, s[0:1], v0, v4, vcc
	v_mul_f32_e32 v1, 0x4f7ffffe, v1
	v_cvt_u32_f32_e32 v1, v1
	s_cselect_b64 s[2:3], -1, 0
	s_sub_i32 s0, 0, s6
	v_sub_u32_e32 v2, v3, v2
	v_mul_lo_u32 v3, s0, v1
	v_mul_hi_u32 v3, v1, v3
	v_add_u32_e32 v1, v1, v3
	v_mul_hi_u32 v1, v2, v1
	v_mul_lo_u32 v3, v1, s6
	v_sub_u32_e32 v2, v2, v3
	v_add_u32_e32 v3, 1, v1
	v_cmp_le_u32_e64 s[0:1], s6, v2
	v_cndmask_b32_e64 v1, v1, v3, s[0:1]
	v_subrev_u32_e32 v3, s6, v2
	v_cndmask_b32_e64 v2, v2, v3, s[0:1]
	v_add_u32_e32 v3, 1, v1
	v_cmp_le_u32_e64 s[0:1], s6, v2
	v_cndmask_b32_e64 v1, v1, v3, s[0:1]
	v_addc_co_u32_e32 v1, vcc, 1, v1, vcc
	v_cmp_lt_u32_e32 vcc, 7, v1
	s_and_b64 s[8:9], vcc, s[2:3]
	s_mov_b64 s[2:3], -1
	s_and_saveexec_b64 s[0:1], s[8:9]
	s_cbranch_execz .LBB66_31
; %bb.28:
	v_and_b32_e32 v4, -8, v1
	s_mov_b64 s[2:3], 0
	v_mov_b32_e32 v3, 0
	v_mov_b32_e32 v5, s7
	;; [unrolled: 1-line block ×5, first 2 shown]
.LBB66_29:                              ; =>This Inner Loop Header: Depth=1
	v_lshlrev_b64 v[12:13], 1, v[2:3]
	v_add_co_u32_e32 v8, vcc, s5, v12
	v_addc_co_u32_e32 v9, vcc, v5, v13, vcc
	global_load_dwordx4 v[8:11], v[8:9], off
	v_add_co_u32_e32 v12, vcc, s4, v12
	v_add_u32_e32 v7, -8, v7
	v_addc_co_u32_e32 v13, vcc, v6, v13, vcc
	v_cmp_eq_u32_e32 vcc, 0, v7
	v_add_u32_e32 v2, 8, v2
	s_or_b64 s[2:3], vcc, s[2:3]
	s_waitcnt vmcnt(0)
	global_store_dwordx4 v[12:13], v[8:11], off
	s_andn2_b64 exec, exec, s[2:3]
	s_cbranch_execnz .LBB66_29
; %bb.30:
	s_or_b64 exec, exec, s[2:3]
	v_cmp_ne_u32_e32 vcc, v1, v4
	v_add_u32_e32 v0, v0, v4
	s_orn2_b64 s[2:3], vcc, exec
.LBB66_31:
	s_or_b64 exec, exec, s[0:1]
	s_and_b64 exec, exec, s[2:3]
	s_cbranch_execz .LBB66_34
; %bb.32:
	s_mov_b32 s3, 0
	v_mov_b32_e32 v1, 0
	v_lshlrev_b64 v[2:3], 1, v[0:1]
	s_lshl_b32 s2, s6, 1
	s_mov_b64 s[0:1], 0
	v_mov_b32_e32 v1, s7
	v_mov_b32_e32 v4, s10
	;; [unrolled: 1-line block ×3, first 2 shown]
.LBB66_33:                              ; =>This Inner Loop Header: Depth=1
	v_add_co_u32_e32 v6, vcc, s5, v2
	v_addc_co_u32_e32 v7, vcc, v1, v3, vcc
	global_load_ushort v8, v[6:7], off
	v_add_co_u32_e32 v6, vcc, s4, v2
	v_addc_co_u32_e32 v7, vcc, v4, v3, vcc
	v_add_co_u32_e32 v2, vcc, s2, v2
	v_add_u32_e32 v0, s6, v0
	v_addc_co_u32_e32 v3, vcc, v3, v5, vcc
	v_cmp_lt_u32_e32 vcc, 63, v0
	s_or_b64 s[0:1], vcc, s[0:1]
	s_waitcnt vmcnt(0)
	global_store_short v[6:7], v8, off
	s_andn2_b64 exec, exec, s[0:1]
	s_cbranch_execnz .LBB66_33
.LBB66_34:
	s_endpgm
	.section	.rodata,"a",@progbits
	.p2align	6, 0x0
	.amdhsa_kernel _ZN4vllm32paged_attention_v2_reduce_kernelItLi64ELi128ELi512EEEvPT_PKfS4_PKS1_PKii
		.amdhsa_group_segment_fixed_size 16
		.amdhsa_private_segment_fixed_size 0
		.amdhsa_kernarg_size 304
		.amdhsa_user_sgpr_count 6
		.amdhsa_user_sgpr_private_segment_buffer 1
		.amdhsa_user_sgpr_dispatch_ptr 0
		.amdhsa_user_sgpr_queue_ptr 0
		.amdhsa_user_sgpr_kernarg_segment_ptr 1
		.amdhsa_user_sgpr_dispatch_id 0
		.amdhsa_user_sgpr_flat_scratch_init 0
		.amdhsa_user_sgpr_kernarg_preload_length 0
		.amdhsa_user_sgpr_kernarg_preload_offset 0
		.amdhsa_user_sgpr_private_segment_size 0
		.amdhsa_uses_dynamic_stack 0
		.amdhsa_system_sgpr_private_segment_wavefront_offset 0
		.amdhsa_system_sgpr_workgroup_id_x 1
		.amdhsa_system_sgpr_workgroup_id_y 1
		.amdhsa_system_sgpr_workgroup_id_z 0
		.amdhsa_system_sgpr_workgroup_info 0
		.amdhsa_system_vgpr_workitem_id 0
		.amdhsa_next_free_vgpr 24
		.amdhsa_next_free_sgpr 32
		.amdhsa_accum_offset 24
		.amdhsa_reserve_vcc 1
		.amdhsa_reserve_flat_scratch 0
		.amdhsa_float_round_mode_32 0
		.amdhsa_float_round_mode_16_64 0
		.amdhsa_float_denorm_mode_32 3
		.amdhsa_float_denorm_mode_16_64 3
		.amdhsa_dx10_clamp 1
		.amdhsa_ieee_mode 1
		.amdhsa_fp16_overflow 0
		.amdhsa_tg_split 0
		.amdhsa_exception_fp_ieee_invalid_op 0
		.amdhsa_exception_fp_denorm_src 0
		.amdhsa_exception_fp_ieee_div_zero 0
		.amdhsa_exception_fp_ieee_overflow 0
		.amdhsa_exception_fp_ieee_underflow 0
		.amdhsa_exception_fp_ieee_inexact 0
		.amdhsa_exception_int_div_zero 0
	.end_amdhsa_kernel
	.section	.text._ZN4vllm32paged_attention_v2_reduce_kernelItLi64ELi128ELi512EEEvPT_PKfS4_PKS1_PKii,"axG",@progbits,_ZN4vllm32paged_attention_v2_reduce_kernelItLi64ELi128ELi512EEEvPT_PKfS4_PKS1_PKii,comdat
.Lfunc_end66:
	.size	_ZN4vllm32paged_attention_v2_reduce_kernelItLi64ELi128ELi512EEEvPT_PKfS4_PKS1_PKii, .Lfunc_end66-_ZN4vllm32paged_attention_v2_reduce_kernelItLi64ELi128ELi512EEEvPT_PKfS4_PKS1_PKii
                                        ; -- End function
	.section	.AMDGPU.csdata,"",@progbits
; Kernel info:
; codeLenInByte = 2152
; NumSgprs: 36
; NumVgprs: 24
; NumAgprs: 0
; TotalNumVgprs: 24
; ScratchSize: 0
; MemoryBound: 0
; FloatMode: 240
; IeeeMode: 1
; LDSByteSize: 16 bytes/workgroup (compile time only)
; SGPRBlocks: 4
; VGPRBlocks: 2
; NumSGPRsForWavesPerEU: 36
; NumVGPRsForWavesPerEU: 24
; AccumOffset: 24
; Occupancy: 8
; WaveLimiterHint : 0
; COMPUTE_PGM_RSRC2:SCRATCH_EN: 0
; COMPUTE_PGM_RSRC2:USER_SGPR: 6
; COMPUTE_PGM_RSRC2:TRAP_HANDLER: 0
; COMPUTE_PGM_RSRC2:TGID_X_EN: 1
; COMPUTE_PGM_RSRC2:TGID_Y_EN: 1
; COMPUTE_PGM_RSRC2:TGID_Z_EN: 0
; COMPUTE_PGM_RSRC2:TIDIG_COMP_CNT: 0
; COMPUTE_PGM_RSRC3_GFX90A:ACCUM_OFFSET: 5
; COMPUTE_PGM_RSRC3_GFX90A:TG_SPLIT: 0
	.section	.text._ZN4vllm25paged_attention_v2_kernelIttLi80ELi8ELi128ELNS_18Fp8KVCacheDataTypeE0ELb1ELi512EEEvPfS2_PT_PKS3_PKT0_S9_ifPKiSB_iPKfiiiSD_SD_iiiii,"axG",@progbits,_ZN4vllm25paged_attention_v2_kernelIttLi80ELi8ELi128ELNS_18Fp8KVCacheDataTypeE0ELb1ELi512EEEvPfS2_PT_PKS3_PKT0_S9_ifPKiSB_iPKfiiiSD_SD_iiiii,comdat
	.protected	_ZN4vllm25paged_attention_v2_kernelIttLi80ELi8ELi128ELNS_18Fp8KVCacheDataTypeE0ELb1ELi512EEEvPfS2_PT_PKS3_PKT0_S9_ifPKiSB_iPKfiiiSD_SD_iiiii ; -- Begin function _ZN4vllm25paged_attention_v2_kernelIttLi80ELi8ELi128ELNS_18Fp8KVCacheDataTypeE0ELb1ELi512EEEvPfS2_PT_PKS3_PKT0_S9_ifPKiSB_iPKfiiiSD_SD_iiiii
	.globl	_ZN4vllm25paged_attention_v2_kernelIttLi80ELi8ELi128ELNS_18Fp8KVCacheDataTypeE0ELb1ELi512EEEvPfS2_PT_PKS3_PKT0_S9_ifPKiSB_iPKfiiiSD_SD_iiiii
	.p2align	8
	.type	_ZN4vllm25paged_attention_v2_kernelIttLi80ELi8ELi128ELNS_18Fp8KVCacheDataTypeE0ELb1ELi512EEEvPfS2_PT_PKS3_PKT0_S9_ifPKiSB_iPKfiiiSD_SD_iiiii,@function
_ZN4vllm25paged_attention_v2_kernelIttLi80ELi8ELi128ELNS_18Fp8KVCacheDataTypeE0ELb1ELi512EEEvPfS2_PT_PKS3_PKT0_S9_ifPKiSB_iPKfiiiSD_SD_iiiii: ; @_ZN4vllm25paged_attention_v2_kernelIttLi80ELi8ELi128ELNS_18Fp8KVCacheDataTypeE0ELb1ELi512EEEvPfS2_PT_PKS3_PKT0_S9_ifPKiSB_iPKfiiiSD_SD_iiiii
; %bb.0:
	s_load_dwordx2 s[0:1], s[4:5], 0x40
	s_mov_b32 s30, s7
	s_ashr_i32 s31, s7, 31
	s_lshl_b64 s[2:3], s[30:31], 2
	s_waitcnt lgkmcnt(0)
	s_add_u32 s0, s0, s2
	s_addc_u32 s1, s1, s3
	s_load_dword s31, s[0:1], 0x0
	s_lshl_b32 s51, s8, 9
	s_waitcnt lgkmcnt(0)
	s_cmp_ge_i32 s51, s31
	s_cbranch_scc1 .LBB67_69
; %bb.1:
	s_load_dword s9, s[4:5], 0x90
	s_load_dwordx2 s[40:41], s[4:5], 0x30
	s_waitcnt lgkmcnt(0)
	s_abs_i32 s2, s9
	s_abs_i32 s0, s40
	v_cvt_f32_u32_e32 v1, s0
	s_sub_i32 s3, 0, s0
	s_xor_b32 s1, s9, s40
	s_ashr_i32 s1, s1, 31
	v_rcp_iflag_f32_e32 v1, v1
	v_mul_f32_e32 v1, 0x4f7ffffe, v1
	v_cvt_u32_f32_e32 v1, v1
	v_readfirstlane_b32 s7, v1
	s_mul_i32 s3, s3, s7
	s_mul_hi_u32 s3, s7, s3
	s_add_i32 s7, s7, s3
	s_mul_hi_u32 s3, s2, s7
	s_mul_i32 s7, s3, s0
	s_sub_i32 s2, s2, s7
	s_add_i32 s10, s3, 1
	s_sub_i32 s7, s2, s0
	s_cmp_ge_u32 s2, s0
	s_cselect_b32 s3, s10, s3
	s_cselect_b32 s2, s7, s2
	s_add_i32 s7, s3, 1
	s_cmp_ge_u32 s2, s0
	s_cselect_b32 s0, s7, s3
	s_xor_b32 s0, s0, s1
	s_sub_i32 s2, s0, s1
	s_abs_i32 s10, s2
	v_cvt_f32_u32_e32 v1, s10
	s_load_dwordx2 s[0:1], s[4:5], 0x50
	s_sub_i32 s3, 0, s10
	s_abs_i32 s11, s6
	v_rcp_iflag_f32_e32 v1, v1
	s_mov_b32 s7, 0
	v_mul_f32_e32 v1, 0x4f7ffffe, v1
	v_cvt_u32_f32_e32 v1, v1
	v_readfirstlane_b32 s12, v1
	s_mul_i32 s3, s3, s12
	s_mul_hi_u32 s3, s12, s3
	s_add_i32 s12, s12, s3
	s_waitcnt lgkmcnt(0)
	s_cmp_eq_u64 s[0:1], 0
	s_mul_hi_u32 s12, s11, s12
	s_cbranch_scc1 .LBB67_3
; %bb.2:
	s_ashr_i32 s7, s6, 31
	s_lshl_b64 s[14:15], s[6:7], 2
	s_add_u32 s0, s0, s14
	s_addc_u32 s1, s1, s15
	s_load_dword s7, s[0:1], 0x0
.LBB67_3:
	s_load_dwordx4 s[16:19], s[4:5], 0x58
	s_movk_i32 s0, 0x50
	s_ashr_i32 s13, s6, 31
	s_ashr_i32 s20, s2, 31
	v_and_b32_e32 v2, 7, v0
	s_mul_i32 s14, s6, 0x50
	v_cmp_gt_u32_e64 s[0:1], s0, v0
	v_lshlrev_b32_e32 v1, 1, v0
	s_and_saveexec_b64 s[2:3], s[0:1]
	s_cbranch_execz .LBB67_5
; %bb.4:
	s_load_dwordx2 s[22:23], s[4:5], 0x18
	s_waitcnt lgkmcnt(0)
	s_mul_i32 s24, s30, s16
	s_ashr_i32 s25, s24, 31
	s_lshl_b64 s[24:25], s[24:25], 1
	v_lshrrev_b32_e32 v4, 2, v0
	s_add_u32 s16, s22, s24
	s_addc_u32 s19, s23, s25
	s_ashr_i32 s15, s14, 31
	s_lshl_b64 s[22:23], s[14:15], 1
	s_add_u32 s22, s16, s22
	s_addc_u32 s23, s19, s23
	global_load_ushort v3, v1, s[22:23]
	v_and_b32_e32 v4, 0xfe, v4
	v_mad_u32_u24 v4, v2, 20, v4
	s_waitcnt vmcnt(0)
	ds_write_b16 v4, v3
.LBB67_5:
	s_or_b64 exec, exec, s[2:3]
	s_mul_i32 s3, s12, s10
	s_sub_i32 s3, s11, s3
	s_xor_b32 s2, s13, s20
	s_add_i32 s11, s12, 1
	s_sub_i32 s13, s3, s10
	s_load_dwordx4 s[20:23], s[4:5], 0x78
	s_cmp_ge_u32 s3, s10
	s_cselect_b32 s11, s11, s12
	s_cselect_b32 s3, s13, s3
	s_load_dword s13, s[4:5], 0x88
	s_add_i32 s12, s11, 1
	s_cmp_ge_u32 s3, s10
	s_cselect_b32 s3, s12, s11
	s_waitcnt lgkmcnt(0)
	s_abs_i32 s33, s23
	v_cvt_f32_u32_e32 v3, s33
	s_xor_b32 s3, s3, s2
	s_sub_i32 s10, s3, s2
	s_sub_i32 s2, 0, s33
	v_rcp_iflag_f32_e32 v3, v3
	s_add_i32 s15, s31, -1
	s_abs_i32 s11, s15
	v_mul_f32_e32 v3, 0x4f7ffffe, v3
	v_cvt_u32_f32_e32 v3, v3
	s_barrier
	v_readfirstlane_b32 s48, v3
	s_mul_i32 s2, s2, s48
	s_mul_hi_u32 s2, s48, s2
	s_add_i32 s48, s48, s2
	s_cmp_lt_i32 s13, 0
	s_mul_hi_u32 s12, s11, s48
	s_cbranch_scc0 .LBB67_7
; %bb.6:
	s_mul_i32 s2, s20, s40
	s_add_i32 s2, s10, s2
	s_mul_i32 s2, s2, s13
	s_sub_i32 s49, 1, s2
	s_mov_b64 s[2:3], 0
	s_branch .LBB67_8
.LBB67_7:
	s_mov_b64 s[2:3], -1
                                        ; implicit-def: $sgpr49
.LBB67_8:
	s_load_dwordx2 s[34:35], s[4:5], 0x38
	s_ashr_i32 s16, s15, 31
	s_andn2_b64 vcc, exec, s[2:3]
	s_ashr_i32 s23, s23, 31
	s_cbranch_vccnz .LBB67_10
; %bb.9:
	s_mul_i32 s2, s9, s20
	s_add_i32 s2, s2, s6
	s_mul_i32 s2, s2, s13
	s_add_i32 s49, s2, 1
.LBB67_10:
	s_load_dword s2, s[4:5], 0x48
	s_load_dwordx2 s[38:39], s[4:5], 0x28
	s_load_dword s15, s[4:5], 0x98
	s_load_dwordx4 s[24:27], s[4:5], 0x0
	s_load_dwordx2 s[28:29], s[4:5], 0x10
	s_mul_i32 s3, s12, s33
	s_waitcnt lgkmcnt(0)
	s_mul_i32 s36, s30, s2
	s_sub_i32 s3, s11, s3
	s_ashr_i32 s37, s36, 31
	s_xor_b32 s2, s16, s23
	s_add_i32 s11, s12, 1
	s_sub_i32 s13, s3, s33
	s_cmp_ge_u32 s3, s33
	s_cselect_b32 s11, s11, s12
	s_cselect_b32 s3, s13, s3
	s_add_i32 s12, s11, 1
	s_cmp_ge_u32 s3, s33
	s_cselect_b32 s3, s12, s11
	s_xor_b32 s3, s3, s2
	s_sub_i32 s50, s3, s2
	s_add_i32 s2, s31, 7
	s_ashr_i32 s3, s2, 31
	s_lshr_b32 s3, s3, 29
	s_add_i32 s2, s2, s3
	s_lshl_b32 s40, s8, 6
	s_ashr_i32 s16, s2, 3
	s_add_i32 s2, s40, 64
	v_lshrrev_b32_e32 v4, 6, v0
	s_min_i32 s20, s2, s16
	v_or_b32_e32 v6, s40, v4
	v_cmp_gt_i32_e64 s[2:3], s20, v6
	v_mov_b32_e32 v14, 0xff7fffff
	s_mul_i32 s18, s10, s18
	v_ashrrev_i32_e32 v7, 31, v6
	v_lshl_add_u32 v12, v4, 3, s51
	v_mbcnt_lo_u32_b32 v5, -1, 0
	s_and_saveexec_b64 s[42:43], s[2:3]
	s_cbranch_execz .LBB67_20
; %bb.11:
	s_load_dwordx2 s[4:5], s[4:5], 0x20
	s_ashr_i32 s19, s18, 31
	s_sub_i32 s52, s50, s21
	s_lshl_b64 s[10:11], s[18:19], 1
	v_bfe_u32 v8, v0, 3, 3
	s_waitcnt lgkmcnt(0)
	s_add_u32 s4, s4, s10
	s_addc_u32 s5, s5, s11
	s_abs_i32 s19, s22
	v_cvt_f32_u32_e32 v10, s19
	v_lshlrev_b32_e32 v3, 4, v8
	v_mov_b32_e32 v9, s5
	v_add_co_u32_e64 v3, s[4:5], s4, v3
	v_rcp_iflag_f32_e32 v13, v10
	v_addc_co_u32_e64 v11, s[4:5], 0, v9, s[4:5]
	v_lshlrev_b32_e32 v9, 1, v2
	v_add_co_u32_e64 v9, s[4:5], v3, v9
	v_mul_f32_e32 v3, 0x4f7ffffe, v13
	v_cvt_u32_f32_e32 v3, v3
	s_sub_i32 s10, 0, s19
	v_cmp_eq_u32_e32 vcc, 0, v2
	v_addc_co_u32_e64 v10, s[4:5], 0, v11, s[4:5]
	v_mul_u32_u24_e32 v11, 20, v2
	v_mul_lo_u32 v2, s10, v3
	s_lshl_b64 s[10:11], s[36:37], 2
	v_mul_hi_u32 v2, v3, v2
	s_add_u32 s10, s34, s10
	v_add_u32_e32 v13, v3, v2
	v_lshlrev_b64 v[2:3], 2, v[6:7]
	s_addc_u32 s11, s35, s11
	v_mov_b32_e32 v14, s11
	v_add_co_u32_e64 v2, s[10:11], s10, v2
	v_addc_co_u32_e64 v3, s[10:11], v14, v3, s[10:11]
	v_lshlrev_b32_e32 v14, 2, v8
	v_lshl_or_b32 v14, v4, 5, v14
	v_add_u32_e32 v16, 0xb0, v14
	v_subrev_u32_e32 v14, s31, v8
	v_mbcnt_hi_u32_b32 v19, -1, v5
	v_add_u32_e32 v17, 1, v14
	v_and_b32_e32 v14, 64, v19
	s_mov_b32 s53, s17
	v_cmp_neq_f32_e64 s[4:5], s7, 0
	v_lshl_add_u32 v15, v4, 3, s51
	s_mov_b64 s[44:45], 0
	v_mov_b32_e32 v18, 0xff7fffff
	v_add_u32_e32 v20, 64, v14
	v_xor_b32_e32 v21, 4, v19
	v_xor_b32_e32 v22, 2, v19
	;; [unrolled: 1-line block ×3, first 2 shown]
	v_mov_b32_e32 v14, 0xff7fffff
	v_mov_b32_e32 v24, v6
	s_branch .LBB67_14
.LBB67_12:                              ;   in Loop: Header=BB67_14 Depth=1
	s_or_b64 exec, exec, s[46:47]
.LBB67_13:                              ;   in Loop: Header=BB67_14 Depth=1
	s_or_b64 exec, exec, s[12:13]
	v_add_co_u32_e64 v2, s[10:11], 8, v2
	v_add_u32_e32 v24, 2, v24
	v_addc_co_u32_e64 v3, s[10:11], 0, v3, s[10:11]
	v_cmp_le_i32_e64 s[10:11], s20, v24
	v_add_u32_e32 v15, 16, v15
	s_or_b64 s[44:45], s[10:11], s[44:45]
	v_add_u32_e32 v16, 64, v16
	s_andn2_b64 exec, exec, s[44:45]
	s_cbranch_execz .LBB67_19
.LBB67_14:                              ; =>This Inner Loop Header: Depth=1
	s_waitcnt lgkmcnt(0)
	v_sub_u32_e32 v26, 0, v15
	v_max_i32_e32 v26, v15, v26
	v_mul_hi_u32 v27, v26, s48
	v_mul_lo_u32 v28, v27, s33
	v_sub_u32_e32 v26, v26, v28
	v_add_u32_e32 v28, 1, v27
	v_cmp_le_u32_e64 s[10:11], s33, v26
	v_cndmask_b32_e64 v27, v27, v28, s[10:11]
	v_subrev_u32_e32 v28, s33, v26
	v_cndmask_b32_e64 v26, v26, v28, s[10:11]
	v_ashrrev_i32_e32 v25, 31, v15
	v_add_u32_e32 v28, 1, v27
	v_cmp_le_u32_e64 s[10:11], s33, v26
	v_xor_b32_e32 v25, s23, v25
	v_cndmask_b32_e64 v26, v27, v28, s[10:11]
	v_xor_b32_e32 v26, v26, v25
	v_sub_u32_e32 v25, v26, v25
	v_add_u32_e32 v26, s49, v25
	v_sub_u32_e32 v28, 0, v26
	v_ashrrev_i32_e32 v27, 31, v26
	v_max_i32_e32 v26, v26, v28
	v_mul_hi_u32 v28, v26, v13
	v_mul_lo_u32 v28, v28, s19
	v_sub_u32_e32 v26, v26, v28
	v_subrev_u32_e32 v28, s19, v26
	v_cmp_le_u32_e64 s[10:11], s19, v26
	v_cndmask_b32_e64 v26, v26, v28, s[10:11]
	v_subrev_u32_e32 v28, s19, v26
	v_cmp_le_u32_e64 s[10:11], s19, v26
	v_cndmask_b32_e64 v26, v26, v28, s[10:11]
	v_xor_b32_e32 v26, v26, v27
	v_sub_u32_e32 v26, v26, v27
	v_cmp_ne_u32_e64 s[10:11], 0, v26
	v_cmp_ge_i32_e64 s[12:13], s52, v25
	s_and_b64 s[10:11], s[10:11], s[12:13]
	s_and_b64 s[46:47], vcc, s[10:11]
	s_and_saveexec_b64 s[12:13], s[46:47]
	s_cbranch_execz .LBB67_16
; %bb.15:                               ;   in Loop: Header=BB67_14 Depth=1
	ds_write_b32 v16, v18
.LBB67_16:                              ;   in Loop: Header=BB67_14 Depth=1
	s_or_b64 exec, exec, s[12:13]
	s_xor_b64 s[10:11], s[10:11], -1
	s_and_saveexec_b64 s[12:13], s[10:11]
	s_cbranch_execz .LBB67_13
; %bb.17:                               ;   in Loop: Header=BB67_14 Depth=1
	global_load_dword v25, v[2:3], off
	s_waitcnt vmcnt(0)
	v_mad_i64_i32 v[26:27], s[10:11], v25, s53, 0
	v_lshlrev_b64 v[26:27], 1, v[26:27]
	v_add_co_u32_e64 v26, s[10:11], v9, v26
	v_addc_co_u32_e64 v27, s[10:11], v10, v27, s[10:11]
	global_load_ushort v25, v[26:27], off
	global_load_ushort v28, v[26:27], off offset:128
	global_load_ushort v29, v[26:27], off offset:256
	;; [unrolled: 1-line block ×8, first 2 shown]
	s_nop 0
	global_load_ushort v26, v[26:27], off offset:1152
	ds_read_u16 v27, v11
	s_waitcnt lgkmcnt(0)
	;;#ASMSTART
	v_cvt_f32_f16 v27, v27;
	;;#ASMEND
	v_cmp_lt_i32_e64 s[10:11], v21, v20
	v_cndmask_b32_e64 v43, v19, v21, s[10:11]
	v_lshlrev_b32_e32 v43, 2, v43
	v_cmp_lt_i32_e64 s[10:11], v22, v20
	s_waitcnt vmcnt(9)
	;;#ASMSTART
	v_cvt_f32_f16 v25, v25;
	;;#ASMEND
	ds_read_u16 v36, v11 offset:2
	s_waitcnt lgkmcnt(0)
	;;#ASMSTART
	v_cvt_f32_f16 v36, v36;
	;;#ASMEND
	s_waitcnt vmcnt(8)
	;;#ASMSTART
	v_cvt_f32_f16 v28, v28;
	;;#ASMEND
	v_mul_f32_e32 v28, v36, v28
	ds_read_u16 v37, v11 offset:4
	v_fmac_f32_e32 v28, v27, v25
	s_waitcnt lgkmcnt(0)
	;;#ASMSTART
	v_cvt_f32_f16 v37, v37;
	;;#ASMEND
	s_waitcnt vmcnt(7)
	;;#ASMSTART
	v_cvt_f32_f16 v29, v29;
	;;#ASMEND
	ds_read_u16 v38, v11 offset:6
	v_fmac_f32_e32 v28, v37, v29
	s_waitcnt lgkmcnt(0)
	;;#ASMSTART
	v_cvt_f32_f16 v38, v38;
	;;#ASMEND
	s_waitcnt vmcnt(6)
	;;#ASMSTART
	v_cvt_f32_f16 v30, v30;
	;;#ASMEND
	;; [unrolled: 10-line block ×5, first 2 shown]
	v_fmac_f32_e32 v28, v41, v33
	ds_read_u16 v42, v11 offset:14
	s_waitcnt lgkmcnt(0)
	;;#ASMSTART
	v_cvt_f32_f16 v36, v42;
	;;#ASMEND
	s_waitcnt vmcnt(2)
	;;#ASMSTART
	v_cvt_f32_f16 v34, v34;
	;;#ASMEND
	v_fmac_f32_e32 v28, v36, v34
	ds_read_u16 v42, v11 offset:16
	s_waitcnt lgkmcnt(0)
	;;#ASMSTART
	v_cvt_f32_f16 v25, v42;
	;;#ASMEND
	s_waitcnt vmcnt(1)
	;;#ASMSTART
	v_cvt_f32_f16 v27, v35;
	;;#ASMEND
	;; [unrolled: 10-line block ×3, first 2 shown]
	v_fmac_f32_e32 v28, v25, v26
	ds_bpermute_b32 v25, v43, v28
	v_cndmask_b32_e64 v26, v19, v22, s[10:11]
	v_lshlrev_b32_e32 v26, 2, v26
	v_cmp_lt_i32_e64 s[10:11], v23, v20
	v_cndmask_b32_e64 v27, v19, v23, s[10:11]
	s_waitcnt lgkmcnt(0)
	v_add_f32_e32 v25, v28, v25
	ds_bpermute_b32 v26, v26, v25
	s_waitcnt lgkmcnt(0)
	v_add_f32_e32 v25, v25, v26
	v_lshlrev_b32_e32 v26, 2, v27
	ds_bpermute_b32 v26, v26, v25
	s_and_saveexec_b64 s[46:47], vcc
	s_cbranch_execz .LBB67_12
; %bb.18:                               ;   in Loop: Header=BB67_14 Depth=1
	v_add_u32_e32 v27, v17, v15
	v_cvt_f32_i32_e32 v27, v27
	s_waitcnt lgkmcnt(0)
	v_add_f32_e32 v25, v25, v26
	v_add_u32_e32 v28, v8, v15
	v_cmp_gt_i32_e64 s[10:11], s31, v28
	v_mul_f32_e32 v26, s7, v27
	v_cndmask_b32_e64 v26, 0, v26, s[4:5]
	v_fmac_f32_e32 v26, s41, v25
	v_cndmask_b32_e64 v25, 0, v26, s[10:11]
	ds_write_b32 v16, v25
	v_max_f32_e32 v25, v14, v14
	v_max_f32_e32 v25, v25, v26
	v_cndmask_b32_e64 v14, v14, v25, s[10:11]
	s_branch .LBB67_12
.LBB67_19:
	s_or_b64 exec, exec, s[44:45]
.LBB67_20:
	s_or_b64 exec, exec, s[42:43]
	v_mbcnt_hi_u32_b32 v2, -1, v5
	v_and_b32_e32 v3, 64, v2
	v_add_u32_e32 v3, 64, v3
	v_xor_b32_e32 v5, 32, v2
	v_cmp_lt_i32_e32 vcc, v5, v3
	v_cndmask_b32_e32 v5, v2, v5, vcc
	v_lshlrev_b32_e32 v9, 2, v5
	ds_bpermute_b32 v5, v9, v14
	v_xor_b32_e32 v10, 16, v2
	v_max_f32_e32 v8, v14, v14
	v_cmp_lt_i32_e32 vcc, v10, v3
	v_and_b32_e32 v13, 63, v0
	s_waitcnt lgkmcnt(0)
	v_max_f32_e32 v5, v5, v5
	v_max_f32_e32 v5, v8, v5
	v_cndmask_b32_e32 v8, v2, v10, vcc
	v_lshlrev_b32_e32 v11, 2, v8
	ds_bpermute_b32 v8, v11, v5
	v_xor_b32_e32 v10, 8, v2
	v_cmp_lt_i32_e32 vcc, v10, v3
	s_waitcnt lgkmcnt(0)
	v_max_f32_e32 v8, v8, v8
	v_max_f32_e32 v5, v5, v8
	v_cndmask_b32_e32 v8, v2, v10, vcc
	v_lshlrev_b32_e32 v14, 2, v8
	ds_bpermute_b32 v10, v14, v5
	v_cmp_eq_u32_e32 vcc, 0, v13
	v_lshlrev_b32_e32 v8, 2, v4
	s_and_saveexec_b64 s[4:5], vcc
	s_cbranch_execz .LBB67_22
; %bb.21:
	s_waitcnt lgkmcnt(0)
	v_max_f32_e32 v10, v10, v10
	v_max_f32_e32 v5, v5, v5
	;; [unrolled: 1-line block ×3, first 2 shown]
	ds_write_b32 v8, v5 offset:160
.LBB67_22:
	s_or_b64 exec, exec, s[4:5]
	v_cmp_gt_u32_e64 s[4:5], 2, v13
	v_mov_b32_e32 v5, 0xff7fffff
	s_waitcnt lgkmcnt(0)
	v_lshlrev_b32_e32 v10, 2, v13
	s_barrier
	s_and_saveexec_b64 s[10:11], s[4:5]
	s_cbranch_execz .LBB67_24
; %bb.23:
	ds_read_b32 v5, v10 offset:160
.LBB67_24:
	s_or_b64 exec, exec, s[10:11]
	v_xor_b32_e32 v15, 1, v2
	v_cmp_lt_i32_e64 s[10:11], v15, v3
	v_cndmask_b32_e64 v15, v2, v15, s[10:11]
	v_lshlrev_b32_e32 v15, 2, v15
	s_waitcnt lgkmcnt(0)
	ds_bpermute_b32 v16, v15, v5
	v_max_f32_e32 v5, v5, v5
	s_sub_i32 s7, s20, s40
	s_lshl_b32 s7, s7, 3
	s_add_i32 s7, s7, s51
	s_waitcnt lgkmcnt(0)
	v_max_f32_e32 v16, v16, v16
	v_max_f32_e32 v5, v5, v16
	v_lshlrev_b32_e32 v16, 2, v2
	v_and_b32_e32 v16, 0x100, v16
	ds_bpermute_b32 v5, v16, v5
	s_min_i32 s19, s7, s31
	s_sub_i32 s7, s19, s51
	v_cmp_gt_i32_e64 s[10:11], s7, v0
	v_mov_b32_e32 v17, 0
	s_and_saveexec_b64 s[40:41], s[10:11]
	s_cbranch_execz .LBB67_28
; %bb.25:
	v_mov_b32_e32 v17, 0xb0
	v_lshl_add_u32 v18, v0, 2, v17
	s_mov_b64 s[42:43], 0
	v_mov_b32_e32 v17, 0
	v_mov_b32_e32 v19, v0
.LBB67_26:                              ; =>This Inner Loop Header: Depth=1
	ds_read_b32 v20, v18
	v_add_u32_e32 v19, 0x80, v19
	v_cmp_le_i32_e64 s[12:13], s7, v19
	s_or_b64 s[42:43], s[12:13], s[42:43]
	s_waitcnt lgkmcnt(0)
	v_sub_f32_e32 v20, v20, v5
	v_mul_f32_e32 v20, 0x3fb8aa3b, v20
	v_exp_f32_e32 v20, v20
	ds_write_b32 v18, v20
	v_add_f32_e32 v17, v17, v20
	v_add_u32_e32 v18, 0x200, v18
	s_andn2_b64 exec, exec, s[42:43]
	s_cbranch_execnz .LBB67_26
; %bb.27:
	s_or_b64 exec, exec, s[42:43]
.LBB67_28:
	s_or_b64 exec, exec, s[40:41]
	ds_bpermute_b32 v9, v9, v17
	s_waitcnt lgkmcnt(0)
	v_add_f32_e32 v9, v17, v9
	ds_bpermute_b32 v11, v11, v9
	s_waitcnt lgkmcnt(0)
	v_add_f32_e32 v9, v9, v11
	ds_bpermute_b32 v11, v14, v9
	v_xor_b32_e32 v14, 4, v2
	v_cmp_lt_i32_e64 s[12:13], v14, v3
	v_cndmask_b32_e64 v14, v2, v14, s[12:13]
	v_lshlrev_b32_e32 v14, 2, v14
	s_waitcnt lgkmcnt(0)
	v_add_f32_e32 v9, v9, v11
	ds_bpermute_b32 v11, v14, v9
	v_xor_b32_e32 v14, 2, v2
	v_cmp_lt_i32_e64 s[12:13], v14, v3
	v_cndmask_b32_e64 v2, v2, v14, s[12:13]
	v_lshlrev_b32_e32 v2, 2, v2
	s_waitcnt lgkmcnt(0)
	v_add_f32_e32 v3, v9, v11
	ds_bpermute_b32 v2, v2, v3
	s_waitcnt lgkmcnt(0)
	v_add_f32_e32 v2, v3, v2
	ds_bpermute_b32 v3, v15, v2
	s_waitcnt lgkmcnt(0)
	v_add_f32_e32 v2, v2, v3
	s_and_saveexec_b64 s[12:13], vcc
	s_cbranch_execz .LBB67_30
; %bb.29:
	ds_write_b32 v8, v2 offset:168
.LBB67_30:
	s_or_b64 exec, exec, s[12:13]
	s_waitcnt lgkmcnt(0)
	s_barrier
	s_and_saveexec_b64 s[12:13], s[4:5]
	s_cbranch_execz .LBB67_32
; %bb.31:
	ds_read_b32 v2, v10 offset:168
.LBB67_32:
	s_or_b64 exec, exec, s[12:13]
	s_waitcnt lgkmcnt(0)
	ds_bpermute_b32 v3, v15, v2
	s_waitcnt lgkmcnt(0)
	v_add_f32_e32 v2, v2, v3
	ds_bpermute_b32 v8, v16, v2
	s_and_saveexec_b64 s[4:5], s[10:11]
	s_cbranch_execz .LBB67_45
; %bb.33:
	s_waitcnt lgkmcnt(0)
	v_add_f32_e32 v2, 0x358637bd, v8
	v_div_scale_f32 v3, s[10:11], v2, v2, 1.0
	v_rcp_f32_e32 v9, v3
	v_div_scale_f32 v10, vcc, 1.0, v2, 1.0
	s_movk_i32 s10, 0x7f
	v_fma_f32 v11, -v3, v9, 1.0
	v_fmac_f32_e32 v9, v11, v9
	v_mul_f32_e32 v11, v10, v9
	v_fma_f32 v14, -v3, v11, v10
	v_fmac_f32_e32 v11, v14, v9
	v_fma_f32 v3, -v3, v11, v10
	v_div_fmas_f32 v3, v3, v9, v11
	v_div_fixup_f32 v2, v3, v2, 1.0
	v_xad_u32 v3, v0, -1, s19
	v_subrev_u32_e32 v9, s51, v3
	v_cmp_lt_u32_e32 vcc, s10, v9
	s_mov_b64 s[12:13], -1
	v_mov_b32_e32 v3, v0
	s_and_saveexec_b64 s[10:11], vcc
	s_cbranch_execz .LBB67_42
; %bb.34:
	v_lshrrev_b32_e32 v9, 7, v9
	v_add_u32_e32 v11, -1, v9
	v_lshrrev_b32_e32 v10, 1, v11
	v_mov_b32_e32 v3, v2
	v_add_u32_e32 v10, 1, v10
	v_cmp_lt_u32_e32 vcc, 13, v11
	v_mov_b32_e32 v15, 0
	s_and_saveexec_b64 s[12:13], vcc
	s_cbranch_execz .LBB67_38
; %bb.35:
	v_mov_b32_e32 v14, 0xb0
	v_and_b32_e32 v11, -8, v10
	v_lshl_add_u32 v14, v0, 2, v14
	s_mov_b32 s19, 0
	s_mov_b64 s[40:41], 0
.LBB67_36:                              ; =>This Inner Loop Header: Depth=1
	ds_read2st64_b32 v[16:17], v14 offset1:2
	ds_read2st64_b32 v[18:19], v14 offset0:4 offset1:6
	ds_read2st64_b32 v[20:21], v14 offset0:8 offset1:10
	ds_read2st64_b32 v[22:23], v14 offset0:12 offset1:14
	v_add_u32_e32 v11, -8, v11
	s_waitcnt lgkmcnt(3)
	v_pk_mul_f32 v[16:17], v[2:3], v[16:17]
	s_waitcnt lgkmcnt(2)
	v_pk_mul_f32 v[18:19], v[2:3], v[18:19]
	ds_write2st64_b32 v14, v16, v17 offset1:2
	ds_write2st64_b32 v14, v18, v19 offset0:4 offset1:6
	ds_read2st64_b32 v[18:19], v14 offset0:16 offset1:18
	s_waitcnt lgkmcnt(4)
	v_pk_mul_f32 v[16:17], v[2:3], v[20:21]
	ds_write2st64_b32 v14, v16, v17 offset0:8 offset1:10
	s_waitcnt lgkmcnt(4)
	v_pk_mul_f32 v[16:17], v[2:3], v[22:23]
	ds_write2st64_b32 v14, v16, v17 offset0:12 offset1:14
	ds_read2st64_b32 v[16:17], v14 offset0:20 offset1:22
	s_waitcnt lgkmcnt(3)
	v_pk_mul_f32 v[18:19], v[2:3], v[18:19]
	ds_read2st64_b32 v[20:21], v14 offset0:24 offset1:26
	ds_write2st64_b32 v14, v18, v19 offset0:16 offset1:18
	ds_read2st64_b32 v[18:19], v14 offset0:28 offset1:30
	s_waitcnt lgkmcnt(3)
	v_pk_mul_f32 v[16:17], v[2:3], v[16:17]
	ds_write2st64_b32 v14, v16, v17 offset0:20 offset1:22
	s_waitcnt lgkmcnt(3)
	v_pk_mul_f32 v[16:17], v[2:3], v[20:21]
	ds_write2st64_b32 v14, v16, v17 offset0:24 offset1:26
	s_waitcnt lgkmcnt(2)
	v_pk_mul_f32 v[16:17], v[2:3], v[18:19]
	s_add_i32 s19, s19, 16
	v_cmp_eq_u32_e32 vcc, 0, v11
	ds_write2st64_b32 v14, v16, v17 offset0:28 offset1:30
	v_add_u32_e32 v14, 0x2000, v14
	s_or_b64 s[40:41], vcc, s[40:41]
	v_mov_b32_e32 v15, s19
	s_andn2_b64 exec, exec, s[40:41]
	s_cbranch_execnz .LBB67_36
; %bb.37:
	s_or_b64 exec, exec, s[40:41]
.LBB67_38:
	s_or_b64 exec, exec, s[12:13]
	v_and_b32_e32 v10, 7, v10
	v_cmp_ne_u32_e32 vcc, 0, v10
	s_and_saveexec_b64 s[12:13], vcc
	s_cbranch_execz .LBB67_41
; %bb.39:
	v_lshlrev_b32_e32 v11, 9, v15
	v_lshlrev_b32_e32 v14, 2, v0
	s_movk_i32 s19, 0xb0
	v_add3_u32 v11, v11, v14, s19
	s_mov_b64 s[40:41], 0
.LBB67_40:                              ; =>This Inner Loop Header: Depth=1
	ds_read2st64_b32 v[14:15], v11 offset1:2
	v_add_u32_e32 v10, -1, v10
	v_cmp_eq_u32_e32 vcc, 0, v10
	s_or_b64 s[40:41], vcc, s[40:41]
	s_waitcnt lgkmcnt(0)
	v_pk_mul_f32 v[14:15], v[2:3], v[14:15]
	ds_write2st64_b32 v11, v14, v15 offset1:2
	v_add_u32_e32 v11, 0x400, v11
	s_andn2_b64 exec, exec, s[40:41]
	s_cbranch_execnz .LBB67_40
.LBB67_41:
	s_or_b64 exec, exec, s[12:13]
	v_add_u32_e32 v9, 1, v9
	v_and_b32_e32 v10, 0x3fffffe, v9
	v_cmp_ne_u32_e32 vcc, v9, v10
	v_lshl_add_u32 v3, v10, 7, v0
	s_orn2_b64 s[12:13], vcc, exec
.LBB67_42:
	s_or_b64 exec, exec, s[10:11]
	s_and_b64 exec, exec, s[12:13]
	s_cbranch_execz .LBB67_45
; %bb.43:
	v_mov_b32_e32 v9, 0xb0
	v_lshl_add_u32 v9, v3, 2, v9
	s_mov_b64 s[10:11], 0
.LBB67_44:                              ; =>This Inner Loop Header: Depth=1
	ds_read_b32 v10, v9
	v_add_u32_e32 v3, 0x80, v3
	v_cmp_le_i32_e32 vcc, s7, v3
	s_or_b64 s[10:11], vcc, s[10:11]
	s_waitcnt lgkmcnt(0)
	v_mul_f32_e32 v10, v2, v10
	ds_write_b32 v9, v10
	v_add_u32_e32 v9, 0x200, v9
	s_andn2_b64 exec, exec, s[10:11]
	s_cbranch_execnz .LBB67_44
.LBB67_45:
	s_or_b64 exec, exec, s[4:5]
	s_mul_i32 s5, s15, s30
	s_mov_b32 s4, 0
	v_cmp_eq_u32_e32 vcc, 0, v0
	s_mul_i32 s10, s5, s9
	s_waitcnt lgkmcnt(0)
	s_barrier
	s_and_saveexec_b64 s[12:13], vcc
	s_cbranch_execz .LBB67_47
; %bb.46:
	s_ashr_i32 s11, s10, 31
	s_lshl_b64 s[40:41], s[10:11], 2
	s_add_u32 s5, s26, s40
	s_mul_i32 s6, s15, s6
	s_addc_u32 s9, s27, s41
	s_ashr_i32 s7, s6, 31
	s_lshl_b64 s[6:7], s[6:7], 2
	s_add_u32 s5, s5, s6
	s_addc_u32 s11, s9, s7
	s_ashr_i32 s9, s8, 31
	s_lshl_b64 s[26:27], s[8:9], 2
	s_add_u32 s42, s5, s26
	s_addc_u32 s43, s11, s27
	s_add_u32 s5, s24, s40
	s_addc_u32 s9, s25, s41
	;; [unrolled: 2-line block ×3, first 2 shown]
	s_add_u32 s6, s5, s26
	v_mov_b32_e32 v2, 0
	s_addc_u32 s7, s7, s27
	global_store_dword v2, v5, s[42:43]
	global_store_dword v2, v8, s[6:7]
.LBB67_47:
	s_or_b64 exec, exec, s[12:13]
	s_mov_b32 s5, s4
	v_pk_mov_b32 v[8:9], s[4:5], s[4:5] op_sel:[0,1]
	s_and_saveexec_b64 s[6:7], s[2:3]
	s_cbranch_execz .LBB67_59
; %bb.48:
	s_ashr_i32 s19, s18, 31
	s_sub_i32 s9, s50, s21
	s_lshl_b64 s[2:3], s[18:19], 1
	s_add_u32 s21, s38, s2
	s_addc_u32 s24, s39, s3
	s_abs_i32 s22, s22
	v_cvt_f32_u32_e32 v5, s22
	v_or_b32_e32 v3, 64, v13
	s_movk_i32 s2, 0x50
	v_cmp_gt_u32_e32 vcc, s2, v3
	v_lshlrev_b32_e32 v16, 3, v3
	v_rcp_iflag_f32_e32 v3, v5
	s_sub_i32 s2, 0, s22
	s_add_i32 s25, s16, -1
	v_lshlrev_b64 v[8:9], 2, v[6:7]
	v_mul_f32_e32 v3, 0x4f7ffffe, v3
	v_cvt_u32_f32_e32 v3, v3
	v_lshlrev_b32_e32 v2, 3, v13
	s_mov_b32 s5, s4
	s_mov_b32 s11, s17
	v_mul_lo_u32 v5, s2, v3
	s_lshl_b64 s[2:3], s[36:37], 2
	s_add_u32 s2, s34, s2
	v_mul_hi_u32 v5, v3, v5
	s_addc_u32 s3, s35, s3
	v_add_u32_e32 v14, v3, v5
	v_mov_b32_e32 v3, s3
	v_add_co_u32_e64 v10, s[2:3], s2, v8
	v_addc_co_u32_e64 v11, s[2:3], v3, v9, s[2:3]
	v_mov_b32_e32 v3, 0xb0
	s_mov_b32 s26, s31
	s_mov_b32 s27, s31
	s_mov_b32 s30, s31
	s_mov_b32 s38, s31
	s_mov_b32 s39, s31
	s_mov_b32 s40, s31
	s_mov_b32 s41, s31
	v_lshl_add_u32 v7, v4, 5, v3
	s_mov_b64 s[12:13], 0
	v_pk_mov_b32 v[8:9], s[4:5], s[4:5] op_sel:[0,1]
	v_lshlrev_b32_e32 v15, 1, v2
	s_mov_b32 s34, 0x5040100
	v_lshlrev_b32_e32 v16, 1, v16
	s_branch .LBB67_52
.LBB67_49:                              ;   in Loop: Header=BB67_52 Depth=1
	s_or_b64 exec, exec, s[4:5]
	s_waitcnt vmcnt(0)
	;;#ASMSTART
	v_pk_mul_f16 v2, v22, v2;

	;;#ASMEND
	;;#ASMSTART
	v_pk_mul_f16 v3, v21, v3;

	;;#ASMEND
	;; [unrolled: 4-line block ×4, first 2 shown]
	;;#ASMSTART
	v_pk_add_f16 v2, v2, v3;

	;;#ASMEND
	;;#ASMSTART
	v_pk_add_f16 v2, v2, v4;

	;;#ASMEND
	;; [unrolled: 4-line block ×3, first 2 shown]
	v_lshrrev_b32_e32 v3, 16, v2
	v_and_b32_e32 v2, 0xffff, v2
	;;#ASMSTART
	v_cvt_f32_f16 v2, v2;
	;;#ASMEND
	;;#ASMSTART
	v_cvt_f32_f16 v3, v3;
	;;#ASMEND
	v_add_f32_e32 v2, v2, v3
	v_add_f32_e32 v9, v9, v2
.LBB67_50:                              ;   in Loop: Header=BB67_52 Depth=1
	s_or_b64 exec, exec, s[18:19]
.LBB67_51:                              ;   in Loop: Header=BB67_52 Depth=1
	s_or_b64 exec, exec, s[16:17]
	v_add_co_u32_e64 v10, s[2:3], 8, v10
	v_add_u32_e32 v6, 2, v6
	v_addc_co_u32_e64 v11, s[2:3], 0, v11, s[2:3]
	v_cmp_le_i32_e64 s[2:3], s20, v6
	v_add_u32_e32 v12, 16, v12
	s_or_b64 s[12:13], s[2:3], s[12:13]
	v_add_u32_e32 v7, 64, v7
	s_andn2_b64 exec, exec, s[12:13]
	s_cbranch_execz .LBB67_58
.LBB67_52:                              ; =>This Inner Loop Header: Depth=1
	v_sub_u32_e32 v3, 0, v12
	v_max_i32_e32 v3, v12, v3
	v_mul_hi_u32 v4, v3, s48
	v_mul_lo_u32 v5, v4, s33
	v_sub_u32_e32 v3, v3, v5
	v_add_u32_e32 v5, 1, v4
	v_cmp_le_u32_e64 s[2:3], s33, v3
	v_cndmask_b32_e64 v4, v4, v5, s[2:3]
	v_subrev_u32_e32 v5, s33, v3
	v_cndmask_b32_e64 v3, v3, v5, s[2:3]
	v_ashrrev_i32_e32 v2, 31, v12
	v_add_u32_e32 v5, 1, v4
	v_cmp_le_u32_e64 s[2:3], s33, v3
	v_xor_b32_e32 v2, s23, v2
	v_cndmask_b32_e64 v3, v4, v5, s[2:3]
	v_xor_b32_e32 v3, v3, v2
	v_sub_u32_e32 v2, v3, v2
	v_add_u32_e32 v3, s49, v2
	v_sub_u32_e32 v5, 0, v3
	v_ashrrev_i32_e32 v4, 31, v3
	v_max_i32_e32 v3, v3, v5
	v_mul_hi_u32 v5, v3, v14
	v_mul_lo_u32 v5, v5, s22
	v_sub_u32_e32 v3, v3, v5
	v_subrev_u32_e32 v5, s22, v3
	v_cmp_le_u32_e64 s[2:3], s22, v3
	v_cndmask_b32_e64 v3, v3, v5, s[2:3]
	v_subrev_u32_e32 v5, s22, v3
	v_cmp_le_u32_e64 s[2:3], s22, v3
	v_cndmask_b32_e64 v3, v3, v5, s[2:3]
	v_xor_b32_e32 v3, v3, v4
	v_sub_u32_e32 v3, v3, v4
	v_cmp_eq_u32_e64 s[2:3], 0, v3
	v_cmp_lt_i32_e64 s[4:5], s9, v2
	s_or_b64 s[2:3], s[2:3], s[4:5]
	s_and_saveexec_b64 s[16:17], s[2:3]
	s_cbranch_execz .LBB67_51
; %bb.53:                               ;   in Loop: Header=BB67_52 Depth=1
	global_load_dword v18, v[10:11], off
	ds_read2_b64 v[2:5], v7 offset1:1
	ds_read2_b64 v[24:27], v7 offset0:2 offset1:3
	v_mov_b32_e32 v19, s24
	s_waitcnt lgkmcnt(1)
	;;#ASMSTART
	v_cvt_f16_f32 v17, v2;

	;;#ASMEND
	;;#ASMSTART
	v_cvt_f16_f32 v20, v3;

	;;#ASMEND
	;; [unrolled: 4-line block ×4, first 2 shown]
	s_waitcnt lgkmcnt(0)
	;;#ASMSTART
	v_cvt_f16_f32 v24, v24;

	;;#ASMEND
	;;#ASMSTART
	v_cvt_f16_f32 v25, v25;

	;;#ASMEND
	;; [unrolled: 4-line block ×4, first 2 shown]
	s_waitcnt vmcnt(0)
	v_mad_i64_i32 v[2:3], s[2:3], v18, s11, 0
	v_lshlrev_b64 v[2:3], 1, v[2:3]
	v_add_co_u32_e64 v18, s[2:3], s21, v2
	v_addc_co_u32_e64 v19, s[2:3], v19, v3, s[2:3]
	v_add_co_u32_e64 v2, s[2:3], v18, v15
	v_addc_co_u32_e64 v3, s[2:3], 0, v19, s[2:3]
	global_load_dwordx4 v[2:5], v[2:3], off
	v_cmp_eq_u32_e64 s[2:3], s25, v6
	s_and_saveexec_b64 s[18:19], s[2:3]
	s_cbranch_execz .LBB67_55
; %bb.54:                               ;   in Loop: Header=BB67_52 Depth=1
	v_or_b32_e32 v32, 7, v12
	v_or_b32_e32 v33, 6, v12
	s_waitcnt vmcnt(0)
	v_lshrrev_b32_e32 v34, 16, v5
	v_cmp_gt_i32_e64 s[4:5], s41, v32
	v_cndmask_b32_e64 v32, 0, v34, s[4:5]
	v_cmp_gt_i32_e64 s[4:5], s40, v33
	v_or_b32_e32 v30, 5, v12
	v_cndmask_b32_e64 v5, 0, v5, s[4:5]
	v_or_b32_e32 v31, 4, v12
	v_perm_b32 v5, v32, v5, s34
	v_lshrrev_b32_e32 v32, 16, v4
	v_cmp_gt_i32_e64 s[4:5], s39, v30
	v_cndmask_b32_e64 v30, 0, v32, s[4:5]
	v_cmp_gt_i32_e64 s[4:5], s38, v31
	v_or_b32_e32 v28, 3, v12
	v_cndmask_b32_e64 v4, 0, v4, s[4:5]
	v_or_b32_e32 v29, 2, v12
	v_perm_b32 v4, v30, v4, s34
	v_lshrrev_b32_e32 v30, 16, v3
	v_cmp_gt_i32_e64 s[4:5], s30, v28
	v_cndmask_b32_e64 v28, 0, v30, s[4:5]
	v_cmp_gt_i32_e64 s[4:5], s27, v29
	v_add_u32_e32 v22, 1, v12
	v_cndmask_b32_e64 v3, 0, v3, s[4:5]
	v_perm_b32 v3, v28, v3, s34
	v_lshrrev_b32_e32 v28, 16, v2
	v_cmp_gt_i32_e64 s[4:5], s26, v22
	v_cndmask_b32_e64 v22, 0, v28, s[4:5]
	v_cmp_gt_i32_e64 s[4:5], s31, v12
	v_cndmask_b32_e64 v2, 0, v2, s[4:5]
	v_perm_b32 v2, v22, v2, s34
.LBB67_55:                              ;   in Loop: Header=BB67_52 Depth=1
	s_or_b64 exec, exec, s[18:19]
	v_and_b32_e32 v17, 0xffff, v17
	v_lshl_or_b32 v22, v20, 16, v17
	v_and_b32_e32 v17, 0xffff, v21
	v_lshl_or_b32 v21, v23, 16, v17
	;; [unrolled: 2-line block ×3, first 2 shown]
	v_and_b32_e32 v17, 0xffff, v26
	s_waitcnt vmcnt(0)
	;;#ASMSTART
	v_pk_mul_f16 v2, v22, v2;

	;;#ASMEND
	v_lshl_or_b32 v17, v27, 16, v17
	;;#ASMSTART
	v_pk_mul_f16 v3, v21, v3;

	;;#ASMEND
	;;#ASMSTART
	v_pk_mul_f16 v4, v20, v4;

	;;#ASMEND
	;; [unrolled: 4-line block ×3, first 2 shown]
	;;#ASMSTART
	v_pk_add_f16 v2, v2, v3;

	;;#ASMEND
	;;#ASMSTART
	v_pk_add_f16 v2, v2, v4;

	;;#ASMEND
	;;#ASMSTART
	v_pk_add_f16 v2, v2, v5;

	;;#ASMEND
	v_lshrrev_b32_e32 v3, 16, v2
	v_and_b32_e32 v2, 0xffff, v2
	;;#ASMSTART
	v_cvt_f32_f16 v2, v2;
	;;#ASMEND
	;;#ASMSTART
	v_cvt_f32_f16 v3, v3;
	;;#ASMEND
	v_add_f32_e32 v2, v2, v3
	v_add_f32_e32 v8, v8, v2
	s_and_saveexec_b64 s[18:19], vcc
	s_cbranch_execz .LBB67_50
; %bb.56:                               ;   in Loop: Header=BB67_52 Depth=1
	v_add_co_u32_e64 v2, s[4:5], v18, v16
	v_addc_co_u32_e64 v3, s[4:5], 0, v19, s[4:5]
	global_load_dwordx4 v[2:5], v[2:3], off
	s_and_saveexec_b64 s[4:5], s[2:3]
	s_cbranch_execz .LBB67_49
; %bb.57:                               ;   in Loop: Header=BB67_52 Depth=1
	v_or_b32_e32 v26, 7, v12
	v_or_b32_e32 v27, 6, v12
	s_waitcnt vmcnt(0)
	v_lshrrev_b32_e32 v28, 16, v5
	v_cmp_gt_i32_e64 s[2:3], s41, v26
	v_cndmask_b32_e64 v26, 0, v28, s[2:3]
	v_cmp_gt_i32_e64 s[2:3], s40, v27
	v_or_b32_e32 v24, 5, v12
	v_cndmask_b32_e64 v5, 0, v5, s[2:3]
	v_or_b32_e32 v25, 4, v12
	v_perm_b32 v5, v26, v5, s34
	v_lshrrev_b32_e32 v26, 16, v4
	v_cmp_gt_i32_e64 s[2:3], s39, v24
	v_cndmask_b32_e64 v24, 0, v26, s[2:3]
	v_cmp_gt_i32_e64 s[2:3], s38, v25
	v_or_b32_e32 v19, 3, v12
	v_cndmask_b32_e64 v4, 0, v4, s[2:3]
	v_or_b32_e32 v23, 2, v12
	v_perm_b32 v4, v24, v4, s34
	v_lshrrev_b32_e32 v24, 16, v3
	v_cmp_gt_i32_e64 s[2:3], s30, v19
	v_cndmask_b32_e64 v19, 0, v24, s[2:3]
	v_cmp_gt_i32_e64 s[2:3], s27, v23
	v_add_u32_e32 v18, 1, v12
	v_cndmask_b32_e64 v3, 0, v3, s[2:3]
	v_perm_b32 v3, v19, v3, s34
	v_lshrrev_b32_e32 v19, 16, v2
	v_cmp_gt_i32_e64 s[2:3], s26, v18
	v_cndmask_b32_e64 v18, 0, v19, s[2:3]
	v_cmp_gt_i32_e64 s[2:3], s31, v12
	v_cndmask_b32_e64 v2, 0, v2, s[2:3]
	v_perm_b32 v2, v18, v2, s34
	s_branch .LBB67_49
.LBB67_58:
	s_or_b64 exec, exec, s[12:13]
.LBB67_59:
	s_or_b64 exec, exec, s[6:7]
	v_and_b32_e32 v2, 0x3c0, v0
	v_cmp_eq_u32_e32 vcc, 64, v2
	s_barrier
	s_and_saveexec_b64 s[2:3], vcc
	s_cbranch_execz .LBB67_62
; %bb.60:
	v_mov_b32_e32 v2, 0xb0
	v_lshl_add_u32 v3, v13, 2, v2
	ds_write_b32 v3, v8
	s_and_b64 exec, exec, s[0:1]
	s_cbranch_execz .LBB67_62
; %bb.61:
	v_lshl_add_u32 v2, v0, 2, v2
	ds_write_b32 v2, v9
.LBB67_62:
	s_or_b64 exec, exec, s[2:3]
	v_cmp_gt_u32_e32 vcc, 64, v0
	v_or_b32_e32 v2, 64, v0
	s_waitcnt lgkmcnt(0)
	s_barrier
	s_and_saveexec_b64 s[2:3], vcc
	s_cbranch_execz .LBB67_66
; %bb.63:
	v_mov_b32_e32 v3, 0xb0
	v_lshl_add_u32 v0, v0, 2, v3
	ds_read_b32 v3, v0
	s_movk_i32 s0, 0x50
	v_cmp_gt_u32_e64 s[0:1], s0, v2
	s_waitcnt lgkmcnt(0)
	v_add_f32_e32 v8, v8, v3
	s_and_saveexec_b64 s[4:5], s[0:1]
	s_cbranch_execz .LBB67_65
; %bb.64:
	ds_read_b32 v0, v0 offset:256
	s_waitcnt lgkmcnt(0)
	v_add_f32_e32 v9, v9, v0
.LBB67_65:
	s_or_b64 exec, exec, s[4:5]
.LBB67_66:
	s_or_b64 exec, exec, s[2:3]
	s_barrier
	s_and_saveexec_b64 s[0:1], vcc
	s_cbranch_execz .LBB67_69
; %bb.67:
	s_mul_i32 s0, s10, 0x50
	s_ashr_i32 s1, s0, 31
	s_lshl_b64 s[0:1], s[0:1], 1
	s_add_u32 s3, s28, s0
	s_mul_i32 s0, s15, s14
	s_addc_u32 s4, s29, s1
	s_ashr_i32 s1, s0, 31
	s_lshl_b64 s[0:1], s[0:1], 1
	s_add_u32 s3, s3, s0
	s_mul_i32 s0, s8, 0x50
	s_addc_u32 s4, s4, s1
	s_ashr_i32 s1, s0, 31
	s_lshl_b64 s[0:1], s[0:1], 1
	s_movk_i32 s2, 0x50
	s_add_u32 s0, s3, s0
	s_addc_u32 s1, s4, s1
	v_cmp_gt_u32_e32 vcc, s2, v2
	;;#ASMSTART
	v_cvt_f16_f32 v0, v8;

	;;#ASMEND
	global_store_short v1, v0, s[0:1]
	s_and_b64 exec, exec, vcc
	s_cbranch_execz .LBB67_69
; %bb.68:
	v_mov_b32_e32 v2, s1
	v_add_co_u32_e32 v0, vcc, s0, v1
	v_addc_co_u32_e32 v1, vcc, 0, v2, vcc
	;;#ASMSTART
	v_cvt_f16_f32 v2, v9;

	;;#ASMEND
	global_store_short v[0:1], v2, off offset:128
.LBB67_69:
	s_endpgm
	.section	.rodata,"a",@progbits
	.p2align	6, 0x0
	.amdhsa_kernel _ZN4vllm25paged_attention_v2_kernelIttLi80ELi8ELi128ELNS_18Fp8KVCacheDataTypeE0ELb1ELi512EEEvPfS2_PT_PKS3_PKT0_S9_ifPKiSB_iPKfiiiSD_SD_iiiii
		.amdhsa_group_segment_fixed_size 176
		.amdhsa_private_segment_fixed_size 0
		.amdhsa_kernarg_size 400
		.amdhsa_user_sgpr_count 6
		.amdhsa_user_sgpr_private_segment_buffer 1
		.amdhsa_user_sgpr_dispatch_ptr 0
		.amdhsa_user_sgpr_queue_ptr 0
		.amdhsa_user_sgpr_kernarg_segment_ptr 1
		.amdhsa_user_sgpr_dispatch_id 0
		.amdhsa_user_sgpr_flat_scratch_init 0
		.amdhsa_user_sgpr_kernarg_preload_length 0
		.amdhsa_user_sgpr_kernarg_preload_offset 0
		.amdhsa_user_sgpr_private_segment_size 0
		.amdhsa_uses_dynamic_stack 0
		.amdhsa_system_sgpr_private_segment_wavefront_offset 0
		.amdhsa_system_sgpr_workgroup_id_x 1
		.amdhsa_system_sgpr_workgroup_id_y 1
		.amdhsa_system_sgpr_workgroup_id_z 1
		.amdhsa_system_sgpr_workgroup_info 0
		.amdhsa_system_vgpr_workitem_id 0
		.amdhsa_next_free_vgpr 44
		.amdhsa_next_free_sgpr 54
		.amdhsa_accum_offset 44
		.amdhsa_reserve_vcc 1
		.amdhsa_reserve_flat_scratch 0
		.amdhsa_float_round_mode_32 0
		.amdhsa_float_round_mode_16_64 0
		.amdhsa_float_denorm_mode_32 3
		.amdhsa_float_denorm_mode_16_64 3
		.amdhsa_dx10_clamp 1
		.amdhsa_ieee_mode 1
		.amdhsa_fp16_overflow 0
		.amdhsa_tg_split 0
		.amdhsa_exception_fp_ieee_invalid_op 0
		.amdhsa_exception_fp_denorm_src 0
		.amdhsa_exception_fp_ieee_div_zero 0
		.amdhsa_exception_fp_ieee_overflow 0
		.amdhsa_exception_fp_ieee_underflow 0
		.amdhsa_exception_fp_ieee_inexact 0
		.amdhsa_exception_int_div_zero 0
	.end_amdhsa_kernel
	.section	.text._ZN4vllm25paged_attention_v2_kernelIttLi80ELi8ELi128ELNS_18Fp8KVCacheDataTypeE0ELb1ELi512EEEvPfS2_PT_PKS3_PKT0_S9_ifPKiSB_iPKfiiiSD_SD_iiiii,"axG",@progbits,_ZN4vllm25paged_attention_v2_kernelIttLi80ELi8ELi128ELNS_18Fp8KVCacheDataTypeE0ELb1ELi512EEEvPfS2_PT_PKS3_PKT0_S9_ifPKiSB_iPKfiiiSD_SD_iiiii,comdat
.Lfunc_end67:
	.size	_ZN4vllm25paged_attention_v2_kernelIttLi80ELi8ELi128ELNS_18Fp8KVCacheDataTypeE0ELb1ELi512EEEvPfS2_PT_PKS3_PKT0_S9_ifPKiSB_iPKfiiiSD_SD_iiiii, .Lfunc_end67-_ZN4vllm25paged_attention_v2_kernelIttLi80ELi8ELi128ELNS_18Fp8KVCacheDataTypeE0ELb1ELi512EEEvPfS2_PT_PKS3_PKT0_S9_ifPKiSB_iPKfiiiSD_SD_iiiii
                                        ; -- End function
	.section	.AMDGPU.csdata,"",@progbits
; Kernel info:
; codeLenInByte = 5288
; NumSgprs: 58
; NumVgprs: 44
; NumAgprs: 0
; TotalNumVgprs: 44
; ScratchSize: 0
; MemoryBound: 0
; FloatMode: 240
; IeeeMode: 1
; LDSByteSize: 176 bytes/workgroup (compile time only)
; SGPRBlocks: 7
; VGPRBlocks: 5
; NumSGPRsForWavesPerEU: 58
; NumVGPRsForWavesPerEU: 44
; AccumOffset: 44
; Occupancy: 8
; WaveLimiterHint : 1
; COMPUTE_PGM_RSRC2:SCRATCH_EN: 0
; COMPUTE_PGM_RSRC2:USER_SGPR: 6
; COMPUTE_PGM_RSRC2:TRAP_HANDLER: 0
; COMPUTE_PGM_RSRC2:TGID_X_EN: 1
; COMPUTE_PGM_RSRC2:TGID_Y_EN: 1
; COMPUTE_PGM_RSRC2:TGID_Z_EN: 1
; COMPUTE_PGM_RSRC2:TIDIG_COMP_CNT: 0
; COMPUTE_PGM_RSRC3_GFX90A:ACCUM_OFFSET: 10
; COMPUTE_PGM_RSRC3_GFX90A:TG_SPLIT: 0
	.section	.text._ZN4vllm32paged_attention_v2_reduce_kernelItLi80ELi128ELi512EEEvPT_PKfS4_PKS1_PKii,"axG",@progbits,_ZN4vllm32paged_attention_v2_reduce_kernelItLi80ELi128ELi512EEEvPT_PKfS4_PKS1_PKii,comdat
	.protected	_ZN4vllm32paged_attention_v2_reduce_kernelItLi80ELi128ELi512EEEvPT_PKfS4_PKS1_PKii ; -- Begin function _ZN4vllm32paged_attention_v2_reduce_kernelItLi80ELi128ELi512EEEvPT_PKfS4_PKS1_PKii
	.globl	_ZN4vllm32paged_attention_v2_reduce_kernelItLi80ELi128ELi512EEEvPT_PKfS4_PKS1_PKii
	.p2align	8
	.type	_ZN4vllm32paged_attention_v2_reduce_kernelItLi80ELi128ELi512EEEvPT_PKfS4_PKS1_PKii,@function
_ZN4vllm32paged_attention_v2_reduce_kernelItLi80ELi128ELi512EEEvPT_PKfS4_PKS1_PKii: ; @_ZN4vllm32paged_attention_v2_reduce_kernelItLi80ELi128ELi512EEEvPT_PKfS4_PKS1_PKii
; %bb.0:
	s_load_dwordx4 s[8:11], s[4:5], 0x18
	s_add_u32 s12, s4, 48
	s_mov_b32 s14, s7
	s_addc_u32 s13, s5, 0
	s_ashr_i32 s15, s7, 31
	s_lshl_b64 s[0:1], s[14:15], 2
	s_waitcnt lgkmcnt(0)
	s_add_u32 s0, s10, s0
	s_addc_u32 s1, s11, s1
	s_load_dword s24, s[0:1], 0x0
	s_load_dwordx2 s[10:11], s[4:5], 0x0
	s_load_dword s7, s[4:5], 0x28
	s_load_dword s15, s[4:5], 0x30
	s_waitcnt lgkmcnt(0)
	s_add_i32 s0, s24, -1
	s_cmpk_gt_u32 s0, 0x1ff
	s_mov_b64 s[0:1], -1
	s_cbranch_scc0 .LBB68_25
; %bb.1:
	s_add_i32 s0, s24, 0x1ff
	s_load_dwordx2 s[20:21], s[4:5], 0x8
	s_ashr_i32 s1, s0, 31
	s_lshr_b32 s1, s1, 23
	s_add_i32 s0, s0, s1
	s_mul_i32 s22, s15, s14
	s_ashr_i32 s23, s0, 9
	s_mul_i32 s16, s22, s7
	s_mul_i32 s18, s6, s7
	s_ashr_i32 s17, s16, 31
	s_ashr_i32 s19, s18, 31
	v_cmp_gt_i32_e32 vcc, s23, v0
	v_mov_b32_e32 v5, 0xff7fffff
	v_lshlrev_b32_e32 v1, 2, v0
	s_and_saveexec_b64 s[2:3], vcc
	s_cbranch_execz .LBB68_5
; %bb.2:
	s_load_dword s25, s[12:13], 0xc
	s_load_dwordx2 s[0:1], s[4:5], 0x10
	s_lshl_b64 s[4:5], s[16:17], 2
	s_lshl_b64 s[26:27], s[18:19], 2
	s_mov_b32 s28, 0
	s_waitcnt lgkmcnt(0)
	s_and_b32 s25, s25, 0xffff
	s_add_u32 s4, s4, s26
	s_addc_u32 s5, s5, s27
	s_add_u32 s0, s0, s4
	s_addc_u32 s1, s1, s5
	v_mov_b32_e32 v3, s1
	v_add_co_u32_e64 v2, s[0:1], s0, v1
	v_addc_co_u32_e64 v3, s[0:1], 0, v3, s[0:1]
	s_lshl_b32 s26, s25, 2
	v_add_u32_e32 v4, 16, v1
	s_mov_b64 s[4:5], 0
	v_mov_b32_e32 v5, 0xff7fffff
	v_mov_b32_e32 v6, s28
	;; [unrolled: 1-line block ×3, first 2 shown]
.LBB68_3:                               ; =>This Inner Loop Header: Depth=1
	global_load_dword v8, v[2:3], off
	v_add_co_u32_e64 v2, s[0:1], s26, v2
	v_add_u32_e32 v7, s25, v7
	v_addc_co_u32_e64 v3, s[0:1], v3, v6, s[0:1]
	v_max_f32_e32 v5, v5, v5
	v_cmp_le_i32_e64 s[0:1], s23, v7
	s_or_b64 s[4:5], s[0:1], s[4:5]
	s_waitcnt vmcnt(0)
	ds_write_b32 v4, v8
	v_max_f32_e32 v8, v8, v8
	v_add_u32_e32 v4, s26, v4
	v_max_f32_e32 v5, v5, v8
	s_andn2_b64 exec, exec, s[4:5]
	s_cbranch_execnz .LBB68_3
; %bb.4:
	s_or_b64 exec, exec, s[4:5]
.LBB68_5:
	s_or_b64 exec, exec, s[2:3]
	v_mbcnt_lo_u32_b32 v2, -1, 0
	v_mbcnt_hi_u32_b32 v2, -1, v2
	v_and_b32_e32 v3, 64, v2
	v_add_u32_e32 v6, 64, v3
	v_xor_b32_e32 v3, 32, v2
	v_cmp_lt_i32_e64 s[0:1], v3, v6
	v_cndmask_b32_e64 v3, v2, v3, s[0:1]
	v_lshlrev_b32_e32 v4, 2, v3
	ds_bpermute_b32 v3, v4, v5
	v_xor_b32_e32 v7, 16, v2
	v_max_f32_e32 v5, v5, v5
	v_cmp_lt_i32_e64 s[0:1], v7, v6
	v_xor_b32_e32 v8, 8, v2
	s_waitcnt lgkmcnt(0)
	v_max_f32_e32 v3, v3, v3
	v_max_f32_e32 v3, v5, v3
	v_cndmask_b32_e64 v5, v2, v7, s[0:1]
	v_lshlrev_b32_e32 v5, 2, v5
	ds_bpermute_b32 v7, v5, v3
	v_cmp_lt_i32_e64 s[0:1], v8, v6
	v_xor_b32_e32 v9, 4, v2
	v_xor_b32_e32 v10, 2, v2
	v_lshrrev_b32_e32 v13, 6, v0
	s_waitcnt lgkmcnt(0)
	v_max_f32_e32 v7, v7, v7
	v_max_f32_e32 v3, v3, v7
	v_cndmask_b32_e64 v7, v2, v8, s[0:1]
	v_lshlrev_b32_e32 v7, 2, v7
	ds_bpermute_b32 v8, v7, v3
	v_cmp_lt_i32_e64 s[0:1], v9, v6
	s_waitcnt lgkmcnt(0)
	s_barrier
	v_max_f32_e32 v8, v8, v8
	v_max_f32_e32 v3, v3, v8
	v_cndmask_b32_e64 v8, v2, v9, s[0:1]
	v_lshlrev_b32_e32 v8, 2, v8
	ds_bpermute_b32 v9, v8, v3
	v_cmp_lt_i32_e64 s[0:1], v10, v6
	s_waitcnt lgkmcnt(0)
	v_max_f32_e32 v9, v9, v9
	v_max_f32_e32 v11, v3, v9
	v_cndmask_b32_e64 v3, v2, v10, s[0:1]
	v_lshlrev_b32_e32 v9, 2, v3
	ds_bpermute_b32 v10, v9, v11
	v_and_b32_e32 v3, 63, v0
	s_waitcnt lgkmcnt(0)
	v_max_f32_e32 v10, v10, v10
	v_max_f32_e32 v11, v11, v10
	v_xor_b32_e32 v10, 1, v2
	v_cmp_lt_i32_e64 s[0:1], v10, v6
	v_cndmask_b32_e64 v6, v2, v10, s[0:1]
	v_lshlrev_b32_e32 v6, 2, v6
	ds_bpermute_b32 v12, v6, v11
	v_cmp_eq_u32_e64 s[0:1], 0, v3
	v_lshlrev_b32_e32 v10, 2, v13
	s_and_saveexec_b64 s[2:3], s[0:1]
	s_cbranch_execz .LBB68_7
; %bb.6:
	s_waitcnt lgkmcnt(0)
	v_max_f32_e32 v12, v12, v12
	v_max_f32_e32 v11, v11, v11
	;; [unrolled: 1-line block ×3, first 2 shown]
	ds_write_b32 v10, v11
.LBB68_7:
	s_or_b64 exec, exec, s[2:3]
	v_cmp_gt_u32_e64 s[2:3], 2, v3
	s_waitcnt lgkmcnt(0)
	v_mov_b32_e32 v12, 0xff7fffff
	v_lshlrev_b32_e32 v11, 2, v3
	s_barrier
	s_and_saveexec_b64 s[4:5], s[2:3]
	s_cbranch_execz .LBB68_9
; %bb.8:
	ds_read_b32 v12, v11
.LBB68_9:
	s_or_b64 exec, exec, s[4:5]
	s_waitcnt lgkmcnt(0)
	ds_bpermute_b32 v3, v6, v12
	v_max_f32_e32 v12, v12, v12
	v_lshlrev_b32_e32 v2, 2, v2
	s_lshl_b32 s25, s23, 2
	v_mov_b32_e32 v14, 0
	s_waitcnt lgkmcnt(0)
	v_max_f32_e32 v3, v3, v3
	v_max_f32_e32 v3, v12, v3
	v_and_b32_e32 v12, 0x100, v2
	ds_bpermute_b32 v13, v12, v3
	s_and_saveexec_b64 s[4:5], vcc
	s_cbranch_execz .LBB68_13
; %bb.10:
	s_load_dword s30, s[12:13], 0xc
	s_lshl_b64 s[26:27], s[16:17], 2
	s_lshl_b64 s[28:29], s[18:19], 2
	s_mov_b32 s31, 0
	v_mov_b32_e32 v14, 0
	s_waitcnt lgkmcnt(0)
	s_and_b32 s17, s30, 0xffff
	s_add_u32 s19, s26, s28
	s_addc_u32 s26, s27, s29
	s_add_u32 s19, s20, s19
	s_addc_u32 s20, s21, s26
	v_mov_b32_e32 v3, s20
	v_add_co_u32_e32 v2, vcc, s19, v1
	v_addc_co_u32_e32 v3, vcc, 0, v3, vcc
	s_lshl_b32 s19, s17, 2
	v_add_u32_e32 v1, 16, v1
	s_mov_b64 s[20:21], 0
	s_mov_b32 s26, 0x3fb8aa3b
	s_mov_b32 s27, 0xc2ce8ed0
	;; [unrolled: 1-line block ×3, first 2 shown]
	v_mov_b32_e32 v15, 0x7f800000
	v_mov_b32_e32 v16, s31
	;; [unrolled: 1-line block ×3, first 2 shown]
.LBB68_11:                              ; =>This Inner Loop Header: Depth=1
	global_load_dword v18, v[2:3], off
	ds_read_b32 v19, v1
	v_add_co_u32_e32 v2, vcc, s19, v2
	v_add_u32_e32 v17, s17, v17
	v_addc_co_u32_e32 v3, vcc, v3, v16, vcc
	s_waitcnt lgkmcnt(0)
	v_sub_f32_e32 v19, v19, v13
	v_mul_f32_e32 v21, 0x3fb8aa3b, v19
	v_fma_f32 v22, v19, s26, -v21
	v_rndne_f32_e32 v23, v21
	v_fmac_f32_e32 v22, 0x32a5705f, v19
	v_sub_f32_e32 v21, v21, v23
	v_add_f32_e32 v21, v21, v22
	v_cvt_i32_f32_e32 v23, v23
	v_exp_f32_e32 v21, v21
	v_cmp_le_i32_e32 vcc, s23, v17
	s_or_b64 s[20:21], vcc, s[20:21]
	v_cmp_ngt_f32_e32 vcc, s27, v19
	v_ldexp_f32 v21, v21, v23
	v_cndmask_b32_e32 v21, 0, v21, vcc
	v_cmp_nlt_f32_e32 vcc, s28, v19
	v_cndmask_b32_e32 v19, v15, v21, vcc
	v_add_u32_e32 v20, s25, v1
	v_add_u32_e32 v1, s19, v1
	s_waitcnt vmcnt(0)
	v_mul_f32_e32 v21, v18, v19
	v_fmac_f32_e32 v14, v18, v19
	ds_write_b32 v20, v21
	s_andn2_b64 exec, exec, s[20:21]
	s_cbranch_execnz .LBB68_11
; %bb.12:
	s_or_b64 exec, exec, s[20:21]
.LBB68_13:
	s_or_b64 exec, exec, s[4:5]
	ds_bpermute_b32 v1, v4, v14
	s_waitcnt lgkmcnt(0)
	s_barrier
	v_add_f32_e32 v1, v14, v1
	ds_bpermute_b32 v2, v5, v1
	s_waitcnt lgkmcnt(0)
	v_add_f32_e32 v1, v1, v2
	ds_bpermute_b32 v2, v7, v1
	s_waitcnt lgkmcnt(0)
	;; [unrolled: 3-line block ×5, first 2 shown]
	v_add_f32_e32 v1, v1, v2
	s_and_saveexec_b64 s[4:5], s[0:1]
	s_cbranch_execz .LBB68_15
; %bb.14:
	ds_write_b32 v10, v1 offset:8
.LBB68_15:
	s_or_b64 exec, exec, s[4:5]
	s_waitcnt lgkmcnt(0)
	s_barrier
	s_and_saveexec_b64 s[0:1], s[2:3]
	s_cbranch_execz .LBB68_17
; %bb.16:
	ds_read_b32 v1, v11 offset:8
.LBB68_17:
	s_or_b64 exec, exec, s[0:1]
	s_waitcnt lgkmcnt(0)
	ds_bpermute_b32 v2, v6, v1
	s_movk_i32 s0, 0x50
	v_cmp_gt_u32_e32 vcc, s0, v0
	s_waitcnt lgkmcnt(0)
	v_add_f32_e32 v1, v1, v2
	ds_bpermute_b32 v2, v12, v1
	s_and_saveexec_b64 s[0:1], vcc
	s_cbranch_execz .LBB68_24
; %bb.18:
	s_cmp_gt_i32 s24, 0
	s_mov_b32 s4, 0
	s_cbranch_scc1 .LBB68_20
; %bb.19:
	v_mov_b32_e32 v1, 0
	v_mov_b32_e32 v4, s4
	s_cbranch_execz .LBB68_21
	s_branch .LBB68_23
.LBB68_20:
                                        ; implicit-def: $sgpr4
	v_mov_b32_e32 v4, s4
.LBB68_21:
	s_waitcnt lgkmcnt(0)
	v_add_f32_e32 v1, 0x358637bd, v2
	v_div_scale_f32 v2, s[2:3], v1, v1, 1.0
	v_rcp_f32_e32 v3, v2
	s_mul_i32 s4, s16, 0x50
	s_mul_i32 s16, s18, 0x50
	s_ashr_i32 s5, s4, 31
	v_fma_f32 v4, -v2, v3, 1.0
	v_fmac_f32_e32 v3, v4, v3
	v_div_scale_f32 v4, vcc, 1.0, v1, 1.0
	v_mul_f32_e32 v5, v4, v3
	s_ashr_i32 s17, s16, 31
	s_max_i32 s2, s23, 1
	v_fma_f32 v6, -v2, v5, v4
	s_add_i32 s3, s25, 16
	s_lshl_b64 s[4:5], s[4:5], 1
	s_lshl_b64 s[16:17], s[16:17], 1
	v_fmac_f32_e32 v5, v6, v3
	s_add_u32 s4, s4, s16
	v_fma_f32 v2, -v2, v5, v4
	s_addc_u32 s5, s5, s17
	v_div_fmas_f32 v2, v2, v3, v5
	s_add_u32 s4, s8, s4
	v_div_fixup_f32 v5, v2, v1, 1.0
	v_lshlrev_b32_e32 v2, 1, v0
	s_addc_u32 s5, s9, s5
	v_mov_b32_e32 v1, 0
	v_mov_b32_e32 v3, s5
	v_add_co_u32_e32 v2, vcc, s4, v2
	v_addc_co_u32_e32 v3, vcc, 0, v3, vcc
	v_mov_b32_e32 v4, v1
.LBB68_22:                              ; =>This Inner Loop Header: Depth=1
	global_load_ushort v6, v[2:3], off
	v_mov_b32_e32 v7, s3
	s_waitcnt vmcnt(0)
	;;#ASMSTART
	v_cvt_f32_f16 v6, v6;
	;;#ASMEND
	ds_read_b32 v7, v7
	s_add_i32 s2, s2, -1
	v_add_co_u32_e32 v2, vcc, 0xa0, v2
	s_add_i32 s3, s3, 4
	s_waitcnt lgkmcnt(0)
	v_mul_f32_e32 v6, v6, v7
	v_addc_co_u32_e32 v3, vcc, 0, v3, vcc
	s_cmp_eq_u32 s2, 0
	v_fmac_f32_e32 v4, v5, v6
	s_cbranch_scc0 .LBB68_22
.LBB68_23:
	s_mul_i32 s2, s22, 0x50
	s_ashr_i32 s3, s2, 31
	s_lshl_b64 s[2:3], s[2:3], 1
	s_add_u32 s4, s10, s2
	s_mul_i32 s2, s6, 0x50
	s_addc_u32 s5, s11, s3
	s_ashr_i32 s3, s2, 31
	s_lshl_b64 s[2:3], s[2:3], 1
	s_add_u32 s2, s4, s2
	s_addc_u32 s3, s5, s3
	s_waitcnt lgkmcnt(0)
	v_lshlrev_b64 v[2:3], 1, v[0:1]
	v_mov_b32_e32 v1, s3
	v_add_co_u32_e32 v2, vcc, s2, v2
	v_addc_co_u32_e32 v3, vcc, v1, v3, vcc
	;;#ASMSTART
	v_cvt_f16_f32 v1, v4;

	;;#ASMEND
	global_store_short v[2:3], v1, off
.LBB68_24:
	s_or_b64 exec, exec, s[0:1]
	s_mov_b64 s[0:1], 0
.LBB68_25:
	s_and_b64 vcc, exec, s[0:1]
	s_cbranch_vccz .LBB68_34
; %bb.26:
	s_movk_i32 s0, 0x50
	v_cmp_gt_u32_e32 vcc, s0, v0
	s_and_saveexec_b64 s[2:3], vcc
	s_cbranch_execz .LBB68_34
; %bb.27:
	s_mul_i32 s1, s15, s14
	s_mul_i32 s2, s1, 0x50
	s_ashr_i32 s3, s2, 31
	s_lshl_b64 s[4:5], s[2:3], 1
	s_add_u32 s1, s10, s4
	s_mul_i32 s14, s6, 0x50
	s_addc_u32 s3, s11, s5
	s_ashr_i32 s15, s14, 31
	s_lshl_b64 s[4:5], s[14:15], 1
	s_add_u32 s4, s1, s4
	s_mul_i32 s2, s2, s7
	s_addc_u32 s10, s3, s5
	s_ashr_i32 s3, s2, 31
	s_lshl_b64 s[2:3], s[2:3], 1
	s_add_u32 s1, s8, s2
	s_load_dword s8, s[12:13], 0xc
	s_mul_i32 s2, s14, s7
	s_addc_u32 s6, s9, s3
	s_ashr_i32 s3, s2, 31
	s_lshl_b64 s[2:3], s[2:3], 1
	s_add_u32 s5, s1, s2
	s_addc_u32 s7, s6, s3
	s_waitcnt lgkmcnt(0)
	s_and_b32 s6, s8, 0xffff
	v_cvt_f32_u32_e32 v1, s6
	v_add_u32_e32 v2, s6, v0
	v_mov_b32_e32 v4, s6
	v_cmp_gt_u32_e32 vcc, s0, v2
	v_rcp_iflag_f32_e32 v1, v1
	s_cmp_eq_u32 s6, 1
	v_max_u32_e32 v3, 0x50, v2
	v_addc_co_u32_e64 v2, s[0:1], v0, v4, vcc
	v_mul_f32_e32 v1, 0x4f7ffffe, v1
	v_cvt_u32_f32_e32 v1, v1
	s_cselect_b64 s[2:3], -1, 0
	s_sub_i32 s0, 0, s6
	v_sub_u32_e32 v2, v3, v2
	v_mul_lo_u32 v3, s0, v1
	v_mul_hi_u32 v3, v1, v3
	v_add_u32_e32 v1, v1, v3
	v_mul_hi_u32 v1, v2, v1
	v_mul_lo_u32 v3, v1, s6
	v_sub_u32_e32 v2, v2, v3
	v_add_u32_e32 v3, 1, v1
	v_cmp_le_u32_e64 s[0:1], s6, v2
	v_cndmask_b32_e64 v1, v1, v3, s[0:1]
	v_subrev_u32_e32 v3, s6, v2
	v_cndmask_b32_e64 v2, v2, v3, s[0:1]
	v_add_u32_e32 v3, 1, v1
	v_cmp_le_u32_e64 s[0:1], s6, v2
	v_cndmask_b32_e64 v1, v1, v3, s[0:1]
	v_addc_co_u32_e32 v1, vcc, 1, v1, vcc
	v_cmp_lt_u32_e32 vcc, 7, v1
	s_and_b64 s[8:9], vcc, s[2:3]
	s_mov_b64 s[2:3], -1
	s_and_saveexec_b64 s[0:1], s[8:9]
	s_cbranch_execz .LBB68_31
; %bb.28:
	v_and_b32_e32 v4, -8, v1
	s_mov_b64 s[2:3], 0
	v_mov_b32_e32 v3, 0
	v_mov_b32_e32 v5, s7
	;; [unrolled: 1-line block ×5, first 2 shown]
.LBB68_29:                              ; =>This Inner Loop Header: Depth=1
	v_lshlrev_b64 v[12:13], 1, v[2:3]
	v_add_co_u32_e32 v8, vcc, s5, v12
	v_addc_co_u32_e32 v9, vcc, v5, v13, vcc
	global_load_dwordx4 v[8:11], v[8:9], off
	v_add_co_u32_e32 v12, vcc, s4, v12
	v_add_u32_e32 v7, -8, v7
	v_addc_co_u32_e32 v13, vcc, v6, v13, vcc
	v_cmp_eq_u32_e32 vcc, 0, v7
	v_add_u32_e32 v2, 8, v2
	s_or_b64 s[2:3], vcc, s[2:3]
	s_waitcnt vmcnt(0)
	global_store_dwordx4 v[12:13], v[8:11], off
	s_andn2_b64 exec, exec, s[2:3]
	s_cbranch_execnz .LBB68_29
; %bb.30:
	s_or_b64 exec, exec, s[2:3]
	v_cmp_ne_u32_e32 vcc, v1, v4
	v_add_u32_e32 v0, v0, v4
	s_orn2_b64 s[2:3], vcc, exec
.LBB68_31:
	s_or_b64 exec, exec, s[0:1]
	s_and_b64 exec, exec, s[2:3]
	s_cbranch_execz .LBB68_34
; %bb.32:
	s_mov_b32 s3, 0
	v_mov_b32_e32 v1, 0
	v_lshlrev_b64 v[2:3], 1, v[0:1]
	s_lshl_b32 s2, s6, 1
	s_mov_b64 s[0:1], 0
	v_mov_b32_e32 v1, s7
	v_mov_b32_e32 v4, s10
	;; [unrolled: 1-line block ×3, first 2 shown]
	s_movk_i32 s3, 0x4f
.LBB68_33:                              ; =>This Inner Loop Header: Depth=1
	v_add_co_u32_e32 v6, vcc, s5, v2
	v_addc_co_u32_e32 v7, vcc, v1, v3, vcc
	global_load_ushort v8, v[6:7], off
	v_add_co_u32_e32 v6, vcc, s4, v2
	v_addc_co_u32_e32 v7, vcc, v4, v3, vcc
	v_add_co_u32_e32 v2, vcc, s2, v2
	v_add_u32_e32 v0, s6, v0
	v_addc_co_u32_e32 v3, vcc, v3, v5, vcc
	v_cmp_lt_u32_e32 vcc, s3, v0
	s_or_b64 s[0:1], vcc, s[0:1]
	s_waitcnt vmcnt(0)
	global_store_short v[6:7], v8, off
	s_andn2_b64 exec, exec, s[0:1]
	s_cbranch_execnz .LBB68_33
.LBB68_34:
	s_endpgm
	.section	.rodata,"a",@progbits
	.p2align	6, 0x0
	.amdhsa_kernel _ZN4vllm32paged_attention_v2_reduce_kernelItLi80ELi128ELi512EEEvPT_PKfS4_PKS1_PKii
		.amdhsa_group_segment_fixed_size 16
		.amdhsa_private_segment_fixed_size 0
		.amdhsa_kernarg_size 304
		.amdhsa_user_sgpr_count 6
		.amdhsa_user_sgpr_private_segment_buffer 1
		.amdhsa_user_sgpr_dispatch_ptr 0
		.amdhsa_user_sgpr_queue_ptr 0
		.amdhsa_user_sgpr_kernarg_segment_ptr 1
		.amdhsa_user_sgpr_dispatch_id 0
		.amdhsa_user_sgpr_flat_scratch_init 0
		.amdhsa_user_sgpr_kernarg_preload_length 0
		.amdhsa_user_sgpr_kernarg_preload_offset 0
		.amdhsa_user_sgpr_private_segment_size 0
		.amdhsa_uses_dynamic_stack 0
		.amdhsa_system_sgpr_private_segment_wavefront_offset 0
		.amdhsa_system_sgpr_workgroup_id_x 1
		.amdhsa_system_sgpr_workgroup_id_y 1
		.amdhsa_system_sgpr_workgroup_id_z 0
		.amdhsa_system_sgpr_workgroup_info 0
		.amdhsa_system_vgpr_workitem_id 0
		.amdhsa_next_free_vgpr 24
		.amdhsa_next_free_sgpr 32
		.amdhsa_accum_offset 24
		.amdhsa_reserve_vcc 1
		.amdhsa_reserve_flat_scratch 0
		.amdhsa_float_round_mode_32 0
		.amdhsa_float_round_mode_16_64 0
		.amdhsa_float_denorm_mode_32 3
		.amdhsa_float_denorm_mode_16_64 3
		.amdhsa_dx10_clamp 1
		.amdhsa_ieee_mode 1
		.amdhsa_fp16_overflow 0
		.amdhsa_tg_split 0
		.amdhsa_exception_fp_ieee_invalid_op 0
		.amdhsa_exception_fp_denorm_src 0
		.amdhsa_exception_fp_ieee_div_zero 0
		.amdhsa_exception_fp_ieee_overflow 0
		.amdhsa_exception_fp_ieee_underflow 0
		.amdhsa_exception_fp_ieee_inexact 0
		.amdhsa_exception_int_div_zero 0
	.end_amdhsa_kernel
	.section	.text._ZN4vllm32paged_attention_v2_reduce_kernelItLi80ELi128ELi512EEEvPT_PKfS4_PKS1_PKii,"axG",@progbits,_ZN4vllm32paged_attention_v2_reduce_kernelItLi80ELi128ELi512EEEvPT_PKfS4_PKS1_PKii,comdat
.Lfunc_end68:
	.size	_ZN4vllm32paged_attention_v2_reduce_kernelItLi80ELi128ELi512EEEvPT_PKfS4_PKS1_PKii, .Lfunc_end68-_ZN4vllm32paged_attention_v2_reduce_kernelItLi80ELi128ELi512EEEvPT_PKfS4_PKS1_PKii
                                        ; -- End function
	.section	.AMDGPU.csdata,"",@progbits
; Kernel info:
; codeLenInByte = 2184
; NumSgprs: 36
; NumVgprs: 24
; NumAgprs: 0
; TotalNumVgprs: 24
; ScratchSize: 0
; MemoryBound: 0
; FloatMode: 240
; IeeeMode: 1
; LDSByteSize: 16 bytes/workgroup (compile time only)
; SGPRBlocks: 4
; VGPRBlocks: 2
; NumSGPRsForWavesPerEU: 36
; NumVGPRsForWavesPerEU: 24
; AccumOffset: 24
; Occupancy: 8
; WaveLimiterHint : 0
; COMPUTE_PGM_RSRC2:SCRATCH_EN: 0
; COMPUTE_PGM_RSRC2:USER_SGPR: 6
; COMPUTE_PGM_RSRC2:TRAP_HANDLER: 0
; COMPUTE_PGM_RSRC2:TGID_X_EN: 1
; COMPUTE_PGM_RSRC2:TGID_Y_EN: 1
; COMPUTE_PGM_RSRC2:TGID_Z_EN: 0
; COMPUTE_PGM_RSRC2:TIDIG_COMP_CNT: 0
; COMPUTE_PGM_RSRC3_GFX90A:ACCUM_OFFSET: 5
; COMPUTE_PGM_RSRC3_GFX90A:TG_SPLIT: 0
	.section	.text._ZN4vllm25paged_attention_v2_kernelIttLi96ELi8ELi128ELNS_18Fp8KVCacheDataTypeE0ELb1ELi512EEEvPfS2_PT_PKS3_PKT0_S9_ifPKiSB_iPKfiiiSD_SD_iiiii,"axG",@progbits,_ZN4vllm25paged_attention_v2_kernelIttLi96ELi8ELi128ELNS_18Fp8KVCacheDataTypeE0ELb1ELi512EEEvPfS2_PT_PKS3_PKT0_S9_ifPKiSB_iPKfiiiSD_SD_iiiii,comdat
	.protected	_ZN4vllm25paged_attention_v2_kernelIttLi96ELi8ELi128ELNS_18Fp8KVCacheDataTypeE0ELb1ELi512EEEvPfS2_PT_PKS3_PKT0_S9_ifPKiSB_iPKfiiiSD_SD_iiiii ; -- Begin function _ZN4vllm25paged_attention_v2_kernelIttLi96ELi8ELi128ELNS_18Fp8KVCacheDataTypeE0ELb1ELi512EEEvPfS2_PT_PKS3_PKT0_S9_ifPKiSB_iPKfiiiSD_SD_iiiii
	.globl	_ZN4vllm25paged_attention_v2_kernelIttLi96ELi8ELi128ELNS_18Fp8KVCacheDataTypeE0ELb1ELi512EEEvPfS2_PT_PKS3_PKT0_S9_ifPKiSB_iPKfiiiSD_SD_iiiii
	.p2align	8
	.type	_ZN4vllm25paged_attention_v2_kernelIttLi96ELi8ELi128ELNS_18Fp8KVCacheDataTypeE0ELb1ELi512EEEvPfS2_PT_PKS3_PKT0_S9_ifPKiSB_iPKfiiiSD_SD_iiiii,@function
_ZN4vllm25paged_attention_v2_kernelIttLi96ELi8ELi128ELNS_18Fp8KVCacheDataTypeE0ELb1ELi512EEEvPfS2_PT_PKS3_PKT0_S9_ifPKiSB_iPKfiiiSD_SD_iiiii: ; @_ZN4vllm25paged_attention_v2_kernelIttLi96ELi8ELi128ELNS_18Fp8KVCacheDataTypeE0ELb1ELi512EEEvPfS2_PT_PKS3_PKT0_S9_ifPKiSB_iPKfiiiSD_SD_iiiii
; %bb.0:
	s_load_dwordx2 s[0:1], s[4:5], 0x40
	s_mov_b32 s30, s7
	s_ashr_i32 s31, s7, 31
	s_lshl_b64 s[2:3], s[30:31], 2
	s_waitcnt lgkmcnt(0)
	s_add_u32 s0, s0, s2
	s_addc_u32 s1, s1, s3
	s_load_dword s31, s[0:1], 0x0
	s_lshl_b32 s51, s8, 9
	s_waitcnt lgkmcnt(0)
	s_cmp_ge_i32 s51, s31
	s_cbranch_scc1 .LBB69_69
; %bb.1:
	s_load_dword s9, s[4:5], 0x90
	s_load_dwordx2 s[40:41], s[4:5], 0x30
	s_waitcnt lgkmcnt(0)
	s_abs_i32 s2, s9
	s_abs_i32 s0, s40
	v_cvt_f32_u32_e32 v1, s0
	s_sub_i32 s3, 0, s0
	s_xor_b32 s1, s9, s40
	s_ashr_i32 s1, s1, 31
	v_rcp_iflag_f32_e32 v1, v1
	v_mul_f32_e32 v1, 0x4f7ffffe, v1
	v_cvt_u32_f32_e32 v1, v1
	v_readfirstlane_b32 s7, v1
	s_mul_i32 s3, s3, s7
	s_mul_hi_u32 s3, s7, s3
	s_add_i32 s7, s7, s3
	s_mul_hi_u32 s3, s2, s7
	s_mul_i32 s7, s3, s0
	s_sub_i32 s2, s2, s7
	s_add_i32 s10, s3, 1
	s_sub_i32 s7, s2, s0
	s_cmp_ge_u32 s2, s0
	s_cselect_b32 s3, s10, s3
	s_cselect_b32 s2, s7, s2
	s_add_i32 s7, s3, 1
	s_cmp_ge_u32 s2, s0
	s_cselect_b32 s0, s7, s3
	s_xor_b32 s0, s0, s1
	s_sub_i32 s2, s0, s1
	s_abs_i32 s10, s2
	v_cvt_f32_u32_e32 v1, s10
	s_load_dwordx2 s[0:1], s[4:5], 0x50
	s_sub_i32 s3, 0, s10
	s_abs_i32 s11, s6
	v_rcp_iflag_f32_e32 v1, v1
	s_mov_b32 s7, 0
	v_mul_f32_e32 v1, 0x4f7ffffe, v1
	v_cvt_u32_f32_e32 v1, v1
	v_readfirstlane_b32 s12, v1
	s_mul_i32 s3, s3, s12
	s_mul_hi_u32 s3, s12, s3
	s_add_i32 s12, s12, s3
	s_waitcnt lgkmcnt(0)
	s_cmp_eq_u64 s[0:1], 0
	s_mul_hi_u32 s12, s11, s12
	s_cbranch_scc1 .LBB69_3
; %bb.2:
	s_ashr_i32 s7, s6, 31
	s_lshl_b64 s[14:15], s[6:7], 2
	s_add_u32 s0, s0, s14
	s_addc_u32 s1, s1, s15
	s_load_dword s7, s[0:1], 0x0
.LBB69_3:
	s_load_dwordx4 s[16:19], s[4:5], 0x58
	s_movk_i32 s0, 0x60
	s_ashr_i32 s13, s6, 31
	s_ashr_i32 s20, s2, 31
	v_and_b32_e32 v2, 7, v0
	s_mul_i32 s14, s6, 0x60
	v_cmp_gt_u32_e64 s[0:1], s0, v0
	v_lshlrev_b32_e32 v1, 1, v0
	s_and_saveexec_b64 s[2:3], s[0:1]
	s_cbranch_execz .LBB69_5
; %bb.4:
	s_load_dwordx2 s[22:23], s[4:5], 0x18
	s_waitcnt lgkmcnt(0)
	s_mul_i32 s24, s30, s16
	s_ashr_i32 s25, s24, 31
	s_lshl_b64 s[24:25], s[24:25], 1
	v_lshrrev_b32_e32 v4, 2, v0
	s_add_u32 s16, s22, s24
	s_addc_u32 s19, s23, s25
	s_ashr_i32 s15, s14, 31
	s_lshl_b64 s[22:23], s[14:15], 1
	s_add_u32 s22, s16, s22
	s_addc_u32 s23, s19, s23
	global_load_ushort v3, v1, s[22:23]
	v_and_b32_e32 v4, 0xfe, v4
	v_mad_u32_u24 v4, v2, 24, v4
	s_waitcnt vmcnt(0)
	ds_write_b16 v4, v3
.LBB69_5:
	s_or_b64 exec, exec, s[2:3]
	s_mul_i32 s3, s12, s10
	s_sub_i32 s3, s11, s3
	s_xor_b32 s2, s13, s20
	s_add_i32 s11, s12, 1
	s_sub_i32 s13, s3, s10
	s_load_dwordx4 s[20:23], s[4:5], 0x78
	s_cmp_ge_u32 s3, s10
	s_cselect_b32 s11, s11, s12
	s_cselect_b32 s3, s13, s3
	s_load_dword s13, s[4:5], 0x88
	s_add_i32 s12, s11, 1
	s_cmp_ge_u32 s3, s10
	s_cselect_b32 s3, s12, s11
	s_waitcnt lgkmcnt(0)
	s_abs_i32 s33, s23
	v_cvt_f32_u32_e32 v3, s33
	s_xor_b32 s3, s3, s2
	s_sub_i32 s10, s3, s2
	s_sub_i32 s2, 0, s33
	v_rcp_iflag_f32_e32 v3, v3
	s_add_i32 s15, s31, -1
	s_abs_i32 s11, s15
	v_mul_f32_e32 v3, 0x4f7ffffe, v3
	v_cvt_u32_f32_e32 v3, v3
	s_barrier
	v_readfirstlane_b32 s48, v3
	s_mul_i32 s2, s2, s48
	s_mul_hi_u32 s2, s48, s2
	s_add_i32 s48, s48, s2
	s_cmp_lt_i32 s13, 0
	s_mul_hi_u32 s12, s11, s48
	s_cbranch_scc0 .LBB69_7
; %bb.6:
	s_mul_i32 s2, s20, s40
	s_add_i32 s2, s10, s2
	s_mul_i32 s2, s2, s13
	s_sub_i32 s49, 1, s2
	s_mov_b64 s[2:3], 0
	s_branch .LBB69_8
.LBB69_7:
	s_mov_b64 s[2:3], -1
                                        ; implicit-def: $sgpr49
.LBB69_8:
	s_load_dwordx2 s[34:35], s[4:5], 0x38
	s_ashr_i32 s16, s15, 31
	s_andn2_b64 vcc, exec, s[2:3]
	s_ashr_i32 s23, s23, 31
	s_cbranch_vccnz .LBB69_10
; %bb.9:
	s_mul_i32 s2, s9, s20
	s_add_i32 s2, s2, s6
	s_mul_i32 s2, s2, s13
	s_add_i32 s49, s2, 1
.LBB69_10:
	s_load_dword s2, s[4:5], 0x48
	s_load_dwordx2 s[38:39], s[4:5], 0x28
	s_load_dword s15, s[4:5], 0x98
	s_load_dwordx4 s[24:27], s[4:5], 0x0
	s_load_dwordx2 s[28:29], s[4:5], 0x10
	s_mul_i32 s3, s12, s33
	s_waitcnt lgkmcnt(0)
	s_mul_i32 s36, s30, s2
	s_sub_i32 s3, s11, s3
	s_ashr_i32 s37, s36, 31
	s_xor_b32 s2, s16, s23
	s_add_i32 s11, s12, 1
	s_sub_i32 s13, s3, s33
	s_cmp_ge_u32 s3, s33
	s_cselect_b32 s11, s11, s12
	s_cselect_b32 s3, s13, s3
	s_add_i32 s12, s11, 1
	s_cmp_ge_u32 s3, s33
	s_cselect_b32 s3, s12, s11
	s_xor_b32 s3, s3, s2
	s_sub_i32 s50, s3, s2
	s_add_i32 s2, s31, 7
	s_ashr_i32 s3, s2, 31
	s_lshr_b32 s3, s3, 29
	s_add_i32 s2, s2, s3
	s_lshl_b32 s40, s8, 6
	s_ashr_i32 s16, s2, 3
	s_add_i32 s2, s40, 64
	v_lshrrev_b32_e32 v4, 6, v0
	s_min_i32 s20, s2, s16
	v_or_b32_e32 v6, s40, v4
	v_cmp_gt_i32_e64 s[2:3], s20, v6
	v_mov_b32_e32 v14, 0xff7fffff
	s_mul_i32 s18, s10, s18
	v_ashrrev_i32_e32 v7, 31, v6
	v_lshl_add_u32 v12, v4, 3, s51
	v_mbcnt_lo_u32_b32 v5, -1, 0
	s_and_saveexec_b64 s[42:43], s[2:3]
	s_cbranch_execz .LBB69_20
; %bb.11:
	s_load_dwordx2 s[4:5], s[4:5], 0x20
	s_ashr_i32 s19, s18, 31
	s_sub_i32 s52, s50, s21
	s_lshl_b64 s[10:11], s[18:19], 1
	v_bfe_u32 v8, v0, 3, 3
	s_waitcnt lgkmcnt(0)
	s_add_u32 s4, s4, s10
	s_addc_u32 s5, s5, s11
	s_abs_i32 s19, s22
	v_cvt_f32_u32_e32 v10, s19
	v_lshlrev_b32_e32 v3, 4, v8
	v_mov_b32_e32 v9, s5
	v_add_co_u32_e64 v3, s[4:5], s4, v3
	v_rcp_iflag_f32_e32 v13, v10
	v_addc_co_u32_e64 v11, s[4:5], 0, v9, s[4:5]
	v_lshlrev_b32_e32 v9, 1, v2
	v_add_co_u32_e64 v9, s[4:5], v3, v9
	v_mul_f32_e32 v3, 0x4f7ffffe, v13
	v_cvt_u32_f32_e32 v3, v3
	s_sub_i32 s10, 0, s19
	v_cmp_eq_u32_e32 vcc, 0, v2
	v_addc_co_u32_e64 v10, s[4:5], 0, v11, s[4:5]
	v_mul_u32_u24_e32 v11, 24, v2
	v_mul_lo_u32 v2, s10, v3
	s_lshl_b64 s[10:11], s[36:37], 2
	v_mul_hi_u32 v2, v3, v2
	s_add_u32 s10, s34, s10
	v_add_u32_e32 v13, v3, v2
	v_lshlrev_b64 v[2:3], 2, v[6:7]
	s_addc_u32 s11, s35, s11
	v_mov_b32_e32 v14, s11
	v_add_co_u32_e64 v2, s[10:11], s10, v2
	v_addc_co_u32_e64 v3, s[10:11], v14, v3, s[10:11]
	v_lshlrev_b32_e32 v14, 2, v8
	v_lshl_or_b32 v14, v4, 5, v14
	v_add_u32_e32 v16, 0xd0, v14
	v_subrev_u32_e32 v14, s31, v8
	v_mbcnt_hi_u32_b32 v19, -1, v5
	v_add_u32_e32 v17, 1, v14
	v_and_b32_e32 v14, 64, v19
	s_mov_b32 s53, s17
	v_cmp_neq_f32_e64 s[4:5], s7, 0
	v_lshl_add_u32 v15, v4, 3, s51
	s_mov_b64 s[44:45], 0
	v_mov_b32_e32 v18, 0xff7fffff
	v_add_u32_e32 v20, 64, v14
	v_xor_b32_e32 v21, 4, v19
	v_xor_b32_e32 v22, 2, v19
	v_xor_b32_e32 v23, 1, v19
	v_mov_b32_e32 v14, 0xff7fffff
	v_mov_b32_e32 v24, v6
	s_branch .LBB69_14
.LBB69_12:                              ;   in Loop: Header=BB69_14 Depth=1
	s_or_b64 exec, exec, s[46:47]
.LBB69_13:                              ;   in Loop: Header=BB69_14 Depth=1
	s_or_b64 exec, exec, s[12:13]
	v_add_co_u32_e64 v2, s[10:11], 8, v2
	v_add_u32_e32 v24, 2, v24
	v_addc_co_u32_e64 v3, s[10:11], 0, v3, s[10:11]
	v_cmp_le_i32_e64 s[10:11], s20, v24
	v_add_u32_e32 v15, 16, v15
	s_or_b64 s[44:45], s[10:11], s[44:45]
	v_add_u32_e32 v16, 64, v16
	s_andn2_b64 exec, exec, s[44:45]
	s_cbranch_execz .LBB69_19
.LBB69_14:                              ; =>This Inner Loop Header: Depth=1
	s_waitcnt lgkmcnt(0)
	v_sub_u32_e32 v26, 0, v15
	v_max_i32_e32 v26, v15, v26
	v_mul_hi_u32 v27, v26, s48
	v_mul_lo_u32 v28, v27, s33
	v_sub_u32_e32 v26, v26, v28
	v_add_u32_e32 v28, 1, v27
	v_cmp_le_u32_e64 s[10:11], s33, v26
	v_cndmask_b32_e64 v27, v27, v28, s[10:11]
	v_subrev_u32_e32 v28, s33, v26
	v_cndmask_b32_e64 v26, v26, v28, s[10:11]
	v_ashrrev_i32_e32 v25, 31, v15
	v_add_u32_e32 v28, 1, v27
	v_cmp_le_u32_e64 s[10:11], s33, v26
	v_xor_b32_e32 v25, s23, v25
	v_cndmask_b32_e64 v26, v27, v28, s[10:11]
	v_xor_b32_e32 v26, v26, v25
	v_sub_u32_e32 v25, v26, v25
	v_add_u32_e32 v26, s49, v25
	v_sub_u32_e32 v28, 0, v26
	v_ashrrev_i32_e32 v27, 31, v26
	v_max_i32_e32 v26, v26, v28
	v_mul_hi_u32 v28, v26, v13
	v_mul_lo_u32 v28, v28, s19
	v_sub_u32_e32 v26, v26, v28
	v_subrev_u32_e32 v28, s19, v26
	v_cmp_le_u32_e64 s[10:11], s19, v26
	v_cndmask_b32_e64 v26, v26, v28, s[10:11]
	v_subrev_u32_e32 v28, s19, v26
	v_cmp_le_u32_e64 s[10:11], s19, v26
	v_cndmask_b32_e64 v26, v26, v28, s[10:11]
	v_xor_b32_e32 v26, v26, v27
	v_sub_u32_e32 v26, v26, v27
	v_cmp_ne_u32_e64 s[10:11], 0, v26
	v_cmp_ge_i32_e64 s[12:13], s52, v25
	s_and_b64 s[10:11], s[10:11], s[12:13]
	s_and_b64 s[46:47], vcc, s[10:11]
	s_and_saveexec_b64 s[12:13], s[46:47]
	s_cbranch_execz .LBB69_16
; %bb.15:                               ;   in Loop: Header=BB69_14 Depth=1
	ds_write_b32 v16, v18
.LBB69_16:                              ;   in Loop: Header=BB69_14 Depth=1
	s_or_b64 exec, exec, s[12:13]
	s_xor_b64 s[10:11], s[10:11], -1
	s_and_saveexec_b64 s[12:13], s[10:11]
	s_cbranch_execz .LBB69_13
; %bb.17:                               ;   in Loop: Header=BB69_14 Depth=1
	global_load_dword v25, v[2:3], off
	s_waitcnt vmcnt(0)
	v_mad_i64_i32 v[26:27], s[10:11], v25, s53, 0
	v_lshlrev_b64 v[26:27], 1, v[26:27]
	v_add_co_u32_e64 v26, s[10:11], v9, v26
	v_addc_co_u32_e64 v27, s[10:11], v10, v27, s[10:11]
	global_load_ushort v25, v[26:27], off
	global_load_ushort v28, v[26:27], off offset:128
	global_load_ushort v29, v[26:27], off offset:256
	global_load_ushort v30, v[26:27], off offset:384
	global_load_ushort v31, v[26:27], off offset:512
	global_load_ushort v32, v[26:27], off offset:640
	global_load_ushort v33, v[26:27], off offset:768
	global_load_ushort v34, v[26:27], off offset:896
	global_load_ushort v35, v[26:27], off offset:1024
	global_load_ushort v36, v[26:27], off offset:1152
	global_load_ushort v37, v[26:27], off offset:1280
	ds_read_u16 v38, v11
	global_load_ushort v26, v[26:27], off offset:1408
	s_waitcnt lgkmcnt(0)
	;;#ASMSTART
	v_cvt_f32_f16 v27, v38;
	;;#ASMEND
	v_cmp_lt_i32_e64 s[10:11], v21, v20
	v_cndmask_b32_e64 v46, v19, v21, s[10:11]
	v_lshlrev_b32_e32 v46, 2, v46
	v_cmp_lt_i32_e64 s[10:11], v22, v20
	s_waitcnt vmcnt(11)
	;;#ASMSTART
	v_cvt_f32_f16 v25, v25;
	;;#ASMEND
	ds_read_u16 v38, v11 offset:2
	s_waitcnt lgkmcnt(0)
	;;#ASMSTART
	v_cvt_f32_f16 v38, v38;
	;;#ASMEND
	s_waitcnt vmcnt(10)
	;;#ASMSTART
	v_cvt_f32_f16 v28, v28;
	;;#ASMEND
	v_mul_f32_e32 v28, v38, v28
	ds_read_u16 v39, v11 offset:4
	v_fmac_f32_e32 v28, v27, v25
	s_waitcnt lgkmcnt(0)
	;;#ASMSTART
	v_cvt_f32_f16 v39, v39;
	;;#ASMEND
	s_waitcnt vmcnt(9)
	;;#ASMSTART
	v_cvt_f32_f16 v29, v29;
	;;#ASMEND
	ds_read_u16 v40, v11 offset:6
	v_fmac_f32_e32 v28, v39, v29
	s_waitcnt lgkmcnt(0)
	;;#ASMSTART
	v_cvt_f32_f16 v40, v40;
	;;#ASMEND
	s_waitcnt vmcnt(8)
	;;#ASMSTART
	v_cvt_f32_f16 v30, v30;
	;;#ASMEND
	;; [unrolled: 10-line block ×7, first 2 shown]
	v_fmac_f32_e32 v28, v45, v35
	ds_read_u16 v47, v11 offset:18
	s_waitcnt lgkmcnt(0)
	;;#ASMSTART
	v_cvt_f32_f16 v25, v47;
	;;#ASMEND
	s_waitcnt vmcnt(2)
	;;#ASMSTART
	v_cvt_f32_f16 v27, v36;
	;;#ASMEND
	ds_read_u16 v29, v11 offset:20
	v_fmac_f32_e32 v28, v25, v27
	s_waitcnt lgkmcnt(0)
	;;#ASMSTART
	v_cvt_f32_f16 v29, v29;
	;;#ASMEND
	s_waitcnt vmcnt(1)
	;;#ASMSTART
	v_cvt_f32_f16 v30, v37;
	;;#ASMEND
	v_fmac_f32_e32 v28, v29, v30
	ds_read_u16 v31, v11 offset:22
	s_waitcnt lgkmcnt(0)
	;;#ASMSTART
	v_cvt_f32_f16 v25, v31;
	;;#ASMEND
	s_waitcnt vmcnt(0)
	;;#ASMSTART
	v_cvt_f32_f16 v26, v26;
	;;#ASMEND
	v_fmac_f32_e32 v28, v25, v26
	ds_bpermute_b32 v25, v46, v28
	v_cndmask_b32_e64 v26, v19, v22, s[10:11]
	v_lshlrev_b32_e32 v26, 2, v26
	v_cmp_lt_i32_e64 s[10:11], v23, v20
	v_cndmask_b32_e64 v27, v19, v23, s[10:11]
	s_waitcnt lgkmcnt(0)
	v_add_f32_e32 v25, v28, v25
	ds_bpermute_b32 v26, v26, v25
	s_waitcnt lgkmcnt(0)
	v_add_f32_e32 v25, v25, v26
	v_lshlrev_b32_e32 v26, 2, v27
	ds_bpermute_b32 v26, v26, v25
	s_and_saveexec_b64 s[46:47], vcc
	s_cbranch_execz .LBB69_12
; %bb.18:                               ;   in Loop: Header=BB69_14 Depth=1
	v_add_u32_e32 v27, v17, v15
	v_cvt_f32_i32_e32 v27, v27
	s_waitcnt lgkmcnt(0)
	v_add_f32_e32 v25, v25, v26
	v_add_u32_e32 v28, v8, v15
	v_cmp_gt_i32_e64 s[10:11], s31, v28
	v_mul_f32_e32 v26, s7, v27
	v_cndmask_b32_e64 v26, 0, v26, s[4:5]
	v_fmac_f32_e32 v26, s41, v25
	v_cndmask_b32_e64 v25, 0, v26, s[10:11]
	ds_write_b32 v16, v25
	v_max_f32_e32 v25, v14, v14
	v_max_f32_e32 v25, v25, v26
	v_cndmask_b32_e64 v14, v14, v25, s[10:11]
	s_branch .LBB69_12
.LBB69_19:
	s_or_b64 exec, exec, s[44:45]
.LBB69_20:
	s_or_b64 exec, exec, s[42:43]
	v_mbcnt_hi_u32_b32 v2, -1, v5
	v_and_b32_e32 v3, 64, v2
	v_add_u32_e32 v3, 64, v3
	v_xor_b32_e32 v5, 32, v2
	v_cmp_lt_i32_e32 vcc, v5, v3
	v_cndmask_b32_e32 v5, v2, v5, vcc
	v_lshlrev_b32_e32 v9, 2, v5
	ds_bpermute_b32 v5, v9, v14
	v_xor_b32_e32 v10, 16, v2
	v_max_f32_e32 v8, v14, v14
	v_cmp_lt_i32_e32 vcc, v10, v3
	v_and_b32_e32 v13, 63, v0
	s_waitcnt lgkmcnt(0)
	v_max_f32_e32 v5, v5, v5
	v_max_f32_e32 v5, v8, v5
	v_cndmask_b32_e32 v8, v2, v10, vcc
	v_lshlrev_b32_e32 v11, 2, v8
	ds_bpermute_b32 v8, v11, v5
	v_xor_b32_e32 v10, 8, v2
	v_cmp_lt_i32_e32 vcc, v10, v3
	s_waitcnt lgkmcnt(0)
	v_max_f32_e32 v8, v8, v8
	v_max_f32_e32 v5, v5, v8
	v_cndmask_b32_e32 v8, v2, v10, vcc
	v_lshlrev_b32_e32 v14, 2, v8
	ds_bpermute_b32 v10, v14, v5
	v_cmp_eq_u32_e32 vcc, 0, v13
	v_lshlrev_b32_e32 v8, 2, v4
	s_and_saveexec_b64 s[4:5], vcc
	s_cbranch_execz .LBB69_22
; %bb.21:
	s_waitcnt lgkmcnt(0)
	v_max_f32_e32 v10, v10, v10
	v_max_f32_e32 v5, v5, v5
	;; [unrolled: 1-line block ×3, first 2 shown]
	ds_write_b32 v8, v5 offset:192
.LBB69_22:
	s_or_b64 exec, exec, s[4:5]
	v_cmp_gt_u32_e64 s[4:5], 2, v13
	v_mov_b32_e32 v5, 0xff7fffff
	s_waitcnt lgkmcnt(0)
	v_lshlrev_b32_e32 v10, 2, v13
	s_barrier
	s_and_saveexec_b64 s[10:11], s[4:5]
	s_cbranch_execz .LBB69_24
; %bb.23:
	ds_read_b32 v5, v10 offset:192
.LBB69_24:
	s_or_b64 exec, exec, s[10:11]
	v_xor_b32_e32 v15, 1, v2
	v_cmp_lt_i32_e64 s[10:11], v15, v3
	v_cndmask_b32_e64 v15, v2, v15, s[10:11]
	v_lshlrev_b32_e32 v15, 2, v15
	s_waitcnt lgkmcnt(0)
	ds_bpermute_b32 v16, v15, v5
	v_max_f32_e32 v5, v5, v5
	s_sub_i32 s7, s20, s40
	s_lshl_b32 s7, s7, 3
	s_add_i32 s7, s7, s51
	s_waitcnt lgkmcnt(0)
	v_max_f32_e32 v16, v16, v16
	v_max_f32_e32 v5, v5, v16
	v_lshlrev_b32_e32 v16, 2, v2
	v_and_b32_e32 v16, 0x100, v16
	ds_bpermute_b32 v5, v16, v5
	s_min_i32 s19, s7, s31
	s_sub_i32 s7, s19, s51
	v_cmp_gt_i32_e64 s[10:11], s7, v0
	v_mov_b32_e32 v17, 0
	s_and_saveexec_b64 s[40:41], s[10:11]
	s_cbranch_execz .LBB69_28
; %bb.25:
	v_mov_b32_e32 v17, 0xd0
	v_lshl_add_u32 v18, v0, 2, v17
	s_mov_b64 s[42:43], 0
	v_mov_b32_e32 v17, 0
	v_mov_b32_e32 v19, v0
.LBB69_26:                              ; =>This Inner Loop Header: Depth=1
	ds_read_b32 v20, v18
	v_add_u32_e32 v19, 0x80, v19
	v_cmp_le_i32_e64 s[12:13], s7, v19
	s_or_b64 s[42:43], s[12:13], s[42:43]
	s_waitcnt lgkmcnt(0)
	v_sub_f32_e32 v20, v20, v5
	v_mul_f32_e32 v20, 0x3fb8aa3b, v20
	v_exp_f32_e32 v20, v20
	ds_write_b32 v18, v20
	v_add_f32_e32 v17, v17, v20
	v_add_u32_e32 v18, 0x200, v18
	s_andn2_b64 exec, exec, s[42:43]
	s_cbranch_execnz .LBB69_26
; %bb.27:
	s_or_b64 exec, exec, s[42:43]
.LBB69_28:
	s_or_b64 exec, exec, s[40:41]
	ds_bpermute_b32 v9, v9, v17
	s_waitcnt lgkmcnt(0)
	v_add_f32_e32 v9, v17, v9
	ds_bpermute_b32 v11, v11, v9
	s_waitcnt lgkmcnt(0)
	v_add_f32_e32 v9, v9, v11
	ds_bpermute_b32 v11, v14, v9
	v_xor_b32_e32 v14, 4, v2
	v_cmp_lt_i32_e64 s[12:13], v14, v3
	v_cndmask_b32_e64 v14, v2, v14, s[12:13]
	v_lshlrev_b32_e32 v14, 2, v14
	s_waitcnt lgkmcnt(0)
	v_add_f32_e32 v9, v9, v11
	ds_bpermute_b32 v11, v14, v9
	v_xor_b32_e32 v14, 2, v2
	v_cmp_lt_i32_e64 s[12:13], v14, v3
	v_cndmask_b32_e64 v2, v2, v14, s[12:13]
	v_lshlrev_b32_e32 v2, 2, v2
	s_waitcnt lgkmcnt(0)
	v_add_f32_e32 v3, v9, v11
	ds_bpermute_b32 v2, v2, v3
	s_waitcnt lgkmcnt(0)
	v_add_f32_e32 v2, v3, v2
	ds_bpermute_b32 v3, v15, v2
	s_waitcnt lgkmcnt(0)
	v_add_f32_e32 v2, v2, v3
	s_and_saveexec_b64 s[12:13], vcc
	s_cbranch_execz .LBB69_30
; %bb.29:
	ds_write_b32 v8, v2 offset:200
.LBB69_30:
	s_or_b64 exec, exec, s[12:13]
	s_waitcnt lgkmcnt(0)
	s_barrier
	s_and_saveexec_b64 s[12:13], s[4:5]
	s_cbranch_execz .LBB69_32
; %bb.31:
	ds_read_b32 v2, v10 offset:200
.LBB69_32:
	s_or_b64 exec, exec, s[12:13]
	s_waitcnt lgkmcnt(0)
	ds_bpermute_b32 v3, v15, v2
	s_waitcnt lgkmcnt(0)
	v_add_f32_e32 v2, v2, v3
	ds_bpermute_b32 v8, v16, v2
	s_and_saveexec_b64 s[4:5], s[10:11]
	s_cbranch_execz .LBB69_45
; %bb.33:
	s_waitcnt lgkmcnt(0)
	v_add_f32_e32 v2, 0x358637bd, v8
	v_div_scale_f32 v3, s[10:11], v2, v2, 1.0
	v_rcp_f32_e32 v9, v3
	v_div_scale_f32 v10, vcc, 1.0, v2, 1.0
	s_movk_i32 s10, 0x7f
	v_fma_f32 v11, -v3, v9, 1.0
	v_fmac_f32_e32 v9, v11, v9
	v_mul_f32_e32 v11, v10, v9
	v_fma_f32 v14, -v3, v11, v10
	v_fmac_f32_e32 v11, v14, v9
	v_fma_f32 v3, -v3, v11, v10
	v_div_fmas_f32 v3, v3, v9, v11
	v_div_fixup_f32 v2, v3, v2, 1.0
	v_xad_u32 v3, v0, -1, s19
	v_subrev_u32_e32 v9, s51, v3
	v_cmp_lt_u32_e32 vcc, s10, v9
	s_mov_b64 s[12:13], -1
	v_mov_b32_e32 v3, v0
	s_and_saveexec_b64 s[10:11], vcc
	s_cbranch_execz .LBB69_42
; %bb.34:
	v_lshrrev_b32_e32 v9, 7, v9
	v_add_u32_e32 v11, -1, v9
	v_lshrrev_b32_e32 v10, 1, v11
	v_mov_b32_e32 v3, v2
	v_add_u32_e32 v10, 1, v10
	v_cmp_lt_u32_e32 vcc, 13, v11
	v_mov_b32_e32 v15, 0
	s_and_saveexec_b64 s[12:13], vcc
	s_cbranch_execz .LBB69_38
; %bb.35:
	v_mov_b32_e32 v14, 0xd0
	v_and_b32_e32 v11, -8, v10
	v_lshl_add_u32 v14, v0, 2, v14
	s_mov_b32 s19, 0
	s_mov_b64 s[40:41], 0
.LBB69_36:                              ; =>This Inner Loop Header: Depth=1
	ds_read2st64_b32 v[16:17], v14 offset1:2
	ds_read2st64_b32 v[18:19], v14 offset0:4 offset1:6
	ds_read2st64_b32 v[20:21], v14 offset0:8 offset1:10
	ds_read2st64_b32 v[22:23], v14 offset0:12 offset1:14
	v_add_u32_e32 v11, -8, v11
	s_waitcnt lgkmcnt(3)
	v_pk_mul_f32 v[16:17], v[2:3], v[16:17]
	s_waitcnt lgkmcnt(2)
	v_pk_mul_f32 v[18:19], v[2:3], v[18:19]
	ds_write2st64_b32 v14, v16, v17 offset1:2
	ds_write2st64_b32 v14, v18, v19 offset0:4 offset1:6
	ds_read2st64_b32 v[18:19], v14 offset0:16 offset1:18
	s_waitcnt lgkmcnt(4)
	v_pk_mul_f32 v[16:17], v[2:3], v[20:21]
	ds_write2st64_b32 v14, v16, v17 offset0:8 offset1:10
	s_waitcnt lgkmcnt(4)
	v_pk_mul_f32 v[16:17], v[2:3], v[22:23]
	ds_write2st64_b32 v14, v16, v17 offset0:12 offset1:14
	ds_read2st64_b32 v[16:17], v14 offset0:20 offset1:22
	s_waitcnt lgkmcnt(3)
	v_pk_mul_f32 v[18:19], v[2:3], v[18:19]
	ds_read2st64_b32 v[20:21], v14 offset0:24 offset1:26
	ds_write2st64_b32 v14, v18, v19 offset0:16 offset1:18
	ds_read2st64_b32 v[18:19], v14 offset0:28 offset1:30
	s_waitcnt lgkmcnt(3)
	v_pk_mul_f32 v[16:17], v[2:3], v[16:17]
	ds_write2st64_b32 v14, v16, v17 offset0:20 offset1:22
	s_waitcnt lgkmcnt(3)
	v_pk_mul_f32 v[16:17], v[2:3], v[20:21]
	ds_write2st64_b32 v14, v16, v17 offset0:24 offset1:26
	s_waitcnt lgkmcnt(2)
	v_pk_mul_f32 v[16:17], v[2:3], v[18:19]
	s_add_i32 s19, s19, 16
	v_cmp_eq_u32_e32 vcc, 0, v11
	ds_write2st64_b32 v14, v16, v17 offset0:28 offset1:30
	v_add_u32_e32 v14, 0x2000, v14
	s_or_b64 s[40:41], vcc, s[40:41]
	v_mov_b32_e32 v15, s19
	s_andn2_b64 exec, exec, s[40:41]
	s_cbranch_execnz .LBB69_36
; %bb.37:
	s_or_b64 exec, exec, s[40:41]
.LBB69_38:
	s_or_b64 exec, exec, s[12:13]
	v_and_b32_e32 v10, 7, v10
	v_cmp_ne_u32_e32 vcc, 0, v10
	s_and_saveexec_b64 s[12:13], vcc
	s_cbranch_execz .LBB69_41
; %bb.39:
	v_lshlrev_b32_e32 v11, 9, v15
	v_lshlrev_b32_e32 v14, 2, v0
	s_movk_i32 s19, 0xd0
	v_add3_u32 v11, v11, v14, s19
	s_mov_b64 s[40:41], 0
.LBB69_40:                              ; =>This Inner Loop Header: Depth=1
	ds_read2st64_b32 v[14:15], v11 offset1:2
	v_add_u32_e32 v10, -1, v10
	v_cmp_eq_u32_e32 vcc, 0, v10
	s_or_b64 s[40:41], vcc, s[40:41]
	s_waitcnt lgkmcnt(0)
	v_pk_mul_f32 v[14:15], v[2:3], v[14:15]
	ds_write2st64_b32 v11, v14, v15 offset1:2
	v_add_u32_e32 v11, 0x400, v11
	s_andn2_b64 exec, exec, s[40:41]
	s_cbranch_execnz .LBB69_40
.LBB69_41:
	s_or_b64 exec, exec, s[12:13]
	v_add_u32_e32 v9, 1, v9
	v_and_b32_e32 v10, 0x3fffffe, v9
	v_cmp_ne_u32_e32 vcc, v9, v10
	v_lshl_add_u32 v3, v10, 7, v0
	s_orn2_b64 s[12:13], vcc, exec
.LBB69_42:
	s_or_b64 exec, exec, s[10:11]
	s_and_b64 exec, exec, s[12:13]
	s_cbranch_execz .LBB69_45
; %bb.43:
	v_mov_b32_e32 v9, 0xd0
	v_lshl_add_u32 v9, v3, 2, v9
	s_mov_b64 s[10:11], 0
.LBB69_44:                              ; =>This Inner Loop Header: Depth=1
	ds_read_b32 v10, v9
	v_add_u32_e32 v3, 0x80, v3
	v_cmp_le_i32_e32 vcc, s7, v3
	s_or_b64 s[10:11], vcc, s[10:11]
	s_waitcnt lgkmcnt(0)
	v_mul_f32_e32 v10, v2, v10
	ds_write_b32 v9, v10
	v_add_u32_e32 v9, 0x200, v9
	s_andn2_b64 exec, exec, s[10:11]
	s_cbranch_execnz .LBB69_44
.LBB69_45:
	s_or_b64 exec, exec, s[4:5]
	s_mul_i32 s5, s15, s30
	s_mov_b32 s4, 0
	v_cmp_eq_u32_e32 vcc, 0, v0
	s_mul_i32 s10, s5, s9
	s_waitcnt lgkmcnt(0)
	s_barrier
	s_and_saveexec_b64 s[12:13], vcc
	s_cbranch_execz .LBB69_47
; %bb.46:
	s_ashr_i32 s11, s10, 31
	s_lshl_b64 s[40:41], s[10:11], 2
	s_add_u32 s5, s26, s40
	s_mul_i32 s6, s15, s6
	s_addc_u32 s9, s27, s41
	s_ashr_i32 s7, s6, 31
	s_lshl_b64 s[6:7], s[6:7], 2
	s_add_u32 s5, s5, s6
	s_addc_u32 s11, s9, s7
	s_ashr_i32 s9, s8, 31
	s_lshl_b64 s[26:27], s[8:9], 2
	s_add_u32 s42, s5, s26
	s_addc_u32 s43, s11, s27
	s_add_u32 s5, s24, s40
	s_addc_u32 s9, s25, s41
	;; [unrolled: 2-line block ×3, first 2 shown]
	s_add_u32 s6, s5, s26
	v_mov_b32_e32 v2, 0
	s_addc_u32 s7, s7, s27
	global_store_dword v2, v5, s[42:43]
	global_store_dword v2, v8, s[6:7]
.LBB69_47:
	s_or_b64 exec, exec, s[12:13]
	s_mov_b32 s5, s4
	v_pk_mov_b32 v[8:9], s[4:5], s[4:5] op_sel:[0,1]
	s_and_saveexec_b64 s[6:7], s[2:3]
	s_cbranch_execz .LBB69_59
; %bb.48:
	s_ashr_i32 s19, s18, 31
	s_sub_i32 s9, s50, s21
	s_lshl_b64 s[2:3], s[18:19], 1
	s_add_u32 s21, s38, s2
	s_addc_u32 s24, s39, s3
	s_abs_i32 s22, s22
	v_cvt_f32_u32_e32 v5, s22
	v_or_b32_e32 v3, 64, v13
	s_movk_i32 s2, 0x60
	v_cmp_gt_u32_e32 vcc, s2, v3
	v_lshlrev_b32_e32 v16, 3, v3
	v_rcp_iflag_f32_e32 v3, v5
	s_sub_i32 s2, 0, s22
	s_add_i32 s25, s16, -1
	v_lshlrev_b64 v[8:9], 2, v[6:7]
	v_mul_f32_e32 v3, 0x4f7ffffe, v3
	v_cvt_u32_f32_e32 v3, v3
	v_lshlrev_b32_e32 v2, 3, v13
	s_mov_b32 s5, s4
	s_mov_b32 s11, s17
	v_mul_lo_u32 v5, s2, v3
	s_lshl_b64 s[2:3], s[36:37], 2
	s_add_u32 s2, s34, s2
	v_mul_hi_u32 v5, v3, v5
	s_addc_u32 s3, s35, s3
	v_add_u32_e32 v14, v3, v5
	v_mov_b32_e32 v3, s3
	v_add_co_u32_e64 v10, s[2:3], s2, v8
	v_addc_co_u32_e64 v11, s[2:3], v3, v9, s[2:3]
	v_mov_b32_e32 v3, 0xd0
	s_mov_b32 s26, s31
	s_mov_b32 s27, s31
	;; [unrolled: 1-line block ×7, first 2 shown]
	v_lshl_add_u32 v7, v4, 5, v3
	s_mov_b64 s[12:13], 0
	v_pk_mov_b32 v[8:9], s[4:5], s[4:5] op_sel:[0,1]
	v_lshlrev_b32_e32 v15, 1, v2
	s_mov_b32 s34, 0x5040100
	v_lshlrev_b32_e32 v16, 1, v16
	s_branch .LBB69_52
.LBB69_49:                              ;   in Loop: Header=BB69_52 Depth=1
	s_or_b64 exec, exec, s[4:5]
	s_waitcnt vmcnt(0)
	;;#ASMSTART
	v_pk_mul_f16 v2, v22, v2;

	;;#ASMEND
	;;#ASMSTART
	v_pk_mul_f16 v3, v21, v3;

	;;#ASMEND
	;; [unrolled: 4-line block ×4, first 2 shown]
	;;#ASMSTART
	v_pk_add_f16 v2, v2, v3;

	;;#ASMEND
	;;#ASMSTART
	v_pk_add_f16 v2, v2, v4;

	;;#ASMEND
	;; [unrolled: 4-line block ×3, first 2 shown]
	v_lshrrev_b32_e32 v3, 16, v2
	v_and_b32_e32 v2, 0xffff, v2
	;;#ASMSTART
	v_cvt_f32_f16 v2, v2;
	;;#ASMEND
	;;#ASMSTART
	v_cvt_f32_f16 v3, v3;
	;;#ASMEND
	v_add_f32_e32 v2, v2, v3
	v_add_f32_e32 v9, v9, v2
.LBB69_50:                              ;   in Loop: Header=BB69_52 Depth=1
	s_or_b64 exec, exec, s[18:19]
.LBB69_51:                              ;   in Loop: Header=BB69_52 Depth=1
	s_or_b64 exec, exec, s[16:17]
	v_add_co_u32_e64 v10, s[2:3], 8, v10
	v_add_u32_e32 v6, 2, v6
	v_addc_co_u32_e64 v11, s[2:3], 0, v11, s[2:3]
	v_cmp_le_i32_e64 s[2:3], s20, v6
	v_add_u32_e32 v12, 16, v12
	s_or_b64 s[12:13], s[2:3], s[12:13]
	v_add_u32_e32 v7, 64, v7
	s_andn2_b64 exec, exec, s[12:13]
	s_cbranch_execz .LBB69_58
.LBB69_52:                              ; =>This Inner Loop Header: Depth=1
	v_sub_u32_e32 v3, 0, v12
	v_max_i32_e32 v3, v12, v3
	v_mul_hi_u32 v4, v3, s48
	v_mul_lo_u32 v5, v4, s33
	v_sub_u32_e32 v3, v3, v5
	v_add_u32_e32 v5, 1, v4
	v_cmp_le_u32_e64 s[2:3], s33, v3
	v_cndmask_b32_e64 v4, v4, v5, s[2:3]
	v_subrev_u32_e32 v5, s33, v3
	v_cndmask_b32_e64 v3, v3, v5, s[2:3]
	v_ashrrev_i32_e32 v2, 31, v12
	v_add_u32_e32 v5, 1, v4
	v_cmp_le_u32_e64 s[2:3], s33, v3
	v_xor_b32_e32 v2, s23, v2
	v_cndmask_b32_e64 v3, v4, v5, s[2:3]
	v_xor_b32_e32 v3, v3, v2
	v_sub_u32_e32 v2, v3, v2
	v_add_u32_e32 v3, s49, v2
	v_sub_u32_e32 v5, 0, v3
	v_ashrrev_i32_e32 v4, 31, v3
	v_max_i32_e32 v3, v3, v5
	v_mul_hi_u32 v5, v3, v14
	v_mul_lo_u32 v5, v5, s22
	v_sub_u32_e32 v3, v3, v5
	v_subrev_u32_e32 v5, s22, v3
	v_cmp_le_u32_e64 s[2:3], s22, v3
	v_cndmask_b32_e64 v3, v3, v5, s[2:3]
	v_subrev_u32_e32 v5, s22, v3
	v_cmp_le_u32_e64 s[2:3], s22, v3
	v_cndmask_b32_e64 v3, v3, v5, s[2:3]
	v_xor_b32_e32 v3, v3, v4
	v_sub_u32_e32 v3, v3, v4
	v_cmp_eq_u32_e64 s[2:3], 0, v3
	v_cmp_lt_i32_e64 s[4:5], s9, v2
	s_or_b64 s[2:3], s[2:3], s[4:5]
	s_and_saveexec_b64 s[16:17], s[2:3]
	s_cbranch_execz .LBB69_51
; %bb.53:                               ;   in Loop: Header=BB69_52 Depth=1
	global_load_dword v18, v[10:11], off
	ds_read2_b64 v[2:5], v7 offset1:1
	ds_read2_b64 v[24:27], v7 offset0:2 offset1:3
	v_mov_b32_e32 v19, s24
	s_waitcnt lgkmcnt(1)
	;;#ASMSTART
	v_cvt_f16_f32 v17, v2;

	;;#ASMEND
	;;#ASMSTART
	v_cvt_f16_f32 v20, v3;

	;;#ASMEND
	;; [unrolled: 4-line block ×4, first 2 shown]
	s_waitcnt lgkmcnt(0)
	;;#ASMSTART
	v_cvt_f16_f32 v24, v24;

	;;#ASMEND
	;;#ASMSTART
	v_cvt_f16_f32 v25, v25;

	;;#ASMEND
	;; [unrolled: 4-line block ×4, first 2 shown]
	s_waitcnt vmcnt(0)
	v_mad_i64_i32 v[2:3], s[2:3], v18, s11, 0
	v_lshlrev_b64 v[2:3], 1, v[2:3]
	v_add_co_u32_e64 v18, s[2:3], s21, v2
	v_addc_co_u32_e64 v19, s[2:3], v19, v3, s[2:3]
	v_add_co_u32_e64 v2, s[2:3], v18, v15
	v_addc_co_u32_e64 v3, s[2:3], 0, v19, s[2:3]
	global_load_dwordx4 v[2:5], v[2:3], off
	v_cmp_eq_u32_e64 s[2:3], s25, v6
	s_and_saveexec_b64 s[18:19], s[2:3]
	s_cbranch_execz .LBB69_55
; %bb.54:                               ;   in Loop: Header=BB69_52 Depth=1
	v_or_b32_e32 v32, 7, v12
	v_or_b32_e32 v33, 6, v12
	s_waitcnt vmcnt(0)
	v_lshrrev_b32_e32 v34, 16, v5
	v_cmp_gt_i32_e64 s[4:5], s41, v32
	v_cndmask_b32_e64 v32, 0, v34, s[4:5]
	v_cmp_gt_i32_e64 s[4:5], s40, v33
	v_or_b32_e32 v30, 5, v12
	v_cndmask_b32_e64 v5, 0, v5, s[4:5]
	v_or_b32_e32 v31, 4, v12
	v_perm_b32 v5, v32, v5, s34
	v_lshrrev_b32_e32 v32, 16, v4
	v_cmp_gt_i32_e64 s[4:5], s39, v30
	v_cndmask_b32_e64 v30, 0, v32, s[4:5]
	v_cmp_gt_i32_e64 s[4:5], s38, v31
	v_or_b32_e32 v28, 3, v12
	v_cndmask_b32_e64 v4, 0, v4, s[4:5]
	v_or_b32_e32 v29, 2, v12
	v_perm_b32 v4, v30, v4, s34
	v_lshrrev_b32_e32 v30, 16, v3
	v_cmp_gt_i32_e64 s[4:5], s30, v28
	v_cndmask_b32_e64 v28, 0, v30, s[4:5]
	v_cmp_gt_i32_e64 s[4:5], s27, v29
	v_add_u32_e32 v22, 1, v12
	v_cndmask_b32_e64 v3, 0, v3, s[4:5]
	v_perm_b32 v3, v28, v3, s34
	v_lshrrev_b32_e32 v28, 16, v2
	v_cmp_gt_i32_e64 s[4:5], s26, v22
	v_cndmask_b32_e64 v22, 0, v28, s[4:5]
	v_cmp_gt_i32_e64 s[4:5], s31, v12
	v_cndmask_b32_e64 v2, 0, v2, s[4:5]
	v_perm_b32 v2, v22, v2, s34
.LBB69_55:                              ;   in Loop: Header=BB69_52 Depth=1
	s_or_b64 exec, exec, s[18:19]
	v_and_b32_e32 v17, 0xffff, v17
	v_lshl_or_b32 v22, v20, 16, v17
	v_and_b32_e32 v17, 0xffff, v21
	v_lshl_or_b32 v21, v23, 16, v17
	;; [unrolled: 2-line block ×3, first 2 shown]
	v_and_b32_e32 v17, 0xffff, v26
	s_waitcnt vmcnt(0)
	;;#ASMSTART
	v_pk_mul_f16 v2, v22, v2;

	;;#ASMEND
	v_lshl_or_b32 v17, v27, 16, v17
	;;#ASMSTART
	v_pk_mul_f16 v3, v21, v3;

	;;#ASMEND
	;;#ASMSTART
	v_pk_mul_f16 v4, v20, v4;

	;;#ASMEND
	;;#ASMSTART
	v_pk_mul_f16 v5, v17, v5;

	;;#ASMEND
	;;#ASMSTART
	v_pk_add_f16 v2, v2, v3;

	;;#ASMEND
	;;#ASMSTART
	v_pk_add_f16 v2, v2, v4;

	;;#ASMEND
	;; [unrolled: 4-line block ×3, first 2 shown]
	v_lshrrev_b32_e32 v3, 16, v2
	v_and_b32_e32 v2, 0xffff, v2
	;;#ASMSTART
	v_cvt_f32_f16 v2, v2;
	;;#ASMEND
	;;#ASMSTART
	v_cvt_f32_f16 v3, v3;
	;;#ASMEND
	v_add_f32_e32 v2, v2, v3
	v_add_f32_e32 v8, v8, v2
	s_and_saveexec_b64 s[18:19], vcc
	s_cbranch_execz .LBB69_50
; %bb.56:                               ;   in Loop: Header=BB69_52 Depth=1
	v_add_co_u32_e64 v2, s[4:5], v18, v16
	v_addc_co_u32_e64 v3, s[4:5], 0, v19, s[4:5]
	global_load_dwordx4 v[2:5], v[2:3], off
	s_and_saveexec_b64 s[4:5], s[2:3]
	s_cbranch_execz .LBB69_49
; %bb.57:                               ;   in Loop: Header=BB69_52 Depth=1
	v_or_b32_e32 v26, 7, v12
	v_or_b32_e32 v27, 6, v12
	s_waitcnt vmcnt(0)
	v_lshrrev_b32_e32 v28, 16, v5
	v_cmp_gt_i32_e64 s[2:3], s41, v26
	v_cndmask_b32_e64 v26, 0, v28, s[2:3]
	v_cmp_gt_i32_e64 s[2:3], s40, v27
	v_or_b32_e32 v24, 5, v12
	v_cndmask_b32_e64 v5, 0, v5, s[2:3]
	v_or_b32_e32 v25, 4, v12
	v_perm_b32 v5, v26, v5, s34
	v_lshrrev_b32_e32 v26, 16, v4
	v_cmp_gt_i32_e64 s[2:3], s39, v24
	v_cndmask_b32_e64 v24, 0, v26, s[2:3]
	v_cmp_gt_i32_e64 s[2:3], s38, v25
	v_or_b32_e32 v19, 3, v12
	v_cndmask_b32_e64 v4, 0, v4, s[2:3]
	v_or_b32_e32 v23, 2, v12
	v_perm_b32 v4, v24, v4, s34
	v_lshrrev_b32_e32 v24, 16, v3
	v_cmp_gt_i32_e64 s[2:3], s30, v19
	v_cndmask_b32_e64 v19, 0, v24, s[2:3]
	v_cmp_gt_i32_e64 s[2:3], s27, v23
	v_add_u32_e32 v18, 1, v12
	v_cndmask_b32_e64 v3, 0, v3, s[2:3]
	v_perm_b32 v3, v19, v3, s34
	v_lshrrev_b32_e32 v19, 16, v2
	v_cmp_gt_i32_e64 s[2:3], s26, v18
	v_cndmask_b32_e64 v18, 0, v19, s[2:3]
	v_cmp_gt_i32_e64 s[2:3], s31, v12
	v_cndmask_b32_e64 v2, 0, v2, s[2:3]
	v_perm_b32 v2, v18, v2, s34
	s_branch .LBB69_49
.LBB69_58:
	s_or_b64 exec, exec, s[12:13]
.LBB69_59:
	s_or_b64 exec, exec, s[6:7]
	v_and_b32_e32 v2, 0x3c0, v0
	v_cmp_eq_u32_e32 vcc, 64, v2
	s_barrier
	s_and_saveexec_b64 s[2:3], vcc
	s_cbranch_execz .LBB69_62
; %bb.60:
	v_mov_b32_e32 v2, 0xd0
	v_lshl_add_u32 v3, v13, 2, v2
	ds_write_b32 v3, v8
	s_and_b64 exec, exec, s[0:1]
	s_cbranch_execz .LBB69_62
; %bb.61:
	v_lshl_add_u32 v2, v0, 2, v2
	ds_write_b32 v2, v9
.LBB69_62:
	s_or_b64 exec, exec, s[2:3]
	v_cmp_gt_u32_e32 vcc, 64, v0
	v_or_b32_e32 v2, 64, v0
	s_waitcnt lgkmcnt(0)
	s_barrier
	s_and_saveexec_b64 s[2:3], vcc
	s_cbranch_execz .LBB69_66
; %bb.63:
	v_mov_b32_e32 v3, 0xd0
	v_lshl_add_u32 v0, v0, 2, v3
	ds_read_b32 v3, v0
	s_movk_i32 s0, 0x60
	v_cmp_gt_u32_e64 s[0:1], s0, v2
	s_waitcnt lgkmcnt(0)
	v_add_f32_e32 v8, v8, v3
	s_and_saveexec_b64 s[4:5], s[0:1]
	s_cbranch_execz .LBB69_65
; %bb.64:
	ds_read_b32 v0, v0 offset:256
	s_waitcnt lgkmcnt(0)
	v_add_f32_e32 v9, v9, v0
.LBB69_65:
	s_or_b64 exec, exec, s[4:5]
.LBB69_66:
	s_or_b64 exec, exec, s[2:3]
	s_barrier
	s_and_saveexec_b64 s[0:1], vcc
	s_cbranch_execz .LBB69_69
; %bb.67:
	s_mul_i32 s0, s10, 0x60
	s_ashr_i32 s1, s0, 31
	s_lshl_b64 s[0:1], s[0:1], 1
	s_add_u32 s3, s28, s0
	s_mul_i32 s0, s15, s14
	s_addc_u32 s4, s29, s1
	s_ashr_i32 s1, s0, 31
	s_lshl_b64 s[0:1], s[0:1], 1
	s_add_u32 s3, s3, s0
	s_mul_i32 s0, s8, 0x60
	s_addc_u32 s4, s4, s1
	s_ashr_i32 s1, s0, 31
	s_lshl_b64 s[0:1], s[0:1], 1
	s_movk_i32 s2, 0x60
	s_add_u32 s0, s3, s0
	s_addc_u32 s1, s4, s1
	v_cmp_gt_u32_e32 vcc, s2, v2
	;;#ASMSTART
	v_cvt_f16_f32 v0, v8;

	;;#ASMEND
	global_store_short v1, v0, s[0:1]
	s_and_b64 exec, exec, vcc
	s_cbranch_execz .LBB69_69
; %bb.68:
	v_mov_b32_e32 v2, s1
	v_add_co_u32_e32 v0, vcc, s0, v1
	v_addc_co_u32_e32 v1, vcc, 0, v2, vcc
	;;#ASMSTART
	v_cvt_f16_f32 v2, v9;

	;;#ASMEND
	global_store_short v[0:1], v2, off offset:128
.LBB69_69:
	s_endpgm
	.section	.rodata,"a",@progbits
	.p2align	6, 0x0
	.amdhsa_kernel _ZN4vllm25paged_attention_v2_kernelIttLi96ELi8ELi128ELNS_18Fp8KVCacheDataTypeE0ELb1ELi512EEEvPfS2_PT_PKS3_PKT0_S9_ifPKiSB_iPKfiiiSD_SD_iiiii
		.amdhsa_group_segment_fixed_size 208
		.amdhsa_private_segment_fixed_size 0
		.amdhsa_kernarg_size 400
		.amdhsa_user_sgpr_count 6
		.amdhsa_user_sgpr_private_segment_buffer 1
		.amdhsa_user_sgpr_dispatch_ptr 0
		.amdhsa_user_sgpr_queue_ptr 0
		.amdhsa_user_sgpr_kernarg_segment_ptr 1
		.amdhsa_user_sgpr_dispatch_id 0
		.amdhsa_user_sgpr_flat_scratch_init 0
		.amdhsa_user_sgpr_kernarg_preload_length 0
		.amdhsa_user_sgpr_kernarg_preload_offset 0
		.amdhsa_user_sgpr_private_segment_size 0
		.amdhsa_uses_dynamic_stack 0
		.amdhsa_system_sgpr_private_segment_wavefront_offset 0
		.amdhsa_system_sgpr_workgroup_id_x 1
		.amdhsa_system_sgpr_workgroup_id_y 1
		.amdhsa_system_sgpr_workgroup_id_z 1
		.amdhsa_system_sgpr_workgroup_info 0
		.amdhsa_system_vgpr_workitem_id 0
		.amdhsa_next_free_vgpr 48
		.amdhsa_next_free_sgpr 54
		.amdhsa_accum_offset 48
		.amdhsa_reserve_vcc 1
		.amdhsa_reserve_flat_scratch 0
		.amdhsa_float_round_mode_32 0
		.amdhsa_float_round_mode_16_64 0
		.amdhsa_float_denorm_mode_32 3
		.amdhsa_float_denorm_mode_16_64 3
		.amdhsa_dx10_clamp 1
		.amdhsa_ieee_mode 1
		.amdhsa_fp16_overflow 0
		.amdhsa_tg_split 0
		.amdhsa_exception_fp_ieee_invalid_op 0
		.amdhsa_exception_fp_denorm_src 0
		.amdhsa_exception_fp_ieee_div_zero 0
		.amdhsa_exception_fp_ieee_overflow 0
		.amdhsa_exception_fp_ieee_underflow 0
		.amdhsa_exception_fp_ieee_inexact 0
		.amdhsa_exception_int_div_zero 0
	.end_amdhsa_kernel
	.section	.text._ZN4vllm25paged_attention_v2_kernelIttLi96ELi8ELi128ELNS_18Fp8KVCacheDataTypeE0ELb1ELi512EEEvPfS2_PT_PKS3_PKT0_S9_ifPKiSB_iPKfiiiSD_SD_iiiii,"axG",@progbits,_ZN4vllm25paged_attention_v2_kernelIttLi96ELi8ELi128ELNS_18Fp8KVCacheDataTypeE0ELb1ELi512EEEvPfS2_PT_PKS3_PKT0_S9_ifPKiSB_iPKfiiiSD_SD_iiiii,comdat
.Lfunc_end69:
	.size	_ZN4vllm25paged_attention_v2_kernelIttLi96ELi8ELi128ELNS_18Fp8KVCacheDataTypeE0ELb1ELi512EEEvPfS2_PT_PKS3_PKT0_S9_ifPKiSB_iPKfiiiSD_SD_iiiii, .Lfunc_end69-_ZN4vllm25paged_attention_v2_kernelIttLi96ELi8ELi128ELNS_18Fp8KVCacheDataTypeE0ELb1ELi512EEEvPfS2_PT_PKS3_PKT0_S9_ifPKiSB_iPKfiiiSD_SD_iiiii
                                        ; -- End function
	.section	.AMDGPU.csdata,"",@progbits
; Kernel info:
; codeLenInByte = 5372
; NumSgprs: 58
; NumVgprs: 48
; NumAgprs: 0
; TotalNumVgprs: 48
; ScratchSize: 0
; MemoryBound: 0
; FloatMode: 240
; IeeeMode: 1
; LDSByteSize: 208 bytes/workgroup (compile time only)
; SGPRBlocks: 7
; VGPRBlocks: 5
; NumSGPRsForWavesPerEU: 58
; NumVGPRsForWavesPerEU: 48
; AccumOffset: 48
; Occupancy: 8
; WaveLimiterHint : 1
; COMPUTE_PGM_RSRC2:SCRATCH_EN: 0
; COMPUTE_PGM_RSRC2:USER_SGPR: 6
; COMPUTE_PGM_RSRC2:TRAP_HANDLER: 0
; COMPUTE_PGM_RSRC2:TGID_X_EN: 1
; COMPUTE_PGM_RSRC2:TGID_Y_EN: 1
; COMPUTE_PGM_RSRC2:TGID_Z_EN: 1
; COMPUTE_PGM_RSRC2:TIDIG_COMP_CNT: 0
; COMPUTE_PGM_RSRC3_GFX90A:ACCUM_OFFSET: 11
; COMPUTE_PGM_RSRC3_GFX90A:TG_SPLIT: 0
	.section	.text._ZN4vllm32paged_attention_v2_reduce_kernelItLi96ELi128ELi512EEEvPT_PKfS4_PKS1_PKii,"axG",@progbits,_ZN4vllm32paged_attention_v2_reduce_kernelItLi96ELi128ELi512EEEvPT_PKfS4_PKS1_PKii,comdat
	.protected	_ZN4vllm32paged_attention_v2_reduce_kernelItLi96ELi128ELi512EEEvPT_PKfS4_PKS1_PKii ; -- Begin function _ZN4vllm32paged_attention_v2_reduce_kernelItLi96ELi128ELi512EEEvPT_PKfS4_PKS1_PKii
	.globl	_ZN4vllm32paged_attention_v2_reduce_kernelItLi96ELi128ELi512EEEvPT_PKfS4_PKS1_PKii
	.p2align	8
	.type	_ZN4vllm32paged_attention_v2_reduce_kernelItLi96ELi128ELi512EEEvPT_PKfS4_PKS1_PKii,@function
_ZN4vllm32paged_attention_v2_reduce_kernelItLi96ELi128ELi512EEEvPT_PKfS4_PKS1_PKii: ; @_ZN4vllm32paged_attention_v2_reduce_kernelItLi96ELi128ELi512EEEvPT_PKfS4_PKS1_PKii
; %bb.0:
	s_load_dwordx4 s[8:11], s[4:5], 0x18
	s_add_u32 s12, s4, 48
	s_mov_b32 s14, s7
	s_addc_u32 s13, s5, 0
	s_ashr_i32 s15, s7, 31
	s_lshl_b64 s[0:1], s[14:15], 2
	s_waitcnt lgkmcnt(0)
	s_add_u32 s0, s10, s0
	s_addc_u32 s1, s11, s1
	s_load_dword s24, s[0:1], 0x0
	s_load_dwordx2 s[10:11], s[4:5], 0x0
	s_load_dword s7, s[4:5], 0x28
	s_load_dword s15, s[4:5], 0x30
	s_waitcnt lgkmcnt(0)
	s_add_i32 s0, s24, -1
	s_cmpk_gt_u32 s0, 0x1ff
	s_mov_b64 s[0:1], -1
	s_cbranch_scc0 .LBB70_25
; %bb.1:
	s_add_i32 s0, s24, 0x1ff
	s_load_dwordx2 s[20:21], s[4:5], 0x8
	s_ashr_i32 s1, s0, 31
	s_lshr_b32 s1, s1, 23
	s_add_i32 s0, s0, s1
	s_mul_i32 s22, s15, s14
	s_ashr_i32 s23, s0, 9
	s_mul_i32 s16, s22, s7
	s_mul_i32 s18, s6, s7
	s_ashr_i32 s17, s16, 31
	s_ashr_i32 s19, s18, 31
	v_cmp_gt_i32_e32 vcc, s23, v0
	v_mov_b32_e32 v5, 0xff7fffff
	v_lshlrev_b32_e32 v1, 2, v0
	s_and_saveexec_b64 s[2:3], vcc
	s_cbranch_execz .LBB70_5
; %bb.2:
	s_load_dword s25, s[12:13], 0xc
	s_load_dwordx2 s[0:1], s[4:5], 0x10
	s_lshl_b64 s[4:5], s[16:17], 2
	s_lshl_b64 s[26:27], s[18:19], 2
	s_mov_b32 s28, 0
	s_waitcnt lgkmcnt(0)
	s_and_b32 s25, s25, 0xffff
	s_add_u32 s4, s4, s26
	s_addc_u32 s5, s5, s27
	s_add_u32 s0, s0, s4
	s_addc_u32 s1, s1, s5
	v_mov_b32_e32 v3, s1
	v_add_co_u32_e64 v2, s[0:1], s0, v1
	v_addc_co_u32_e64 v3, s[0:1], 0, v3, s[0:1]
	s_lshl_b32 s26, s25, 2
	v_add_u32_e32 v4, 16, v1
	s_mov_b64 s[4:5], 0
	v_mov_b32_e32 v5, 0xff7fffff
	v_mov_b32_e32 v6, s28
	v_mov_b32_e32 v7, v0
.LBB70_3:                               ; =>This Inner Loop Header: Depth=1
	global_load_dword v8, v[2:3], off
	v_add_co_u32_e64 v2, s[0:1], s26, v2
	v_add_u32_e32 v7, s25, v7
	v_addc_co_u32_e64 v3, s[0:1], v3, v6, s[0:1]
	v_max_f32_e32 v5, v5, v5
	v_cmp_le_i32_e64 s[0:1], s23, v7
	s_or_b64 s[4:5], s[0:1], s[4:5]
	s_waitcnt vmcnt(0)
	ds_write_b32 v4, v8
	v_max_f32_e32 v8, v8, v8
	v_add_u32_e32 v4, s26, v4
	v_max_f32_e32 v5, v5, v8
	s_andn2_b64 exec, exec, s[4:5]
	s_cbranch_execnz .LBB70_3
; %bb.4:
	s_or_b64 exec, exec, s[4:5]
.LBB70_5:
	s_or_b64 exec, exec, s[2:3]
	v_mbcnt_lo_u32_b32 v2, -1, 0
	v_mbcnt_hi_u32_b32 v2, -1, v2
	v_and_b32_e32 v3, 64, v2
	v_add_u32_e32 v6, 64, v3
	v_xor_b32_e32 v3, 32, v2
	v_cmp_lt_i32_e64 s[0:1], v3, v6
	v_cndmask_b32_e64 v3, v2, v3, s[0:1]
	v_lshlrev_b32_e32 v4, 2, v3
	ds_bpermute_b32 v3, v4, v5
	v_xor_b32_e32 v7, 16, v2
	v_max_f32_e32 v5, v5, v5
	v_cmp_lt_i32_e64 s[0:1], v7, v6
	v_xor_b32_e32 v8, 8, v2
	s_waitcnt lgkmcnt(0)
	v_max_f32_e32 v3, v3, v3
	v_max_f32_e32 v3, v5, v3
	v_cndmask_b32_e64 v5, v2, v7, s[0:1]
	v_lshlrev_b32_e32 v5, 2, v5
	ds_bpermute_b32 v7, v5, v3
	v_cmp_lt_i32_e64 s[0:1], v8, v6
	v_xor_b32_e32 v9, 4, v2
	v_xor_b32_e32 v10, 2, v2
	v_lshrrev_b32_e32 v13, 6, v0
	s_waitcnt lgkmcnt(0)
	v_max_f32_e32 v7, v7, v7
	v_max_f32_e32 v3, v3, v7
	v_cndmask_b32_e64 v7, v2, v8, s[0:1]
	v_lshlrev_b32_e32 v7, 2, v7
	ds_bpermute_b32 v8, v7, v3
	v_cmp_lt_i32_e64 s[0:1], v9, v6
	s_waitcnt lgkmcnt(0)
	s_barrier
	v_max_f32_e32 v8, v8, v8
	v_max_f32_e32 v3, v3, v8
	v_cndmask_b32_e64 v8, v2, v9, s[0:1]
	v_lshlrev_b32_e32 v8, 2, v8
	ds_bpermute_b32 v9, v8, v3
	v_cmp_lt_i32_e64 s[0:1], v10, v6
	s_waitcnt lgkmcnt(0)
	v_max_f32_e32 v9, v9, v9
	v_max_f32_e32 v11, v3, v9
	v_cndmask_b32_e64 v3, v2, v10, s[0:1]
	v_lshlrev_b32_e32 v9, 2, v3
	ds_bpermute_b32 v10, v9, v11
	v_and_b32_e32 v3, 63, v0
	s_waitcnt lgkmcnt(0)
	v_max_f32_e32 v10, v10, v10
	v_max_f32_e32 v11, v11, v10
	v_xor_b32_e32 v10, 1, v2
	v_cmp_lt_i32_e64 s[0:1], v10, v6
	v_cndmask_b32_e64 v6, v2, v10, s[0:1]
	v_lshlrev_b32_e32 v6, 2, v6
	ds_bpermute_b32 v12, v6, v11
	v_cmp_eq_u32_e64 s[0:1], 0, v3
	v_lshlrev_b32_e32 v10, 2, v13
	s_and_saveexec_b64 s[2:3], s[0:1]
	s_cbranch_execz .LBB70_7
; %bb.6:
	s_waitcnt lgkmcnt(0)
	v_max_f32_e32 v12, v12, v12
	v_max_f32_e32 v11, v11, v11
	v_max_f32_e32 v11, v11, v12
	ds_write_b32 v10, v11
.LBB70_7:
	s_or_b64 exec, exec, s[2:3]
	v_cmp_gt_u32_e64 s[2:3], 2, v3
	s_waitcnt lgkmcnt(0)
	v_mov_b32_e32 v12, 0xff7fffff
	v_lshlrev_b32_e32 v11, 2, v3
	s_barrier
	s_and_saveexec_b64 s[4:5], s[2:3]
	s_cbranch_execz .LBB70_9
; %bb.8:
	ds_read_b32 v12, v11
.LBB70_9:
	s_or_b64 exec, exec, s[4:5]
	s_waitcnt lgkmcnt(0)
	ds_bpermute_b32 v3, v6, v12
	v_max_f32_e32 v12, v12, v12
	v_lshlrev_b32_e32 v2, 2, v2
	s_lshl_b32 s25, s23, 2
	v_mov_b32_e32 v14, 0
	s_waitcnt lgkmcnt(0)
	v_max_f32_e32 v3, v3, v3
	v_max_f32_e32 v3, v12, v3
	v_and_b32_e32 v12, 0x100, v2
	ds_bpermute_b32 v13, v12, v3
	s_and_saveexec_b64 s[4:5], vcc
	s_cbranch_execz .LBB70_13
; %bb.10:
	s_load_dword s30, s[12:13], 0xc
	s_lshl_b64 s[26:27], s[16:17], 2
	s_lshl_b64 s[28:29], s[18:19], 2
	s_mov_b32 s31, 0
	v_mov_b32_e32 v14, 0
	s_waitcnt lgkmcnt(0)
	s_and_b32 s17, s30, 0xffff
	s_add_u32 s19, s26, s28
	s_addc_u32 s26, s27, s29
	s_add_u32 s19, s20, s19
	s_addc_u32 s20, s21, s26
	v_mov_b32_e32 v3, s20
	v_add_co_u32_e32 v2, vcc, s19, v1
	v_addc_co_u32_e32 v3, vcc, 0, v3, vcc
	s_lshl_b32 s19, s17, 2
	v_add_u32_e32 v1, 16, v1
	s_mov_b64 s[20:21], 0
	s_mov_b32 s26, 0x3fb8aa3b
	s_mov_b32 s27, 0xc2ce8ed0
	;; [unrolled: 1-line block ×3, first 2 shown]
	v_mov_b32_e32 v15, 0x7f800000
	v_mov_b32_e32 v16, s31
	;; [unrolled: 1-line block ×3, first 2 shown]
.LBB70_11:                              ; =>This Inner Loop Header: Depth=1
	global_load_dword v18, v[2:3], off
	ds_read_b32 v19, v1
	v_add_co_u32_e32 v2, vcc, s19, v2
	v_add_u32_e32 v17, s17, v17
	v_addc_co_u32_e32 v3, vcc, v3, v16, vcc
	s_waitcnt lgkmcnt(0)
	v_sub_f32_e32 v19, v19, v13
	v_mul_f32_e32 v21, 0x3fb8aa3b, v19
	v_fma_f32 v22, v19, s26, -v21
	v_rndne_f32_e32 v23, v21
	v_fmac_f32_e32 v22, 0x32a5705f, v19
	v_sub_f32_e32 v21, v21, v23
	v_add_f32_e32 v21, v21, v22
	v_cvt_i32_f32_e32 v23, v23
	v_exp_f32_e32 v21, v21
	v_cmp_le_i32_e32 vcc, s23, v17
	s_or_b64 s[20:21], vcc, s[20:21]
	v_cmp_ngt_f32_e32 vcc, s27, v19
	v_ldexp_f32 v21, v21, v23
	v_cndmask_b32_e32 v21, 0, v21, vcc
	v_cmp_nlt_f32_e32 vcc, s28, v19
	v_cndmask_b32_e32 v19, v15, v21, vcc
	v_add_u32_e32 v20, s25, v1
	v_add_u32_e32 v1, s19, v1
	s_waitcnt vmcnt(0)
	v_mul_f32_e32 v21, v18, v19
	v_fmac_f32_e32 v14, v18, v19
	ds_write_b32 v20, v21
	s_andn2_b64 exec, exec, s[20:21]
	s_cbranch_execnz .LBB70_11
; %bb.12:
	s_or_b64 exec, exec, s[20:21]
.LBB70_13:
	s_or_b64 exec, exec, s[4:5]
	ds_bpermute_b32 v1, v4, v14
	s_waitcnt lgkmcnt(0)
	s_barrier
	v_add_f32_e32 v1, v14, v1
	ds_bpermute_b32 v2, v5, v1
	s_waitcnt lgkmcnt(0)
	v_add_f32_e32 v1, v1, v2
	ds_bpermute_b32 v2, v7, v1
	s_waitcnt lgkmcnt(0)
	;; [unrolled: 3-line block ×5, first 2 shown]
	v_add_f32_e32 v1, v1, v2
	s_and_saveexec_b64 s[4:5], s[0:1]
	s_cbranch_execz .LBB70_15
; %bb.14:
	ds_write_b32 v10, v1 offset:8
.LBB70_15:
	s_or_b64 exec, exec, s[4:5]
	s_waitcnt lgkmcnt(0)
	s_barrier
	s_and_saveexec_b64 s[0:1], s[2:3]
	s_cbranch_execz .LBB70_17
; %bb.16:
	ds_read_b32 v1, v11 offset:8
.LBB70_17:
	s_or_b64 exec, exec, s[0:1]
	s_waitcnt lgkmcnt(0)
	ds_bpermute_b32 v2, v6, v1
	s_movk_i32 s0, 0x60
	v_cmp_gt_u32_e32 vcc, s0, v0
	s_waitcnt lgkmcnt(0)
	v_add_f32_e32 v1, v1, v2
	ds_bpermute_b32 v2, v12, v1
	s_and_saveexec_b64 s[0:1], vcc
	s_cbranch_execz .LBB70_24
; %bb.18:
	s_cmp_gt_i32 s24, 0
	s_mov_b32 s4, 0
	s_cbranch_scc1 .LBB70_20
; %bb.19:
	v_mov_b32_e32 v1, 0
	v_mov_b32_e32 v4, s4
	s_cbranch_execz .LBB70_21
	s_branch .LBB70_23
.LBB70_20:
                                        ; implicit-def: $sgpr4
	v_mov_b32_e32 v4, s4
.LBB70_21:
	s_waitcnt lgkmcnt(0)
	v_add_f32_e32 v1, 0x358637bd, v2
	v_div_scale_f32 v2, s[2:3], v1, v1, 1.0
	v_rcp_f32_e32 v3, v2
	s_mul_i32 s4, s16, 0x60
	s_mul_i32 s16, s18, 0x60
	s_ashr_i32 s5, s4, 31
	v_fma_f32 v4, -v2, v3, 1.0
	v_fmac_f32_e32 v3, v4, v3
	v_div_scale_f32 v4, vcc, 1.0, v1, 1.0
	v_mul_f32_e32 v5, v4, v3
	s_ashr_i32 s17, s16, 31
	s_max_i32 s2, s23, 1
	v_fma_f32 v6, -v2, v5, v4
	s_add_i32 s3, s25, 16
	s_lshl_b64 s[4:5], s[4:5], 1
	s_lshl_b64 s[16:17], s[16:17], 1
	v_fmac_f32_e32 v5, v6, v3
	s_add_u32 s4, s4, s16
	v_fma_f32 v2, -v2, v5, v4
	s_addc_u32 s5, s5, s17
	v_div_fmas_f32 v2, v2, v3, v5
	s_add_u32 s4, s8, s4
	v_div_fixup_f32 v5, v2, v1, 1.0
	v_lshlrev_b32_e32 v2, 1, v0
	s_addc_u32 s5, s9, s5
	v_mov_b32_e32 v1, 0
	v_mov_b32_e32 v3, s5
	v_add_co_u32_e32 v2, vcc, s4, v2
	v_addc_co_u32_e32 v3, vcc, 0, v3, vcc
	v_mov_b32_e32 v4, v1
.LBB70_22:                              ; =>This Inner Loop Header: Depth=1
	global_load_ushort v6, v[2:3], off
	v_mov_b32_e32 v7, s3
	s_waitcnt vmcnt(0)
	;;#ASMSTART
	v_cvt_f32_f16 v6, v6;
	;;#ASMEND
	ds_read_b32 v7, v7
	s_add_i32 s2, s2, -1
	v_add_co_u32_e32 v2, vcc, 0xc0, v2
	s_add_i32 s3, s3, 4
	s_waitcnt lgkmcnt(0)
	v_mul_f32_e32 v6, v6, v7
	v_addc_co_u32_e32 v3, vcc, 0, v3, vcc
	s_cmp_eq_u32 s2, 0
	v_fmac_f32_e32 v4, v5, v6
	s_cbranch_scc0 .LBB70_22
.LBB70_23:
	s_mul_i32 s2, s22, 0x60
	s_ashr_i32 s3, s2, 31
	s_lshl_b64 s[2:3], s[2:3], 1
	s_add_u32 s4, s10, s2
	s_mul_i32 s2, s6, 0x60
	s_addc_u32 s5, s11, s3
	s_ashr_i32 s3, s2, 31
	s_lshl_b64 s[2:3], s[2:3], 1
	s_add_u32 s2, s4, s2
	s_addc_u32 s3, s5, s3
	s_waitcnt lgkmcnt(0)
	v_lshlrev_b64 v[2:3], 1, v[0:1]
	v_mov_b32_e32 v1, s3
	v_add_co_u32_e32 v2, vcc, s2, v2
	v_addc_co_u32_e32 v3, vcc, v1, v3, vcc
	;;#ASMSTART
	v_cvt_f16_f32 v1, v4;

	;;#ASMEND
	global_store_short v[2:3], v1, off
.LBB70_24:
	s_or_b64 exec, exec, s[0:1]
	s_mov_b64 s[0:1], 0
.LBB70_25:
	s_and_b64 vcc, exec, s[0:1]
	s_cbranch_vccz .LBB70_34
; %bb.26:
	s_movk_i32 s0, 0x60
	v_cmp_gt_u32_e32 vcc, s0, v0
	s_and_saveexec_b64 s[2:3], vcc
	s_cbranch_execz .LBB70_34
; %bb.27:
	s_mul_i32 s1, s15, s14
	s_mul_i32 s2, s1, 0x60
	s_ashr_i32 s3, s2, 31
	s_lshl_b64 s[4:5], s[2:3], 1
	s_add_u32 s1, s10, s4
	s_mul_i32 s14, s6, 0x60
	s_addc_u32 s3, s11, s5
	s_ashr_i32 s15, s14, 31
	s_lshl_b64 s[4:5], s[14:15], 1
	s_add_u32 s4, s1, s4
	s_mul_i32 s2, s2, s7
	s_addc_u32 s10, s3, s5
	s_ashr_i32 s3, s2, 31
	s_lshl_b64 s[2:3], s[2:3], 1
	s_add_u32 s1, s8, s2
	s_load_dword s8, s[12:13], 0xc
	s_mul_i32 s2, s14, s7
	s_addc_u32 s6, s9, s3
	s_ashr_i32 s3, s2, 31
	s_lshl_b64 s[2:3], s[2:3], 1
	s_add_u32 s5, s1, s2
	s_addc_u32 s7, s6, s3
	s_waitcnt lgkmcnt(0)
	s_and_b32 s6, s8, 0xffff
	v_cvt_f32_u32_e32 v1, s6
	v_add_u32_e32 v2, s6, v0
	v_mov_b32_e32 v4, s6
	v_cmp_gt_u32_e32 vcc, s0, v2
	v_rcp_iflag_f32_e32 v1, v1
	s_cmp_eq_u32 s6, 1
	v_max_u32_e32 v3, 0x60, v2
	v_addc_co_u32_e64 v2, s[0:1], v0, v4, vcc
	v_mul_f32_e32 v1, 0x4f7ffffe, v1
	v_cvt_u32_f32_e32 v1, v1
	s_cselect_b64 s[2:3], -1, 0
	s_sub_i32 s0, 0, s6
	v_sub_u32_e32 v2, v3, v2
	v_mul_lo_u32 v3, s0, v1
	v_mul_hi_u32 v3, v1, v3
	v_add_u32_e32 v1, v1, v3
	v_mul_hi_u32 v1, v2, v1
	v_mul_lo_u32 v3, v1, s6
	v_sub_u32_e32 v2, v2, v3
	v_add_u32_e32 v3, 1, v1
	v_cmp_le_u32_e64 s[0:1], s6, v2
	v_cndmask_b32_e64 v1, v1, v3, s[0:1]
	v_subrev_u32_e32 v3, s6, v2
	v_cndmask_b32_e64 v2, v2, v3, s[0:1]
	v_add_u32_e32 v3, 1, v1
	v_cmp_le_u32_e64 s[0:1], s6, v2
	v_cndmask_b32_e64 v1, v1, v3, s[0:1]
	v_addc_co_u32_e32 v1, vcc, 1, v1, vcc
	v_cmp_lt_u32_e32 vcc, 7, v1
	s_and_b64 s[8:9], vcc, s[2:3]
	s_mov_b64 s[2:3], -1
	s_and_saveexec_b64 s[0:1], s[8:9]
	s_cbranch_execz .LBB70_31
; %bb.28:
	v_and_b32_e32 v4, -8, v1
	s_mov_b64 s[2:3], 0
	v_mov_b32_e32 v3, 0
	v_mov_b32_e32 v5, s7
	;; [unrolled: 1-line block ×5, first 2 shown]
.LBB70_29:                              ; =>This Inner Loop Header: Depth=1
	v_lshlrev_b64 v[12:13], 1, v[2:3]
	v_add_co_u32_e32 v8, vcc, s5, v12
	v_addc_co_u32_e32 v9, vcc, v5, v13, vcc
	global_load_dwordx4 v[8:11], v[8:9], off
	v_add_co_u32_e32 v12, vcc, s4, v12
	v_add_u32_e32 v7, -8, v7
	v_addc_co_u32_e32 v13, vcc, v6, v13, vcc
	v_cmp_eq_u32_e32 vcc, 0, v7
	v_add_u32_e32 v2, 8, v2
	s_or_b64 s[2:3], vcc, s[2:3]
	s_waitcnt vmcnt(0)
	global_store_dwordx4 v[12:13], v[8:11], off
	s_andn2_b64 exec, exec, s[2:3]
	s_cbranch_execnz .LBB70_29
; %bb.30:
	s_or_b64 exec, exec, s[2:3]
	v_cmp_ne_u32_e32 vcc, v1, v4
	v_add_u32_e32 v0, v0, v4
	s_orn2_b64 s[2:3], vcc, exec
.LBB70_31:
	s_or_b64 exec, exec, s[0:1]
	s_and_b64 exec, exec, s[2:3]
	s_cbranch_execz .LBB70_34
; %bb.32:
	s_mov_b32 s3, 0
	v_mov_b32_e32 v1, 0
	v_lshlrev_b64 v[2:3], 1, v[0:1]
	s_lshl_b32 s2, s6, 1
	s_mov_b64 s[0:1], 0
	v_mov_b32_e32 v1, s7
	v_mov_b32_e32 v4, s10
	;; [unrolled: 1-line block ×3, first 2 shown]
	s_movk_i32 s3, 0x5f
.LBB70_33:                              ; =>This Inner Loop Header: Depth=1
	v_add_co_u32_e32 v6, vcc, s5, v2
	v_addc_co_u32_e32 v7, vcc, v1, v3, vcc
	global_load_ushort v8, v[6:7], off
	v_add_co_u32_e32 v6, vcc, s4, v2
	v_addc_co_u32_e32 v7, vcc, v4, v3, vcc
	v_add_co_u32_e32 v2, vcc, s2, v2
	v_add_u32_e32 v0, s6, v0
	v_addc_co_u32_e32 v3, vcc, v3, v5, vcc
	v_cmp_lt_u32_e32 vcc, s3, v0
	s_or_b64 s[0:1], vcc, s[0:1]
	s_waitcnt vmcnt(0)
	global_store_short v[6:7], v8, off
	s_andn2_b64 exec, exec, s[0:1]
	s_cbranch_execnz .LBB70_33
.LBB70_34:
	s_endpgm
	.section	.rodata,"a",@progbits
	.p2align	6, 0x0
	.amdhsa_kernel _ZN4vllm32paged_attention_v2_reduce_kernelItLi96ELi128ELi512EEEvPT_PKfS4_PKS1_PKii
		.amdhsa_group_segment_fixed_size 16
		.amdhsa_private_segment_fixed_size 0
		.amdhsa_kernarg_size 304
		.amdhsa_user_sgpr_count 6
		.amdhsa_user_sgpr_private_segment_buffer 1
		.amdhsa_user_sgpr_dispatch_ptr 0
		.amdhsa_user_sgpr_queue_ptr 0
		.amdhsa_user_sgpr_kernarg_segment_ptr 1
		.amdhsa_user_sgpr_dispatch_id 0
		.amdhsa_user_sgpr_flat_scratch_init 0
		.amdhsa_user_sgpr_kernarg_preload_length 0
		.amdhsa_user_sgpr_kernarg_preload_offset 0
		.amdhsa_user_sgpr_private_segment_size 0
		.amdhsa_uses_dynamic_stack 0
		.amdhsa_system_sgpr_private_segment_wavefront_offset 0
		.amdhsa_system_sgpr_workgroup_id_x 1
		.amdhsa_system_sgpr_workgroup_id_y 1
		.amdhsa_system_sgpr_workgroup_id_z 0
		.amdhsa_system_sgpr_workgroup_info 0
		.amdhsa_system_vgpr_workitem_id 0
		.amdhsa_next_free_vgpr 24
		.amdhsa_next_free_sgpr 32
		.amdhsa_accum_offset 24
		.amdhsa_reserve_vcc 1
		.amdhsa_reserve_flat_scratch 0
		.amdhsa_float_round_mode_32 0
		.amdhsa_float_round_mode_16_64 0
		.amdhsa_float_denorm_mode_32 3
		.amdhsa_float_denorm_mode_16_64 3
		.amdhsa_dx10_clamp 1
		.amdhsa_ieee_mode 1
		.amdhsa_fp16_overflow 0
		.amdhsa_tg_split 0
		.amdhsa_exception_fp_ieee_invalid_op 0
		.amdhsa_exception_fp_denorm_src 0
		.amdhsa_exception_fp_ieee_div_zero 0
		.amdhsa_exception_fp_ieee_overflow 0
		.amdhsa_exception_fp_ieee_underflow 0
		.amdhsa_exception_fp_ieee_inexact 0
		.amdhsa_exception_int_div_zero 0
	.end_amdhsa_kernel
	.section	.text._ZN4vllm32paged_attention_v2_reduce_kernelItLi96ELi128ELi512EEEvPT_PKfS4_PKS1_PKii,"axG",@progbits,_ZN4vllm32paged_attention_v2_reduce_kernelItLi96ELi128ELi512EEEvPT_PKfS4_PKS1_PKii,comdat
.Lfunc_end70:
	.size	_ZN4vllm32paged_attention_v2_reduce_kernelItLi96ELi128ELi512EEEvPT_PKfS4_PKS1_PKii, .Lfunc_end70-_ZN4vllm32paged_attention_v2_reduce_kernelItLi96ELi128ELi512EEEvPT_PKfS4_PKS1_PKii
                                        ; -- End function
	.section	.AMDGPU.csdata,"",@progbits
; Kernel info:
; codeLenInByte = 2184
; NumSgprs: 36
; NumVgprs: 24
; NumAgprs: 0
; TotalNumVgprs: 24
; ScratchSize: 0
; MemoryBound: 0
; FloatMode: 240
; IeeeMode: 1
; LDSByteSize: 16 bytes/workgroup (compile time only)
; SGPRBlocks: 4
; VGPRBlocks: 2
; NumSGPRsForWavesPerEU: 36
; NumVGPRsForWavesPerEU: 24
; AccumOffset: 24
; Occupancy: 8
; WaveLimiterHint : 0
; COMPUTE_PGM_RSRC2:SCRATCH_EN: 0
; COMPUTE_PGM_RSRC2:USER_SGPR: 6
; COMPUTE_PGM_RSRC2:TRAP_HANDLER: 0
; COMPUTE_PGM_RSRC2:TGID_X_EN: 1
; COMPUTE_PGM_RSRC2:TGID_Y_EN: 1
; COMPUTE_PGM_RSRC2:TGID_Z_EN: 0
; COMPUTE_PGM_RSRC2:TIDIG_COMP_CNT: 0
; COMPUTE_PGM_RSRC3_GFX90A:ACCUM_OFFSET: 5
; COMPUTE_PGM_RSRC3_GFX90A:TG_SPLIT: 0
	.section	.text._ZN4vllm25paged_attention_v2_kernelIttLi112ELi8ELi128ELNS_18Fp8KVCacheDataTypeE0ELb1ELi512EEEvPfS2_PT_PKS3_PKT0_S9_ifPKiSB_iPKfiiiSD_SD_iiiii,"axG",@progbits,_ZN4vllm25paged_attention_v2_kernelIttLi112ELi8ELi128ELNS_18Fp8KVCacheDataTypeE0ELb1ELi512EEEvPfS2_PT_PKS3_PKT0_S9_ifPKiSB_iPKfiiiSD_SD_iiiii,comdat
	.protected	_ZN4vllm25paged_attention_v2_kernelIttLi112ELi8ELi128ELNS_18Fp8KVCacheDataTypeE0ELb1ELi512EEEvPfS2_PT_PKS3_PKT0_S9_ifPKiSB_iPKfiiiSD_SD_iiiii ; -- Begin function _ZN4vllm25paged_attention_v2_kernelIttLi112ELi8ELi128ELNS_18Fp8KVCacheDataTypeE0ELb1ELi512EEEvPfS2_PT_PKS3_PKT0_S9_ifPKiSB_iPKfiiiSD_SD_iiiii
	.globl	_ZN4vllm25paged_attention_v2_kernelIttLi112ELi8ELi128ELNS_18Fp8KVCacheDataTypeE0ELb1ELi512EEEvPfS2_PT_PKS3_PKT0_S9_ifPKiSB_iPKfiiiSD_SD_iiiii
	.p2align	8
	.type	_ZN4vllm25paged_attention_v2_kernelIttLi112ELi8ELi128ELNS_18Fp8KVCacheDataTypeE0ELb1ELi512EEEvPfS2_PT_PKS3_PKT0_S9_ifPKiSB_iPKfiiiSD_SD_iiiii,@function
_ZN4vllm25paged_attention_v2_kernelIttLi112ELi8ELi128ELNS_18Fp8KVCacheDataTypeE0ELb1ELi512EEEvPfS2_PT_PKS3_PKT0_S9_ifPKiSB_iPKfiiiSD_SD_iiiii: ; @_ZN4vllm25paged_attention_v2_kernelIttLi112ELi8ELi128ELNS_18Fp8KVCacheDataTypeE0ELb1ELi512EEEvPfS2_PT_PKS3_PKT0_S9_ifPKiSB_iPKfiiiSD_SD_iiiii
; %bb.0:
	s_load_dwordx2 s[0:1], s[4:5], 0x40
	s_mov_b32 s30, s7
	s_ashr_i32 s31, s7, 31
	s_lshl_b64 s[2:3], s[30:31], 2
	s_waitcnt lgkmcnt(0)
	s_add_u32 s0, s0, s2
	s_addc_u32 s1, s1, s3
	s_load_dword s31, s[0:1], 0x0
	s_lshl_b32 s51, s8, 9
	s_waitcnt lgkmcnt(0)
	s_cmp_ge_i32 s51, s31
	s_cbranch_scc1 .LBB71_69
; %bb.1:
	s_load_dword s9, s[4:5], 0x90
	s_load_dwordx2 s[40:41], s[4:5], 0x30
	s_waitcnt lgkmcnt(0)
	s_abs_i32 s2, s9
	s_abs_i32 s0, s40
	v_cvt_f32_u32_e32 v1, s0
	s_sub_i32 s3, 0, s0
	s_xor_b32 s1, s9, s40
	s_ashr_i32 s1, s1, 31
	v_rcp_iflag_f32_e32 v1, v1
	v_mul_f32_e32 v1, 0x4f7ffffe, v1
	v_cvt_u32_f32_e32 v1, v1
	v_readfirstlane_b32 s7, v1
	s_mul_i32 s3, s3, s7
	s_mul_hi_u32 s3, s7, s3
	s_add_i32 s7, s7, s3
	s_mul_hi_u32 s3, s2, s7
	s_mul_i32 s7, s3, s0
	s_sub_i32 s2, s2, s7
	s_add_i32 s10, s3, 1
	s_sub_i32 s7, s2, s0
	s_cmp_ge_u32 s2, s0
	s_cselect_b32 s3, s10, s3
	s_cselect_b32 s2, s7, s2
	s_add_i32 s7, s3, 1
	s_cmp_ge_u32 s2, s0
	s_cselect_b32 s0, s7, s3
	s_xor_b32 s0, s0, s1
	s_sub_i32 s2, s0, s1
	s_abs_i32 s10, s2
	v_cvt_f32_u32_e32 v1, s10
	s_load_dwordx2 s[0:1], s[4:5], 0x50
	s_sub_i32 s3, 0, s10
	s_abs_i32 s11, s6
	v_rcp_iflag_f32_e32 v1, v1
	s_mov_b32 s7, 0
	v_mul_f32_e32 v1, 0x4f7ffffe, v1
	v_cvt_u32_f32_e32 v1, v1
	v_readfirstlane_b32 s12, v1
	s_mul_i32 s3, s3, s12
	s_mul_hi_u32 s3, s12, s3
	s_add_i32 s12, s12, s3
	s_waitcnt lgkmcnt(0)
	s_cmp_eq_u64 s[0:1], 0
	s_mul_hi_u32 s12, s11, s12
	s_cbranch_scc1 .LBB71_3
; %bb.2:
	s_ashr_i32 s7, s6, 31
	s_lshl_b64 s[14:15], s[6:7], 2
	s_add_u32 s0, s0, s14
	s_addc_u32 s1, s1, s15
	s_load_dword s7, s[0:1], 0x0
.LBB71_3:
	s_load_dwordx4 s[16:19], s[4:5], 0x58
	s_movk_i32 s0, 0x70
	s_ashr_i32 s13, s6, 31
	s_ashr_i32 s20, s2, 31
	v_and_b32_e32 v2, 7, v0
	s_mul_i32 s14, s6, 0x70
	v_cmp_gt_u32_e64 s[0:1], s0, v0
	v_lshlrev_b32_e32 v1, 1, v0
	s_and_saveexec_b64 s[2:3], s[0:1]
	s_cbranch_execz .LBB71_5
; %bb.4:
	s_load_dwordx2 s[22:23], s[4:5], 0x18
	s_waitcnt lgkmcnt(0)
	s_mul_i32 s24, s30, s16
	s_ashr_i32 s25, s24, 31
	s_lshl_b64 s[24:25], s[24:25], 1
	v_lshrrev_b32_e32 v4, 2, v0
	s_add_u32 s16, s22, s24
	s_addc_u32 s19, s23, s25
	s_ashr_i32 s15, s14, 31
	s_lshl_b64 s[22:23], s[14:15], 1
	s_add_u32 s22, s16, s22
	s_addc_u32 s23, s19, s23
	global_load_ushort v3, v1, s[22:23]
	v_and_b32_e32 v4, 0xfe, v4
	v_mad_u32_u24 v4, v2, 28, v4
	s_waitcnt vmcnt(0)
	ds_write_b16 v4, v3
.LBB71_5:
	s_or_b64 exec, exec, s[2:3]
	s_mul_i32 s3, s12, s10
	s_sub_i32 s3, s11, s3
	s_xor_b32 s2, s13, s20
	s_add_i32 s11, s12, 1
	s_sub_i32 s13, s3, s10
	s_load_dwordx4 s[20:23], s[4:5], 0x78
	s_cmp_ge_u32 s3, s10
	s_cselect_b32 s11, s11, s12
	s_cselect_b32 s3, s13, s3
	s_load_dword s13, s[4:5], 0x88
	s_add_i32 s12, s11, 1
	s_cmp_ge_u32 s3, s10
	s_cselect_b32 s3, s12, s11
	s_waitcnt lgkmcnt(0)
	s_abs_i32 s33, s23
	v_cvt_f32_u32_e32 v3, s33
	s_xor_b32 s3, s3, s2
	s_sub_i32 s10, s3, s2
	s_sub_i32 s2, 0, s33
	v_rcp_iflag_f32_e32 v3, v3
	s_add_i32 s15, s31, -1
	s_abs_i32 s11, s15
	v_mul_f32_e32 v3, 0x4f7ffffe, v3
	v_cvt_u32_f32_e32 v3, v3
	s_barrier
	v_readfirstlane_b32 s48, v3
	s_mul_i32 s2, s2, s48
	s_mul_hi_u32 s2, s48, s2
	s_add_i32 s48, s48, s2
	s_cmp_lt_i32 s13, 0
	s_mul_hi_u32 s12, s11, s48
	s_cbranch_scc0 .LBB71_7
; %bb.6:
	s_mul_i32 s2, s20, s40
	s_add_i32 s2, s10, s2
	s_mul_i32 s2, s2, s13
	s_sub_i32 s49, 1, s2
	s_mov_b64 s[2:3], 0
	s_branch .LBB71_8
.LBB71_7:
	s_mov_b64 s[2:3], -1
                                        ; implicit-def: $sgpr49
.LBB71_8:
	s_load_dwordx2 s[34:35], s[4:5], 0x38
	s_ashr_i32 s16, s15, 31
	s_andn2_b64 vcc, exec, s[2:3]
	s_ashr_i32 s23, s23, 31
	s_cbranch_vccnz .LBB71_10
; %bb.9:
	s_mul_i32 s2, s9, s20
	s_add_i32 s2, s2, s6
	s_mul_i32 s2, s2, s13
	s_add_i32 s49, s2, 1
.LBB71_10:
	s_load_dword s2, s[4:5], 0x48
	s_load_dwordx2 s[38:39], s[4:5], 0x28
	s_load_dword s15, s[4:5], 0x98
	s_load_dwordx4 s[24:27], s[4:5], 0x0
	s_load_dwordx2 s[28:29], s[4:5], 0x10
	s_mul_i32 s3, s12, s33
	s_waitcnt lgkmcnt(0)
	s_mul_i32 s36, s30, s2
	s_sub_i32 s3, s11, s3
	s_ashr_i32 s37, s36, 31
	s_xor_b32 s2, s16, s23
	s_add_i32 s11, s12, 1
	s_sub_i32 s13, s3, s33
	s_cmp_ge_u32 s3, s33
	s_cselect_b32 s11, s11, s12
	s_cselect_b32 s3, s13, s3
	s_add_i32 s12, s11, 1
	s_cmp_ge_u32 s3, s33
	s_cselect_b32 s3, s12, s11
	s_xor_b32 s3, s3, s2
	s_sub_i32 s50, s3, s2
	s_add_i32 s2, s31, 7
	s_ashr_i32 s3, s2, 31
	s_lshr_b32 s3, s3, 29
	s_add_i32 s2, s2, s3
	s_lshl_b32 s40, s8, 6
	s_ashr_i32 s16, s2, 3
	s_add_i32 s2, s40, 64
	v_lshrrev_b32_e32 v4, 6, v0
	s_min_i32 s20, s2, s16
	v_or_b32_e32 v6, s40, v4
	v_cmp_gt_i32_e64 s[2:3], s20, v6
	v_mov_b32_e32 v14, 0xff7fffff
	s_mul_i32 s18, s10, s18
	v_ashrrev_i32_e32 v7, 31, v6
	v_lshl_add_u32 v10, v4, 3, s51
	v_mbcnt_lo_u32_b32 v5, -1, 0
	s_and_saveexec_b64 s[42:43], s[2:3]
	s_cbranch_execz .LBB71_20
; %bb.11:
	s_load_dwordx2 s[4:5], s[4:5], 0x20
	s_ashr_i32 s19, s18, 31
	s_sub_i32 s52, s50, s21
	s_lshl_b64 s[10:11], s[18:19], 1
	v_bfe_u32 v8, v0, 3, 3
	s_waitcnt lgkmcnt(0)
	s_add_u32 s4, s4, s10
	s_addc_u32 s5, s5, s11
	s_abs_i32 s19, s22
	v_cvt_f32_u32_e32 v11, s19
	v_lshlrev_b32_e32 v3, 4, v8
	v_mov_b32_e32 v9, s5
	v_add_co_u32_e64 v3, s[4:5], s4, v3
	v_rcp_iflag_f32_e32 v13, v11
	v_addc_co_u32_e64 v12, s[4:5], 0, v9, s[4:5]
	v_lshlrev_b32_e32 v9, 1, v2
	v_add_co_u32_e64 v9, s[4:5], v3, v9
	v_mul_f32_e32 v3, 0x4f7ffffe, v13
	v_cvt_u32_f32_e32 v3, v3
	s_sub_i32 s10, 0, s19
	v_cmp_eq_u32_e32 vcc, 0, v2
	v_addc_co_u32_e64 v11, s[4:5], 0, v12, s[4:5]
	v_mul_u32_u24_e32 v12, 28, v2
	v_mul_lo_u32 v2, s10, v3
	s_lshl_b64 s[10:11], s[36:37], 2
	v_mul_hi_u32 v2, v3, v2
	s_add_u32 s10, s34, s10
	v_add_u32_e32 v13, v3, v2
	v_lshlrev_b64 v[2:3], 2, v[6:7]
	s_addc_u32 s11, s35, s11
	v_mov_b32_e32 v14, s11
	v_add_co_u32_e64 v2, s[10:11], s10, v2
	v_addc_co_u32_e64 v3, s[10:11], v14, v3, s[10:11]
	v_lshlrev_b32_e32 v14, 2, v8
	v_lshl_or_b32 v14, v4, 5, v14
	v_add_u32_e32 v16, 0xf0, v14
	v_subrev_u32_e32 v14, s31, v8
	v_mbcnt_hi_u32_b32 v19, -1, v5
	v_add_u32_e32 v17, 1, v14
	v_and_b32_e32 v14, 64, v19
	s_mov_b32 s53, s17
	v_cmp_neq_f32_e64 s[4:5], s7, 0
	v_lshl_add_u32 v15, v4, 3, s51
	s_mov_b64 s[44:45], 0
	v_mov_b32_e32 v18, 0xff7fffff
	v_add_u32_e32 v20, 64, v14
	v_xor_b32_e32 v21, 4, v19
	v_xor_b32_e32 v22, 2, v19
	;; [unrolled: 1-line block ×3, first 2 shown]
	v_mov_b32_e32 v14, 0xff7fffff
	v_mov_b32_e32 v24, v6
	s_branch .LBB71_14
.LBB71_12:                              ;   in Loop: Header=BB71_14 Depth=1
	s_or_b64 exec, exec, s[46:47]
.LBB71_13:                              ;   in Loop: Header=BB71_14 Depth=1
	s_or_b64 exec, exec, s[12:13]
	v_add_co_u32_e64 v2, s[10:11], 8, v2
	v_add_u32_e32 v24, 2, v24
	v_addc_co_u32_e64 v3, s[10:11], 0, v3, s[10:11]
	v_cmp_le_i32_e64 s[10:11], s20, v24
	v_add_u32_e32 v15, 16, v15
	s_or_b64 s[44:45], s[10:11], s[44:45]
	v_add_u32_e32 v16, 64, v16
	s_andn2_b64 exec, exec, s[44:45]
	s_cbranch_execz .LBB71_19
.LBB71_14:                              ; =>This Inner Loop Header: Depth=1
	s_waitcnt lgkmcnt(0)
	v_sub_u32_e32 v26, 0, v15
	v_max_i32_e32 v26, v15, v26
	v_mul_hi_u32 v27, v26, s48
	v_mul_lo_u32 v28, v27, s33
	v_sub_u32_e32 v26, v26, v28
	v_add_u32_e32 v28, 1, v27
	v_cmp_le_u32_e64 s[10:11], s33, v26
	v_cndmask_b32_e64 v27, v27, v28, s[10:11]
	v_subrev_u32_e32 v28, s33, v26
	v_cndmask_b32_e64 v26, v26, v28, s[10:11]
	v_ashrrev_i32_e32 v25, 31, v15
	v_add_u32_e32 v28, 1, v27
	v_cmp_le_u32_e64 s[10:11], s33, v26
	v_xor_b32_e32 v25, s23, v25
	v_cndmask_b32_e64 v26, v27, v28, s[10:11]
	v_xor_b32_e32 v26, v26, v25
	v_sub_u32_e32 v25, v26, v25
	v_add_u32_e32 v26, s49, v25
	v_sub_u32_e32 v28, 0, v26
	v_ashrrev_i32_e32 v27, 31, v26
	v_max_i32_e32 v26, v26, v28
	v_mul_hi_u32 v28, v26, v13
	v_mul_lo_u32 v28, v28, s19
	v_sub_u32_e32 v26, v26, v28
	v_subrev_u32_e32 v28, s19, v26
	v_cmp_le_u32_e64 s[10:11], s19, v26
	v_cndmask_b32_e64 v26, v26, v28, s[10:11]
	v_subrev_u32_e32 v28, s19, v26
	v_cmp_le_u32_e64 s[10:11], s19, v26
	v_cndmask_b32_e64 v26, v26, v28, s[10:11]
	v_xor_b32_e32 v26, v26, v27
	v_sub_u32_e32 v26, v26, v27
	v_cmp_ne_u32_e64 s[10:11], 0, v26
	v_cmp_ge_i32_e64 s[12:13], s52, v25
	s_and_b64 s[10:11], s[10:11], s[12:13]
	s_and_b64 s[46:47], vcc, s[10:11]
	s_and_saveexec_b64 s[12:13], s[46:47]
	s_cbranch_execz .LBB71_16
; %bb.15:                               ;   in Loop: Header=BB71_14 Depth=1
	ds_write_b32 v16, v18
.LBB71_16:                              ;   in Loop: Header=BB71_14 Depth=1
	s_or_b64 exec, exec, s[12:13]
	s_xor_b64 s[10:11], s[10:11], -1
	s_and_saveexec_b64 s[12:13], s[10:11]
	s_cbranch_execz .LBB71_13
; %bb.17:                               ;   in Loop: Header=BB71_14 Depth=1
	global_load_dword v25, v[2:3], off
	s_waitcnt vmcnt(0)
	v_mad_i64_i32 v[26:27], s[10:11], v25, s53, 0
	v_lshlrev_b64 v[26:27], 1, v[26:27]
	v_add_co_u32_e64 v26, s[10:11], v9, v26
	v_addc_co_u32_e64 v27, s[10:11], v11, v27, s[10:11]
	global_load_ushort v25, v[26:27], off
	global_load_ushort v28, v[26:27], off offset:128
	global_load_ushort v29, v[26:27], off offset:256
	;; [unrolled: 1-line block ×10, first 2 shown]
	ds_read_u16 v38, v12
	global_load_ushort v39, v[26:27], off offset:1408
	global_load_ushort v40, v[26:27], off offset:1536
	s_nop 0
	global_load_ushort v26, v[26:27], off offset:1664
	s_waitcnt lgkmcnt(0)
	;;#ASMSTART
	v_cvt_f32_f16 v27, v38;
	;;#ASMEND
	v_cmp_lt_i32_e64 s[10:11], v21, v20
	v_cndmask_b32_e64 v50, v19, v21, s[10:11]
	v_lshlrev_b32_e32 v50, 2, v50
	v_cmp_lt_i32_e64 s[10:11], v22, v20
	s_waitcnt vmcnt(13)
	;;#ASMSTART
	v_cvt_f32_f16 v25, v25;
	;;#ASMEND
	ds_read_u16 v38, v12 offset:2
	s_waitcnt lgkmcnt(0)
	;;#ASMSTART
	v_cvt_f32_f16 v38, v38;
	;;#ASMEND
	s_waitcnt vmcnt(12)
	;;#ASMSTART
	v_cvt_f32_f16 v28, v28;
	;;#ASMEND
	v_mul_f32_e32 v28, v38, v28
	ds_read_u16 v41, v12 offset:4
	v_fmac_f32_e32 v28, v27, v25
	s_waitcnt lgkmcnt(0)
	;;#ASMSTART
	v_cvt_f32_f16 v41, v41;
	;;#ASMEND
	s_waitcnt vmcnt(11)
	;;#ASMSTART
	v_cvt_f32_f16 v29, v29;
	;;#ASMEND
	ds_read_u16 v42, v12 offset:6
	v_fmac_f32_e32 v28, v41, v29
	s_waitcnt lgkmcnt(0)
	;;#ASMSTART
	v_cvt_f32_f16 v42, v42;
	;;#ASMEND
	s_waitcnt vmcnt(10)
	;;#ASMSTART
	v_cvt_f32_f16 v30, v30;
	;;#ASMEND
	;; [unrolled: 10-line block ×8, first 2 shown]
	v_fmac_f32_e32 v28, v48, v36
	ds_read_u16 v49, v12 offset:20
	s_waitcnt lgkmcnt(0)
	;;#ASMSTART
	v_cvt_f32_f16 v38, v49;
	;;#ASMEND
	s_waitcnt vmcnt(3)
	;;#ASMSTART
	v_cvt_f32_f16 v37, v37;
	;;#ASMEND
	v_fmac_f32_e32 v28, v38, v37
	ds_read_u16 v49, v12 offset:22
	s_waitcnt lgkmcnt(0)
	;;#ASMSTART
	v_cvt_f32_f16 v25, v49;
	;;#ASMEND
	s_waitcnt vmcnt(2)
	;;#ASMSTART
	v_cvt_f32_f16 v27, v39;
	;;#ASMEND
	ds_read_u16 v29, v12 offset:24
	v_fmac_f32_e32 v28, v25, v27
	s_waitcnt lgkmcnt(0)
	;;#ASMSTART
	v_cvt_f32_f16 v29, v29;
	;;#ASMEND
	s_waitcnt vmcnt(1)
	;;#ASMSTART
	v_cvt_f32_f16 v30, v40;
	;;#ASMEND
	v_fmac_f32_e32 v28, v29, v30
	ds_read_u16 v31, v12 offset:26
	s_waitcnt lgkmcnt(0)
	;;#ASMSTART
	v_cvt_f32_f16 v25, v31;
	;;#ASMEND
	s_waitcnt vmcnt(0)
	;;#ASMSTART
	v_cvt_f32_f16 v26, v26;
	;;#ASMEND
	v_fmac_f32_e32 v28, v25, v26
	ds_bpermute_b32 v25, v50, v28
	v_cndmask_b32_e64 v26, v19, v22, s[10:11]
	v_lshlrev_b32_e32 v26, 2, v26
	v_cmp_lt_i32_e64 s[10:11], v23, v20
	v_cndmask_b32_e64 v27, v19, v23, s[10:11]
	s_waitcnt lgkmcnt(0)
	v_add_f32_e32 v25, v28, v25
	ds_bpermute_b32 v26, v26, v25
	s_waitcnt lgkmcnt(0)
	v_add_f32_e32 v25, v25, v26
	v_lshlrev_b32_e32 v26, 2, v27
	ds_bpermute_b32 v26, v26, v25
	s_and_saveexec_b64 s[46:47], vcc
	s_cbranch_execz .LBB71_12
; %bb.18:                               ;   in Loop: Header=BB71_14 Depth=1
	v_add_u32_e32 v27, v17, v15
	v_cvt_f32_i32_e32 v27, v27
	s_waitcnt lgkmcnt(0)
	v_add_f32_e32 v25, v25, v26
	v_add_u32_e32 v28, v8, v15
	v_cmp_gt_i32_e64 s[10:11], s31, v28
	v_mul_f32_e32 v26, s7, v27
	v_cndmask_b32_e64 v26, 0, v26, s[4:5]
	v_fmac_f32_e32 v26, s41, v25
	v_cndmask_b32_e64 v25, 0, v26, s[10:11]
	ds_write_b32 v16, v25
	v_max_f32_e32 v25, v14, v14
	v_max_f32_e32 v25, v25, v26
	v_cndmask_b32_e64 v14, v14, v25, s[10:11]
	s_branch .LBB71_12
.LBB71_19:
	s_or_b64 exec, exec, s[44:45]
.LBB71_20:
	s_or_b64 exec, exec, s[42:43]
	v_mbcnt_hi_u32_b32 v2, -1, v5
	v_and_b32_e32 v3, 64, v2
	v_add_u32_e32 v3, 64, v3
	v_xor_b32_e32 v5, 32, v2
	v_cmp_lt_i32_e32 vcc, v5, v3
	v_cndmask_b32_e32 v5, v2, v5, vcc
	v_lshlrev_b32_e32 v9, 2, v5
	ds_bpermute_b32 v5, v9, v14
	v_xor_b32_e32 v11, 16, v2
	v_max_f32_e32 v8, v14, v14
	v_cmp_lt_i32_e32 vcc, v11, v3
	s_waitcnt lgkmcnt(0)
	v_max_f32_e32 v5, v5, v5
	v_max_f32_e32 v5, v8, v5
	v_cndmask_b32_e32 v8, v2, v11, vcc
	v_lshlrev_b32_e32 v13, 2, v8
	ds_bpermute_b32 v8, v13, v5
	v_xor_b32_e32 v11, 8, v2
	v_cmp_lt_i32_e32 vcc, v11, v3
	s_waitcnt lgkmcnt(0)
	v_max_f32_e32 v8, v8, v8
	v_max_f32_e32 v5, v5, v8
	v_cndmask_b32_e32 v8, v2, v11, vcc
	v_lshlrev_b32_e32 v14, 2, v8
	ds_bpermute_b32 v12, v14, v5
	v_and_b32_e32 v11, 63, v0
	v_cmp_eq_u32_e32 vcc, 0, v11
	v_lshlrev_b32_e32 v8, 2, v4
	s_and_saveexec_b64 s[4:5], vcc
	s_cbranch_execz .LBB71_22
; %bb.21:
	s_waitcnt lgkmcnt(0)
	v_max_f32_e32 v12, v12, v12
	v_max_f32_e32 v5, v5, v5
	;; [unrolled: 1-line block ×3, first 2 shown]
	ds_write_b32 v8, v5 offset:224
.LBB71_22:
	s_or_b64 exec, exec, s[4:5]
	v_cmp_gt_u32_e64 s[4:5], 2, v11
	v_mov_b32_e32 v5, 0xff7fffff
	s_waitcnt lgkmcnt(0)
	v_lshlrev_b32_e32 v12, 2, v11
	s_barrier
	s_and_saveexec_b64 s[10:11], s[4:5]
	s_cbranch_execz .LBB71_24
; %bb.23:
	ds_read_b32 v5, v12 offset:224
.LBB71_24:
	s_or_b64 exec, exec, s[10:11]
	v_xor_b32_e32 v15, 1, v2
	v_cmp_lt_i32_e64 s[10:11], v15, v3
	v_cndmask_b32_e64 v15, v2, v15, s[10:11]
	v_lshlrev_b32_e32 v15, 2, v15
	s_waitcnt lgkmcnt(0)
	ds_bpermute_b32 v16, v15, v5
	v_max_f32_e32 v5, v5, v5
	s_sub_i32 s7, s20, s40
	s_lshl_b32 s7, s7, 3
	s_add_i32 s7, s7, s51
	s_waitcnt lgkmcnt(0)
	v_max_f32_e32 v16, v16, v16
	v_max_f32_e32 v5, v5, v16
	v_lshlrev_b32_e32 v16, 2, v2
	v_and_b32_e32 v16, 0x100, v16
	ds_bpermute_b32 v5, v16, v5
	s_min_i32 s19, s7, s31
	s_sub_i32 s7, s19, s51
	v_cmp_gt_i32_e64 s[10:11], s7, v0
	v_mov_b32_e32 v17, 0
	s_and_saveexec_b64 s[40:41], s[10:11]
	s_cbranch_execz .LBB71_28
; %bb.25:
	v_mov_b32_e32 v17, 0xf0
	v_lshl_add_u32 v18, v0, 2, v17
	s_mov_b64 s[42:43], 0
	v_mov_b32_e32 v17, 0
	v_mov_b32_e32 v19, v0
.LBB71_26:                              ; =>This Inner Loop Header: Depth=1
	ds_read_b32 v20, v18
	v_add_u32_e32 v19, 0x80, v19
	v_cmp_le_i32_e64 s[12:13], s7, v19
	s_or_b64 s[42:43], s[12:13], s[42:43]
	s_waitcnt lgkmcnt(0)
	v_sub_f32_e32 v20, v20, v5
	v_mul_f32_e32 v20, 0x3fb8aa3b, v20
	v_exp_f32_e32 v20, v20
	ds_write_b32 v18, v20
	v_add_f32_e32 v17, v17, v20
	v_add_u32_e32 v18, 0x200, v18
	s_andn2_b64 exec, exec, s[42:43]
	s_cbranch_execnz .LBB71_26
; %bb.27:
	s_or_b64 exec, exec, s[42:43]
.LBB71_28:
	s_or_b64 exec, exec, s[40:41]
	ds_bpermute_b32 v9, v9, v17
	s_waitcnt lgkmcnt(0)
	v_add_f32_e32 v9, v17, v9
	ds_bpermute_b32 v13, v13, v9
	s_waitcnt lgkmcnt(0)
	v_add_f32_e32 v9, v9, v13
	ds_bpermute_b32 v13, v14, v9
	v_xor_b32_e32 v14, 4, v2
	v_cmp_lt_i32_e64 s[12:13], v14, v3
	v_cndmask_b32_e64 v14, v2, v14, s[12:13]
	v_lshlrev_b32_e32 v14, 2, v14
	s_waitcnt lgkmcnt(0)
	v_add_f32_e32 v9, v9, v13
	ds_bpermute_b32 v13, v14, v9
	v_xor_b32_e32 v14, 2, v2
	v_cmp_lt_i32_e64 s[12:13], v14, v3
	v_cndmask_b32_e64 v2, v2, v14, s[12:13]
	v_lshlrev_b32_e32 v2, 2, v2
	s_waitcnt lgkmcnt(0)
	v_add_f32_e32 v3, v9, v13
	ds_bpermute_b32 v2, v2, v3
	s_waitcnt lgkmcnt(0)
	v_add_f32_e32 v2, v3, v2
	ds_bpermute_b32 v3, v15, v2
	s_waitcnt lgkmcnt(0)
	v_add_f32_e32 v2, v2, v3
	s_and_saveexec_b64 s[12:13], vcc
	s_cbranch_execz .LBB71_30
; %bb.29:
	ds_write_b32 v8, v2 offset:232
.LBB71_30:
	s_or_b64 exec, exec, s[12:13]
	s_waitcnt lgkmcnt(0)
	s_barrier
	s_and_saveexec_b64 s[12:13], s[4:5]
	s_cbranch_execz .LBB71_32
; %bb.31:
	ds_read_b32 v2, v12 offset:232
.LBB71_32:
	s_or_b64 exec, exec, s[12:13]
	s_waitcnt lgkmcnt(0)
	ds_bpermute_b32 v3, v15, v2
	s_waitcnt lgkmcnt(0)
	v_add_f32_e32 v2, v2, v3
	ds_bpermute_b32 v8, v16, v2
	s_and_saveexec_b64 s[4:5], s[10:11]
	s_cbranch_execz .LBB71_45
; %bb.33:
	s_waitcnt lgkmcnt(0)
	v_add_f32_e32 v2, 0x358637bd, v8
	v_div_scale_f32 v3, s[10:11], v2, v2, 1.0
	v_rcp_f32_e32 v9, v3
	v_div_scale_f32 v12, vcc, 1.0, v2, 1.0
	s_movk_i32 s10, 0x7f
	v_fma_f32 v13, -v3, v9, 1.0
	v_fmac_f32_e32 v9, v13, v9
	v_mul_f32_e32 v13, v12, v9
	v_fma_f32 v14, -v3, v13, v12
	v_fmac_f32_e32 v13, v14, v9
	v_fma_f32 v3, -v3, v13, v12
	v_div_fmas_f32 v3, v3, v9, v13
	v_div_fixup_f32 v2, v3, v2, 1.0
	v_xad_u32 v3, v0, -1, s19
	v_subrev_u32_e32 v9, s51, v3
	v_cmp_lt_u32_e32 vcc, s10, v9
	s_mov_b64 s[12:13], -1
	v_mov_b32_e32 v3, v0
	s_and_saveexec_b64 s[10:11], vcc
	s_cbranch_execz .LBB71_42
; %bb.34:
	v_lshrrev_b32_e32 v9, 7, v9
	v_add_u32_e32 v13, -1, v9
	v_lshrrev_b32_e32 v12, 1, v13
	v_mov_b32_e32 v3, v2
	v_add_u32_e32 v12, 1, v12
	v_cmp_lt_u32_e32 vcc, 13, v13
	v_mov_b32_e32 v15, 0
	s_and_saveexec_b64 s[12:13], vcc
	s_cbranch_execz .LBB71_38
; %bb.35:
	v_mov_b32_e32 v14, 0xf0
	v_and_b32_e32 v13, -8, v12
	v_lshl_add_u32 v14, v0, 2, v14
	s_mov_b32 s19, 0
	s_mov_b64 s[40:41], 0
.LBB71_36:                              ; =>This Inner Loop Header: Depth=1
	ds_read2st64_b32 v[16:17], v14 offset1:2
	ds_read2st64_b32 v[18:19], v14 offset0:4 offset1:6
	ds_read2st64_b32 v[20:21], v14 offset0:8 offset1:10
	;; [unrolled: 1-line block ×3, first 2 shown]
	v_add_u32_e32 v13, -8, v13
	s_waitcnt lgkmcnt(3)
	v_pk_mul_f32 v[16:17], v[2:3], v[16:17]
	s_waitcnt lgkmcnt(2)
	v_pk_mul_f32 v[18:19], v[2:3], v[18:19]
	ds_write2st64_b32 v14, v16, v17 offset1:2
	ds_write2st64_b32 v14, v18, v19 offset0:4 offset1:6
	ds_read2st64_b32 v[18:19], v14 offset0:16 offset1:18
	s_waitcnt lgkmcnt(4)
	v_pk_mul_f32 v[16:17], v[2:3], v[20:21]
	ds_write2st64_b32 v14, v16, v17 offset0:8 offset1:10
	s_waitcnt lgkmcnt(4)
	v_pk_mul_f32 v[16:17], v[2:3], v[22:23]
	ds_write2st64_b32 v14, v16, v17 offset0:12 offset1:14
	ds_read2st64_b32 v[16:17], v14 offset0:20 offset1:22
	s_waitcnt lgkmcnt(3)
	v_pk_mul_f32 v[18:19], v[2:3], v[18:19]
	ds_read2st64_b32 v[20:21], v14 offset0:24 offset1:26
	ds_write2st64_b32 v14, v18, v19 offset0:16 offset1:18
	ds_read2st64_b32 v[18:19], v14 offset0:28 offset1:30
	s_waitcnt lgkmcnt(3)
	v_pk_mul_f32 v[16:17], v[2:3], v[16:17]
	ds_write2st64_b32 v14, v16, v17 offset0:20 offset1:22
	s_waitcnt lgkmcnt(3)
	v_pk_mul_f32 v[16:17], v[2:3], v[20:21]
	ds_write2st64_b32 v14, v16, v17 offset0:24 offset1:26
	s_waitcnt lgkmcnt(2)
	v_pk_mul_f32 v[16:17], v[2:3], v[18:19]
	s_add_i32 s19, s19, 16
	v_cmp_eq_u32_e32 vcc, 0, v13
	ds_write2st64_b32 v14, v16, v17 offset0:28 offset1:30
	v_add_u32_e32 v14, 0x2000, v14
	s_or_b64 s[40:41], vcc, s[40:41]
	v_mov_b32_e32 v15, s19
	s_andn2_b64 exec, exec, s[40:41]
	s_cbranch_execnz .LBB71_36
; %bb.37:
	s_or_b64 exec, exec, s[40:41]
.LBB71_38:
	s_or_b64 exec, exec, s[12:13]
	v_and_b32_e32 v12, 7, v12
	v_cmp_ne_u32_e32 vcc, 0, v12
	s_and_saveexec_b64 s[12:13], vcc
	s_cbranch_execz .LBB71_41
; %bb.39:
	v_lshlrev_b32_e32 v13, 9, v15
	v_lshlrev_b32_e32 v14, 2, v0
	s_movk_i32 s19, 0xf0
	v_add3_u32 v13, v13, v14, s19
	s_mov_b64 s[40:41], 0
.LBB71_40:                              ; =>This Inner Loop Header: Depth=1
	ds_read2st64_b32 v[14:15], v13 offset1:2
	v_add_u32_e32 v12, -1, v12
	v_cmp_eq_u32_e32 vcc, 0, v12
	s_or_b64 s[40:41], vcc, s[40:41]
	s_waitcnt lgkmcnt(0)
	v_pk_mul_f32 v[14:15], v[2:3], v[14:15]
	ds_write2st64_b32 v13, v14, v15 offset1:2
	v_add_u32_e32 v13, 0x400, v13
	s_andn2_b64 exec, exec, s[40:41]
	s_cbranch_execnz .LBB71_40
.LBB71_41:
	s_or_b64 exec, exec, s[12:13]
	v_add_u32_e32 v9, 1, v9
	v_and_b32_e32 v12, 0x3fffffe, v9
	v_cmp_ne_u32_e32 vcc, v9, v12
	v_lshl_add_u32 v3, v12, 7, v0
	s_orn2_b64 s[12:13], vcc, exec
.LBB71_42:
	s_or_b64 exec, exec, s[10:11]
	s_and_b64 exec, exec, s[12:13]
	s_cbranch_execz .LBB71_45
; %bb.43:
	v_mov_b32_e32 v9, 0xf0
	v_lshl_add_u32 v9, v3, 2, v9
	s_mov_b64 s[10:11], 0
.LBB71_44:                              ; =>This Inner Loop Header: Depth=1
	ds_read_b32 v12, v9
	v_add_u32_e32 v3, 0x80, v3
	v_cmp_le_i32_e32 vcc, s7, v3
	s_or_b64 s[10:11], vcc, s[10:11]
	s_waitcnt lgkmcnt(0)
	v_mul_f32_e32 v12, v2, v12
	ds_write_b32 v9, v12
	v_add_u32_e32 v9, 0x200, v9
	s_andn2_b64 exec, exec, s[10:11]
	s_cbranch_execnz .LBB71_44
.LBB71_45:
	s_or_b64 exec, exec, s[4:5]
	s_mul_i32 s4, s15, s30
	v_cmp_eq_u32_e32 vcc, 0, v0
	s_mul_i32 s10, s4, s9
	s_waitcnt lgkmcnt(0)
	s_barrier
	s_and_saveexec_b64 s[4:5], vcc
	s_cbranch_execz .LBB71_47
; %bb.46:
	s_ashr_i32 s11, s10, 31
	s_lshl_b64 s[12:13], s[10:11], 2
	s_add_u32 s9, s26, s12
	s_mul_i32 s6, s15, s6
	s_addc_u32 s11, s27, s13
	s_ashr_i32 s7, s6, 31
	s_lshl_b64 s[6:7], s[6:7], 2
	s_add_u32 s19, s9, s6
	s_addc_u32 s11, s11, s7
	s_ashr_i32 s9, s8, 31
	s_lshl_b64 s[26:27], s[8:9], 2
	s_add_u32 s40, s19, s26
	s_addc_u32 s41, s11, s27
	s_add_u32 s9, s24, s12
	s_addc_u32 s11, s25, s13
	;; [unrolled: 2-line block ×3, first 2 shown]
	s_add_u32 s6, s6, s26
	v_mov_b32_e32 v2, 0
	s_addc_u32 s7, s7, s27
	global_store_dword v2, v5, s[40:41]
	global_store_dword v2, v8, s[6:7]
.LBB71_47:
	s_or_b64 exec, exec, s[4:5]
	v_mov_b32_e32 v13, 0
	v_mov_b32_e32 v12, 0
	s_and_saveexec_b64 s[6:7], s[2:3]
	s_cbranch_execz .LBB71_59
; %bb.48:
	s_ashr_i32 s19, s18, 31
	s_sub_i32 s9, s50, s21
	s_lshl_b64 s[2:3], s[18:19], 1
	s_add_u32 s21, s38, s2
	s_addc_u32 s24, s39, s3
	s_abs_i32 s22, s22
	v_cvt_f32_u32_e32 v5, s22
	v_or_b32_e32 v3, 64, v11
	s_movk_i32 s2, 0x70
	v_cmp_gt_u32_e32 vcc, s2, v3
	v_lshlrev_b32_e32 v16, 3, v3
	v_rcp_iflag_f32_e32 v3, v5
	s_sub_i32 s2, 0, s22
	s_add_i32 s25, s16, -1
	v_lshlrev_b64 v[8:9], 2, v[6:7]
	v_mul_f32_e32 v3, 0x4f7ffffe, v3
	v_cvt_u32_f32_e32 v3, v3
	v_lshlrev_b32_e32 v2, 3, v11
	s_mov_b32 s11, s17
	v_mov_b32_e32 v12, 0
	v_mul_lo_u32 v5, s2, v3
	s_lshl_b64 s[2:3], s[36:37], 2
	s_add_u32 s2, s34, s2
	v_mul_hi_u32 v5, v3, v5
	s_addc_u32 s3, s35, s3
	v_add_u32_e32 v14, v3, v5
	v_mov_b32_e32 v3, s3
	v_add_co_u32_e64 v8, s[2:3], s2, v8
	v_addc_co_u32_e64 v9, s[2:3], v3, v9, s[2:3]
	v_mov_b32_e32 v3, 0xf0
	s_mov_b32 s26, s31
	s_mov_b32 s27, s31
	;; [unrolled: 1-line block ×7, first 2 shown]
	v_lshl_add_u32 v7, v4, 5, v3
	s_mov_b64 s[12:13], 0
	v_lshlrev_b32_e32 v15, 1, v2
	s_mov_b32 s34, 0x5040100
	v_lshlrev_b32_e32 v16, 1, v16
	v_mov_b32_e32 v13, 0
	s_branch .LBB71_52
.LBB71_49:                              ;   in Loop: Header=BB71_52 Depth=1
	s_or_b64 exec, exec, s[4:5]
	s_waitcnt vmcnt(0)
	;;#ASMSTART
	v_pk_mul_f16 v2, v24, v2;

	;;#ASMEND
	;;#ASMSTART
	v_pk_mul_f16 v3, v23, v3;

	;;#ASMEND
	;; [unrolled: 4-line block ×4, first 2 shown]
	;;#ASMSTART
	v_pk_add_f16 v2, v2, v3;

	;;#ASMEND
	;;#ASMSTART
	v_pk_add_f16 v2, v2, v4;

	;;#ASMEND
	;; [unrolled: 4-line block ×3, first 2 shown]
	v_lshrrev_b32_e32 v3, 16, v2
	v_and_b32_e32 v2, 0xffff, v2
	;;#ASMSTART
	v_cvt_f32_f16 v2, v2;
	;;#ASMEND
	;;#ASMSTART
	v_cvt_f32_f16 v3, v3;
	;;#ASMEND
	v_add_f32_e32 v2, v2, v3
	v_add_f32_e32 v12, v12, v2
.LBB71_50:                              ;   in Loop: Header=BB71_52 Depth=1
	s_or_b64 exec, exec, s[18:19]
	v_add_f32_e32 v2, v17, v18
	v_add_f32_e32 v13, v13, v2
.LBB71_51:                              ;   in Loop: Header=BB71_52 Depth=1
	s_or_b64 exec, exec, s[16:17]
	v_add_co_u32_e64 v8, s[2:3], 8, v8
	v_add_u32_e32 v6, 2, v6
	v_addc_co_u32_e64 v9, s[2:3], 0, v9, s[2:3]
	v_cmp_le_i32_e64 s[2:3], s20, v6
	v_add_u32_e32 v10, 16, v10
	s_or_b64 s[12:13], s[2:3], s[12:13]
	v_add_u32_e32 v7, 64, v7
	s_andn2_b64 exec, exec, s[12:13]
	s_cbranch_execz .LBB71_58
.LBB71_52:                              ; =>This Inner Loop Header: Depth=1
	v_sub_u32_e32 v3, 0, v10
	v_max_i32_e32 v3, v10, v3
	v_mul_hi_u32 v4, v3, s48
	v_mul_lo_u32 v5, v4, s33
	v_sub_u32_e32 v3, v3, v5
	v_add_u32_e32 v5, 1, v4
	v_cmp_le_u32_e64 s[2:3], s33, v3
	v_cndmask_b32_e64 v4, v4, v5, s[2:3]
	v_subrev_u32_e32 v5, s33, v3
	v_cndmask_b32_e64 v3, v3, v5, s[2:3]
	v_ashrrev_i32_e32 v2, 31, v10
	v_add_u32_e32 v5, 1, v4
	v_cmp_le_u32_e64 s[2:3], s33, v3
	v_xor_b32_e32 v2, s23, v2
	v_cndmask_b32_e64 v3, v4, v5, s[2:3]
	v_xor_b32_e32 v3, v3, v2
	v_sub_u32_e32 v2, v3, v2
	v_add_u32_e32 v3, s49, v2
	v_sub_u32_e32 v5, 0, v3
	v_ashrrev_i32_e32 v4, 31, v3
	v_max_i32_e32 v3, v3, v5
	v_mul_hi_u32 v5, v3, v14
	v_mul_lo_u32 v5, v5, s22
	v_sub_u32_e32 v3, v3, v5
	v_subrev_u32_e32 v5, s22, v3
	v_cmp_le_u32_e64 s[2:3], s22, v3
	v_cndmask_b32_e64 v3, v3, v5, s[2:3]
	v_subrev_u32_e32 v5, s22, v3
	v_cmp_le_u32_e64 s[2:3], s22, v3
	v_cndmask_b32_e64 v3, v3, v5, s[2:3]
	v_xor_b32_e32 v3, v3, v4
	v_sub_u32_e32 v3, v3, v4
	v_cmp_eq_u32_e64 s[2:3], 0, v3
	v_cmp_lt_i32_e64 s[4:5], s9, v2
	s_or_b64 s[2:3], s[2:3], s[4:5]
	s_and_saveexec_b64 s[16:17], s[2:3]
	s_cbranch_execz .LBB71_51
; %bb.53:                               ;   in Loop: Header=BB71_52 Depth=1
	global_load_dword v20, v[8:9], off
	ds_read2_b64 v[2:5], v7 offset1:1
	ds_read2_b64 v[26:29], v7 offset0:2 offset1:3
	v_mov_b32_e32 v21, s24
	s_waitcnt lgkmcnt(1)
	;;#ASMSTART
	v_cvt_f16_f32 v17, v2;

	;;#ASMEND
	;;#ASMSTART
	v_cvt_f16_f32 v18, v3;

	;;#ASMEND
	;; [unrolled: 4-line block ×4, first 2 shown]
	s_waitcnt lgkmcnt(0)
	;;#ASMSTART
	v_cvt_f16_f32 v25, v26;

	;;#ASMEND
	;;#ASMSTART
	v_cvt_f16_f32 v26, v27;

	;;#ASMEND
	;; [unrolled: 4-line block ×4, first 2 shown]
	s_waitcnt vmcnt(0)
	v_mad_i64_i32 v[2:3], s[2:3], v20, s11, 0
	v_lshlrev_b64 v[2:3], 1, v[2:3]
	v_add_co_u32_e64 v20, s[2:3], s21, v2
	v_addc_co_u32_e64 v21, s[2:3], v21, v3, s[2:3]
	v_add_co_u32_e64 v2, s[2:3], v20, v15
	v_addc_co_u32_e64 v3, s[2:3], 0, v21, s[2:3]
	global_load_dwordx4 v[2:5], v[2:3], off
	v_cmp_eq_u32_e64 s[2:3], s25, v6
	s_and_saveexec_b64 s[18:19], s[2:3]
	s_cbranch_execz .LBB71_55
; %bb.54:                               ;   in Loop: Header=BB71_52 Depth=1
	v_or_b32_e32 v32, 7, v10
	v_or_b32_e32 v33, 6, v10
	s_waitcnt vmcnt(0)
	v_lshrrev_b32_e32 v34, 16, v5
	v_cmp_gt_i32_e64 s[4:5], s41, v32
	v_cndmask_b32_e64 v32, 0, v34, s[4:5]
	v_cmp_gt_i32_e64 s[4:5], s40, v33
	v_or_b32_e32 v30, 5, v10
	v_cndmask_b32_e64 v5, 0, v5, s[4:5]
	v_or_b32_e32 v31, 4, v10
	v_perm_b32 v5, v32, v5, s34
	v_lshrrev_b32_e32 v32, 16, v4
	v_cmp_gt_i32_e64 s[4:5], s39, v30
	v_cndmask_b32_e64 v30, 0, v32, s[4:5]
	v_cmp_gt_i32_e64 s[4:5], s38, v31
	v_or_b32_e32 v24, 3, v10
	v_cndmask_b32_e64 v4, 0, v4, s[4:5]
	v_or_b32_e32 v29, 2, v10
	v_perm_b32 v4, v30, v4, s34
	v_lshrrev_b32_e32 v30, 16, v3
	v_cmp_gt_i32_e64 s[4:5], s30, v24
	v_cndmask_b32_e64 v24, 0, v30, s[4:5]
	v_cmp_gt_i32_e64 s[4:5], s27, v29
	v_add_u32_e32 v23, 1, v10
	v_cndmask_b32_e64 v3, 0, v3, s[4:5]
	v_perm_b32 v3, v24, v3, s34
	v_lshrrev_b32_e32 v24, 16, v2
	v_cmp_gt_i32_e64 s[4:5], s26, v23
	v_cndmask_b32_e64 v23, 0, v24, s[4:5]
	v_cmp_gt_i32_e64 s[4:5], s31, v10
	v_cndmask_b32_e64 v2, 0, v2, s[4:5]
	v_perm_b32 v2, v23, v2, s34
.LBB71_55:                              ;   in Loop: Header=BB71_52 Depth=1
	s_or_b64 exec, exec, s[18:19]
	v_and_b32_e32 v17, 0xffff, v17
	v_lshl_or_b32 v24, v18, 16, v17
	v_and_b32_e32 v17, 0xffff, v19
	v_lshl_or_b32 v23, v22, 16, v17
	;; [unrolled: 2-line block ×3, first 2 shown]
	v_and_b32_e32 v17, 0xffff, v27
	s_waitcnt vmcnt(0)
	;;#ASMSTART
	v_pk_mul_f16 v2, v24, v2;

	;;#ASMEND
	v_lshl_or_b32 v19, v28, 16, v17
	;;#ASMSTART
	v_pk_mul_f16 v3, v23, v3;

	;;#ASMEND
	;;#ASMSTART
	v_pk_mul_f16 v4, v22, v4;

	;;#ASMEND
	;; [unrolled: 4-line block ×3, first 2 shown]
	;;#ASMSTART
	v_pk_add_f16 v2, v2, v3;

	;;#ASMEND
	;;#ASMSTART
	v_pk_add_f16 v2, v2, v4;

	;;#ASMEND
	;; [unrolled: 4-line block ×3, first 2 shown]
	v_lshrrev_b32_e32 v3, 16, v2
	v_and_b32_e32 v2, 0xffff, v2
	;;#ASMSTART
	v_cvt_f32_f16 v17, v2;
	;;#ASMEND
	;;#ASMSTART
	v_cvt_f32_f16 v18, v3;
	;;#ASMEND
	s_and_saveexec_b64 s[18:19], vcc
	s_cbranch_execz .LBB71_50
; %bb.56:                               ;   in Loop: Header=BB71_52 Depth=1
	v_add_co_u32_e64 v2, s[4:5], v20, v16
	v_addc_co_u32_e64 v3, s[4:5], 0, v21, s[4:5]
	global_load_dwordx4 v[2:5], v[2:3], off
	s_and_saveexec_b64 s[4:5], s[2:3]
	s_cbranch_execz .LBB71_49
; %bb.57:                               ;   in Loop: Header=BB71_52 Depth=1
	v_or_b32_e32 v28, 7, v10
	v_or_b32_e32 v29, 6, v10
	s_waitcnt vmcnt(0)
	v_lshrrev_b32_e32 v30, 16, v5
	v_cmp_gt_i32_e64 s[2:3], s41, v28
	v_cndmask_b32_e64 v28, 0, v30, s[2:3]
	v_cmp_gt_i32_e64 s[2:3], s40, v29
	v_or_b32_e32 v26, 5, v10
	v_cndmask_b32_e64 v5, 0, v5, s[2:3]
	v_or_b32_e32 v27, 4, v10
	v_perm_b32 v5, v28, v5, s34
	v_lshrrev_b32_e32 v28, 16, v4
	v_cmp_gt_i32_e64 s[2:3], s39, v26
	v_cndmask_b32_e64 v26, 0, v28, s[2:3]
	v_cmp_gt_i32_e64 s[2:3], s38, v27
	v_or_b32_e32 v21, 3, v10
	v_cndmask_b32_e64 v4, 0, v4, s[2:3]
	v_or_b32_e32 v25, 2, v10
	v_perm_b32 v4, v26, v4, s34
	v_lshrrev_b32_e32 v26, 16, v3
	v_cmp_gt_i32_e64 s[2:3], s30, v21
	v_cndmask_b32_e64 v21, 0, v26, s[2:3]
	v_cmp_gt_i32_e64 s[2:3], s27, v25
	v_add_u32_e32 v20, 1, v10
	v_cndmask_b32_e64 v3, 0, v3, s[2:3]
	v_perm_b32 v3, v21, v3, s34
	v_lshrrev_b32_e32 v21, 16, v2
	v_cmp_gt_i32_e64 s[2:3], s26, v20
	v_cndmask_b32_e64 v20, 0, v21, s[2:3]
	v_cmp_gt_i32_e64 s[2:3], s31, v10
	v_cndmask_b32_e64 v2, 0, v2, s[2:3]
	v_perm_b32 v2, v20, v2, s34
	s_branch .LBB71_49
.LBB71_58:
	s_or_b64 exec, exec, s[12:13]
.LBB71_59:
	s_or_b64 exec, exec, s[6:7]
	v_and_b32_e32 v2, 0x3c0, v0
	v_cmp_eq_u32_e32 vcc, 64, v2
	s_barrier
	s_and_saveexec_b64 s[2:3], vcc
	s_cbranch_execz .LBB71_62
; %bb.60:
	v_mov_b32_e32 v2, 0xf0
	v_lshl_add_u32 v3, v11, 2, v2
	ds_write_b32 v3, v13
	s_and_b64 exec, exec, s[0:1]
	s_cbranch_execz .LBB71_62
; %bb.61:
	v_lshl_add_u32 v2, v0, 2, v2
	ds_write_b32 v2, v12
.LBB71_62:
	s_or_b64 exec, exec, s[2:3]
	v_cmp_gt_u32_e32 vcc, 64, v0
	v_or_b32_e32 v2, 64, v0
	s_waitcnt lgkmcnt(0)
	s_barrier
	s_and_saveexec_b64 s[2:3], vcc
	s_cbranch_execz .LBB71_66
; %bb.63:
	v_mov_b32_e32 v3, 0xf0
	v_lshl_add_u32 v3, v0, 2, v3
	ds_read_b32 v0, v3
	s_movk_i32 s0, 0x70
	v_cmp_gt_u32_e64 s[0:1], s0, v2
	s_and_saveexec_b64 s[4:5], s[0:1]
	s_cbranch_execz .LBB71_65
; %bb.64:
	ds_read_b32 v3, v3 offset:256
	s_waitcnt lgkmcnt(0)
	v_add_f32_e32 v12, v12, v3
.LBB71_65:
	s_or_b64 exec, exec, s[4:5]
	s_waitcnt lgkmcnt(0)
	v_add_f32_e32 v13, v13, v0
.LBB71_66:
	s_or_b64 exec, exec, s[2:3]
	s_barrier
	s_and_saveexec_b64 s[0:1], vcc
	s_cbranch_execz .LBB71_69
; %bb.67:
	s_mul_i32 s0, s10, 0x70
	s_ashr_i32 s1, s0, 31
	s_lshl_b64 s[0:1], s[0:1], 1
	s_add_u32 s3, s28, s0
	s_mul_i32 s0, s15, s14
	s_addc_u32 s4, s29, s1
	s_ashr_i32 s1, s0, 31
	s_lshl_b64 s[0:1], s[0:1], 1
	s_add_u32 s3, s3, s0
	s_mul_i32 s0, s8, 0x70
	s_addc_u32 s4, s4, s1
	s_ashr_i32 s1, s0, 31
	s_lshl_b64 s[0:1], s[0:1], 1
	s_movk_i32 s2, 0x70
	s_add_u32 s0, s3, s0
	s_addc_u32 s1, s4, s1
	v_cmp_gt_u32_e32 vcc, s2, v2
	;;#ASMSTART
	v_cvt_f16_f32 v0, v13;

	;;#ASMEND
	global_store_short v1, v0, s[0:1]
	s_and_b64 exec, exec, vcc
	s_cbranch_execz .LBB71_69
; %bb.68:
	v_mov_b32_e32 v2, s1
	v_add_co_u32_e32 v0, vcc, s0, v1
	v_addc_co_u32_e32 v1, vcc, 0, v2, vcc
	;;#ASMSTART
	v_cvt_f16_f32 v2, v12;

	;;#ASMEND
	global_store_short v[0:1], v2, off offset:128
.LBB71_69:
	s_endpgm
	.section	.rodata,"a",@progbits
	.p2align	6, 0x0
	.amdhsa_kernel _ZN4vllm25paged_attention_v2_kernelIttLi112ELi8ELi128ELNS_18Fp8KVCacheDataTypeE0ELb1ELi512EEEvPfS2_PT_PKS3_PKT0_S9_ifPKiSB_iPKfiiiSD_SD_iiiii
		.amdhsa_group_segment_fixed_size 240
		.amdhsa_private_segment_fixed_size 0
		.amdhsa_kernarg_size 400
		.amdhsa_user_sgpr_count 6
		.amdhsa_user_sgpr_private_segment_buffer 1
		.amdhsa_user_sgpr_dispatch_ptr 0
		.amdhsa_user_sgpr_queue_ptr 0
		.amdhsa_user_sgpr_kernarg_segment_ptr 1
		.amdhsa_user_sgpr_dispatch_id 0
		.amdhsa_user_sgpr_flat_scratch_init 0
		.amdhsa_user_sgpr_kernarg_preload_length 0
		.amdhsa_user_sgpr_kernarg_preload_offset 0
		.amdhsa_user_sgpr_private_segment_size 0
		.amdhsa_uses_dynamic_stack 0
		.amdhsa_system_sgpr_private_segment_wavefront_offset 0
		.amdhsa_system_sgpr_workgroup_id_x 1
		.amdhsa_system_sgpr_workgroup_id_y 1
		.amdhsa_system_sgpr_workgroup_id_z 1
		.amdhsa_system_sgpr_workgroup_info 0
		.amdhsa_system_vgpr_workitem_id 0
		.amdhsa_next_free_vgpr 51
		.amdhsa_next_free_sgpr 54
		.amdhsa_accum_offset 52
		.amdhsa_reserve_vcc 1
		.amdhsa_reserve_flat_scratch 0
		.amdhsa_float_round_mode_32 0
		.amdhsa_float_round_mode_16_64 0
		.amdhsa_float_denorm_mode_32 3
		.amdhsa_float_denorm_mode_16_64 3
		.amdhsa_dx10_clamp 1
		.amdhsa_ieee_mode 1
		.amdhsa_fp16_overflow 0
		.amdhsa_tg_split 0
		.amdhsa_exception_fp_ieee_invalid_op 0
		.amdhsa_exception_fp_denorm_src 0
		.amdhsa_exception_fp_ieee_div_zero 0
		.amdhsa_exception_fp_ieee_overflow 0
		.amdhsa_exception_fp_ieee_underflow 0
		.amdhsa_exception_fp_ieee_inexact 0
		.amdhsa_exception_int_div_zero 0
	.end_amdhsa_kernel
	.section	.text._ZN4vllm25paged_attention_v2_kernelIttLi112ELi8ELi128ELNS_18Fp8KVCacheDataTypeE0ELb1ELi512EEEvPfS2_PT_PKS3_PKT0_S9_ifPKiSB_iPKfiiiSD_SD_iiiii,"axG",@progbits,_ZN4vllm25paged_attention_v2_kernelIttLi112ELi8ELi128ELNS_18Fp8KVCacheDataTypeE0ELb1ELi512EEEvPfS2_PT_PKS3_PKT0_S9_ifPKiSB_iPKfiiiSD_SD_iiiii,comdat
.Lfunc_end71:
	.size	_ZN4vllm25paged_attention_v2_kernelIttLi112ELi8ELi128ELNS_18Fp8KVCacheDataTypeE0ELb1ELi512EEEvPfS2_PT_PKS3_PKT0_S9_ifPKiSB_iPKfiiiSD_SD_iiiii, .Lfunc_end71-_ZN4vllm25paged_attention_v2_kernelIttLi112ELi8ELi128ELNS_18Fp8KVCacheDataTypeE0ELb1ELi512EEEvPfS2_PT_PKS3_PKT0_S9_ifPKiSB_iPKfiiiSD_SD_iiiii
                                        ; -- End function
	.section	.AMDGPU.csdata,"",@progbits
; Kernel info:
; codeLenInByte = 5452
; NumSgprs: 58
; NumVgprs: 51
; NumAgprs: 0
; TotalNumVgprs: 51
; ScratchSize: 0
; MemoryBound: 0
; FloatMode: 240
; IeeeMode: 1
; LDSByteSize: 240 bytes/workgroup (compile time only)
; SGPRBlocks: 7
; VGPRBlocks: 6
; NumSGPRsForWavesPerEU: 58
; NumVGPRsForWavesPerEU: 51
; AccumOffset: 52
; Occupancy: 8
; WaveLimiterHint : 1
; COMPUTE_PGM_RSRC2:SCRATCH_EN: 0
; COMPUTE_PGM_RSRC2:USER_SGPR: 6
; COMPUTE_PGM_RSRC2:TRAP_HANDLER: 0
; COMPUTE_PGM_RSRC2:TGID_X_EN: 1
; COMPUTE_PGM_RSRC2:TGID_Y_EN: 1
; COMPUTE_PGM_RSRC2:TGID_Z_EN: 1
; COMPUTE_PGM_RSRC2:TIDIG_COMP_CNT: 0
; COMPUTE_PGM_RSRC3_GFX90A:ACCUM_OFFSET: 12
; COMPUTE_PGM_RSRC3_GFX90A:TG_SPLIT: 0
	.section	.text._ZN4vllm32paged_attention_v2_reduce_kernelItLi112ELi128ELi512EEEvPT_PKfS4_PKS1_PKii,"axG",@progbits,_ZN4vllm32paged_attention_v2_reduce_kernelItLi112ELi128ELi512EEEvPT_PKfS4_PKS1_PKii,comdat
	.protected	_ZN4vllm32paged_attention_v2_reduce_kernelItLi112ELi128ELi512EEEvPT_PKfS4_PKS1_PKii ; -- Begin function _ZN4vllm32paged_attention_v2_reduce_kernelItLi112ELi128ELi512EEEvPT_PKfS4_PKS1_PKii
	.globl	_ZN4vllm32paged_attention_v2_reduce_kernelItLi112ELi128ELi512EEEvPT_PKfS4_PKS1_PKii
	.p2align	8
	.type	_ZN4vllm32paged_attention_v2_reduce_kernelItLi112ELi128ELi512EEEvPT_PKfS4_PKS1_PKii,@function
_ZN4vllm32paged_attention_v2_reduce_kernelItLi112ELi128ELi512EEEvPT_PKfS4_PKS1_PKii: ; @_ZN4vllm32paged_attention_v2_reduce_kernelItLi112ELi128ELi512EEEvPT_PKfS4_PKS1_PKii
; %bb.0:
	s_load_dwordx4 s[8:11], s[4:5], 0x18
	s_add_u32 s12, s4, 48
	s_mov_b32 s14, s7
	s_addc_u32 s13, s5, 0
	s_ashr_i32 s15, s7, 31
	s_lshl_b64 s[0:1], s[14:15], 2
	s_waitcnt lgkmcnt(0)
	s_add_u32 s0, s10, s0
	s_addc_u32 s1, s11, s1
	s_load_dword s24, s[0:1], 0x0
	s_load_dwordx2 s[10:11], s[4:5], 0x0
	s_load_dword s7, s[4:5], 0x28
	s_load_dword s15, s[4:5], 0x30
	s_waitcnt lgkmcnt(0)
	s_add_i32 s0, s24, -1
	s_cmpk_gt_u32 s0, 0x1ff
	s_mov_b64 s[0:1], -1
	s_cbranch_scc0 .LBB72_25
; %bb.1:
	s_add_i32 s0, s24, 0x1ff
	s_load_dwordx2 s[20:21], s[4:5], 0x8
	s_ashr_i32 s1, s0, 31
	s_lshr_b32 s1, s1, 23
	s_add_i32 s0, s0, s1
	s_mul_i32 s22, s15, s14
	s_ashr_i32 s23, s0, 9
	s_mul_i32 s16, s22, s7
	s_mul_i32 s18, s6, s7
	s_ashr_i32 s17, s16, 31
	s_ashr_i32 s19, s18, 31
	v_cmp_gt_i32_e32 vcc, s23, v0
	v_mov_b32_e32 v5, 0xff7fffff
	v_lshlrev_b32_e32 v1, 2, v0
	s_and_saveexec_b64 s[2:3], vcc
	s_cbranch_execz .LBB72_5
; %bb.2:
	s_load_dword s25, s[12:13], 0xc
	s_load_dwordx2 s[0:1], s[4:5], 0x10
	s_lshl_b64 s[4:5], s[16:17], 2
	s_lshl_b64 s[26:27], s[18:19], 2
	s_mov_b32 s28, 0
	s_waitcnt lgkmcnt(0)
	s_and_b32 s25, s25, 0xffff
	s_add_u32 s4, s4, s26
	s_addc_u32 s5, s5, s27
	s_add_u32 s0, s0, s4
	s_addc_u32 s1, s1, s5
	v_mov_b32_e32 v3, s1
	v_add_co_u32_e64 v2, s[0:1], s0, v1
	v_addc_co_u32_e64 v3, s[0:1], 0, v3, s[0:1]
	s_lshl_b32 s26, s25, 2
	v_add_u32_e32 v4, 16, v1
	s_mov_b64 s[4:5], 0
	v_mov_b32_e32 v5, 0xff7fffff
	v_mov_b32_e32 v6, s28
	;; [unrolled: 1-line block ×3, first 2 shown]
.LBB72_3:                               ; =>This Inner Loop Header: Depth=1
	global_load_dword v8, v[2:3], off
	v_add_co_u32_e64 v2, s[0:1], s26, v2
	v_add_u32_e32 v7, s25, v7
	v_addc_co_u32_e64 v3, s[0:1], v3, v6, s[0:1]
	v_max_f32_e32 v5, v5, v5
	v_cmp_le_i32_e64 s[0:1], s23, v7
	s_or_b64 s[4:5], s[0:1], s[4:5]
	s_waitcnt vmcnt(0)
	ds_write_b32 v4, v8
	v_max_f32_e32 v8, v8, v8
	v_add_u32_e32 v4, s26, v4
	v_max_f32_e32 v5, v5, v8
	s_andn2_b64 exec, exec, s[4:5]
	s_cbranch_execnz .LBB72_3
; %bb.4:
	s_or_b64 exec, exec, s[4:5]
.LBB72_5:
	s_or_b64 exec, exec, s[2:3]
	v_mbcnt_lo_u32_b32 v2, -1, 0
	v_mbcnt_hi_u32_b32 v2, -1, v2
	v_and_b32_e32 v3, 64, v2
	v_add_u32_e32 v6, 64, v3
	v_xor_b32_e32 v3, 32, v2
	v_cmp_lt_i32_e64 s[0:1], v3, v6
	v_cndmask_b32_e64 v3, v2, v3, s[0:1]
	v_lshlrev_b32_e32 v4, 2, v3
	ds_bpermute_b32 v3, v4, v5
	v_xor_b32_e32 v7, 16, v2
	v_max_f32_e32 v5, v5, v5
	v_cmp_lt_i32_e64 s[0:1], v7, v6
	v_xor_b32_e32 v8, 8, v2
	s_waitcnt lgkmcnt(0)
	v_max_f32_e32 v3, v3, v3
	v_max_f32_e32 v3, v5, v3
	v_cndmask_b32_e64 v5, v2, v7, s[0:1]
	v_lshlrev_b32_e32 v5, 2, v5
	ds_bpermute_b32 v7, v5, v3
	v_cmp_lt_i32_e64 s[0:1], v8, v6
	v_xor_b32_e32 v9, 4, v2
	v_xor_b32_e32 v10, 2, v2
	v_lshrrev_b32_e32 v13, 6, v0
	s_waitcnt lgkmcnt(0)
	v_max_f32_e32 v7, v7, v7
	v_max_f32_e32 v3, v3, v7
	v_cndmask_b32_e64 v7, v2, v8, s[0:1]
	v_lshlrev_b32_e32 v7, 2, v7
	ds_bpermute_b32 v8, v7, v3
	v_cmp_lt_i32_e64 s[0:1], v9, v6
	s_waitcnt lgkmcnt(0)
	s_barrier
	v_max_f32_e32 v8, v8, v8
	v_max_f32_e32 v3, v3, v8
	v_cndmask_b32_e64 v8, v2, v9, s[0:1]
	v_lshlrev_b32_e32 v8, 2, v8
	ds_bpermute_b32 v9, v8, v3
	v_cmp_lt_i32_e64 s[0:1], v10, v6
	s_waitcnt lgkmcnt(0)
	v_max_f32_e32 v9, v9, v9
	v_max_f32_e32 v11, v3, v9
	v_cndmask_b32_e64 v3, v2, v10, s[0:1]
	v_lshlrev_b32_e32 v9, 2, v3
	ds_bpermute_b32 v10, v9, v11
	v_and_b32_e32 v3, 63, v0
	s_waitcnt lgkmcnt(0)
	v_max_f32_e32 v10, v10, v10
	v_max_f32_e32 v11, v11, v10
	v_xor_b32_e32 v10, 1, v2
	v_cmp_lt_i32_e64 s[0:1], v10, v6
	v_cndmask_b32_e64 v6, v2, v10, s[0:1]
	v_lshlrev_b32_e32 v6, 2, v6
	ds_bpermute_b32 v12, v6, v11
	v_cmp_eq_u32_e64 s[0:1], 0, v3
	v_lshlrev_b32_e32 v10, 2, v13
	s_and_saveexec_b64 s[2:3], s[0:1]
	s_cbranch_execz .LBB72_7
; %bb.6:
	s_waitcnt lgkmcnt(0)
	v_max_f32_e32 v12, v12, v12
	v_max_f32_e32 v11, v11, v11
	;; [unrolled: 1-line block ×3, first 2 shown]
	ds_write_b32 v10, v11
.LBB72_7:
	s_or_b64 exec, exec, s[2:3]
	v_cmp_gt_u32_e64 s[2:3], 2, v3
	s_waitcnt lgkmcnt(0)
	v_mov_b32_e32 v12, 0xff7fffff
	v_lshlrev_b32_e32 v11, 2, v3
	s_barrier
	s_and_saveexec_b64 s[4:5], s[2:3]
	s_cbranch_execz .LBB72_9
; %bb.8:
	ds_read_b32 v12, v11
.LBB72_9:
	s_or_b64 exec, exec, s[4:5]
	s_waitcnt lgkmcnt(0)
	ds_bpermute_b32 v3, v6, v12
	v_max_f32_e32 v12, v12, v12
	v_lshlrev_b32_e32 v2, 2, v2
	s_lshl_b32 s25, s23, 2
	v_mov_b32_e32 v14, 0
	s_waitcnt lgkmcnt(0)
	v_max_f32_e32 v3, v3, v3
	v_max_f32_e32 v3, v12, v3
	v_and_b32_e32 v12, 0x100, v2
	ds_bpermute_b32 v13, v12, v3
	s_and_saveexec_b64 s[4:5], vcc
	s_cbranch_execz .LBB72_13
; %bb.10:
	s_load_dword s30, s[12:13], 0xc
	s_lshl_b64 s[26:27], s[16:17], 2
	s_lshl_b64 s[28:29], s[18:19], 2
	s_mov_b32 s31, 0
	v_mov_b32_e32 v14, 0
	s_waitcnt lgkmcnt(0)
	s_and_b32 s17, s30, 0xffff
	s_add_u32 s19, s26, s28
	s_addc_u32 s26, s27, s29
	s_add_u32 s19, s20, s19
	s_addc_u32 s20, s21, s26
	v_mov_b32_e32 v3, s20
	v_add_co_u32_e32 v2, vcc, s19, v1
	v_addc_co_u32_e32 v3, vcc, 0, v3, vcc
	s_lshl_b32 s19, s17, 2
	v_add_u32_e32 v1, 16, v1
	s_mov_b64 s[20:21], 0
	s_mov_b32 s26, 0x3fb8aa3b
	s_mov_b32 s27, 0xc2ce8ed0
	;; [unrolled: 1-line block ×3, first 2 shown]
	v_mov_b32_e32 v15, 0x7f800000
	v_mov_b32_e32 v16, s31
	;; [unrolled: 1-line block ×3, first 2 shown]
.LBB72_11:                              ; =>This Inner Loop Header: Depth=1
	global_load_dword v18, v[2:3], off
	ds_read_b32 v19, v1
	v_add_co_u32_e32 v2, vcc, s19, v2
	v_add_u32_e32 v17, s17, v17
	v_addc_co_u32_e32 v3, vcc, v3, v16, vcc
	s_waitcnt lgkmcnt(0)
	v_sub_f32_e32 v19, v19, v13
	v_mul_f32_e32 v21, 0x3fb8aa3b, v19
	v_fma_f32 v22, v19, s26, -v21
	v_rndne_f32_e32 v23, v21
	v_fmac_f32_e32 v22, 0x32a5705f, v19
	v_sub_f32_e32 v21, v21, v23
	v_add_f32_e32 v21, v21, v22
	v_cvt_i32_f32_e32 v23, v23
	v_exp_f32_e32 v21, v21
	v_cmp_le_i32_e32 vcc, s23, v17
	s_or_b64 s[20:21], vcc, s[20:21]
	v_cmp_ngt_f32_e32 vcc, s27, v19
	v_ldexp_f32 v21, v21, v23
	v_cndmask_b32_e32 v21, 0, v21, vcc
	v_cmp_nlt_f32_e32 vcc, s28, v19
	v_cndmask_b32_e32 v19, v15, v21, vcc
	v_add_u32_e32 v20, s25, v1
	v_add_u32_e32 v1, s19, v1
	s_waitcnt vmcnt(0)
	v_mul_f32_e32 v21, v18, v19
	v_fmac_f32_e32 v14, v18, v19
	ds_write_b32 v20, v21
	s_andn2_b64 exec, exec, s[20:21]
	s_cbranch_execnz .LBB72_11
; %bb.12:
	s_or_b64 exec, exec, s[20:21]
.LBB72_13:
	s_or_b64 exec, exec, s[4:5]
	ds_bpermute_b32 v1, v4, v14
	s_waitcnt lgkmcnt(0)
	s_barrier
	v_add_f32_e32 v1, v14, v1
	ds_bpermute_b32 v2, v5, v1
	s_waitcnt lgkmcnt(0)
	v_add_f32_e32 v1, v1, v2
	ds_bpermute_b32 v2, v7, v1
	s_waitcnt lgkmcnt(0)
	;; [unrolled: 3-line block ×5, first 2 shown]
	v_add_f32_e32 v1, v1, v2
	s_and_saveexec_b64 s[4:5], s[0:1]
	s_cbranch_execz .LBB72_15
; %bb.14:
	ds_write_b32 v10, v1 offset:8
.LBB72_15:
	s_or_b64 exec, exec, s[4:5]
	s_waitcnt lgkmcnt(0)
	s_barrier
	s_and_saveexec_b64 s[0:1], s[2:3]
	s_cbranch_execz .LBB72_17
; %bb.16:
	ds_read_b32 v1, v11 offset:8
.LBB72_17:
	s_or_b64 exec, exec, s[0:1]
	s_waitcnt lgkmcnt(0)
	ds_bpermute_b32 v2, v6, v1
	s_movk_i32 s0, 0x70
	v_cmp_gt_u32_e32 vcc, s0, v0
	s_waitcnt lgkmcnt(0)
	v_add_f32_e32 v1, v1, v2
	ds_bpermute_b32 v2, v12, v1
	s_and_saveexec_b64 s[0:1], vcc
	s_cbranch_execz .LBB72_24
; %bb.18:
	s_cmp_gt_i32 s24, 0
	s_mov_b32 s4, 0
	s_cbranch_scc1 .LBB72_20
; %bb.19:
	v_mov_b32_e32 v1, 0
	v_mov_b32_e32 v4, s4
	s_cbranch_execz .LBB72_21
	s_branch .LBB72_23
.LBB72_20:
                                        ; implicit-def: $sgpr4
	v_mov_b32_e32 v4, s4
.LBB72_21:
	s_waitcnt lgkmcnt(0)
	v_add_f32_e32 v1, 0x358637bd, v2
	v_div_scale_f32 v2, s[2:3], v1, v1, 1.0
	v_rcp_f32_e32 v3, v2
	s_mul_i32 s4, s16, 0x70
	s_mul_i32 s16, s18, 0x70
	s_ashr_i32 s5, s4, 31
	v_fma_f32 v4, -v2, v3, 1.0
	v_fmac_f32_e32 v3, v4, v3
	v_div_scale_f32 v4, vcc, 1.0, v1, 1.0
	v_mul_f32_e32 v5, v4, v3
	s_ashr_i32 s17, s16, 31
	s_max_i32 s2, s23, 1
	v_fma_f32 v6, -v2, v5, v4
	s_add_i32 s3, s25, 16
	s_lshl_b64 s[4:5], s[4:5], 1
	s_lshl_b64 s[16:17], s[16:17], 1
	v_fmac_f32_e32 v5, v6, v3
	s_add_u32 s4, s4, s16
	v_fma_f32 v2, -v2, v5, v4
	s_addc_u32 s5, s5, s17
	v_div_fmas_f32 v2, v2, v3, v5
	s_add_u32 s4, s8, s4
	v_div_fixup_f32 v5, v2, v1, 1.0
	v_lshlrev_b32_e32 v2, 1, v0
	s_addc_u32 s5, s9, s5
	v_mov_b32_e32 v1, 0
	v_mov_b32_e32 v3, s5
	v_add_co_u32_e32 v2, vcc, s4, v2
	v_addc_co_u32_e32 v3, vcc, 0, v3, vcc
	v_mov_b32_e32 v4, v1
.LBB72_22:                              ; =>This Inner Loop Header: Depth=1
	global_load_ushort v6, v[2:3], off
	v_mov_b32_e32 v7, s3
	s_waitcnt vmcnt(0)
	;;#ASMSTART
	v_cvt_f32_f16 v6, v6;
	;;#ASMEND
	ds_read_b32 v7, v7
	s_add_i32 s2, s2, -1
	v_add_co_u32_e32 v2, vcc, 0xe0, v2
	s_add_i32 s3, s3, 4
	s_waitcnt lgkmcnt(0)
	v_mul_f32_e32 v6, v6, v7
	v_addc_co_u32_e32 v3, vcc, 0, v3, vcc
	s_cmp_eq_u32 s2, 0
	v_fmac_f32_e32 v4, v5, v6
	s_cbranch_scc0 .LBB72_22
.LBB72_23:
	s_mul_i32 s2, s22, 0x70
	s_ashr_i32 s3, s2, 31
	s_lshl_b64 s[2:3], s[2:3], 1
	s_add_u32 s4, s10, s2
	s_mul_i32 s2, s6, 0x70
	s_addc_u32 s5, s11, s3
	s_ashr_i32 s3, s2, 31
	s_lshl_b64 s[2:3], s[2:3], 1
	s_add_u32 s2, s4, s2
	s_addc_u32 s3, s5, s3
	s_waitcnt lgkmcnt(0)
	v_lshlrev_b64 v[2:3], 1, v[0:1]
	v_mov_b32_e32 v1, s3
	v_add_co_u32_e32 v2, vcc, s2, v2
	v_addc_co_u32_e32 v3, vcc, v1, v3, vcc
	;;#ASMSTART
	v_cvt_f16_f32 v1, v4;

	;;#ASMEND
	global_store_short v[2:3], v1, off
.LBB72_24:
	s_or_b64 exec, exec, s[0:1]
	s_mov_b64 s[0:1], 0
.LBB72_25:
	s_and_b64 vcc, exec, s[0:1]
	s_cbranch_vccz .LBB72_34
; %bb.26:
	s_movk_i32 s0, 0x70
	v_cmp_gt_u32_e32 vcc, s0, v0
	s_and_saveexec_b64 s[2:3], vcc
	s_cbranch_execz .LBB72_34
; %bb.27:
	s_mul_i32 s1, s15, s14
	s_mul_i32 s2, s1, 0x70
	s_ashr_i32 s3, s2, 31
	s_lshl_b64 s[4:5], s[2:3], 1
	s_add_u32 s1, s10, s4
	s_mul_i32 s14, s6, 0x70
	s_addc_u32 s3, s11, s5
	s_ashr_i32 s15, s14, 31
	s_lshl_b64 s[4:5], s[14:15], 1
	s_add_u32 s4, s1, s4
	s_mul_i32 s2, s2, s7
	s_addc_u32 s10, s3, s5
	s_ashr_i32 s3, s2, 31
	s_lshl_b64 s[2:3], s[2:3], 1
	s_add_u32 s1, s8, s2
	s_load_dword s8, s[12:13], 0xc
	s_mul_i32 s2, s14, s7
	s_addc_u32 s6, s9, s3
	s_ashr_i32 s3, s2, 31
	s_lshl_b64 s[2:3], s[2:3], 1
	s_add_u32 s5, s1, s2
	s_addc_u32 s7, s6, s3
	s_waitcnt lgkmcnt(0)
	s_and_b32 s6, s8, 0xffff
	v_cvt_f32_u32_e32 v1, s6
	v_add_u32_e32 v2, s6, v0
	v_mov_b32_e32 v4, s6
	v_cmp_gt_u32_e32 vcc, s0, v2
	v_rcp_iflag_f32_e32 v1, v1
	s_cmp_eq_u32 s6, 1
	v_max_u32_e32 v3, 0x70, v2
	v_addc_co_u32_e64 v2, s[0:1], v0, v4, vcc
	v_mul_f32_e32 v1, 0x4f7ffffe, v1
	v_cvt_u32_f32_e32 v1, v1
	s_cselect_b64 s[2:3], -1, 0
	s_sub_i32 s0, 0, s6
	v_sub_u32_e32 v2, v3, v2
	v_mul_lo_u32 v3, s0, v1
	v_mul_hi_u32 v3, v1, v3
	v_add_u32_e32 v1, v1, v3
	v_mul_hi_u32 v1, v2, v1
	v_mul_lo_u32 v3, v1, s6
	v_sub_u32_e32 v2, v2, v3
	v_add_u32_e32 v3, 1, v1
	v_cmp_le_u32_e64 s[0:1], s6, v2
	v_cndmask_b32_e64 v1, v1, v3, s[0:1]
	v_subrev_u32_e32 v3, s6, v2
	v_cndmask_b32_e64 v2, v2, v3, s[0:1]
	v_add_u32_e32 v3, 1, v1
	v_cmp_le_u32_e64 s[0:1], s6, v2
	v_cndmask_b32_e64 v1, v1, v3, s[0:1]
	v_addc_co_u32_e32 v1, vcc, 1, v1, vcc
	v_cmp_lt_u32_e32 vcc, 7, v1
	s_and_b64 s[8:9], vcc, s[2:3]
	s_mov_b64 s[2:3], -1
	s_and_saveexec_b64 s[0:1], s[8:9]
	s_cbranch_execz .LBB72_31
; %bb.28:
	v_and_b32_e32 v4, -8, v1
	s_mov_b64 s[2:3], 0
	v_mov_b32_e32 v3, 0
	v_mov_b32_e32 v5, s7
	;; [unrolled: 1-line block ×5, first 2 shown]
.LBB72_29:                              ; =>This Inner Loop Header: Depth=1
	v_lshlrev_b64 v[12:13], 1, v[2:3]
	v_add_co_u32_e32 v8, vcc, s5, v12
	v_addc_co_u32_e32 v9, vcc, v5, v13, vcc
	global_load_dwordx4 v[8:11], v[8:9], off
	v_add_co_u32_e32 v12, vcc, s4, v12
	v_add_u32_e32 v7, -8, v7
	v_addc_co_u32_e32 v13, vcc, v6, v13, vcc
	v_cmp_eq_u32_e32 vcc, 0, v7
	v_add_u32_e32 v2, 8, v2
	s_or_b64 s[2:3], vcc, s[2:3]
	s_waitcnt vmcnt(0)
	global_store_dwordx4 v[12:13], v[8:11], off
	s_andn2_b64 exec, exec, s[2:3]
	s_cbranch_execnz .LBB72_29
; %bb.30:
	s_or_b64 exec, exec, s[2:3]
	v_cmp_ne_u32_e32 vcc, v1, v4
	v_add_u32_e32 v0, v0, v4
	s_orn2_b64 s[2:3], vcc, exec
.LBB72_31:
	s_or_b64 exec, exec, s[0:1]
	s_and_b64 exec, exec, s[2:3]
	s_cbranch_execz .LBB72_34
; %bb.32:
	s_mov_b32 s3, 0
	v_mov_b32_e32 v1, 0
	v_lshlrev_b64 v[2:3], 1, v[0:1]
	s_lshl_b32 s2, s6, 1
	s_mov_b64 s[0:1], 0
	v_mov_b32_e32 v1, s7
	v_mov_b32_e32 v4, s10
	;; [unrolled: 1-line block ×3, first 2 shown]
	s_movk_i32 s3, 0x6f
.LBB72_33:                              ; =>This Inner Loop Header: Depth=1
	v_add_co_u32_e32 v6, vcc, s5, v2
	v_addc_co_u32_e32 v7, vcc, v1, v3, vcc
	global_load_ushort v8, v[6:7], off
	v_add_co_u32_e32 v6, vcc, s4, v2
	v_addc_co_u32_e32 v7, vcc, v4, v3, vcc
	v_add_co_u32_e32 v2, vcc, s2, v2
	v_add_u32_e32 v0, s6, v0
	v_addc_co_u32_e32 v3, vcc, v3, v5, vcc
	v_cmp_lt_u32_e32 vcc, s3, v0
	s_or_b64 s[0:1], vcc, s[0:1]
	s_waitcnt vmcnt(0)
	global_store_short v[6:7], v8, off
	s_andn2_b64 exec, exec, s[0:1]
	s_cbranch_execnz .LBB72_33
.LBB72_34:
	s_endpgm
	.section	.rodata,"a",@progbits
	.p2align	6, 0x0
	.amdhsa_kernel _ZN4vllm32paged_attention_v2_reduce_kernelItLi112ELi128ELi512EEEvPT_PKfS4_PKS1_PKii
		.amdhsa_group_segment_fixed_size 16
		.amdhsa_private_segment_fixed_size 0
		.amdhsa_kernarg_size 304
		.amdhsa_user_sgpr_count 6
		.amdhsa_user_sgpr_private_segment_buffer 1
		.amdhsa_user_sgpr_dispatch_ptr 0
		.amdhsa_user_sgpr_queue_ptr 0
		.amdhsa_user_sgpr_kernarg_segment_ptr 1
		.amdhsa_user_sgpr_dispatch_id 0
		.amdhsa_user_sgpr_flat_scratch_init 0
		.amdhsa_user_sgpr_kernarg_preload_length 0
		.amdhsa_user_sgpr_kernarg_preload_offset 0
		.amdhsa_user_sgpr_private_segment_size 0
		.amdhsa_uses_dynamic_stack 0
		.amdhsa_system_sgpr_private_segment_wavefront_offset 0
		.amdhsa_system_sgpr_workgroup_id_x 1
		.amdhsa_system_sgpr_workgroup_id_y 1
		.amdhsa_system_sgpr_workgroup_id_z 0
		.amdhsa_system_sgpr_workgroup_info 0
		.amdhsa_system_vgpr_workitem_id 0
		.amdhsa_next_free_vgpr 24
		.amdhsa_next_free_sgpr 32
		.amdhsa_accum_offset 24
		.amdhsa_reserve_vcc 1
		.amdhsa_reserve_flat_scratch 0
		.amdhsa_float_round_mode_32 0
		.amdhsa_float_round_mode_16_64 0
		.amdhsa_float_denorm_mode_32 3
		.amdhsa_float_denorm_mode_16_64 3
		.amdhsa_dx10_clamp 1
		.amdhsa_ieee_mode 1
		.amdhsa_fp16_overflow 0
		.amdhsa_tg_split 0
		.amdhsa_exception_fp_ieee_invalid_op 0
		.amdhsa_exception_fp_denorm_src 0
		.amdhsa_exception_fp_ieee_div_zero 0
		.amdhsa_exception_fp_ieee_overflow 0
		.amdhsa_exception_fp_ieee_underflow 0
		.amdhsa_exception_fp_ieee_inexact 0
		.amdhsa_exception_int_div_zero 0
	.end_amdhsa_kernel
	.section	.text._ZN4vllm32paged_attention_v2_reduce_kernelItLi112ELi128ELi512EEEvPT_PKfS4_PKS1_PKii,"axG",@progbits,_ZN4vllm32paged_attention_v2_reduce_kernelItLi112ELi128ELi512EEEvPT_PKfS4_PKS1_PKii,comdat
.Lfunc_end72:
	.size	_ZN4vllm32paged_attention_v2_reduce_kernelItLi112ELi128ELi512EEEvPT_PKfS4_PKS1_PKii, .Lfunc_end72-_ZN4vllm32paged_attention_v2_reduce_kernelItLi112ELi128ELi512EEEvPT_PKfS4_PKS1_PKii
                                        ; -- End function
	.section	.AMDGPU.csdata,"",@progbits
; Kernel info:
; codeLenInByte = 2184
; NumSgprs: 36
; NumVgprs: 24
; NumAgprs: 0
; TotalNumVgprs: 24
; ScratchSize: 0
; MemoryBound: 0
; FloatMode: 240
; IeeeMode: 1
; LDSByteSize: 16 bytes/workgroup (compile time only)
; SGPRBlocks: 4
; VGPRBlocks: 2
; NumSGPRsForWavesPerEU: 36
; NumVGPRsForWavesPerEU: 24
; AccumOffset: 24
; Occupancy: 8
; WaveLimiterHint : 0
; COMPUTE_PGM_RSRC2:SCRATCH_EN: 0
; COMPUTE_PGM_RSRC2:USER_SGPR: 6
; COMPUTE_PGM_RSRC2:TRAP_HANDLER: 0
; COMPUTE_PGM_RSRC2:TGID_X_EN: 1
; COMPUTE_PGM_RSRC2:TGID_Y_EN: 1
; COMPUTE_PGM_RSRC2:TGID_Z_EN: 0
; COMPUTE_PGM_RSRC2:TIDIG_COMP_CNT: 0
; COMPUTE_PGM_RSRC3_GFX90A:ACCUM_OFFSET: 5
; COMPUTE_PGM_RSRC3_GFX90A:TG_SPLIT: 0
	.section	.text._ZN4vllm25paged_attention_v2_kernelIttLi120ELi8ELi128ELNS_18Fp8KVCacheDataTypeE0ELb1ELi512EEEvPfS2_PT_PKS3_PKT0_S9_ifPKiSB_iPKfiiiSD_SD_iiiii,"axG",@progbits,_ZN4vllm25paged_attention_v2_kernelIttLi120ELi8ELi128ELNS_18Fp8KVCacheDataTypeE0ELb1ELi512EEEvPfS2_PT_PKS3_PKT0_S9_ifPKiSB_iPKfiiiSD_SD_iiiii,comdat
	.protected	_ZN4vllm25paged_attention_v2_kernelIttLi120ELi8ELi128ELNS_18Fp8KVCacheDataTypeE0ELb1ELi512EEEvPfS2_PT_PKS3_PKT0_S9_ifPKiSB_iPKfiiiSD_SD_iiiii ; -- Begin function _ZN4vllm25paged_attention_v2_kernelIttLi120ELi8ELi128ELNS_18Fp8KVCacheDataTypeE0ELb1ELi512EEEvPfS2_PT_PKS3_PKT0_S9_ifPKiSB_iPKfiiiSD_SD_iiiii
	.globl	_ZN4vllm25paged_attention_v2_kernelIttLi120ELi8ELi128ELNS_18Fp8KVCacheDataTypeE0ELb1ELi512EEEvPfS2_PT_PKS3_PKT0_S9_ifPKiSB_iPKfiiiSD_SD_iiiii
	.p2align	8
	.type	_ZN4vllm25paged_attention_v2_kernelIttLi120ELi8ELi128ELNS_18Fp8KVCacheDataTypeE0ELb1ELi512EEEvPfS2_PT_PKS3_PKT0_S9_ifPKiSB_iPKfiiiSD_SD_iiiii,@function
_ZN4vllm25paged_attention_v2_kernelIttLi120ELi8ELi128ELNS_18Fp8KVCacheDataTypeE0ELb1ELi512EEEvPfS2_PT_PKS3_PKT0_S9_ifPKiSB_iPKfiiiSD_SD_iiiii: ; @_ZN4vllm25paged_attention_v2_kernelIttLi120ELi8ELi128ELNS_18Fp8KVCacheDataTypeE0ELb1ELi512EEEvPfS2_PT_PKS3_PKT0_S9_ifPKiSB_iPKfiiiSD_SD_iiiii
; %bb.0:
	s_load_dwordx2 s[0:1], s[4:5], 0x40
	s_mov_b32 s30, s7
	s_ashr_i32 s31, s7, 31
	s_lshl_b64 s[2:3], s[30:31], 2
	s_waitcnt lgkmcnt(0)
	s_add_u32 s0, s0, s2
	s_addc_u32 s1, s1, s3
	s_load_dword s31, s[0:1], 0x0
	s_lshl_b32 s51, s8, 9
	s_waitcnt lgkmcnt(0)
	s_cmp_ge_i32 s51, s31
	s_cbranch_scc1 .LBB73_69
; %bb.1:
	s_load_dword s9, s[4:5], 0x90
	s_load_dwordx2 s[40:41], s[4:5], 0x30
	s_waitcnt lgkmcnt(0)
	s_abs_i32 s2, s9
	s_abs_i32 s0, s40
	v_cvt_f32_u32_e32 v1, s0
	s_sub_i32 s3, 0, s0
	s_xor_b32 s1, s9, s40
	s_ashr_i32 s1, s1, 31
	v_rcp_iflag_f32_e32 v1, v1
	v_mul_f32_e32 v1, 0x4f7ffffe, v1
	v_cvt_u32_f32_e32 v1, v1
	v_readfirstlane_b32 s7, v1
	s_mul_i32 s3, s3, s7
	s_mul_hi_u32 s3, s7, s3
	s_add_i32 s7, s7, s3
	s_mul_hi_u32 s3, s2, s7
	s_mul_i32 s7, s3, s0
	s_sub_i32 s2, s2, s7
	s_add_i32 s10, s3, 1
	s_sub_i32 s7, s2, s0
	s_cmp_ge_u32 s2, s0
	s_cselect_b32 s3, s10, s3
	s_cselect_b32 s2, s7, s2
	s_add_i32 s7, s3, 1
	s_cmp_ge_u32 s2, s0
	s_cselect_b32 s0, s7, s3
	s_xor_b32 s0, s0, s1
	s_sub_i32 s2, s0, s1
	s_abs_i32 s10, s2
	v_cvt_f32_u32_e32 v1, s10
	s_load_dwordx2 s[0:1], s[4:5], 0x50
	s_sub_i32 s3, 0, s10
	s_abs_i32 s11, s6
	v_rcp_iflag_f32_e32 v1, v1
	s_mov_b32 s7, 0
	v_mul_f32_e32 v1, 0x4f7ffffe, v1
	v_cvt_u32_f32_e32 v1, v1
	v_readfirstlane_b32 s12, v1
	s_mul_i32 s3, s3, s12
	s_mul_hi_u32 s3, s12, s3
	s_add_i32 s12, s12, s3
	s_waitcnt lgkmcnt(0)
	s_cmp_eq_u64 s[0:1], 0
	s_mul_hi_u32 s12, s11, s12
	s_cbranch_scc1 .LBB73_3
; %bb.2:
	s_ashr_i32 s7, s6, 31
	s_lshl_b64 s[14:15], s[6:7], 2
	s_add_u32 s0, s0, s14
	s_addc_u32 s1, s1, s15
	s_load_dword s7, s[0:1], 0x0
.LBB73_3:
	s_load_dwordx4 s[16:19], s[4:5], 0x58
	s_movk_i32 s0, 0x78
	s_ashr_i32 s13, s6, 31
	s_ashr_i32 s20, s2, 31
	v_and_b32_e32 v2, 7, v0
	s_mul_i32 s14, s6, 0x78
	v_cmp_gt_u32_e64 s[0:1], s0, v0
	v_lshlrev_b32_e32 v1, 1, v0
	s_and_saveexec_b64 s[2:3], s[0:1]
	s_cbranch_execz .LBB73_5
; %bb.4:
	s_load_dwordx2 s[22:23], s[4:5], 0x18
	s_waitcnt lgkmcnt(0)
	s_mul_i32 s24, s30, s16
	s_ashr_i32 s25, s24, 31
	s_lshl_b64 s[24:25], s[24:25], 1
	v_lshrrev_b32_e32 v4, 2, v0
	s_add_u32 s16, s22, s24
	s_addc_u32 s19, s23, s25
	s_ashr_i32 s15, s14, 31
	s_lshl_b64 s[22:23], s[14:15], 1
	s_add_u32 s22, s16, s22
	s_addc_u32 s23, s19, s23
	global_load_ushort v3, v1, s[22:23]
	v_and_b32_e32 v4, 0xfe, v4
	v_mad_u32_u24 v4, v2, 30, v4
	s_waitcnt vmcnt(0)
	ds_write_b16 v4, v3
.LBB73_5:
	s_or_b64 exec, exec, s[2:3]
	s_mul_i32 s3, s12, s10
	s_sub_i32 s3, s11, s3
	s_xor_b32 s2, s13, s20
	s_add_i32 s11, s12, 1
	s_sub_i32 s13, s3, s10
	s_load_dwordx4 s[20:23], s[4:5], 0x78
	s_cmp_ge_u32 s3, s10
	s_cselect_b32 s11, s11, s12
	s_cselect_b32 s3, s13, s3
	s_load_dword s13, s[4:5], 0x88
	s_add_i32 s12, s11, 1
	s_cmp_ge_u32 s3, s10
	s_cselect_b32 s3, s12, s11
	s_waitcnt lgkmcnt(0)
	s_abs_i32 s33, s23
	v_cvt_f32_u32_e32 v3, s33
	s_xor_b32 s3, s3, s2
	s_sub_i32 s10, s3, s2
	s_sub_i32 s2, 0, s33
	v_rcp_iflag_f32_e32 v3, v3
	s_add_i32 s15, s31, -1
	s_abs_i32 s11, s15
	v_mul_f32_e32 v3, 0x4f7ffffe, v3
	v_cvt_u32_f32_e32 v3, v3
	s_barrier
	v_readfirstlane_b32 s48, v3
	s_mul_i32 s2, s2, s48
	s_mul_hi_u32 s2, s48, s2
	s_add_i32 s48, s48, s2
	s_cmp_lt_i32 s13, 0
	s_mul_hi_u32 s12, s11, s48
	s_cbranch_scc0 .LBB73_7
; %bb.6:
	s_mul_i32 s2, s20, s40
	s_add_i32 s2, s10, s2
	s_mul_i32 s2, s2, s13
	s_sub_i32 s49, 1, s2
	s_mov_b64 s[2:3], 0
	s_branch .LBB73_8
.LBB73_7:
	s_mov_b64 s[2:3], -1
                                        ; implicit-def: $sgpr49
.LBB73_8:
	s_load_dwordx2 s[34:35], s[4:5], 0x38
	s_ashr_i32 s16, s15, 31
	s_andn2_b64 vcc, exec, s[2:3]
	s_ashr_i32 s23, s23, 31
	s_cbranch_vccnz .LBB73_10
; %bb.9:
	s_mul_i32 s2, s9, s20
	s_add_i32 s2, s2, s6
	s_mul_i32 s2, s2, s13
	s_add_i32 s49, s2, 1
.LBB73_10:
	s_load_dword s2, s[4:5], 0x48
	s_load_dwordx2 s[38:39], s[4:5], 0x28
	s_load_dword s15, s[4:5], 0x98
	s_load_dwordx4 s[24:27], s[4:5], 0x0
	s_load_dwordx2 s[28:29], s[4:5], 0x10
	s_mul_i32 s3, s12, s33
	s_waitcnt lgkmcnt(0)
	s_mul_i32 s36, s30, s2
	s_sub_i32 s3, s11, s3
	s_ashr_i32 s37, s36, 31
	s_xor_b32 s2, s16, s23
	s_add_i32 s11, s12, 1
	s_sub_i32 s13, s3, s33
	s_cmp_ge_u32 s3, s33
	s_cselect_b32 s11, s11, s12
	s_cselect_b32 s3, s13, s3
	s_add_i32 s12, s11, 1
	s_cmp_ge_u32 s3, s33
	s_cselect_b32 s3, s12, s11
	s_xor_b32 s3, s3, s2
	s_sub_i32 s50, s3, s2
	s_add_i32 s2, s31, 7
	s_ashr_i32 s3, s2, 31
	s_lshr_b32 s3, s3, 29
	s_add_i32 s2, s2, s3
	s_lshl_b32 s40, s8, 6
	s_ashr_i32 s16, s2, 3
	s_add_i32 s2, s40, 64
	v_lshrrev_b32_e32 v4, 6, v0
	s_min_i32 s20, s2, s16
	v_or_b32_e32 v6, s40, v4
	v_cmp_gt_i32_e64 s[2:3], s20, v6
	v_mov_b32_e32 v14, 0xff7fffff
	s_mul_i32 s18, s10, s18
	v_ashrrev_i32_e32 v7, 31, v6
	v_lshl_add_u32 v10, v4, 3, s51
	v_mbcnt_lo_u32_b32 v5, -1, 0
	s_and_saveexec_b64 s[42:43], s[2:3]
	s_cbranch_execz .LBB73_20
; %bb.11:
	s_load_dwordx2 s[4:5], s[4:5], 0x20
	s_ashr_i32 s19, s18, 31
	s_sub_i32 s52, s50, s21
	s_lshl_b64 s[10:11], s[18:19], 1
	v_bfe_u32 v8, v0, 3, 3
	s_waitcnt lgkmcnt(0)
	s_add_u32 s4, s4, s10
	s_addc_u32 s5, s5, s11
	s_abs_i32 s19, s22
	v_cvt_f32_u32_e32 v11, s19
	v_lshlrev_b32_e32 v3, 4, v8
	v_mov_b32_e32 v9, s5
	v_add_co_u32_e64 v3, s[4:5], s4, v3
	v_rcp_iflag_f32_e32 v13, v11
	v_addc_co_u32_e64 v12, s[4:5], 0, v9, s[4:5]
	v_lshlrev_b32_e32 v9, 1, v2
	v_add_co_u32_e64 v9, s[4:5], v3, v9
	v_mul_f32_e32 v3, 0x4f7ffffe, v13
	v_cvt_u32_f32_e32 v3, v3
	s_sub_i32 s10, 0, s19
	v_cmp_eq_u32_e32 vcc, 0, v2
	v_addc_co_u32_e64 v11, s[4:5], 0, v12, s[4:5]
	v_mul_u32_u24_e32 v12, 30, v2
	v_mul_lo_u32 v2, s10, v3
	s_lshl_b64 s[10:11], s[36:37], 2
	v_mul_hi_u32 v2, v3, v2
	s_add_u32 s10, s34, s10
	v_add_u32_e32 v13, v3, v2
	v_lshlrev_b64 v[2:3], 2, v[6:7]
	s_addc_u32 s11, s35, s11
	v_mov_b32_e32 v14, s11
	v_add_co_u32_e64 v2, s[10:11], s10, v2
	v_addc_co_u32_e64 v3, s[10:11], v14, v3, s[10:11]
	v_lshlrev_b32_e32 v14, 2, v8
	v_lshl_or_b32 v14, v4, 5, v14
	v_add_u32_e32 v16, 0x100, v14
	v_subrev_u32_e32 v14, s31, v8
	v_mbcnt_hi_u32_b32 v19, -1, v5
	v_add_u32_e32 v17, 1, v14
	v_and_b32_e32 v14, 64, v19
	s_mov_b32 s53, s17
	v_cmp_neq_f32_e64 s[4:5], s7, 0
	v_lshl_add_u32 v15, v4, 3, s51
	s_mov_b64 s[44:45], 0
	v_mov_b32_e32 v18, 0xff7fffff
	v_add_u32_e32 v20, 64, v14
	v_xor_b32_e32 v21, 4, v19
	v_xor_b32_e32 v22, 2, v19
	;; [unrolled: 1-line block ×3, first 2 shown]
	v_mov_b32_e32 v14, 0xff7fffff
	v_mov_b32_e32 v24, v6
	s_branch .LBB73_14
.LBB73_12:                              ;   in Loop: Header=BB73_14 Depth=1
	s_or_b64 exec, exec, s[46:47]
.LBB73_13:                              ;   in Loop: Header=BB73_14 Depth=1
	s_or_b64 exec, exec, s[12:13]
	v_add_co_u32_e64 v2, s[10:11], 8, v2
	v_add_u32_e32 v24, 2, v24
	v_addc_co_u32_e64 v3, s[10:11], 0, v3, s[10:11]
	v_cmp_le_i32_e64 s[10:11], s20, v24
	v_add_u32_e32 v15, 16, v15
	s_or_b64 s[44:45], s[10:11], s[44:45]
	v_add_u32_e32 v16, 64, v16
	s_andn2_b64 exec, exec, s[44:45]
	s_cbranch_execz .LBB73_19
.LBB73_14:                              ; =>This Inner Loop Header: Depth=1
	s_waitcnt lgkmcnt(0)
	v_sub_u32_e32 v26, 0, v15
	v_max_i32_e32 v26, v15, v26
	v_mul_hi_u32 v27, v26, s48
	v_mul_lo_u32 v28, v27, s33
	v_sub_u32_e32 v26, v26, v28
	v_add_u32_e32 v28, 1, v27
	v_cmp_le_u32_e64 s[10:11], s33, v26
	v_cndmask_b32_e64 v27, v27, v28, s[10:11]
	v_subrev_u32_e32 v28, s33, v26
	v_cndmask_b32_e64 v26, v26, v28, s[10:11]
	v_ashrrev_i32_e32 v25, 31, v15
	v_add_u32_e32 v28, 1, v27
	v_cmp_le_u32_e64 s[10:11], s33, v26
	v_xor_b32_e32 v25, s23, v25
	v_cndmask_b32_e64 v26, v27, v28, s[10:11]
	v_xor_b32_e32 v26, v26, v25
	v_sub_u32_e32 v25, v26, v25
	v_add_u32_e32 v26, s49, v25
	v_sub_u32_e32 v28, 0, v26
	v_ashrrev_i32_e32 v27, 31, v26
	v_max_i32_e32 v26, v26, v28
	v_mul_hi_u32 v28, v26, v13
	v_mul_lo_u32 v28, v28, s19
	v_sub_u32_e32 v26, v26, v28
	v_subrev_u32_e32 v28, s19, v26
	v_cmp_le_u32_e64 s[10:11], s19, v26
	v_cndmask_b32_e64 v26, v26, v28, s[10:11]
	v_subrev_u32_e32 v28, s19, v26
	v_cmp_le_u32_e64 s[10:11], s19, v26
	v_cndmask_b32_e64 v26, v26, v28, s[10:11]
	v_xor_b32_e32 v26, v26, v27
	v_sub_u32_e32 v26, v26, v27
	v_cmp_ne_u32_e64 s[10:11], 0, v26
	v_cmp_ge_i32_e64 s[12:13], s52, v25
	s_and_b64 s[10:11], s[10:11], s[12:13]
	s_and_b64 s[46:47], vcc, s[10:11]
	s_and_saveexec_b64 s[12:13], s[46:47]
	s_cbranch_execz .LBB73_16
; %bb.15:                               ;   in Loop: Header=BB73_14 Depth=1
	ds_write_b32 v16, v18
.LBB73_16:                              ;   in Loop: Header=BB73_14 Depth=1
	s_or_b64 exec, exec, s[12:13]
	s_xor_b64 s[10:11], s[10:11], -1
	s_and_saveexec_b64 s[12:13], s[10:11]
	s_cbranch_execz .LBB73_13
; %bb.17:                               ;   in Loop: Header=BB73_14 Depth=1
	global_load_dword v25, v[2:3], off
	s_waitcnt vmcnt(0)
	v_mad_i64_i32 v[26:27], s[10:11], v25, s53, 0
	v_lshlrev_b64 v[26:27], 1, v[26:27]
	v_add_co_u32_e64 v26, s[10:11], v9, v26
	v_addc_co_u32_e64 v27, s[10:11], v11, v27, s[10:11]
	global_load_ushort v25, v[26:27], off
	global_load_ushort v28, v[26:27], off offset:128
	global_load_ushort v29, v[26:27], off offset:256
	;; [unrolled: 1-line block ×10, first 2 shown]
	ds_read_u16 v38, v12
	global_load_ushort v39, v[26:27], off offset:1408
	global_load_ushort v40, v[26:27], off offset:1536
	global_load_ushort v41, v[26:27], off offset:1664
	s_nop 0
	global_load_ushort v26, v[26:27], off offset:1792
	s_waitcnt lgkmcnt(0)
	;;#ASMSTART
	v_cvt_f32_f16 v27, v38;
	;;#ASMEND
	v_cmp_lt_i32_e64 s[10:11], v21, v20
	v_cndmask_b32_e64 v52, v19, v21, s[10:11]
	v_lshlrev_b32_e32 v52, 2, v52
	v_cmp_lt_i32_e64 s[10:11], v22, v20
	s_waitcnt vmcnt(14)
	;;#ASMSTART
	v_cvt_f32_f16 v25, v25;
	;;#ASMEND
	ds_read_u16 v38, v12 offset:2
	s_waitcnt lgkmcnt(0)
	;;#ASMSTART
	v_cvt_f32_f16 v38, v38;
	;;#ASMEND
	s_waitcnt vmcnt(13)
	;;#ASMSTART
	v_cvt_f32_f16 v28, v28;
	;;#ASMEND
	v_mul_f32_e32 v28, v38, v28
	ds_read_u16 v42, v12 offset:4
	v_fmac_f32_e32 v28, v27, v25
	s_waitcnt lgkmcnt(0)
	;;#ASMSTART
	v_cvt_f32_f16 v42, v42;
	;;#ASMEND
	s_waitcnt vmcnt(12)
	;;#ASMSTART
	v_cvt_f32_f16 v29, v29;
	;;#ASMEND
	ds_read_u16 v43, v12 offset:6
	v_fmac_f32_e32 v28, v42, v29
	s_waitcnt lgkmcnt(0)
	;;#ASMSTART
	v_cvt_f32_f16 v43, v43;
	;;#ASMEND
	s_waitcnt vmcnt(11)
	;;#ASMSTART
	v_cvt_f32_f16 v30, v30;
	;;#ASMEND
	;; [unrolled: 10-line block ×9, first 2 shown]
	v_fmac_f32_e32 v28, v50, v37
	ds_read_u16 v51, v12 offset:22
	s_waitcnt lgkmcnt(0)
	;;#ASMSTART
	v_cvt_f32_f16 v25, v51;
	;;#ASMEND
	s_waitcnt vmcnt(3)
	;;#ASMSTART
	v_cvt_f32_f16 v27, v39;
	;;#ASMEND
	v_fmac_f32_e32 v28, v25, v27
	ds_read_u16 v38, v12 offset:24
	s_waitcnt lgkmcnt(0)
	;;#ASMSTART
	v_cvt_f32_f16 v29, v38;
	;;#ASMEND
	s_waitcnt vmcnt(2)
	;;#ASMSTART
	v_cvt_f32_f16 v30, v40;
	;;#ASMEND
	ds_read_u16 v31, v12 offset:26
	v_fmac_f32_e32 v28, v29, v30
	s_waitcnt lgkmcnt(0)
	;;#ASMSTART
	v_cvt_f32_f16 v31, v31;
	;;#ASMEND
	s_waitcnt vmcnt(1)
	;;#ASMSTART
	v_cvt_f32_f16 v32, v41;
	;;#ASMEND
	v_fmac_f32_e32 v28, v31, v32
	ds_read_u16 v33, v12 offset:28
	s_waitcnt lgkmcnt(0)
	;;#ASMSTART
	v_cvt_f32_f16 v25, v33;
	;;#ASMEND
	s_waitcnt vmcnt(0)
	;;#ASMSTART
	v_cvt_f32_f16 v26, v26;
	;;#ASMEND
	v_fmac_f32_e32 v28, v25, v26
	ds_bpermute_b32 v25, v52, v28
	v_cndmask_b32_e64 v26, v19, v22, s[10:11]
	v_lshlrev_b32_e32 v26, 2, v26
	v_cmp_lt_i32_e64 s[10:11], v23, v20
	v_cndmask_b32_e64 v27, v19, v23, s[10:11]
	s_waitcnt lgkmcnt(0)
	v_add_f32_e32 v25, v28, v25
	ds_bpermute_b32 v26, v26, v25
	s_waitcnt lgkmcnt(0)
	v_add_f32_e32 v25, v25, v26
	v_lshlrev_b32_e32 v26, 2, v27
	ds_bpermute_b32 v26, v26, v25
	s_and_saveexec_b64 s[46:47], vcc
	s_cbranch_execz .LBB73_12
; %bb.18:                               ;   in Loop: Header=BB73_14 Depth=1
	v_add_u32_e32 v27, v17, v15
	v_cvt_f32_i32_e32 v27, v27
	s_waitcnt lgkmcnt(0)
	v_add_f32_e32 v25, v25, v26
	v_add_u32_e32 v28, v8, v15
	v_cmp_gt_i32_e64 s[10:11], s31, v28
	v_mul_f32_e32 v26, s7, v27
	v_cndmask_b32_e64 v26, 0, v26, s[4:5]
	v_fmac_f32_e32 v26, s41, v25
	v_cndmask_b32_e64 v25, 0, v26, s[10:11]
	ds_write_b32 v16, v25
	v_max_f32_e32 v25, v14, v14
	v_max_f32_e32 v25, v25, v26
	v_cndmask_b32_e64 v14, v14, v25, s[10:11]
	s_branch .LBB73_12
.LBB73_19:
	s_or_b64 exec, exec, s[44:45]
.LBB73_20:
	s_or_b64 exec, exec, s[42:43]
	v_mbcnt_hi_u32_b32 v2, -1, v5
	v_and_b32_e32 v3, 64, v2
	v_add_u32_e32 v3, 64, v3
	v_xor_b32_e32 v5, 32, v2
	v_cmp_lt_i32_e32 vcc, v5, v3
	v_cndmask_b32_e32 v5, v2, v5, vcc
	v_lshlrev_b32_e32 v9, 2, v5
	ds_bpermute_b32 v5, v9, v14
	v_xor_b32_e32 v11, 16, v2
	v_max_f32_e32 v8, v14, v14
	v_cmp_lt_i32_e32 vcc, v11, v3
	s_waitcnt lgkmcnt(0)
	v_max_f32_e32 v5, v5, v5
	v_max_f32_e32 v5, v8, v5
	v_cndmask_b32_e32 v8, v2, v11, vcc
	v_lshlrev_b32_e32 v13, 2, v8
	ds_bpermute_b32 v8, v13, v5
	v_xor_b32_e32 v11, 8, v2
	v_cmp_lt_i32_e32 vcc, v11, v3
	s_waitcnt lgkmcnt(0)
	v_max_f32_e32 v8, v8, v8
	v_max_f32_e32 v5, v5, v8
	v_cndmask_b32_e32 v8, v2, v11, vcc
	v_lshlrev_b32_e32 v14, 2, v8
	ds_bpermute_b32 v12, v14, v5
	v_and_b32_e32 v11, 63, v0
	v_cmp_eq_u32_e32 vcc, 0, v11
	v_lshlrev_b32_e32 v8, 2, v4
	s_and_saveexec_b64 s[4:5], vcc
	s_cbranch_execz .LBB73_22
; %bb.21:
	s_waitcnt lgkmcnt(0)
	v_max_f32_e32 v12, v12, v12
	v_max_f32_e32 v5, v5, v5
	v_max_f32_e32 v5, v5, v12
	ds_write_b32 v8, v5 offset:240
.LBB73_22:
	s_or_b64 exec, exec, s[4:5]
	v_cmp_gt_u32_e64 s[4:5], 2, v11
	v_mov_b32_e32 v5, 0xff7fffff
	s_waitcnt lgkmcnt(0)
	v_lshlrev_b32_e32 v12, 2, v11
	s_barrier
	s_and_saveexec_b64 s[10:11], s[4:5]
	s_cbranch_execz .LBB73_24
; %bb.23:
	ds_read_b32 v5, v12 offset:240
.LBB73_24:
	s_or_b64 exec, exec, s[10:11]
	v_xor_b32_e32 v15, 1, v2
	v_cmp_lt_i32_e64 s[10:11], v15, v3
	v_cndmask_b32_e64 v15, v2, v15, s[10:11]
	v_lshlrev_b32_e32 v15, 2, v15
	s_waitcnt lgkmcnt(0)
	ds_bpermute_b32 v16, v15, v5
	v_max_f32_e32 v5, v5, v5
	s_sub_i32 s7, s20, s40
	s_lshl_b32 s7, s7, 3
	s_add_i32 s7, s7, s51
	s_waitcnt lgkmcnt(0)
	v_max_f32_e32 v16, v16, v16
	v_max_f32_e32 v5, v5, v16
	v_lshlrev_b32_e32 v16, 2, v2
	v_and_b32_e32 v16, 0x100, v16
	ds_bpermute_b32 v5, v16, v5
	s_min_i32 s19, s7, s31
	s_sub_i32 s7, s19, s51
	v_cmp_gt_i32_e64 s[10:11], s7, v0
	v_mov_b32_e32 v17, 0
	s_and_saveexec_b64 s[40:41], s[10:11]
	s_cbranch_execz .LBB73_28
; %bb.25:
	v_mov_b32_e32 v17, 0x100
	v_lshl_add_u32 v18, v0, 2, v17
	s_mov_b64 s[42:43], 0
	v_mov_b32_e32 v17, 0
	v_mov_b32_e32 v19, v0
.LBB73_26:                              ; =>This Inner Loop Header: Depth=1
	ds_read_b32 v20, v18
	v_add_u32_e32 v19, 0x80, v19
	v_cmp_le_i32_e64 s[12:13], s7, v19
	s_or_b64 s[42:43], s[12:13], s[42:43]
	s_waitcnt lgkmcnt(0)
	v_sub_f32_e32 v20, v20, v5
	v_mul_f32_e32 v20, 0x3fb8aa3b, v20
	v_exp_f32_e32 v20, v20
	ds_write_b32 v18, v20
	v_add_f32_e32 v17, v17, v20
	v_add_u32_e32 v18, 0x200, v18
	s_andn2_b64 exec, exec, s[42:43]
	s_cbranch_execnz .LBB73_26
; %bb.27:
	s_or_b64 exec, exec, s[42:43]
.LBB73_28:
	s_or_b64 exec, exec, s[40:41]
	ds_bpermute_b32 v9, v9, v17
	s_waitcnt lgkmcnt(0)
	v_add_f32_e32 v9, v17, v9
	ds_bpermute_b32 v13, v13, v9
	s_waitcnt lgkmcnt(0)
	v_add_f32_e32 v9, v9, v13
	ds_bpermute_b32 v13, v14, v9
	v_xor_b32_e32 v14, 4, v2
	v_cmp_lt_i32_e64 s[12:13], v14, v3
	v_cndmask_b32_e64 v14, v2, v14, s[12:13]
	v_lshlrev_b32_e32 v14, 2, v14
	s_waitcnt lgkmcnt(0)
	v_add_f32_e32 v9, v9, v13
	ds_bpermute_b32 v13, v14, v9
	v_xor_b32_e32 v14, 2, v2
	v_cmp_lt_i32_e64 s[12:13], v14, v3
	v_cndmask_b32_e64 v2, v2, v14, s[12:13]
	v_lshlrev_b32_e32 v2, 2, v2
	s_waitcnt lgkmcnt(0)
	v_add_f32_e32 v3, v9, v13
	ds_bpermute_b32 v2, v2, v3
	s_waitcnt lgkmcnt(0)
	v_add_f32_e32 v2, v3, v2
	ds_bpermute_b32 v3, v15, v2
	s_waitcnt lgkmcnt(0)
	v_add_f32_e32 v2, v2, v3
	s_and_saveexec_b64 s[12:13], vcc
	s_cbranch_execz .LBB73_30
; %bb.29:
	ds_write_b32 v8, v2 offset:248
.LBB73_30:
	s_or_b64 exec, exec, s[12:13]
	s_waitcnt lgkmcnt(0)
	s_barrier
	s_and_saveexec_b64 s[12:13], s[4:5]
	s_cbranch_execz .LBB73_32
; %bb.31:
	ds_read_b32 v2, v12 offset:248
.LBB73_32:
	s_or_b64 exec, exec, s[12:13]
	s_waitcnt lgkmcnt(0)
	ds_bpermute_b32 v3, v15, v2
	s_waitcnt lgkmcnt(0)
	v_add_f32_e32 v2, v2, v3
	ds_bpermute_b32 v8, v16, v2
	s_and_saveexec_b64 s[4:5], s[10:11]
	s_cbranch_execz .LBB73_45
; %bb.33:
	s_waitcnt lgkmcnt(0)
	v_add_f32_e32 v2, 0x358637bd, v8
	v_div_scale_f32 v3, s[10:11], v2, v2, 1.0
	v_rcp_f32_e32 v9, v3
	v_div_scale_f32 v12, vcc, 1.0, v2, 1.0
	s_movk_i32 s10, 0x7f
	v_fma_f32 v13, -v3, v9, 1.0
	v_fmac_f32_e32 v9, v13, v9
	v_mul_f32_e32 v13, v12, v9
	v_fma_f32 v14, -v3, v13, v12
	v_fmac_f32_e32 v13, v14, v9
	v_fma_f32 v3, -v3, v13, v12
	v_div_fmas_f32 v3, v3, v9, v13
	v_div_fixup_f32 v2, v3, v2, 1.0
	v_xad_u32 v3, v0, -1, s19
	v_subrev_u32_e32 v9, s51, v3
	v_cmp_lt_u32_e32 vcc, s10, v9
	s_mov_b64 s[12:13], -1
	v_mov_b32_e32 v3, v0
	s_and_saveexec_b64 s[10:11], vcc
	s_cbranch_execz .LBB73_42
; %bb.34:
	v_lshrrev_b32_e32 v9, 7, v9
	v_add_u32_e32 v13, -1, v9
	v_lshrrev_b32_e32 v12, 1, v13
	v_mov_b32_e32 v3, v2
	v_add_u32_e32 v12, 1, v12
	v_cmp_lt_u32_e32 vcc, 13, v13
	v_mov_b32_e32 v15, 0
	s_and_saveexec_b64 s[12:13], vcc
	s_cbranch_execz .LBB73_38
; %bb.35:
	v_mov_b32_e32 v14, 0x100
	v_and_b32_e32 v13, -8, v12
	v_lshl_add_u32 v14, v0, 2, v14
	s_mov_b32 s19, 0
	s_mov_b64 s[40:41], 0
.LBB73_36:                              ; =>This Inner Loop Header: Depth=1
	ds_read2st64_b32 v[16:17], v14 offset1:2
	ds_read2st64_b32 v[18:19], v14 offset0:4 offset1:6
	ds_read2st64_b32 v[20:21], v14 offset0:8 offset1:10
	;; [unrolled: 1-line block ×3, first 2 shown]
	v_add_u32_e32 v13, -8, v13
	s_waitcnt lgkmcnt(3)
	v_pk_mul_f32 v[16:17], v[2:3], v[16:17]
	s_waitcnt lgkmcnt(2)
	v_pk_mul_f32 v[18:19], v[2:3], v[18:19]
	ds_write2st64_b32 v14, v16, v17 offset1:2
	ds_write2st64_b32 v14, v18, v19 offset0:4 offset1:6
	ds_read2st64_b32 v[18:19], v14 offset0:16 offset1:18
	s_waitcnt lgkmcnt(4)
	v_pk_mul_f32 v[16:17], v[2:3], v[20:21]
	ds_write2st64_b32 v14, v16, v17 offset0:8 offset1:10
	s_waitcnt lgkmcnt(4)
	v_pk_mul_f32 v[16:17], v[2:3], v[22:23]
	ds_write2st64_b32 v14, v16, v17 offset0:12 offset1:14
	ds_read2st64_b32 v[16:17], v14 offset0:20 offset1:22
	s_waitcnt lgkmcnt(3)
	v_pk_mul_f32 v[18:19], v[2:3], v[18:19]
	ds_read2st64_b32 v[20:21], v14 offset0:24 offset1:26
	ds_write2st64_b32 v14, v18, v19 offset0:16 offset1:18
	ds_read2st64_b32 v[18:19], v14 offset0:28 offset1:30
	s_waitcnt lgkmcnt(3)
	v_pk_mul_f32 v[16:17], v[2:3], v[16:17]
	ds_write2st64_b32 v14, v16, v17 offset0:20 offset1:22
	s_waitcnt lgkmcnt(3)
	v_pk_mul_f32 v[16:17], v[2:3], v[20:21]
	ds_write2st64_b32 v14, v16, v17 offset0:24 offset1:26
	s_waitcnt lgkmcnt(2)
	v_pk_mul_f32 v[16:17], v[2:3], v[18:19]
	s_add_i32 s19, s19, 16
	v_cmp_eq_u32_e32 vcc, 0, v13
	ds_write2st64_b32 v14, v16, v17 offset0:28 offset1:30
	v_add_u32_e32 v14, 0x2000, v14
	s_or_b64 s[40:41], vcc, s[40:41]
	v_mov_b32_e32 v15, s19
	s_andn2_b64 exec, exec, s[40:41]
	s_cbranch_execnz .LBB73_36
; %bb.37:
	s_or_b64 exec, exec, s[40:41]
.LBB73_38:
	s_or_b64 exec, exec, s[12:13]
	v_and_b32_e32 v12, 7, v12
	v_cmp_ne_u32_e32 vcc, 0, v12
	s_and_saveexec_b64 s[12:13], vcc
	s_cbranch_execz .LBB73_41
; %bb.39:
	v_lshlrev_b32_e32 v13, 9, v15
	v_lshlrev_b32_e32 v14, 2, v0
	s_movk_i32 s19, 0x100
	v_add3_u32 v13, v13, v14, s19
	s_mov_b64 s[40:41], 0
.LBB73_40:                              ; =>This Inner Loop Header: Depth=1
	ds_read2st64_b32 v[14:15], v13 offset1:2
	v_add_u32_e32 v12, -1, v12
	v_cmp_eq_u32_e32 vcc, 0, v12
	s_or_b64 s[40:41], vcc, s[40:41]
	s_waitcnt lgkmcnt(0)
	v_pk_mul_f32 v[14:15], v[2:3], v[14:15]
	ds_write2st64_b32 v13, v14, v15 offset1:2
	v_add_u32_e32 v13, 0x400, v13
	s_andn2_b64 exec, exec, s[40:41]
	s_cbranch_execnz .LBB73_40
.LBB73_41:
	s_or_b64 exec, exec, s[12:13]
	v_add_u32_e32 v9, 1, v9
	v_and_b32_e32 v12, 0x3fffffe, v9
	v_cmp_ne_u32_e32 vcc, v9, v12
	v_lshl_add_u32 v3, v12, 7, v0
	s_orn2_b64 s[12:13], vcc, exec
.LBB73_42:
	s_or_b64 exec, exec, s[10:11]
	s_and_b64 exec, exec, s[12:13]
	s_cbranch_execz .LBB73_45
; %bb.43:
	v_mov_b32_e32 v9, 0x100
	v_lshl_add_u32 v9, v3, 2, v9
	s_mov_b64 s[10:11], 0
.LBB73_44:                              ; =>This Inner Loop Header: Depth=1
	ds_read_b32 v12, v9
	v_add_u32_e32 v3, 0x80, v3
	v_cmp_le_i32_e32 vcc, s7, v3
	s_or_b64 s[10:11], vcc, s[10:11]
	s_waitcnt lgkmcnt(0)
	v_mul_f32_e32 v12, v2, v12
	ds_write_b32 v9, v12
	v_add_u32_e32 v9, 0x200, v9
	s_andn2_b64 exec, exec, s[10:11]
	s_cbranch_execnz .LBB73_44
.LBB73_45:
	s_or_b64 exec, exec, s[4:5]
	s_mul_i32 s4, s15, s30
	v_cmp_eq_u32_e32 vcc, 0, v0
	s_mul_i32 s10, s4, s9
	s_waitcnt lgkmcnt(0)
	s_barrier
	s_and_saveexec_b64 s[4:5], vcc
	s_cbranch_execz .LBB73_47
; %bb.46:
	s_ashr_i32 s11, s10, 31
	s_lshl_b64 s[12:13], s[10:11], 2
	s_add_u32 s9, s26, s12
	s_mul_i32 s6, s15, s6
	s_addc_u32 s11, s27, s13
	s_ashr_i32 s7, s6, 31
	s_lshl_b64 s[6:7], s[6:7], 2
	s_add_u32 s19, s9, s6
	s_addc_u32 s11, s11, s7
	s_ashr_i32 s9, s8, 31
	s_lshl_b64 s[26:27], s[8:9], 2
	s_add_u32 s40, s19, s26
	s_addc_u32 s41, s11, s27
	s_add_u32 s9, s24, s12
	s_addc_u32 s11, s25, s13
	;; [unrolled: 2-line block ×3, first 2 shown]
	s_add_u32 s6, s6, s26
	v_mov_b32_e32 v2, 0
	s_addc_u32 s7, s7, s27
	global_store_dword v2, v5, s[40:41]
	global_store_dword v2, v8, s[6:7]
.LBB73_47:
	s_or_b64 exec, exec, s[4:5]
	v_mov_b32_e32 v13, 0
	v_mov_b32_e32 v12, 0
	s_and_saveexec_b64 s[6:7], s[2:3]
	s_cbranch_execz .LBB73_59
; %bb.48:
	s_ashr_i32 s19, s18, 31
	s_sub_i32 s9, s50, s21
	s_lshl_b64 s[2:3], s[18:19], 1
	s_add_u32 s21, s38, s2
	s_addc_u32 s24, s39, s3
	s_abs_i32 s22, s22
	v_cvt_f32_u32_e32 v5, s22
	v_or_b32_e32 v3, 64, v11
	s_movk_i32 s2, 0x78
	v_cmp_gt_u32_e32 vcc, s2, v3
	v_lshlrev_b32_e32 v16, 3, v3
	v_rcp_iflag_f32_e32 v3, v5
	s_sub_i32 s2, 0, s22
	s_add_i32 s25, s16, -1
	v_lshlrev_b64 v[8:9], 2, v[6:7]
	v_mul_f32_e32 v3, 0x4f7ffffe, v3
	v_cvt_u32_f32_e32 v3, v3
	v_lshlrev_b32_e32 v2, 3, v11
	s_mov_b32 s11, s17
	v_mov_b32_e32 v12, 0
	v_mul_lo_u32 v5, s2, v3
	s_lshl_b64 s[2:3], s[36:37], 2
	s_add_u32 s2, s34, s2
	v_mul_hi_u32 v5, v3, v5
	s_addc_u32 s3, s35, s3
	v_add_u32_e32 v14, v3, v5
	v_mov_b32_e32 v3, s3
	v_add_co_u32_e64 v8, s[2:3], s2, v8
	v_addc_co_u32_e64 v9, s[2:3], v3, v9, s[2:3]
	v_mov_b32_e32 v3, 0x100
	s_mov_b32 s26, s31
	s_mov_b32 s27, s31
	;; [unrolled: 1-line block ×7, first 2 shown]
	v_lshl_add_u32 v7, v4, 5, v3
	s_mov_b64 s[12:13], 0
	v_lshlrev_b32_e32 v15, 1, v2
	s_mov_b32 s34, 0x5040100
	v_lshlrev_b32_e32 v16, 1, v16
	v_mov_b32_e32 v13, 0
	s_branch .LBB73_52
.LBB73_49:                              ;   in Loop: Header=BB73_52 Depth=1
	s_or_b64 exec, exec, s[4:5]
	s_waitcnt vmcnt(0)
	;;#ASMSTART
	v_pk_mul_f16 v2, v24, v2;

	;;#ASMEND
	;;#ASMSTART
	v_pk_mul_f16 v3, v23, v3;

	;;#ASMEND
	;; [unrolled: 4-line block ×4, first 2 shown]
	;;#ASMSTART
	v_pk_add_f16 v2, v2, v3;

	;;#ASMEND
	;;#ASMSTART
	v_pk_add_f16 v2, v2, v4;

	;;#ASMEND
	;; [unrolled: 4-line block ×3, first 2 shown]
	v_lshrrev_b32_e32 v3, 16, v2
	v_and_b32_e32 v2, 0xffff, v2
	;;#ASMSTART
	v_cvt_f32_f16 v2, v2;
	;;#ASMEND
	;;#ASMSTART
	v_cvt_f32_f16 v3, v3;
	;;#ASMEND
	v_add_f32_e32 v2, v2, v3
	v_add_f32_e32 v12, v12, v2
.LBB73_50:                              ;   in Loop: Header=BB73_52 Depth=1
	s_or_b64 exec, exec, s[18:19]
	v_add_f32_e32 v2, v17, v18
	v_add_f32_e32 v13, v13, v2
.LBB73_51:                              ;   in Loop: Header=BB73_52 Depth=1
	s_or_b64 exec, exec, s[16:17]
	v_add_co_u32_e64 v8, s[2:3], 8, v8
	v_add_u32_e32 v6, 2, v6
	v_addc_co_u32_e64 v9, s[2:3], 0, v9, s[2:3]
	v_cmp_le_i32_e64 s[2:3], s20, v6
	v_add_u32_e32 v10, 16, v10
	s_or_b64 s[12:13], s[2:3], s[12:13]
	v_add_u32_e32 v7, 64, v7
	s_andn2_b64 exec, exec, s[12:13]
	s_cbranch_execz .LBB73_58
.LBB73_52:                              ; =>This Inner Loop Header: Depth=1
	v_sub_u32_e32 v3, 0, v10
	v_max_i32_e32 v3, v10, v3
	v_mul_hi_u32 v4, v3, s48
	v_mul_lo_u32 v5, v4, s33
	v_sub_u32_e32 v3, v3, v5
	v_add_u32_e32 v5, 1, v4
	v_cmp_le_u32_e64 s[2:3], s33, v3
	v_cndmask_b32_e64 v4, v4, v5, s[2:3]
	v_subrev_u32_e32 v5, s33, v3
	v_cndmask_b32_e64 v3, v3, v5, s[2:3]
	v_ashrrev_i32_e32 v2, 31, v10
	v_add_u32_e32 v5, 1, v4
	v_cmp_le_u32_e64 s[2:3], s33, v3
	v_xor_b32_e32 v2, s23, v2
	v_cndmask_b32_e64 v3, v4, v5, s[2:3]
	v_xor_b32_e32 v3, v3, v2
	v_sub_u32_e32 v2, v3, v2
	v_add_u32_e32 v3, s49, v2
	v_sub_u32_e32 v5, 0, v3
	v_ashrrev_i32_e32 v4, 31, v3
	v_max_i32_e32 v3, v3, v5
	v_mul_hi_u32 v5, v3, v14
	v_mul_lo_u32 v5, v5, s22
	v_sub_u32_e32 v3, v3, v5
	v_subrev_u32_e32 v5, s22, v3
	v_cmp_le_u32_e64 s[2:3], s22, v3
	v_cndmask_b32_e64 v3, v3, v5, s[2:3]
	v_subrev_u32_e32 v5, s22, v3
	v_cmp_le_u32_e64 s[2:3], s22, v3
	v_cndmask_b32_e64 v3, v3, v5, s[2:3]
	v_xor_b32_e32 v3, v3, v4
	v_sub_u32_e32 v3, v3, v4
	v_cmp_eq_u32_e64 s[2:3], 0, v3
	v_cmp_lt_i32_e64 s[4:5], s9, v2
	s_or_b64 s[2:3], s[2:3], s[4:5]
	s_and_saveexec_b64 s[16:17], s[2:3]
	s_cbranch_execz .LBB73_51
; %bb.53:                               ;   in Loop: Header=BB73_52 Depth=1
	global_load_dword v20, v[8:9], off
	ds_read2_b64 v[2:5], v7 offset1:1
	ds_read2_b64 v[26:29], v7 offset0:2 offset1:3
	v_mov_b32_e32 v21, s24
	s_waitcnt lgkmcnt(1)
	;;#ASMSTART
	v_cvt_f16_f32 v17, v2;

	;;#ASMEND
	;;#ASMSTART
	v_cvt_f16_f32 v18, v3;

	;;#ASMEND
	;; [unrolled: 4-line block ×4, first 2 shown]
	s_waitcnt lgkmcnt(0)
	;;#ASMSTART
	v_cvt_f16_f32 v25, v26;

	;;#ASMEND
	;;#ASMSTART
	v_cvt_f16_f32 v26, v27;

	;;#ASMEND
	;; [unrolled: 4-line block ×4, first 2 shown]
	s_waitcnt vmcnt(0)
	v_mad_i64_i32 v[2:3], s[2:3], v20, s11, 0
	v_lshlrev_b64 v[2:3], 1, v[2:3]
	v_add_co_u32_e64 v20, s[2:3], s21, v2
	v_addc_co_u32_e64 v21, s[2:3], v21, v3, s[2:3]
	v_add_co_u32_e64 v2, s[2:3], v20, v15
	v_addc_co_u32_e64 v3, s[2:3], 0, v21, s[2:3]
	global_load_dwordx4 v[2:5], v[2:3], off
	v_cmp_eq_u32_e64 s[2:3], s25, v6
	s_and_saveexec_b64 s[18:19], s[2:3]
	s_cbranch_execz .LBB73_55
; %bb.54:                               ;   in Loop: Header=BB73_52 Depth=1
	v_or_b32_e32 v32, 7, v10
	v_or_b32_e32 v33, 6, v10
	s_waitcnt vmcnt(0)
	v_lshrrev_b32_e32 v34, 16, v5
	v_cmp_gt_i32_e64 s[4:5], s41, v32
	v_cndmask_b32_e64 v32, 0, v34, s[4:5]
	v_cmp_gt_i32_e64 s[4:5], s40, v33
	v_or_b32_e32 v30, 5, v10
	v_cndmask_b32_e64 v5, 0, v5, s[4:5]
	v_or_b32_e32 v31, 4, v10
	v_perm_b32 v5, v32, v5, s34
	v_lshrrev_b32_e32 v32, 16, v4
	v_cmp_gt_i32_e64 s[4:5], s39, v30
	v_cndmask_b32_e64 v30, 0, v32, s[4:5]
	v_cmp_gt_i32_e64 s[4:5], s38, v31
	v_or_b32_e32 v24, 3, v10
	v_cndmask_b32_e64 v4, 0, v4, s[4:5]
	v_or_b32_e32 v29, 2, v10
	v_perm_b32 v4, v30, v4, s34
	v_lshrrev_b32_e32 v30, 16, v3
	v_cmp_gt_i32_e64 s[4:5], s30, v24
	v_cndmask_b32_e64 v24, 0, v30, s[4:5]
	v_cmp_gt_i32_e64 s[4:5], s27, v29
	v_add_u32_e32 v23, 1, v10
	v_cndmask_b32_e64 v3, 0, v3, s[4:5]
	v_perm_b32 v3, v24, v3, s34
	v_lshrrev_b32_e32 v24, 16, v2
	v_cmp_gt_i32_e64 s[4:5], s26, v23
	v_cndmask_b32_e64 v23, 0, v24, s[4:5]
	v_cmp_gt_i32_e64 s[4:5], s31, v10
	v_cndmask_b32_e64 v2, 0, v2, s[4:5]
	v_perm_b32 v2, v23, v2, s34
.LBB73_55:                              ;   in Loop: Header=BB73_52 Depth=1
	s_or_b64 exec, exec, s[18:19]
	v_and_b32_e32 v17, 0xffff, v17
	v_lshl_or_b32 v24, v18, 16, v17
	v_and_b32_e32 v17, 0xffff, v19
	v_lshl_or_b32 v23, v22, 16, v17
	;; [unrolled: 2-line block ×3, first 2 shown]
	v_and_b32_e32 v17, 0xffff, v27
	s_waitcnt vmcnt(0)
	;;#ASMSTART
	v_pk_mul_f16 v2, v24, v2;

	;;#ASMEND
	v_lshl_or_b32 v19, v28, 16, v17
	;;#ASMSTART
	v_pk_mul_f16 v3, v23, v3;

	;;#ASMEND
	;;#ASMSTART
	v_pk_mul_f16 v4, v22, v4;

	;;#ASMEND
	;; [unrolled: 4-line block ×3, first 2 shown]
	;;#ASMSTART
	v_pk_add_f16 v2, v2, v3;

	;;#ASMEND
	;;#ASMSTART
	v_pk_add_f16 v2, v2, v4;

	;;#ASMEND
	;; [unrolled: 4-line block ×3, first 2 shown]
	v_lshrrev_b32_e32 v3, 16, v2
	v_and_b32_e32 v2, 0xffff, v2
	;;#ASMSTART
	v_cvt_f32_f16 v17, v2;
	;;#ASMEND
	;;#ASMSTART
	v_cvt_f32_f16 v18, v3;
	;;#ASMEND
	s_and_saveexec_b64 s[18:19], vcc
	s_cbranch_execz .LBB73_50
; %bb.56:                               ;   in Loop: Header=BB73_52 Depth=1
	v_add_co_u32_e64 v2, s[4:5], v20, v16
	v_addc_co_u32_e64 v3, s[4:5], 0, v21, s[4:5]
	global_load_dwordx4 v[2:5], v[2:3], off
	s_and_saveexec_b64 s[4:5], s[2:3]
	s_cbranch_execz .LBB73_49
; %bb.57:                               ;   in Loop: Header=BB73_52 Depth=1
	v_or_b32_e32 v28, 7, v10
	v_or_b32_e32 v29, 6, v10
	s_waitcnt vmcnt(0)
	v_lshrrev_b32_e32 v30, 16, v5
	v_cmp_gt_i32_e64 s[2:3], s41, v28
	v_cndmask_b32_e64 v28, 0, v30, s[2:3]
	v_cmp_gt_i32_e64 s[2:3], s40, v29
	v_or_b32_e32 v26, 5, v10
	v_cndmask_b32_e64 v5, 0, v5, s[2:3]
	v_or_b32_e32 v27, 4, v10
	v_perm_b32 v5, v28, v5, s34
	v_lshrrev_b32_e32 v28, 16, v4
	v_cmp_gt_i32_e64 s[2:3], s39, v26
	v_cndmask_b32_e64 v26, 0, v28, s[2:3]
	v_cmp_gt_i32_e64 s[2:3], s38, v27
	v_or_b32_e32 v21, 3, v10
	v_cndmask_b32_e64 v4, 0, v4, s[2:3]
	v_or_b32_e32 v25, 2, v10
	v_perm_b32 v4, v26, v4, s34
	v_lshrrev_b32_e32 v26, 16, v3
	v_cmp_gt_i32_e64 s[2:3], s30, v21
	v_cndmask_b32_e64 v21, 0, v26, s[2:3]
	v_cmp_gt_i32_e64 s[2:3], s27, v25
	v_add_u32_e32 v20, 1, v10
	v_cndmask_b32_e64 v3, 0, v3, s[2:3]
	v_perm_b32 v3, v21, v3, s34
	v_lshrrev_b32_e32 v21, 16, v2
	v_cmp_gt_i32_e64 s[2:3], s26, v20
	v_cndmask_b32_e64 v20, 0, v21, s[2:3]
	v_cmp_gt_i32_e64 s[2:3], s31, v10
	v_cndmask_b32_e64 v2, 0, v2, s[2:3]
	v_perm_b32 v2, v20, v2, s34
	s_branch .LBB73_49
.LBB73_58:
	s_or_b64 exec, exec, s[12:13]
.LBB73_59:
	s_or_b64 exec, exec, s[6:7]
	v_and_b32_e32 v2, 0x3c0, v0
	v_cmp_eq_u32_e32 vcc, 64, v2
	s_barrier
	s_and_saveexec_b64 s[2:3], vcc
	s_cbranch_execz .LBB73_62
; %bb.60:
	v_mov_b32_e32 v2, 0x100
	v_lshl_add_u32 v3, v11, 2, v2
	ds_write_b32 v3, v13
	s_and_b64 exec, exec, s[0:1]
	s_cbranch_execz .LBB73_62
; %bb.61:
	v_lshl_add_u32 v2, v0, 2, v2
	ds_write_b32 v2, v12
.LBB73_62:
	s_or_b64 exec, exec, s[2:3]
	v_cmp_gt_u32_e32 vcc, 64, v0
	v_or_b32_e32 v2, 64, v0
	s_waitcnt lgkmcnt(0)
	s_barrier
	s_and_saveexec_b64 s[2:3], vcc
	s_cbranch_execz .LBB73_66
; %bb.63:
	v_mov_b32_e32 v3, 0x100
	v_lshl_add_u32 v3, v0, 2, v3
	ds_read_b32 v0, v3
	s_movk_i32 s0, 0x78
	v_cmp_gt_u32_e64 s[0:1], s0, v2
	s_and_saveexec_b64 s[4:5], s[0:1]
	s_cbranch_execz .LBB73_65
; %bb.64:
	ds_read_b32 v3, v3 offset:256
	s_waitcnt lgkmcnt(0)
	v_add_f32_e32 v12, v12, v3
.LBB73_65:
	s_or_b64 exec, exec, s[4:5]
	s_waitcnt lgkmcnt(0)
	v_add_f32_e32 v13, v13, v0
.LBB73_66:
	s_or_b64 exec, exec, s[2:3]
	s_barrier
	s_and_saveexec_b64 s[0:1], vcc
	s_cbranch_execz .LBB73_69
; %bb.67:
	s_mul_i32 s0, s10, 0x78
	s_ashr_i32 s1, s0, 31
	s_lshl_b64 s[0:1], s[0:1], 1
	s_add_u32 s3, s28, s0
	s_mul_i32 s0, s15, s14
	s_addc_u32 s4, s29, s1
	s_ashr_i32 s1, s0, 31
	s_lshl_b64 s[0:1], s[0:1], 1
	s_add_u32 s3, s3, s0
	s_mul_i32 s0, s8, 0x78
	s_addc_u32 s4, s4, s1
	s_ashr_i32 s1, s0, 31
	s_lshl_b64 s[0:1], s[0:1], 1
	s_movk_i32 s2, 0x78
	s_add_u32 s0, s3, s0
	s_addc_u32 s1, s4, s1
	v_cmp_gt_u32_e32 vcc, s2, v2
	;;#ASMSTART
	v_cvt_f16_f32 v0, v13;

	;;#ASMEND
	global_store_short v1, v0, s[0:1]
	s_and_b64 exec, exec, vcc
	s_cbranch_execz .LBB73_69
; %bb.68:
	v_mov_b32_e32 v2, s1
	v_add_co_u32_e32 v0, vcc, s0, v1
	v_addc_co_u32_e32 v1, vcc, 0, v2, vcc
	;;#ASMSTART
	v_cvt_f16_f32 v2, v12;

	;;#ASMEND
	global_store_short v[0:1], v2, off offset:128
.LBB73_69:
	s_endpgm
	.section	.rodata,"a",@progbits
	.p2align	6, 0x0
	.amdhsa_kernel _ZN4vllm25paged_attention_v2_kernelIttLi120ELi8ELi128ELNS_18Fp8KVCacheDataTypeE0ELb1ELi512EEEvPfS2_PT_PKS3_PKT0_S9_ifPKiSB_iPKfiiiSD_SD_iiiii
		.amdhsa_group_segment_fixed_size 256
		.amdhsa_private_segment_fixed_size 0
		.amdhsa_kernarg_size 400
		.amdhsa_user_sgpr_count 6
		.amdhsa_user_sgpr_private_segment_buffer 1
		.amdhsa_user_sgpr_dispatch_ptr 0
		.amdhsa_user_sgpr_queue_ptr 0
		.amdhsa_user_sgpr_kernarg_segment_ptr 1
		.amdhsa_user_sgpr_dispatch_id 0
		.amdhsa_user_sgpr_flat_scratch_init 0
		.amdhsa_user_sgpr_kernarg_preload_length 0
		.amdhsa_user_sgpr_kernarg_preload_offset 0
		.amdhsa_user_sgpr_private_segment_size 0
		.amdhsa_uses_dynamic_stack 0
		.amdhsa_system_sgpr_private_segment_wavefront_offset 0
		.amdhsa_system_sgpr_workgroup_id_x 1
		.amdhsa_system_sgpr_workgroup_id_y 1
		.amdhsa_system_sgpr_workgroup_id_z 1
		.amdhsa_system_sgpr_workgroup_info 0
		.amdhsa_system_vgpr_workitem_id 0
		.amdhsa_next_free_vgpr 53
		.amdhsa_next_free_sgpr 54
		.amdhsa_accum_offset 56
		.amdhsa_reserve_vcc 1
		.amdhsa_reserve_flat_scratch 0
		.amdhsa_float_round_mode_32 0
		.amdhsa_float_round_mode_16_64 0
		.amdhsa_float_denorm_mode_32 3
		.amdhsa_float_denorm_mode_16_64 3
		.amdhsa_dx10_clamp 1
		.amdhsa_ieee_mode 1
		.amdhsa_fp16_overflow 0
		.amdhsa_tg_split 0
		.amdhsa_exception_fp_ieee_invalid_op 0
		.amdhsa_exception_fp_denorm_src 0
		.amdhsa_exception_fp_ieee_div_zero 0
		.amdhsa_exception_fp_ieee_overflow 0
		.amdhsa_exception_fp_ieee_underflow 0
		.amdhsa_exception_fp_ieee_inexact 0
		.amdhsa_exception_int_div_zero 0
	.end_amdhsa_kernel
	.section	.text._ZN4vllm25paged_attention_v2_kernelIttLi120ELi8ELi128ELNS_18Fp8KVCacheDataTypeE0ELb1ELi512EEEvPfS2_PT_PKS3_PKT0_S9_ifPKiSB_iPKfiiiSD_SD_iiiii,"axG",@progbits,_ZN4vllm25paged_attention_v2_kernelIttLi120ELi8ELi128ELNS_18Fp8KVCacheDataTypeE0ELb1ELi512EEEvPfS2_PT_PKS3_PKT0_S9_ifPKiSB_iPKfiiiSD_SD_iiiii,comdat
.Lfunc_end73:
	.size	_ZN4vllm25paged_attention_v2_kernelIttLi120ELi8ELi128ELNS_18Fp8KVCacheDataTypeE0ELb1ELi512EEEvPfS2_PT_PKS3_PKT0_S9_ifPKiSB_iPKfiiiSD_SD_iiiii, .Lfunc_end73-_ZN4vllm25paged_attention_v2_kernelIttLi120ELi8ELi128ELNS_18Fp8KVCacheDataTypeE0ELb1ELi512EEEvPfS2_PT_PKS3_PKT0_S9_ifPKiSB_iPKfiiiSD_SD_iiiii
                                        ; -- End function
	.section	.AMDGPU.csdata,"",@progbits
; Kernel info:
; codeLenInByte = 5496
; NumSgprs: 58
; NumVgprs: 53
; NumAgprs: 0
; TotalNumVgprs: 53
; ScratchSize: 0
; MemoryBound: 0
; FloatMode: 240
; IeeeMode: 1
; LDSByteSize: 256 bytes/workgroup (compile time only)
; SGPRBlocks: 7
; VGPRBlocks: 6
; NumSGPRsForWavesPerEU: 58
; NumVGPRsForWavesPerEU: 53
; AccumOffset: 56
; Occupancy: 8
; WaveLimiterHint : 1
; COMPUTE_PGM_RSRC2:SCRATCH_EN: 0
; COMPUTE_PGM_RSRC2:USER_SGPR: 6
; COMPUTE_PGM_RSRC2:TRAP_HANDLER: 0
; COMPUTE_PGM_RSRC2:TGID_X_EN: 1
; COMPUTE_PGM_RSRC2:TGID_Y_EN: 1
; COMPUTE_PGM_RSRC2:TGID_Z_EN: 1
; COMPUTE_PGM_RSRC2:TIDIG_COMP_CNT: 0
; COMPUTE_PGM_RSRC3_GFX90A:ACCUM_OFFSET: 13
; COMPUTE_PGM_RSRC3_GFX90A:TG_SPLIT: 0
	.section	.text._ZN4vllm32paged_attention_v2_reduce_kernelItLi120ELi128ELi512EEEvPT_PKfS4_PKS1_PKii,"axG",@progbits,_ZN4vllm32paged_attention_v2_reduce_kernelItLi120ELi128ELi512EEEvPT_PKfS4_PKS1_PKii,comdat
	.protected	_ZN4vllm32paged_attention_v2_reduce_kernelItLi120ELi128ELi512EEEvPT_PKfS4_PKS1_PKii ; -- Begin function _ZN4vllm32paged_attention_v2_reduce_kernelItLi120ELi128ELi512EEEvPT_PKfS4_PKS1_PKii
	.globl	_ZN4vllm32paged_attention_v2_reduce_kernelItLi120ELi128ELi512EEEvPT_PKfS4_PKS1_PKii
	.p2align	8
	.type	_ZN4vllm32paged_attention_v2_reduce_kernelItLi120ELi128ELi512EEEvPT_PKfS4_PKS1_PKii,@function
_ZN4vllm32paged_attention_v2_reduce_kernelItLi120ELi128ELi512EEEvPT_PKfS4_PKS1_PKii: ; @_ZN4vllm32paged_attention_v2_reduce_kernelItLi120ELi128ELi512EEEvPT_PKfS4_PKS1_PKii
; %bb.0:
	s_load_dwordx4 s[8:11], s[4:5], 0x18
	s_add_u32 s12, s4, 48
	s_mov_b32 s14, s7
	s_addc_u32 s13, s5, 0
	s_ashr_i32 s15, s7, 31
	s_lshl_b64 s[0:1], s[14:15], 2
	s_waitcnt lgkmcnt(0)
	s_add_u32 s0, s10, s0
	s_addc_u32 s1, s11, s1
	s_load_dword s24, s[0:1], 0x0
	s_load_dwordx2 s[10:11], s[4:5], 0x0
	s_load_dword s7, s[4:5], 0x28
	s_load_dword s15, s[4:5], 0x30
	s_waitcnt lgkmcnt(0)
	s_add_i32 s0, s24, -1
	s_cmpk_gt_u32 s0, 0x1ff
	s_mov_b64 s[0:1], -1
	s_cbranch_scc0 .LBB74_25
; %bb.1:
	s_add_i32 s0, s24, 0x1ff
	s_load_dwordx2 s[20:21], s[4:5], 0x8
	s_ashr_i32 s1, s0, 31
	s_lshr_b32 s1, s1, 23
	s_add_i32 s0, s0, s1
	s_mul_i32 s22, s15, s14
	s_ashr_i32 s23, s0, 9
	s_mul_i32 s16, s22, s7
	s_mul_i32 s18, s6, s7
	s_ashr_i32 s17, s16, 31
	s_ashr_i32 s19, s18, 31
	v_cmp_gt_i32_e32 vcc, s23, v0
	v_mov_b32_e32 v5, 0xff7fffff
	v_lshlrev_b32_e32 v1, 2, v0
	s_and_saveexec_b64 s[2:3], vcc
	s_cbranch_execz .LBB74_5
; %bb.2:
	s_load_dword s25, s[12:13], 0xc
	s_load_dwordx2 s[0:1], s[4:5], 0x10
	s_lshl_b64 s[4:5], s[16:17], 2
	s_lshl_b64 s[26:27], s[18:19], 2
	s_mov_b32 s28, 0
	s_waitcnt lgkmcnt(0)
	s_and_b32 s25, s25, 0xffff
	s_add_u32 s4, s4, s26
	s_addc_u32 s5, s5, s27
	s_add_u32 s0, s0, s4
	s_addc_u32 s1, s1, s5
	v_mov_b32_e32 v3, s1
	v_add_co_u32_e64 v2, s[0:1], s0, v1
	v_addc_co_u32_e64 v3, s[0:1], 0, v3, s[0:1]
	s_lshl_b32 s26, s25, 2
	v_add_u32_e32 v4, 16, v1
	s_mov_b64 s[4:5], 0
	v_mov_b32_e32 v5, 0xff7fffff
	v_mov_b32_e32 v6, s28
	;; [unrolled: 1-line block ×3, first 2 shown]
.LBB74_3:                               ; =>This Inner Loop Header: Depth=1
	global_load_dword v8, v[2:3], off
	v_add_co_u32_e64 v2, s[0:1], s26, v2
	v_add_u32_e32 v7, s25, v7
	v_addc_co_u32_e64 v3, s[0:1], v3, v6, s[0:1]
	v_max_f32_e32 v5, v5, v5
	v_cmp_le_i32_e64 s[0:1], s23, v7
	s_or_b64 s[4:5], s[0:1], s[4:5]
	s_waitcnt vmcnt(0)
	ds_write_b32 v4, v8
	v_max_f32_e32 v8, v8, v8
	v_add_u32_e32 v4, s26, v4
	v_max_f32_e32 v5, v5, v8
	s_andn2_b64 exec, exec, s[4:5]
	s_cbranch_execnz .LBB74_3
; %bb.4:
	s_or_b64 exec, exec, s[4:5]
.LBB74_5:
	s_or_b64 exec, exec, s[2:3]
	v_mbcnt_lo_u32_b32 v2, -1, 0
	v_mbcnt_hi_u32_b32 v2, -1, v2
	v_and_b32_e32 v3, 64, v2
	v_add_u32_e32 v6, 64, v3
	v_xor_b32_e32 v3, 32, v2
	v_cmp_lt_i32_e64 s[0:1], v3, v6
	v_cndmask_b32_e64 v3, v2, v3, s[0:1]
	v_lshlrev_b32_e32 v4, 2, v3
	ds_bpermute_b32 v3, v4, v5
	v_xor_b32_e32 v7, 16, v2
	v_max_f32_e32 v5, v5, v5
	v_cmp_lt_i32_e64 s[0:1], v7, v6
	v_xor_b32_e32 v8, 8, v2
	s_waitcnt lgkmcnt(0)
	v_max_f32_e32 v3, v3, v3
	v_max_f32_e32 v3, v5, v3
	v_cndmask_b32_e64 v5, v2, v7, s[0:1]
	v_lshlrev_b32_e32 v5, 2, v5
	ds_bpermute_b32 v7, v5, v3
	v_cmp_lt_i32_e64 s[0:1], v8, v6
	v_xor_b32_e32 v9, 4, v2
	v_xor_b32_e32 v10, 2, v2
	v_lshrrev_b32_e32 v13, 6, v0
	s_waitcnt lgkmcnt(0)
	v_max_f32_e32 v7, v7, v7
	v_max_f32_e32 v3, v3, v7
	v_cndmask_b32_e64 v7, v2, v8, s[0:1]
	v_lshlrev_b32_e32 v7, 2, v7
	ds_bpermute_b32 v8, v7, v3
	v_cmp_lt_i32_e64 s[0:1], v9, v6
	s_waitcnt lgkmcnt(0)
	s_barrier
	v_max_f32_e32 v8, v8, v8
	v_max_f32_e32 v3, v3, v8
	v_cndmask_b32_e64 v8, v2, v9, s[0:1]
	v_lshlrev_b32_e32 v8, 2, v8
	ds_bpermute_b32 v9, v8, v3
	v_cmp_lt_i32_e64 s[0:1], v10, v6
	s_waitcnt lgkmcnt(0)
	v_max_f32_e32 v9, v9, v9
	v_max_f32_e32 v11, v3, v9
	v_cndmask_b32_e64 v3, v2, v10, s[0:1]
	v_lshlrev_b32_e32 v9, 2, v3
	ds_bpermute_b32 v10, v9, v11
	v_and_b32_e32 v3, 63, v0
	s_waitcnt lgkmcnt(0)
	v_max_f32_e32 v10, v10, v10
	v_max_f32_e32 v11, v11, v10
	v_xor_b32_e32 v10, 1, v2
	v_cmp_lt_i32_e64 s[0:1], v10, v6
	v_cndmask_b32_e64 v6, v2, v10, s[0:1]
	v_lshlrev_b32_e32 v6, 2, v6
	ds_bpermute_b32 v12, v6, v11
	v_cmp_eq_u32_e64 s[0:1], 0, v3
	v_lshlrev_b32_e32 v10, 2, v13
	s_and_saveexec_b64 s[2:3], s[0:1]
	s_cbranch_execz .LBB74_7
; %bb.6:
	s_waitcnt lgkmcnt(0)
	v_max_f32_e32 v12, v12, v12
	v_max_f32_e32 v11, v11, v11
	;; [unrolled: 1-line block ×3, first 2 shown]
	ds_write_b32 v10, v11
.LBB74_7:
	s_or_b64 exec, exec, s[2:3]
	v_cmp_gt_u32_e64 s[2:3], 2, v3
	s_waitcnt lgkmcnt(0)
	v_mov_b32_e32 v12, 0xff7fffff
	v_lshlrev_b32_e32 v11, 2, v3
	s_barrier
	s_and_saveexec_b64 s[4:5], s[2:3]
	s_cbranch_execz .LBB74_9
; %bb.8:
	ds_read_b32 v12, v11
.LBB74_9:
	s_or_b64 exec, exec, s[4:5]
	s_waitcnt lgkmcnt(0)
	ds_bpermute_b32 v3, v6, v12
	v_max_f32_e32 v12, v12, v12
	v_lshlrev_b32_e32 v2, 2, v2
	s_lshl_b32 s25, s23, 2
	v_mov_b32_e32 v14, 0
	s_waitcnt lgkmcnt(0)
	v_max_f32_e32 v3, v3, v3
	v_max_f32_e32 v3, v12, v3
	v_and_b32_e32 v12, 0x100, v2
	ds_bpermute_b32 v13, v12, v3
	s_and_saveexec_b64 s[4:5], vcc
	s_cbranch_execz .LBB74_13
; %bb.10:
	s_load_dword s30, s[12:13], 0xc
	s_lshl_b64 s[26:27], s[16:17], 2
	s_lshl_b64 s[28:29], s[18:19], 2
	s_mov_b32 s31, 0
	v_mov_b32_e32 v14, 0
	s_waitcnt lgkmcnt(0)
	s_and_b32 s17, s30, 0xffff
	s_add_u32 s19, s26, s28
	s_addc_u32 s26, s27, s29
	s_add_u32 s19, s20, s19
	s_addc_u32 s20, s21, s26
	v_mov_b32_e32 v3, s20
	v_add_co_u32_e32 v2, vcc, s19, v1
	v_addc_co_u32_e32 v3, vcc, 0, v3, vcc
	s_lshl_b32 s19, s17, 2
	v_add_u32_e32 v1, 16, v1
	s_mov_b64 s[20:21], 0
	s_mov_b32 s26, 0x3fb8aa3b
	s_mov_b32 s27, 0xc2ce8ed0
	;; [unrolled: 1-line block ×3, first 2 shown]
	v_mov_b32_e32 v15, 0x7f800000
	v_mov_b32_e32 v16, s31
	;; [unrolled: 1-line block ×3, first 2 shown]
.LBB74_11:                              ; =>This Inner Loop Header: Depth=1
	global_load_dword v18, v[2:3], off
	ds_read_b32 v19, v1
	v_add_co_u32_e32 v2, vcc, s19, v2
	v_add_u32_e32 v17, s17, v17
	v_addc_co_u32_e32 v3, vcc, v3, v16, vcc
	s_waitcnt lgkmcnt(0)
	v_sub_f32_e32 v19, v19, v13
	v_mul_f32_e32 v21, 0x3fb8aa3b, v19
	v_fma_f32 v22, v19, s26, -v21
	v_rndne_f32_e32 v23, v21
	v_fmac_f32_e32 v22, 0x32a5705f, v19
	v_sub_f32_e32 v21, v21, v23
	v_add_f32_e32 v21, v21, v22
	v_cvt_i32_f32_e32 v23, v23
	v_exp_f32_e32 v21, v21
	v_cmp_le_i32_e32 vcc, s23, v17
	s_or_b64 s[20:21], vcc, s[20:21]
	v_cmp_ngt_f32_e32 vcc, s27, v19
	v_ldexp_f32 v21, v21, v23
	v_cndmask_b32_e32 v21, 0, v21, vcc
	v_cmp_nlt_f32_e32 vcc, s28, v19
	v_cndmask_b32_e32 v19, v15, v21, vcc
	v_add_u32_e32 v20, s25, v1
	v_add_u32_e32 v1, s19, v1
	s_waitcnt vmcnt(0)
	v_mul_f32_e32 v21, v18, v19
	v_fmac_f32_e32 v14, v18, v19
	ds_write_b32 v20, v21
	s_andn2_b64 exec, exec, s[20:21]
	s_cbranch_execnz .LBB74_11
; %bb.12:
	s_or_b64 exec, exec, s[20:21]
.LBB74_13:
	s_or_b64 exec, exec, s[4:5]
	ds_bpermute_b32 v1, v4, v14
	s_waitcnt lgkmcnt(0)
	s_barrier
	v_add_f32_e32 v1, v14, v1
	ds_bpermute_b32 v2, v5, v1
	s_waitcnt lgkmcnt(0)
	v_add_f32_e32 v1, v1, v2
	ds_bpermute_b32 v2, v7, v1
	s_waitcnt lgkmcnt(0)
	v_add_f32_e32 v1, v1, v2
	ds_bpermute_b32 v2, v8, v1
	s_waitcnt lgkmcnt(0)
	v_add_f32_e32 v1, v1, v2
	ds_bpermute_b32 v2, v9, v1
	s_waitcnt lgkmcnt(0)
	v_add_f32_e32 v1, v1, v2
	ds_bpermute_b32 v2, v6, v1
	s_waitcnt lgkmcnt(0)
	v_add_f32_e32 v1, v1, v2
	s_and_saveexec_b64 s[4:5], s[0:1]
	s_cbranch_execz .LBB74_15
; %bb.14:
	ds_write_b32 v10, v1 offset:8
.LBB74_15:
	s_or_b64 exec, exec, s[4:5]
	s_waitcnt lgkmcnt(0)
	s_barrier
	s_and_saveexec_b64 s[0:1], s[2:3]
	s_cbranch_execz .LBB74_17
; %bb.16:
	ds_read_b32 v1, v11 offset:8
.LBB74_17:
	s_or_b64 exec, exec, s[0:1]
	s_waitcnt lgkmcnt(0)
	ds_bpermute_b32 v2, v6, v1
	s_movk_i32 s0, 0x78
	v_cmp_gt_u32_e32 vcc, s0, v0
	s_waitcnt lgkmcnt(0)
	v_add_f32_e32 v1, v1, v2
	ds_bpermute_b32 v2, v12, v1
	s_and_saveexec_b64 s[0:1], vcc
	s_cbranch_execz .LBB74_24
; %bb.18:
	s_cmp_gt_i32 s24, 0
	s_mov_b32 s4, 0
	s_cbranch_scc1 .LBB74_20
; %bb.19:
	v_mov_b32_e32 v1, 0
	v_mov_b32_e32 v4, s4
	s_cbranch_execz .LBB74_21
	s_branch .LBB74_23
.LBB74_20:
                                        ; implicit-def: $sgpr4
	v_mov_b32_e32 v4, s4
.LBB74_21:
	s_waitcnt lgkmcnt(0)
	v_add_f32_e32 v1, 0x358637bd, v2
	v_div_scale_f32 v2, s[2:3], v1, v1, 1.0
	v_rcp_f32_e32 v3, v2
	s_mul_i32 s4, s16, 0x78
	s_mul_i32 s16, s18, 0x78
	s_ashr_i32 s5, s4, 31
	v_fma_f32 v4, -v2, v3, 1.0
	v_fmac_f32_e32 v3, v4, v3
	v_div_scale_f32 v4, vcc, 1.0, v1, 1.0
	v_mul_f32_e32 v5, v4, v3
	s_ashr_i32 s17, s16, 31
	s_max_i32 s2, s23, 1
	v_fma_f32 v6, -v2, v5, v4
	s_add_i32 s3, s25, 16
	s_lshl_b64 s[4:5], s[4:5], 1
	s_lshl_b64 s[16:17], s[16:17], 1
	v_fmac_f32_e32 v5, v6, v3
	s_add_u32 s4, s4, s16
	v_fma_f32 v2, -v2, v5, v4
	s_addc_u32 s5, s5, s17
	v_div_fmas_f32 v2, v2, v3, v5
	s_add_u32 s4, s8, s4
	v_div_fixup_f32 v5, v2, v1, 1.0
	v_lshlrev_b32_e32 v2, 1, v0
	s_addc_u32 s5, s9, s5
	v_mov_b32_e32 v1, 0
	v_mov_b32_e32 v3, s5
	v_add_co_u32_e32 v2, vcc, s4, v2
	v_addc_co_u32_e32 v3, vcc, 0, v3, vcc
	v_mov_b32_e32 v4, v1
.LBB74_22:                              ; =>This Inner Loop Header: Depth=1
	global_load_ushort v6, v[2:3], off
	v_mov_b32_e32 v7, s3
	s_waitcnt vmcnt(0)
	;;#ASMSTART
	v_cvt_f32_f16 v6, v6;
	;;#ASMEND
	ds_read_b32 v7, v7
	s_add_i32 s2, s2, -1
	v_add_co_u32_e32 v2, vcc, 0xf0, v2
	s_add_i32 s3, s3, 4
	s_waitcnt lgkmcnt(0)
	v_mul_f32_e32 v6, v6, v7
	v_addc_co_u32_e32 v3, vcc, 0, v3, vcc
	s_cmp_eq_u32 s2, 0
	v_fmac_f32_e32 v4, v5, v6
	s_cbranch_scc0 .LBB74_22
.LBB74_23:
	s_mul_i32 s2, s22, 0x78
	s_ashr_i32 s3, s2, 31
	s_lshl_b64 s[2:3], s[2:3], 1
	s_add_u32 s4, s10, s2
	s_mul_i32 s2, s6, 0x78
	s_addc_u32 s5, s11, s3
	s_ashr_i32 s3, s2, 31
	s_lshl_b64 s[2:3], s[2:3], 1
	s_add_u32 s2, s4, s2
	s_addc_u32 s3, s5, s3
	s_waitcnt lgkmcnt(0)
	v_lshlrev_b64 v[2:3], 1, v[0:1]
	v_mov_b32_e32 v1, s3
	v_add_co_u32_e32 v2, vcc, s2, v2
	v_addc_co_u32_e32 v3, vcc, v1, v3, vcc
	;;#ASMSTART
	v_cvt_f16_f32 v1, v4;

	;;#ASMEND
	global_store_short v[2:3], v1, off
.LBB74_24:
	s_or_b64 exec, exec, s[0:1]
	s_mov_b64 s[0:1], 0
.LBB74_25:
	s_and_b64 vcc, exec, s[0:1]
	s_cbranch_vccz .LBB74_34
; %bb.26:
	s_movk_i32 s0, 0x78
	v_cmp_gt_u32_e32 vcc, s0, v0
	s_and_saveexec_b64 s[2:3], vcc
	s_cbranch_execz .LBB74_34
; %bb.27:
	s_mul_i32 s1, s15, s14
	s_mul_i32 s2, s1, 0x78
	s_ashr_i32 s3, s2, 31
	s_lshl_b64 s[4:5], s[2:3], 1
	s_add_u32 s1, s10, s4
	s_mul_i32 s14, s6, 0x78
	s_addc_u32 s3, s11, s5
	s_ashr_i32 s15, s14, 31
	s_lshl_b64 s[4:5], s[14:15], 1
	s_add_u32 s4, s1, s4
	s_mul_i32 s2, s2, s7
	s_addc_u32 s10, s3, s5
	s_ashr_i32 s3, s2, 31
	s_lshl_b64 s[2:3], s[2:3], 1
	s_add_u32 s1, s8, s2
	s_load_dword s8, s[12:13], 0xc
	s_mul_i32 s2, s14, s7
	s_addc_u32 s6, s9, s3
	s_ashr_i32 s3, s2, 31
	s_lshl_b64 s[2:3], s[2:3], 1
	s_add_u32 s5, s1, s2
	s_addc_u32 s7, s6, s3
	s_waitcnt lgkmcnt(0)
	s_and_b32 s6, s8, 0xffff
	v_cvt_f32_u32_e32 v1, s6
	v_add_u32_e32 v2, s6, v0
	v_mov_b32_e32 v4, s6
	v_cmp_gt_u32_e32 vcc, s0, v2
	v_rcp_iflag_f32_e32 v1, v1
	s_cmp_eq_u32 s6, 1
	v_max_u32_e32 v3, 0x78, v2
	v_addc_co_u32_e64 v2, s[0:1], v0, v4, vcc
	v_mul_f32_e32 v1, 0x4f7ffffe, v1
	v_cvt_u32_f32_e32 v1, v1
	s_cselect_b64 s[2:3], -1, 0
	s_sub_i32 s0, 0, s6
	v_sub_u32_e32 v2, v3, v2
	v_mul_lo_u32 v3, s0, v1
	v_mul_hi_u32 v3, v1, v3
	v_add_u32_e32 v1, v1, v3
	v_mul_hi_u32 v1, v2, v1
	v_mul_lo_u32 v3, v1, s6
	v_sub_u32_e32 v2, v2, v3
	v_add_u32_e32 v3, 1, v1
	v_cmp_le_u32_e64 s[0:1], s6, v2
	v_cndmask_b32_e64 v1, v1, v3, s[0:1]
	v_subrev_u32_e32 v3, s6, v2
	v_cndmask_b32_e64 v2, v2, v3, s[0:1]
	v_add_u32_e32 v3, 1, v1
	v_cmp_le_u32_e64 s[0:1], s6, v2
	v_cndmask_b32_e64 v1, v1, v3, s[0:1]
	v_addc_co_u32_e32 v1, vcc, 1, v1, vcc
	v_cmp_lt_u32_e32 vcc, 7, v1
	s_and_b64 s[8:9], vcc, s[2:3]
	s_mov_b64 s[2:3], -1
	s_and_saveexec_b64 s[0:1], s[8:9]
	s_cbranch_execz .LBB74_31
; %bb.28:
	v_and_b32_e32 v4, -8, v1
	s_mov_b64 s[2:3], 0
	v_mov_b32_e32 v3, 0
	v_mov_b32_e32 v5, s7
	;; [unrolled: 1-line block ×5, first 2 shown]
.LBB74_29:                              ; =>This Inner Loop Header: Depth=1
	v_lshlrev_b64 v[12:13], 1, v[2:3]
	v_add_co_u32_e32 v8, vcc, s5, v12
	v_addc_co_u32_e32 v9, vcc, v5, v13, vcc
	global_load_dwordx4 v[8:11], v[8:9], off
	v_add_co_u32_e32 v12, vcc, s4, v12
	v_add_u32_e32 v7, -8, v7
	v_addc_co_u32_e32 v13, vcc, v6, v13, vcc
	v_cmp_eq_u32_e32 vcc, 0, v7
	v_add_u32_e32 v2, 8, v2
	s_or_b64 s[2:3], vcc, s[2:3]
	s_waitcnt vmcnt(0)
	global_store_dwordx4 v[12:13], v[8:11], off
	s_andn2_b64 exec, exec, s[2:3]
	s_cbranch_execnz .LBB74_29
; %bb.30:
	s_or_b64 exec, exec, s[2:3]
	v_cmp_ne_u32_e32 vcc, v1, v4
	v_add_u32_e32 v0, v0, v4
	s_orn2_b64 s[2:3], vcc, exec
.LBB74_31:
	s_or_b64 exec, exec, s[0:1]
	s_and_b64 exec, exec, s[2:3]
	s_cbranch_execz .LBB74_34
; %bb.32:
	s_mov_b32 s3, 0
	v_mov_b32_e32 v1, 0
	v_lshlrev_b64 v[2:3], 1, v[0:1]
	s_lshl_b32 s2, s6, 1
	s_mov_b64 s[0:1], 0
	v_mov_b32_e32 v1, s7
	v_mov_b32_e32 v4, s10
	;; [unrolled: 1-line block ×3, first 2 shown]
	s_movk_i32 s3, 0x77
.LBB74_33:                              ; =>This Inner Loop Header: Depth=1
	v_add_co_u32_e32 v6, vcc, s5, v2
	v_addc_co_u32_e32 v7, vcc, v1, v3, vcc
	global_load_ushort v8, v[6:7], off
	v_add_co_u32_e32 v6, vcc, s4, v2
	v_addc_co_u32_e32 v7, vcc, v4, v3, vcc
	v_add_co_u32_e32 v2, vcc, s2, v2
	v_add_u32_e32 v0, s6, v0
	v_addc_co_u32_e32 v3, vcc, v3, v5, vcc
	v_cmp_lt_u32_e32 vcc, s3, v0
	s_or_b64 s[0:1], vcc, s[0:1]
	s_waitcnt vmcnt(0)
	global_store_short v[6:7], v8, off
	s_andn2_b64 exec, exec, s[0:1]
	s_cbranch_execnz .LBB74_33
.LBB74_34:
	s_endpgm
	.section	.rodata,"a",@progbits
	.p2align	6, 0x0
	.amdhsa_kernel _ZN4vllm32paged_attention_v2_reduce_kernelItLi120ELi128ELi512EEEvPT_PKfS4_PKS1_PKii
		.amdhsa_group_segment_fixed_size 16
		.amdhsa_private_segment_fixed_size 0
		.amdhsa_kernarg_size 304
		.amdhsa_user_sgpr_count 6
		.amdhsa_user_sgpr_private_segment_buffer 1
		.amdhsa_user_sgpr_dispatch_ptr 0
		.amdhsa_user_sgpr_queue_ptr 0
		.amdhsa_user_sgpr_kernarg_segment_ptr 1
		.amdhsa_user_sgpr_dispatch_id 0
		.amdhsa_user_sgpr_flat_scratch_init 0
		.amdhsa_user_sgpr_kernarg_preload_length 0
		.amdhsa_user_sgpr_kernarg_preload_offset 0
		.amdhsa_user_sgpr_private_segment_size 0
		.amdhsa_uses_dynamic_stack 0
		.amdhsa_system_sgpr_private_segment_wavefront_offset 0
		.amdhsa_system_sgpr_workgroup_id_x 1
		.amdhsa_system_sgpr_workgroup_id_y 1
		.amdhsa_system_sgpr_workgroup_id_z 0
		.amdhsa_system_sgpr_workgroup_info 0
		.amdhsa_system_vgpr_workitem_id 0
		.amdhsa_next_free_vgpr 24
		.amdhsa_next_free_sgpr 32
		.amdhsa_accum_offset 24
		.amdhsa_reserve_vcc 1
		.amdhsa_reserve_flat_scratch 0
		.amdhsa_float_round_mode_32 0
		.amdhsa_float_round_mode_16_64 0
		.amdhsa_float_denorm_mode_32 3
		.amdhsa_float_denorm_mode_16_64 3
		.amdhsa_dx10_clamp 1
		.amdhsa_ieee_mode 1
		.amdhsa_fp16_overflow 0
		.amdhsa_tg_split 0
		.amdhsa_exception_fp_ieee_invalid_op 0
		.amdhsa_exception_fp_denorm_src 0
		.amdhsa_exception_fp_ieee_div_zero 0
		.amdhsa_exception_fp_ieee_overflow 0
		.amdhsa_exception_fp_ieee_underflow 0
		.amdhsa_exception_fp_ieee_inexact 0
		.amdhsa_exception_int_div_zero 0
	.end_amdhsa_kernel
	.section	.text._ZN4vllm32paged_attention_v2_reduce_kernelItLi120ELi128ELi512EEEvPT_PKfS4_PKS1_PKii,"axG",@progbits,_ZN4vllm32paged_attention_v2_reduce_kernelItLi120ELi128ELi512EEEvPT_PKfS4_PKS1_PKii,comdat
.Lfunc_end74:
	.size	_ZN4vllm32paged_attention_v2_reduce_kernelItLi120ELi128ELi512EEEvPT_PKfS4_PKS1_PKii, .Lfunc_end74-_ZN4vllm32paged_attention_v2_reduce_kernelItLi120ELi128ELi512EEEvPT_PKfS4_PKS1_PKii
                                        ; -- End function
	.section	.AMDGPU.csdata,"",@progbits
; Kernel info:
; codeLenInByte = 2184
; NumSgprs: 36
; NumVgprs: 24
; NumAgprs: 0
; TotalNumVgprs: 24
; ScratchSize: 0
; MemoryBound: 0
; FloatMode: 240
; IeeeMode: 1
; LDSByteSize: 16 bytes/workgroup (compile time only)
; SGPRBlocks: 4
; VGPRBlocks: 2
; NumSGPRsForWavesPerEU: 36
; NumVGPRsForWavesPerEU: 24
; AccumOffset: 24
; Occupancy: 8
; WaveLimiterHint : 0
; COMPUTE_PGM_RSRC2:SCRATCH_EN: 0
; COMPUTE_PGM_RSRC2:USER_SGPR: 6
; COMPUTE_PGM_RSRC2:TRAP_HANDLER: 0
; COMPUTE_PGM_RSRC2:TGID_X_EN: 1
; COMPUTE_PGM_RSRC2:TGID_Y_EN: 1
; COMPUTE_PGM_RSRC2:TGID_Z_EN: 0
; COMPUTE_PGM_RSRC2:TIDIG_COMP_CNT: 0
; COMPUTE_PGM_RSRC3_GFX90A:ACCUM_OFFSET: 5
; COMPUTE_PGM_RSRC3_GFX90A:TG_SPLIT: 0
	.section	.text._ZN4vllm25paged_attention_v2_kernelIttLi128ELi8ELi128ELNS_18Fp8KVCacheDataTypeE0ELb1ELi512EEEvPfS2_PT_PKS3_PKT0_S9_ifPKiSB_iPKfiiiSD_SD_iiiii,"axG",@progbits,_ZN4vllm25paged_attention_v2_kernelIttLi128ELi8ELi128ELNS_18Fp8KVCacheDataTypeE0ELb1ELi512EEEvPfS2_PT_PKS3_PKT0_S9_ifPKiSB_iPKfiiiSD_SD_iiiii,comdat
	.protected	_ZN4vllm25paged_attention_v2_kernelIttLi128ELi8ELi128ELNS_18Fp8KVCacheDataTypeE0ELb1ELi512EEEvPfS2_PT_PKS3_PKT0_S9_ifPKiSB_iPKfiiiSD_SD_iiiii ; -- Begin function _ZN4vllm25paged_attention_v2_kernelIttLi128ELi8ELi128ELNS_18Fp8KVCacheDataTypeE0ELb1ELi512EEEvPfS2_PT_PKS3_PKT0_S9_ifPKiSB_iPKfiiiSD_SD_iiiii
	.globl	_ZN4vllm25paged_attention_v2_kernelIttLi128ELi8ELi128ELNS_18Fp8KVCacheDataTypeE0ELb1ELi512EEEvPfS2_PT_PKS3_PKT0_S9_ifPKiSB_iPKfiiiSD_SD_iiiii
	.p2align	8
	.type	_ZN4vllm25paged_attention_v2_kernelIttLi128ELi8ELi128ELNS_18Fp8KVCacheDataTypeE0ELb1ELi512EEEvPfS2_PT_PKS3_PKT0_S9_ifPKiSB_iPKfiiiSD_SD_iiiii,@function
_ZN4vllm25paged_attention_v2_kernelIttLi128ELi8ELi128ELNS_18Fp8KVCacheDataTypeE0ELb1ELi512EEEvPfS2_PT_PKS3_PKT0_S9_ifPKiSB_iPKfiiiSD_SD_iiiii: ; @_ZN4vllm25paged_attention_v2_kernelIttLi128ELi8ELi128ELNS_18Fp8KVCacheDataTypeE0ELb1ELi512EEEvPfS2_PT_PKS3_PKT0_S9_ifPKiSB_iPKfiiiSD_SD_iiiii
; %bb.0:
	s_load_dwordx2 s[0:1], s[4:5], 0x40
	s_mov_b32 s28, s7
	s_ashr_i32 s29, s7, 31
	s_lshl_b64 s[2:3], s[28:29], 2
	s_waitcnt lgkmcnt(0)
	s_add_u32 s0, s0, s2
	s_addc_u32 s1, s1, s3
	s_load_dword s29, s[0:1], 0x0
	s_lshl_b32 s48, s8, 9
	s_waitcnt lgkmcnt(0)
	s_cmp_ge_i32 s48, s29
	s_cbranch_scc1 .LBB75_63
; %bb.1:
	s_load_dword s9, s[4:5], 0x90
	s_load_dwordx2 s[38:39], s[4:5], 0x30
	s_mov_b32 s49, 0
	s_waitcnt lgkmcnt(0)
	s_abs_i32 s2, s9
	s_abs_i32 s0, s38
	v_cvt_f32_u32_e32 v1, s0
	s_sub_i32 s3, 0, s0
	s_xor_b32 s1, s9, s38
	s_ashr_i32 s1, s1, 31
	v_rcp_iflag_f32_e32 v1, v1
	v_mul_f32_e32 v1, 0x4f7ffffe, v1
	v_cvt_u32_f32_e32 v1, v1
	v_readfirstlane_b32 s7, v1
	s_mul_i32 s3, s3, s7
	s_mul_hi_u32 s3, s7, s3
	s_add_i32 s7, s7, s3
	s_mul_hi_u32 s3, s2, s7
	s_mul_i32 s7, s3, s0
	s_sub_i32 s2, s2, s7
	s_add_i32 s10, s3, 1
	s_sub_i32 s7, s2, s0
	s_cmp_ge_u32 s2, s0
	s_cselect_b32 s3, s10, s3
	s_cselect_b32 s2, s7, s2
	s_add_i32 s7, s3, 1
	s_cmp_ge_u32 s2, s0
	s_cselect_b32 s0, s7, s3
	s_xor_b32 s0, s0, s1
	s_sub_i32 s11, s0, s1
	s_abs_i32 s2, s11
	v_cvt_f32_u32_e32 v1, s2
	s_load_dwordx2 s[0:1], s[4:5], 0x50
	s_sub_i32 s7, 0, s2
	s_abs_i32 s3, s6
	v_rcp_iflag_f32_e32 v1, v1
	v_mul_f32_e32 v1, 0x4f7ffffe, v1
	v_cvt_u32_f32_e32 v1, v1
	v_readfirstlane_b32 s10, v1
	s_mul_i32 s7, s7, s10
	s_mul_hi_u32 s7, s10, s7
	s_add_i32 s10, s10, s7
	s_waitcnt lgkmcnt(0)
	s_cmp_eq_u64 s[0:1], 0
	s_mul_hi_u32 s10, s3, s10
	s_cbranch_scc1 .LBB75_3
; %bb.2:
	s_ashr_i32 s7, s6, 31
	s_lshl_b64 s[12:13], s[6:7], 2
	s_add_u32 s0, s0, s12
	s_addc_u32 s1, s1, s13
	s_load_dword s49, s[0:1], 0x0
.LBB75_3:
	s_load_dwordx4 s[12:15], s[4:5], 0x58
	s_movk_i32 s0, 0x80
	s_ashr_i32 s7, s6, 31
	s_ashr_i32 s11, s11, 31
	v_and_b32_e32 v2, 7, v0
	s_lshl_b32 s24, s6, 7
	v_cmp_gt_u32_e32 vcc, s0, v0
	v_lshlrev_b32_e32 v1, 1, v0
	s_and_saveexec_b64 s[0:1], vcc
	s_cbranch_execz .LBB75_5
; %bb.4:
	s_load_dwordx2 s[16:17], s[4:5], 0x18
	s_waitcnt lgkmcnt(0)
	s_mul_i32 s18, s28, s12
	s_ashr_i32 s19, s18, 31
	s_lshl_b64 s[18:19], s[18:19], 1
	v_lshrrev_b32_e32 v4, 2, v0
	s_add_u32 s12, s16, s18
	s_addc_u32 s15, s17, s19
	s_ashr_i32 s25, s24, 31
	s_lshl_b64 s[16:17], s[24:25], 1
	s_add_u32 s16, s12, s16
	s_addc_u32 s17, s15, s17
	global_load_ushort v3, v1, s[16:17]
	v_and_b32_e32 v4, 0xfe, v4
	v_lshl_add_u32 v4, v2, 5, v4
	s_waitcnt vmcnt(0)
	ds_write_b16 v4, v3
.LBB75_5:
	s_or_b64 exec, exec, s[0:1]
	s_mul_i32 s1, s10, s2
	s_sub_i32 s1, s3, s1
	s_xor_b32 s0, s7, s11
	s_add_i32 s3, s10, 1
	s_sub_i32 s7, s1, s2
	s_load_dwordx4 s[16:19], s[4:5], 0x78
	s_cmp_ge_u32 s1, s2
	s_cselect_b32 s3, s3, s10
	s_load_dword s10, s[4:5], 0x88
	s_cselect_b32 s1, s7, s1
	s_add_i32 s7, s3, 1
	s_cmp_ge_u32 s1, s2
	s_cselect_b32 s1, s7, s3
	s_waitcnt lgkmcnt(0)
	s_abs_i32 s25, s19
	v_cvt_f32_u32_e32 v3, s25
	s_xor_b32 s1, s1, s0
	s_sub_i32 s2, s1, s0
	s_sub_i32 s0, 0, s25
	v_rcp_iflag_f32_e32 v3, v3
	s_add_i32 s11, s29, -1
	s_abs_i32 s3, s11
	v_mul_f32_e32 v3, 0x4f7ffffe, v3
	v_cvt_u32_f32_e32 v3, v3
	s_barrier
	v_readfirstlane_b32 s33, v3
	s_mul_i32 s0, s0, s33
	s_mul_hi_u32 s0, s33, s0
	s_add_i32 s33, s33, s0
	s_cmp_lt_i32 s10, 0
	s_mul_hi_u32 s7, s3, s33
	s_cbranch_scc0 .LBB75_7
; %bb.6:
	s_mul_i32 s0, s16, s38
	s_add_i32 s0, s2, s0
	s_mul_i32 s0, s0, s10
	s_sub_i32 s46, 1, s0
	s_mov_b64 s[0:1], 0
	s_branch .LBB75_8
.LBB75_7:
	s_mov_b64 s[0:1], -1
                                        ; implicit-def: $sgpr46
.LBB75_8:
	s_load_dwordx2 s[30:31], s[4:5], 0x38
	s_ashr_i32 s11, s11, 31
	s_andn2_b64 vcc, exec, s[0:1]
	s_ashr_i32 s19, s19, 31
	s_cbranch_vccnz .LBB75_10
; %bb.9:
	s_mul_i32 s0, s9, s16
	s_add_i32 s0, s0, s6
	s_mul_i32 s0, s0, s10
	s_add_i32 s46, s0, 1
.LBB75_10:
	s_load_dword s0, s[4:5], 0x48
	s_load_dwordx2 s[36:37], s[4:5], 0x28
	s_load_dword s16, s[4:5], 0x98
	s_load_dwordx4 s[20:23], s[4:5], 0x0
	s_load_dwordx2 s[26:27], s[4:5], 0x10
	s_mul_i32 s1, s7, s25
	s_waitcnt lgkmcnt(0)
	s_mul_i32 s34, s28, s0
	s_sub_i32 s1, s3, s1
	s_ashr_i32 s35, s34, 31
	s_xor_b32 s0, s11, s19
	s_add_i32 s3, s7, 1
	s_sub_i32 s10, s1, s25
	s_cmp_ge_u32 s1, s25
	s_cselect_b32 s3, s3, s7
	s_cselect_b32 s1, s10, s1
	s_add_i32 s7, s3, 1
	s_cmp_ge_u32 s1, s25
	s_cselect_b32 s1, s7, s3
	s_xor_b32 s1, s1, s0
	s_sub_i32 s12, s1, s0
	s_add_i32 s0, s29, 7
	s_ashr_i32 s1, s0, 31
	s_lshr_b32 s1, s1, 29
	s_add_i32 s0, s0, s1
	s_lshl_b32 s38, s8, 6
	s_ashr_i32 s7, s0, 3
	s_add_i32 s0, s38, 64
	v_lshrrev_b32_e32 v4, 6, v0
	s_min_i32 s47, s0, s7
	v_or_b32_e32 v6, s38, v4
	v_cmp_gt_i32_e64 s[0:1], s47, v6
	v_mov_b32_e32 v13, 0xff7fffff
	s_mul_i32 s14, s2, s14
	v_ashrrev_i32_e32 v7, 31, v6
	v_lshl_add_u32 v14, v4, 3, s48
	v_mbcnt_lo_u32_b32 v5, -1, 0
	s_and_saveexec_b64 s[40:41], s[0:1]
	s_cbranch_execz .LBB75_20
; %bb.11:
	s_load_dwordx2 s[2:3], s[4:5], 0x20
	s_ashr_i32 s15, s14, 31
	s_sub_i32 s50, s12, s17
	s_lshl_b64 s[4:5], s[14:15], 1
	v_bfe_u32 v8, v0, 3, 3
	s_waitcnt lgkmcnt(0)
	s_add_u32 s2, s2, s4
	s_addc_u32 s3, s3, s5
	s_abs_i32 s15, s18
	v_cvt_f32_u32_e32 v10, s15
	v_lshlrev_b32_e32 v3, 4, v8
	v_mov_b32_e32 v9, s3
	v_add_co_u32_e64 v3, s[2:3], s2, v3
	v_rcp_iflag_f32_e32 v12, v10
	v_addc_co_u32_e64 v11, s[2:3], 0, v9, s[2:3]
	v_lshlrev_b32_e32 v9, 1, v2
	v_add_co_u32_e64 v9, s[2:3], v3, v9
	v_mul_f32_e32 v3, 0x4f7ffffe, v12
	v_cvt_u32_f32_e32 v3, v3
	s_sub_i32 s4, 0, s15
	v_cmp_eq_u32_e32 vcc, 0, v2
	v_addc_co_u32_e64 v10, s[2:3], 0, v11, s[2:3]
	v_lshlrev_b32_e32 v11, 5, v2
	v_mul_lo_u32 v2, s4, v3
	s_lshl_b64 s[4:5], s[34:35], 2
	v_mul_hi_u32 v2, v3, v2
	s_add_u32 s4, s30, s4
	v_add_u32_e32 v12, v3, v2
	v_lshlrev_b64 v[2:3], 2, v[6:7]
	s_addc_u32 s5, s31, s5
	v_mov_b32_e32 v13, s5
	v_add_co_u32_e64 v2, s[4:5], s4, v2
	v_addc_co_u32_e64 v3, s[4:5], v13, v3, s[4:5]
	v_lshlrev_b32_e32 v13, 2, v8
	v_lshl_or_b32 v13, v4, 5, v13
	v_add_u32_e32 v16, 0x110, v13
	v_subrev_u32_e32 v13, s29, v8
	v_mbcnt_hi_u32_b32 v19, -1, v5
	v_add_u32_e32 v17, 1, v13
	v_and_b32_e32 v13, 64, v19
	s_mov_b32 s51, s13
	v_cmp_neq_f32_e64 s[2:3], s49, 0
	v_lshl_add_u32 v15, v4, 3, s48
	s_mov_b64 s[42:43], 0
	v_mov_b32_e32 v18, 0xff7fffff
	v_add_u32_e32 v20, 64, v13
	v_xor_b32_e32 v21, 4, v19
	v_xor_b32_e32 v22, 2, v19
	;; [unrolled: 1-line block ×3, first 2 shown]
	v_mov_b32_e32 v13, 0xff7fffff
	v_mov_b32_e32 v24, v6
	s_branch .LBB75_14
.LBB75_12:                              ;   in Loop: Header=BB75_14 Depth=1
	s_or_b64 exec, exec, s[44:45]
.LBB75_13:                              ;   in Loop: Header=BB75_14 Depth=1
	s_or_b64 exec, exec, s[10:11]
	v_add_co_u32_e64 v2, s[4:5], 8, v2
	v_add_u32_e32 v24, 2, v24
	v_addc_co_u32_e64 v3, s[4:5], 0, v3, s[4:5]
	v_cmp_le_i32_e64 s[4:5], s47, v24
	v_add_u32_e32 v15, 16, v15
	s_or_b64 s[42:43], s[4:5], s[42:43]
	v_add_u32_e32 v16, 64, v16
	s_andn2_b64 exec, exec, s[42:43]
	s_cbranch_execz .LBB75_19
.LBB75_14:                              ; =>This Inner Loop Header: Depth=1
	s_waitcnt lgkmcnt(0)
	v_sub_u32_e32 v26, 0, v15
	v_max_i32_e32 v26, v15, v26
	v_mul_hi_u32 v27, v26, s33
	v_mul_lo_u32 v28, v27, s25
	v_sub_u32_e32 v26, v26, v28
	v_add_u32_e32 v28, 1, v27
	v_cmp_le_u32_e64 s[4:5], s25, v26
	v_cndmask_b32_e64 v27, v27, v28, s[4:5]
	v_subrev_u32_e32 v28, s25, v26
	v_cndmask_b32_e64 v26, v26, v28, s[4:5]
	v_ashrrev_i32_e32 v25, 31, v15
	v_add_u32_e32 v28, 1, v27
	v_cmp_le_u32_e64 s[4:5], s25, v26
	v_xor_b32_e32 v25, s19, v25
	v_cndmask_b32_e64 v26, v27, v28, s[4:5]
	v_xor_b32_e32 v26, v26, v25
	v_sub_u32_e32 v25, v26, v25
	v_add_u32_e32 v26, s46, v25
	v_sub_u32_e32 v28, 0, v26
	v_ashrrev_i32_e32 v27, 31, v26
	v_max_i32_e32 v26, v26, v28
	v_mul_hi_u32 v28, v26, v12
	v_mul_lo_u32 v28, v28, s15
	v_sub_u32_e32 v26, v26, v28
	v_subrev_u32_e32 v28, s15, v26
	v_cmp_le_u32_e64 s[4:5], s15, v26
	v_cndmask_b32_e64 v26, v26, v28, s[4:5]
	v_subrev_u32_e32 v28, s15, v26
	v_cmp_le_u32_e64 s[4:5], s15, v26
	v_cndmask_b32_e64 v26, v26, v28, s[4:5]
	v_xor_b32_e32 v26, v26, v27
	v_sub_u32_e32 v26, v26, v27
	v_cmp_ne_u32_e64 s[4:5], 0, v26
	v_cmp_ge_i32_e64 s[10:11], s50, v25
	s_and_b64 s[4:5], s[4:5], s[10:11]
	s_and_b64 s[44:45], vcc, s[4:5]
	s_and_saveexec_b64 s[10:11], s[44:45]
	s_cbranch_execz .LBB75_16
; %bb.15:                               ;   in Loop: Header=BB75_14 Depth=1
	ds_write_b32 v16, v18
.LBB75_16:                              ;   in Loop: Header=BB75_14 Depth=1
	s_or_b64 exec, exec, s[10:11]
	s_xor_b64 s[4:5], s[4:5], -1
	s_and_saveexec_b64 s[10:11], s[4:5]
	s_cbranch_execz .LBB75_13
; %bb.17:                               ;   in Loop: Header=BB75_14 Depth=1
	global_load_dword v25, v[2:3], off
	s_waitcnt vmcnt(0)
	v_mad_i64_i32 v[26:27], s[4:5], v25, s51, 0
	v_lshlrev_b64 v[26:27], 1, v[26:27]
	v_add_co_u32_e64 v26, s[4:5], v9, v26
	v_addc_co_u32_e64 v27, s[4:5], v10, v27, s[4:5]
	global_load_ushort v25, v[26:27], off
	global_load_ushort v28, v[26:27], off offset:128
	global_load_ushort v29, v[26:27], off offset:256
	;; [unrolled: 1-line block ×10, first 2 shown]
	ds_read_u16 v38, v11
	global_load_ushort v39, v[26:27], off offset:1408
	global_load_ushort v40, v[26:27], off offset:1536
	;; [unrolled: 1-line block ×4, first 2 shown]
	s_nop 0
	global_load_ushort v26, v[26:27], off offset:1920
	s_waitcnt lgkmcnt(0)
	;;#ASMSTART
	v_cvt_f32_f16 v27, v38;
	;;#ASMEND
	v_cmp_lt_i32_e64 s[4:5], v21, v20
	v_cndmask_b32_e64 v53, v19, v21, s[4:5]
	v_lshlrev_b32_e32 v53, 2, v53
	v_cmp_lt_i32_e64 s[4:5], v22, v20
	s_waitcnt vmcnt(15)
	;;#ASMSTART
	v_cvt_f32_f16 v25, v25;
	;;#ASMEND
	ds_read_u16 v38, v11 offset:2
	s_waitcnt lgkmcnt(0)
	;;#ASMSTART
	v_cvt_f32_f16 v38, v38;
	;;#ASMEND
	s_waitcnt vmcnt(14)
	;;#ASMSTART
	v_cvt_f32_f16 v28, v28;
	;;#ASMEND
	v_mul_f32_e32 v28, v38, v28
	ds_read_u16 v43, v11 offset:4
	v_fmac_f32_e32 v28, v27, v25
	s_waitcnt lgkmcnt(0)
	;;#ASMSTART
	v_cvt_f32_f16 v43, v43;
	;;#ASMEND
	s_waitcnt vmcnt(13)
	;;#ASMSTART
	v_cvt_f32_f16 v29, v29;
	;;#ASMEND
	ds_read_u16 v44, v11 offset:6
	v_fmac_f32_e32 v28, v43, v29
	s_waitcnt lgkmcnt(0)
	;;#ASMSTART
	v_cvt_f32_f16 v44, v44;
	;;#ASMEND
	s_waitcnt vmcnt(12)
	;;#ASMSTART
	v_cvt_f32_f16 v30, v30;
	;;#ASMEND
	;; [unrolled: 10-line block ×10, first 2 shown]
	v_fmac_f32_e32 v28, v52, v39
	ds_read_u16 v54, v11 offset:24
	s_waitcnt lgkmcnt(0)
	;;#ASMSTART
	v_cvt_f32_f16 v25, v54;
	;;#ASMEND
	s_waitcnt vmcnt(3)
	;;#ASMSTART
	v_cvt_f32_f16 v27, v40;
	;;#ASMEND
	ds_read_u16 v29, v11 offset:26
	v_fmac_f32_e32 v28, v25, v27
	s_waitcnt lgkmcnt(0)
	;;#ASMSTART
	v_cvt_f32_f16 v29, v29;
	;;#ASMEND
	s_waitcnt vmcnt(2)
	;;#ASMSTART
	v_cvt_f32_f16 v30, v41;
	;;#ASMEND
	ds_read_u16 v31, v11 offset:28
	v_fmac_f32_e32 v28, v29, v30
	s_waitcnt lgkmcnt(0)
	;;#ASMSTART
	v_cvt_f32_f16 v31, v31;
	;;#ASMEND
	s_waitcnt vmcnt(1)
	;;#ASMSTART
	v_cvt_f32_f16 v32, v42;
	;;#ASMEND
	v_fmac_f32_e32 v28, v31, v32
	ds_read_u16 v33, v11 offset:30
	s_waitcnt lgkmcnt(0)
	;;#ASMSTART
	v_cvt_f32_f16 v25, v33;
	;;#ASMEND
	s_waitcnt vmcnt(0)
	;;#ASMSTART
	v_cvt_f32_f16 v26, v26;
	;;#ASMEND
	v_fmac_f32_e32 v28, v25, v26
	ds_bpermute_b32 v25, v53, v28
	v_cndmask_b32_e64 v26, v19, v22, s[4:5]
	v_lshlrev_b32_e32 v26, 2, v26
	v_cmp_lt_i32_e64 s[4:5], v23, v20
	v_cndmask_b32_e64 v27, v19, v23, s[4:5]
	s_waitcnt lgkmcnt(0)
	v_add_f32_e32 v25, v28, v25
	ds_bpermute_b32 v26, v26, v25
	s_waitcnt lgkmcnt(0)
	v_add_f32_e32 v25, v25, v26
	v_lshlrev_b32_e32 v26, 2, v27
	ds_bpermute_b32 v26, v26, v25
	s_and_saveexec_b64 s[44:45], vcc
	s_cbranch_execz .LBB75_12
; %bb.18:                               ;   in Loop: Header=BB75_14 Depth=1
	v_add_u32_e32 v27, v17, v15
	v_cvt_f32_i32_e32 v27, v27
	s_waitcnt lgkmcnt(0)
	v_add_f32_e32 v25, v25, v26
	v_add_u32_e32 v28, v8, v15
	v_cmp_gt_i32_e64 s[4:5], s29, v28
	v_mul_f32_e32 v26, s49, v27
	v_cndmask_b32_e64 v26, 0, v26, s[2:3]
	v_fmac_f32_e32 v26, s39, v25
	v_cndmask_b32_e64 v25, 0, v26, s[4:5]
	ds_write_b32 v16, v25
	v_max_f32_e32 v25, v13, v13
	v_max_f32_e32 v25, v25, v26
	v_cndmask_b32_e64 v13, v13, v25, s[4:5]
	s_branch .LBB75_12
.LBB75_19:
	s_or_b64 exec, exec, s[42:43]
.LBB75_20:
	s_or_b64 exec, exec, s[40:41]
	v_mbcnt_hi_u32_b32 v2, -1, v5
	v_and_b32_e32 v3, 64, v2
	v_add_u32_e32 v3, 64, v3
	v_xor_b32_e32 v5, 32, v2
	v_cmp_lt_i32_e32 vcc, v5, v3
	v_cndmask_b32_e32 v5, v2, v5, vcc
	v_lshlrev_b32_e32 v9, 2, v5
	ds_bpermute_b32 v5, v9, v13
	v_xor_b32_e32 v10, 16, v2
	v_max_f32_e32 v8, v13, v13
	v_cmp_lt_i32_e32 vcc, v10, v3
	v_and_b32_e32 v15, 63, v0
	s_waitcnt lgkmcnt(0)
	v_max_f32_e32 v5, v5, v5
	v_max_f32_e32 v5, v8, v5
	v_cndmask_b32_e32 v8, v2, v10, vcc
	v_lshlrev_b32_e32 v11, 2, v8
	ds_bpermute_b32 v8, v11, v5
	v_xor_b32_e32 v10, 8, v2
	v_cmp_lt_i32_e32 vcc, v10, v3
	s_waitcnt lgkmcnt(0)
	v_max_f32_e32 v8, v8, v8
	v_max_f32_e32 v5, v5, v8
	v_cndmask_b32_e32 v8, v2, v10, vcc
	v_lshlrev_b32_e32 v12, 2, v8
	ds_bpermute_b32 v10, v12, v5
	v_cmp_eq_u32_e32 vcc, 0, v15
	v_lshlrev_b32_e32 v8, 2, v4
	s_and_saveexec_b64 s[2:3], vcc
	s_cbranch_execz .LBB75_22
; %bb.21:
	s_waitcnt lgkmcnt(0)
	v_max_f32_e32 v10, v10, v10
	v_max_f32_e32 v5, v5, v5
	;; [unrolled: 1-line block ×3, first 2 shown]
	ds_write_b32 v8, v5 offset:256
.LBB75_22:
	s_or_b64 exec, exec, s[2:3]
	v_cmp_gt_u32_e64 s[2:3], 2, v15
	v_mov_b32_e32 v5, 0xff7fffff
	s_waitcnt lgkmcnt(0)
	v_lshlrev_b32_e32 v10, 2, v15
	s_barrier
	s_and_saveexec_b64 s[4:5], s[2:3]
	s_cbranch_execz .LBB75_24
; %bb.23:
	ds_read_b32 v5, v10 offset:256
.LBB75_24:
	s_or_b64 exec, exec, s[4:5]
	v_xor_b32_e32 v13, 1, v2
	v_cmp_lt_i32_e64 s[4:5], v13, v3
	v_cndmask_b32_e64 v13, v2, v13, s[4:5]
	v_lshlrev_b32_e32 v13, 2, v13
	s_waitcnt lgkmcnt(0)
	ds_bpermute_b32 v16, v13, v5
	v_max_f32_e32 v5, v5, v5
	s_sub_i32 s4, s47, s38
	s_lshl_b32 s4, s4, 3
	s_add_i32 s4, s4, s48
	s_waitcnt lgkmcnt(0)
	v_max_f32_e32 v16, v16, v16
	v_max_f32_e32 v5, v5, v16
	v_lshlrev_b32_e32 v16, 2, v2
	v_and_b32_e32 v16, 0x100, v16
	ds_bpermute_b32 v5, v16, v5
	s_min_i32 s42, s4, s29
	s_sub_i32 s15, s42, s48
	v_cmp_gt_i32_e64 s[4:5], s15, v0
	v_mov_b32_e32 v17, 0
	s_and_saveexec_b64 s[38:39], s[4:5]
	s_cbranch_execz .LBB75_28
; %bb.25:
	v_mov_b32_e32 v17, 0x110
	v_lshl_add_u32 v18, v0, 2, v17
	s_mov_b64 s[40:41], 0
	v_mov_b32_e32 v17, 0
	v_mov_b32_e32 v19, v0
.LBB75_26:                              ; =>This Inner Loop Header: Depth=1
	ds_read_b32 v20, v18
	v_add_u32_e32 v19, 0x80, v19
	v_cmp_le_i32_e64 s[10:11], s15, v19
	s_or_b64 s[40:41], s[10:11], s[40:41]
	s_waitcnt lgkmcnt(0)
	v_sub_f32_e32 v20, v20, v5
	v_mul_f32_e32 v20, 0x3fb8aa3b, v20
	v_exp_f32_e32 v20, v20
	ds_write_b32 v18, v20
	v_add_f32_e32 v17, v17, v20
	v_add_u32_e32 v18, 0x200, v18
	s_andn2_b64 exec, exec, s[40:41]
	s_cbranch_execnz .LBB75_26
; %bb.27:
	s_or_b64 exec, exec, s[40:41]
.LBB75_28:
	s_or_b64 exec, exec, s[38:39]
	ds_bpermute_b32 v9, v9, v17
	s_waitcnt lgkmcnt(0)
	v_add_f32_e32 v9, v17, v9
	ds_bpermute_b32 v11, v11, v9
	s_waitcnt lgkmcnt(0)
	v_add_f32_e32 v9, v9, v11
	ds_bpermute_b32 v11, v12, v9
	v_xor_b32_e32 v12, 4, v2
	v_cmp_lt_i32_e64 s[10:11], v12, v3
	v_cndmask_b32_e64 v12, v2, v12, s[10:11]
	v_lshlrev_b32_e32 v12, 2, v12
	s_waitcnt lgkmcnt(0)
	v_add_f32_e32 v9, v9, v11
	ds_bpermute_b32 v11, v12, v9
	v_xor_b32_e32 v12, 2, v2
	v_cmp_lt_i32_e64 s[10:11], v12, v3
	v_cndmask_b32_e64 v2, v2, v12, s[10:11]
	v_lshlrev_b32_e32 v2, 2, v2
	s_waitcnt lgkmcnt(0)
	v_add_f32_e32 v3, v9, v11
	ds_bpermute_b32 v2, v2, v3
	s_waitcnt lgkmcnt(0)
	v_add_f32_e32 v2, v3, v2
	ds_bpermute_b32 v3, v13, v2
	s_waitcnt lgkmcnt(0)
	v_add_f32_e32 v2, v2, v3
	s_and_saveexec_b64 s[10:11], vcc
	s_cbranch_execz .LBB75_30
; %bb.29:
	ds_write_b32 v8, v2 offset:264
.LBB75_30:
	s_or_b64 exec, exec, s[10:11]
	s_waitcnt lgkmcnt(0)
	s_barrier
	s_and_saveexec_b64 s[10:11], s[2:3]
	s_cbranch_execz .LBB75_32
; %bb.31:
	ds_read_b32 v2, v10 offset:264
.LBB75_32:
	s_or_b64 exec, exec, s[10:11]
	s_waitcnt lgkmcnt(0)
	ds_bpermute_b32 v3, v13, v2
	s_waitcnt lgkmcnt(0)
	v_add_f32_e32 v2, v2, v3
	ds_bpermute_b32 v8, v16, v2
	s_and_saveexec_b64 s[2:3], s[4:5]
	s_cbranch_execz .LBB75_45
; %bb.33:
	s_waitcnt lgkmcnt(0)
	v_add_f32_e32 v2, 0x358637bd, v8
	v_div_scale_f32 v3, s[4:5], v2, v2, 1.0
	v_rcp_f32_e32 v9, v3
	v_div_scale_f32 v10, vcc, 1.0, v2, 1.0
	s_movk_i32 s4, 0x7f
	v_fma_f32 v11, -v3, v9, 1.0
	v_fmac_f32_e32 v9, v11, v9
	v_mul_f32_e32 v11, v10, v9
	v_fma_f32 v12, -v3, v11, v10
	v_fmac_f32_e32 v11, v12, v9
	v_fma_f32 v3, -v3, v11, v10
	v_div_fmas_f32 v3, v3, v9, v11
	v_div_fixup_f32 v2, v3, v2, 1.0
	v_xad_u32 v3, v0, -1, s42
	v_subrev_u32_e32 v9, s48, v3
	v_cmp_lt_u32_e32 vcc, s4, v9
	s_mov_b64 s[10:11], -1
	v_mov_b32_e32 v3, v0
	s_and_saveexec_b64 s[4:5], vcc
	s_cbranch_execz .LBB75_42
; %bb.34:
	v_lshrrev_b32_e32 v9, 7, v9
	v_add_u32_e32 v11, -1, v9
	v_lshrrev_b32_e32 v10, 1, v11
	v_mov_b32_e32 v3, v2
	v_add_u32_e32 v10, 1, v10
	v_cmp_lt_u32_e32 vcc, 13, v11
	v_mov_b32_e32 v13, 0
	s_and_saveexec_b64 s[10:11], vcc
	s_cbranch_execz .LBB75_38
; %bb.35:
	v_mov_b32_e32 v12, 0x110
	v_and_b32_e32 v11, -8, v10
	v_lshl_add_u32 v12, v0, 2, v12
	s_mov_b32 s40, 0
	s_mov_b64 s[38:39], 0
.LBB75_36:                              ; =>This Inner Loop Header: Depth=1
	ds_read2st64_b32 v[16:17], v12 offset1:2
	ds_read2st64_b32 v[18:19], v12 offset0:4 offset1:6
	ds_read2st64_b32 v[20:21], v12 offset0:8 offset1:10
	;; [unrolled: 1-line block ×3, first 2 shown]
	v_add_u32_e32 v11, -8, v11
	s_waitcnt lgkmcnt(3)
	v_pk_mul_f32 v[16:17], v[2:3], v[16:17]
	s_waitcnt lgkmcnt(2)
	v_pk_mul_f32 v[18:19], v[2:3], v[18:19]
	ds_write2st64_b32 v12, v16, v17 offset1:2
	ds_write2st64_b32 v12, v18, v19 offset0:4 offset1:6
	ds_read2st64_b32 v[18:19], v12 offset0:16 offset1:18
	s_waitcnt lgkmcnt(4)
	v_pk_mul_f32 v[16:17], v[2:3], v[20:21]
	ds_write2st64_b32 v12, v16, v17 offset0:8 offset1:10
	s_waitcnt lgkmcnt(4)
	v_pk_mul_f32 v[16:17], v[2:3], v[22:23]
	ds_write2st64_b32 v12, v16, v17 offset0:12 offset1:14
	ds_read2st64_b32 v[16:17], v12 offset0:20 offset1:22
	s_waitcnt lgkmcnt(3)
	v_pk_mul_f32 v[18:19], v[2:3], v[18:19]
	ds_read2st64_b32 v[20:21], v12 offset0:24 offset1:26
	ds_write2st64_b32 v12, v18, v19 offset0:16 offset1:18
	ds_read2st64_b32 v[18:19], v12 offset0:28 offset1:30
	s_waitcnt lgkmcnt(3)
	v_pk_mul_f32 v[16:17], v[2:3], v[16:17]
	ds_write2st64_b32 v12, v16, v17 offset0:20 offset1:22
	s_waitcnt lgkmcnt(3)
	v_pk_mul_f32 v[16:17], v[2:3], v[20:21]
	ds_write2st64_b32 v12, v16, v17 offset0:24 offset1:26
	s_waitcnt lgkmcnt(2)
	v_pk_mul_f32 v[16:17], v[2:3], v[18:19]
	s_add_i32 s40, s40, 16
	v_cmp_eq_u32_e32 vcc, 0, v11
	ds_write2st64_b32 v12, v16, v17 offset0:28 offset1:30
	v_add_u32_e32 v12, 0x2000, v12
	s_or_b64 s[38:39], vcc, s[38:39]
	v_mov_b32_e32 v13, s40
	s_andn2_b64 exec, exec, s[38:39]
	s_cbranch_execnz .LBB75_36
; %bb.37:
	s_or_b64 exec, exec, s[38:39]
.LBB75_38:
	s_or_b64 exec, exec, s[10:11]
	v_and_b32_e32 v10, 7, v10
	v_cmp_ne_u32_e32 vcc, 0, v10
	s_and_saveexec_b64 s[10:11], vcc
	s_cbranch_execz .LBB75_41
; %bb.39:
	v_lshlrev_b32_e32 v11, 9, v13
	v_lshlrev_b32_e32 v12, 2, v0
	s_movk_i32 s38, 0x110
	v_add3_u32 v11, v11, v12, s38
	s_mov_b64 s[38:39], 0
.LBB75_40:                              ; =>This Inner Loop Header: Depth=1
	ds_read2st64_b32 v[12:13], v11 offset1:2
	v_add_u32_e32 v10, -1, v10
	v_cmp_eq_u32_e32 vcc, 0, v10
	s_or_b64 s[38:39], vcc, s[38:39]
	s_waitcnt lgkmcnt(0)
	v_pk_mul_f32 v[12:13], v[2:3], v[12:13]
	ds_write2st64_b32 v11, v12, v13 offset1:2
	v_add_u32_e32 v11, 0x400, v11
	s_andn2_b64 exec, exec, s[38:39]
	s_cbranch_execnz .LBB75_40
.LBB75_41:
	s_or_b64 exec, exec, s[10:11]
	v_add_u32_e32 v9, 1, v9
	v_and_b32_e32 v10, 0x3fffffe, v9
	v_cmp_ne_u32_e32 vcc, v9, v10
	v_lshl_add_u32 v3, v10, 7, v0
	s_orn2_b64 s[10:11], vcc, exec
.LBB75_42:
	s_or_b64 exec, exec, s[4:5]
	s_and_b64 exec, exec, s[10:11]
	s_cbranch_execz .LBB75_45
; %bb.43:
	v_mov_b32_e32 v9, 0x110
	v_lshl_add_u32 v9, v3, 2, v9
	s_mov_b64 s[4:5], 0
.LBB75_44:                              ; =>This Inner Loop Header: Depth=1
	ds_read_b32 v10, v9
	v_add_u32_e32 v3, 0x80, v3
	v_cmp_le_i32_e32 vcc, s15, v3
	s_or_b64 s[4:5], vcc, s[4:5]
	s_waitcnt lgkmcnt(0)
	v_mul_f32_e32 v10, v2, v10
	ds_write_b32 v9, v10
	v_add_u32_e32 v9, 0x200, v9
	s_andn2_b64 exec, exec, s[4:5]
	s_cbranch_execnz .LBB75_44
.LBB75_45:
	s_or_b64 exec, exec, s[2:3]
	s_mul_i32 s2, s16, s28
	v_cmp_eq_u32_e32 vcc, 0, v0
	s_mul_i32 s2, s2, s9
	s_waitcnt lgkmcnt(0)
	s_barrier
	s_and_saveexec_b64 s[4:5], vcc
	s_cbranch_execz .LBB75_47
; %bb.46:
	s_ashr_i32 s3, s2, 31
	s_lshl_b64 s[10:11], s[2:3], 2
	s_add_u32 s3, s22, s10
	s_mul_i32 s22, s16, s6
	s_addc_u32 s9, s23, s11
	s_ashr_i32 s23, s22, 31
	s_lshl_b64 s[22:23], s[22:23], 2
	s_add_u32 s3, s3, s22
	s_addc_u32 s6, s9, s23
	s_ashr_i32 s9, s8, 31
	s_lshl_b64 s[38:39], s[8:9], 2
	s_add_u32 s40, s3, s38
	s_addc_u32 s41, s6, s39
	s_add_u32 s3, s20, s10
	s_addc_u32 s6, s21, s11
	;; [unrolled: 2-line block ×3, first 2 shown]
	s_add_u32 s10, s3, s38
	v_mov_b32_e32 v2, 0
	s_addc_u32 s11, s6, s39
	global_store_dword v2, v5, s[40:41]
	global_store_dword v2, v8, s[10:11]
.LBB75_47:
	s_or_b64 exec, exec, s[4:5]
	v_mov_b32_e32 v9, 0
	v_mov_b32_e32 v8, 0
	s_and_saveexec_b64 s[4:5], s[0:1]
	s_cbranch_execz .LBB75_57
; %bb.48:
	s_ashr_i32 s15, s14, 31
	s_sub_i32 s3, s12, s17
	s_lshl_b64 s[0:1], s[14:15], 1
	s_add_u32 s0, s36, s0
	s_addc_u32 s1, s37, s1
	s_abs_i32 s14, s18
	v_cvt_f32_u32_e32 v2, s14
	s_sub_i32 s6, 0, s14
	s_add_i32 s15, s7, -1
	s_mov_b32 s9, s13
	v_rcp_iflag_f32_e32 v2, v2
	s_mov_b32 s17, s29
	s_mov_b32 s18, s29
	s_mov_b32 s20, s29
	v_mul_f32_e32 v2, 0x4f7ffffe, v2
	v_cvt_u32_f32_e32 v2, v2
	s_mov_b32 s21, s29
	s_mov_b32 s22, s29
	;; [unrolled: 1-line block ×3, first 2 shown]
	v_mul_lo_u32 v3, s6, v2
	v_mul_hi_u32 v3, v2, v3
	v_add_u32_e32 v16, v2, v3
	v_lshlrev_b32_e32 v2, 4, v15
	v_mov_b32_e32 v3, s1
	v_add_co_u32_e32 v17, vcc, s0, v2
	s_lshl_b64 s[0:1], s[34:35], 2
	s_add_u32 s0, s30, s0
	v_addc_co_u32_e32 v18, vcc, 0, v3, vcc
	v_lshlrev_b64 v[2:3], 2, v[6:7]
	s_addc_u32 s1, s31, s1
	v_mov_b32_e32 v5, s1
	v_add_co_u32_e32 v10, vcc, s0, v2
	v_mov_b32_e32 v2, 0x110
	s_mov_b32 s28, s29
	v_addc_co_u32_e32 v11, vcc, v5, v3, vcc
	v_lshl_add_u32 v7, v4, 5, v2
	s_mov_b64 s[6:7], 0
	v_mov_b32_e32 v8, 0
	s_mov_b32 s30, 0x5040100
	v_mov_b32_e32 v9, 0
	s_branch .LBB75_51
.LBB75_49:                              ;   in Loop: Header=BB75_51 Depth=1
	s_or_b64 exec, exec, s[0:1]
	s_waitcnt vmcnt(0)
	;;#ASMSTART
	v_pk_mul_f16 v2, v34, v2;

	;;#ASMEND
	;;#ASMSTART
	v_pk_mul_f16 v3, v28, v3;

	;;#ASMEND
	;; [unrolled: 4-line block ×4, first 2 shown]
	;;#ASMSTART
	v_pk_add_f16 v2, v2, v3;

	;;#ASMEND
	;;#ASMSTART
	v_pk_add_f16 v2, v2, v4;

	;;#ASMEND
	;; [unrolled: 4-line block ×3, first 2 shown]
	v_lshrrev_b32_e32 v3, 16, v2
	v_and_b32_e32 v2, 0xffff, v2
	;;#ASMSTART
	v_cvt_f32_f16 v2, v2;
	;;#ASMEND
	v_add_f32_e32 v12, v29, v30
	;;#ASMSTART
	v_cvt_f32_f16 v3, v3;
	;;#ASMEND
	v_add_f32_e32 v2, v2, v3
	v_add_f32_e32 v8, v8, v12
	;; [unrolled: 1-line block ×3, first 2 shown]
.LBB75_50:                              ;   in Loop: Header=BB75_51 Depth=1
	s_or_b64 exec, exec, s[10:11]
	v_add_co_u32_e32 v10, vcc, 8, v10
	v_add_u32_e32 v6, 2, v6
	v_addc_co_u32_e32 v11, vcc, 0, v11, vcc
	v_cmp_le_i32_e32 vcc, s47, v6
	v_add_u32_e32 v14, 16, v14
	s_or_b64 s[6:7], vcc, s[6:7]
	v_add_u32_e32 v7, 64, v7
	s_andn2_b64 exec, exec, s[6:7]
	s_cbranch_execz .LBB75_56
.LBB75_51:                              ; =>This Inner Loop Header: Depth=1
	v_sub_u32_e32 v3, 0, v14
	v_max_i32_e32 v3, v14, v3
	v_mul_hi_u32 v4, v3, s33
	v_mul_lo_u32 v5, v4, s25
	v_sub_u32_e32 v3, v3, v5
	v_add_u32_e32 v5, 1, v4
	v_cmp_le_u32_e32 vcc, s25, v3
	v_cndmask_b32_e32 v4, v4, v5, vcc
	v_subrev_u32_e32 v5, s25, v3
	v_cndmask_b32_e32 v3, v3, v5, vcc
	v_ashrrev_i32_e32 v2, 31, v14
	v_add_u32_e32 v5, 1, v4
	v_cmp_le_u32_e32 vcc, s25, v3
	v_xor_b32_e32 v2, s19, v2
	v_cndmask_b32_e32 v3, v4, v5, vcc
	v_xor_b32_e32 v3, v3, v2
	v_sub_u32_e32 v2, v3, v2
	v_add_u32_e32 v3, s46, v2
	v_sub_u32_e32 v5, 0, v3
	v_ashrrev_i32_e32 v4, 31, v3
	v_max_i32_e32 v3, v3, v5
	v_mul_hi_u32 v5, v3, v16
	v_mul_lo_u32 v5, v5, s14
	v_sub_u32_e32 v3, v3, v5
	v_subrev_u32_e32 v5, s14, v3
	v_cmp_le_u32_e32 vcc, s14, v3
	v_cndmask_b32_e32 v3, v3, v5, vcc
	v_subrev_u32_e32 v5, s14, v3
	v_cmp_le_u32_e32 vcc, s14, v3
	v_cndmask_b32_e32 v3, v3, v5, vcc
	v_xor_b32_e32 v3, v3, v4
	v_sub_u32_e32 v3, v3, v4
	v_cmp_eq_u32_e32 vcc, 0, v3
	v_cmp_lt_i32_e64 s[0:1], s3, v2
	s_or_b64 s[0:1], vcc, s[0:1]
	s_and_saveexec_b64 s[10:11], s[0:1]
	s_cbranch_execz .LBB75_50
; %bb.52:                               ;   in Loop: Header=BB75_51 Depth=1
	global_load_dword v12, v[10:11], off
	ds_read2_b64 v[2:5], v7 offset1:1
	ds_read2_b64 v[20:23], v7 offset0:2 offset1:3
	v_add_u32_e32 v19, 1, v14
	v_or_b32_e32 v25, 7, v14
	s_waitcnt lgkmcnt(1)
	;;#ASMSTART
	v_cvt_f16_f32 v26, v2;

	;;#ASMEND
	;;#ASMSTART
	v_cvt_f16_f32 v27, v3;

	;;#ASMEND
	;; [unrolled: 4-line block ×4, first 2 shown]
	s_waitcnt lgkmcnt(0)
	;;#ASMSTART
	v_cvt_f16_f32 v30, v20;

	;;#ASMEND
	;;#ASMSTART
	v_cvt_f16_f32 v31, v21;

	;;#ASMEND
	;; [unrolled: 4-line block ×4, first 2 shown]
	v_or_b32_e32 v21, 3, v14
	v_or_b32_e32 v20, 2, v14
	v_or_b32_e32 v23, 5, v14
	v_or_b32_e32 v22, 4, v14
	v_or_b32_e32 v24, 6, v14
	s_waitcnt vmcnt(0)
	v_mad_i64_i32 v[2:3], s[0:1], v12, s9, 0
	v_lshlrev_b64 v[2:3], 1, v[2:3]
	v_add_co_u32_e32 v12, vcc, v17, v2
	v_addc_co_u32_e32 v13, vcc, v18, v3, vcc
	global_load_dwordx4 v[2:5], v[12:13], off
	v_cmp_eq_u32_e32 vcc, s15, v6
	s_and_saveexec_b64 s[12:13], vcc
	s_cbranch_execz .LBB75_54
; %bb.53:                               ;   in Loop: Header=BB75_51 Depth=1
	s_waitcnt vmcnt(0)
	v_lshrrev_b32_e32 v34, 16, v5
	v_cmp_gt_i32_e64 s[0:1], s28, v25
	v_cndmask_b32_e64 v34, 0, v34, s[0:1]
	v_cmp_gt_i32_e64 s[0:1], s23, v24
	v_cndmask_b32_e64 v5, 0, v5, s[0:1]
	v_perm_b32 v5, v34, v5, s30
	v_lshrrev_b32_e32 v34, 16, v4
	v_cmp_gt_i32_e64 s[0:1], s22, v23
	v_cndmask_b32_e64 v34, 0, v34, s[0:1]
	v_cmp_gt_i32_e64 s[0:1], s21, v22
	v_cndmask_b32_e64 v4, 0, v4, s[0:1]
	v_perm_b32 v4, v34, v4, s30
	;; [unrolled: 6-line block ×4, first 2 shown]
.LBB75_54:                              ;   in Loop: Header=BB75_51 Depth=1
	s_or_b64 exec, exec, s[12:13]
	v_and_b32_e32 v26, 0xffff, v26
	v_lshl_or_b32 v34, v27, 16, v26
	v_and_b32_e32 v26, 0xffff, v28
	v_lshl_or_b32 v28, v29, 16, v26
	;; [unrolled: 2-line block ×3, first 2 shown]
	v_and_b32_e32 v26, 0xffff, v32
	s_waitcnt vmcnt(0)
	;;#ASMSTART
	v_pk_mul_f16 v2, v34, v2;

	;;#ASMEND
	v_lshl_or_b32 v26, v33, 16, v26
	;;#ASMSTART
	v_pk_mul_f16 v3, v28, v3;

	;;#ASMEND
	;;#ASMSTART
	v_pk_mul_f16 v4, v27, v4;

	;;#ASMEND
	;; [unrolled: 4-line block ×3, first 2 shown]
	;;#ASMSTART
	v_pk_add_f16 v2, v2, v3;

	;;#ASMEND
	;;#ASMSTART
	v_pk_add_f16 v2, v2, v4;

	;;#ASMEND
	;;#ASMSTART
	v_pk_add_f16 v2, v2, v5;

	;;#ASMEND
	v_lshrrev_b32_e32 v3, 16, v2
	v_and_b32_e32 v2, 0xffff, v2
	;;#ASMSTART
	v_cvt_f32_f16 v29, v2;
	;;#ASMEND
	;;#ASMSTART
	v_cvt_f32_f16 v30, v3;
	;;#ASMEND
	global_load_dwordx4 v[2:5], v[12:13], off offset:1024
	s_and_saveexec_b64 s[0:1], vcc
	s_cbranch_execz .LBB75_49
; %bb.55:                               ;   in Loop: Header=BB75_51 Depth=1
	s_waitcnt vmcnt(0)
	v_lshrrev_b32_e32 v12, 16, v5
	v_cmp_gt_i32_e32 vcc, s28, v25
	v_cndmask_b32_e32 v12, 0, v12, vcc
	v_cmp_gt_i32_e32 vcc, s23, v24
	v_cndmask_b32_e32 v5, 0, v5, vcc
	v_perm_b32 v5, v12, v5, s30
	v_lshrrev_b32_e32 v12, 16, v4
	v_cmp_gt_i32_e32 vcc, s22, v23
	v_cndmask_b32_e32 v12, 0, v12, vcc
	v_cmp_gt_i32_e32 vcc, s21, v22
	v_cndmask_b32_e32 v4, 0, v4, vcc
	v_perm_b32 v4, v12, v4, s30
	;; [unrolled: 6-line block ×4, first 2 shown]
	s_branch .LBB75_49
.LBB75_56:
	s_or_b64 exec, exec, s[6:7]
.LBB75_57:
	s_or_b64 exec, exec, s[4:5]
	v_and_b32_e32 v2, 0x3c0, v0
	v_cmp_eq_u32_e32 vcc, 64, v2
	s_barrier
	s_and_saveexec_b64 s[0:1], vcc
	s_cbranch_execz .LBB75_59
; %bb.58:
	v_mov_b32_e32 v2, 0x110
	v_lshl_add_u32 v3, v0, 2, v2
	v_lshl_add_u32 v2, v15, 2, v2
	ds_write_b32 v2, v8
	ds_write_b32 v3, v9
.LBB75_59:
	s_or_b64 exec, exec, s[0:1]
	v_cmp_gt_u32_e32 vcc, 64, v0
	s_waitcnt lgkmcnt(0)
	s_barrier
	s_and_saveexec_b64 s[0:1], vcc
	s_cbranch_execz .LBB75_61
; %bb.60:
	v_mov_b32_e32 v2, 0x110
	v_lshl_add_u32 v0, v0, 2, v2
	ds_read2st64_b32 v[2:3], v0 offset1:1
	s_waitcnt lgkmcnt(0)
	v_pk_add_f32 v[8:9], v[8:9], v[2:3]
.LBB75_61:
	s_or_b64 exec, exec, s[0:1]
	s_barrier
	s_and_saveexec_b64 s[0:1], vcc
	s_cbranch_execz .LBB75_63
; %bb.62:
	s_lshl_b32 s0, s2, 7
	s_ashr_i32 s1, s0, 31
	s_lshl_b64 s[0:1], s[0:1], 1
	s_add_u32 s2, s26, s0
	s_mul_i32 s0, s16, s24
	s_addc_u32 s3, s27, s1
	s_ashr_i32 s1, s0, 31
	s_lshl_b64 s[0:1], s[0:1], 1
	s_add_u32 s2, s2, s0
	s_addc_u32 s3, s3, s1
	s_lshl_b32 s0, s8, 7
	s_ashr_i32 s1, s0, 31
	s_lshl_b64 s[0:1], s[0:1], 1
	s_add_u32 s0, s2, s0
	s_addc_u32 s1, s3, s1
	;;#ASMSTART
	v_cvt_f16_f32 v0, v8;

	;;#ASMEND
	global_store_short v1, v0, s[0:1]
	;;#ASMSTART
	v_cvt_f16_f32 v0, v9;

	;;#ASMEND
	global_store_short v1, v0, s[0:1] offset:128
.LBB75_63:
	s_endpgm
	.section	.rodata,"a",@progbits
	.p2align	6, 0x0
	.amdhsa_kernel _ZN4vllm25paged_attention_v2_kernelIttLi128ELi8ELi128ELNS_18Fp8KVCacheDataTypeE0ELb1ELi512EEEvPfS2_PT_PKS3_PKT0_S9_ifPKiSB_iPKfiiiSD_SD_iiiii
		.amdhsa_group_segment_fixed_size 272
		.amdhsa_private_segment_fixed_size 0
		.amdhsa_kernarg_size 400
		.amdhsa_user_sgpr_count 6
		.amdhsa_user_sgpr_private_segment_buffer 1
		.amdhsa_user_sgpr_dispatch_ptr 0
		.amdhsa_user_sgpr_queue_ptr 0
		.amdhsa_user_sgpr_kernarg_segment_ptr 1
		.amdhsa_user_sgpr_dispatch_id 0
		.amdhsa_user_sgpr_flat_scratch_init 0
		.amdhsa_user_sgpr_kernarg_preload_length 0
		.amdhsa_user_sgpr_kernarg_preload_offset 0
		.amdhsa_user_sgpr_private_segment_size 0
		.amdhsa_uses_dynamic_stack 0
		.amdhsa_system_sgpr_private_segment_wavefront_offset 0
		.amdhsa_system_sgpr_workgroup_id_x 1
		.amdhsa_system_sgpr_workgroup_id_y 1
		.amdhsa_system_sgpr_workgroup_id_z 1
		.amdhsa_system_sgpr_workgroup_info 0
		.amdhsa_system_vgpr_workitem_id 0
		.amdhsa_next_free_vgpr 55
		.amdhsa_next_free_sgpr 52
		.amdhsa_accum_offset 56
		.amdhsa_reserve_vcc 1
		.amdhsa_reserve_flat_scratch 0
		.amdhsa_float_round_mode_32 0
		.amdhsa_float_round_mode_16_64 0
		.amdhsa_float_denorm_mode_32 3
		.amdhsa_float_denorm_mode_16_64 3
		.amdhsa_dx10_clamp 1
		.amdhsa_ieee_mode 1
		.amdhsa_fp16_overflow 0
		.amdhsa_tg_split 0
		.amdhsa_exception_fp_ieee_invalid_op 0
		.amdhsa_exception_fp_denorm_src 0
		.amdhsa_exception_fp_ieee_div_zero 0
		.amdhsa_exception_fp_ieee_overflow 0
		.amdhsa_exception_fp_ieee_underflow 0
		.amdhsa_exception_fp_ieee_inexact 0
		.amdhsa_exception_int_div_zero 0
	.end_amdhsa_kernel
	.section	.text._ZN4vllm25paged_attention_v2_kernelIttLi128ELi8ELi128ELNS_18Fp8KVCacheDataTypeE0ELb1ELi512EEEvPfS2_PT_PKS3_PKT0_S9_ifPKiSB_iPKfiiiSD_SD_iiiii,"axG",@progbits,_ZN4vllm25paged_attention_v2_kernelIttLi128ELi8ELi128ELNS_18Fp8KVCacheDataTypeE0ELb1ELi512EEEvPfS2_PT_PKS3_PKT0_S9_ifPKiSB_iPKfiiiSD_SD_iiiii,comdat
.Lfunc_end75:
	.size	_ZN4vllm25paged_attention_v2_kernelIttLi128ELi8ELi128ELNS_18Fp8KVCacheDataTypeE0ELb1ELi512EEEvPfS2_PT_PKS3_PKT0_S9_ifPKiSB_iPKfiiiSD_SD_iiiii, .Lfunc_end75-_ZN4vllm25paged_attention_v2_kernelIttLi128ELi8ELi128ELNS_18Fp8KVCacheDataTypeE0ELb1ELi512EEEvPfS2_PT_PKS3_PKT0_S9_ifPKiSB_iPKfiiiSD_SD_iiiii
                                        ; -- End function
	.section	.AMDGPU.csdata,"",@progbits
; Kernel info:
; codeLenInByte = 5224
; NumSgprs: 56
; NumVgprs: 55
; NumAgprs: 0
; TotalNumVgprs: 55
; ScratchSize: 0
; MemoryBound: 0
; FloatMode: 240
; IeeeMode: 1
; LDSByteSize: 272 bytes/workgroup (compile time only)
; SGPRBlocks: 6
; VGPRBlocks: 6
; NumSGPRsForWavesPerEU: 56
; NumVGPRsForWavesPerEU: 55
; AccumOffset: 56
; Occupancy: 8
; WaveLimiterHint : 1
; COMPUTE_PGM_RSRC2:SCRATCH_EN: 0
; COMPUTE_PGM_RSRC2:USER_SGPR: 6
; COMPUTE_PGM_RSRC2:TRAP_HANDLER: 0
; COMPUTE_PGM_RSRC2:TGID_X_EN: 1
; COMPUTE_PGM_RSRC2:TGID_Y_EN: 1
; COMPUTE_PGM_RSRC2:TGID_Z_EN: 1
; COMPUTE_PGM_RSRC2:TIDIG_COMP_CNT: 0
; COMPUTE_PGM_RSRC3_GFX90A:ACCUM_OFFSET: 13
; COMPUTE_PGM_RSRC3_GFX90A:TG_SPLIT: 0
	.section	.text._ZN4vllm32paged_attention_v2_reduce_kernelItLi128ELi128ELi512EEEvPT_PKfS4_PKS1_PKii,"axG",@progbits,_ZN4vllm32paged_attention_v2_reduce_kernelItLi128ELi128ELi512EEEvPT_PKfS4_PKS1_PKii,comdat
	.protected	_ZN4vllm32paged_attention_v2_reduce_kernelItLi128ELi128ELi512EEEvPT_PKfS4_PKS1_PKii ; -- Begin function _ZN4vllm32paged_attention_v2_reduce_kernelItLi128ELi128ELi512EEEvPT_PKfS4_PKS1_PKii
	.globl	_ZN4vllm32paged_attention_v2_reduce_kernelItLi128ELi128ELi512EEEvPT_PKfS4_PKS1_PKii
	.p2align	8
	.type	_ZN4vllm32paged_attention_v2_reduce_kernelItLi128ELi128ELi512EEEvPT_PKfS4_PKS1_PKii,@function
_ZN4vllm32paged_attention_v2_reduce_kernelItLi128ELi128ELi512EEEvPT_PKfS4_PKS1_PKii: ; @_ZN4vllm32paged_attention_v2_reduce_kernelItLi128ELi128ELi512EEEvPT_PKfS4_PKS1_PKii
; %bb.0:
	s_load_dwordx4 s[8:11], s[4:5], 0x18
	s_add_u32 s12, s4, 48
	s_mov_b32 s14, s7
	s_addc_u32 s13, s5, 0
	s_ashr_i32 s15, s7, 31
	s_lshl_b64 s[0:1], s[14:15], 2
	s_waitcnt lgkmcnt(0)
	s_add_u32 s0, s10, s0
	s_addc_u32 s1, s11, s1
	s_load_dword s24, s[0:1], 0x0
	s_load_dwordx2 s[10:11], s[4:5], 0x0
	s_load_dword s7, s[4:5], 0x28
	s_load_dword s15, s[4:5], 0x30
	s_waitcnt lgkmcnt(0)
	s_add_i32 s0, s24, -1
	s_cmpk_gt_u32 s0, 0x1ff
	s_mov_b64 s[0:1], -1
	s_cbranch_scc0 .LBB76_25
; %bb.1:
	s_add_i32 s0, s24, 0x1ff
	s_load_dwordx2 s[20:21], s[4:5], 0x8
	s_ashr_i32 s1, s0, 31
	s_lshr_b32 s1, s1, 23
	s_add_i32 s0, s0, s1
	s_mul_i32 s22, s15, s14
	s_ashr_i32 s23, s0, 9
	s_mul_i32 s16, s22, s7
	s_mul_i32 s18, s6, s7
	s_ashr_i32 s17, s16, 31
	s_ashr_i32 s19, s18, 31
	v_cmp_gt_i32_e32 vcc, s23, v0
	v_mov_b32_e32 v5, 0xff7fffff
	v_lshlrev_b32_e32 v1, 2, v0
	s_and_saveexec_b64 s[2:3], vcc
	s_cbranch_execz .LBB76_5
; %bb.2:
	s_load_dword s25, s[12:13], 0xc
	s_load_dwordx2 s[0:1], s[4:5], 0x10
	s_lshl_b64 s[4:5], s[16:17], 2
	s_lshl_b64 s[26:27], s[18:19], 2
	s_mov_b32 s28, 0
	s_waitcnt lgkmcnt(0)
	s_and_b32 s25, s25, 0xffff
	s_add_u32 s4, s4, s26
	s_addc_u32 s5, s5, s27
	s_add_u32 s0, s0, s4
	s_addc_u32 s1, s1, s5
	v_mov_b32_e32 v3, s1
	v_add_co_u32_e64 v2, s[0:1], s0, v1
	v_addc_co_u32_e64 v3, s[0:1], 0, v3, s[0:1]
	s_lshl_b32 s26, s25, 2
	v_add_u32_e32 v4, 16, v1
	s_mov_b64 s[4:5], 0
	v_mov_b32_e32 v5, 0xff7fffff
	v_mov_b32_e32 v6, s28
	;; [unrolled: 1-line block ×3, first 2 shown]
.LBB76_3:                               ; =>This Inner Loop Header: Depth=1
	global_load_dword v8, v[2:3], off
	v_add_co_u32_e64 v2, s[0:1], s26, v2
	v_add_u32_e32 v7, s25, v7
	v_addc_co_u32_e64 v3, s[0:1], v3, v6, s[0:1]
	v_max_f32_e32 v5, v5, v5
	v_cmp_le_i32_e64 s[0:1], s23, v7
	s_or_b64 s[4:5], s[0:1], s[4:5]
	s_waitcnt vmcnt(0)
	ds_write_b32 v4, v8
	v_max_f32_e32 v8, v8, v8
	v_add_u32_e32 v4, s26, v4
	v_max_f32_e32 v5, v5, v8
	s_andn2_b64 exec, exec, s[4:5]
	s_cbranch_execnz .LBB76_3
; %bb.4:
	s_or_b64 exec, exec, s[4:5]
.LBB76_5:
	s_or_b64 exec, exec, s[2:3]
	v_mbcnt_lo_u32_b32 v2, -1, 0
	v_mbcnt_hi_u32_b32 v2, -1, v2
	v_and_b32_e32 v3, 64, v2
	v_add_u32_e32 v6, 64, v3
	v_xor_b32_e32 v3, 32, v2
	v_cmp_lt_i32_e64 s[0:1], v3, v6
	v_cndmask_b32_e64 v3, v2, v3, s[0:1]
	v_lshlrev_b32_e32 v4, 2, v3
	ds_bpermute_b32 v3, v4, v5
	v_xor_b32_e32 v7, 16, v2
	v_max_f32_e32 v5, v5, v5
	v_cmp_lt_i32_e64 s[0:1], v7, v6
	v_xor_b32_e32 v8, 8, v2
	s_waitcnt lgkmcnt(0)
	v_max_f32_e32 v3, v3, v3
	v_max_f32_e32 v3, v5, v3
	v_cndmask_b32_e64 v5, v2, v7, s[0:1]
	v_lshlrev_b32_e32 v5, 2, v5
	ds_bpermute_b32 v7, v5, v3
	v_cmp_lt_i32_e64 s[0:1], v8, v6
	v_xor_b32_e32 v9, 4, v2
	v_xor_b32_e32 v10, 2, v2
	v_lshrrev_b32_e32 v13, 6, v0
	s_waitcnt lgkmcnt(0)
	v_max_f32_e32 v7, v7, v7
	v_max_f32_e32 v3, v3, v7
	v_cndmask_b32_e64 v7, v2, v8, s[0:1]
	v_lshlrev_b32_e32 v7, 2, v7
	ds_bpermute_b32 v8, v7, v3
	v_cmp_lt_i32_e64 s[0:1], v9, v6
	s_waitcnt lgkmcnt(0)
	s_barrier
	v_max_f32_e32 v8, v8, v8
	v_max_f32_e32 v3, v3, v8
	v_cndmask_b32_e64 v8, v2, v9, s[0:1]
	v_lshlrev_b32_e32 v8, 2, v8
	ds_bpermute_b32 v9, v8, v3
	v_cmp_lt_i32_e64 s[0:1], v10, v6
	s_waitcnt lgkmcnt(0)
	v_max_f32_e32 v9, v9, v9
	v_max_f32_e32 v11, v3, v9
	v_cndmask_b32_e64 v3, v2, v10, s[0:1]
	v_lshlrev_b32_e32 v9, 2, v3
	ds_bpermute_b32 v10, v9, v11
	v_and_b32_e32 v3, 63, v0
	s_waitcnt lgkmcnt(0)
	v_max_f32_e32 v10, v10, v10
	v_max_f32_e32 v11, v11, v10
	v_xor_b32_e32 v10, 1, v2
	v_cmp_lt_i32_e64 s[0:1], v10, v6
	v_cndmask_b32_e64 v6, v2, v10, s[0:1]
	v_lshlrev_b32_e32 v6, 2, v6
	ds_bpermute_b32 v12, v6, v11
	v_cmp_eq_u32_e64 s[0:1], 0, v3
	v_lshlrev_b32_e32 v10, 2, v13
	s_and_saveexec_b64 s[2:3], s[0:1]
	s_cbranch_execz .LBB76_7
; %bb.6:
	s_waitcnt lgkmcnt(0)
	v_max_f32_e32 v12, v12, v12
	v_max_f32_e32 v11, v11, v11
	;; [unrolled: 1-line block ×3, first 2 shown]
	ds_write_b32 v10, v11
.LBB76_7:
	s_or_b64 exec, exec, s[2:3]
	v_cmp_gt_u32_e64 s[2:3], 2, v3
	s_waitcnt lgkmcnt(0)
	v_mov_b32_e32 v12, 0xff7fffff
	v_lshlrev_b32_e32 v11, 2, v3
	s_barrier
	s_and_saveexec_b64 s[4:5], s[2:3]
	s_cbranch_execz .LBB76_9
; %bb.8:
	ds_read_b32 v12, v11
.LBB76_9:
	s_or_b64 exec, exec, s[4:5]
	s_waitcnt lgkmcnt(0)
	ds_bpermute_b32 v3, v6, v12
	v_max_f32_e32 v12, v12, v12
	v_lshlrev_b32_e32 v2, 2, v2
	s_lshl_b32 s25, s23, 2
	v_mov_b32_e32 v14, 0
	s_waitcnt lgkmcnt(0)
	v_max_f32_e32 v3, v3, v3
	v_max_f32_e32 v3, v12, v3
	v_and_b32_e32 v12, 0x100, v2
	ds_bpermute_b32 v13, v12, v3
	s_and_saveexec_b64 s[4:5], vcc
	s_cbranch_execz .LBB76_13
; %bb.10:
	s_load_dword s30, s[12:13], 0xc
	s_lshl_b64 s[26:27], s[16:17], 2
	s_lshl_b64 s[28:29], s[18:19], 2
	s_mov_b32 s31, 0
	v_mov_b32_e32 v14, 0
	s_waitcnt lgkmcnt(0)
	s_and_b32 s17, s30, 0xffff
	s_add_u32 s19, s26, s28
	s_addc_u32 s26, s27, s29
	s_add_u32 s19, s20, s19
	s_addc_u32 s20, s21, s26
	v_mov_b32_e32 v3, s20
	v_add_co_u32_e32 v2, vcc, s19, v1
	v_addc_co_u32_e32 v3, vcc, 0, v3, vcc
	s_lshl_b32 s19, s17, 2
	v_add_u32_e32 v1, 16, v1
	s_mov_b64 s[20:21], 0
	s_mov_b32 s26, 0x3fb8aa3b
	s_mov_b32 s27, 0xc2ce8ed0
	;; [unrolled: 1-line block ×3, first 2 shown]
	v_mov_b32_e32 v15, 0x7f800000
	v_mov_b32_e32 v16, s31
	v_mov_b32_e32 v17, v0
.LBB76_11:                              ; =>This Inner Loop Header: Depth=1
	global_load_dword v18, v[2:3], off
	ds_read_b32 v19, v1
	v_add_co_u32_e32 v2, vcc, s19, v2
	v_add_u32_e32 v17, s17, v17
	v_addc_co_u32_e32 v3, vcc, v3, v16, vcc
	s_waitcnt lgkmcnt(0)
	v_sub_f32_e32 v19, v19, v13
	v_mul_f32_e32 v21, 0x3fb8aa3b, v19
	v_fma_f32 v22, v19, s26, -v21
	v_rndne_f32_e32 v23, v21
	v_fmac_f32_e32 v22, 0x32a5705f, v19
	v_sub_f32_e32 v21, v21, v23
	v_add_f32_e32 v21, v21, v22
	v_cvt_i32_f32_e32 v23, v23
	v_exp_f32_e32 v21, v21
	v_cmp_le_i32_e32 vcc, s23, v17
	s_or_b64 s[20:21], vcc, s[20:21]
	v_cmp_ngt_f32_e32 vcc, s27, v19
	v_ldexp_f32 v21, v21, v23
	v_cndmask_b32_e32 v21, 0, v21, vcc
	v_cmp_nlt_f32_e32 vcc, s28, v19
	v_cndmask_b32_e32 v19, v15, v21, vcc
	v_add_u32_e32 v20, s25, v1
	v_add_u32_e32 v1, s19, v1
	s_waitcnt vmcnt(0)
	v_mul_f32_e32 v21, v18, v19
	v_fmac_f32_e32 v14, v18, v19
	ds_write_b32 v20, v21
	s_andn2_b64 exec, exec, s[20:21]
	s_cbranch_execnz .LBB76_11
; %bb.12:
	s_or_b64 exec, exec, s[20:21]
.LBB76_13:
	s_or_b64 exec, exec, s[4:5]
	ds_bpermute_b32 v1, v4, v14
	s_waitcnt lgkmcnt(0)
	s_barrier
	v_add_f32_e32 v1, v14, v1
	ds_bpermute_b32 v2, v5, v1
	s_waitcnt lgkmcnt(0)
	v_add_f32_e32 v1, v1, v2
	ds_bpermute_b32 v2, v7, v1
	s_waitcnt lgkmcnt(0)
	;; [unrolled: 3-line block ×5, first 2 shown]
	v_add_f32_e32 v1, v1, v2
	s_and_saveexec_b64 s[4:5], s[0:1]
	s_cbranch_execz .LBB76_15
; %bb.14:
	ds_write_b32 v10, v1 offset:8
.LBB76_15:
	s_or_b64 exec, exec, s[4:5]
	s_waitcnt lgkmcnt(0)
	s_barrier
	s_and_saveexec_b64 s[0:1], s[2:3]
	s_cbranch_execz .LBB76_17
; %bb.16:
	ds_read_b32 v1, v11 offset:8
.LBB76_17:
	s_or_b64 exec, exec, s[0:1]
	s_waitcnt lgkmcnt(0)
	ds_bpermute_b32 v2, v6, v1
	s_movk_i32 s0, 0x80
	v_cmp_gt_u32_e32 vcc, s0, v0
	s_waitcnt lgkmcnt(0)
	v_add_f32_e32 v1, v1, v2
	ds_bpermute_b32 v2, v12, v1
	s_and_saveexec_b64 s[0:1], vcc
	s_cbranch_execz .LBB76_24
; %bb.18:
	s_cmp_gt_i32 s24, 0
	s_mov_b32 s4, 0
	s_cbranch_scc1 .LBB76_20
; %bb.19:
	v_mov_b32_e32 v1, 0
	v_mov_b32_e32 v4, s4
	s_cbranch_execz .LBB76_21
	s_branch .LBB76_23
.LBB76_20:
                                        ; implicit-def: $sgpr4
	v_mov_b32_e32 v4, s4
.LBB76_21:
	s_waitcnt lgkmcnt(0)
	v_add_f32_e32 v1, 0x358637bd, v2
	v_div_scale_f32 v2, s[2:3], v1, v1, 1.0
	v_rcp_f32_e32 v3, v2
	s_lshl_b32 s4, s16, 7
	s_lshl_b32 s16, s18, 7
	s_ashr_i32 s5, s4, 31
	v_fma_f32 v4, -v2, v3, 1.0
	v_fmac_f32_e32 v3, v4, v3
	v_div_scale_f32 v4, vcc, 1.0, v1, 1.0
	v_mul_f32_e32 v5, v4, v3
	s_ashr_i32 s17, s16, 31
	s_max_i32 s2, s23, 1
	v_fma_f32 v6, -v2, v5, v4
	s_add_i32 s3, s25, 16
	s_lshl_b64 s[4:5], s[4:5], 1
	s_lshl_b64 s[16:17], s[16:17], 1
	v_fmac_f32_e32 v5, v6, v3
	s_add_u32 s4, s4, s16
	v_fma_f32 v2, -v2, v5, v4
	s_addc_u32 s5, s5, s17
	v_div_fmas_f32 v2, v2, v3, v5
	s_add_u32 s4, s8, s4
	v_div_fixup_f32 v5, v2, v1, 1.0
	v_lshlrev_b32_e32 v2, 1, v0
	s_addc_u32 s5, s9, s5
	v_mov_b32_e32 v1, 0
	v_mov_b32_e32 v3, s5
	v_add_co_u32_e32 v2, vcc, s4, v2
	v_addc_co_u32_e32 v3, vcc, 0, v3, vcc
	v_mov_b32_e32 v4, v1
.LBB76_22:                              ; =>This Inner Loop Header: Depth=1
	global_load_ushort v6, v[2:3], off
	v_mov_b32_e32 v7, s3
	s_waitcnt vmcnt(0)
	;;#ASMSTART
	v_cvt_f32_f16 v6, v6;
	;;#ASMEND
	ds_read_b32 v7, v7
	s_add_i32 s2, s2, -1
	v_add_co_u32_e32 v2, vcc, 0x100, v2
	s_add_i32 s3, s3, 4
	s_waitcnt lgkmcnt(0)
	v_mul_f32_e32 v6, v6, v7
	v_addc_co_u32_e32 v3, vcc, 0, v3, vcc
	s_cmp_eq_u32 s2, 0
	v_fmac_f32_e32 v4, v5, v6
	s_cbranch_scc0 .LBB76_22
.LBB76_23:
	s_lshl_b32 s2, s22, 7
	s_ashr_i32 s3, s2, 31
	s_lshl_b64 s[2:3], s[2:3], 1
	s_add_u32 s4, s10, s2
	s_addc_u32 s5, s11, s3
	s_lshl_b32 s2, s6, 7
	s_ashr_i32 s3, s2, 31
	s_lshl_b64 s[2:3], s[2:3], 1
	s_add_u32 s2, s4, s2
	s_addc_u32 s3, s5, s3
	s_waitcnt lgkmcnt(0)
	v_lshlrev_b64 v[2:3], 1, v[0:1]
	v_mov_b32_e32 v1, s3
	v_add_co_u32_e32 v2, vcc, s2, v2
	v_addc_co_u32_e32 v3, vcc, v1, v3, vcc
	;;#ASMSTART
	v_cvt_f16_f32 v1, v4;

	;;#ASMEND
	global_store_short v[2:3], v1, off
.LBB76_24:
	s_or_b64 exec, exec, s[0:1]
	s_mov_b64 s[0:1], 0
.LBB76_25:
	s_and_b64 vcc, exec, s[0:1]
	s_cbranch_vccz .LBB76_34
; %bb.26:
	s_movk_i32 s0, 0x80
	v_cmp_gt_u32_e32 vcc, s0, v0
	s_and_saveexec_b64 s[2:3], vcc
	s_cbranch_execz .LBB76_34
; %bb.27:
	s_mul_i32 s15, s15, s14
	s_lshl_b32 s2, s15, 7
	s_ashr_i32 s3, s2, 31
	s_lshl_b64 s[2:3], s[2:3], 1
	s_add_u32 s1, s10, s2
	s_addc_u32 s5, s11, s3
	s_lshl_b32 s2, s6, 7
	s_ashr_i32 s3, s2, 31
	s_lshl_b64 s[2:3], s[2:3], 1
	s_add_u32 s4, s1, s2
	s_mul_i32 s1, s7, s15
	s_addc_u32 s10, s5, s3
	s_lshl_b32 s2, s1, 7
	s_ashr_i32 s3, s2, 31
	s_lshl_b64 s[2:3], s[2:3], 1
	s_add_u32 s1, s8, s2
	s_mul_i32 s6, s6, s7
	s_addc_u32 s8, s9, s3
	s_lshl_b32 s2, s6, 7
	s_load_dword s6, s[12:13], 0xc
	s_ashr_i32 s3, s2, 31
	s_lshl_b64 s[2:3], s[2:3], 1
	s_add_u32 s5, s1, s2
	s_addc_u32 s7, s8, s3
	s_waitcnt lgkmcnt(0)
	s_and_b32 s6, s6, 0xffff
	v_cvt_f32_u32_e32 v1, s6
	v_add_u32_e32 v2, s6, v0
	v_mov_b32_e32 v4, s6
	v_cmp_gt_u32_e32 vcc, s0, v2
	v_rcp_iflag_f32_e32 v1, v1
	s_cmp_eq_u32 s6, 1
	v_max_u32_e32 v3, 0x80, v2
	v_addc_co_u32_e64 v2, s[0:1], v0, v4, vcc
	v_mul_f32_e32 v1, 0x4f7ffffe, v1
	v_cvt_u32_f32_e32 v1, v1
	s_cselect_b64 s[2:3], -1, 0
	s_sub_i32 s0, 0, s6
	v_sub_u32_e32 v2, v3, v2
	v_mul_lo_u32 v3, s0, v1
	v_mul_hi_u32 v3, v1, v3
	v_add_u32_e32 v1, v1, v3
	v_mul_hi_u32 v1, v2, v1
	v_mul_lo_u32 v3, v1, s6
	v_sub_u32_e32 v2, v2, v3
	v_add_u32_e32 v3, 1, v1
	v_cmp_le_u32_e64 s[0:1], s6, v2
	v_cndmask_b32_e64 v1, v1, v3, s[0:1]
	v_subrev_u32_e32 v3, s6, v2
	v_cndmask_b32_e64 v2, v2, v3, s[0:1]
	v_add_u32_e32 v3, 1, v1
	v_cmp_le_u32_e64 s[0:1], s6, v2
	v_cndmask_b32_e64 v1, v1, v3, s[0:1]
	v_addc_co_u32_e32 v1, vcc, 1, v1, vcc
	v_cmp_lt_u32_e32 vcc, 7, v1
	s_and_b64 s[8:9], vcc, s[2:3]
	s_mov_b64 s[2:3], -1
	s_and_saveexec_b64 s[0:1], s[8:9]
	s_cbranch_execz .LBB76_31
; %bb.28:
	v_and_b32_e32 v4, -8, v1
	s_mov_b64 s[2:3], 0
	v_mov_b32_e32 v3, 0
	v_mov_b32_e32 v5, s7
	;; [unrolled: 1-line block ×5, first 2 shown]
.LBB76_29:                              ; =>This Inner Loop Header: Depth=1
	v_lshlrev_b64 v[12:13], 1, v[2:3]
	v_add_co_u32_e32 v8, vcc, s5, v12
	v_addc_co_u32_e32 v9, vcc, v5, v13, vcc
	global_load_dwordx4 v[8:11], v[8:9], off
	v_add_co_u32_e32 v12, vcc, s4, v12
	v_add_u32_e32 v7, -8, v7
	v_addc_co_u32_e32 v13, vcc, v6, v13, vcc
	v_cmp_eq_u32_e32 vcc, 0, v7
	v_add_u32_e32 v2, 8, v2
	s_or_b64 s[2:3], vcc, s[2:3]
	s_waitcnt vmcnt(0)
	global_store_dwordx4 v[12:13], v[8:11], off
	s_andn2_b64 exec, exec, s[2:3]
	s_cbranch_execnz .LBB76_29
; %bb.30:
	s_or_b64 exec, exec, s[2:3]
	v_cmp_ne_u32_e32 vcc, v1, v4
	v_add_u32_e32 v0, v0, v4
	s_orn2_b64 s[2:3], vcc, exec
.LBB76_31:
	s_or_b64 exec, exec, s[0:1]
	s_and_b64 exec, exec, s[2:3]
	s_cbranch_execz .LBB76_34
; %bb.32:
	s_mov_b32 s3, 0
	v_mov_b32_e32 v1, 0
	v_lshlrev_b64 v[2:3], 1, v[0:1]
	s_lshl_b32 s2, s6, 1
	s_mov_b64 s[0:1], 0
	v_mov_b32_e32 v1, s7
	v_mov_b32_e32 v4, s10
	;; [unrolled: 1-line block ×3, first 2 shown]
	s_movk_i32 s3, 0x7f
.LBB76_33:                              ; =>This Inner Loop Header: Depth=1
	v_add_co_u32_e32 v6, vcc, s5, v2
	v_addc_co_u32_e32 v7, vcc, v1, v3, vcc
	global_load_ushort v8, v[6:7], off
	v_add_co_u32_e32 v6, vcc, s4, v2
	v_addc_co_u32_e32 v7, vcc, v4, v3, vcc
	v_add_co_u32_e32 v2, vcc, s2, v2
	v_add_u32_e32 v0, s6, v0
	v_addc_co_u32_e32 v3, vcc, v3, v5, vcc
	v_cmp_lt_u32_e32 vcc, s3, v0
	s_or_b64 s[0:1], vcc, s[0:1]
	s_waitcnt vmcnt(0)
	global_store_short v[6:7], v8, off
	s_andn2_b64 exec, exec, s[0:1]
	s_cbranch_execnz .LBB76_33
.LBB76_34:
	s_endpgm
	.section	.rodata,"a",@progbits
	.p2align	6, 0x0
	.amdhsa_kernel _ZN4vllm32paged_attention_v2_reduce_kernelItLi128ELi128ELi512EEEvPT_PKfS4_PKS1_PKii
		.amdhsa_group_segment_fixed_size 16
		.amdhsa_private_segment_fixed_size 0
		.amdhsa_kernarg_size 304
		.amdhsa_user_sgpr_count 6
		.amdhsa_user_sgpr_private_segment_buffer 1
		.amdhsa_user_sgpr_dispatch_ptr 0
		.amdhsa_user_sgpr_queue_ptr 0
		.amdhsa_user_sgpr_kernarg_segment_ptr 1
		.amdhsa_user_sgpr_dispatch_id 0
		.amdhsa_user_sgpr_flat_scratch_init 0
		.amdhsa_user_sgpr_kernarg_preload_length 0
		.amdhsa_user_sgpr_kernarg_preload_offset 0
		.amdhsa_user_sgpr_private_segment_size 0
		.amdhsa_uses_dynamic_stack 0
		.amdhsa_system_sgpr_private_segment_wavefront_offset 0
		.amdhsa_system_sgpr_workgroup_id_x 1
		.amdhsa_system_sgpr_workgroup_id_y 1
		.amdhsa_system_sgpr_workgroup_id_z 0
		.amdhsa_system_sgpr_workgroup_info 0
		.amdhsa_system_vgpr_workitem_id 0
		.amdhsa_next_free_vgpr 24
		.amdhsa_next_free_sgpr 32
		.amdhsa_accum_offset 24
		.amdhsa_reserve_vcc 1
		.amdhsa_reserve_flat_scratch 0
		.amdhsa_float_round_mode_32 0
		.amdhsa_float_round_mode_16_64 0
		.amdhsa_float_denorm_mode_32 3
		.amdhsa_float_denorm_mode_16_64 3
		.amdhsa_dx10_clamp 1
		.amdhsa_ieee_mode 1
		.amdhsa_fp16_overflow 0
		.amdhsa_tg_split 0
		.amdhsa_exception_fp_ieee_invalid_op 0
		.amdhsa_exception_fp_denorm_src 0
		.amdhsa_exception_fp_ieee_div_zero 0
		.amdhsa_exception_fp_ieee_overflow 0
		.amdhsa_exception_fp_ieee_underflow 0
		.amdhsa_exception_fp_ieee_inexact 0
		.amdhsa_exception_int_div_zero 0
	.end_amdhsa_kernel
	.section	.text._ZN4vllm32paged_attention_v2_reduce_kernelItLi128ELi128ELi512EEEvPT_PKfS4_PKS1_PKii,"axG",@progbits,_ZN4vllm32paged_attention_v2_reduce_kernelItLi128ELi128ELi512EEEvPT_PKfS4_PKS1_PKii,comdat
.Lfunc_end76:
	.size	_ZN4vllm32paged_attention_v2_reduce_kernelItLi128ELi128ELi512EEEvPT_PKfS4_PKS1_PKii, .Lfunc_end76-_ZN4vllm32paged_attention_v2_reduce_kernelItLi128ELi128ELi512EEEvPT_PKfS4_PKS1_PKii
                                        ; -- End function
	.section	.AMDGPU.csdata,"",@progbits
; Kernel info:
; codeLenInByte = 2168
; NumSgprs: 36
; NumVgprs: 24
; NumAgprs: 0
; TotalNumVgprs: 24
; ScratchSize: 0
; MemoryBound: 0
; FloatMode: 240
; IeeeMode: 1
; LDSByteSize: 16 bytes/workgroup (compile time only)
; SGPRBlocks: 4
; VGPRBlocks: 2
; NumSGPRsForWavesPerEU: 36
; NumVGPRsForWavesPerEU: 24
; AccumOffset: 24
; Occupancy: 8
; WaveLimiterHint : 0
; COMPUTE_PGM_RSRC2:SCRATCH_EN: 0
; COMPUTE_PGM_RSRC2:USER_SGPR: 6
; COMPUTE_PGM_RSRC2:TRAP_HANDLER: 0
; COMPUTE_PGM_RSRC2:TGID_X_EN: 1
; COMPUTE_PGM_RSRC2:TGID_Y_EN: 1
; COMPUTE_PGM_RSRC2:TGID_Z_EN: 0
; COMPUTE_PGM_RSRC2:TIDIG_COMP_CNT: 0
; COMPUTE_PGM_RSRC3_GFX90A:ACCUM_OFFSET: 5
; COMPUTE_PGM_RSRC3_GFX90A:TG_SPLIT: 0
	.section	.text._ZN4vllm25paged_attention_v2_kernelIttLi192ELi8ELi128ELNS_18Fp8KVCacheDataTypeE0ELb1ELi512EEEvPfS2_PT_PKS3_PKT0_S9_ifPKiSB_iPKfiiiSD_SD_iiiii,"axG",@progbits,_ZN4vllm25paged_attention_v2_kernelIttLi192ELi8ELi128ELNS_18Fp8KVCacheDataTypeE0ELb1ELi512EEEvPfS2_PT_PKS3_PKT0_S9_ifPKiSB_iPKfiiiSD_SD_iiiii,comdat
	.protected	_ZN4vllm25paged_attention_v2_kernelIttLi192ELi8ELi128ELNS_18Fp8KVCacheDataTypeE0ELb1ELi512EEEvPfS2_PT_PKS3_PKT0_S9_ifPKiSB_iPKfiiiSD_SD_iiiii ; -- Begin function _ZN4vllm25paged_attention_v2_kernelIttLi192ELi8ELi128ELNS_18Fp8KVCacheDataTypeE0ELb1ELi512EEEvPfS2_PT_PKS3_PKT0_S9_ifPKiSB_iPKfiiiSD_SD_iiiii
	.globl	_ZN4vllm25paged_attention_v2_kernelIttLi192ELi8ELi128ELNS_18Fp8KVCacheDataTypeE0ELb1ELi512EEEvPfS2_PT_PKS3_PKT0_S9_ifPKiSB_iPKfiiiSD_SD_iiiii
	.p2align	8
	.type	_ZN4vllm25paged_attention_v2_kernelIttLi192ELi8ELi128ELNS_18Fp8KVCacheDataTypeE0ELb1ELi512EEEvPfS2_PT_PKS3_PKT0_S9_ifPKiSB_iPKfiiiSD_SD_iiiii,@function
_ZN4vllm25paged_attention_v2_kernelIttLi192ELi8ELi128ELNS_18Fp8KVCacheDataTypeE0ELb1ELi512EEEvPfS2_PT_PKS3_PKT0_S9_ifPKiSB_iPKfiiiSD_SD_iiiii: ; @_ZN4vllm25paged_attention_v2_kernelIttLi192ELi8ELi128ELNS_18Fp8KVCacheDataTypeE0ELb1ELi512EEEvPfS2_PT_PKS3_PKT0_S9_ifPKiSB_iPKfiiiSD_SD_iiiii
; %bb.0:
	s_load_dwordx2 s[0:1], s[4:5], 0x40
	s_mov_b32 s36, s7
	s_ashr_i32 s37, s7, 31
	s_lshl_b64 s[2:3], s[36:37], 2
	s_waitcnt lgkmcnt(0)
	s_add_u32 s0, s0, s2
	s_addc_u32 s1, s1, s3
	s_load_dword s37, s[0:1], 0x0
	s_lshl_b32 s48, s8, 9
	s_waitcnt lgkmcnt(0)
	s_cmp_ge_i32 s48, s37
	s_cbranch_scc1 .LBB77_65
; %bb.1:
	s_load_dword s9, s[4:5], 0x90
	s_load_dwordx2 s[40:41], s[4:5], 0x30
	s_mov_b32 s49, 0
	s_waitcnt lgkmcnt(0)
	s_abs_i32 s2, s9
	s_abs_i32 s0, s40
	v_cvt_f32_u32_e32 v1, s0
	s_sub_i32 s3, 0, s0
	s_xor_b32 s1, s9, s40
	s_ashr_i32 s1, s1, 31
	v_rcp_iflag_f32_e32 v1, v1
	v_mul_f32_e32 v1, 0x4f7ffffe, v1
	v_cvt_u32_f32_e32 v1, v1
	v_readfirstlane_b32 s7, v1
	s_mul_i32 s3, s3, s7
	s_mul_hi_u32 s3, s7, s3
	s_add_i32 s7, s7, s3
	s_mul_hi_u32 s3, s2, s7
	s_mul_i32 s7, s3, s0
	s_sub_i32 s2, s2, s7
	s_add_i32 s10, s3, 1
	s_sub_i32 s7, s2, s0
	s_cmp_ge_u32 s2, s0
	s_cselect_b32 s3, s10, s3
	s_cselect_b32 s2, s7, s2
	s_add_i32 s7, s3, 1
	s_cmp_ge_u32 s2, s0
	s_cselect_b32 s0, s7, s3
	s_xor_b32 s0, s0, s1
	s_sub_i32 s11, s0, s1
	s_abs_i32 s10, s11
	v_cvt_f32_u32_e32 v1, s10
	s_load_dwordx2 s[0:1], s[4:5], 0x50
	s_sub_i32 s2, 0, s10
	s_abs_i32 s24, s6
	v_rcp_iflag_f32_e32 v1, v1
	v_mul_f32_e32 v1, 0x4f7ffffe, v1
	v_cvt_u32_f32_e32 v1, v1
	v_readfirstlane_b32 s3, v1
	s_mul_i32 s2, s2, s3
	s_mul_hi_u32 s2, s3, s2
	s_add_i32 s2, s3, s2
	s_waitcnt lgkmcnt(0)
	s_cmp_eq_u64 s[0:1], 0
	s_cbranch_scc1 .LBB77_3
; %bb.2:
	s_ashr_i32 s7, s6, 31
	s_lshl_b64 s[12:13], s[6:7], 2
	s_add_u32 s0, s0, s12
	s_addc_u32 s1, s1, s13
	s_load_dword s49, s[0:1], 0x0
.LBB77_3:
	s_load_dwordx4 s[20:23], s[4:5], 0x0
	s_load_dwordx2 s[28:29], s[4:5], 0x10
	s_load_dwordx4 s[12:15], s[4:5], 0x20
	s_load_dwordx2 s[34:35], s[4:5], 0x38
	s_load_dword s33, s[4:5], 0x98
	s_load_dwordx4 s[16:19], s[4:5], 0x58
	v_and_b32_e32 v11, 7, v0
	s_movk_i32 s0, 0xc0
	s_mul_i32 s30, s6, 0xc0
	s_mul_hi_u32 s7, s24, s2
	s_ashr_i32 s31, s30, 31
	v_cmp_gt_u32_e32 vcc, s0, v0
	v_lshlrev_b32_e32 v9, 1, v11
	s_and_saveexec_b64 s[0:1], vcc
	s_cbranch_execz .LBB77_6
; %bb.4:
	s_load_dwordx2 s[2:3], s[4:5], 0x18
	s_waitcnt lgkmcnt(0)
	s_mul_i32 s26, s36, s16
	s_ashr_i32 s27, s26, 31
	s_lshl_b64 s[26:27], s[26:27], 1
	s_lshl_b64 s[38:39], s[30:31], 1
	s_add_u32 s16, s26, s38
	s_addc_u32 s19, s27, s39
	v_lshrrev_b32_e32 v2, 3, v0
	s_add_u32 s2, s2, s16
	v_add_u32_e32 v1, -16, v2
	v_lshlrev_b32_e32 v3, 1, v2
	v_lshl_or_b32 v2, v2, 4, v9
	s_addc_u32 s3, s3, s19
	v_mad_u32_u24 v4, v11, 48, v3
	v_mov_b32_e32 v3, s3
	v_add_co_u32_e32 v2, vcc, s2, v2
	v_addc_co_u32_e32 v3, vcc, 0, v3, vcc
	s_mov_b64 s[2:3], 0
.LBB77_5:                               ; =>This Inner Loop Header: Depth=1
	global_load_ushort v5, v[2:3], off
	v_add_co_u32_e32 v2, vcc, 0x100, v2
	v_add_u32_e32 v1, 16, v1
	v_addc_co_u32_e32 v3, vcc, 0, v3, vcc
	v_cmp_lt_u32_e32 vcc, 7, v1
	s_or_b64 s[2:3], vcc, s[2:3]
	s_waitcnt vmcnt(0)
	ds_write_b16 v4, v5
	v_add_u32_e32 v4, 32, v4
	s_andn2_b64 exec, exec, s[2:3]
	s_cbranch_execnz .LBB77_5
.LBB77_6:
	s_or_b64 exec, exec, s[0:1]
	s_ashr_i32 s0, s6, 31
	s_ashr_i32 s1, s11, 31
	s_xor_b32 s0, s0, s1
	s_mul_i32 s1, s7, s10
	s_sub_i32 s1, s24, s1
	s_add_i32 s2, s7, 1
	s_sub_i32 s3, s1, s10
	s_load_dwordx4 s[24:27], s[4:5], 0x78
	s_cmp_ge_u32 s1, s10
	s_cselect_b32 s2, s2, s7
	s_cselect_b32 s1, s3, s1
	s_add_i32 s3, s2, 1
	s_cmp_ge_u32 s1, s10
	s_cselect_b32 s1, s3, s2
	s_load_dword s3, s[4:5], 0x88
	s_waitcnt lgkmcnt(0)
	s_abs_i32 s16, s27
	v_cvt_f32_u32_e32 v1, s16
	s_xor_b32 s1, s1, s0
	s_sub_i32 s2, s1, s0
	s_sub_i32 s0, 0, s16
	v_rcp_iflag_f32_e32 v1, v1
	s_add_i32 s11, s37, -1
	s_abs_i32 s7, s11
	v_mul_f32_e32 v1, 0x4f7ffffe, v1
	v_cvt_u32_f32_e32 v1, v1
	s_barrier
	v_readfirstlane_b32 s31, v1
	s_mul_i32 s0, s0, s31
	s_mul_hi_u32 s0, s31, s0
	s_add_i32 s31, s31, s0
	s_cmp_lt_i32 s3, 0
	s_mul_hi_u32 s10, s7, s31
	s_cbranch_scc0 .LBB77_8
; %bb.7:
	s_mul_i32 s0, s24, s40
	s_add_i32 s0, s2, s0
	s_mul_i32 s0, s0, s3
	s_sub_i32 s46, 1, s0
	s_ashr_i32 s11, s11, 31
	s_ashr_i32 s27, s27, 31
	s_cbranch_execz .LBB77_9
	s_branch .LBB77_10
.LBB77_8:
                                        ; implicit-def: $sgpr46
	s_ashr_i32 s11, s11, 31
	s_ashr_i32 s27, s27, 31
.LBB77_9:
	s_mul_i32 s0, s9, s24
	s_add_i32 s0, s0, s6
	s_mul_i32 s0, s0, s3
	s_add_i32 s46, s0, 1
.LBB77_10:
	s_load_dword s0, s[4:5], 0x48
	s_mul_i32 s3, s10, s16
	s_sub_i32 s3, s7, s3
	s_xor_b32 s1, s11, s27
	s_add_i32 s4, s10, 1
	s_waitcnt lgkmcnt(0)
	s_mul_i32 s38, s36, s0
	s_ashr_i32 s39, s38, 31
	s_sub_i32 s0, s3, s16
	s_cmp_ge_u32 s3, s16
	s_cselect_b32 s4, s4, s10
	s_cselect_b32 s0, s0, s3
	s_add_i32 s3, s4, 1
	s_cmp_ge_u32 s0, s16
	s_cselect_b32 s0, s3, s4
	s_xor_b32 s0, s0, s1
	s_sub_i32 s47, s0, s1
	s_add_i32 s0, s37, 7
	s_ashr_i32 s1, s0, 31
	s_lshr_b32 s1, s1, 29
	s_add_i32 s0, s0, s1
	s_lshl_b32 s40, s8, 6
	s_ashr_i32 s7, s0, 3
	s_add_i32 s0, s40, 64
	v_lshrrev_b32_e32 v4, 6, v0
	s_min_i32 s24, s0, s7
	v_or_b32_e32 v6, s40, v4
	v_cmp_gt_i32_e64 s[0:1], s24, v6
	v_mov_b32_e32 v13, 0xff7fffff
	s_mul_i32 s18, s2, s18
	v_ashrrev_i32_e32 v7, 31, v6
	v_lshl_add_u32 v1, v4, 3, s48
	v_mbcnt_lo_u32_b32 v5, -1, 0
	s_and_saveexec_b64 s[42:43], s[0:1]
	s_cbranch_execz .LBB77_20
; %bb.11:
	s_ashr_i32 s19, s18, 31
	s_sub_i32 s50, s47, s25
	s_lshl_b64 s[2:3], s[18:19], 1
	s_add_u32 s2, s12, s2
	s_addc_u32 s3, s13, s3
	s_abs_i32 s19, s26
	v_cvt_f32_u32_e32 v10, s19
	v_bfe_u32 v8, v0, 3, 3
	v_lshlrev_b32_e32 v2, 4, v8
	v_mov_b32_e32 v3, s3
	v_rcp_iflag_f32_e32 v12, v10
	v_add_co_u32_e64 v2, s[2:3], s2, v2
	v_addc_co_u32_e64 v3, s[2:3], 0, v3, s[2:3]
	v_add_co_u32_e64 v9, s[2:3], v2, v9
	v_mul_f32_e32 v2, 0x4f7ffffe, v12
	v_cvt_u32_f32_e32 v2, v2
	s_sub_i32 s4, 0, s19
	v_addc_co_u32_e64 v10, s[2:3], 0, v3, s[2:3]
	v_mul_lo_u32 v3, s4, v2
	s_lshl_b64 s[4:5], s[38:39], 2
	v_mul_hi_u32 v3, v2, v3
	s_add_u32 s4, s34, s4
	v_add_u32_e32 v12, v2, v3
	v_lshlrev_b64 v[2:3], 2, v[6:7]
	s_addc_u32 s5, s35, s5
	v_mov_b32_e32 v13, s5
	v_add_co_u32_e64 v2, s[4:5], s4, v2
	v_addc_co_u32_e64 v3, s[4:5], v13, v3, s[4:5]
	v_lshlrev_b32_e32 v13, 2, v8
	v_lshl_or_b32 v13, v4, 5, v13
	v_add_u32_e32 v15, 0x190, v13
	v_subrev_u32_e32 v13, s37, v8
	v_mbcnt_hi_u32_b32 v18, -1, v5
	v_add_u32_e32 v16, 1, v13
	v_and_b32_e32 v13, 64, v18
	v_cmp_eq_u32_e32 vcc, 0, v11
	s_mov_b32 s51, s17
	v_mul_u32_u24_e32 v11, 48, v11
	v_cmp_neq_f32_e64 s[2:3], s49, 0
	v_lshl_add_u32 v14, v4, 3, s48
	s_mov_b64 s[12:13], 0
	v_mov_b32_e32 v17, 0xff7fffff
	v_add_u32_e32 v19, 64, v13
	v_xor_b32_e32 v20, 4, v18
	v_xor_b32_e32 v21, 2, v18
	;; [unrolled: 1-line block ×3, first 2 shown]
	v_mov_b32_e32 v13, 0xff7fffff
	v_mov_b32_e32 v23, v6
	s_branch .LBB77_14
.LBB77_12:                              ;   in Loop: Header=BB77_14 Depth=1
	s_or_b64 exec, exec, s[44:45]
.LBB77_13:                              ;   in Loop: Header=BB77_14 Depth=1
	s_or_b64 exec, exec, s[10:11]
	v_add_co_u32_e64 v2, s[4:5], 8, v2
	v_add_u32_e32 v23, 2, v23
	v_addc_co_u32_e64 v3, s[4:5], 0, v3, s[4:5]
	v_cmp_le_i32_e64 s[4:5], s24, v23
	v_add_u32_e32 v14, 16, v14
	s_or_b64 s[12:13], s[4:5], s[12:13]
	v_add_u32_e32 v15, 64, v15
	s_andn2_b64 exec, exec, s[12:13]
	s_cbranch_execz .LBB77_19
.LBB77_14:                              ; =>This Inner Loop Header: Depth=1
	s_waitcnt lgkmcnt(0)
	v_sub_u32_e32 v25, 0, v14
	v_max_i32_e32 v25, v14, v25
	v_mul_hi_u32 v26, v25, s31
	v_mul_lo_u32 v27, v26, s16
	v_sub_u32_e32 v25, v25, v27
	v_add_u32_e32 v27, 1, v26
	v_cmp_le_u32_e64 s[4:5], s16, v25
	v_cndmask_b32_e64 v26, v26, v27, s[4:5]
	v_subrev_u32_e32 v27, s16, v25
	v_cndmask_b32_e64 v25, v25, v27, s[4:5]
	v_ashrrev_i32_e32 v24, 31, v14
	v_add_u32_e32 v27, 1, v26
	v_cmp_le_u32_e64 s[4:5], s16, v25
	v_xor_b32_e32 v24, s27, v24
	v_cndmask_b32_e64 v25, v26, v27, s[4:5]
	v_xor_b32_e32 v25, v25, v24
	v_sub_u32_e32 v24, v25, v24
	v_add_u32_e32 v25, s46, v24
	v_sub_u32_e32 v27, 0, v25
	v_ashrrev_i32_e32 v26, 31, v25
	v_max_i32_e32 v25, v25, v27
	v_mul_hi_u32 v27, v25, v12
	v_mul_lo_u32 v27, v27, s19
	v_sub_u32_e32 v25, v25, v27
	v_subrev_u32_e32 v27, s19, v25
	v_cmp_le_u32_e64 s[4:5], s19, v25
	v_cndmask_b32_e64 v25, v25, v27, s[4:5]
	v_subrev_u32_e32 v27, s19, v25
	v_cmp_le_u32_e64 s[4:5], s19, v25
	v_cndmask_b32_e64 v25, v25, v27, s[4:5]
	v_xor_b32_e32 v25, v25, v26
	v_sub_u32_e32 v25, v25, v26
	v_cmp_ne_u32_e64 s[4:5], 0, v25
	v_cmp_ge_i32_e64 s[10:11], s50, v24
	s_and_b64 s[4:5], s[4:5], s[10:11]
	s_and_b64 s[44:45], vcc, s[4:5]
	s_and_saveexec_b64 s[10:11], s[44:45]
	s_cbranch_execz .LBB77_16
; %bb.15:                               ;   in Loop: Header=BB77_14 Depth=1
	ds_write_b32 v15, v17
.LBB77_16:                              ;   in Loop: Header=BB77_14 Depth=1
	s_or_b64 exec, exec, s[10:11]
	s_xor_b64 s[4:5], s[4:5], -1
	s_and_saveexec_b64 s[10:11], s[4:5]
	s_cbranch_execz .LBB77_13
; %bb.17:                               ;   in Loop: Header=BB77_14 Depth=1
	global_load_dword v24, v[2:3], off
	s_waitcnt vmcnt(0)
	v_mad_i64_i32 v[24:25], s[4:5], v24, s51, 0
	v_lshlrev_b64 v[24:25], 1, v[24:25]
	v_add_co_u32_e64 v24, s[4:5], v9, v24
	v_addc_co_u32_e64 v25, s[4:5], v10, v25, s[4:5]
	global_load_ushort v26, v[24:25], off
	global_load_ushort v27, v[24:25], off offset:128
	global_load_ushort v28, v[24:25], off offset:256
	;; [unrolled: 1-line block ×9, first 2 shown]
	ds_read_u16 v36, v11
	global_load_ushort v37, v[24:25], off offset:1280
	global_load_ushort v38, v[24:25], off offset:1408
	global_load_ushort v39, v[24:25], off offset:1536
	global_load_ushort v40, v[24:25], off offset:1664
	global_load_ushort v41, v[24:25], off offset:1792
	global_load_ushort v42, v[24:25], off offset:1920
	global_load_ushort v43, v[24:25], off offset:2048
	global_load_ushort v44, v[24:25], off offset:2176
	global_load_ushort v45, v[24:25], off offset:2304
	global_load_ushort v46, v[24:25], off offset:2432
	global_load_ushort v47, v[24:25], off offset:2560
	global_load_ushort v48, v[24:25], off offset:2688
	global_load_ushort v49, v[24:25], off offset:2816
	s_nop 0
	global_load_ushort v24, v[24:25], off offset:2944
	s_waitcnt lgkmcnt(0)
	;;#ASMSTART
	v_cvt_f32_f16 v25, v36;
	;;#ASMEND
	v_cmp_lt_i32_e64 s[4:5], v20, v19
	v_cndmask_b32_e64 v66, v18, v20, s[4:5]
	v_lshlrev_b32_e32 v66, 2, v66
	v_cmp_lt_i32_e64 s[4:5], v21, v19
	s_waitcnt vmcnt(23)
	;;#ASMSTART
	v_cvt_f32_f16 v26, v26;
	;;#ASMEND
	ds_read_u16 v36, v11 offset:2
	s_waitcnt lgkmcnt(0)
	;;#ASMSTART
	v_cvt_f32_f16 v36, v36;
	;;#ASMEND
	s_waitcnt vmcnt(22)
	;;#ASMSTART
	v_cvt_f32_f16 v27, v27;
	;;#ASMEND
	v_mul_f32_e32 v27, v36, v27
	ds_read_u16 v50, v11 offset:4
	v_fmac_f32_e32 v27, v25, v26
	s_waitcnt lgkmcnt(0)
	;;#ASMSTART
	v_cvt_f32_f16 v50, v50;
	;;#ASMEND
	s_waitcnt vmcnt(21)
	;;#ASMSTART
	v_cvt_f32_f16 v28, v28;
	;;#ASMEND
	ds_read_u16 v51, v11 offset:6
	v_fmac_f32_e32 v27, v50, v28
	s_waitcnt lgkmcnt(0)
	;;#ASMSTART
	v_cvt_f32_f16 v51, v51;
	;;#ASMEND
	s_waitcnt vmcnt(20)
	;;#ASMSTART
	v_cvt_f32_f16 v29, v29;
	;;#ASMEND
	;; [unrolled: 10-line block ×16, first 2 shown]
	v_fmac_f32_e32 v27, v65, v44
	ds_read_u16 v67, v11 offset:36
	s_waitcnt lgkmcnt(0)
	;;#ASMSTART
	v_cvt_f32_f16 v25, v67;
	;;#ASMEND
	s_waitcnt vmcnt(5)
	;;#ASMSTART
	v_cvt_f32_f16 v26, v45;
	;;#ASMEND
	ds_read_u16 v28, v11 offset:38
	v_fmac_f32_e32 v27, v25, v26
	s_waitcnt lgkmcnt(0)
	;;#ASMSTART
	v_cvt_f32_f16 v28, v28;
	;;#ASMEND
	s_waitcnt vmcnt(4)
	;;#ASMSTART
	v_cvt_f32_f16 v29, v46;
	;;#ASMEND
	ds_read_u16 v30, v11 offset:40
	v_fmac_f32_e32 v27, v28, v29
	;; [unrolled: 10-line block ×3, first 2 shown]
	s_waitcnt lgkmcnt(0)
	;;#ASMSTART
	v_cvt_f32_f16 v32, v32;
	;;#ASMEND
	s_waitcnt vmcnt(2)
	;;#ASMSTART
	v_cvt_f32_f16 v33, v48;
	;;#ASMEND
	v_fmac_f32_e32 v27, v32, v33
	ds_read_u16 v34, v11 offset:44
	s_waitcnt lgkmcnt(0)
	;;#ASMSTART
	v_cvt_f32_f16 v25, v34;
	;;#ASMEND
	s_waitcnt vmcnt(1)
	;;#ASMSTART
	v_cvt_f32_f16 v26, v49;
	;;#ASMEND
	v_fmac_f32_e32 v27, v25, v26
	ds_read_u16 v34, v11 offset:46
	s_waitcnt lgkmcnt(0)
	;;#ASMSTART
	v_cvt_f32_f16 v25, v34;
	;;#ASMEND
	s_waitcnt vmcnt(0)
	;;#ASMSTART
	v_cvt_f32_f16 v24, v24;
	;;#ASMEND
	v_fmac_f32_e32 v27, v25, v24
	ds_bpermute_b32 v24, v66, v27
	v_cndmask_b32_e64 v25, v18, v21, s[4:5]
	v_lshlrev_b32_e32 v25, 2, v25
	v_cmp_lt_i32_e64 s[4:5], v22, v19
	v_cndmask_b32_e64 v26, v18, v22, s[4:5]
	s_waitcnt lgkmcnt(0)
	v_add_f32_e32 v24, v27, v24
	ds_bpermute_b32 v25, v25, v24
	s_waitcnt lgkmcnt(0)
	v_add_f32_e32 v24, v24, v25
	v_lshlrev_b32_e32 v25, 2, v26
	ds_bpermute_b32 v25, v25, v24
	s_and_saveexec_b64 s[44:45], vcc
	s_cbranch_execz .LBB77_12
; %bb.18:                               ;   in Loop: Header=BB77_14 Depth=1
	v_add_u32_e32 v26, v16, v14
	v_cvt_f32_i32_e32 v26, v26
	s_waitcnt lgkmcnt(0)
	v_add_f32_e32 v24, v24, v25
	v_add_u32_e32 v27, v8, v14
	v_cmp_gt_i32_e64 s[4:5], s37, v27
	v_mul_f32_e32 v25, s49, v26
	v_cndmask_b32_e64 v25, 0, v25, s[2:3]
	v_fmac_f32_e32 v25, s41, v24
	v_cndmask_b32_e64 v24, 0, v25, s[4:5]
	ds_write_b32 v15, v24
	v_max_f32_e32 v24, v13, v13
	v_max_f32_e32 v24, v24, v25
	v_cndmask_b32_e64 v13, v13, v24, s[4:5]
	s_branch .LBB77_12
.LBB77_19:
	s_or_b64 exec, exec, s[12:13]
.LBB77_20:
	s_or_b64 exec, exec, s[42:43]
	v_mbcnt_hi_u32_b32 v2, -1, v5
	v_and_b32_e32 v3, 64, v2
	v_add_u32_e32 v3, 64, v3
	v_xor_b32_e32 v5, 32, v2
	v_cmp_lt_i32_e32 vcc, v5, v3
	v_cndmask_b32_e32 v5, v2, v5, vcc
	v_lshlrev_b32_e32 v9, 2, v5
	ds_bpermute_b32 v5, v9, v13
	v_xor_b32_e32 v10, 16, v2
	v_max_f32_e32 v8, v13, v13
	v_cmp_lt_i32_e32 vcc, v10, v3
	v_and_b32_e32 v14, 63, v0
	s_waitcnt lgkmcnt(0)
	v_max_f32_e32 v5, v5, v5
	v_max_f32_e32 v5, v8, v5
	v_cndmask_b32_e32 v8, v2, v10, vcc
	v_lshlrev_b32_e32 v11, 2, v8
	ds_bpermute_b32 v8, v11, v5
	v_xor_b32_e32 v10, 8, v2
	v_cmp_lt_i32_e32 vcc, v10, v3
	s_waitcnt lgkmcnt(0)
	v_max_f32_e32 v8, v8, v8
	v_max_f32_e32 v5, v5, v8
	v_cndmask_b32_e32 v8, v2, v10, vcc
	v_lshlrev_b32_e32 v12, 2, v8
	ds_bpermute_b32 v10, v12, v5
	v_cmp_eq_u32_e32 vcc, 0, v14
	v_lshlrev_b32_e32 v8, 2, v4
	s_and_saveexec_b64 s[2:3], vcc
	s_cbranch_execz .LBB77_22
; %bb.21:
	s_waitcnt lgkmcnt(0)
	v_max_f32_e32 v10, v10, v10
	v_max_f32_e32 v5, v5, v5
	;; [unrolled: 1-line block ×3, first 2 shown]
	ds_write_b32 v8, v5 offset:384
.LBB77_22:
	s_or_b64 exec, exec, s[2:3]
	v_cmp_gt_u32_e64 s[2:3], 2, v14
	v_mov_b32_e32 v5, 0xff7fffff
	s_waitcnt lgkmcnt(0)
	v_lshlrev_b32_e32 v10, 2, v14
	s_barrier
	s_and_saveexec_b64 s[4:5], s[2:3]
	s_cbranch_execz .LBB77_24
; %bb.23:
	ds_read_b32 v5, v10 offset:384
.LBB77_24:
	s_or_b64 exec, exec, s[4:5]
	v_xor_b32_e32 v13, 1, v2
	v_cmp_lt_i32_e64 s[4:5], v13, v3
	v_cndmask_b32_e64 v13, v2, v13, s[4:5]
	v_lshlrev_b32_e32 v13, 2, v13
	s_waitcnt lgkmcnt(0)
	ds_bpermute_b32 v15, v13, v5
	v_max_f32_e32 v5, v5, v5
	s_sub_i32 s4, s24, s40
	s_lshl_b32 s4, s4, 3
	s_add_i32 s4, s4, s48
	s_waitcnt lgkmcnt(0)
	v_max_f32_e32 v15, v15, v15
	v_max_f32_e32 v5, v5, v15
	v_lshlrev_b32_e32 v15, 2, v2
	v_and_b32_e32 v15, 0x100, v15
	ds_bpermute_b32 v5, v15, v5
	s_min_i32 s42, s4, s37
	s_sub_i32 s19, s42, s48
	v_cmp_gt_i32_e64 s[4:5], s19, v0
	v_mov_b32_e32 v16, 0
	s_and_saveexec_b64 s[12:13], s[4:5]
	s_cbranch_execz .LBB77_28
; %bb.25:
	v_mov_b32_e32 v16, 0x190
	v_lshl_add_u32 v17, v0, 2, v16
	s_mov_b64 s[40:41], 0
	v_mov_b32_e32 v16, 0
	v_mov_b32_e32 v18, v0
.LBB77_26:                              ; =>This Inner Loop Header: Depth=1
	ds_read_b32 v19, v17
	v_add_u32_e32 v18, 0x80, v18
	v_cmp_le_i32_e64 s[10:11], s19, v18
	s_or_b64 s[40:41], s[10:11], s[40:41]
	s_waitcnt lgkmcnt(0)
	v_sub_f32_e32 v19, v19, v5
	v_mul_f32_e32 v19, 0x3fb8aa3b, v19
	v_exp_f32_e32 v19, v19
	ds_write_b32 v17, v19
	v_add_f32_e32 v16, v16, v19
	v_add_u32_e32 v17, 0x200, v17
	s_andn2_b64 exec, exec, s[40:41]
	s_cbranch_execnz .LBB77_26
; %bb.27:
	s_or_b64 exec, exec, s[40:41]
.LBB77_28:
	s_or_b64 exec, exec, s[12:13]
	ds_bpermute_b32 v9, v9, v16
	s_waitcnt lgkmcnt(0)
	v_add_f32_e32 v9, v16, v9
	ds_bpermute_b32 v11, v11, v9
	s_waitcnt lgkmcnt(0)
	v_add_f32_e32 v9, v9, v11
	ds_bpermute_b32 v11, v12, v9
	v_xor_b32_e32 v12, 4, v2
	v_cmp_lt_i32_e64 s[10:11], v12, v3
	v_cndmask_b32_e64 v12, v2, v12, s[10:11]
	v_lshlrev_b32_e32 v12, 2, v12
	s_waitcnt lgkmcnt(0)
	v_add_f32_e32 v9, v9, v11
	ds_bpermute_b32 v11, v12, v9
	v_xor_b32_e32 v12, 2, v2
	v_cmp_lt_i32_e64 s[10:11], v12, v3
	v_cndmask_b32_e64 v2, v2, v12, s[10:11]
	v_lshlrev_b32_e32 v2, 2, v2
	s_waitcnt lgkmcnt(0)
	v_add_f32_e32 v3, v9, v11
	ds_bpermute_b32 v2, v2, v3
	s_waitcnt lgkmcnt(0)
	v_add_f32_e32 v2, v3, v2
	ds_bpermute_b32 v3, v13, v2
	s_waitcnt lgkmcnt(0)
	v_add_f32_e32 v2, v2, v3
	s_and_saveexec_b64 s[10:11], vcc
	s_cbranch_execz .LBB77_30
; %bb.29:
	ds_write_b32 v8, v2 offset:392
.LBB77_30:
	s_or_b64 exec, exec, s[10:11]
	s_waitcnt lgkmcnt(0)
	s_barrier
	s_and_saveexec_b64 s[10:11], s[2:3]
	s_cbranch_execz .LBB77_32
; %bb.31:
	ds_read_b32 v2, v10 offset:392
.LBB77_32:
	s_or_b64 exec, exec, s[10:11]
	s_waitcnt lgkmcnt(0)
	ds_bpermute_b32 v3, v13, v2
	s_waitcnt lgkmcnt(0)
	v_add_f32_e32 v2, v2, v3
	ds_bpermute_b32 v8, v15, v2
	s_and_saveexec_b64 s[2:3], s[4:5]
	s_cbranch_execz .LBB77_45
; %bb.33:
	s_waitcnt lgkmcnt(0)
	v_add_f32_e32 v2, 0x358637bd, v8
	v_div_scale_f32 v3, s[4:5], v2, v2, 1.0
	v_rcp_f32_e32 v9, v3
	v_div_scale_f32 v10, vcc, 1.0, v2, 1.0
	s_movk_i32 s4, 0x7f
	v_fma_f32 v11, -v3, v9, 1.0
	v_fmac_f32_e32 v9, v11, v9
	v_mul_f32_e32 v11, v10, v9
	v_fma_f32 v12, -v3, v11, v10
	v_fmac_f32_e32 v11, v12, v9
	v_fma_f32 v3, -v3, v11, v10
	v_div_fmas_f32 v3, v3, v9, v11
	v_div_fixup_f32 v2, v3, v2, 1.0
	v_xad_u32 v3, v0, -1, s42
	v_subrev_u32_e32 v9, s48, v3
	v_cmp_lt_u32_e32 vcc, s4, v9
	s_mov_b64 s[10:11], -1
	v_mov_b32_e32 v3, v0
	s_and_saveexec_b64 s[4:5], vcc
	s_cbranch_execz .LBB77_42
; %bb.34:
	v_lshrrev_b32_e32 v9, 7, v9
	v_add_u32_e32 v11, -1, v9
	v_lshrrev_b32_e32 v10, 1, v11
	v_mov_b32_e32 v3, v2
	v_add_u32_e32 v10, 1, v10
	v_cmp_lt_u32_e32 vcc, 13, v11
	v_mov_b32_e32 v13, 0
	s_and_saveexec_b64 s[10:11], vcc
	s_cbranch_execz .LBB77_38
; %bb.35:
	v_mov_b32_e32 v12, 0x190
	v_and_b32_e32 v11, -8, v10
	v_lshl_add_u32 v12, v0, 2, v12
	s_mov_b32 s40, 0
	s_mov_b64 s[12:13], 0
.LBB77_36:                              ; =>This Inner Loop Header: Depth=1
	ds_read2st64_b32 v[16:17], v12 offset1:2
	ds_read2st64_b32 v[18:19], v12 offset0:4 offset1:6
	ds_read2st64_b32 v[20:21], v12 offset0:8 offset1:10
	;; [unrolled: 1-line block ×3, first 2 shown]
	v_add_u32_e32 v11, -8, v11
	s_waitcnt lgkmcnt(3)
	v_pk_mul_f32 v[16:17], v[2:3], v[16:17]
	s_waitcnt lgkmcnt(2)
	v_pk_mul_f32 v[18:19], v[2:3], v[18:19]
	ds_write2st64_b32 v12, v16, v17 offset1:2
	ds_write2st64_b32 v12, v18, v19 offset0:4 offset1:6
	ds_read2st64_b32 v[18:19], v12 offset0:16 offset1:18
	s_waitcnt lgkmcnt(4)
	v_pk_mul_f32 v[16:17], v[2:3], v[20:21]
	ds_write2st64_b32 v12, v16, v17 offset0:8 offset1:10
	s_waitcnt lgkmcnt(4)
	v_pk_mul_f32 v[16:17], v[2:3], v[22:23]
	ds_write2st64_b32 v12, v16, v17 offset0:12 offset1:14
	ds_read2st64_b32 v[16:17], v12 offset0:20 offset1:22
	s_waitcnt lgkmcnt(3)
	v_pk_mul_f32 v[18:19], v[2:3], v[18:19]
	ds_read2st64_b32 v[20:21], v12 offset0:24 offset1:26
	ds_write2st64_b32 v12, v18, v19 offset0:16 offset1:18
	ds_read2st64_b32 v[18:19], v12 offset0:28 offset1:30
	s_waitcnt lgkmcnt(3)
	v_pk_mul_f32 v[16:17], v[2:3], v[16:17]
	ds_write2st64_b32 v12, v16, v17 offset0:20 offset1:22
	s_waitcnt lgkmcnt(3)
	v_pk_mul_f32 v[16:17], v[2:3], v[20:21]
	ds_write2st64_b32 v12, v16, v17 offset0:24 offset1:26
	s_waitcnt lgkmcnt(2)
	v_pk_mul_f32 v[16:17], v[2:3], v[18:19]
	s_add_i32 s40, s40, 16
	v_cmp_eq_u32_e32 vcc, 0, v11
	ds_write2st64_b32 v12, v16, v17 offset0:28 offset1:30
	v_add_u32_e32 v12, 0x2000, v12
	s_or_b64 s[12:13], vcc, s[12:13]
	v_mov_b32_e32 v13, s40
	s_andn2_b64 exec, exec, s[12:13]
	s_cbranch_execnz .LBB77_36
; %bb.37:
	s_or_b64 exec, exec, s[12:13]
.LBB77_38:
	s_or_b64 exec, exec, s[10:11]
	v_and_b32_e32 v10, 7, v10
	v_cmp_ne_u32_e32 vcc, 0, v10
	s_and_saveexec_b64 s[10:11], vcc
	s_cbranch_execz .LBB77_41
; %bb.39:
	v_lshlrev_b32_e32 v11, 9, v13
	v_lshlrev_b32_e32 v12, 2, v0
	s_movk_i32 s12, 0x190
	v_add3_u32 v11, v11, v12, s12
	s_mov_b64 s[12:13], 0
.LBB77_40:                              ; =>This Inner Loop Header: Depth=1
	ds_read2st64_b32 v[12:13], v11 offset1:2
	v_add_u32_e32 v10, -1, v10
	v_cmp_eq_u32_e32 vcc, 0, v10
	s_or_b64 s[12:13], vcc, s[12:13]
	s_waitcnt lgkmcnt(0)
	v_pk_mul_f32 v[12:13], v[2:3], v[12:13]
	ds_write2st64_b32 v11, v12, v13 offset1:2
	v_add_u32_e32 v11, 0x400, v11
	s_andn2_b64 exec, exec, s[12:13]
	s_cbranch_execnz .LBB77_40
.LBB77_41:
	s_or_b64 exec, exec, s[10:11]
	v_add_u32_e32 v9, 1, v9
	v_and_b32_e32 v10, 0x3fffffe, v9
	v_cmp_ne_u32_e32 vcc, v9, v10
	v_lshl_add_u32 v3, v10, 7, v0
	s_orn2_b64 s[10:11], vcc, exec
.LBB77_42:
	s_or_b64 exec, exec, s[4:5]
	s_and_b64 exec, exec, s[10:11]
	s_cbranch_execz .LBB77_45
; %bb.43:
	v_mov_b32_e32 v9, 0x190
	v_lshl_add_u32 v9, v3, 2, v9
	s_mov_b64 s[4:5], 0
.LBB77_44:                              ; =>This Inner Loop Header: Depth=1
	ds_read_b32 v10, v9
	v_add_u32_e32 v3, 0x80, v3
	v_cmp_le_i32_e32 vcc, s19, v3
	s_or_b64 s[4:5], vcc, s[4:5]
	s_waitcnt lgkmcnt(0)
	v_mul_f32_e32 v10, v2, v10
	ds_write_b32 v9, v10
	v_add_u32_e32 v9, 0x200, v9
	s_andn2_b64 exec, exec, s[4:5]
	s_cbranch_execnz .LBB77_44
.LBB77_45:
	s_or_b64 exec, exec, s[2:3]
	s_mul_i32 s2, s33, s36
	v_cmp_eq_u32_e32 vcc, 0, v0
	s_mul_i32 s2, s2, s9
	s_waitcnt lgkmcnt(0)
	s_barrier
	s_and_saveexec_b64 s[4:5], vcc
	s_cbranch_execz .LBB77_47
; %bb.46:
	s_ashr_i32 s3, s2, 31
	s_lshl_b64 s[10:11], s[2:3], 2
	s_add_u32 s3, s22, s10
	s_mul_i32 s12, s33, s6
	s_addc_u32 s9, s23, s11
	s_ashr_i32 s13, s12, 31
	s_lshl_b64 s[12:13], s[12:13], 2
	s_add_u32 s3, s3, s12
	s_addc_u32 s6, s9, s13
	s_ashr_i32 s9, s8, 31
	s_lshl_b64 s[22:23], s[8:9], 2
	s_add_u32 s40, s3, s22
	s_addc_u32 s41, s6, s23
	s_add_u32 s3, s20, s10
	s_addc_u32 s6, s21, s11
	;; [unrolled: 2-line block ×3, first 2 shown]
	s_add_u32 s10, s3, s22
	v_mov_b32_e32 v2, 0
	s_addc_u32 s11, s6, s23
	global_store_dword v2, v5, s[40:41]
	global_store_dword v2, v8, s[10:11]
.LBB77_47:
	s_or_b64 exec, exec, s[4:5]
	v_mov_b32_e32 v15, 0
	v_mov_b32_e32 v9, 0
	;; [unrolled: 1-line block ×3, first 2 shown]
	s_and_saveexec_b64 s[4:5], s[0:1]
	s_cbranch_execz .LBB77_59
; %bb.48:
	s_ashr_i32 s19, s18, 31
	s_sub_i32 s3, s47, s25
	s_lshl_b64 s[0:1], s[18:19], 1
	s_add_u32 s0, s14, s0
	s_addc_u32 s1, s15, s1
	s_abs_i32 s14, s26
	v_cvt_f32_u32_e32 v2, s14
	s_sub_i32 s6, 0, s14
	s_add_i32 s15, s7, -1
	s_mov_b32 s9, s17
	v_rcp_iflag_f32_e32 v2, v2
	s_mov_b32 s17, s37
	s_mov_b32 s18, s37
	;; [unrolled: 1-line block ×3, first 2 shown]
	v_mul_f32_e32 v2, 0x4f7ffffe, v2
	v_cvt_u32_f32_e32 v2, v2
	s_mov_b32 s20, s37
	s_mov_b32 s21, s37
	s_mov_b32 s22, s37
	v_mul_lo_u32 v3, s6, v2
	v_mul_hi_u32 v3, v2, v3
	v_add_u32_e32 v16, v2, v3
	v_lshlrev_b32_e32 v2, 4, v14
	v_mov_b32_e32 v3, s1
	v_add_co_u32_e32 v17, vcc, s0, v2
	s_lshl_b64 s[0:1], s[38:39], 2
	s_add_u32 s0, s34, s0
	v_addc_co_u32_e32 v18, vcc, 0, v3, vcc
	v_lshlrev_b64 v[2:3], 2, v[6:7]
	s_addc_u32 s1, s35, s1
	v_mov_b32_e32 v5, s1
	v_add_co_u32_e32 v10, vcc, s0, v2
	v_mov_b32_e32 v2, 0x190
	s_mov_b32 s23, s37
	v_addc_co_u32_e32 v11, vcc, v5, v3, vcc
	v_lshl_add_u32 v7, v4, 5, v2
	s_mov_b64 s[6:7], 0
	v_mov_b32_e32 v8, 0
	s_mov_b32 s25, 0x5040100
	v_mov_b32_e32 v9, 0
	v_mov_b32_e32 v15, 0
	s_branch .LBB77_51
.LBB77_49:                              ;   in Loop: Header=BB77_51 Depth=1
	s_or_b64 exec, exec, s[0:1]
	s_waitcnt vmcnt(0)
	;;#ASMSTART
	v_pk_mul_f16 v2, v29, v2;

	;;#ASMEND
	;;#ASMSTART
	v_pk_mul_f16 v3, v28, v3;

	;;#ASMEND
	;; [unrolled: 4-line block ×4, first 2 shown]
	;;#ASMSTART
	v_pk_add_f16 v2, v2, v3;

	;;#ASMEND
	;;#ASMSTART
	v_pk_add_f16 v2, v2, v4;

	;;#ASMEND
	;;#ASMSTART
	v_pk_add_f16 v2, v2, v5;

	;;#ASMEND
	v_lshrrev_b32_e32 v3, 16, v2
	v_and_b32_e32 v2, 0xffff, v2
	v_add_f32_e32 v12, v32, v33
	;;#ASMSTART
	v_cvt_f32_f16 v2, v2;
	;;#ASMEND
	v_add_f32_e32 v9, v9, v12
	v_add_f32_e32 v12, v30, v31
	;;#ASMSTART
	v_cvt_f32_f16 v3, v3;
	;;#ASMEND
	v_add_f32_e32 v2, v2, v3
	v_add_f32_e32 v8, v8, v12
	;; [unrolled: 1-line block ×3, first 2 shown]
.LBB77_50:                              ;   in Loop: Header=BB77_51 Depth=1
	s_or_b64 exec, exec, s[10:11]
	v_add_co_u32_e32 v10, vcc, 8, v10
	v_add_u32_e32 v6, 2, v6
	v_addc_co_u32_e32 v11, vcc, 0, v11, vcc
	v_cmp_le_i32_e32 vcc, s24, v6
	v_add_u32_e32 v1, 16, v1
	s_or_b64 s[6:7], vcc, s[6:7]
	v_add_u32_e32 v7, 64, v7
	s_andn2_b64 exec, exec, s[6:7]
	s_cbranch_execz .LBB77_58
.LBB77_51:                              ; =>This Inner Loop Header: Depth=1
	v_sub_u32_e32 v3, 0, v1
	v_max_i32_e32 v3, v1, v3
	v_mul_hi_u32 v4, v3, s31
	v_mul_lo_u32 v5, v4, s16
	v_sub_u32_e32 v3, v3, v5
	v_add_u32_e32 v5, 1, v4
	v_cmp_le_u32_e32 vcc, s16, v3
	v_cndmask_b32_e32 v4, v4, v5, vcc
	v_subrev_u32_e32 v5, s16, v3
	v_cndmask_b32_e32 v3, v3, v5, vcc
	v_ashrrev_i32_e32 v2, 31, v1
	v_add_u32_e32 v5, 1, v4
	v_cmp_le_u32_e32 vcc, s16, v3
	v_xor_b32_e32 v2, s27, v2
	v_cndmask_b32_e32 v3, v4, v5, vcc
	v_xor_b32_e32 v3, v3, v2
	v_sub_u32_e32 v2, v3, v2
	v_add_u32_e32 v3, s46, v2
	v_sub_u32_e32 v5, 0, v3
	v_ashrrev_i32_e32 v4, 31, v3
	v_max_i32_e32 v3, v3, v5
	v_mul_hi_u32 v5, v3, v16
	v_mul_lo_u32 v5, v5, s14
	v_sub_u32_e32 v3, v3, v5
	v_subrev_u32_e32 v5, s14, v3
	v_cmp_le_u32_e32 vcc, s14, v3
	v_cndmask_b32_e32 v3, v3, v5, vcc
	v_subrev_u32_e32 v5, s14, v3
	v_cmp_le_u32_e32 vcc, s14, v3
	v_cndmask_b32_e32 v3, v3, v5, vcc
	v_xor_b32_e32 v3, v3, v4
	v_sub_u32_e32 v3, v3, v4
	v_cmp_eq_u32_e32 vcc, 0, v3
	v_cmp_lt_i32_e64 s[0:1], s3, v2
	s_or_b64 s[0:1], vcc, s[0:1]
	s_and_saveexec_b64 s[10:11], s[0:1]
	s_cbranch_execz .LBB77_50
; %bb.52:                               ;   in Loop: Header=BB77_51 Depth=1
	global_load_dword v12, v[10:11], off
	ds_read2_b64 v[2:5], v7 offset1:1
	ds_read2_b64 v[20:23], v7 offset0:2 offset1:3
	v_add_u32_e32 v19, 1, v1
	v_or_b32_e32 v25, 7, v1
	s_waitcnt lgkmcnt(1)
	;;#ASMSTART
	v_cvt_f16_f32 v26, v2;

	;;#ASMEND
	;;#ASMSTART
	v_cvt_f16_f32 v27, v3;

	;;#ASMEND
	;; [unrolled: 4-line block ×4, first 2 shown]
	s_waitcnt lgkmcnt(0)
	;;#ASMSTART
	v_cvt_f16_f32 v31, v20;

	;;#ASMEND
	;;#ASMSTART
	v_cvt_f16_f32 v32, v21;

	;;#ASMEND
	;; [unrolled: 4-line block ×4, first 2 shown]
	v_or_b32_e32 v21, 3, v1
	v_or_b32_e32 v20, 2, v1
	;; [unrolled: 1-line block ×5, first 2 shown]
	s_waitcnt vmcnt(0)
	v_mad_i64_i32 v[2:3], s[0:1], v12, s9, 0
	v_lshlrev_b64 v[2:3], 1, v[2:3]
	v_add_co_u32_e32 v12, vcc, v17, v2
	v_addc_co_u32_e32 v13, vcc, v18, v3, vcc
	global_load_dwordx4 v[2:5], v[12:13], off
	v_cmp_eq_u32_e32 vcc, s15, v6
	s_and_saveexec_b64 s[12:13], vcc
	s_cbranch_execz .LBB77_54
; %bb.53:                               ;   in Loop: Header=BB77_51 Depth=1
	s_waitcnt vmcnt(0)
	v_lshrrev_b32_e32 v29, 16, v5
	v_cmp_gt_i32_e64 s[0:1], s23, v25
	v_cndmask_b32_e64 v29, 0, v29, s[0:1]
	v_cmp_gt_i32_e64 s[0:1], s22, v24
	v_cndmask_b32_e64 v5, 0, v5, s[0:1]
	v_perm_b32 v5, v29, v5, s25
	v_lshrrev_b32_e32 v29, 16, v4
	v_cmp_gt_i32_e64 s[0:1], s21, v23
	v_cndmask_b32_e64 v29, 0, v29, s[0:1]
	v_cmp_gt_i32_e64 s[0:1], s20, v22
	v_cndmask_b32_e64 v4, 0, v4, s[0:1]
	v_perm_b32 v4, v29, v4, s25
	;; [unrolled: 6-line block ×4, first 2 shown]
.LBB77_54:                              ;   in Loop: Header=BB77_51 Depth=1
	s_or_b64 exec, exec, s[12:13]
	v_and_b32_e32 v26, 0xffff, v26
	v_lshl_or_b32 v29, v27, 16, v26
	v_and_b32_e32 v26, 0xffff, v28
	v_lshl_or_b32 v28, v30, 16, v26
	v_and_b32_e32 v26, 0xffff, v31
	v_lshl_or_b32 v27, v32, 16, v26
	v_and_b32_e32 v26, 0xffff, v33
	s_waitcnt vmcnt(0)
	;;#ASMSTART
	v_pk_mul_f16 v2, v29, v2;

	;;#ASMEND
	v_lshl_or_b32 v26, v34, 16, v26
	;;#ASMSTART
	v_pk_mul_f16 v3, v28, v3;

	;;#ASMEND
	;;#ASMSTART
	v_pk_mul_f16 v4, v27, v4;

	;;#ASMEND
	;; [unrolled: 4-line block ×3, first 2 shown]
	;;#ASMSTART
	v_pk_add_f16 v2, v2, v3;

	;;#ASMEND
	;;#ASMSTART
	v_pk_add_f16 v2, v2, v4;

	;;#ASMEND
	;; [unrolled: 4-line block ×3, first 2 shown]
	v_lshrrev_b32_e32 v3, 16, v2
	v_and_b32_e32 v2, 0xffff, v2
	;;#ASMSTART
	v_cvt_f32_f16 v30, v2;
	;;#ASMEND
	;;#ASMSTART
	v_cvt_f32_f16 v31, v3;
	;;#ASMEND
	global_load_dwordx4 v[2:5], v[12:13], off offset:1024
	s_and_saveexec_b64 s[12:13], vcc
	s_cbranch_execz .LBB77_56
; %bb.55:                               ;   in Loop: Header=BB77_51 Depth=1
	s_waitcnt vmcnt(0)
	v_lshrrev_b32_e32 v32, 16, v5
	v_cmp_gt_i32_e64 s[0:1], s23, v25
	v_cndmask_b32_e64 v32, 0, v32, s[0:1]
	v_cmp_gt_i32_e64 s[0:1], s22, v24
	v_cndmask_b32_e64 v5, 0, v5, s[0:1]
	v_perm_b32 v5, v32, v5, s25
	v_lshrrev_b32_e32 v32, 16, v4
	v_cmp_gt_i32_e64 s[0:1], s21, v23
	v_cndmask_b32_e64 v32, 0, v32, s[0:1]
	v_cmp_gt_i32_e64 s[0:1], s20, v22
	v_cndmask_b32_e64 v4, 0, v4, s[0:1]
	v_perm_b32 v4, v32, v4, s25
	;; [unrolled: 6-line block ×4, first 2 shown]
.LBB77_56:                              ;   in Loop: Header=BB77_51 Depth=1
	s_or_b64 exec, exec, s[12:13]
	s_waitcnt vmcnt(0)
	;;#ASMSTART
	v_pk_mul_f16 v2, v29, v2;

	;;#ASMEND
	;;#ASMSTART
	v_pk_mul_f16 v3, v28, v3;

	;;#ASMEND
	;; [unrolled: 4-line block ×4, first 2 shown]
	;;#ASMSTART
	v_pk_add_f16 v2, v2, v3;

	;;#ASMEND
	;;#ASMSTART
	v_pk_add_f16 v2, v2, v4;

	;;#ASMEND
	;; [unrolled: 4-line block ×3, first 2 shown]
	v_lshrrev_b32_e32 v3, 16, v2
	v_and_b32_e32 v2, 0xffff, v2
	;;#ASMSTART
	v_cvt_f32_f16 v32, v2;
	;;#ASMEND
	;;#ASMSTART
	v_cvt_f32_f16 v33, v3;
	;;#ASMEND
	global_load_dwordx4 v[2:5], v[12:13], off offset:2048
	s_and_saveexec_b64 s[0:1], vcc
	s_cbranch_execz .LBB77_49
; %bb.57:                               ;   in Loop: Header=BB77_51 Depth=1
	s_waitcnt vmcnt(0)
	v_lshrrev_b32_e32 v12, 16, v5
	v_cmp_gt_i32_e32 vcc, s23, v25
	v_cndmask_b32_e32 v12, 0, v12, vcc
	v_cmp_gt_i32_e32 vcc, s22, v24
	v_cndmask_b32_e32 v5, 0, v5, vcc
	v_perm_b32 v5, v12, v5, s25
	v_lshrrev_b32_e32 v12, 16, v4
	v_cmp_gt_i32_e32 vcc, s21, v23
	v_cndmask_b32_e32 v12, 0, v12, vcc
	v_cmp_gt_i32_e32 vcc, s20, v22
	v_cndmask_b32_e32 v4, 0, v4, vcc
	v_perm_b32 v4, v12, v4, s25
	;; [unrolled: 6-line block ×4, first 2 shown]
	s_branch .LBB77_49
.LBB77_58:
	s_or_b64 exec, exec, s[6:7]
.LBB77_59:
	s_or_b64 exec, exec, s[4:5]
	v_and_b32_e32 v1, 0x3c0, v0
	v_cmp_eq_u32_e32 vcc, 64, v1
	s_barrier
	s_and_saveexec_b64 s[0:1], vcc
	s_cbranch_execz .LBB77_61
; %bb.60:
	v_mov_b32_e32 v1, 0x190
	v_lshl_add_u32 v2, v14, 2, v1
	v_lshl_add_u32 v1, v0, 2, v1
	ds_write_b32 v2, v8
	ds_write_b32 v1, v9
	ds_write_b32 v2, v15 offset:512
.LBB77_61:
	s_or_b64 exec, exec, s[0:1]
	v_cmp_gt_u32_e32 vcc, 64, v0
	s_waitcnt lgkmcnt(0)
	s_barrier
	s_and_saveexec_b64 s[0:1], vcc
	s_cbranch_execz .LBB77_63
; %bb.62:
	v_mov_b32_e32 v1, 0x190
	v_lshl_add_u32 v1, v0, 2, v1
	ds_read2st64_b32 v[2:3], v1 offset1:1
	ds_read_b32 v1, v1 offset:512
	s_waitcnt lgkmcnt(1)
	v_pk_add_f32 v[8:9], v[8:9], v[2:3]
	s_waitcnt lgkmcnt(0)
	v_add_f32_e32 v15, v15, v1
.LBB77_63:
	s_or_b64 exec, exec, s[0:1]
	s_barrier
	s_and_saveexec_b64 s[0:1], vcc
	s_cbranch_execz .LBB77_65
; %bb.64:
	s_mul_i32 s0, s2, 0xc0
	s_ashr_i32 s1, s0, 31
	s_lshl_b64 s[0:1], s[0:1], 1
	s_add_u32 s2, s28, s0
	s_mul_i32 s0, s33, s30
	s_addc_u32 s3, s29, s1
	s_ashr_i32 s1, s0, 31
	s_lshl_b64 s[0:1], s[0:1], 1
	s_add_u32 s2, s2, s0
	s_mul_i32 s0, s8, 0xc0
	s_addc_u32 s3, s3, s1
	s_ashr_i32 s1, s0, 31
	s_lshl_b64 s[0:1], s[0:1], 1
	s_add_u32 s0, s2, s0
	s_addc_u32 s1, s3, s1
	v_lshlrev_b32_e32 v0, 1, v0
	;;#ASMSTART
	v_cvt_f16_f32 v1, v8;

	;;#ASMEND
	global_store_short v0, v1, s[0:1]
	;;#ASMSTART
	v_cvt_f16_f32 v1, v9;

	;;#ASMEND
	global_store_short v0, v1, s[0:1] offset:128
	;;#ASMSTART
	v_cvt_f16_f32 v1, v15;

	;;#ASMEND
	global_store_short v0, v1, s[0:1] offset:256
.LBB77_65:
	s_endpgm
	.section	.rodata,"a",@progbits
	.p2align	6, 0x0
	.amdhsa_kernel _ZN4vllm25paged_attention_v2_kernelIttLi192ELi8ELi128ELNS_18Fp8KVCacheDataTypeE0ELb1ELi512EEEvPfS2_PT_PKS3_PKT0_S9_ifPKiSB_iPKfiiiSD_SD_iiiii
		.amdhsa_group_segment_fixed_size 400
		.amdhsa_private_segment_fixed_size 0
		.amdhsa_kernarg_size 400
		.amdhsa_user_sgpr_count 6
		.amdhsa_user_sgpr_private_segment_buffer 1
		.amdhsa_user_sgpr_dispatch_ptr 0
		.amdhsa_user_sgpr_queue_ptr 0
		.amdhsa_user_sgpr_kernarg_segment_ptr 1
		.amdhsa_user_sgpr_dispatch_id 0
		.amdhsa_user_sgpr_flat_scratch_init 0
		.amdhsa_user_sgpr_kernarg_preload_length 0
		.amdhsa_user_sgpr_kernarg_preload_offset 0
		.amdhsa_user_sgpr_private_segment_size 0
		.amdhsa_uses_dynamic_stack 0
		.amdhsa_system_sgpr_private_segment_wavefront_offset 0
		.amdhsa_system_sgpr_workgroup_id_x 1
		.amdhsa_system_sgpr_workgroup_id_y 1
		.amdhsa_system_sgpr_workgroup_id_z 1
		.amdhsa_system_sgpr_workgroup_info 0
		.amdhsa_system_vgpr_workitem_id 0
		.amdhsa_next_free_vgpr 68
		.amdhsa_next_free_sgpr 52
		.amdhsa_accum_offset 68
		.amdhsa_reserve_vcc 1
		.amdhsa_reserve_flat_scratch 0
		.amdhsa_float_round_mode_32 0
		.amdhsa_float_round_mode_16_64 0
		.amdhsa_float_denorm_mode_32 3
		.amdhsa_float_denorm_mode_16_64 3
		.amdhsa_dx10_clamp 1
		.amdhsa_ieee_mode 1
		.amdhsa_fp16_overflow 0
		.amdhsa_tg_split 0
		.amdhsa_exception_fp_ieee_invalid_op 0
		.amdhsa_exception_fp_denorm_src 0
		.amdhsa_exception_fp_ieee_div_zero 0
		.amdhsa_exception_fp_ieee_overflow 0
		.amdhsa_exception_fp_ieee_underflow 0
		.amdhsa_exception_fp_ieee_inexact 0
		.amdhsa_exception_int_div_zero 0
	.end_amdhsa_kernel
	.section	.text._ZN4vllm25paged_attention_v2_kernelIttLi192ELi8ELi128ELNS_18Fp8KVCacheDataTypeE0ELb1ELi512EEEvPfS2_PT_PKS3_PKT0_S9_ifPKiSB_iPKfiiiSD_SD_iiiii,"axG",@progbits,_ZN4vllm25paged_attention_v2_kernelIttLi192ELi8ELi128ELNS_18Fp8KVCacheDataTypeE0ELb1ELi512EEEvPfS2_PT_PKS3_PKT0_S9_ifPKiSB_iPKfiiiSD_SD_iiiii,comdat
.Lfunc_end77:
	.size	_ZN4vllm25paged_attention_v2_kernelIttLi192ELi8ELi128ELNS_18Fp8KVCacheDataTypeE0ELb1ELi512EEEvPfS2_PT_PKS3_PKT0_S9_ifPKiSB_iPKfiiiSD_SD_iiiii, .Lfunc_end77-_ZN4vllm25paged_attention_v2_kernelIttLi192ELi8ELi128ELNS_18Fp8KVCacheDataTypeE0ELb1ELi512EEEvPfS2_PT_PKS3_PKT0_S9_ifPKiSB_iPKfiiiSD_SD_iiiii
                                        ; -- End function
	.section	.AMDGPU.csdata,"",@progbits
; Kernel info:
; codeLenInByte = 5976
; NumSgprs: 56
; NumVgprs: 68
; NumAgprs: 0
; TotalNumVgprs: 68
; ScratchSize: 0
; MemoryBound: 0
; FloatMode: 240
; IeeeMode: 1
; LDSByteSize: 400 bytes/workgroup (compile time only)
; SGPRBlocks: 6
; VGPRBlocks: 8
; NumSGPRsForWavesPerEU: 56
; NumVGPRsForWavesPerEU: 68
; AccumOffset: 68
; Occupancy: 7
; WaveLimiterHint : 1
; COMPUTE_PGM_RSRC2:SCRATCH_EN: 0
; COMPUTE_PGM_RSRC2:USER_SGPR: 6
; COMPUTE_PGM_RSRC2:TRAP_HANDLER: 0
; COMPUTE_PGM_RSRC2:TGID_X_EN: 1
; COMPUTE_PGM_RSRC2:TGID_Y_EN: 1
; COMPUTE_PGM_RSRC2:TGID_Z_EN: 1
; COMPUTE_PGM_RSRC2:TIDIG_COMP_CNT: 0
; COMPUTE_PGM_RSRC3_GFX90A:ACCUM_OFFSET: 16
; COMPUTE_PGM_RSRC3_GFX90A:TG_SPLIT: 0
	.section	.text._ZN4vllm32paged_attention_v2_reduce_kernelItLi192ELi128ELi512EEEvPT_PKfS4_PKS1_PKii,"axG",@progbits,_ZN4vllm32paged_attention_v2_reduce_kernelItLi192ELi128ELi512EEEvPT_PKfS4_PKS1_PKii,comdat
	.protected	_ZN4vllm32paged_attention_v2_reduce_kernelItLi192ELi128ELi512EEEvPT_PKfS4_PKS1_PKii ; -- Begin function _ZN4vllm32paged_attention_v2_reduce_kernelItLi192ELi128ELi512EEEvPT_PKfS4_PKS1_PKii
	.globl	_ZN4vllm32paged_attention_v2_reduce_kernelItLi192ELi128ELi512EEEvPT_PKfS4_PKS1_PKii
	.p2align	8
	.type	_ZN4vllm32paged_attention_v2_reduce_kernelItLi192ELi128ELi512EEEvPT_PKfS4_PKS1_PKii,@function
_ZN4vllm32paged_attention_v2_reduce_kernelItLi192ELi128ELi512EEEvPT_PKfS4_PKS1_PKii: ; @_ZN4vllm32paged_attention_v2_reduce_kernelItLi192ELi128ELi512EEEvPT_PKfS4_PKS1_PKii
; %bb.0:
	s_load_dwordx4 s[8:11], s[4:5], 0x18
	s_add_u32 s12, s4, 48
	s_mov_b32 s14, s7
	s_addc_u32 s13, s5, 0
	s_ashr_i32 s15, s7, 31
	s_lshl_b64 s[0:1], s[14:15], 2
	s_waitcnt lgkmcnt(0)
	s_add_u32 s0, s10, s0
	s_addc_u32 s1, s11, s1
	s_load_dword s22, s[0:1], 0x0
	s_load_dwordx2 s[10:11], s[4:5], 0x0
	s_load_dword s7, s[4:5], 0x28
	s_load_dword s15, s[4:5], 0x30
	s_waitcnt lgkmcnt(0)
	s_add_i32 s0, s22, -1
	s_cmpk_gt_u32 s0, 0x1ff
	s_mov_b64 s[0:1], -1
	s_cbranch_scc0 .LBB78_24
; %bb.1:
	s_add_i32 s0, s22, 0x1ff
	s_load_dwordx2 s[20:21], s[4:5], 0x8
	s_ashr_i32 s1, s0, 31
	s_lshr_b32 s1, s1, 23
	s_add_i32 s0, s0, s1
	s_mul_i32 s24, s15, s14
	s_ashr_i32 s23, s0, 9
	s_mul_i32 s16, s24, s7
	s_mul_i32 s18, s6, s7
	s_ashr_i32 s17, s16, 31
	s_ashr_i32 s19, s18, 31
	v_cmp_gt_i32_e32 vcc, s23, v0
	v_mov_b32_e32 v4, 0xff7fffff
	s_and_saveexec_b64 s[2:3], vcc
	s_cbranch_execz .LBB78_5
; %bb.2:
	s_load_dword s25, s[12:13], 0xc
	s_load_dwordx2 s[0:1], s[4:5], 0x10
	s_lshl_b64 s[4:5], s[16:17], 2
	s_lshl_b64 s[26:27], s[18:19], 2
	v_lshlrev_b32_e32 v1, 2, v0
	s_waitcnt lgkmcnt(0)
	s_and_b32 s25, s25, 0xffff
	s_add_u32 s4, s4, s26
	s_addc_u32 s5, s5, s27
	s_add_u32 s0, s0, s4
	s_addc_u32 s1, s1, s5
	s_mov_b32 s28, 0
	v_mov_b32_e32 v3, s1
	v_add_co_u32_e64 v2, s[0:1], s0, v1
	v_addc_co_u32_e64 v3, s[0:1], 0, v3, s[0:1]
	s_lshl_b32 s26, s25, 2
	v_add_u32_e32 v1, 16, v1
	s_mov_b64 s[4:5], 0
	v_mov_b32_e32 v4, 0xff7fffff
	v_mov_b32_e32 v5, s28
	;; [unrolled: 1-line block ×3, first 2 shown]
.LBB78_3:                               ; =>This Inner Loop Header: Depth=1
	global_load_dword v7, v[2:3], off
	v_add_co_u32_e64 v2, s[0:1], s26, v2
	v_add_u32_e32 v6, s25, v6
	v_addc_co_u32_e64 v3, s[0:1], v3, v5, s[0:1]
	v_max_f32_e32 v4, v4, v4
	v_cmp_le_i32_e64 s[0:1], s23, v6
	s_or_b64 s[4:5], s[0:1], s[4:5]
	s_waitcnt vmcnt(0)
	ds_write_b32 v1, v7
	v_max_f32_e32 v7, v7, v7
	v_add_u32_e32 v1, s26, v1
	v_max_f32_e32 v4, v4, v7
	s_andn2_b64 exec, exec, s[4:5]
	s_cbranch_execnz .LBB78_3
; %bb.4:
	s_or_b64 exec, exec, s[4:5]
.LBB78_5:
	s_or_b64 exec, exec, s[2:3]
	v_mbcnt_lo_u32_b32 v1, -1, 0
	v_mbcnt_hi_u32_b32 v2, -1, v1
	v_and_b32_e32 v1, 64, v2
	v_add_u32_e32 v5, 64, v1
	v_xor_b32_e32 v1, 32, v2
	v_cmp_lt_i32_e64 s[0:1], v1, v5
	v_cndmask_b32_e64 v1, v2, v1, s[0:1]
	v_lshlrev_b32_e32 v1, 2, v1
	ds_bpermute_b32 v3, v1, v4
	v_xor_b32_e32 v6, 16, v2
	v_max_f32_e32 v4, v4, v4
	v_cmp_lt_i32_e64 s[0:1], v6, v5
	v_xor_b32_e32 v7, 8, v2
	s_waitcnt lgkmcnt(0)
	v_max_f32_e32 v3, v3, v3
	v_max_f32_e32 v3, v4, v3
	v_cndmask_b32_e64 v4, v2, v6, s[0:1]
	v_lshlrev_b32_e32 v6, 2, v4
	ds_bpermute_b32 v4, v6, v3
	v_cmp_lt_i32_e64 s[0:1], v7, v5
	v_xor_b32_e32 v8, 4, v2
	s_waitcnt lgkmcnt(0)
	s_barrier
	v_max_f32_e32 v4, v4, v4
	v_max_f32_e32 v3, v3, v4
	v_cndmask_b32_e64 v4, v2, v7, s[0:1]
	v_lshlrev_b32_e32 v7, 2, v4
	ds_bpermute_b32 v4, v7, v3
	v_cmp_lt_i32_e64 s[0:1], v8, v5
	s_waitcnt lgkmcnt(0)
	v_max_f32_e32 v4, v4, v4
	v_max_f32_e32 v3, v3, v4
	v_cndmask_b32_e64 v4, v2, v8, s[0:1]
	v_lshlrev_b32_e32 v9, 2, v4
	ds_bpermute_b32 v4, v9, v3
	v_xor_b32_e32 v8, 2, v2
	v_cmp_lt_i32_e64 s[0:1], v8, v5
	s_waitcnt lgkmcnt(0)
	v_max_f32_e32 v4, v4, v4
	v_max_f32_e32 v3, v3, v4
	v_cndmask_b32_e64 v4, v2, v8, s[0:1]
	v_lshlrev_b32_e32 v10, 2, v4
	ds_bpermute_b32 v11, v10, v3
	v_and_b32_e32 v4, 63, v0
	v_lshrrev_b32_e32 v8, 6, v0
	s_waitcnt lgkmcnt(0)
	v_max_f32_e32 v11, v11, v11
	v_max_f32_e32 v3, v3, v11
	v_xor_b32_e32 v11, 1, v2
	v_cmp_lt_i32_e64 s[0:1], v11, v5
	v_cndmask_b32_e64 v5, v2, v11, s[0:1]
	v_lshlrev_b32_e32 v5, 2, v5
	ds_bpermute_b32 v11, v5, v3
	v_cmp_eq_u32_e64 s[0:1], 0, v4
	s_and_saveexec_b64 s[2:3], s[0:1]
	s_cbranch_execz .LBB78_7
; %bb.6:
	s_waitcnt lgkmcnt(0)
	v_max_f32_e32 v11, v11, v11
	v_max_f32_e32 v3, v3, v3
	;; [unrolled: 1-line block ×3, first 2 shown]
	v_lshlrev_b32_e32 v11, 2, v8
	ds_write_b32 v11, v3
.LBB78_7:
	s_or_b64 exec, exec, s[2:3]
	v_cmp_gt_u32_e64 s[2:3], 2, v4
	v_mov_b32_e32 v3, 0xff7fffff
	s_waitcnt lgkmcnt(0)
	s_barrier
	s_and_saveexec_b64 s[4:5], s[2:3]
	s_cbranch_execz .LBB78_9
; %bb.8:
	v_lshlrev_b32_e32 v3, 2, v4
	ds_read_b32 v3, v3
.LBB78_9:
	s_or_b64 exec, exec, s[4:5]
	s_waitcnt lgkmcnt(0)
	ds_bpermute_b32 v11, v5, v3
	v_max_f32_e32 v3, v3, v3
	v_lshlrev_b32_e32 v2, 2, v2
	s_lshl_b32 s25, s23, 2
	v_mov_b32_e32 v13, 0
	s_waitcnt lgkmcnt(0)
	v_max_f32_e32 v11, v11, v11
	v_max_f32_e32 v3, v3, v11
	v_and_b32_e32 v11, 0x100, v2
	ds_bpermute_b32 v12, v11, v3
	s_and_saveexec_b64 s[4:5], vcc
	s_cbranch_execz .LBB78_13
; %bb.10:
	s_load_dword s30, s[12:13], 0xc
	s_lshl_b64 s[26:27], s[16:17], 2
	s_lshl_b64 s[28:29], s[18:19], 2
	v_lshlrev_b32_e32 v13, 2, v0
	s_mov_b32 s31, 0
	s_waitcnt lgkmcnt(0)
	s_and_b32 s17, s30, 0xffff
	s_add_u32 s19, s26, s28
	s_addc_u32 s26, s27, s29
	s_add_u32 s19, s20, s19
	s_addc_u32 s20, s21, s26
	v_mov_b32_e32 v3, s20
	v_add_co_u32_e32 v2, vcc, s19, v13
	v_addc_co_u32_e32 v3, vcc, 0, v3, vcc
	s_lshl_b32 s19, s17, 2
	v_add_u32_e32 v14, 16, v13
	s_mov_b64 s[20:21], 0
	v_mov_b32_e32 v13, 0
	s_mov_b32 s26, 0x3fb8aa3b
	s_mov_b32 s27, 0xc2ce8ed0
	;; [unrolled: 1-line block ×3, first 2 shown]
	v_mov_b32_e32 v15, 0x7f800000
	v_mov_b32_e32 v16, s31
	;; [unrolled: 1-line block ×3, first 2 shown]
.LBB78_11:                              ; =>This Inner Loop Header: Depth=1
	global_load_dword v18, v[2:3], off
	ds_read_b32 v19, v14
	v_add_co_u32_e32 v2, vcc, s19, v2
	v_add_u32_e32 v17, s17, v17
	v_addc_co_u32_e32 v3, vcc, v3, v16, vcc
	s_waitcnt lgkmcnt(0)
	v_sub_f32_e32 v19, v19, v12
	v_mul_f32_e32 v21, 0x3fb8aa3b, v19
	v_fma_f32 v22, v19, s26, -v21
	v_rndne_f32_e32 v23, v21
	v_fmac_f32_e32 v22, 0x32a5705f, v19
	v_sub_f32_e32 v21, v21, v23
	v_add_f32_e32 v21, v21, v22
	v_cvt_i32_f32_e32 v23, v23
	v_exp_f32_e32 v21, v21
	v_cmp_le_i32_e32 vcc, s23, v17
	s_or_b64 s[20:21], vcc, s[20:21]
	v_cmp_ngt_f32_e32 vcc, s27, v19
	v_ldexp_f32 v21, v21, v23
	v_cndmask_b32_e32 v21, 0, v21, vcc
	v_cmp_nlt_f32_e32 vcc, s28, v19
	v_cndmask_b32_e32 v19, v15, v21, vcc
	v_add_u32_e32 v20, s25, v14
	v_add_u32_e32 v14, s19, v14
	s_waitcnt vmcnt(0)
	v_mul_f32_e32 v21, v18, v19
	v_fmac_f32_e32 v13, v18, v19
	ds_write_b32 v20, v21
	s_andn2_b64 exec, exec, s[20:21]
	s_cbranch_execnz .LBB78_11
; %bb.12:
	s_or_b64 exec, exec, s[20:21]
.LBB78_13:
	s_or_b64 exec, exec, s[4:5]
	ds_bpermute_b32 v1, v1, v13
	s_waitcnt lgkmcnt(0)
	s_barrier
	v_add_f32_e32 v1, v13, v1
	ds_bpermute_b32 v2, v6, v1
	s_waitcnt lgkmcnt(0)
	v_add_f32_e32 v1, v1, v2
	ds_bpermute_b32 v2, v7, v1
	s_waitcnt lgkmcnt(0)
	;; [unrolled: 3-line block ×5, first 2 shown]
	v_add_f32_e32 v1, v1, v2
	s_and_saveexec_b64 s[4:5], s[0:1]
	s_cbranch_execz .LBB78_15
; %bb.14:
	v_lshlrev_b32_e32 v2, 2, v8
	ds_write_b32 v2, v1 offset:8
.LBB78_15:
	s_or_b64 exec, exec, s[4:5]
	s_waitcnt lgkmcnt(0)
	s_barrier
	s_and_saveexec_b64 s[0:1], s[2:3]
	s_cbranch_execz .LBB78_17
; %bb.16:
	v_lshlrev_b32_e32 v1, 2, v4
	ds_read_b32 v1, v1 offset:8
.LBB78_17:
	s_or_b64 exec, exec, s[0:1]
	s_waitcnt lgkmcnt(0)
	ds_bpermute_b32 v2, v5, v1
	s_movk_i32 s0, 0xc0
	v_cmp_gt_u32_e32 vcc, s0, v0
	s_waitcnt lgkmcnt(0)
	v_add_f32_e32 v1, v1, v2
	ds_bpermute_b32 v1, v11, v1
	s_and_saveexec_b64 s[2:3], vcc
	s_cbranch_execz .LBB78_23
; %bb.18:
	s_waitcnt lgkmcnt(0)
	v_add_f32_e32 v1, 0x358637bd, v1
	v_div_scale_f32 v2, s[0:1], v1, v1, 1.0
	s_mul_i32 s0, s16, 0xc0
	s_mul_i32 s16, s24, 0xc0
	;; [unrolled: 1-line block ×3, first 2 shown]
	s_ashr_i32 s17, s16, 31
	v_rcp_f32_e32 v3, v2
	s_ashr_i32 s1, s0, 31
	s_ashr_i32 s5, s4, 31
	s_lshl_b64 s[16:17], s[16:17], 1
	s_add_u32 s18, s10, s16
	s_mul_i32 s16, s6, 0xc0
	s_addc_u32 s19, s11, s17
	s_ashr_i32 s17, s16, 31
	s_lshl_b64 s[16:17], s[16:17], 1
	v_fma_f32 v5, -v2, v3, 1.0
	s_add_u32 s16, s18, s16
	v_div_scale_f32 v4, vcc, 1.0, v1, 1.0
	v_fmac_f32_e32 v3, v5, v3
	s_addc_u32 s19, s19, s17
	s_add_i32 s17, s25, 16
	v_mul_f32_e32 v5, v4, v3
	s_cmp_gt_i32 s22, 0
	v_fma_f32 v6, -v2, v5, v4
	s_cselect_b64 s[20:21], -1, 0
	s_max_i32 s18, s23, 1
	s_lshl_b64 s[0:1], s[0:1], 1
	s_lshl_b64 s[4:5], s[4:5], 1
	v_fmac_f32_e32 v5, v6, v3
	s_add_u32 s0, s0, s4
	v_fma_f32 v2, -v2, v5, v4
	s_addc_u32 s1, s1, s5
	v_div_fmas_f32 v2, v2, v3, v5
	s_add_u32 s0, s8, s0
	v_div_fixup_f32 v1, v2, v1, 1.0
	v_lshlrev_b32_e32 v2, 1, v0
	s_addc_u32 s1, s9, s1
	v_mov_b32_e32 v5, s1
	v_add_co_u32_e32 v4, vcc, s0, v2
	v_cndmask_b32_e64 v2, 0, 1, s[20:21]
	v_mov_b32_e32 v3, 0
	v_addc_co_u32_e32 v5, vcc, 0, v5, vcc
	s_mov_b64 s[4:5], 0
	v_cmp_ne_u32_e64 s[0:1], 1, v2
	v_mov_b32_e32 v8, s19
	v_mov_b32_e32 v2, v0
	s_branch .LBB78_20
.LBB78_19:                              ;   in Loop: Header=BB78_20 Depth=1
	v_lshlrev_b64 v[6:7], 1, v[2:3]
	v_add_co_u32_e32 v6, vcc, s16, v6
	v_addc_co_u32_e32 v7, vcc, v8, v7, vcc
	v_add_co_u32_e32 v4, vcc, 0x100, v4
	v_addc_co_u32_e32 v5, vcc, 0, v5, vcc
	;;#ASMSTART
	v_cvt_f16_f32 v9, v9;

	;;#ASMEND
	global_store_short v[6:7], v9, off
	v_add_u32_e32 v6, 0x80, v2
	v_cmp_lt_u32_e32 vcc, 63, v2
	s_or_b64 s[4:5], vcc, s[4:5]
	v_mov_b32_e32 v2, v6
	s_andn2_b64 exec, exec, s[4:5]
	s_cbranch_execz .LBB78_23
.LBB78_20:                              ; =>This Loop Header: Depth=1
                                        ;     Child Loop BB78_22 Depth 2
	s_and_b64 vcc, exec, s[0:1]
	v_mov_b32_e32 v9, 0
	s_cbranch_vccnz .LBB78_19
; %bb.21:                               ;   in Loop: Header=BB78_20 Depth=1
	v_mov_b32_e32 v9, 0
	s_mov_b32 s19, s17
	v_pk_mov_b32 v[6:7], v[4:5], v[4:5] op_sel:[0,1]
	s_mov_b32 s20, s18
.LBB78_22:                              ;   Parent Loop BB78_20 Depth=1
                                        ; =>  This Inner Loop Header: Depth=2
	global_load_ushort v10, v[6:7], off
	v_mov_b32_e32 v11, s19
	s_waitcnt vmcnt(0)
	;;#ASMSTART
	v_cvt_f32_f16 v10, v10;
	;;#ASMEND
	ds_read_b32 v11, v11
	s_add_i32 s20, s20, -1
	v_add_co_u32_e32 v6, vcc, 0x180, v6
	s_add_i32 s19, s19, 4
	s_waitcnt lgkmcnt(0)
	v_mul_f32_e32 v10, v10, v11
	v_addc_co_u32_e32 v7, vcc, 0, v7, vcc
	s_cmp_eq_u32 s20, 0
	v_fmac_f32_e32 v9, v1, v10
	s_cbranch_scc0 .LBB78_22
	s_branch .LBB78_19
.LBB78_23:
	s_or_b64 exec, exec, s[2:3]
	s_mov_b64 s[0:1], 0
.LBB78_24:
	s_and_b64 vcc, exec, s[0:1]
	s_cbranch_vccz .LBB78_33
; %bb.25:
	s_movk_i32 s0, 0xc0
	v_cmp_gt_u32_e32 vcc, s0, v0
	s_and_saveexec_b64 s[2:3], vcc
	s_cbranch_execz .LBB78_33
; %bb.26:
	s_mul_i32 s1, s15, s14
	s_mul_i32 s2, s1, 0xc0
	s_ashr_i32 s3, s2, 31
	s_lshl_b64 s[4:5], s[2:3], 1
	s_add_u32 s1, s10, s4
	s_mul_i32 s14, s6, 0xc0
	s_addc_u32 s3, s11, s5
	s_ashr_i32 s15, s14, 31
	s_lshl_b64 s[4:5], s[14:15], 1
	s_add_u32 s4, s1, s4
	s_mul_i32 s2, s2, s7
	s_addc_u32 s10, s3, s5
	s_ashr_i32 s3, s2, 31
	s_lshl_b64 s[2:3], s[2:3], 1
	s_add_u32 s1, s8, s2
	s_load_dword s8, s[12:13], 0xc
	s_mul_i32 s2, s14, s7
	s_addc_u32 s6, s9, s3
	s_ashr_i32 s3, s2, 31
	s_lshl_b64 s[2:3], s[2:3], 1
	s_add_u32 s5, s1, s2
	s_addc_u32 s7, s6, s3
	s_waitcnt lgkmcnt(0)
	s_and_b32 s6, s8, 0xffff
	v_cvt_f32_u32_e32 v1, s6
	v_add_u32_e32 v2, s6, v0
	v_mov_b32_e32 v4, s6
	v_cmp_gt_u32_e32 vcc, s0, v2
	v_rcp_iflag_f32_e32 v1, v1
	s_cmp_eq_u32 s6, 1
	v_max_u32_e32 v3, 0xc0, v2
	v_addc_co_u32_e64 v2, s[0:1], v0, v4, vcc
	v_mul_f32_e32 v1, 0x4f7ffffe, v1
	v_cvt_u32_f32_e32 v1, v1
	s_cselect_b64 s[2:3], -1, 0
	s_sub_i32 s0, 0, s6
	v_sub_u32_e32 v2, v3, v2
	v_mul_lo_u32 v3, s0, v1
	v_mul_hi_u32 v3, v1, v3
	v_add_u32_e32 v1, v1, v3
	v_mul_hi_u32 v1, v2, v1
	v_mul_lo_u32 v3, v1, s6
	v_sub_u32_e32 v2, v2, v3
	v_add_u32_e32 v3, 1, v1
	v_cmp_le_u32_e64 s[0:1], s6, v2
	v_cndmask_b32_e64 v1, v1, v3, s[0:1]
	v_subrev_u32_e32 v3, s6, v2
	v_cndmask_b32_e64 v2, v2, v3, s[0:1]
	v_add_u32_e32 v3, 1, v1
	v_cmp_le_u32_e64 s[0:1], s6, v2
	v_cndmask_b32_e64 v1, v1, v3, s[0:1]
	v_addc_co_u32_e32 v1, vcc, 1, v1, vcc
	v_cmp_lt_u32_e32 vcc, 7, v1
	s_and_b64 s[8:9], vcc, s[2:3]
	s_mov_b64 s[2:3], -1
	s_and_saveexec_b64 s[0:1], s[8:9]
	s_cbranch_execz .LBB78_30
; %bb.27:
	v_and_b32_e32 v4, -8, v1
	s_mov_b64 s[2:3], 0
	v_mov_b32_e32 v3, 0
	v_mov_b32_e32 v5, s7
	;; [unrolled: 1-line block ×5, first 2 shown]
.LBB78_28:                              ; =>This Inner Loop Header: Depth=1
	v_lshlrev_b64 v[12:13], 1, v[2:3]
	v_add_co_u32_e32 v8, vcc, s5, v12
	v_addc_co_u32_e32 v9, vcc, v5, v13, vcc
	global_load_dwordx4 v[8:11], v[8:9], off
	v_add_co_u32_e32 v12, vcc, s4, v12
	v_add_u32_e32 v7, -8, v7
	v_addc_co_u32_e32 v13, vcc, v6, v13, vcc
	v_cmp_eq_u32_e32 vcc, 0, v7
	v_add_u32_e32 v2, 8, v2
	s_or_b64 s[2:3], vcc, s[2:3]
	s_waitcnt vmcnt(0)
	global_store_dwordx4 v[12:13], v[8:11], off
	s_andn2_b64 exec, exec, s[2:3]
	s_cbranch_execnz .LBB78_28
; %bb.29:
	s_or_b64 exec, exec, s[2:3]
	v_cmp_ne_u32_e32 vcc, v1, v4
	v_add_u32_e32 v0, v0, v4
	s_orn2_b64 s[2:3], vcc, exec
.LBB78_30:
	s_or_b64 exec, exec, s[0:1]
	s_and_b64 exec, exec, s[2:3]
	s_cbranch_execz .LBB78_33
; %bb.31:
	s_mov_b32 s3, 0
	v_mov_b32_e32 v1, 0
	v_lshlrev_b64 v[2:3], 1, v[0:1]
	s_lshl_b32 s2, s6, 1
	s_mov_b64 s[0:1], 0
	v_mov_b32_e32 v1, s7
	v_mov_b32_e32 v4, s10
	;; [unrolled: 1-line block ×3, first 2 shown]
	s_movk_i32 s3, 0xbf
.LBB78_32:                              ; =>This Inner Loop Header: Depth=1
	v_add_co_u32_e32 v6, vcc, s5, v2
	v_addc_co_u32_e32 v7, vcc, v1, v3, vcc
	global_load_ushort v8, v[6:7], off
	v_add_co_u32_e32 v6, vcc, s4, v2
	v_addc_co_u32_e32 v7, vcc, v4, v3, vcc
	v_add_co_u32_e32 v2, vcc, s2, v2
	v_add_u32_e32 v0, s6, v0
	v_addc_co_u32_e32 v3, vcc, v3, v5, vcc
	v_cmp_lt_u32_e32 vcc, s3, v0
	s_or_b64 s[0:1], vcc, s[0:1]
	s_waitcnt vmcnt(0)
	global_store_short v[6:7], v8, off
	s_andn2_b64 exec, exec, s[0:1]
	s_cbranch_execnz .LBB78_32
.LBB78_33:
	s_endpgm
	.section	.rodata,"a",@progbits
	.p2align	6, 0x0
	.amdhsa_kernel _ZN4vllm32paged_attention_v2_reduce_kernelItLi192ELi128ELi512EEEvPT_PKfS4_PKS1_PKii
		.amdhsa_group_segment_fixed_size 16
		.amdhsa_private_segment_fixed_size 0
		.amdhsa_kernarg_size 304
		.amdhsa_user_sgpr_count 6
		.amdhsa_user_sgpr_private_segment_buffer 1
		.amdhsa_user_sgpr_dispatch_ptr 0
		.amdhsa_user_sgpr_queue_ptr 0
		.amdhsa_user_sgpr_kernarg_segment_ptr 1
		.amdhsa_user_sgpr_dispatch_id 0
		.amdhsa_user_sgpr_flat_scratch_init 0
		.amdhsa_user_sgpr_kernarg_preload_length 0
		.amdhsa_user_sgpr_kernarg_preload_offset 0
		.amdhsa_user_sgpr_private_segment_size 0
		.amdhsa_uses_dynamic_stack 0
		.amdhsa_system_sgpr_private_segment_wavefront_offset 0
		.amdhsa_system_sgpr_workgroup_id_x 1
		.amdhsa_system_sgpr_workgroup_id_y 1
		.amdhsa_system_sgpr_workgroup_id_z 0
		.amdhsa_system_sgpr_workgroup_info 0
		.amdhsa_system_vgpr_workitem_id 0
		.amdhsa_next_free_vgpr 24
		.amdhsa_next_free_sgpr 32
		.amdhsa_accum_offset 24
		.amdhsa_reserve_vcc 1
		.amdhsa_reserve_flat_scratch 0
		.amdhsa_float_round_mode_32 0
		.amdhsa_float_round_mode_16_64 0
		.amdhsa_float_denorm_mode_32 3
		.amdhsa_float_denorm_mode_16_64 3
		.amdhsa_dx10_clamp 1
		.amdhsa_ieee_mode 1
		.amdhsa_fp16_overflow 0
		.amdhsa_tg_split 0
		.amdhsa_exception_fp_ieee_invalid_op 0
		.amdhsa_exception_fp_denorm_src 0
		.amdhsa_exception_fp_ieee_div_zero 0
		.amdhsa_exception_fp_ieee_overflow 0
		.amdhsa_exception_fp_ieee_underflow 0
		.amdhsa_exception_fp_ieee_inexact 0
		.amdhsa_exception_int_div_zero 0
	.end_amdhsa_kernel
	.section	.text._ZN4vllm32paged_attention_v2_reduce_kernelItLi192ELi128ELi512EEEvPT_PKfS4_PKS1_PKii,"axG",@progbits,_ZN4vllm32paged_attention_v2_reduce_kernelItLi192ELi128ELi512EEEvPT_PKfS4_PKS1_PKii,comdat
.Lfunc_end78:
	.size	_ZN4vllm32paged_attention_v2_reduce_kernelItLi192ELi128ELi512EEEvPT_PKfS4_PKS1_PKii, .Lfunc_end78-_ZN4vllm32paged_attention_v2_reduce_kernelItLi192ELi128ELi512EEEvPT_PKfS4_PKS1_PKii
                                        ; -- End function
	.section	.AMDGPU.csdata,"",@progbits
; Kernel info:
; codeLenInByte = 2268
; NumSgprs: 36
; NumVgprs: 24
; NumAgprs: 0
; TotalNumVgprs: 24
; ScratchSize: 0
; MemoryBound: 0
; FloatMode: 240
; IeeeMode: 1
; LDSByteSize: 16 bytes/workgroup (compile time only)
; SGPRBlocks: 4
; VGPRBlocks: 2
; NumSGPRsForWavesPerEU: 36
; NumVGPRsForWavesPerEU: 24
; AccumOffset: 24
; Occupancy: 8
; WaveLimiterHint : 0
; COMPUTE_PGM_RSRC2:SCRATCH_EN: 0
; COMPUTE_PGM_RSRC2:USER_SGPR: 6
; COMPUTE_PGM_RSRC2:TRAP_HANDLER: 0
; COMPUTE_PGM_RSRC2:TGID_X_EN: 1
; COMPUTE_PGM_RSRC2:TGID_Y_EN: 1
; COMPUTE_PGM_RSRC2:TGID_Z_EN: 0
; COMPUTE_PGM_RSRC2:TIDIG_COMP_CNT: 0
; COMPUTE_PGM_RSRC3_GFX90A:ACCUM_OFFSET: 5
; COMPUTE_PGM_RSRC3_GFX90A:TG_SPLIT: 0
	.section	.text._ZN4vllm25paged_attention_v2_kernelIttLi256ELi8ELi128ELNS_18Fp8KVCacheDataTypeE0ELb1ELi512EEEvPfS2_PT_PKS3_PKT0_S9_ifPKiSB_iPKfiiiSD_SD_iiiii,"axG",@progbits,_ZN4vllm25paged_attention_v2_kernelIttLi256ELi8ELi128ELNS_18Fp8KVCacheDataTypeE0ELb1ELi512EEEvPfS2_PT_PKS3_PKT0_S9_ifPKiSB_iPKfiiiSD_SD_iiiii,comdat
	.protected	_ZN4vllm25paged_attention_v2_kernelIttLi256ELi8ELi128ELNS_18Fp8KVCacheDataTypeE0ELb1ELi512EEEvPfS2_PT_PKS3_PKT0_S9_ifPKiSB_iPKfiiiSD_SD_iiiii ; -- Begin function _ZN4vllm25paged_attention_v2_kernelIttLi256ELi8ELi128ELNS_18Fp8KVCacheDataTypeE0ELb1ELi512EEEvPfS2_PT_PKS3_PKT0_S9_ifPKiSB_iPKfiiiSD_SD_iiiii
	.globl	_ZN4vllm25paged_attention_v2_kernelIttLi256ELi8ELi128ELNS_18Fp8KVCacheDataTypeE0ELb1ELi512EEEvPfS2_PT_PKS3_PKT0_S9_ifPKiSB_iPKfiiiSD_SD_iiiii
	.p2align	8
	.type	_ZN4vllm25paged_attention_v2_kernelIttLi256ELi8ELi128ELNS_18Fp8KVCacheDataTypeE0ELb1ELi512EEEvPfS2_PT_PKS3_PKT0_S9_ifPKiSB_iPKfiiiSD_SD_iiiii,@function
_ZN4vllm25paged_attention_v2_kernelIttLi256ELi8ELi128ELNS_18Fp8KVCacheDataTypeE0ELb1ELi512EEEvPfS2_PT_PKS3_PKT0_S9_ifPKiSB_iPKfiiiSD_SD_iiiii: ; @_ZN4vllm25paged_attention_v2_kernelIttLi256ELi8ELi128ELNS_18Fp8KVCacheDataTypeE0ELb1ELi512EEEvPfS2_PT_PKS3_PKT0_S9_ifPKiSB_iPKfiiiSD_SD_iiiii
; %bb.0:
	s_load_dwordx2 s[0:1], s[4:5], 0x40
	s_mov_b32 s36, s7
	s_ashr_i32 s37, s7, 31
	s_lshl_b64 s[2:3], s[36:37], 2
	s_waitcnt lgkmcnt(0)
	s_add_u32 s0, s0, s2
	s_addc_u32 s1, s1, s3
	s_load_dword s37, s[0:1], 0x0
	s_lshl_b32 s49, s8, 9
	s_waitcnt lgkmcnt(0)
	s_cmp_ge_i32 s49, s37
	s_cbranch_scc1 .LBB79_67
; %bb.1:
	s_load_dword s9, s[4:5], 0x90
	s_load_dwordx2 s[40:41], s[4:5], 0x30
	s_waitcnt lgkmcnt(0)
	s_abs_i32 s2, s9
	s_abs_i32 s0, s40
	v_cvt_f32_u32_e32 v1, s0
	s_sub_i32 s3, 0, s0
	s_xor_b32 s1, s9, s40
	s_ashr_i32 s1, s1, 31
	v_rcp_iflag_f32_e32 v1, v1
	v_mul_f32_e32 v1, 0x4f7ffffe, v1
	v_cvt_u32_f32_e32 v1, v1
	v_readfirstlane_b32 s7, v1
	s_mul_i32 s3, s3, s7
	s_mul_hi_u32 s3, s7, s3
	s_add_i32 s7, s7, s3
	s_mul_hi_u32 s3, s2, s7
	s_mul_i32 s7, s3, s0
	s_sub_i32 s2, s2, s7
	s_add_i32 s10, s3, 1
	s_sub_i32 s7, s2, s0
	s_cmp_ge_u32 s2, s0
	s_cselect_b32 s3, s10, s3
	s_cselect_b32 s2, s7, s2
	s_add_i32 s7, s3, 1
	s_cmp_ge_u32 s2, s0
	s_cselect_b32 s0, s7, s3
	s_xor_b32 s0, s0, s1
	s_sub_i32 s24, s0, s1
	s_abs_i32 s38, s24
	v_cvt_f32_u32_e32 v1, s38
	s_load_dwordx2 s[0:1], s[4:5], 0x50
	s_sub_i32 s2, 0, s38
	s_abs_i32 s25, s6
	v_rcp_iflag_f32_e32 v1, v1
	s_mov_b32 s7, 0
	v_mul_f32_e32 v1, 0x4f7ffffe, v1
	v_cvt_u32_f32_e32 v1, v1
	v_readfirstlane_b32 s3, v1
	s_mul_i32 s2, s2, s3
	s_mul_hi_u32 s2, s3, s2
	s_add_i32 s2, s3, s2
	s_waitcnt lgkmcnt(0)
	s_cmp_eq_u64 s[0:1], 0
	s_cbranch_scc1 .LBB79_3
; %bb.2:
	s_ashr_i32 s7, s6, 31
	s_lshl_b64 s[10:11], s[6:7], 2
	s_add_u32 s0, s0, s10
	s_addc_u32 s1, s1, s11
	s_load_dword s7, s[0:1], 0x0
.LBB79_3:
	s_load_dwordx4 s[20:23], s[4:5], 0x0
	s_load_dwordx2 s[28:29], s[4:5], 0x10
	s_load_dwordx4 s[12:15], s[4:5], 0x20
	s_load_dwordx2 s[34:35], s[4:5], 0x38
	s_load_dword s33, s[4:5], 0x98
	s_load_dwordx4 s[16:19], s[4:5], 0x58
	v_and_b32_e32 v9, 7, v0
	s_lshl_b32 s30, s6, 8
	s_movk_i32 s0, 0x100
	s_mul_hi_u32 s26, s25, s2
	s_ashr_i32 s31, s30, 31
	v_cmp_gt_u32_e32 vcc, s0, v0
	v_lshlrev_b32_e32 v7, 1, v9
	s_and_saveexec_b64 s[2:3], vcc
	s_cbranch_execz .LBB79_6
; %bb.4:
	s_load_dwordx2 s[0:1], s[4:5], 0x18
	s_waitcnt lgkmcnt(0)
	s_mul_i32 s10, s36, s16
	s_ashr_i32 s11, s10, 31
	s_lshl_b64 s[10:11], s[10:11], 1
	s_lshl_b64 s[42:43], s[30:31], 1
	s_add_u32 s10, s10, s42
	s_addc_u32 s11, s11, s43
	v_lshrrev_b32_e32 v2, 3, v0
	s_add_u32 s0, s0, s10
	v_add_u32_e32 v1, -16, v2
	v_lshlrev_b32_e32 v3, 1, v2
	v_lshl_or_b32 v2, v2, 4, v7
	s_addc_u32 s1, s1, s11
	v_lshl_add_u32 v4, v9, 6, v3
	v_mov_b32_e32 v3, s1
	v_add_co_u32_e32 v2, vcc, s0, v2
	v_addc_co_u32_e32 v3, vcc, 0, v3, vcc
	s_mov_b64 s[10:11], 0
.LBB79_5:                               ; =>This Inner Loop Header: Depth=1
	global_load_ushort v5, v[2:3], off
	v_add_co_u32_e64 v1, s[0:1], 16, v1
	s_xor_b64 s[0:1], s[0:1], -1
	v_add_co_u32_e32 v2, vcc, 0x100, v2
	s_and_b64 s[0:1], exec, s[0:1]
	v_addc_co_u32_e32 v3, vcc, 0, v3, vcc
	s_or_b64 s[10:11], s[0:1], s[10:11]
	s_waitcnt vmcnt(0)
	ds_write_b16 v4, v5
	v_add_u32_e32 v4, 32, v4
	s_andn2_b64 exec, exec, s[10:11]
	s_cbranch_execnz .LBB79_5
.LBB79_6:
	s_or_b64 exec, exec, s[2:3]
	s_ashr_i32 s0, s6, 31
	s_ashr_i32 s1, s24, 31
	s_xor_b32 s0, s0, s1
	s_mul_i32 s1, s26, s38
	s_sub_i32 s1, s25, s1
	s_add_i32 s2, s26, 1
	s_sub_i32 s3, s1, s38
	s_cmp_ge_u32 s1, s38
	s_cselect_b32 s2, s2, s26
	s_load_dwordx4 s[24:27], s[4:5], 0x78
	s_cselect_b32 s1, s3, s1
	s_add_i32 s3, s2, 1
	s_cmp_ge_u32 s1, s38
	s_cselect_b32 s1, s3, s2
	s_load_dword s3, s[4:5], 0x88
	s_waitcnt lgkmcnt(0)
	s_abs_i32 s16, s27
	v_cvt_f32_u32_e32 v1, s16
	s_xor_b32 s1, s1, s0
	s_sub_i32 s2, s1, s0
	s_sub_i32 s0, 0, s16
	v_rcp_iflag_f32_e32 v1, v1
	s_add_i32 s19, s37, -1
	s_abs_i32 s10, s19
	v_mul_f32_e32 v1, 0x4f7ffffe, v1
	v_cvt_u32_f32_e32 v1, v1
	s_barrier
	v_readfirstlane_b32 s31, v1
	s_mul_i32 s0, s0, s31
	s_mul_hi_u32 s0, s31, s0
	s_add_i32 s31, s31, s0
	s_cmp_lt_i32 s3, 0
	s_mul_hi_u32 s11, s10, s31
	s_cbranch_scc0 .LBB79_8
; %bb.7:
	s_mul_i32 s0, s24, s40
	s_add_i32 s0, s2, s0
	s_mul_i32 s0, s0, s3
	s_sub_i32 s46, 1, s0
	s_ashr_i32 s19, s19, 31
	s_ashr_i32 s27, s27, 31
	s_cbranch_execz .LBB79_9
	s_branch .LBB79_10
.LBB79_8:
                                        ; implicit-def: $sgpr46
	s_ashr_i32 s19, s19, 31
	s_ashr_i32 s27, s27, 31
.LBB79_9:
	s_mul_i32 s0, s9, s24
	s_add_i32 s0, s0, s6
	s_mul_i32 s0, s0, s3
	s_add_i32 s46, s0, 1
.LBB79_10:
	s_load_dword s0, s[4:5], 0x48
	s_mul_i32 s3, s11, s16
	s_sub_i32 s3, s10, s3
	s_xor_b32 s1, s19, s27
	s_add_i32 s4, s11, 1
	s_waitcnt lgkmcnt(0)
	s_mul_i32 s38, s36, s0
	s_ashr_i32 s39, s38, 31
	s_sub_i32 s0, s3, s16
	s_cmp_ge_u32 s3, s16
	s_cselect_b32 s4, s4, s11
	s_cselect_b32 s0, s0, s3
	s_add_i32 s3, s4, 1
	s_cmp_ge_u32 s0, s16
	s_cselect_b32 s0, s3, s4
	s_xor_b32 s0, s0, s1
	s_sub_i32 s48, s0, s1
	s_add_i32 s0, s37, 7
	s_ashr_i32 s1, s0, 31
	s_lshr_b32 s1, s1, 29
	s_add_i32 s0, s0, s1
	s_lshl_b32 s40, s8, 6
	s_ashr_i32 s47, s0, 3
	s_add_i32 s0, s40, 64
	v_lshrrev_b32_e32 v6, 6, v0
	s_min_i32 s24, s0, s47
	v_or_b32_e32 v10, s40, v6
	v_cmp_gt_i32_e64 s[0:1], s24, v10
	v_mov_b32_e32 v13, 0xff7fffff
	s_mul_i32 s18, s2, s18
	v_ashrrev_i32_e32 v11, 31, v10
	v_lshl_add_u32 v1, v6, 3, s49
	v_mbcnt_lo_u32_b32 v4, -1, 0
	s_and_saveexec_b64 s[42:43], s[0:1]
	s_cbranch_execz .LBB79_20
; %bb.11:
	s_ashr_i32 s19, s18, 31
	s_sub_i32 s50, s48, s25
	s_lshl_b64 s[2:3], s[18:19], 1
	s_add_u32 s2, s12, s2
	s_addc_u32 s3, s13, s3
	s_abs_i32 s19, s26
	v_cvt_f32_u32_e32 v8, s19
	v_bfe_u32 v5, v0, 3, 3
	v_lshlrev_b32_e32 v2, 4, v5
	v_mov_b32_e32 v3, s3
	v_rcp_iflag_f32_e32 v12, v8
	v_add_co_u32_e64 v2, s[2:3], s2, v2
	v_addc_co_u32_e64 v3, s[2:3], 0, v3, s[2:3]
	v_add_co_u32_e64 v7, s[2:3], v2, v7
	v_mul_f32_e32 v2, 0x4f7ffffe, v12
	v_cvt_u32_f32_e32 v2, v2
	s_sub_i32 s4, 0, s19
	v_addc_co_u32_e64 v8, s[2:3], 0, v3, s[2:3]
	v_mul_lo_u32 v3, s4, v2
	s_lshl_b64 s[4:5], s[38:39], 2
	v_mul_hi_u32 v3, v2, v3
	s_add_u32 s4, s34, s4
	v_add_u32_e32 v12, v2, v3
	v_lshlrev_b64 v[2:3], 2, v[10:11]
	s_addc_u32 s5, s35, s5
	v_mov_b32_e32 v13, s5
	v_add_co_u32_e64 v2, s[4:5], s4, v2
	v_addc_co_u32_e64 v3, s[4:5], v13, v3, s[4:5]
	v_lshlrev_b32_e32 v13, 2, v5
	v_lshl_or_b32 v13, v6, 5, v13
	v_add_u32_e32 v15, 0x210, v13
	v_subrev_u32_e32 v13, s37, v5
	v_mbcnt_hi_u32_b32 v18, -1, v4
	v_add_u32_e32 v16, 1, v13
	v_and_b32_e32 v13, 64, v18
	v_cmp_eq_u32_e32 vcc, 0, v9
	s_mov_b32 s51, s17
	v_lshlrev_b32_e32 v9, 6, v9
	v_cmp_neq_f32_e64 s[2:3], s7, 0
	v_lshl_add_u32 v14, v6, 3, s49
	s_mov_b64 s[12:13], 0
	v_mov_b32_e32 v17, 0xff7fffff
	v_add_u32_e32 v19, 64, v13
	v_xor_b32_e32 v20, 4, v18
	v_xor_b32_e32 v21, 2, v18
	;; [unrolled: 1-line block ×3, first 2 shown]
	v_mov_b32_e32 v13, 0xff7fffff
	v_mov_b32_e32 v23, v10
	s_branch .LBB79_14
.LBB79_12:                              ;   in Loop: Header=BB79_14 Depth=1
	s_or_b64 exec, exec, s[44:45]
.LBB79_13:                              ;   in Loop: Header=BB79_14 Depth=1
	s_or_b64 exec, exec, s[10:11]
	v_add_co_u32_e64 v2, s[4:5], 8, v2
	v_add_u32_e32 v23, 2, v23
	v_addc_co_u32_e64 v3, s[4:5], 0, v3, s[4:5]
	v_cmp_le_i32_e64 s[4:5], s24, v23
	v_add_u32_e32 v14, 16, v14
	s_or_b64 s[12:13], s[4:5], s[12:13]
	v_add_u32_e32 v15, 64, v15
	s_andn2_b64 exec, exec, s[12:13]
	s_cbranch_execz .LBB79_19
.LBB79_14:                              ; =>This Inner Loop Header: Depth=1
	s_waitcnt lgkmcnt(0)
	v_sub_u32_e32 v25, 0, v14
	v_max_i32_e32 v25, v14, v25
	v_mul_hi_u32 v26, v25, s31
	v_mul_lo_u32 v27, v26, s16
	v_sub_u32_e32 v25, v25, v27
	v_add_u32_e32 v27, 1, v26
	v_cmp_le_u32_e64 s[4:5], s16, v25
	v_cndmask_b32_e64 v26, v26, v27, s[4:5]
	v_subrev_u32_e32 v27, s16, v25
	v_cndmask_b32_e64 v25, v25, v27, s[4:5]
	v_ashrrev_i32_e32 v24, 31, v14
	v_add_u32_e32 v27, 1, v26
	v_cmp_le_u32_e64 s[4:5], s16, v25
	v_xor_b32_e32 v24, s27, v24
	v_cndmask_b32_e64 v25, v26, v27, s[4:5]
	v_xor_b32_e32 v25, v25, v24
	v_sub_u32_e32 v24, v25, v24
	v_add_u32_e32 v25, s46, v24
	v_sub_u32_e32 v27, 0, v25
	v_ashrrev_i32_e32 v26, 31, v25
	v_max_i32_e32 v25, v25, v27
	v_mul_hi_u32 v27, v25, v12
	v_mul_lo_u32 v27, v27, s19
	v_sub_u32_e32 v25, v25, v27
	v_subrev_u32_e32 v27, s19, v25
	v_cmp_le_u32_e64 s[4:5], s19, v25
	v_cndmask_b32_e64 v25, v25, v27, s[4:5]
	v_subrev_u32_e32 v27, s19, v25
	v_cmp_le_u32_e64 s[4:5], s19, v25
	v_cndmask_b32_e64 v25, v25, v27, s[4:5]
	v_xor_b32_e32 v25, v25, v26
	v_sub_u32_e32 v25, v25, v26
	v_cmp_ne_u32_e64 s[4:5], 0, v25
	v_cmp_ge_i32_e64 s[10:11], s50, v24
	s_and_b64 s[4:5], s[4:5], s[10:11]
	s_and_b64 s[44:45], vcc, s[4:5]
	s_and_saveexec_b64 s[10:11], s[44:45]
	s_cbranch_execz .LBB79_16
; %bb.15:                               ;   in Loop: Header=BB79_14 Depth=1
	ds_write_b32 v15, v17
.LBB79_16:                              ;   in Loop: Header=BB79_14 Depth=1
	s_or_b64 exec, exec, s[10:11]
	s_xor_b64 s[4:5], s[4:5], -1
	s_and_saveexec_b64 s[10:11], s[4:5]
	s_cbranch_execz .LBB79_13
; %bb.17:                               ;   in Loop: Header=BB79_14 Depth=1
	global_load_dword v24, v[2:3], off
	s_waitcnt vmcnt(0)
	v_mad_i64_i32 v[24:25], s[4:5], v24, s51, 0
	v_lshlrev_b64 v[24:25], 1, v[24:25]
	v_add_co_u32_e64 v24, s[4:5], v7, v24
	v_addc_co_u32_e64 v25, s[4:5], v8, v25, s[4:5]
	global_load_ushort v26, v[24:25], off
	global_load_ushort v27, v[24:25], off offset:128
	global_load_ushort v28, v[24:25], off offset:256
	;; [unrolled: 1-line block ×7, first 2 shown]
	ds_read_u16 v34, v9
	global_load_ushort v35, v[24:25], off offset:1024
	global_load_ushort v36, v[24:25], off offset:1152
	;; [unrolled: 1-line block ×23, first 2 shown]
	s_nop 0
	global_load_ushort v24, v[24:25], off offset:3968
	s_waitcnt lgkmcnt(0)
	;;#ASMSTART
	v_cvt_f32_f16 v25, v34;
	;;#ASMEND
	v_cmp_lt_i32_e64 s[4:5], v20, v19
	v_cndmask_b32_e64 v80, v18, v20, s[4:5]
	v_lshlrev_b32_e32 v80, 2, v80
	v_cmp_lt_i32_e64 s[4:5], v21, v19
	s_waitcnt vmcnt(31)
	;;#ASMSTART
	v_cvt_f32_f16 v26, v26;
	;;#ASMEND
	ds_read_u16 v34, v9 offset:2
	s_waitcnt lgkmcnt(0)
	;;#ASMSTART
	v_cvt_f32_f16 v34, v34;
	;;#ASMEND
	s_waitcnt vmcnt(30)
	;;#ASMSTART
	v_cvt_f32_f16 v27, v27;
	;;#ASMEND
	v_mul_f32_e32 v27, v34, v27
	ds_read_u16 v58, v9 offset:4
	v_fmac_f32_e32 v27, v25, v26
	s_waitcnt lgkmcnt(0)
	;;#ASMSTART
	v_cvt_f32_f16 v58, v58;
	;;#ASMEND
	s_waitcnt vmcnt(29)
	;;#ASMSTART
	v_cvt_f32_f16 v28, v28;
	;;#ASMEND
	ds_read_u16 v59, v9 offset:6
	v_fmac_f32_e32 v27, v58, v28
	s_waitcnt lgkmcnt(0)
	;;#ASMSTART
	v_cvt_f32_f16 v59, v59;
	;;#ASMEND
	s_waitcnt vmcnt(28)
	;;#ASMSTART
	v_cvt_f32_f16 v29, v29;
	;;#ASMEND
	;; [unrolled: 10-line block ×22, first 2 shown]
	v_fmac_f32_e32 v27, v79, v50
	ds_read_u16 v81, v9 offset:48
	s_waitcnt lgkmcnt(0)
	;;#ASMSTART
	v_cvt_f32_f16 v25, v81;
	;;#ASMEND
	s_waitcnt vmcnt(7)
	;;#ASMSTART
	v_cvt_f32_f16 v26, v51;
	;;#ASMEND
	ds_read_u16 v28, v9 offset:50
	v_fmac_f32_e32 v27, v25, v26
	s_waitcnt lgkmcnt(0)
	;;#ASMSTART
	v_cvt_f32_f16 v28, v28;
	;;#ASMEND
	s_waitcnt vmcnt(6)
	;;#ASMSTART
	v_cvt_f32_f16 v29, v52;
	;;#ASMEND
	ds_read_u16 v30, v9 offset:52
	v_fmac_f32_e32 v27, v28, v29
	;; [unrolled: 10-line block ×5, first 2 shown]
	s_waitcnt lgkmcnt(0)
	;;#ASMSTART
	v_cvt_f32_f16 v36, v36;
	;;#ASMEND
	s_waitcnt vmcnt(2)
	;;#ASMSTART
	v_cvt_f32_f16 v37, v56;
	;;#ASMEND
	v_fmac_f32_e32 v27, v36, v37
	ds_read_u16 v38, v9 offset:60
	s_waitcnt lgkmcnt(0)
	;;#ASMSTART
	v_cvt_f32_f16 v25, v38;
	;;#ASMEND
	s_waitcnt vmcnt(1)
	;;#ASMSTART
	v_cvt_f32_f16 v26, v57;
	;;#ASMEND
	v_fmac_f32_e32 v27, v25, v26
	ds_read_u16 v28, v9 offset:62
	s_waitcnt lgkmcnt(0)
	;;#ASMSTART
	v_cvt_f32_f16 v25, v28;
	;;#ASMEND
	s_waitcnt vmcnt(0)
	;;#ASMSTART
	v_cvt_f32_f16 v24, v24;
	;;#ASMEND
	v_fmac_f32_e32 v27, v25, v24
	ds_bpermute_b32 v24, v80, v27
	v_cndmask_b32_e64 v25, v18, v21, s[4:5]
	v_lshlrev_b32_e32 v25, 2, v25
	v_cmp_lt_i32_e64 s[4:5], v22, v19
	v_cndmask_b32_e64 v26, v18, v22, s[4:5]
	s_waitcnt lgkmcnt(0)
	v_add_f32_e32 v24, v27, v24
	ds_bpermute_b32 v25, v25, v24
	s_waitcnt lgkmcnt(0)
	v_add_f32_e32 v24, v24, v25
	v_lshlrev_b32_e32 v25, 2, v26
	ds_bpermute_b32 v25, v25, v24
	s_and_saveexec_b64 s[44:45], vcc
	s_cbranch_execz .LBB79_12
; %bb.18:                               ;   in Loop: Header=BB79_14 Depth=1
	v_add_u32_e32 v26, v16, v14
	v_cvt_f32_i32_e32 v26, v26
	s_waitcnt lgkmcnt(0)
	v_add_f32_e32 v24, v24, v25
	v_add_u32_e32 v27, v5, v14
	v_cmp_gt_i32_e64 s[4:5], s37, v27
	v_mul_f32_e32 v25, s7, v26
	v_cndmask_b32_e64 v25, 0, v25, s[2:3]
	v_fmac_f32_e32 v25, s41, v24
	v_cndmask_b32_e64 v24, 0, v25, s[4:5]
	ds_write_b32 v15, v24
	v_max_f32_e32 v24, v13, v13
	v_max_f32_e32 v24, v24, v25
	v_cndmask_b32_e64 v13, v13, v24, s[4:5]
	s_branch .LBB79_12
.LBB79_19:
	s_or_b64 exec, exec, s[12:13]
.LBB79_20:
	s_or_b64 exec, exec, s[42:43]
	v_mbcnt_hi_u32_b32 v2, -1, v4
	v_and_b32_e32 v3, 64, v2
	v_add_u32_e32 v3, 64, v3
	v_xor_b32_e32 v4, 32, v2
	v_cmp_lt_i32_e32 vcc, v4, v3
	v_cndmask_b32_e32 v4, v2, v4, vcc
	v_lshlrev_b32_e32 v7, 2, v4
	ds_bpermute_b32 v4, v7, v13
	v_xor_b32_e32 v8, 16, v2
	v_max_f32_e32 v5, v13, v13
	v_cmp_lt_i32_e32 vcc, v8, v3
	v_and_b32_e32 v16, 63, v0
	s_waitcnt lgkmcnt(0)
	v_max_f32_e32 v4, v4, v4
	v_max_f32_e32 v4, v5, v4
	v_cndmask_b32_e32 v5, v2, v8, vcc
	v_lshlrev_b32_e32 v9, 2, v5
	ds_bpermute_b32 v5, v9, v4
	v_xor_b32_e32 v8, 8, v2
	v_cmp_lt_i32_e32 vcc, v8, v3
	s_waitcnt lgkmcnt(0)
	v_max_f32_e32 v5, v5, v5
	v_max_f32_e32 v4, v4, v5
	v_cndmask_b32_e32 v5, v2, v8, vcc
	v_lshlrev_b32_e32 v12, 2, v5
	ds_bpermute_b32 v8, v12, v4
	v_cmp_eq_u32_e32 vcc, 0, v16
	v_lshlrev_b32_e32 v5, 2, v6
	s_and_saveexec_b64 s[2:3], vcc
	s_cbranch_execz .LBB79_22
; %bb.21:
	s_waitcnt lgkmcnt(0)
	v_max_f32_e32 v8, v8, v8
	v_max_f32_e32 v4, v4, v4
	;; [unrolled: 1-line block ×3, first 2 shown]
	ds_write_b32 v5, v4 offset:512
.LBB79_22:
	s_or_b64 exec, exec, s[2:3]
	v_cmp_gt_u32_e64 s[2:3], 2, v16
	v_mov_b32_e32 v4, 0xff7fffff
	s_waitcnt lgkmcnt(0)
	v_lshlrev_b32_e32 v8, 2, v16
	s_barrier
	s_and_saveexec_b64 s[4:5], s[2:3]
	s_cbranch_execz .LBB79_24
; %bb.23:
	ds_read_b32 v4, v8 offset:512
.LBB79_24:
	s_or_b64 exec, exec, s[4:5]
	v_xor_b32_e32 v13, 1, v2
	v_cmp_lt_i32_e64 s[4:5], v13, v3
	v_cndmask_b32_e64 v13, v2, v13, s[4:5]
	v_lshlrev_b32_e32 v13, 2, v13
	s_waitcnt lgkmcnt(0)
	ds_bpermute_b32 v14, v13, v4
	v_max_f32_e32 v4, v4, v4
	s_sub_i32 s4, s24, s40
	s_lshl_b32 s4, s4, 3
	s_add_i32 s4, s4, s49
	s_waitcnt lgkmcnt(0)
	v_max_f32_e32 v14, v14, v14
	v_max_f32_e32 v4, v4, v14
	v_lshlrev_b32_e32 v14, 2, v2
	v_and_b32_e32 v14, 0x100, v14
	ds_bpermute_b32 v4, v14, v4
	s_min_i32 s19, s4, s37
	s_sub_i32 s7, s19, s49
	v_cmp_gt_i32_e64 s[4:5], s7, v0
	v_mov_b32_e32 v15, 0
	s_and_saveexec_b64 s[12:13], s[4:5]
	s_cbranch_execz .LBB79_28
; %bb.25:
	v_mov_b32_e32 v15, 0x210
	v_lshl_add_u32 v17, v0, 2, v15
	s_mov_b64 s[40:41], 0
	v_mov_b32_e32 v15, 0
	v_mov_b32_e32 v18, v0
.LBB79_26:                              ; =>This Inner Loop Header: Depth=1
	ds_read_b32 v19, v17
	v_add_u32_e32 v18, 0x80, v18
	v_cmp_le_i32_e64 s[10:11], s7, v18
	s_or_b64 s[40:41], s[10:11], s[40:41]
	s_waitcnt lgkmcnt(0)
	v_sub_f32_e32 v19, v19, v4
	v_mul_f32_e32 v19, 0x3fb8aa3b, v19
	v_exp_f32_e32 v19, v19
	ds_write_b32 v17, v19
	v_add_f32_e32 v15, v15, v19
	v_add_u32_e32 v17, 0x200, v17
	s_andn2_b64 exec, exec, s[40:41]
	s_cbranch_execnz .LBB79_26
; %bb.27:
	s_or_b64 exec, exec, s[40:41]
.LBB79_28:
	s_or_b64 exec, exec, s[12:13]
	ds_bpermute_b32 v7, v7, v15
	s_waitcnt lgkmcnt(0)
	v_add_f32_e32 v7, v15, v7
	ds_bpermute_b32 v9, v9, v7
	s_waitcnt lgkmcnt(0)
	v_add_f32_e32 v7, v7, v9
	ds_bpermute_b32 v9, v12, v7
	v_xor_b32_e32 v12, 4, v2
	v_cmp_lt_i32_e64 s[10:11], v12, v3
	v_cndmask_b32_e64 v12, v2, v12, s[10:11]
	v_lshlrev_b32_e32 v12, 2, v12
	s_waitcnt lgkmcnt(0)
	v_add_f32_e32 v7, v7, v9
	ds_bpermute_b32 v9, v12, v7
	v_xor_b32_e32 v12, 2, v2
	v_cmp_lt_i32_e64 s[10:11], v12, v3
	v_cndmask_b32_e64 v2, v2, v12, s[10:11]
	v_lshlrev_b32_e32 v2, 2, v2
	s_waitcnt lgkmcnt(0)
	v_add_f32_e32 v3, v7, v9
	ds_bpermute_b32 v2, v2, v3
	s_waitcnt lgkmcnt(0)
	v_add_f32_e32 v2, v3, v2
	ds_bpermute_b32 v3, v13, v2
	s_waitcnt lgkmcnt(0)
	v_add_f32_e32 v2, v2, v3
	s_and_saveexec_b64 s[10:11], vcc
	s_cbranch_execz .LBB79_30
; %bb.29:
	ds_write_b32 v5, v2 offset:520
.LBB79_30:
	s_or_b64 exec, exec, s[10:11]
	s_waitcnt lgkmcnt(0)
	s_barrier
	s_and_saveexec_b64 s[10:11], s[2:3]
	s_cbranch_execz .LBB79_32
; %bb.31:
	ds_read_b32 v2, v8 offset:520
.LBB79_32:
	s_or_b64 exec, exec, s[10:11]
	s_waitcnt lgkmcnt(0)
	ds_bpermute_b32 v3, v13, v2
	s_waitcnt lgkmcnt(0)
	v_add_f32_e32 v2, v2, v3
	ds_bpermute_b32 v5, v14, v2
	s_and_saveexec_b64 s[2:3], s[4:5]
	s_cbranch_execz .LBB79_45
; %bb.33:
	s_waitcnt lgkmcnt(0)
	v_add_f32_e32 v2, 0x358637bd, v5
	v_div_scale_f32 v3, s[4:5], v2, v2, 1.0
	v_rcp_f32_e32 v7, v3
	v_div_scale_f32 v8, vcc, 1.0, v2, 1.0
	s_movk_i32 s4, 0x7f
	v_fma_f32 v9, -v3, v7, 1.0
	v_fmac_f32_e32 v7, v9, v7
	v_mul_f32_e32 v9, v8, v7
	v_fma_f32 v12, -v3, v9, v8
	v_fmac_f32_e32 v9, v12, v7
	v_fma_f32 v3, -v3, v9, v8
	v_div_fmas_f32 v3, v3, v7, v9
	v_div_fixup_f32 v2, v3, v2, 1.0
	v_xad_u32 v3, v0, -1, s19
	v_subrev_u32_e32 v7, s49, v3
	v_cmp_lt_u32_e32 vcc, s4, v7
	s_mov_b64 s[10:11], -1
	v_mov_b32_e32 v3, v0
	s_and_saveexec_b64 s[4:5], vcc
	s_cbranch_execz .LBB79_42
; %bb.34:
	v_lshrrev_b32_e32 v7, 7, v7
	v_add_u32_e32 v9, -1, v7
	v_lshrrev_b32_e32 v8, 1, v9
	v_mov_b32_e32 v3, v2
	v_add_u32_e32 v8, 1, v8
	v_cmp_lt_u32_e32 vcc, 13, v9
	v_mov_b32_e32 v13, 0
	s_and_saveexec_b64 s[10:11], vcc
	s_cbranch_execz .LBB79_38
; %bb.35:
	v_mov_b32_e32 v12, 0x210
	v_and_b32_e32 v9, -8, v8
	v_lshl_add_u32 v12, v0, 2, v12
	s_mov_b32 s19, 0
	s_mov_b64 s[12:13], 0
.LBB79_36:                              ; =>This Inner Loop Header: Depth=1
	ds_read2st64_b32 v[14:15], v12 offset1:2
	ds_read2st64_b32 v[18:19], v12 offset0:4 offset1:6
	ds_read2st64_b32 v[20:21], v12 offset0:8 offset1:10
	;; [unrolled: 1-line block ×3, first 2 shown]
	v_add_u32_e32 v9, -8, v9
	s_waitcnt lgkmcnt(3)
	v_pk_mul_f32 v[14:15], v[2:3], v[14:15]
	s_waitcnt lgkmcnt(2)
	v_pk_mul_f32 v[18:19], v[2:3], v[18:19]
	ds_write2st64_b32 v12, v14, v15 offset1:2
	ds_write2st64_b32 v12, v18, v19 offset0:4 offset1:6
	ds_read2st64_b32 v[18:19], v12 offset0:16 offset1:18
	s_waitcnt lgkmcnt(4)
	v_pk_mul_f32 v[14:15], v[2:3], v[20:21]
	ds_write2st64_b32 v12, v14, v15 offset0:8 offset1:10
	s_waitcnt lgkmcnt(4)
	v_pk_mul_f32 v[14:15], v[2:3], v[22:23]
	ds_write2st64_b32 v12, v14, v15 offset0:12 offset1:14
	ds_read2st64_b32 v[14:15], v12 offset0:20 offset1:22
	s_waitcnt lgkmcnt(3)
	v_pk_mul_f32 v[18:19], v[2:3], v[18:19]
	ds_read2st64_b32 v[20:21], v12 offset0:24 offset1:26
	ds_write2st64_b32 v12, v18, v19 offset0:16 offset1:18
	ds_read2st64_b32 v[18:19], v12 offset0:28 offset1:30
	s_waitcnt lgkmcnt(3)
	v_pk_mul_f32 v[14:15], v[2:3], v[14:15]
	ds_write2st64_b32 v12, v14, v15 offset0:20 offset1:22
	s_waitcnt lgkmcnt(3)
	v_pk_mul_f32 v[14:15], v[2:3], v[20:21]
	ds_write2st64_b32 v12, v14, v15 offset0:24 offset1:26
	s_waitcnt lgkmcnt(2)
	v_pk_mul_f32 v[14:15], v[2:3], v[18:19]
	s_add_i32 s19, s19, 16
	v_cmp_eq_u32_e32 vcc, 0, v9
	ds_write2st64_b32 v12, v14, v15 offset0:28 offset1:30
	v_add_u32_e32 v12, 0x2000, v12
	s_or_b64 s[12:13], vcc, s[12:13]
	v_mov_b32_e32 v13, s19
	s_andn2_b64 exec, exec, s[12:13]
	s_cbranch_execnz .LBB79_36
; %bb.37:
	s_or_b64 exec, exec, s[12:13]
.LBB79_38:
	s_or_b64 exec, exec, s[10:11]
	v_and_b32_e32 v8, 7, v8
	v_cmp_ne_u32_e32 vcc, 0, v8
	s_and_saveexec_b64 s[10:11], vcc
	s_cbranch_execz .LBB79_41
; %bb.39:
	v_lshlrev_b32_e32 v9, 9, v13
	v_lshlrev_b32_e32 v12, 2, v0
	s_movk_i32 s12, 0x210
	v_add3_u32 v9, v9, v12, s12
	s_mov_b64 s[12:13], 0
.LBB79_40:                              ; =>This Inner Loop Header: Depth=1
	ds_read2st64_b32 v[12:13], v9 offset1:2
	v_add_u32_e32 v8, -1, v8
	v_cmp_eq_u32_e32 vcc, 0, v8
	s_or_b64 s[12:13], vcc, s[12:13]
	s_waitcnt lgkmcnt(0)
	v_pk_mul_f32 v[12:13], v[2:3], v[12:13]
	ds_write2st64_b32 v9, v12, v13 offset1:2
	v_add_u32_e32 v9, 0x400, v9
	s_andn2_b64 exec, exec, s[12:13]
	s_cbranch_execnz .LBB79_40
.LBB79_41:
	s_or_b64 exec, exec, s[10:11]
	v_add_u32_e32 v7, 1, v7
	v_and_b32_e32 v8, 0x3fffffe, v7
	v_cmp_ne_u32_e32 vcc, v7, v8
	v_lshl_add_u32 v3, v8, 7, v0
	s_orn2_b64 s[10:11], vcc, exec
.LBB79_42:
	s_or_b64 exec, exec, s[4:5]
	s_and_b64 exec, exec, s[10:11]
	s_cbranch_execz .LBB79_45
; %bb.43:
	v_mov_b32_e32 v7, 0x210
	v_lshl_add_u32 v7, v3, 2, v7
	s_mov_b64 s[4:5], 0
.LBB79_44:                              ; =>This Inner Loop Header: Depth=1
	ds_read_b32 v8, v7
	v_add_u32_e32 v3, 0x80, v3
	v_cmp_le_i32_e32 vcc, s7, v3
	s_or_b64 s[4:5], vcc, s[4:5]
	s_waitcnt lgkmcnt(0)
	v_mul_f32_e32 v8, v2, v8
	ds_write_b32 v7, v8
	v_add_u32_e32 v7, 0x200, v7
	s_andn2_b64 exec, exec, s[4:5]
	s_cbranch_execnz .LBB79_44
.LBB79_45:
	s_or_b64 exec, exec, s[2:3]
	s_mul_i32 s2, s33, s36
	s_mov_b32 s4, 0
	v_cmp_eq_u32_e32 vcc, 0, v0
	s_mul_i32 s2, s2, s9
	s_waitcnt lgkmcnt(0)
	s_barrier
	s_and_saveexec_b64 s[10:11], vcc
	s_cbranch_execz .LBB79_47
; %bb.46:
	s_ashr_i32 s3, s2, 31
	s_lshl_b64 s[12:13], s[2:3], 2
	s_add_u32 s3, s22, s12
	s_mul_i32 s6, s33, s6
	s_addc_u32 s5, s23, s13
	s_ashr_i32 s7, s6, 31
	s_lshl_b64 s[6:7], s[6:7], 2
	s_add_u32 s3, s3, s6
	s_addc_u32 s5, s5, s7
	s_ashr_i32 s9, s8, 31
	s_lshl_b64 s[22:23], s[8:9], 2
	s_add_u32 s40, s3, s22
	s_addc_u32 s41, s5, s23
	s_add_u32 s3, s20, s12
	s_addc_u32 s5, s21, s13
	;; [unrolled: 2-line block ×3, first 2 shown]
	s_add_u32 s6, s3, s22
	v_mov_b32_e32 v2, 0
	s_addc_u32 s7, s5, s23
	global_store_dword v2, v4, s[40:41]
	global_store_dword v2, v5, s[6:7]
.LBB79_47:
	s_or_b64 exec, exec, s[10:11]
	s_mov_b32 s5, s4
	s_mov_b32 s6, s4
	;; [unrolled: 1-line block ×3, first 2 shown]
	v_pk_mov_b32 v[2:3], s[4:5], s[4:5] op_sel:[0,1]
	v_pk_mov_b32 v[4:5], s[6:7], s[6:7] op_sel:[0,1]
	s_and_saveexec_b64 s[4:5], s[0:1]
	s_cbranch_execz .LBB79_61
; %bb.48:
	s_ashr_i32 s19, s18, 31
	s_sub_i32 s3, s48, s25
	s_lshl_b64 s[0:1], s[18:19], 1
	s_add_u32 s0, s14, s0
	s_addc_u32 s1, s15, s1
	s_abs_i32 s14, s26
	v_cvt_f32_u32_e32 v2, s14
	s_sub_i32 s6, 0, s14
	s_add_i32 s47, s47, -1
	s_mov_b32 s40, 0
	v_rcp_iflag_f32_e32 v2, v2
	s_mov_b32 s41, s40
	s_mov_b32 s42, s40
	;; [unrolled: 1-line block ×3, first 2 shown]
	v_mul_f32_e32 v2, 0x4f7ffffe, v2
	v_cvt_u32_f32_e32 v2, v2
	s_mov_b32 s9, s17
	s_mov_b32 s15, s37
	;; [unrolled: 1-line block ×3, first 2 shown]
	v_mul_lo_u32 v3, s6, v2
	v_mul_hi_u32 v3, v2, v3
	v_add_u32_e32 v17, v2, v3
	v_lshlrev_b32_e32 v2, 4, v16
	v_mov_b32_e32 v3, s1
	v_add_co_u32_e32 v18, vcc, s0, v2
	s_lshl_b64 s[0:1], s[38:39], 2
	s_add_u32 s0, s34, s0
	v_addc_co_u32_e32 v19, vcc, 0, v3, vcc
	v_lshlrev_b64 v[2:3], 2, v[10:11]
	s_addc_u32 s1, s35, s1
	v_mov_b32_e32 v4, s1
	v_add_co_u32_e32 v12, vcc, s0, v2
	v_mov_b32_e32 v2, 0x210
	v_addc_co_u32_e32 v13, vcc, v4, v3, vcc
	v_lshl_add_u32 v11, v6, 5, v2
	v_pk_mov_b32 v[2:3], s[40:41], s[40:41] op_sel:[0,1]
	s_mov_b32 s18, s37
	s_mov_b32 s19, s37
	;; [unrolled: 1-line block ×5, first 2 shown]
	s_mov_b64 s[6:7], 0
	v_pk_mov_b32 v[4:5], s[42:43], s[42:43] op_sel:[0,1]
	s_mov_b32 s23, 0x5040100
	s_branch .LBB79_51
.LBB79_49:                              ;   in Loop: Header=BB79_51 Depth=1
	s_or_b64 exec, exec, s[0:1]
	s_waitcnt vmcnt(0)
	;;#ASMSTART
	v_pk_mul_f16 v6, v30, v6;

	;;#ASMEND
	;;#ASMSTART
	v_pk_mul_f16 v7, v29, v7;

	;;#ASMEND
	;; [unrolled: 4-line block ×4, first 2 shown]
	;;#ASMSTART
	v_pk_add_f16 v6, v6, v7;

	;;#ASMEND
	;;#ASMSTART
	v_pk_add_f16 v6, v6, v8;

	;;#ASMEND
	;; [unrolled: 4-line block ×3, first 2 shown]
	v_add_f32_e32 v14, v31, v32
	v_lshrrev_b32_e32 v7, 16, v6
	v_and_b32_e32 v6, 0xffff, v6
	v_add_f32_e32 v2, v2, v14
	v_add_f32_e32 v14, v33, v34
	;;#ASMSTART
	v_cvt_f32_f16 v6, v6;
	;;#ASMEND
	v_add_f32_e32 v3, v3, v14
	v_add_f32_e32 v14, v35, v36
	;;#ASMSTART
	v_cvt_f32_f16 v7, v7;
	;;#ASMEND
	v_add_f32_e32 v6, v6, v7
	v_add_f32_e32 v4, v4, v14
	;; [unrolled: 1-line block ×3, first 2 shown]
.LBB79_50:                              ;   in Loop: Header=BB79_51 Depth=1
	s_or_b64 exec, exec, s[10:11]
	v_add_co_u32_e32 v12, vcc, 8, v12
	v_add_u32_e32 v10, 2, v10
	v_addc_co_u32_e32 v13, vcc, 0, v13, vcc
	v_cmp_le_i32_e32 vcc, s24, v10
	v_add_u32_e32 v1, 16, v1
	s_or_b64 s[6:7], vcc, s[6:7]
	v_add_u32_e32 v11, 64, v11
	s_andn2_b64 exec, exec, s[6:7]
	s_cbranch_execz .LBB79_60
.LBB79_51:                              ; =>This Inner Loop Header: Depth=1
	v_sub_u32_e32 v7, 0, v1
	v_max_i32_e32 v7, v1, v7
	v_mul_hi_u32 v8, v7, s31
	v_mul_lo_u32 v9, v8, s16
	v_sub_u32_e32 v7, v7, v9
	v_add_u32_e32 v9, 1, v8
	v_cmp_le_u32_e32 vcc, s16, v7
	v_cndmask_b32_e32 v8, v8, v9, vcc
	v_subrev_u32_e32 v9, s16, v7
	v_cndmask_b32_e32 v7, v7, v9, vcc
	v_ashrrev_i32_e32 v6, 31, v1
	v_add_u32_e32 v9, 1, v8
	v_cmp_le_u32_e32 vcc, s16, v7
	v_xor_b32_e32 v6, s27, v6
	v_cndmask_b32_e32 v7, v8, v9, vcc
	v_xor_b32_e32 v7, v7, v6
	v_sub_u32_e32 v6, v7, v6
	v_add_u32_e32 v7, s46, v6
	v_sub_u32_e32 v9, 0, v7
	v_ashrrev_i32_e32 v8, 31, v7
	v_max_i32_e32 v7, v7, v9
	v_mul_hi_u32 v9, v7, v17
	v_mul_lo_u32 v9, v9, s14
	v_sub_u32_e32 v7, v7, v9
	v_subrev_u32_e32 v9, s14, v7
	v_cmp_le_u32_e32 vcc, s14, v7
	v_cndmask_b32_e32 v7, v7, v9, vcc
	v_subrev_u32_e32 v9, s14, v7
	v_cmp_le_u32_e32 vcc, s14, v7
	v_cndmask_b32_e32 v7, v7, v9, vcc
	v_xor_b32_e32 v7, v7, v8
	v_sub_u32_e32 v7, v7, v8
	v_cmp_eq_u32_e32 vcc, 0, v7
	v_cmp_lt_i32_e64 s[0:1], s3, v6
	s_or_b64 s[0:1], vcc, s[0:1]
	s_and_saveexec_b64 s[10:11], s[0:1]
	s_cbranch_execz .LBB79_50
; %bb.52:                               ;   in Loop: Header=BB79_51 Depth=1
	global_load_dword v14, v[12:13], off
	ds_read2_b64 v[6:9], v11 offset1:1
	ds_read2_b64 v[20:23], v11 offset0:2 offset1:3
	v_or_b32_e32 v24, 5, v1
	v_or_b32_e32 v26, 7, v1
	s_waitcnt lgkmcnt(1)
	;;#ASMSTART
	v_cvt_f16_f32 v27, v6;

	;;#ASMEND
	;;#ASMSTART
	v_cvt_f16_f32 v28, v7;

	;;#ASMEND
	;; [unrolled: 4-line block ×4, first 2 shown]
	s_waitcnt lgkmcnt(0)
	;;#ASMSTART
	v_cvt_f16_f32 v32, v20;

	;;#ASMEND
	;;#ASMSTART
	v_cvt_f16_f32 v33, v21;

	;;#ASMEND
	;; [unrolled: 4-line block ×4, first 2 shown]
	v_add_u32_e32 v20, 1, v1
	v_or_b32_e32 v22, 3, v1
	v_or_b32_e32 v21, 2, v1
	;; [unrolled: 1-line block ×4, first 2 shown]
	s_waitcnt vmcnt(0)
	v_mad_i64_i32 v[6:7], s[0:1], v14, s9, 0
	v_lshlrev_b64 v[6:7], 1, v[6:7]
	v_add_co_u32_e32 v14, vcc, v18, v6
	v_addc_co_u32_e32 v15, vcc, v19, v7, vcc
	global_load_dwordx4 v[6:9], v[14:15], off
	v_cmp_eq_u32_e32 vcc, s47, v10
	s_and_saveexec_b64 s[12:13], vcc
	s_cbranch_execz .LBB79_54
; %bb.53:                               ;   in Loop: Header=BB79_51 Depth=1
	s_waitcnt vmcnt(0)
	v_lshrrev_b32_e32 v30, 16, v9
	v_cmp_gt_i32_e64 s[0:1], s22, v26
	v_cndmask_b32_e64 v30, 0, v30, s[0:1]
	v_cmp_gt_i32_e64 s[0:1], s21, v25
	v_cndmask_b32_e64 v9, 0, v9, s[0:1]
	v_perm_b32 v9, v30, v9, s23
	v_lshrrev_b32_e32 v30, 16, v8
	v_cmp_gt_i32_e64 s[0:1], s20, v24
	v_cndmask_b32_e64 v30, 0, v30, s[0:1]
	v_cmp_gt_i32_e64 s[0:1], s19, v23
	v_cndmask_b32_e64 v8, 0, v8, s[0:1]
	v_perm_b32 v8, v30, v8, s23
	;; [unrolled: 6-line block ×4, first 2 shown]
.LBB79_54:                              ;   in Loop: Header=BB79_51 Depth=1
	s_or_b64 exec, exec, s[12:13]
	v_and_b32_e32 v27, 0xffff, v27
	v_lshl_or_b32 v30, v28, 16, v27
	v_and_b32_e32 v27, 0xffff, v29
	v_lshl_or_b32 v29, v31, 16, v27
	;; [unrolled: 2-line block ×3, first 2 shown]
	v_and_b32_e32 v27, 0xffff, v34
	s_waitcnt vmcnt(0)
	;;#ASMSTART
	v_pk_mul_f16 v6, v30, v6;

	;;#ASMEND
	v_lshl_or_b32 v27, v35, 16, v27
	;;#ASMSTART
	v_pk_mul_f16 v7, v29, v7;

	;;#ASMEND
	;;#ASMSTART
	v_pk_mul_f16 v8, v28, v8;

	;;#ASMEND
	;; [unrolled: 4-line block ×3, first 2 shown]
	;;#ASMSTART
	v_pk_add_f16 v6, v6, v7;

	;;#ASMEND
	;;#ASMSTART
	v_pk_add_f16 v6, v6, v8;

	;;#ASMEND
	;; [unrolled: 4-line block ×3, first 2 shown]
	v_lshrrev_b32_e32 v7, 16, v6
	v_and_b32_e32 v6, 0xffff, v6
	;;#ASMSTART
	v_cvt_f32_f16 v31, v6;
	;;#ASMEND
	;;#ASMSTART
	v_cvt_f32_f16 v32, v7;
	;;#ASMEND
	global_load_dwordx4 v[6:9], v[14:15], off offset:1024
	s_and_saveexec_b64 s[12:13], vcc
	s_cbranch_execz .LBB79_56
; %bb.55:                               ;   in Loop: Header=BB79_51 Depth=1
	s_waitcnt vmcnt(0)
	v_lshrrev_b32_e32 v33, 16, v9
	v_cmp_gt_i32_e64 s[0:1], s22, v26
	v_cndmask_b32_e64 v33, 0, v33, s[0:1]
	v_cmp_gt_i32_e64 s[0:1], s21, v25
	v_cndmask_b32_e64 v9, 0, v9, s[0:1]
	v_perm_b32 v9, v33, v9, s23
	v_lshrrev_b32_e32 v33, 16, v8
	v_cmp_gt_i32_e64 s[0:1], s20, v24
	v_cndmask_b32_e64 v33, 0, v33, s[0:1]
	v_cmp_gt_i32_e64 s[0:1], s19, v23
	v_cndmask_b32_e64 v8, 0, v8, s[0:1]
	v_perm_b32 v8, v33, v8, s23
	;; [unrolled: 6-line block ×4, first 2 shown]
.LBB79_56:                              ;   in Loop: Header=BB79_51 Depth=1
	s_or_b64 exec, exec, s[12:13]
	s_waitcnt vmcnt(0)
	;;#ASMSTART
	v_pk_mul_f16 v6, v30, v6;

	;;#ASMEND
	;;#ASMSTART
	v_pk_mul_f16 v7, v29, v7;

	;;#ASMEND
	;; [unrolled: 4-line block ×4, first 2 shown]
	;;#ASMSTART
	v_pk_add_f16 v6, v6, v7;

	;;#ASMEND
	;;#ASMSTART
	v_pk_add_f16 v6, v6, v8;

	;;#ASMEND
	;; [unrolled: 4-line block ×3, first 2 shown]
	v_lshrrev_b32_e32 v7, 16, v6
	v_and_b32_e32 v6, 0xffff, v6
	;;#ASMSTART
	v_cvt_f32_f16 v33, v6;
	;;#ASMEND
	;;#ASMSTART
	v_cvt_f32_f16 v34, v7;
	;;#ASMEND
	global_load_dwordx4 v[6:9], v[14:15], off offset:2048
	s_and_saveexec_b64 s[12:13], vcc
	s_cbranch_execz .LBB79_58
; %bb.57:                               ;   in Loop: Header=BB79_51 Depth=1
	s_waitcnt vmcnt(0)
	v_lshrrev_b32_e32 v35, 16, v9
	v_cmp_gt_i32_e64 s[0:1], s22, v26
	v_cndmask_b32_e64 v35, 0, v35, s[0:1]
	v_cmp_gt_i32_e64 s[0:1], s21, v25
	v_cndmask_b32_e64 v9, 0, v9, s[0:1]
	v_perm_b32 v9, v35, v9, s23
	v_lshrrev_b32_e32 v35, 16, v8
	v_cmp_gt_i32_e64 s[0:1], s20, v24
	v_cndmask_b32_e64 v35, 0, v35, s[0:1]
	v_cmp_gt_i32_e64 s[0:1], s19, v23
	v_cndmask_b32_e64 v8, 0, v8, s[0:1]
	v_perm_b32 v8, v35, v8, s23
	v_lshrrev_b32_e32 v35, 16, v7
	v_cmp_gt_i32_e64 s[0:1], s18, v22
	v_cndmask_b32_e64 v35, 0, v35, s[0:1]
	v_cmp_gt_i32_e64 s[0:1], s17, v21
	v_cndmask_b32_e64 v7, 0, v7, s[0:1]
	v_perm_b32 v7, v35, v7, s23
	v_lshrrev_b32_e32 v35, 16, v6
	v_cmp_gt_i32_e64 s[0:1], s15, v20
	v_cndmask_b32_e64 v35, 0, v35, s[0:1]
	v_cmp_gt_i32_e64 s[0:1], s37, v1
	v_cndmask_b32_e64 v6, 0, v6, s[0:1]
	v_perm_b32 v6, v35, v6, s23
.LBB79_58:                              ;   in Loop: Header=BB79_51 Depth=1
	s_or_b64 exec, exec, s[12:13]
	s_waitcnt vmcnt(0)
	;;#ASMSTART
	v_pk_mul_f16 v6, v30, v6;

	;;#ASMEND
	;;#ASMSTART
	v_pk_mul_f16 v7, v29, v7;

	;;#ASMEND
	;;#ASMSTART
	v_pk_mul_f16 v8, v28, v8;

	;;#ASMEND
	;;#ASMSTART
	v_pk_mul_f16 v9, v27, v9;

	;;#ASMEND
	;;#ASMSTART
	v_pk_add_f16 v6, v6, v7;

	;;#ASMEND
	;;#ASMSTART
	v_pk_add_f16 v6, v6, v8;

	;;#ASMEND
	;; [unrolled: 4-line block ×3, first 2 shown]
	v_lshrrev_b32_e32 v7, 16, v6
	v_and_b32_e32 v6, 0xffff, v6
	;;#ASMSTART
	v_cvt_f32_f16 v35, v6;
	;;#ASMEND
	;;#ASMSTART
	v_cvt_f32_f16 v36, v7;
	;;#ASMEND
	global_load_dwordx4 v[6:9], v[14:15], off offset:3072
	s_and_saveexec_b64 s[0:1], vcc
	s_cbranch_execz .LBB79_49
; %bb.59:                               ;   in Loop: Header=BB79_51 Depth=1
	s_waitcnt vmcnt(0)
	v_lshrrev_b32_e32 v14, 16, v9
	v_cmp_gt_i32_e32 vcc, s22, v26
	v_cndmask_b32_e32 v14, 0, v14, vcc
	v_cmp_gt_i32_e32 vcc, s21, v25
	v_cndmask_b32_e32 v9, 0, v9, vcc
	v_perm_b32 v9, v14, v9, s23
	v_lshrrev_b32_e32 v14, 16, v8
	v_cmp_gt_i32_e32 vcc, s20, v24
	v_cndmask_b32_e32 v14, 0, v14, vcc
	v_cmp_gt_i32_e32 vcc, s19, v23
	v_cndmask_b32_e32 v8, 0, v8, vcc
	v_perm_b32 v8, v14, v8, s23
	;; [unrolled: 6-line block ×4, first 2 shown]
	s_branch .LBB79_49
.LBB79_60:
	s_or_b64 exec, exec, s[6:7]
.LBB79_61:
	s_or_b64 exec, exec, s[4:5]
	v_and_b32_e32 v1, 0x3c0, v0
	v_cmp_eq_u32_e32 vcc, 64, v1
	s_barrier
	s_and_saveexec_b64 s[0:1], vcc
	s_cbranch_execz .LBB79_63
; %bb.62:
	v_lshlrev_b32_e32 v1, 2, v0
	v_mov_b32_e32 v7, 0x210
	v_or_b32_e32 v6, 0x300, v1
	v_lshl_add_u32 v7, v16, 2, v7
	v_add_u32_e32 v6, 0x210, v6
	v_add_u32_e32 v1, 0x210, v1
	ds_write_b32 v7, v2
	ds_write_b32 v1, v3
	ds_write_b32 v7, v4 offset:512
	ds_write_b32 v6, v5
.LBB79_63:
	s_or_b64 exec, exec, s[0:1]
	v_cmp_gt_u32_e32 vcc, 64, v0
	s_waitcnt lgkmcnt(0)
	s_barrier
	s_and_saveexec_b64 s[0:1], vcc
	s_cbranch_execz .LBB79_65
; %bb.64:
	v_mov_b32_e32 v1, 0x210
	v_lshl_add_u32 v1, v0, 2, v1
	ds_read2st64_b32 v[6:7], v1 offset0:2 offset1:3
	ds_read2st64_b32 v[8:9], v1 offset1:1
	s_waitcnt lgkmcnt(1)
	v_pk_add_f32 v[4:5], v[4:5], v[6:7]
	s_waitcnt lgkmcnt(0)
	v_pk_add_f32 v[2:3], v[2:3], v[8:9]
.LBB79_65:
	s_or_b64 exec, exec, s[0:1]
	s_barrier
	s_and_saveexec_b64 s[0:1], vcc
	s_cbranch_execz .LBB79_67
; %bb.66:
	s_lshl_b32 s0, s2, 8
	s_ashr_i32 s1, s0, 31
	s_lshl_b64 s[0:1], s[0:1], 1
	s_add_u32 s2, s28, s0
	s_mul_i32 s0, s33, s30
	s_addc_u32 s3, s29, s1
	s_ashr_i32 s1, s0, 31
	s_lshl_b64 s[0:1], s[0:1], 1
	s_add_u32 s2, s2, s0
	s_addc_u32 s3, s3, s1
	s_lshl_b32 s0, s8, 8
	s_ashr_i32 s1, s0, 31
	s_lshl_b64 s[0:1], s[0:1], 1
	s_add_u32 s0, s2, s0
	s_addc_u32 s1, s3, s1
	v_lshlrev_b32_e32 v0, 1, v0
	;;#ASMSTART
	v_cvt_f16_f32 v1, v2;

	;;#ASMEND
	global_store_short v0, v1, s[0:1]
	;;#ASMSTART
	v_cvt_f16_f32 v1, v3;

	;;#ASMEND
	global_store_short v0, v1, s[0:1] offset:128
	;;#ASMSTART
	v_cvt_f16_f32 v1, v4;

	;;#ASMEND
	global_store_short v0, v1, s[0:1] offset:256
	;; [unrolled: 5-line block ×3, first 2 shown]
.LBB79_67:
	s_endpgm
	.section	.rodata,"a",@progbits
	.p2align	6, 0x0
	.amdhsa_kernel _ZN4vllm25paged_attention_v2_kernelIttLi256ELi8ELi128ELNS_18Fp8KVCacheDataTypeE0ELb1ELi512EEEvPfS2_PT_PKS3_PKT0_S9_ifPKiSB_iPKfiiiSD_SD_iiiii
		.amdhsa_group_segment_fixed_size 528
		.amdhsa_private_segment_fixed_size 0
		.amdhsa_kernarg_size 400
		.amdhsa_user_sgpr_count 6
		.amdhsa_user_sgpr_private_segment_buffer 1
		.amdhsa_user_sgpr_dispatch_ptr 0
		.amdhsa_user_sgpr_queue_ptr 0
		.amdhsa_user_sgpr_kernarg_segment_ptr 1
		.amdhsa_user_sgpr_dispatch_id 0
		.amdhsa_user_sgpr_flat_scratch_init 0
		.amdhsa_user_sgpr_kernarg_preload_length 0
		.amdhsa_user_sgpr_kernarg_preload_offset 0
		.amdhsa_user_sgpr_private_segment_size 0
		.amdhsa_uses_dynamic_stack 0
		.amdhsa_system_sgpr_private_segment_wavefront_offset 0
		.amdhsa_system_sgpr_workgroup_id_x 1
		.amdhsa_system_sgpr_workgroup_id_y 1
		.amdhsa_system_sgpr_workgroup_id_z 1
		.amdhsa_system_sgpr_workgroup_info 0
		.amdhsa_system_vgpr_workitem_id 0
		.amdhsa_next_free_vgpr 82
		.amdhsa_next_free_sgpr 52
		.amdhsa_accum_offset 84
		.amdhsa_reserve_vcc 1
		.amdhsa_reserve_flat_scratch 0
		.amdhsa_float_round_mode_32 0
		.amdhsa_float_round_mode_16_64 0
		.amdhsa_float_denorm_mode_32 3
		.amdhsa_float_denorm_mode_16_64 3
		.amdhsa_dx10_clamp 1
		.amdhsa_ieee_mode 1
		.amdhsa_fp16_overflow 0
		.amdhsa_tg_split 0
		.amdhsa_exception_fp_ieee_invalid_op 0
		.amdhsa_exception_fp_denorm_src 0
		.amdhsa_exception_fp_ieee_div_zero 0
		.amdhsa_exception_fp_ieee_overflow 0
		.amdhsa_exception_fp_ieee_underflow 0
		.amdhsa_exception_fp_ieee_inexact 0
		.amdhsa_exception_int_div_zero 0
	.end_amdhsa_kernel
	.section	.text._ZN4vllm25paged_attention_v2_kernelIttLi256ELi8ELi128ELNS_18Fp8KVCacheDataTypeE0ELb1ELi512EEEvPfS2_PT_PKS3_PKT0_S9_ifPKiSB_iPKfiiiSD_SD_iiiii,"axG",@progbits,_ZN4vllm25paged_attention_v2_kernelIttLi256ELi8ELi128ELNS_18Fp8KVCacheDataTypeE0ELb1ELi512EEEvPfS2_PT_PKS3_PKT0_S9_ifPKiSB_iPKfiiiSD_SD_iiiii,comdat
.Lfunc_end79:
	.size	_ZN4vllm25paged_attention_v2_kernelIttLi256ELi8ELi128ELNS_18Fp8KVCacheDataTypeE0ELb1ELi512EEEvPfS2_PT_PKS3_PKT0_S9_ifPKiSB_iPKfiiiSD_SD_iiiii, .Lfunc_end79-_ZN4vllm25paged_attention_v2_kernelIttLi256ELi8ELi128ELNS_18Fp8KVCacheDataTypeE0ELb1ELi512EEEvPfS2_PT_PKS3_PKT0_S9_ifPKiSB_iPKfiiiSD_SD_iiiii
                                        ; -- End function
	.section	.AMDGPU.csdata,"",@progbits
; Kernel info:
; codeLenInByte = 6708
; NumSgprs: 56
; NumVgprs: 82
; NumAgprs: 0
; TotalNumVgprs: 82
; ScratchSize: 0
; MemoryBound: 0
; FloatMode: 240
; IeeeMode: 1
; LDSByteSize: 528 bytes/workgroup (compile time only)
; SGPRBlocks: 6
; VGPRBlocks: 10
; NumSGPRsForWavesPerEU: 56
; NumVGPRsForWavesPerEU: 82
; AccumOffset: 84
; Occupancy: 5
; WaveLimiterHint : 1
; COMPUTE_PGM_RSRC2:SCRATCH_EN: 0
; COMPUTE_PGM_RSRC2:USER_SGPR: 6
; COMPUTE_PGM_RSRC2:TRAP_HANDLER: 0
; COMPUTE_PGM_RSRC2:TGID_X_EN: 1
; COMPUTE_PGM_RSRC2:TGID_Y_EN: 1
; COMPUTE_PGM_RSRC2:TGID_Z_EN: 1
; COMPUTE_PGM_RSRC2:TIDIG_COMP_CNT: 0
; COMPUTE_PGM_RSRC3_GFX90A:ACCUM_OFFSET: 20
; COMPUTE_PGM_RSRC3_GFX90A:TG_SPLIT: 0
	.section	.text._ZN4vllm32paged_attention_v2_reduce_kernelItLi256ELi128ELi512EEEvPT_PKfS4_PKS1_PKii,"axG",@progbits,_ZN4vllm32paged_attention_v2_reduce_kernelItLi256ELi128ELi512EEEvPT_PKfS4_PKS1_PKii,comdat
	.protected	_ZN4vllm32paged_attention_v2_reduce_kernelItLi256ELi128ELi512EEEvPT_PKfS4_PKS1_PKii ; -- Begin function _ZN4vllm32paged_attention_v2_reduce_kernelItLi256ELi128ELi512EEEvPT_PKfS4_PKS1_PKii
	.globl	_ZN4vllm32paged_attention_v2_reduce_kernelItLi256ELi128ELi512EEEvPT_PKfS4_PKS1_PKii
	.p2align	8
	.type	_ZN4vllm32paged_attention_v2_reduce_kernelItLi256ELi128ELi512EEEvPT_PKfS4_PKS1_PKii,@function
_ZN4vllm32paged_attention_v2_reduce_kernelItLi256ELi128ELi512EEEvPT_PKfS4_PKS1_PKii: ; @_ZN4vllm32paged_attention_v2_reduce_kernelItLi256ELi128ELi512EEEvPT_PKfS4_PKS1_PKii
; %bb.0:
	s_load_dwordx4 s[8:11], s[4:5], 0x18
	s_add_u32 s12, s4, 48
	s_mov_b32 s14, s7
	s_addc_u32 s13, s5, 0
	s_ashr_i32 s15, s7, 31
	s_lshl_b64 s[0:1], s[14:15], 2
	s_waitcnt lgkmcnt(0)
	s_add_u32 s0, s10, s0
	s_addc_u32 s1, s11, s1
	s_load_dword s22, s[0:1], 0x0
	s_load_dwordx2 s[10:11], s[4:5], 0x0
	s_load_dword s7, s[4:5], 0x28
	s_load_dword s15, s[4:5], 0x30
	s_waitcnt lgkmcnt(0)
	s_add_i32 s0, s22, -1
	s_cmpk_gt_u32 s0, 0x1ff
	s_mov_b64 s[0:1], -1
	s_cbranch_scc0 .LBB80_24
; %bb.1:
	s_add_i32 s0, s22, 0x1ff
	s_load_dwordx2 s[20:21], s[4:5], 0x8
	s_ashr_i32 s1, s0, 31
	s_lshr_b32 s1, s1, 23
	s_add_i32 s0, s0, s1
	s_mul_i32 s24, s15, s14
	s_ashr_i32 s23, s0, 9
	s_mul_i32 s16, s24, s7
	s_mul_i32 s18, s6, s7
	s_ashr_i32 s17, s16, 31
	s_ashr_i32 s19, s18, 31
	v_cmp_gt_i32_e32 vcc, s23, v0
	v_mov_b32_e32 v4, 0xff7fffff
	s_and_saveexec_b64 s[2:3], vcc
	s_cbranch_execz .LBB80_5
; %bb.2:
	s_load_dword s25, s[12:13], 0xc
	s_load_dwordx2 s[0:1], s[4:5], 0x10
	s_lshl_b64 s[4:5], s[16:17], 2
	s_lshl_b64 s[26:27], s[18:19], 2
	v_lshlrev_b32_e32 v1, 2, v0
	s_waitcnt lgkmcnt(0)
	s_and_b32 s25, s25, 0xffff
	s_add_u32 s4, s4, s26
	s_addc_u32 s5, s5, s27
	s_add_u32 s0, s0, s4
	s_addc_u32 s1, s1, s5
	s_mov_b32 s28, 0
	v_mov_b32_e32 v3, s1
	v_add_co_u32_e64 v2, s[0:1], s0, v1
	v_addc_co_u32_e64 v3, s[0:1], 0, v3, s[0:1]
	s_lshl_b32 s26, s25, 2
	v_add_u32_e32 v1, 16, v1
	s_mov_b64 s[4:5], 0
	v_mov_b32_e32 v4, 0xff7fffff
	v_mov_b32_e32 v5, s28
	;; [unrolled: 1-line block ×3, first 2 shown]
.LBB80_3:                               ; =>This Inner Loop Header: Depth=1
	global_load_dword v7, v[2:3], off
	v_add_co_u32_e64 v2, s[0:1], s26, v2
	v_add_u32_e32 v6, s25, v6
	v_addc_co_u32_e64 v3, s[0:1], v3, v5, s[0:1]
	v_max_f32_e32 v4, v4, v4
	v_cmp_le_i32_e64 s[0:1], s23, v6
	s_or_b64 s[4:5], s[0:1], s[4:5]
	s_waitcnt vmcnt(0)
	ds_write_b32 v1, v7
	v_max_f32_e32 v7, v7, v7
	v_add_u32_e32 v1, s26, v1
	v_max_f32_e32 v4, v4, v7
	s_andn2_b64 exec, exec, s[4:5]
	s_cbranch_execnz .LBB80_3
; %bb.4:
	s_or_b64 exec, exec, s[4:5]
.LBB80_5:
	s_or_b64 exec, exec, s[2:3]
	v_mbcnt_lo_u32_b32 v1, -1, 0
	v_mbcnt_hi_u32_b32 v2, -1, v1
	v_and_b32_e32 v1, 64, v2
	v_add_u32_e32 v5, 64, v1
	v_xor_b32_e32 v1, 32, v2
	v_cmp_lt_i32_e64 s[0:1], v1, v5
	v_cndmask_b32_e64 v1, v2, v1, s[0:1]
	v_lshlrev_b32_e32 v1, 2, v1
	ds_bpermute_b32 v3, v1, v4
	v_xor_b32_e32 v6, 16, v2
	v_max_f32_e32 v4, v4, v4
	v_cmp_lt_i32_e64 s[0:1], v6, v5
	v_xor_b32_e32 v7, 8, v2
	s_waitcnt lgkmcnt(0)
	v_max_f32_e32 v3, v3, v3
	v_max_f32_e32 v3, v4, v3
	v_cndmask_b32_e64 v4, v2, v6, s[0:1]
	v_lshlrev_b32_e32 v6, 2, v4
	ds_bpermute_b32 v4, v6, v3
	v_cmp_lt_i32_e64 s[0:1], v7, v5
	v_xor_b32_e32 v8, 4, v2
	s_waitcnt lgkmcnt(0)
	s_barrier
	v_max_f32_e32 v4, v4, v4
	v_max_f32_e32 v3, v3, v4
	v_cndmask_b32_e64 v4, v2, v7, s[0:1]
	v_lshlrev_b32_e32 v7, 2, v4
	ds_bpermute_b32 v4, v7, v3
	v_cmp_lt_i32_e64 s[0:1], v8, v5
	s_waitcnt lgkmcnt(0)
	v_max_f32_e32 v4, v4, v4
	v_max_f32_e32 v3, v3, v4
	v_cndmask_b32_e64 v4, v2, v8, s[0:1]
	v_lshlrev_b32_e32 v9, 2, v4
	ds_bpermute_b32 v4, v9, v3
	v_xor_b32_e32 v8, 2, v2
	v_cmp_lt_i32_e64 s[0:1], v8, v5
	s_waitcnt lgkmcnt(0)
	v_max_f32_e32 v4, v4, v4
	v_max_f32_e32 v3, v3, v4
	v_cndmask_b32_e64 v4, v2, v8, s[0:1]
	v_lshlrev_b32_e32 v10, 2, v4
	ds_bpermute_b32 v11, v10, v3
	v_and_b32_e32 v4, 63, v0
	v_lshrrev_b32_e32 v8, 6, v0
	s_waitcnt lgkmcnt(0)
	v_max_f32_e32 v11, v11, v11
	v_max_f32_e32 v3, v3, v11
	v_xor_b32_e32 v11, 1, v2
	v_cmp_lt_i32_e64 s[0:1], v11, v5
	v_cndmask_b32_e64 v5, v2, v11, s[0:1]
	v_lshlrev_b32_e32 v5, 2, v5
	ds_bpermute_b32 v11, v5, v3
	v_cmp_eq_u32_e64 s[0:1], 0, v4
	s_and_saveexec_b64 s[2:3], s[0:1]
	s_cbranch_execz .LBB80_7
; %bb.6:
	s_waitcnt lgkmcnt(0)
	v_max_f32_e32 v11, v11, v11
	v_max_f32_e32 v3, v3, v3
	;; [unrolled: 1-line block ×3, first 2 shown]
	v_lshlrev_b32_e32 v11, 2, v8
	ds_write_b32 v11, v3
.LBB80_7:
	s_or_b64 exec, exec, s[2:3]
	v_cmp_gt_u32_e64 s[2:3], 2, v4
	v_mov_b32_e32 v3, 0xff7fffff
	s_waitcnt lgkmcnt(0)
	s_barrier
	s_and_saveexec_b64 s[4:5], s[2:3]
	s_cbranch_execz .LBB80_9
; %bb.8:
	v_lshlrev_b32_e32 v3, 2, v4
	ds_read_b32 v3, v3
.LBB80_9:
	s_or_b64 exec, exec, s[4:5]
	s_waitcnt lgkmcnt(0)
	ds_bpermute_b32 v11, v5, v3
	v_max_f32_e32 v3, v3, v3
	v_lshlrev_b32_e32 v2, 2, v2
	s_lshl_b32 s25, s23, 2
	v_mov_b32_e32 v13, 0
	s_waitcnt lgkmcnt(0)
	v_max_f32_e32 v11, v11, v11
	v_max_f32_e32 v3, v3, v11
	v_and_b32_e32 v11, 0x100, v2
	ds_bpermute_b32 v12, v11, v3
	s_and_saveexec_b64 s[4:5], vcc
	s_cbranch_execz .LBB80_13
; %bb.10:
	s_load_dword s30, s[12:13], 0xc
	s_lshl_b64 s[26:27], s[16:17], 2
	s_lshl_b64 s[28:29], s[18:19], 2
	v_lshlrev_b32_e32 v13, 2, v0
	s_mov_b32 s31, 0
	s_waitcnt lgkmcnt(0)
	s_and_b32 s17, s30, 0xffff
	s_add_u32 s19, s26, s28
	s_addc_u32 s26, s27, s29
	s_add_u32 s19, s20, s19
	s_addc_u32 s20, s21, s26
	v_mov_b32_e32 v3, s20
	v_add_co_u32_e32 v2, vcc, s19, v13
	v_addc_co_u32_e32 v3, vcc, 0, v3, vcc
	s_lshl_b32 s19, s17, 2
	v_add_u32_e32 v14, 16, v13
	s_mov_b64 s[20:21], 0
	v_mov_b32_e32 v13, 0
	s_mov_b32 s26, 0x3fb8aa3b
	s_mov_b32 s27, 0xc2ce8ed0
	s_mov_b32 s28, 0x42b17218
	v_mov_b32_e32 v15, 0x7f800000
	v_mov_b32_e32 v16, s31
	;; [unrolled: 1-line block ×3, first 2 shown]
.LBB80_11:                              ; =>This Inner Loop Header: Depth=1
	global_load_dword v18, v[2:3], off
	ds_read_b32 v19, v14
	v_add_co_u32_e32 v2, vcc, s19, v2
	v_add_u32_e32 v17, s17, v17
	v_addc_co_u32_e32 v3, vcc, v3, v16, vcc
	s_waitcnt lgkmcnt(0)
	v_sub_f32_e32 v19, v19, v12
	v_mul_f32_e32 v21, 0x3fb8aa3b, v19
	v_fma_f32 v22, v19, s26, -v21
	v_rndne_f32_e32 v23, v21
	v_fmac_f32_e32 v22, 0x32a5705f, v19
	v_sub_f32_e32 v21, v21, v23
	v_add_f32_e32 v21, v21, v22
	v_cvt_i32_f32_e32 v23, v23
	v_exp_f32_e32 v21, v21
	v_cmp_le_i32_e32 vcc, s23, v17
	s_or_b64 s[20:21], vcc, s[20:21]
	v_cmp_ngt_f32_e32 vcc, s27, v19
	v_ldexp_f32 v21, v21, v23
	v_cndmask_b32_e32 v21, 0, v21, vcc
	v_cmp_nlt_f32_e32 vcc, s28, v19
	v_cndmask_b32_e32 v19, v15, v21, vcc
	v_add_u32_e32 v20, s25, v14
	v_add_u32_e32 v14, s19, v14
	s_waitcnt vmcnt(0)
	v_mul_f32_e32 v21, v18, v19
	v_fmac_f32_e32 v13, v18, v19
	ds_write_b32 v20, v21
	s_andn2_b64 exec, exec, s[20:21]
	s_cbranch_execnz .LBB80_11
; %bb.12:
	s_or_b64 exec, exec, s[20:21]
.LBB80_13:
	s_or_b64 exec, exec, s[4:5]
	ds_bpermute_b32 v1, v1, v13
	s_waitcnt lgkmcnt(0)
	s_barrier
	v_add_f32_e32 v1, v13, v1
	ds_bpermute_b32 v2, v6, v1
	s_waitcnt lgkmcnt(0)
	v_add_f32_e32 v1, v1, v2
	ds_bpermute_b32 v2, v7, v1
	s_waitcnt lgkmcnt(0)
	;; [unrolled: 3-line block ×5, first 2 shown]
	v_add_f32_e32 v1, v1, v2
	s_and_saveexec_b64 s[4:5], s[0:1]
	s_cbranch_execz .LBB80_15
; %bb.14:
	v_lshlrev_b32_e32 v2, 2, v8
	ds_write_b32 v2, v1 offset:8
.LBB80_15:
	s_or_b64 exec, exec, s[4:5]
	s_waitcnt lgkmcnt(0)
	s_barrier
	s_and_saveexec_b64 s[0:1], s[2:3]
	s_cbranch_execz .LBB80_17
; %bb.16:
	v_lshlrev_b32_e32 v1, 2, v4
	ds_read_b32 v1, v1 offset:8
.LBB80_17:
	s_or_b64 exec, exec, s[0:1]
	s_waitcnt lgkmcnt(0)
	ds_bpermute_b32 v2, v5, v1
	s_movk_i32 s0, 0x100
	v_cmp_gt_u32_e32 vcc, s0, v0
	s_waitcnt lgkmcnt(0)
	v_add_f32_e32 v1, v1, v2
	ds_bpermute_b32 v1, v11, v1
	s_and_saveexec_b64 s[2:3], vcc
	s_cbranch_execz .LBB80_23
; %bb.18:
	s_waitcnt lgkmcnt(0)
	v_add_f32_e32 v1, 0x358637bd, v1
	v_div_scale_f32 v2, s[0:1], v1, v1, 1.0
	s_lshl_b32 s0, s16, 8
	s_lshl_b32 s16, s24, 8
	;; [unrolled: 1-line block ×3, first 2 shown]
	s_ashr_i32 s17, s16, 31
	s_ashr_i32 s1, s0, 31
	;; [unrolled: 1-line block ×3, first 2 shown]
	s_lshl_b64 s[16:17], s[16:17], 1
	v_rcp_f32_e32 v3, v2
	s_add_u32 s18, s10, s16
	s_addc_u32 s19, s11, s17
	s_lshl_b32 s16, s6, 8
	s_ashr_i32 s17, s16, 31
	s_lshl_b64 s[16:17], s[16:17], 1
	v_fma_f32 v5, -v2, v3, 1.0
	s_add_u32 s16, s18, s16
	v_div_scale_f32 v4, vcc, 1.0, v1, 1.0
	v_fmac_f32_e32 v3, v5, v3
	s_addc_u32 s19, s19, s17
	s_add_i32 s17, s25, 16
	v_mul_f32_e32 v5, v4, v3
	s_cmp_gt_i32 s22, 0
	v_fma_f32 v6, -v2, v5, v4
	s_cselect_b64 s[20:21], -1, 0
	s_max_i32 s18, s23, 1
	s_lshl_b64 s[0:1], s[0:1], 1
	s_lshl_b64 s[4:5], s[4:5], 1
	v_fmac_f32_e32 v5, v6, v3
	s_add_u32 s0, s0, s4
	v_fma_f32 v2, -v2, v5, v4
	s_addc_u32 s1, s1, s5
	v_div_fmas_f32 v2, v2, v3, v5
	s_add_u32 s0, s8, s0
	v_div_fixup_f32 v1, v2, v1, 1.0
	v_lshlrev_b32_e32 v2, 1, v0
	s_addc_u32 s1, s9, s1
	v_mov_b32_e32 v5, s1
	v_add_co_u32_e32 v4, vcc, s0, v2
	v_cndmask_b32_e64 v2, 0, 1, s[20:21]
	v_mov_b32_e32 v3, 0
	v_addc_co_u32_e32 v5, vcc, 0, v5, vcc
	s_mov_b64 s[4:5], 0
	v_cmp_ne_u32_e64 s[0:1], 1, v2
	v_mov_b32_e32 v8, s19
	s_movk_i32 s19, 0x7f
	v_mov_b32_e32 v2, v0
	s_branch .LBB80_20
.LBB80_19:                              ;   in Loop: Header=BB80_20 Depth=1
	v_lshlrev_b64 v[6:7], 1, v[2:3]
	v_add_co_u32_e32 v6, vcc, s16, v6
	v_addc_co_u32_e32 v7, vcc, v8, v7, vcc
	v_add_co_u32_e32 v4, vcc, 0x100, v4
	v_addc_co_u32_e32 v5, vcc, 0, v5, vcc
	;;#ASMSTART
	v_cvt_f16_f32 v9, v9;

	;;#ASMEND
	global_store_short v[6:7], v9, off
	v_add_u32_e32 v6, 0x80, v2
	v_cmp_lt_u32_e32 vcc, s19, v2
	s_or_b64 s[4:5], vcc, s[4:5]
	v_mov_b32_e32 v2, v6
	s_andn2_b64 exec, exec, s[4:5]
	s_cbranch_execz .LBB80_23
.LBB80_20:                              ; =>This Loop Header: Depth=1
                                        ;     Child Loop BB80_22 Depth 2
	s_and_b64 vcc, exec, s[0:1]
	v_mov_b32_e32 v9, 0
	s_cbranch_vccnz .LBB80_19
; %bb.21:                               ;   in Loop: Header=BB80_20 Depth=1
	v_mov_b32_e32 v9, 0
	s_mov_b32 s20, s17
	v_pk_mov_b32 v[6:7], v[4:5], v[4:5] op_sel:[0,1]
	s_mov_b32 s21, s18
.LBB80_22:                              ;   Parent Loop BB80_20 Depth=1
                                        ; =>  This Inner Loop Header: Depth=2
	global_load_ushort v10, v[6:7], off
	v_mov_b32_e32 v11, s20
	s_waitcnt vmcnt(0)
	;;#ASMSTART
	v_cvt_f32_f16 v10, v10;
	;;#ASMEND
	ds_read_b32 v11, v11
	s_add_i32 s21, s21, -1
	v_add_co_u32_e32 v6, vcc, 0x200, v6
	s_add_i32 s20, s20, 4
	s_waitcnt lgkmcnt(0)
	v_mul_f32_e32 v10, v10, v11
	v_addc_co_u32_e32 v7, vcc, 0, v7, vcc
	s_cmp_eq_u32 s21, 0
	v_fmac_f32_e32 v9, v1, v10
	s_cbranch_scc0 .LBB80_22
	s_branch .LBB80_19
.LBB80_23:
	s_or_b64 exec, exec, s[2:3]
	s_mov_b64 s[0:1], 0
.LBB80_24:
	s_and_b64 vcc, exec, s[0:1]
	s_cbranch_vccz .LBB80_33
; %bb.25:
	s_movk_i32 s0, 0x100
	v_cmp_gt_u32_e32 vcc, s0, v0
	s_and_saveexec_b64 s[2:3], vcc
	s_cbranch_execz .LBB80_33
; %bb.26:
	s_mul_i32 s15, s15, s14
	s_lshl_b32 s2, s15, 8
	s_ashr_i32 s3, s2, 31
	s_lshl_b64 s[2:3], s[2:3], 1
	s_add_u32 s1, s10, s2
	s_addc_u32 s5, s11, s3
	s_lshl_b32 s2, s6, 8
	s_ashr_i32 s3, s2, 31
	s_lshl_b64 s[2:3], s[2:3], 1
	s_add_u32 s4, s1, s2
	s_mul_i32 s1, s7, s15
	s_addc_u32 s10, s5, s3
	s_lshl_b32 s2, s1, 8
	s_ashr_i32 s3, s2, 31
	s_lshl_b64 s[2:3], s[2:3], 1
	s_add_u32 s1, s8, s2
	s_mul_i32 s6, s6, s7
	s_addc_u32 s8, s9, s3
	s_lshl_b32 s2, s6, 8
	s_load_dword s6, s[12:13], 0xc
	s_ashr_i32 s3, s2, 31
	s_lshl_b64 s[2:3], s[2:3], 1
	s_add_u32 s5, s1, s2
	s_addc_u32 s7, s8, s3
	s_waitcnt lgkmcnt(0)
	s_and_b32 s6, s6, 0xffff
	v_cvt_f32_u32_e32 v1, s6
	v_add_u32_e32 v2, s6, v0
	v_mov_b32_e32 v4, s6
	v_cmp_gt_u32_e32 vcc, s0, v2
	v_rcp_iflag_f32_e32 v1, v1
	s_cmp_eq_u32 s6, 1
	v_max_u32_e32 v3, 0x100, v2
	v_addc_co_u32_e64 v2, s[0:1], v0, v4, vcc
	v_mul_f32_e32 v1, 0x4f7ffffe, v1
	v_cvt_u32_f32_e32 v1, v1
	s_cselect_b64 s[2:3], -1, 0
	s_sub_i32 s0, 0, s6
	v_sub_u32_e32 v2, v3, v2
	v_mul_lo_u32 v3, s0, v1
	v_mul_hi_u32 v3, v1, v3
	v_add_u32_e32 v1, v1, v3
	v_mul_hi_u32 v1, v2, v1
	v_mul_lo_u32 v3, v1, s6
	v_sub_u32_e32 v2, v2, v3
	v_add_u32_e32 v3, 1, v1
	v_cmp_le_u32_e64 s[0:1], s6, v2
	v_cndmask_b32_e64 v1, v1, v3, s[0:1]
	v_subrev_u32_e32 v3, s6, v2
	v_cndmask_b32_e64 v2, v2, v3, s[0:1]
	v_add_u32_e32 v3, 1, v1
	v_cmp_le_u32_e64 s[0:1], s6, v2
	v_cndmask_b32_e64 v1, v1, v3, s[0:1]
	v_addc_co_u32_e32 v1, vcc, 1, v1, vcc
	v_cmp_lt_u32_e32 vcc, 7, v1
	s_and_b64 s[8:9], vcc, s[2:3]
	s_mov_b64 s[2:3], -1
	s_and_saveexec_b64 s[0:1], s[8:9]
	s_cbranch_execz .LBB80_30
; %bb.27:
	v_and_b32_e32 v4, -8, v1
	s_mov_b64 s[2:3], 0
	v_mov_b32_e32 v3, 0
	v_mov_b32_e32 v5, s7
	;; [unrolled: 1-line block ×5, first 2 shown]
.LBB80_28:                              ; =>This Inner Loop Header: Depth=1
	v_lshlrev_b64 v[12:13], 1, v[2:3]
	v_add_co_u32_e32 v8, vcc, s5, v12
	v_addc_co_u32_e32 v9, vcc, v5, v13, vcc
	global_load_dwordx4 v[8:11], v[8:9], off
	v_add_co_u32_e32 v12, vcc, s4, v12
	v_add_u32_e32 v7, -8, v7
	v_addc_co_u32_e32 v13, vcc, v6, v13, vcc
	v_cmp_eq_u32_e32 vcc, 0, v7
	v_add_u32_e32 v2, 8, v2
	s_or_b64 s[2:3], vcc, s[2:3]
	s_waitcnt vmcnt(0)
	global_store_dwordx4 v[12:13], v[8:11], off
	s_andn2_b64 exec, exec, s[2:3]
	s_cbranch_execnz .LBB80_28
; %bb.29:
	s_or_b64 exec, exec, s[2:3]
	v_cmp_ne_u32_e32 vcc, v1, v4
	v_add_u32_e32 v0, v0, v4
	s_orn2_b64 s[2:3], vcc, exec
.LBB80_30:
	s_or_b64 exec, exec, s[0:1]
	s_and_b64 exec, exec, s[2:3]
	s_cbranch_execz .LBB80_33
; %bb.31:
	s_mov_b32 s3, 0
	v_mov_b32_e32 v1, 0
	v_lshlrev_b64 v[2:3], 1, v[0:1]
	s_lshl_b32 s2, s6, 1
	s_mov_b64 s[0:1], 0
	v_mov_b32_e32 v1, s7
	v_mov_b32_e32 v4, s10
	;; [unrolled: 1-line block ×3, first 2 shown]
	s_movk_i32 s3, 0xff
.LBB80_32:                              ; =>This Inner Loop Header: Depth=1
	v_add_co_u32_e32 v6, vcc, s5, v2
	v_addc_co_u32_e32 v7, vcc, v1, v3, vcc
	global_load_ushort v8, v[6:7], off
	v_add_co_u32_e32 v6, vcc, s4, v2
	v_addc_co_u32_e32 v7, vcc, v4, v3, vcc
	v_add_co_u32_e32 v2, vcc, s2, v2
	v_add_u32_e32 v0, s6, v0
	v_addc_co_u32_e32 v3, vcc, v3, v5, vcc
	v_cmp_lt_u32_e32 vcc, s3, v0
	s_or_b64 s[0:1], vcc, s[0:1]
	s_waitcnt vmcnt(0)
	global_store_short v[6:7], v8, off
	s_andn2_b64 exec, exec, s[0:1]
	s_cbranch_execnz .LBB80_32
.LBB80_33:
	s_endpgm
	.section	.rodata,"a",@progbits
	.p2align	6, 0x0
	.amdhsa_kernel _ZN4vllm32paged_attention_v2_reduce_kernelItLi256ELi128ELi512EEEvPT_PKfS4_PKS1_PKii
		.amdhsa_group_segment_fixed_size 16
		.amdhsa_private_segment_fixed_size 0
		.amdhsa_kernarg_size 304
		.amdhsa_user_sgpr_count 6
		.amdhsa_user_sgpr_private_segment_buffer 1
		.amdhsa_user_sgpr_dispatch_ptr 0
		.amdhsa_user_sgpr_queue_ptr 0
		.amdhsa_user_sgpr_kernarg_segment_ptr 1
		.amdhsa_user_sgpr_dispatch_id 0
		.amdhsa_user_sgpr_flat_scratch_init 0
		.amdhsa_user_sgpr_kernarg_preload_length 0
		.amdhsa_user_sgpr_kernarg_preload_offset 0
		.amdhsa_user_sgpr_private_segment_size 0
		.amdhsa_uses_dynamic_stack 0
		.amdhsa_system_sgpr_private_segment_wavefront_offset 0
		.amdhsa_system_sgpr_workgroup_id_x 1
		.amdhsa_system_sgpr_workgroup_id_y 1
		.amdhsa_system_sgpr_workgroup_id_z 0
		.amdhsa_system_sgpr_workgroup_info 0
		.amdhsa_system_vgpr_workitem_id 0
		.amdhsa_next_free_vgpr 24
		.amdhsa_next_free_sgpr 32
		.amdhsa_accum_offset 24
		.amdhsa_reserve_vcc 1
		.amdhsa_reserve_flat_scratch 0
		.amdhsa_float_round_mode_32 0
		.amdhsa_float_round_mode_16_64 0
		.amdhsa_float_denorm_mode_32 3
		.amdhsa_float_denorm_mode_16_64 3
		.amdhsa_dx10_clamp 1
		.amdhsa_ieee_mode 1
		.amdhsa_fp16_overflow 0
		.amdhsa_tg_split 0
		.amdhsa_exception_fp_ieee_invalid_op 0
		.amdhsa_exception_fp_denorm_src 0
		.amdhsa_exception_fp_ieee_div_zero 0
		.amdhsa_exception_fp_ieee_overflow 0
		.amdhsa_exception_fp_ieee_underflow 0
		.amdhsa_exception_fp_ieee_inexact 0
		.amdhsa_exception_int_div_zero 0
	.end_amdhsa_kernel
	.section	.text._ZN4vllm32paged_attention_v2_reduce_kernelItLi256ELi128ELi512EEEvPT_PKfS4_PKS1_PKii,"axG",@progbits,_ZN4vllm32paged_attention_v2_reduce_kernelItLi256ELi128ELi512EEEvPT_PKfS4_PKS1_PKii,comdat
.Lfunc_end80:
	.size	_ZN4vllm32paged_attention_v2_reduce_kernelItLi256ELi128ELi512EEEvPT_PKfS4_PKS1_PKii, .Lfunc_end80-_ZN4vllm32paged_attention_v2_reduce_kernelItLi256ELi128ELi512EEEvPT_PKfS4_PKS1_PKii
                                        ; -- End function
	.section	.AMDGPU.csdata,"",@progbits
; Kernel info:
; codeLenInByte = 2256
; NumSgprs: 36
; NumVgprs: 24
; NumAgprs: 0
; TotalNumVgprs: 24
; ScratchSize: 0
; MemoryBound: 0
; FloatMode: 240
; IeeeMode: 1
; LDSByteSize: 16 bytes/workgroup (compile time only)
; SGPRBlocks: 4
; VGPRBlocks: 2
; NumSGPRsForWavesPerEU: 36
; NumVGPRsForWavesPerEU: 24
; AccumOffset: 24
; Occupancy: 8
; WaveLimiterHint : 0
; COMPUTE_PGM_RSRC2:SCRATCH_EN: 0
; COMPUTE_PGM_RSRC2:USER_SGPR: 6
; COMPUTE_PGM_RSRC2:TRAP_HANDLER: 0
; COMPUTE_PGM_RSRC2:TGID_X_EN: 1
; COMPUTE_PGM_RSRC2:TGID_Y_EN: 1
; COMPUTE_PGM_RSRC2:TGID_Z_EN: 0
; COMPUTE_PGM_RSRC2:TIDIG_COMP_CNT: 0
; COMPUTE_PGM_RSRC3_GFX90A:ACCUM_OFFSET: 5
; COMPUTE_PGM_RSRC3_GFX90A:TG_SPLIT: 0
	.section	.text._ZN4vllm25paged_attention_v2_kernelIttLi32ELi8ELi128ELNS_18Fp8KVCacheDataTypeE0ELb0ELi512EEEvPfS2_PT_PKS3_PKT0_S9_ifPKiSB_iPKfiiiSD_SD_iiiii,"axG",@progbits,_ZN4vllm25paged_attention_v2_kernelIttLi32ELi8ELi128ELNS_18Fp8KVCacheDataTypeE0ELb0ELi512EEEvPfS2_PT_PKS3_PKT0_S9_ifPKiSB_iPKfiiiSD_SD_iiiii,comdat
	.protected	_ZN4vllm25paged_attention_v2_kernelIttLi32ELi8ELi128ELNS_18Fp8KVCacheDataTypeE0ELb0ELi512EEEvPfS2_PT_PKS3_PKT0_S9_ifPKiSB_iPKfiiiSD_SD_iiiii ; -- Begin function _ZN4vllm25paged_attention_v2_kernelIttLi32ELi8ELi128ELNS_18Fp8KVCacheDataTypeE0ELb0ELi512EEEvPfS2_PT_PKS3_PKT0_S9_ifPKiSB_iPKfiiiSD_SD_iiiii
	.globl	_ZN4vllm25paged_attention_v2_kernelIttLi32ELi8ELi128ELNS_18Fp8KVCacheDataTypeE0ELb0ELi512EEEvPfS2_PT_PKS3_PKT0_S9_ifPKiSB_iPKfiiiSD_SD_iiiii
	.p2align	8
	.type	_ZN4vllm25paged_attention_v2_kernelIttLi32ELi8ELi128ELNS_18Fp8KVCacheDataTypeE0ELb0ELi512EEEvPfS2_PT_PKS3_PKT0_S9_ifPKiSB_iPKfiiiSD_SD_iiiii,@function
_ZN4vllm25paged_attention_v2_kernelIttLi32ELi8ELi128ELNS_18Fp8KVCacheDataTypeE0ELb0ELi512EEEvPfS2_PT_PKS3_PKT0_S9_ifPKiSB_iPKfiiiSD_SD_iiiii: ; @_ZN4vllm25paged_attention_v2_kernelIttLi32ELi8ELi128ELNS_18Fp8KVCacheDataTypeE0ELb0ELi512EEEvPfS2_PT_PKS3_PKT0_S9_ifPKiSB_iPKfiiiSD_SD_iiiii
; %bb.0:
	s_load_dwordx2 s[0:1], s[4:5], 0x40
	s_mov_b32 s24, s7
	s_ashr_i32 s25, s7, 31
	s_lshl_b64 s[2:3], s[24:25], 2
	s_waitcnt lgkmcnt(0)
	s_add_u32 s0, s0, s2
	s_addc_u32 s1, s1, s3
	s_load_dword s25, s[0:1], 0x0
	s_lshl_b32 s40, s8, 9
	s_waitcnt lgkmcnt(0)
	s_cmp_ge_i32 s40, s25
	s_cbranch_scc1 .LBB81_54
; %bb.1:
	s_load_dword s9, s[4:5], 0x90
	s_load_dwordx2 s[10:11], s[4:5], 0x30
	s_mov_b32 s41, 0
	s_waitcnt lgkmcnt(0)
	s_abs_i32 s2, s9
	s_abs_i32 s0, s10
	v_cvt_f32_u32_e32 v1, s0
	s_sub_i32 s3, 0, s0
	s_xor_b32 s1, s9, s10
	s_ashr_i32 s1, s1, 31
	v_rcp_iflag_f32_e32 v1, v1
	v_mul_f32_e32 v1, 0x4f7ffffe, v1
	v_cvt_u32_f32_e32 v1, v1
	v_readfirstlane_b32 s7, v1
	s_mul_i32 s3, s3, s7
	s_mul_hi_u32 s3, s7, s3
	s_add_i32 s7, s7, s3
	s_mul_hi_u32 s3, s2, s7
	s_mul_i32 s7, s3, s0
	s_sub_i32 s2, s2, s7
	s_add_i32 s10, s3, 1
	s_sub_i32 s7, s2, s0
	s_cmp_ge_u32 s2, s0
	s_cselect_b32 s3, s10, s3
	s_cselect_b32 s2, s7, s2
	s_add_i32 s7, s3, 1
	s_cmp_ge_u32 s2, s0
	s_cselect_b32 s0, s7, s3
	s_xor_b32 s0, s0, s1
	s_sub_i32 s10, s0, s1
	s_abs_i32 s2, s10
	v_cvt_f32_u32_e32 v1, s2
	s_load_dwordx2 s[0:1], s[4:5], 0x50
	s_sub_i32 s7, 0, s2
	s_abs_i32 s3, s6
	v_rcp_iflag_f32_e32 v1, v1
	v_mul_f32_e32 v1, 0x4f7ffffe, v1
	v_cvt_u32_f32_e32 v1, v1
	v_readfirstlane_b32 s12, v1
	s_mul_i32 s7, s7, s12
	s_mul_hi_u32 s7, s12, s7
	s_add_i32 s12, s12, s7
	s_waitcnt lgkmcnt(0)
	s_cmp_eq_u64 s[0:1], 0
	s_mul_hi_u32 s16, s3, s12
	s_cbranch_scc1 .LBB81_3
; %bb.2:
	s_ashr_i32 s7, s6, 31
	s_lshl_b64 s[12:13], s[6:7], 2
	s_add_u32 s0, s0, s12
	s_addc_u32 s1, s1, s13
	s_load_dword s41, s[0:1], 0x0
.LBB81_3:
	s_load_dwordx4 s[12:15], s[4:5], 0x58
	s_ashr_i32 s17, s6, 31
	s_waitcnt lgkmcnt(0)
	s_ashr_i32 s15, s10, 31
	v_and_b32_e32 v2, 7, v0
	s_lshl_b32 s20, s6, 5
	v_cmp_gt_u32_e32 vcc, 32, v0
	s_and_saveexec_b64 s[0:1], vcc
	s_cbranch_execz .LBB81_5
; %bb.4:
	s_load_dwordx2 s[18:19], s[4:5], 0x18
	s_mul_i32 s22, s24, s12
	s_ashr_i32 s23, s22, 31
	s_lshl_b64 s[22:23], s[22:23], 1
	v_lshlrev_b32_e32 v1, 1, v0
	s_waitcnt lgkmcnt(0)
	s_add_u32 s7, s18, s22
	s_addc_u32 s10, s19, s23
	s_ashr_i32 s21, s20, 31
	s_lshl_b64 s[18:19], s[20:21], 1
	s_add_u32 s18, s7, s18
	s_addc_u32 s19, s10, s19
	global_load_ushort v1, v1, s[18:19]
	v_lshrrev_b32_e32 v3, 2, v0
	v_and_b32_e32 v3, 0xfe, v3
	v_lshl_add_u32 v3, v2, 3, v3
	s_waitcnt vmcnt(0)
	ds_write_b16 v3, v1
.LBB81_5:
	s_or_b64 exec, exec, s[0:1]
	s_add_i32 s0, s25, 7
	s_ashr_i32 s1, s0, 31
	s_lshr_b32 s1, s1, 29
	s_add_i32 s0, s0, s1
	s_lshl_b32 s10, s8, 6
	s_mul_i32 s1, s16, s2
	s_ashr_i32 s7, s0, 3
	s_add_i32 s0, s10, 64
	s_sub_i32 s1, s3, s1
	s_min_i32 s33, s0, s7
	s_xor_b32 s0, s17, s15
	s_add_i32 s3, s16, 1
	s_sub_i32 s12, s1, s2
	s_cmp_ge_u32 s1, s2
	s_cselect_b32 s3, s3, s16
	s_cselect_b32 s1, s12, s1
	s_add_i32 s12, s3, 1
	s_cmp_ge_u32 s1, s2
	s_load_dwordx2 s[26:27], s[4:5], 0x38
	s_load_dword s2, s[4:5], 0x48
	v_lshrrev_b32_e32 v1, 6, v0
	s_cselect_b32 s1, s12, s3
	s_xor_b32 s1, s1, s0
	v_or_b32_e32 v6, s10, v1
	s_waitcnt lgkmcnt(0)
	s_mul_i32 s28, s24, s2
	s_sub_i32 s12, s1, s0
	s_ashr_i32 s29, s28, 31
	v_cmp_gt_i32_e64 s[0:1], s33, v6
	v_cmp_le_i32_e32 vcc, s33, v6
	v_mbcnt_lo_u32_b32 v14, -1, 0
	s_barrier
	s_waitcnt lgkmcnt(0)
                                        ; implicit-def: $sgpr15
                                        ; implicit-def: $vgpr5
                                        ; implicit-def: $vgpr8
	s_and_saveexec_b64 s[2:3], vcc
	s_xor_b64 s[2:3], exec, s[2:3]
; %bb.6:
	v_mbcnt_hi_u32_b32 v5, -1, v14
	v_and_b32_e32 v2, 64, v5
	v_add_u32_e32 v8, 64, v2
	s_mov_b32 s15, 0xff7fffff
                                        ; implicit-def: $vgpr2
                                        ; implicit-def: $vgpr14
; %bb.7:
	s_or_saveexec_b64 s[34:35], s[2:3]
	s_load_dwordx4 s[16:19], s[4:5], 0x0
	s_load_dwordx2 s[22:23], s[4:5], 0x10
	s_load_dwordx2 s[30:31], s[4:5], 0x28
	s_load_dword s21, s[4:5], 0x98
	v_mov_b32_e32 v4, s15
	s_mul_i32 s14, s12, s14
	v_ashrrev_i32_e32 v7, 31, v6
	s_xor_b64 exec, exec, s[34:35]
	s_cbranch_execz .LBB81_13
; %bb.8:
	s_load_dwordx2 s[2:3], s[4:5], 0x20
	s_ashr_i32 s15, s14, 31
	s_lshl_b64 s[4:5], s[14:15], 1
	v_bfe_u32 v3, v0, 3, 3
	v_lshlrev_b32_e32 v4, 4, v3
	s_waitcnt lgkmcnt(0)
	s_add_u32 s2, s2, s4
	s_addc_u32 s3, s3, s5
	v_mov_b32_e32 v5, s3
	v_add_co_u32_e32 v4, vcc, s2, v4
	v_addc_co_u32_e32 v5, vcc, 0, v5, vcc
	v_lshlrev_b32_e32 v8, 1, v2
	v_add_co_u32_e32 v9, vcc, v4, v8
	v_addc_co_u32_e32 v10, vcc, 0, v5, vcc
	v_lshlrev_b32_e32 v11, 3, v2
	v_cmp_eq_u32_e32 vcc, 0, v2
	v_lshlrev_b32_e32 v2, 3, v1
	s_sub_i32 s15, 1, s25
	v_add3_u32 v12, s40, v2, v3
	v_lshlrev_b32_e32 v2, 2, v3
	s_lshl_b64 s[4:5], s[28:29], 2
	v_lshl_or_b32 v2, v1, 5, v2
	s_add_u32 s4, s26, s4
	v_add_u32_e32 v13, 0x50, v2
	v_lshlrev_b64 v[2:3], 2, v[6:7]
	s_addc_u32 s5, s27, s5
	v_mbcnt_hi_u32_b32 v5, -1, v14
	v_mov_b32_e32 v4, s5
	v_add_co_u32_e64 v2, s[4:5], s4, v2
	v_and_b32_e32 v8, 64, v5
	s_mov_b32 s12, s13
	v_cmp_neq_f32_e64 s[2:3], s41, 0
	v_addc_co_u32_e64 v3, s[4:5], v4, v3, s[4:5]
	s_mov_b64 s[36:37], 0
	v_mov_b32_e32 v4, 0xff7fffff
	v_add_u32_e32 v8, 64, v8
	v_xor_b32_e32 v14, 4, v5
	v_xor_b32_e32 v15, 2, v5
	;; [unrolled: 1-line block ×3, first 2 shown]
	v_mov_b32_e32 v17, v6
	s_branch .LBB81_10
.LBB81_9:                               ;   in Loop: Header=BB81_10 Depth=1
	s_or_b64 exec, exec, s[38:39]
	v_add_u32_e32 v17, 2, v17
	v_cmp_le_i32_e64 s[4:5], s33, v17
	s_or_b64 s[36:37], s[4:5], s[36:37]
	v_add_co_u32_e64 v2, s[4:5], 8, v2
	v_add_u32_e32 v12, 16, v12
	v_add_u32_e32 v13, 64, v13
	v_addc_co_u32_e64 v3, s[4:5], 0, v3, s[4:5]
	s_andn2_b64 exec, exec, s[36:37]
	s_cbranch_execz .LBB81_12
.LBB81_10:                              ; =>This Inner Loop Header: Depth=1
	global_load_dword v18, v[2:3], off
	s_waitcnt vmcnt(0) lgkmcnt(0)
	v_mad_i64_i32 v[18:19], s[4:5], v18, s12, 0
	v_lshlrev_b64 v[18:19], 1, v[18:19]
	v_add_co_u32_e64 v18, s[4:5], v9, v18
	v_addc_co_u32_e64 v19, s[4:5], v10, v19, s[4:5]
	global_load_ushort v20, v[18:19], off
	global_load_ushort v21, v[18:19], off offset:128
	global_load_ushort v22, v[18:19], off offset:256
	;; [unrolled: 1-line block ×3, first 2 shown]
	ds_read_u16 v18, v11
	s_waitcnt lgkmcnt(0)
	;;#ASMSTART
	v_cvt_f32_f16 v18, v18;
	;;#ASMEND
	v_cmp_lt_i32_e64 s[4:5], v14, v8
	v_cndmask_b32_e64 v25, v5, v14, s[4:5]
	v_lshlrev_b32_e32 v25, 2, v25
	v_cmp_lt_i32_e64 s[4:5], v15, v8
	s_waitcnt vmcnt(3)
	;;#ASMSTART
	v_cvt_f32_f16 v19, v20;
	;;#ASMEND
	ds_read_u16 v20, v11 offset:2
	s_waitcnt lgkmcnt(0)
	;;#ASMSTART
	v_cvt_f32_f16 v20, v20;
	;;#ASMEND
	s_waitcnt vmcnt(2)
	;;#ASMSTART
	v_cvt_f32_f16 v21, v21;
	;;#ASMEND
	v_mul_f32_e32 v20, v20, v21
	ds_read_u16 v24, v11 offset:4
	v_fmac_f32_e32 v20, v18, v19
	s_waitcnt lgkmcnt(0)
	;;#ASMSTART
	v_cvt_f32_f16 v24, v24;
	;;#ASMEND
	s_waitcnt vmcnt(1)
	;;#ASMSTART
	v_cvt_f32_f16 v22, v22;
	;;#ASMEND
	v_fmac_f32_e32 v20, v24, v22
	ds_read_u16 v26, v11 offset:6
	s_waitcnt lgkmcnt(0)
	;;#ASMSTART
	v_cvt_f32_f16 v18, v26;
	;;#ASMEND
	s_waitcnt vmcnt(0)
	;;#ASMSTART
	v_cvt_f32_f16 v19, v23;
	;;#ASMEND
	v_fmac_f32_e32 v20, v18, v19
	ds_bpermute_b32 v18, v25, v20
	v_cndmask_b32_e64 v19, v5, v15, s[4:5]
	v_lshlrev_b32_e32 v19, 2, v19
	v_cmp_lt_i32_e64 s[4:5], v16, v8
	s_waitcnt lgkmcnt(0)
	v_add_f32_e32 v18, v20, v18
	ds_bpermute_b32 v19, v19, v18
	v_cndmask_b32_e64 v20, v5, v16, s[4:5]
	s_waitcnt lgkmcnt(0)
	v_add_f32_e32 v18, v18, v19
	v_lshlrev_b32_e32 v19, 2, v20
	ds_bpermute_b32 v19, v19, v18
	s_and_saveexec_b64 s[38:39], vcc
	s_cbranch_execz .LBB81_9
; %bb.11:                               ;   in Loop: Header=BB81_10 Depth=1
	v_add_u32_e32 v20, s15, v12
	v_cvt_f32_i32_e32 v20, v20
	s_waitcnt lgkmcnt(0)
	v_add_f32_e32 v18, v18, v19
	v_cmp_gt_i32_e64 s[4:5], s25, v12
	v_max_f32_e32 v19, v4, v4
	v_mul_f32_e32 v20, s41, v20
	v_cndmask_b32_e64 v20, 0, v20, s[2:3]
	v_fmac_f32_e32 v20, s11, v18
	v_cndmask_b32_e64 v18, 0, v20, s[4:5]
	ds_write_b32 v13, v18
	v_max_f32_e32 v18, v19, v20
	v_cndmask_b32_e64 v4, v4, v18, s[4:5]
	s_branch .LBB81_9
.LBB81_12:
	s_or_b64 exec, exec, s[36:37]
.LBB81_13:
	s_or_b64 exec, exec, s[34:35]
	v_xor_b32_e32 v2, 32, v5
	v_cmp_lt_i32_e32 vcc, v2, v8
	v_cndmask_b32_e32 v2, v5, v2, vcc
	v_lshlrev_b32_e32 v3, 2, v2
	ds_bpermute_b32 v2, v3, v4
	v_xor_b32_e32 v9, 16, v5
	v_max_f32_e32 v4, v4, v4
	v_cmp_lt_i32_e32 vcc, v9, v8
	v_and_b32_e32 v10, 63, v0
	s_waitcnt lgkmcnt(0)
	v_max_f32_e32 v2, v2, v2
	v_max_f32_e32 v2, v4, v2
	v_cndmask_b32_e32 v4, v5, v9, vcc
	v_lshlrev_b32_e32 v11, 2, v4
	ds_bpermute_b32 v4, v11, v2
	v_xor_b32_e32 v9, 8, v5
	v_cmp_lt_i32_e32 vcc, v9, v8
	s_waitcnt lgkmcnt(0)
	v_max_f32_e32 v4, v4, v4
	v_max_f32_e32 v4, v2, v4
	v_cndmask_b32_e32 v2, v5, v9, vcc
	v_lshlrev_b32_e32 v12, 2, v2
	ds_bpermute_b32 v9, v12, v4
	v_cmp_eq_u32_e32 vcc, 0, v10
	v_lshlrev_b32_e32 v2, 2, v1
	s_and_saveexec_b64 s[2:3], vcc
	s_cbranch_execz .LBB81_15
; %bb.14:
	s_waitcnt lgkmcnt(0)
	v_max_f32_e32 v9, v9, v9
	v_max_f32_e32 v4, v4, v4
	v_max_f32_e32 v4, v4, v9
	ds_write_b32 v2, v4 offset:64
.LBB81_15:
	s_or_b64 exec, exec, s[2:3]
	v_cmp_gt_u32_e64 s[2:3], 2, v10
	v_mov_b32_e32 v4, 0xff7fffff
	s_waitcnt lgkmcnt(0)
	v_lshlrev_b32_e32 v9, 2, v10
	s_barrier
	s_and_saveexec_b64 s[4:5], s[2:3]
	s_cbranch_execz .LBB81_17
; %bb.16:
	ds_read_b32 v4, v9 offset:64
.LBB81_17:
	s_or_b64 exec, exec, s[4:5]
	v_xor_b32_e32 v13, 1, v5
	v_cmp_lt_i32_e64 s[4:5], v13, v8
	v_cndmask_b32_e64 v13, v5, v13, s[4:5]
	v_lshlrev_b32_e32 v13, 2, v13
	s_waitcnt lgkmcnt(0)
	ds_bpermute_b32 v14, v13, v4
	v_max_f32_e32 v4, v4, v4
	s_sub_i32 s4, s33, s10
	s_lshl_b32 s4, s4, 3
	s_add_i32 s4, s4, s40
	s_waitcnt lgkmcnt(0)
	v_max_f32_e32 v14, v14, v14
	v_max_f32_e32 v4, v4, v14
	v_lshlrev_b32_e32 v14, 2, v5
	v_and_b32_e32 v14, 0xffffff00, v14
	ds_bpermute_b32 v4, v14, v4
	s_min_i32 s15, s4, s25
	s_sub_i32 s12, s15, s40
	v_cmp_gt_i32_e64 s[4:5], s12, v0
	v_mov_b32_e32 v15, 0
	s_and_saveexec_b64 s[34:35], s[4:5]
	s_cbranch_execz .LBB81_21
; %bb.18:
	v_mov_b32_e32 v15, 0x50
	v_lshl_add_u32 v16, v0, 2, v15
	s_mov_b64 s[36:37], 0
	v_mov_b32_e32 v15, 0
	v_mov_b32_e32 v17, v0
.LBB81_19:                              ; =>This Inner Loop Header: Depth=1
	ds_read_b32 v18, v16
	v_add_u32_e32 v17, 0x80, v17
	v_cmp_le_i32_e64 s[10:11], s12, v17
	s_or_b64 s[36:37], s[10:11], s[36:37]
	s_waitcnt lgkmcnt(0)
	v_sub_f32_e32 v18, v18, v4
	v_mul_f32_e32 v18, 0x3fb8aa3b, v18
	v_exp_f32_e32 v18, v18
	ds_write_b32 v16, v18
	v_add_f32_e32 v15, v15, v18
	v_add_u32_e32 v16, 0x200, v16
	s_andn2_b64 exec, exec, s[36:37]
	s_cbranch_execnz .LBB81_19
; %bb.20:
	s_or_b64 exec, exec, s[36:37]
.LBB81_21:
	s_or_b64 exec, exec, s[34:35]
	ds_bpermute_b32 v3, v3, v15
	s_waitcnt lgkmcnt(0)
	v_add_f32_e32 v3, v15, v3
	ds_bpermute_b32 v11, v11, v3
	s_waitcnt lgkmcnt(0)
	v_add_f32_e32 v3, v3, v11
	ds_bpermute_b32 v11, v12, v3
	v_xor_b32_e32 v12, 4, v5
	v_cmp_lt_i32_e64 s[10:11], v12, v8
	v_cndmask_b32_e64 v12, v5, v12, s[10:11]
	v_lshlrev_b32_e32 v12, 2, v12
	s_waitcnt lgkmcnt(0)
	v_add_f32_e32 v3, v3, v11
	ds_bpermute_b32 v11, v12, v3
	v_xor_b32_e32 v12, 2, v5
	v_cmp_lt_i32_e64 s[10:11], v12, v8
	v_cndmask_b32_e64 v5, v5, v12, s[10:11]
	v_lshlrev_b32_e32 v5, 2, v5
	s_waitcnt lgkmcnt(0)
	v_add_f32_e32 v3, v3, v11
	ds_bpermute_b32 v5, v5, v3
	s_waitcnt lgkmcnt(0)
	v_add_f32_e32 v3, v3, v5
	ds_bpermute_b32 v5, v13, v3
	s_waitcnt lgkmcnt(0)
	v_add_f32_e32 v3, v3, v5
	s_and_saveexec_b64 s[10:11], vcc
	s_cbranch_execz .LBB81_23
; %bb.22:
	ds_write_b32 v2, v3 offset:72
.LBB81_23:
	s_or_b64 exec, exec, s[10:11]
	s_waitcnt lgkmcnt(0)
	s_barrier
	s_and_saveexec_b64 s[10:11], s[2:3]
	s_cbranch_execz .LBB81_25
; %bb.24:
	ds_read_b32 v3, v9 offset:72
.LBB81_25:
	s_or_b64 exec, exec, s[10:11]
	s_waitcnt lgkmcnt(0)
	ds_bpermute_b32 v2, v13, v3
	s_waitcnt lgkmcnt(0)
	v_add_f32_e32 v2, v3, v2
	ds_bpermute_b32 v5, v14, v2
	s_and_saveexec_b64 s[2:3], s[4:5]
	s_cbranch_execz .LBB81_38
; %bb.26:
	s_waitcnt lgkmcnt(0)
	v_add_f32_e32 v2, 0x358637bd, v5
	v_div_scale_f32 v3, s[4:5], v2, v2, 1.0
	v_rcp_f32_e32 v8, v3
	v_div_scale_f32 v9, vcc, 1.0, v2, 1.0
	s_movk_i32 s4, 0x7f
	v_fma_f32 v11, -v3, v8, 1.0
	v_fmac_f32_e32 v8, v11, v8
	v_mul_f32_e32 v11, v9, v8
	v_fma_f32 v12, -v3, v11, v9
	v_fmac_f32_e32 v11, v12, v8
	v_fma_f32 v3, -v3, v11, v9
	v_div_fmas_f32 v3, v3, v8, v11
	v_div_fixup_f32 v2, v3, v2, 1.0
	v_xad_u32 v3, v0, -1, s15
	v_subrev_u32_e32 v8, s40, v3
	v_cmp_lt_u32_e32 vcc, s4, v8
	s_mov_b64 s[10:11], -1
	v_mov_b32_e32 v3, v0
	s_and_saveexec_b64 s[4:5], vcc
	s_cbranch_execz .LBB81_35
; %bb.27:
	v_lshrrev_b32_e32 v8, 7, v8
	v_add_u32_e32 v11, -1, v8
	v_lshrrev_b32_e32 v9, 1, v11
	v_mov_b32_e32 v3, v2
	v_add_u32_e32 v9, 1, v9
	v_cmp_lt_u32_e32 vcc, 13, v11
	v_mov_b32_e32 v13, 0
	s_and_saveexec_b64 s[10:11], vcc
	s_cbranch_execz .LBB81_31
; %bb.28:
	v_mov_b32_e32 v12, 0x50
	v_and_b32_e32 v11, -8, v9
	v_lshl_add_u32 v12, v0, 2, v12
	s_mov_b32 s15, 0
	s_mov_b64 s[34:35], 0
.LBB81_29:                              ; =>This Inner Loop Header: Depth=1
	ds_read2st64_b32 v[14:15], v12 offset1:2
	ds_read2st64_b32 v[16:17], v12 offset0:4 offset1:6
	ds_read2st64_b32 v[18:19], v12 offset0:8 offset1:10
	;; [unrolled: 1-line block ×3, first 2 shown]
	v_add_u32_e32 v11, -8, v11
	s_waitcnt lgkmcnt(3)
	v_pk_mul_f32 v[14:15], v[2:3], v[14:15]
	s_waitcnt lgkmcnt(2)
	v_pk_mul_f32 v[16:17], v[2:3], v[16:17]
	ds_write2st64_b32 v12, v14, v15 offset1:2
	ds_write2st64_b32 v12, v16, v17 offset0:4 offset1:6
	ds_read2st64_b32 v[16:17], v12 offset0:16 offset1:18
	s_waitcnt lgkmcnt(4)
	v_pk_mul_f32 v[14:15], v[2:3], v[18:19]
	ds_write2st64_b32 v12, v14, v15 offset0:8 offset1:10
	s_waitcnt lgkmcnt(4)
	v_pk_mul_f32 v[14:15], v[2:3], v[20:21]
	ds_write2st64_b32 v12, v14, v15 offset0:12 offset1:14
	ds_read2st64_b32 v[14:15], v12 offset0:20 offset1:22
	s_waitcnt lgkmcnt(3)
	v_pk_mul_f32 v[16:17], v[2:3], v[16:17]
	ds_read2st64_b32 v[18:19], v12 offset0:24 offset1:26
	ds_write2st64_b32 v12, v16, v17 offset0:16 offset1:18
	ds_read2st64_b32 v[16:17], v12 offset0:28 offset1:30
	s_waitcnt lgkmcnt(3)
	v_pk_mul_f32 v[14:15], v[2:3], v[14:15]
	ds_write2st64_b32 v12, v14, v15 offset0:20 offset1:22
	s_waitcnt lgkmcnt(3)
	v_pk_mul_f32 v[14:15], v[2:3], v[18:19]
	ds_write2st64_b32 v12, v14, v15 offset0:24 offset1:26
	s_waitcnt lgkmcnt(2)
	v_pk_mul_f32 v[14:15], v[2:3], v[16:17]
	s_add_i32 s15, s15, 16
	v_cmp_eq_u32_e32 vcc, 0, v11
	ds_write2st64_b32 v12, v14, v15 offset0:28 offset1:30
	v_add_u32_e32 v12, 0x2000, v12
	s_or_b64 s[34:35], vcc, s[34:35]
	v_mov_b32_e32 v13, s15
	s_andn2_b64 exec, exec, s[34:35]
	s_cbranch_execnz .LBB81_29
; %bb.30:
	s_or_b64 exec, exec, s[34:35]
.LBB81_31:
	s_or_b64 exec, exec, s[10:11]
	v_and_b32_e32 v9, 7, v9
	v_cmp_ne_u32_e32 vcc, 0, v9
	s_and_saveexec_b64 s[10:11], vcc
	s_cbranch_execz .LBB81_34
; %bb.32:
	v_lshlrev_b32_e32 v11, 9, v13
	v_lshlrev_b32_e32 v12, 2, v0
	s_movk_i32 s15, 0x50
	v_add3_u32 v11, v11, v12, s15
	s_mov_b64 s[34:35], 0
.LBB81_33:                              ; =>This Inner Loop Header: Depth=1
	ds_read2st64_b32 v[12:13], v11 offset1:2
	v_add_u32_e32 v9, -1, v9
	v_cmp_eq_u32_e32 vcc, 0, v9
	s_or_b64 s[34:35], vcc, s[34:35]
	s_waitcnt lgkmcnt(0)
	v_pk_mul_f32 v[12:13], v[2:3], v[12:13]
	ds_write2st64_b32 v11, v12, v13 offset1:2
	v_add_u32_e32 v11, 0x400, v11
	s_andn2_b64 exec, exec, s[34:35]
	s_cbranch_execnz .LBB81_33
.LBB81_34:
	s_or_b64 exec, exec, s[10:11]
	v_add_u32_e32 v8, 1, v8
	v_and_b32_e32 v9, 0x3fffffe, v8
	v_cmp_ne_u32_e32 vcc, v8, v9
	v_lshl_add_u32 v3, v9, 7, v0
	s_orn2_b64 s[10:11], vcc, exec
.LBB81_35:
	s_or_b64 exec, exec, s[4:5]
	s_and_b64 exec, exec, s[10:11]
	s_cbranch_execz .LBB81_38
; %bb.36:
	v_mov_b32_e32 v8, 0x50
	v_lshl_add_u32 v8, v3, 2, v8
	s_mov_b64 s[4:5], 0
.LBB81_37:                              ; =>This Inner Loop Header: Depth=1
	ds_read_b32 v9, v8
	v_add_u32_e32 v3, 0x80, v3
	v_cmp_le_i32_e32 vcc, s12, v3
	s_or_b64 s[4:5], vcc, s[4:5]
	s_waitcnt lgkmcnt(0)
	v_mul_f32_e32 v9, v2, v9
	ds_write_b32 v8, v9
	v_add_u32_e32 v8, 0x200, v8
	s_andn2_b64 exec, exec, s[4:5]
	s_cbranch_execnz .LBB81_37
.LBB81_38:
	s_or_b64 exec, exec, s[2:3]
	s_mul_i32 s2, s21, s24
	v_cmp_eq_u32_e32 vcc, 0, v0
	s_mul_i32 s2, s2, s9
	s_waitcnt lgkmcnt(0)
	s_barrier
	s_and_saveexec_b64 s[4:5], vcc
	s_cbranch_execz .LBB81_40
; %bb.39:
	s_ashr_i32 s3, s2, 31
	s_lshl_b64 s[10:11], s[2:3], 2
	s_add_u32 s3, s18, s10
	s_mul_i32 s18, s21, s6
	s_addc_u32 s9, s19, s11
	s_ashr_i32 s19, s18, 31
	s_lshl_b64 s[18:19], s[18:19], 2
	s_add_u32 s3, s3, s18
	s_addc_u32 s6, s9, s19
	s_ashr_i32 s9, s8, 31
	s_lshl_b64 s[34:35], s[8:9], 2
	s_add_u32 s36, s3, s34
	s_addc_u32 s37, s6, s35
	s_add_u32 s3, s16, s10
	s_addc_u32 s6, s17, s11
	;; [unrolled: 2-line block ×3, first 2 shown]
	s_add_u32 s10, s3, s34
	v_mov_b32_e32 v2, 0
	s_addc_u32 s11, s6, s35
	global_store_dword v2, v4, s[36:37]
	global_store_dword v2, v5, s[10:11]
.LBB81_40:
	s_or_b64 exec, exec, s[4:5]
	v_mov_b32_e32 v11, 0
	s_and_saveexec_b64 s[4:5], s[0:1]
	s_cbranch_execz .LBB81_48
; %bb.41:
	s_ashr_i32 s15, s14, 31
	s_lshl_b64 s[0:1], s[14:15], 1
	s_add_u32 s0, s30, s0
	s_addc_u32 s1, s31, s1
	v_lshlrev_b32_e32 v2, 4, v10
	v_mov_b32_e32 v3, s1
	v_add_co_u32_e64 v12, s[0:1], s0, v2
	v_addc_co_u32_e64 v13, s[0:1], 0, v3, s[0:1]
	s_add_i32 s9, s7, -1
	s_lshl_b64 s[0:1], s[28:29], 2
	v_mov_b32_e32 v2, 0x50
	s_add_u32 s0, s26, s0
	v_lshl_add_u32 v14, v1, 3, s40
	v_lshl_add_u32 v1, v1, 5, v2
	v_lshlrev_b64 v[2:3], 2, v[6:7]
	s_addc_u32 s1, s27, s1
	v_mov_b32_e32 v4, s1
	v_add_co_u32_e64 v8, s[0:1], s0, v2
	v_cmp_gt_u32_e32 vcc, 32, v10
	s_mov_b32 s3, s13
	v_mov_b32_e32 v11, 0
	s_mov_b32 s14, s25
	s_mov_b32 s15, s25
	;; [unrolled: 1-line block ×7, first 2 shown]
	v_addc_co_u32_e64 v9, s[0:1], v4, v3, s[0:1]
	s_mov_b64 s[6:7], 0
	s_mov_b32 s26, 0x5040100
	s_branch .LBB81_44
.LBB81_42:                              ;   in Loop: Header=BB81_44 Depth=1
	s_or_b64 exec, exec, s[12:13]
	v_and_b32_e32 v7, 0xffff, v7
	v_lshl_or_b32 v7, v15, 16, v7
	v_and_b32_e32 v15, 0xffff, v16
	v_lshl_or_b32 v15, v17, 16, v15
	v_and_b32_e32 v16, 0xffff, v18
	v_and_b32_e32 v17, 0xffff, v20
	s_waitcnt vmcnt(0)
	;;#ASMSTART
	v_pk_mul_f16 v2, v7, v2;

	;;#ASMEND
	v_lshl_or_b32 v16, v19, 16, v16
	v_lshl_or_b32 v17, v21, 16, v17
	;;#ASMSTART
	v_pk_mul_f16 v3, v15, v3;

	;;#ASMEND
	;;#ASMSTART
	v_pk_mul_f16 v4, v16, v4;

	;;#ASMEND
	;; [unrolled: 4-line block ×3, first 2 shown]
	;;#ASMSTART
	v_pk_add_f16 v2, v2, v3;

	;;#ASMEND
	;;#ASMSTART
	v_pk_add_f16 v2, v2, v4;

	;;#ASMEND
	;; [unrolled: 4-line block ×3, first 2 shown]
	v_lshrrev_b32_e32 v3, 16, v2
	v_and_b32_e32 v2, 0xffff, v2
	;;#ASMSTART
	v_cvt_f32_f16 v2, v2;
	;;#ASMEND
	;;#ASMSTART
	v_cvt_f32_f16 v3, v3;
	;;#ASMEND
	v_add_f32_e32 v2, v2, v3
	v_add_f32_e32 v11, v11, v2
.LBB81_43:                              ;   in Loop: Header=BB81_44 Depth=1
	s_or_b64 exec, exec, s[10:11]
	v_add_u32_e32 v6, 2, v6
	v_cmp_le_i32_e64 s[0:1], s33, v6
	s_or_b64 s[6:7], s[0:1], s[6:7]
	v_add_co_u32_e64 v8, s[0:1], 8, v8
	v_add_u32_e32 v14, 16, v14
	v_add_u32_e32 v1, 64, v1
	v_addc_co_u32_e64 v9, s[0:1], 0, v9, s[0:1]
	s_andn2_b64 exec, exec, s[6:7]
	s_cbranch_execz .LBB81_47
.LBB81_44:                              ; =>This Inner Loop Header: Depth=1
	ds_read2_b64 v[2:5], v1 offset1:1
	ds_read2_b64 v[18:21], v1 offset0:2 offset1:3
	s_waitcnt lgkmcnt(1)
	;;#ASMSTART
	v_cvt_f16_f32 v7, v2;

	;;#ASMEND
	;;#ASMSTART
	v_cvt_f16_f32 v15, v3;

	;;#ASMEND
	;; [unrolled: 4-line block ×4, first 2 shown]
	s_waitcnt lgkmcnt(0)
	;;#ASMSTART
	v_cvt_f16_f32 v18, v18;

	;;#ASMEND
	;;#ASMSTART
	v_cvt_f16_f32 v19, v19;

	;;#ASMEND
	;;#ASMSTART
	v_cvt_f16_f32 v20, v20;

	;;#ASMEND
	;;#ASMSTART
	v_cvt_f16_f32 v21, v21;

	;;#ASMEND
	s_and_saveexec_b64 s[10:11], vcc
	s_cbranch_execz .LBB81_43
; %bb.45:                               ;   in Loop: Header=BB81_44 Depth=1
	global_load_dword v2, v[8:9], off
	s_waitcnt vmcnt(0)
	v_mad_i64_i32 v[2:3], s[0:1], v2, s3, 0
	v_lshlrev_b64 v[2:3], 1, v[2:3]
	v_add_co_u32_e64 v2, s[0:1], v12, v2
	v_addc_co_u32_e64 v3, s[0:1], v13, v3, s[0:1]
	global_load_dwordx4 v[2:5], v[2:3], off
	v_cmp_eq_u32_e64 s[0:1], s9, v6
	s_and_saveexec_b64 s[12:13], s[0:1]
	s_cbranch_execz .LBB81_42
; %bb.46:                               ;   in Loop: Header=BB81_44 Depth=1
	v_or_b32_e32 v27, 7, v14
	v_or_b32_e32 v28, 6, v14
	s_waitcnt vmcnt(0)
	v_lshrrev_b32_e32 v29, 16, v5
	v_cmp_gt_i32_e64 s[0:1], s24, v27
	v_cndmask_b32_e64 v27, 0, v29, s[0:1]
	v_cmp_gt_i32_e64 s[0:1], s19, v28
	v_or_b32_e32 v25, 5, v14
	v_cndmask_b32_e64 v5, 0, v5, s[0:1]
	v_or_b32_e32 v26, 4, v14
	v_perm_b32 v5, v27, v5, s26
	v_lshrrev_b32_e32 v27, 16, v4
	v_cmp_gt_i32_e64 s[0:1], s18, v25
	v_cndmask_b32_e64 v25, 0, v27, s[0:1]
	v_cmp_gt_i32_e64 s[0:1], s17, v26
	v_or_b32_e32 v23, 3, v14
	v_cndmask_b32_e64 v4, 0, v4, s[0:1]
	v_or_b32_e32 v24, 2, v14
	v_perm_b32 v4, v25, v4, s26
	v_lshrrev_b32_e32 v25, 16, v3
	v_cmp_gt_i32_e64 s[0:1], s16, v23
	v_cndmask_b32_e64 v23, 0, v25, s[0:1]
	v_cmp_gt_i32_e64 s[0:1], s15, v24
	v_add_u32_e32 v22, 1, v14
	v_cndmask_b32_e64 v3, 0, v3, s[0:1]
	v_perm_b32 v3, v23, v3, s26
	v_lshrrev_b32_e32 v23, 16, v2
	v_cmp_gt_i32_e64 s[0:1], s14, v22
	v_cndmask_b32_e64 v22, 0, v23, s[0:1]
	v_cmp_gt_i32_e64 s[0:1], s25, v14
	v_cndmask_b32_e64 v2, 0, v2, s[0:1]
	v_perm_b32 v2, v22, v2, s26
	s_branch .LBB81_42
.LBB81_47:
	s_or_b64 exec, exec, s[6:7]
.LBB81_48:
	s_or_b64 exec, exec, s[4:5]
	v_and_b32_e32 v1, 0x3c0, v0
	v_cmp_eq_u32_e64 s[0:1], 64, v1
	v_cmp_gt_u32_e32 vcc, 32, v10
	s_and_b64 s[4:5], s[0:1], vcc
	s_barrier
	s_and_saveexec_b64 s[0:1], s[4:5]
	s_cbranch_execz .LBB81_50
; %bb.49:
	v_mov_b32_e32 v1, 0x50
	v_lshl_add_u32 v1, v10, 2, v1
	ds_write_b32 v1, v11
.LBB81_50:
	s_or_b64 exec, exec, s[0:1]
	v_cmp_gt_u32_e64 s[0:1], 64, v0
	s_and_b64 s[0:1], s[0:1], vcc
	s_waitcnt lgkmcnt(0)
	s_barrier
	s_and_saveexec_b64 s[4:5], s[0:1]
	s_cbranch_execz .LBB81_52
; %bb.51:
	v_mov_b32_e32 v0, 0x50
	v_lshl_add_u32 v0, v10, 2, v0
	ds_read_b32 v0, v0
	s_waitcnt lgkmcnt(0)
	v_add_f32_e32 v11, v11, v0
.LBB81_52:
	s_or_b64 exec, exec, s[4:5]
	s_barrier
	s_and_saveexec_b64 s[4:5], s[0:1]
	s_cbranch_execz .LBB81_54
; %bb.53:
	s_lshl_b32 s0, s2, 5
	s_ashr_i32 s1, s0, 31
	s_lshl_b64 s[0:1], s[0:1], 1
	s_add_u32 s2, s22, s0
	s_mul_i32 s0, s21, s20
	s_addc_u32 s3, s23, s1
	s_ashr_i32 s1, s0, 31
	s_lshl_b64 s[0:1], s[0:1], 1
	s_add_u32 s2, s2, s0
	s_addc_u32 s3, s3, s1
	s_lshl_b32 s0, s8, 5
	s_ashr_i32 s1, s0, 31
	s_lshl_b64 s[0:1], s[0:1], 1
	s_add_u32 s0, s2, s0
	s_addc_u32 s1, s3, s1
	v_lshlrev_b32_e32 v0, 1, v10
	;;#ASMSTART
	v_cvt_f16_f32 v1, v11;

	;;#ASMEND
	global_store_short v0, v1, s[0:1]
.LBB81_54:
	s_endpgm
	.section	.rodata,"a",@progbits
	.p2align	6, 0x0
	.amdhsa_kernel _ZN4vllm25paged_attention_v2_kernelIttLi32ELi8ELi128ELNS_18Fp8KVCacheDataTypeE0ELb0ELi512EEEvPfS2_PT_PKS3_PKT0_S9_ifPKiSB_iPKfiiiSD_SD_iiiii
		.amdhsa_group_segment_fixed_size 80
		.amdhsa_private_segment_fixed_size 0
		.amdhsa_kernarg_size 400
		.amdhsa_user_sgpr_count 6
		.amdhsa_user_sgpr_private_segment_buffer 1
		.amdhsa_user_sgpr_dispatch_ptr 0
		.amdhsa_user_sgpr_queue_ptr 0
		.amdhsa_user_sgpr_kernarg_segment_ptr 1
		.amdhsa_user_sgpr_dispatch_id 0
		.amdhsa_user_sgpr_flat_scratch_init 0
		.amdhsa_user_sgpr_kernarg_preload_length 0
		.amdhsa_user_sgpr_kernarg_preload_offset 0
		.amdhsa_user_sgpr_private_segment_size 0
		.amdhsa_uses_dynamic_stack 0
		.amdhsa_system_sgpr_private_segment_wavefront_offset 0
		.amdhsa_system_sgpr_workgroup_id_x 1
		.amdhsa_system_sgpr_workgroup_id_y 1
		.amdhsa_system_sgpr_workgroup_id_z 1
		.amdhsa_system_sgpr_workgroup_info 0
		.amdhsa_system_vgpr_workitem_id 0
		.amdhsa_next_free_vgpr 30
		.amdhsa_next_free_sgpr 42
		.amdhsa_accum_offset 32
		.amdhsa_reserve_vcc 1
		.amdhsa_reserve_flat_scratch 0
		.amdhsa_float_round_mode_32 0
		.amdhsa_float_round_mode_16_64 0
		.amdhsa_float_denorm_mode_32 3
		.amdhsa_float_denorm_mode_16_64 3
		.amdhsa_dx10_clamp 1
		.amdhsa_ieee_mode 1
		.amdhsa_fp16_overflow 0
		.amdhsa_tg_split 0
		.amdhsa_exception_fp_ieee_invalid_op 0
		.amdhsa_exception_fp_denorm_src 0
		.amdhsa_exception_fp_ieee_div_zero 0
		.amdhsa_exception_fp_ieee_overflow 0
		.amdhsa_exception_fp_ieee_underflow 0
		.amdhsa_exception_fp_ieee_inexact 0
		.amdhsa_exception_int_div_zero 0
	.end_amdhsa_kernel
	.section	.text._ZN4vllm25paged_attention_v2_kernelIttLi32ELi8ELi128ELNS_18Fp8KVCacheDataTypeE0ELb0ELi512EEEvPfS2_PT_PKS3_PKT0_S9_ifPKiSB_iPKfiiiSD_SD_iiiii,"axG",@progbits,_ZN4vllm25paged_attention_v2_kernelIttLi32ELi8ELi128ELNS_18Fp8KVCacheDataTypeE0ELb0ELi512EEEvPfS2_PT_PKS3_PKT0_S9_ifPKiSB_iPKfiiiSD_SD_iiiii,comdat
.Lfunc_end81:
	.size	_ZN4vllm25paged_attention_v2_kernelIttLi32ELi8ELi128ELNS_18Fp8KVCacheDataTypeE0ELb0ELi512EEEvPfS2_PT_PKS3_PKT0_S9_ifPKiSB_iPKfiiiSD_SD_iiiii, .Lfunc_end81-_ZN4vllm25paged_attention_v2_kernelIttLi32ELi8ELi128ELNS_18Fp8KVCacheDataTypeE0ELb0ELi512EEEvPfS2_PT_PKS3_PKT0_S9_ifPKiSB_iPKfiiiSD_SD_iiiii
                                        ; -- End function
	.section	.AMDGPU.csdata,"",@progbits
; Kernel info:
; codeLenInByte = 3776
; NumSgprs: 46
; NumVgprs: 30
; NumAgprs: 0
; TotalNumVgprs: 30
; ScratchSize: 0
; MemoryBound: 0
; FloatMode: 240
; IeeeMode: 1
; LDSByteSize: 80 bytes/workgroup (compile time only)
; SGPRBlocks: 5
; VGPRBlocks: 3
; NumSGPRsForWavesPerEU: 46
; NumVGPRsForWavesPerEU: 30
; AccumOffset: 32
; Occupancy: 8
; WaveLimiterHint : 1
; COMPUTE_PGM_RSRC2:SCRATCH_EN: 0
; COMPUTE_PGM_RSRC2:USER_SGPR: 6
; COMPUTE_PGM_RSRC2:TRAP_HANDLER: 0
; COMPUTE_PGM_RSRC2:TGID_X_EN: 1
; COMPUTE_PGM_RSRC2:TGID_Y_EN: 1
; COMPUTE_PGM_RSRC2:TGID_Z_EN: 1
; COMPUTE_PGM_RSRC2:TIDIG_COMP_CNT: 0
; COMPUTE_PGM_RSRC3_GFX90A:ACCUM_OFFSET: 7
; COMPUTE_PGM_RSRC3_GFX90A:TG_SPLIT: 0
	.section	.text._ZN4vllm25paged_attention_v2_kernelIttLi64ELi8ELi128ELNS_18Fp8KVCacheDataTypeE0ELb0ELi512EEEvPfS2_PT_PKS3_PKT0_S9_ifPKiSB_iPKfiiiSD_SD_iiiii,"axG",@progbits,_ZN4vllm25paged_attention_v2_kernelIttLi64ELi8ELi128ELNS_18Fp8KVCacheDataTypeE0ELb0ELi512EEEvPfS2_PT_PKS3_PKT0_S9_ifPKiSB_iPKfiiiSD_SD_iiiii,comdat
	.protected	_ZN4vllm25paged_attention_v2_kernelIttLi64ELi8ELi128ELNS_18Fp8KVCacheDataTypeE0ELb0ELi512EEEvPfS2_PT_PKS3_PKT0_S9_ifPKiSB_iPKfiiiSD_SD_iiiii ; -- Begin function _ZN4vllm25paged_attention_v2_kernelIttLi64ELi8ELi128ELNS_18Fp8KVCacheDataTypeE0ELb0ELi512EEEvPfS2_PT_PKS3_PKT0_S9_ifPKiSB_iPKfiiiSD_SD_iiiii
	.globl	_ZN4vllm25paged_attention_v2_kernelIttLi64ELi8ELi128ELNS_18Fp8KVCacheDataTypeE0ELb0ELi512EEEvPfS2_PT_PKS3_PKT0_S9_ifPKiSB_iPKfiiiSD_SD_iiiii
	.p2align	8
	.type	_ZN4vllm25paged_attention_v2_kernelIttLi64ELi8ELi128ELNS_18Fp8KVCacheDataTypeE0ELb0ELi512EEEvPfS2_PT_PKS3_PKT0_S9_ifPKiSB_iPKfiiiSD_SD_iiiii,@function
_ZN4vllm25paged_attention_v2_kernelIttLi64ELi8ELi128ELNS_18Fp8KVCacheDataTypeE0ELb0ELi512EEEvPfS2_PT_PKS3_PKT0_S9_ifPKiSB_iPKfiiiSD_SD_iiiii: ; @_ZN4vllm25paged_attention_v2_kernelIttLi64ELi8ELi128ELNS_18Fp8KVCacheDataTypeE0ELb0ELi512EEEvPfS2_PT_PKS3_PKT0_S9_ifPKiSB_iPKfiiiSD_SD_iiiii
; %bb.0:
	s_load_dwordx2 s[0:1], s[4:5], 0x40
	s_mov_b32 s26, s7
	s_ashr_i32 s27, s7, 31
	s_lshl_b64 s[2:3], s[26:27], 2
	s_waitcnt lgkmcnt(0)
	s_add_u32 s0, s0, s2
	s_addc_u32 s1, s1, s3
	s_load_dword s27, s[0:1], 0x0
	s_lshl_b32 s42, s8, 9
	s_waitcnt lgkmcnt(0)
	s_cmp_ge_i32 s42, s27
	s_cbranch_scc1 .LBB82_52
; %bb.1:
	s_load_dword s9, s[4:5], 0x90
	s_load_dwordx2 s[12:13], s[4:5], 0x30
	s_waitcnt lgkmcnt(0)
	s_abs_i32 s2, s9
	s_abs_i32 s0, s12
	v_cvt_f32_u32_e32 v1, s0
	s_sub_i32 s3, 0, s0
	s_xor_b32 s1, s9, s12
	s_ashr_i32 s1, s1, 31
	v_rcp_iflag_f32_e32 v1, v1
	v_mul_f32_e32 v1, 0x4f7ffffe, v1
	v_cvt_u32_f32_e32 v1, v1
	v_readfirstlane_b32 s7, v1
	s_mul_i32 s3, s3, s7
	s_mul_hi_u32 s3, s7, s3
	s_add_i32 s7, s7, s3
	s_mul_hi_u32 s3, s2, s7
	s_mul_i32 s7, s3, s0
	s_sub_i32 s2, s2, s7
	s_add_i32 s10, s3, 1
	s_sub_i32 s7, s2, s0
	s_cmp_ge_u32 s2, s0
	s_cselect_b32 s3, s10, s3
	s_cselect_b32 s2, s7, s2
	s_add_i32 s7, s3, 1
	s_cmp_ge_u32 s2, s0
	s_cselect_b32 s0, s7, s3
	s_xor_b32 s0, s0, s1
	s_sub_i32 s2, s0, s1
	s_abs_i32 s10, s2
	v_cvt_f32_u32_e32 v1, s10
	s_load_dwordx2 s[0:1], s[4:5], 0x50
	s_sub_i32 s3, 0, s10
	s_abs_i32 s11, s6
	v_rcp_iflag_f32_e32 v1, v1
	s_mov_b32 s7, 0
	v_mul_f32_e32 v1, 0x4f7ffffe, v1
	v_cvt_u32_f32_e32 v1, v1
	v_readfirstlane_b32 s12, v1
	s_mul_i32 s3, s3, s12
	s_mul_hi_u32 s3, s12, s3
	s_add_i32 s12, s12, s3
	s_waitcnt lgkmcnt(0)
	s_cmp_eq_u64 s[0:1], 0
	s_mul_hi_u32 s12, s11, s12
	s_cbranch_scc1 .LBB82_3
; %bb.2:
	s_ashr_i32 s7, s6, 31
	s_lshl_b64 s[14:15], s[6:7], 2
	s_add_u32 s0, s0, s14
	s_addc_u32 s1, s1, s15
	s_load_dword s7, s[0:1], 0x0
.LBB82_3:
	s_load_dwordx4 s[16:19], s[4:5], 0x58
	s_ashr_i32 s20, s6, 31
	s_waitcnt lgkmcnt(0)
	s_ashr_i32 s19, s2, 31
	v_and_b32_e32 v2, 7, v0
	s_lshl_b32 s14, s6, 6
	v_cmp_gt_u32_e64 s[0:1], 64, v0
	s_and_saveexec_b64 s[2:3], s[0:1]
	s_cbranch_execz .LBB82_5
; %bb.4:
	s_load_dwordx2 s[22:23], s[4:5], 0x18
	s_mul_i32 s24, s26, s16
	s_ashr_i32 s25, s24, 31
	s_lshl_b64 s[24:25], s[24:25], 1
	v_lshlrev_b32_e32 v1, 1, v0
	s_waitcnt lgkmcnt(0)
	s_add_u32 s16, s22, s24
	s_addc_u32 s21, s23, s25
	s_ashr_i32 s15, s14, 31
	s_lshl_b64 s[22:23], s[14:15], 1
	s_add_u32 s22, s16, s22
	s_addc_u32 s23, s21, s23
	global_load_ushort v1, v1, s[22:23]
	v_lshrrev_b32_e32 v3, 2, v0
	v_and_b32_e32 v3, 0xfe, v3
	v_lshl_add_u32 v3, v2, 4, v3
	s_waitcnt vmcnt(0)
	ds_write_b16 v3, v1
.LBB82_5:
	s_or_b64 exec, exec, s[2:3]
	s_add_i32 s2, s27, 7
	s_ashr_i32 s3, s2, 31
	s_lshr_b32 s3, s3, 29
	s_add_i32 s2, s2, s3
	s_lshl_b32 s16, s8, 6
	s_mul_i32 s3, s12, s10
	s_ashr_i32 s43, s2, 3
	s_add_i32 s2, s16, 64
	s_sub_i32 s3, s11, s3
	s_min_i32 s15, s2, s43
	s_xor_b32 s2, s20, s19
	s_add_i32 s11, s12, 1
	s_sub_i32 s19, s3, s10
	s_cmp_ge_u32 s3, s10
	s_cselect_b32 s11, s11, s12
	s_cselect_b32 s3, s19, s3
	s_add_i32 s12, s11, 1
	s_cmp_ge_u32 s3, s10
	s_load_dwordx2 s[28:29], s[4:5], 0x38
	s_load_dword s10, s[4:5], 0x48
	v_lshrrev_b32_e32 v1, 6, v0
	s_cselect_b32 s3, s12, s11
	s_xor_b32 s3, s3, s2
	v_or_b32_e32 v6, s16, v1
	s_waitcnt lgkmcnt(0)
	s_mul_i32 s30, s26, s10
	s_sub_i32 s12, s3, s2
	s_ashr_i32 s31, s30, 31
	v_cmp_gt_i32_e64 s[2:3], s15, v6
	v_cmp_le_i32_e32 vcc, s15, v6
	v_mbcnt_lo_u32_b32 v14, -1, 0
	s_barrier
	s_waitcnt lgkmcnt(0)
                                        ; implicit-def: $sgpr19
                                        ; implicit-def: $vgpr5
                                        ; implicit-def: $vgpr8
	s_and_saveexec_b64 s[10:11], vcc
	s_xor_b64 s[10:11], exec, s[10:11]
; %bb.6:
	v_mbcnt_hi_u32_b32 v5, -1, v14
	v_and_b32_e32 v2, 64, v5
	v_add_u32_e32 v8, 64, v2
	s_mov_b32 s19, 0xff7fffff
                                        ; implicit-def: $vgpr2
                                        ; implicit-def: $vgpr14
; %bb.7:
	s_or_saveexec_b64 s[36:37], s[10:11]
	s_load_dwordx4 s[20:23], s[4:5], 0x0
	s_load_dwordx2 s[24:25], s[4:5], 0x10
	s_load_dwordx2 s[34:35], s[4:5], 0x28
	s_load_dword s33, s[4:5], 0x98
	v_mov_b32_e32 v4, s19
	s_mul_i32 s18, s12, s18
	v_ashrrev_i32_e32 v7, 31, v6
	s_xor_b64 exec, exec, s[36:37]
	s_cbranch_execz .LBB82_13
; %bb.8:
	s_load_dwordx2 s[4:5], s[4:5], 0x20
	s_ashr_i32 s19, s18, 31
	s_lshl_b64 s[10:11], s[18:19], 1
	v_bfe_u32 v3, v0, 3, 3
	v_lshlrev_b32_e32 v4, 4, v3
	s_waitcnt lgkmcnt(0)
	s_add_u32 s4, s4, s10
	s_addc_u32 s5, s5, s11
	v_mov_b32_e32 v5, s5
	v_add_co_u32_e32 v4, vcc, s4, v4
	v_addc_co_u32_e32 v5, vcc, 0, v5, vcc
	v_lshlrev_b32_e32 v8, 1, v2
	v_add_co_u32_e32 v9, vcc, v4, v8
	v_addc_co_u32_e32 v10, vcc, 0, v5, vcc
	v_lshlrev_b32_e32 v11, 4, v2
	v_cmp_eq_u32_e32 vcc, 0, v2
	v_lshlrev_b32_e32 v2, 3, v1
	s_sub_i32 s19, 1, s27
	v_add3_u32 v12, s42, v2, v3
	v_lshlrev_b32_e32 v2, 2, v3
	s_lshl_b64 s[10:11], s[30:31], 2
	v_lshl_or_b32 v2, v1, 5, v2
	s_add_u32 s10, s28, s10
	v_add_u32_e32 v13, 0x90, v2
	v_lshlrev_b64 v[2:3], 2, v[6:7]
	s_addc_u32 s11, s29, s11
	v_mbcnt_hi_u32_b32 v5, -1, v14
	v_mov_b32_e32 v4, s11
	v_add_co_u32_e64 v2, s[10:11], s10, v2
	v_and_b32_e32 v8, 64, v5
	s_mov_b32 s12, s17
	v_cmp_neq_f32_e64 s[4:5], s7, 0
	v_addc_co_u32_e64 v3, s[10:11], v4, v3, s[10:11]
	s_mov_b64 s[38:39], 0
	v_mov_b32_e32 v4, 0xff7fffff
	v_add_u32_e32 v8, 64, v8
	v_xor_b32_e32 v14, 4, v5
	v_xor_b32_e32 v15, 2, v5
	;; [unrolled: 1-line block ×3, first 2 shown]
	v_mov_b32_e32 v17, v6
	s_branch .LBB82_10
.LBB82_9:                               ;   in Loop: Header=BB82_10 Depth=1
	s_or_b64 exec, exec, s[40:41]
	v_add_u32_e32 v17, 2, v17
	v_cmp_le_i32_e64 s[10:11], s15, v17
	s_or_b64 s[38:39], s[10:11], s[38:39]
	v_add_co_u32_e64 v2, s[10:11], 8, v2
	v_add_u32_e32 v12, 16, v12
	v_add_u32_e32 v13, 64, v13
	v_addc_co_u32_e64 v3, s[10:11], 0, v3, s[10:11]
	s_andn2_b64 exec, exec, s[38:39]
	s_cbranch_execz .LBB82_12
.LBB82_10:                              ; =>This Inner Loop Header: Depth=1
	global_load_dword v18, v[2:3], off
	s_waitcnt vmcnt(0) lgkmcnt(0)
	v_mad_i64_i32 v[18:19], s[10:11], v18, s12, 0
	v_lshlrev_b64 v[18:19], 1, v[18:19]
	v_add_co_u32_e64 v18, s[10:11], v9, v18
	v_addc_co_u32_e64 v19, s[10:11], v10, v19, s[10:11]
	global_load_ushort v20, v[18:19], off
	global_load_ushort v21, v[18:19], off offset:128
	global_load_ushort v22, v[18:19], off offset:256
	;; [unrolled: 1-line block ×7, first 2 shown]
	ds_read_u16 v18, v11
	s_waitcnt lgkmcnt(0)
	;;#ASMSTART
	v_cvt_f32_f16 v18, v18;
	;;#ASMEND
	v_cmp_lt_i32_e64 s[10:11], v14, v8
	v_cndmask_b32_e64 v32, v5, v14, s[10:11]
	v_lshlrev_b32_e32 v32, 2, v32
	v_cmp_lt_i32_e64 s[10:11], v15, v8
	s_waitcnt vmcnt(7)
	;;#ASMSTART
	v_cvt_f32_f16 v19, v20;
	;;#ASMEND
	ds_read_u16 v20, v11 offset:2
	s_waitcnt lgkmcnt(0)
	;;#ASMSTART
	v_cvt_f32_f16 v20, v20;
	;;#ASMEND
	s_waitcnt vmcnt(6)
	;;#ASMSTART
	v_cvt_f32_f16 v21, v21;
	;;#ASMEND
	v_mul_f32_e32 v20, v20, v21
	ds_read_u16 v28, v11 offset:4
	v_fmac_f32_e32 v20, v18, v19
	s_waitcnt lgkmcnt(0)
	;;#ASMSTART
	v_cvt_f32_f16 v28, v28;
	;;#ASMEND
	s_waitcnt vmcnt(5)
	;;#ASMSTART
	v_cvt_f32_f16 v22, v22;
	;;#ASMEND
	ds_read_u16 v29, v11 offset:6
	v_fmac_f32_e32 v20, v28, v22
	s_waitcnt lgkmcnt(0)
	;;#ASMSTART
	v_cvt_f32_f16 v29, v29;
	;;#ASMEND
	s_waitcnt vmcnt(4)
	;;#ASMSTART
	v_cvt_f32_f16 v23, v23;
	;;#ASMEND
	;; [unrolled: 10-line block ×4, first 2 shown]
	v_fmac_f32_e32 v20, v31, v25
	ds_read_u16 v33, v11 offset:12
	s_waitcnt lgkmcnt(0)
	;;#ASMSTART
	v_cvt_f32_f16 v18, v33;
	;;#ASMEND
	s_waitcnt vmcnt(1)
	;;#ASMSTART
	v_cvt_f32_f16 v19, v26;
	;;#ASMEND
	v_fmac_f32_e32 v20, v18, v19
	ds_read_u16 v21, v11 offset:14
	s_waitcnt lgkmcnt(0)
	;;#ASMSTART
	v_cvt_f32_f16 v18, v21;
	;;#ASMEND
	s_waitcnt vmcnt(0)
	;;#ASMSTART
	v_cvt_f32_f16 v19, v27;
	;;#ASMEND
	v_fmac_f32_e32 v20, v18, v19
	ds_bpermute_b32 v18, v32, v20
	v_cndmask_b32_e64 v19, v5, v15, s[10:11]
	v_lshlrev_b32_e32 v19, 2, v19
	v_cmp_lt_i32_e64 s[10:11], v16, v8
	s_waitcnt lgkmcnt(0)
	v_add_f32_e32 v18, v20, v18
	ds_bpermute_b32 v19, v19, v18
	v_cndmask_b32_e64 v20, v5, v16, s[10:11]
	s_waitcnt lgkmcnt(0)
	v_add_f32_e32 v18, v18, v19
	v_lshlrev_b32_e32 v19, 2, v20
	ds_bpermute_b32 v19, v19, v18
	s_and_saveexec_b64 s[40:41], vcc
	s_cbranch_execz .LBB82_9
; %bb.11:                               ;   in Loop: Header=BB82_10 Depth=1
	v_add_u32_e32 v20, s19, v12
	v_cvt_f32_i32_e32 v20, v20
	s_waitcnt lgkmcnt(0)
	v_add_f32_e32 v18, v18, v19
	v_cmp_gt_i32_e64 s[10:11], s27, v12
	v_max_f32_e32 v19, v4, v4
	v_mul_f32_e32 v20, s7, v20
	v_cndmask_b32_e64 v20, 0, v20, s[4:5]
	v_fmac_f32_e32 v20, s13, v18
	v_cndmask_b32_e64 v18, 0, v20, s[10:11]
	ds_write_b32 v13, v18
	v_max_f32_e32 v18, v19, v20
	v_cndmask_b32_e64 v4, v4, v18, s[10:11]
	s_branch .LBB82_9
.LBB82_12:
	s_or_b64 exec, exec, s[38:39]
.LBB82_13:
	s_or_b64 exec, exec, s[36:37]
	v_xor_b32_e32 v2, 32, v5
	v_cmp_lt_i32_e32 vcc, v2, v8
	v_cndmask_b32_e32 v2, v5, v2, vcc
	v_lshlrev_b32_e32 v3, 2, v2
	ds_bpermute_b32 v2, v3, v4
	v_xor_b32_e32 v9, 16, v5
	v_max_f32_e32 v4, v4, v4
	v_cmp_lt_i32_e32 vcc, v9, v8
	v_and_b32_e32 v10, 63, v0
	s_waitcnt lgkmcnt(0)
	v_max_f32_e32 v2, v2, v2
	v_max_f32_e32 v2, v4, v2
	v_cndmask_b32_e32 v4, v5, v9, vcc
	v_lshlrev_b32_e32 v11, 2, v4
	ds_bpermute_b32 v4, v11, v2
	v_xor_b32_e32 v9, 8, v5
	v_cmp_lt_i32_e32 vcc, v9, v8
	s_waitcnt lgkmcnt(0)
	v_max_f32_e32 v4, v4, v4
	v_max_f32_e32 v4, v2, v4
	v_cndmask_b32_e32 v2, v5, v9, vcc
	v_lshlrev_b32_e32 v12, 2, v2
	ds_bpermute_b32 v9, v12, v4
	v_cmp_eq_u32_e32 vcc, 0, v10
	v_lshlrev_b32_e32 v2, 2, v1
	s_and_saveexec_b64 s[4:5], vcc
	s_cbranch_execz .LBB82_15
; %bb.14:
	s_waitcnt lgkmcnt(0)
	v_max_f32_e32 v9, v9, v9
	v_max_f32_e32 v4, v4, v4
	;; [unrolled: 1-line block ×3, first 2 shown]
	ds_write_b32 v2, v4 offset:128
.LBB82_15:
	s_or_b64 exec, exec, s[4:5]
	v_cmp_gt_u32_e64 s[4:5], 2, v10
	v_mov_b32_e32 v4, 0xff7fffff
	s_waitcnt lgkmcnt(0)
	v_lshlrev_b32_e32 v9, 2, v10
	s_barrier
	s_and_saveexec_b64 s[10:11], s[4:5]
	s_cbranch_execz .LBB82_17
; %bb.16:
	ds_read_b32 v4, v9 offset:128
.LBB82_17:
	s_or_b64 exec, exec, s[10:11]
	v_xor_b32_e32 v13, 1, v5
	v_cmp_lt_i32_e64 s[10:11], v13, v8
	v_cndmask_b32_e64 v13, v5, v13, s[10:11]
	v_lshlrev_b32_e32 v13, 2, v13
	s_waitcnt lgkmcnt(0)
	ds_bpermute_b32 v14, v13, v4
	v_max_f32_e32 v4, v4, v4
	s_sub_i32 s7, s15, s16
	s_lshl_b32 s7, s7, 3
	s_add_i32 s7, s7, s42
	s_waitcnt lgkmcnt(0)
	v_max_f32_e32 v14, v14, v14
	v_max_f32_e32 v4, v4, v14
	v_lshlrev_b32_e32 v14, 2, v5
	v_and_b32_e32 v14, 0xffffff00, v14
	ds_bpermute_b32 v4, v14, v4
	s_min_i32 s19, s7, s27
	s_sub_i32 s7, s19, s42
	v_cmp_gt_i32_e64 s[10:11], s7, v0
	v_mov_b32_e32 v15, 0
	s_and_saveexec_b64 s[36:37], s[10:11]
	s_cbranch_execz .LBB82_21
; %bb.18:
	v_mov_b32_e32 v15, 0x90
	v_lshl_add_u32 v16, v0, 2, v15
	s_mov_b64 s[38:39], 0
	v_mov_b32_e32 v15, 0
	v_mov_b32_e32 v17, v0
.LBB82_19:                              ; =>This Inner Loop Header: Depth=1
	ds_read_b32 v18, v16
	v_add_u32_e32 v17, 0x80, v17
	v_cmp_le_i32_e64 s[12:13], s7, v17
	s_or_b64 s[38:39], s[12:13], s[38:39]
	s_waitcnt lgkmcnt(0)
	v_sub_f32_e32 v18, v18, v4
	v_mul_f32_e32 v18, 0x3fb8aa3b, v18
	v_exp_f32_e32 v18, v18
	ds_write_b32 v16, v18
	v_add_f32_e32 v15, v15, v18
	v_add_u32_e32 v16, 0x200, v16
	s_andn2_b64 exec, exec, s[38:39]
	s_cbranch_execnz .LBB82_19
; %bb.20:
	s_or_b64 exec, exec, s[38:39]
.LBB82_21:
	s_or_b64 exec, exec, s[36:37]
	ds_bpermute_b32 v3, v3, v15
	s_waitcnt lgkmcnt(0)
	v_add_f32_e32 v3, v15, v3
	ds_bpermute_b32 v11, v11, v3
	s_waitcnt lgkmcnt(0)
	v_add_f32_e32 v3, v3, v11
	ds_bpermute_b32 v11, v12, v3
	v_xor_b32_e32 v12, 4, v5
	v_cmp_lt_i32_e64 s[12:13], v12, v8
	v_cndmask_b32_e64 v12, v5, v12, s[12:13]
	v_lshlrev_b32_e32 v12, 2, v12
	s_waitcnt lgkmcnt(0)
	v_add_f32_e32 v3, v3, v11
	ds_bpermute_b32 v11, v12, v3
	v_xor_b32_e32 v12, 2, v5
	v_cmp_lt_i32_e64 s[12:13], v12, v8
	v_cndmask_b32_e64 v5, v5, v12, s[12:13]
	v_lshlrev_b32_e32 v5, 2, v5
	s_waitcnt lgkmcnt(0)
	v_add_f32_e32 v3, v3, v11
	ds_bpermute_b32 v5, v5, v3
	s_waitcnt lgkmcnt(0)
	v_add_f32_e32 v3, v3, v5
	ds_bpermute_b32 v5, v13, v3
	s_waitcnt lgkmcnt(0)
	v_add_f32_e32 v3, v3, v5
	s_and_saveexec_b64 s[12:13], vcc
	s_cbranch_execz .LBB82_23
; %bb.22:
	ds_write_b32 v2, v3 offset:136
.LBB82_23:
	s_or_b64 exec, exec, s[12:13]
	s_waitcnt lgkmcnt(0)
	s_barrier
	s_and_saveexec_b64 s[12:13], s[4:5]
	s_cbranch_execz .LBB82_25
; %bb.24:
	ds_read_b32 v3, v9 offset:136
.LBB82_25:
	s_or_b64 exec, exec, s[12:13]
	s_waitcnt lgkmcnt(0)
	ds_bpermute_b32 v2, v13, v3
	s_waitcnt lgkmcnt(0)
	v_add_f32_e32 v2, v3, v2
	ds_bpermute_b32 v5, v14, v2
	s_and_saveexec_b64 s[4:5], s[10:11]
	s_cbranch_execz .LBB82_38
; %bb.26:
	s_waitcnt lgkmcnt(0)
	v_add_f32_e32 v2, 0x358637bd, v5
	v_div_scale_f32 v3, s[10:11], v2, v2, 1.0
	v_rcp_f32_e32 v8, v3
	v_div_scale_f32 v9, vcc, 1.0, v2, 1.0
	s_movk_i32 s10, 0x7f
	v_fma_f32 v11, -v3, v8, 1.0
	v_fmac_f32_e32 v8, v11, v8
	v_mul_f32_e32 v11, v9, v8
	v_fma_f32 v12, -v3, v11, v9
	v_fmac_f32_e32 v11, v12, v8
	v_fma_f32 v3, -v3, v11, v9
	v_div_fmas_f32 v3, v3, v8, v11
	v_div_fixup_f32 v2, v3, v2, 1.0
	v_xad_u32 v3, v0, -1, s19
	v_subrev_u32_e32 v8, s42, v3
	v_cmp_lt_u32_e32 vcc, s10, v8
	s_mov_b64 s[12:13], -1
	v_mov_b32_e32 v3, v0
	s_and_saveexec_b64 s[10:11], vcc
	s_cbranch_execz .LBB82_35
; %bb.27:
	v_lshrrev_b32_e32 v8, 7, v8
	v_add_u32_e32 v11, -1, v8
	v_lshrrev_b32_e32 v9, 1, v11
	v_mov_b32_e32 v3, v2
	v_add_u32_e32 v9, 1, v9
	v_cmp_lt_u32_e32 vcc, 13, v11
	v_mov_b32_e32 v13, 0
	s_and_saveexec_b64 s[12:13], vcc
	s_cbranch_execz .LBB82_31
; %bb.28:
	v_mov_b32_e32 v12, 0x90
	v_and_b32_e32 v11, -8, v9
	v_lshl_add_u32 v12, v0, 2, v12
	s_mov_b32 s19, 0
	s_mov_b64 s[36:37], 0
.LBB82_29:                              ; =>This Inner Loop Header: Depth=1
	ds_read2st64_b32 v[14:15], v12 offset1:2
	ds_read2st64_b32 v[16:17], v12 offset0:4 offset1:6
	ds_read2st64_b32 v[18:19], v12 offset0:8 offset1:10
	;; [unrolled: 1-line block ×3, first 2 shown]
	v_add_u32_e32 v11, -8, v11
	s_waitcnt lgkmcnt(3)
	v_pk_mul_f32 v[14:15], v[2:3], v[14:15]
	s_waitcnt lgkmcnt(2)
	v_pk_mul_f32 v[16:17], v[2:3], v[16:17]
	ds_write2st64_b32 v12, v14, v15 offset1:2
	ds_write2st64_b32 v12, v16, v17 offset0:4 offset1:6
	ds_read2st64_b32 v[16:17], v12 offset0:16 offset1:18
	s_waitcnt lgkmcnt(4)
	v_pk_mul_f32 v[14:15], v[2:3], v[18:19]
	ds_write2st64_b32 v12, v14, v15 offset0:8 offset1:10
	s_waitcnt lgkmcnt(4)
	v_pk_mul_f32 v[14:15], v[2:3], v[20:21]
	ds_write2st64_b32 v12, v14, v15 offset0:12 offset1:14
	ds_read2st64_b32 v[14:15], v12 offset0:20 offset1:22
	s_waitcnt lgkmcnt(3)
	v_pk_mul_f32 v[16:17], v[2:3], v[16:17]
	ds_read2st64_b32 v[18:19], v12 offset0:24 offset1:26
	ds_write2st64_b32 v12, v16, v17 offset0:16 offset1:18
	ds_read2st64_b32 v[16:17], v12 offset0:28 offset1:30
	s_waitcnt lgkmcnt(3)
	v_pk_mul_f32 v[14:15], v[2:3], v[14:15]
	ds_write2st64_b32 v12, v14, v15 offset0:20 offset1:22
	s_waitcnt lgkmcnt(3)
	v_pk_mul_f32 v[14:15], v[2:3], v[18:19]
	ds_write2st64_b32 v12, v14, v15 offset0:24 offset1:26
	s_waitcnt lgkmcnt(2)
	v_pk_mul_f32 v[14:15], v[2:3], v[16:17]
	s_add_i32 s19, s19, 16
	v_cmp_eq_u32_e32 vcc, 0, v11
	ds_write2st64_b32 v12, v14, v15 offset0:28 offset1:30
	v_add_u32_e32 v12, 0x2000, v12
	s_or_b64 s[36:37], vcc, s[36:37]
	v_mov_b32_e32 v13, s19
	s_andn2_b64 exec, exec, s[36:37]
	s_cbranch_execnz .LBB82_29
; %bb.30:
	s_or_b64 exec, exec, s[36:37]
.LBB82_31:
	s_or_b64 exec, exec, s[12:13]
	v_and_b32_e32 v9, 7, v9
	v_cmp_ne_u32_e32 vcc, 0, v9
	s_and_saveexec_b64 s[12:13], vcc
	s_cbranch_execz .LBB82_34
; %bb.32:
	v_lshlrev_b32_e32 v11, 9, v13
	v_lshlrev_b32_e32 v12, 2, v0
	s_movk_i32 s19, 0x90
	v_add3_u32 v11, v11, v12, s19
	s_mov_b64 s[36:37], 0
.LBB82_33:                              ; =>This Inner Loop Header: Depth=1
	ds_read2st64_b32 v[12:13], v11 offset1:2
	v_add_u32_e32 v9, -1, v9
	v_cmp_eq_u32_e32 vcc, 0, v9
	s_or_b64 s[36:37], vcc, s[36:37]
	s_waitcnt lgkmcnt(0)
	v_pk_mul_f32 v[12:13], v[2:3], v[12:13]
	ds_write2st64_b32 v11, v12, v13 offset1:2
	v_add_u32_e32 v11, 0x400, v11
	s_andn2_b64 exec, exec, s[36:37]
	s_cbranch_execnz .LBB82_33
.LBB82_34:
	s_or_b64 exec, exec, s[12:13]
	v_add_u32_e32 v8, 1, v8
	v_and_b32_e32 v9, 0x3fffffe, v8
	v_cmp_ne_u32_e32 vcc, v8, v9
	v_lshl_add_u32 v3, v9, 7, v0
	s_orn2_b64 s[12:13], vcc, exec
.LBB82_35:
	s_or_b64 exec, exec, s[10:11]
	s_and_b64 exec, exec, s[12:13]
	s_cbranch_execz .LBB82_38
; %bb.36:
	v_mov_b32_e32 v8, 0x90
	v_lshl_add_u32 v8, v3, 2, v8
	s_mov_b64 s[10:11], 0
.LBB82_37:                              ; =>This Inner Loop Header: Depth=1
	ds_read_b32 v9, v8
	v_add_u32_e32 v3, 0x80, v3
	v_cmp_le_i32_e32 vcc, s7, v3
	s_or_b64 s[10:11], vcc, s[10:11]
	s_waitcnt lgkmcnt(0)
	v_mul_f32_e32 v9, v2, v9
	ds_write_b32 v8, v9
	v_add_u32_e32 v8, 0x200, v8
	s_andn2_b64 exec, exec, s[10:11]
	s_cbranch_execnz .LBB82_37
.LBB82_38:
	s_or_b64 exec, exec, s[4:5]
	s_mul_i32 s4, s33, s26
	v_cmp_eq_u32_e32 vcc, 0, v0
	s_mul_i32 s4, s4, s9
	s_waitcnt lgkmcnt(0)
	s_barrier
	s_and_saveexec_b64 s[10:11], vcc
	s_cbranch_execz .LBB82_40
; %bb.39:
	s_ashr_i32 s5, s4, 31
	s_lshl_b64 s[12:13], s[4:5], 2
	s_add_u32 s5, s22, s12
	s_mul_i32 s6, s33, s6
	s_addc_u32 s9, s23, s13
	s_ashr_i32 s7, s6, 31
	s_lshl_b64 s[6:7], s[6:7], 2
	s_add_u32 s5, s5, s6
	s_addc_u32 s19, s9, s7
	s_ashr_i32 s9, s8, 31
	s_lshl_b64 s[8:9], s[8:9], 2
	s_add_u32 s22, s5, s8
	s_addc_u32 s23, s19, s9
	s_add_u32 s5, s20, s12
	s_addc_u32 s12, s21, s13
	;; [unrolled: 2-line block ×3, first 2 shown]
	s_add_u32 s6, s5, s8
	v_mov_b32_e32 v2, 0
	s_addc_u32 s7, s7, s9
	global_store_dword v2, v4, s[22:23]
	global_store_dword v2, v5, s[6:7]
.LBB82_40:
	s_or_b64 exec, exec, s[10:11]
	v_mov_b32_e32 v11, 0
	s_and_saveexec_b64 s[6:7], s[2:3]
	s_cbranch_execz .LBB82_46
; %bb.41:
	s_ashr_i32 s19, s18, 31
	s_lshl_b64 s[2:3], s[18:19], 1
	s_add_u32 s2, s34, s2
	s_addc_u32 s3, s35, s3
	v_lshlrev_b32_e32 v2, 4, v10
	v_mov_b32_e32 v3, s3
	v_add_co_u32_e32 v12, vcc, s2, v2
	s_add_i32 s43, s43, -1
	s_lshl_b64 s[2:3], s[30:31], 2
	v_mov_b32_e32 v2, 0x90
	s_add_u32 s2, s28, s2
	v_addc_co_u32_e32 v13, vcc, 0, v3, vcc
	v_lshl_add_u32 v14, v1, 3, s42
	v_lshl_add_u32 v1, v1, 5, v2
	v_lshlrev_b64 v[2:3], 2, v[6:7]
	s_addc_u32 s3, s29, s3
	v_mov_b32_e32 v4, s3
	v_add_co_u32_e32 v8, vcc, s2, v2
	s_mov_b32 s5, s17
	v_mov_b32_e32 v11, 0
	s_mov_b32 s10, s27
	s_mov_b32 s11, s27
	;; [unrolled: 1-line block ×7, first 2 shown]
	v_addc_co_u32_e32 v9, vcc, v4, v3, vcc
	s_mov_b64 s[2:3], 0
	s_mov_b32 s20, 0x5040100
	s_branch .LBB82_43
.LBB82_42:                              ;   in Loop: Header=BB82_43 Depth=1
	s_or_b64 exec, exec, s[8:9]
	v_and_b32_e32 v7, 0xffff, v7
	v_lshl_or_b32 v7, v15, 16, v7
	v_and_b32_e32 v15, 0xffff, v16
	v_lshl_or_b32 v15, v17, 16, v15
	v_and_b32_e32 v16, 0xffff, v18
	v_and_b32_e32 v17, 0xffff, v20
	s_waitcnt vmcnt(0)
	;;#ASMSTART
	v_pk_mul_f16 v2, v7, v2;

	;;#ASMEND
	v_lshl_or_b32 v16, v19, 16, v16
	v_lshl_or_b32 v17, v21, 16, v17
	;;#ASMSTART
	v_pk_mul_f16 v3, v15, v3;

	;;#ASMEND
	;;#ASMSTART
	v_pk_mul_f16 v4, v16, v4;

	;;#ASMEND
	;; [unrolled: 4-line block ×3, first 2 shown]
	;;#ASMSTART
	v_pk_add_f16 v2, v2, v3;

	;;#ASMEND
	;;#ASMSTART
	v_pk_add_f16 v2, v2, v4;

	;;#ASMEND
	;; [unrolled: 4-line block ×3, first 2 shown]
	v_lshrrev_b32_e32 v3, 16, v2
	v_and_b32_e32 v2, 0xffff, v2
	v_add_u32_e32 v6, 2, v6
	;;#ASMSTART
	v_cvt_f32_f16 v2, v2;
	;;#ASMEND
	v_cmp_le_i32_e32 vcc, s15, v6
	;;#ASMSTART
	v_cvt_f32_f16 v3, v3;
	;;#ASMEND
	v_add_f32_e32 v2, v2, v3
	s_or_b64 s[2:3], vcc, s[2:3]
	v_add_co_u32_e32 v8, vcc, 8, v8
	v_add_f32_e32 v11, v11, v2
	v_add_u32_e32 v14, 16, v14
	v_add_u32_e32 v1, 64, v1
	v_addc_co_u32_e32 v9, vcc, 0, v9, vcc
	s_andn2_b64 exec, exec, s[2:3]
	s_cbranch_execz .LBB82_45
.LBB82_43:                              ; =>This Inner Loop Header: Depth=1
	global_load_dword v22, v[8:9], off
	ds_read2_b64 v[2:5], v1 offset1:1
	ds_read2_b64 v[18:21], v1 offset0:2 offset1:3
	s_waitcnt lgkmcnt(1)
	;;#ASMSTART
	v_cvt_f16_f32 v7, v2;

	;;#ASMEND
	;;#ASMSTART
	v_cvt_f16_f32 v15, v3;

	;;#ASMEND
	;; [unrolled: 4-line block ×4, first 2 shown]
	s_waitcnt lgkmcnt(0)
	;;#ASMSTART
	v_cvt_f16_f32 v18, v18;

	;;#ASMEND
	;;#ASMSTART
	v_cvt_f16_f32 v19, v19;

	;;#ASMEND
	;; [unrolled: 4-line block ×4, first 2 shown]
	s_waitcnt vmcnt(0)
	v_mad_i64_i32 v[2:3], s[8:9], v22, s5, 0
	v_lshlrev_b64 v[2:3], 1, v[2:3]
	v_add_co_u32_e32 v2, vcc, v12, v2
	v_addc_co_u32_e32 v3, vcc, v13, v3, vcc
	global_load_dwordx4 v[2:5], v[2:3], off
	v_cmp_eq_u32_e32 vcc, s43, v6
	s_and_saveexec_b64 s[8:9], vcc
	s_cbranch_execz .LBB82_42
; %bb.44:                               ;   in Loop: Header=BB82_43 Depth=1
	v_or_b32_e32 v27, 7, v14
	v_or_b32_e32 v28, 6, v14
	s_waitcnt vmcnt(0)
	v_lshrrev_b32_e32 v29, 16, v5
	v_cmp_gt_i32_e32 vcc, s19, v27
	v_cndmask_b32_e32 v27, 0, v29, vcc
	v_cmp_gt_i32_e32 vcc, s18, v28
	v_or_b32_e32 v25, 5, v14
	v_cndmask_b32_e32 v5, 0, v5, vcc
	v_or_b32_e32 v26, 4, v14
	v_perm_b32 v5, v27, v5, s20
	v_lshrrev_b32_e32 v27, 16, v4
	v_cmp_gt_i32_e32 vcc, s17, v25
	v_cndmask_b32_e32 v25, 0, v27, vcc
	v_cmp_gt_i32_e32 vcc, s13, v26
	v_or_b32_e32 v23, 3, v14
	v_cndmask_b32_e32 v4, 0, v4, vcc
	v_or_b32_e32 v24, 2, v14
	v_perm_b32 v4, v25, v4, s20
	v_lshrrev_b32_e32 v25, 16, v3
	v_cmp_gt_i32_e32 vcc, s12, v23
	v_cndmask_b32_e32 v23, 0, v25, vcc
	v_cmp_gt_i32_e32 vcc, s11, v24
	v_add_u32_e32 v22, 1, v14
	v_cndmask_b32_e32 v3, 0, v3, vcc
	v_perm_b32 v3, v23, v3, s20
	v_lshrrev_b32_e32 v23, 16, v2
	v_cmp_gt_i32_e32 vcc, s10, v22
	v_cndmask_b32_e32 v22, 0, v23, vcc
	v_cmp_gt_i32_e32 vcc, s27, v14
	v_cndmask_b32_e32 v2, 0, v2, vcc
	v_perm_b32 v2, v22, v2, s20
	s_branch .LBB82_42
.LBB82_45:
	s_or_b64 exec, exec, s[2:3]
.LBB82_46:
	s_or_b64 exec, exec, s[6:7]
	v_and_b32_e32 v0, 0x3c0, v0
	v_cmp_eq_u32_e32 vcc, 64, v0
	s_barrier
	s_and_saveexec_b64 s[2:3], vcc
	s_cbranch_execz .LBB82_48
; %bb.47:
	v_mov_b32_e32 v0, 0x90
	v_lshl_add_u32 v0, v10, 2, v0
	ds_write_b32 v0, v11
.LBB82_48:
	s_or_b64 exec, exec, s[2:3]
	s_waitcnt lgkmcnt(0)
	s_barrier
	s_and_saveexec_b64 s[2:3], s[0:1]
	s_cbranch_execz .LBB82_50
; %bb.49:
	v_mov_b32_e32 v0, 0x90
	v_lshl_add_u32 v0, v10, 2, v0
	ds_read_b32 v0, v0
	s_waitcnt lgkmcnt(0)
	v_add_f32_e32 v11, v11, v0
.LBB82_50:
	s_or_b64 exec, exec, s[2:3]
	s_barrier
	s_and_saveexec_b64 s[2:3], s[0:1]
	s_cbranch_execz .LBB82_52
; %bb.51:
	s_lshl_b32 s0, s4, 6
	s_ashr_i32 s1, s0, 31
	s_lshl_b64 s[0:1], s[0:1], 1
	s_add_u32 s2, s24, s0
	s_mul_i32 s0, s33, s14
	s_addc_u32 s3, s25, s1
	s_ashr_i32 s1, s0, 31
	s_lshl_b64 s[0:1], s[0:1], 1
	s_add_u32 s2, s2, s0
	s_addc_u32 s3, s3, s1
	s_ashr_i32 s17, s16, 31
	s_lshl_b64 s[0:1], s[16:17], 1
	s_add_u32 s0, s2, s0
	s_addc_u32 s1, s3, s1
	v_lshlrev_b32_e32 v0, 1, v10
	;;#ASMSTART
	v_cvt_f16_f32 v1, v11;

	;;#ASMEND
	global_store_short v0, v1, s[0:1]
.LBB82_52:
	s_endpgm
	.section	.rodata,"a",@progbits
	.p2align	6, 0x0
	.amdhsa_kernel _ZN4vllm25paged_attention_v2_kernelIttLi64ELi8ELi128ELNS_18Fp8KVCacheDataTypeE0ELb0ELi512EEEvPfS2_PT_PKS3_PKT0_S9_ifPKiSB_iPKfiiiSD_SD_iiiii
		.amdhsa_group_segment_fixed_size 144
		.amdhsa_private_segment_fixed_size 0
		.amdhsa_kernarg_size 400
		.amdhsa_user_sgpr_count 6
		.amdhsa_user_sgpr_private_segment_buffer 1
		.amdhsa_user_sgpr_dispatch_ptr 0
		.amdhsa_user_sgpr_queue_ptr 0
		.amdhsa_user_sgpr_kernarg_segment_ptr 1
		.amdhsa_user_sgpr_dispatch_id 0
		.amdhsa_user_sgpr_flat_scratch_init 0
		.amdhsa_user_sgpr_kernarg_preload_length 0
		.amdhsa_user_sgpr_kernarg_preload_offset 0
		.amdhsa_user_sgpr_private_segment_size 0
		.amdhsa_uses_dynamic_stack 0
		.amdhsa_system_sgpr_private_segment_wavefront_offset 0
		.amdhsa_system_sgpr_workgroup_id_x 1
		.amdhsa_system_sgpr_workgroup_id_y 1
		.amdhsa_system_sgpr_workgroup_id_z 1
		.amdhsa_system_sgpr_workgroup_info 0
		.amdhsa_system_vgpr_workitem_id 0
		.amdhsa_next_free_vgpr 34
		.amdhsa_next_free_sgpr 44
		.amdhsa_accum_offset 36
		.amdhsa_reserve_vcc 1
		.amdhsa_reserve_flat_scratch 0
		.amdhsa_float_round_mode_32 0
		.amdhsa_float_round_mode_16_64 0
		.amdhsa_float_denorm_mode_32 3
		.amdhsa_float_denorm_mode_16_64 3
		.amdhsa_dx10_clamp 1
		.amdhsa_ieee_mode 1
		.amdhsa_fp16_overflow 0
		.amdhsa_tg_split 0
		.amdhsa_exception_fp_ieee_invalid_op 0
		.amdhsa_exception_fp_denorm_src 0
		.amdhsa_exception_fp_ieee_div_zero 0
		.amdhsa_exception_fp_ieee_overflow 0
		.amdhsa_exception_fp_ieee_underflow 0
		.amdhsa_exception_fp_ieee_inexact 0
		.amdhsa_exception_int_div_zero 0
	.end_amdhsa_kernel
	.section	.text._ZN4vllm25paged_attention_v2_kernelIttLi64ELi8ELi128ELNS_18Fp8KVCacheDataTypeE0ELb0ELi512EEEvPfS2_PT_PKS3_PKT0_S9_ifPKiSB_iPKfiiiSD_SD_iiiii,"axG",@progbits,_ZN4vllm25paged_attention_v2_kernelIttLi64ELi8ELi128ELNS_18Fp8KVCacheDataTypeE0ELb0ELi512EEEvPfS2_PT_PKS3_PKT0_S9_ifPKiSB_iPKfiiiSD_SD_iiiii,comdat
.Lfunc_end82:
	.size	_ZN4vllm25paged_attention_v2_kernelIttLi64ELi8ELi128ELNS_18Fp8KVCacheDataTypeE0ELb0ELi512EEEvPfS2_PT_PKS3_PKT0_S9_ifPKiSB_iPKfiiiSD_SD_iiiii, .Lfunc_end82-_ZN4vllm25paged_attention_v2_kernelIttLi64ELi8ELi128ELNS_18Fp8KVCacheDataTypeE0ELb0ELi512EEEvPfS2_PT_PKS3_PKT0_S9_ifPKiSB_iPKfiiiSD_SD_iiiii
                                        ; -- End function
	.section	.AMDGPU.csdata,"",@progbits
; Kernel info:
; codeLenInByte = 3808
; NumSgprs: 48
; NumVgprs: 34
; NumAgprs: 0
; TotalNumVgprs: 34
; ScratchSize: 0
; MemoryBound: 0
; FloatMode: 240
; IeeeMode: 1
; LDSByteSize: 144 bytes/workgroup (compile time only)
; SGPRBlocks: 5
; VGPRBlocks: 4
; NumSGPRsForWavesPerEU: 48
; NumVGPRsForWavesPerEU: 34
; AccumOffset: 36
; Occupancy: 8
; WaveLimiterHint : 1
; COMPUTE_PGM_RSRC2:SCRATCH_EN: 0
; COMPUTE_PGM_RSRC2:USER_SGPR: 6
; COMPUTE_PGM_RSRC2:TRAP_HANDLER: 0
; COMPUTE_PGM_RSRC2:TGID_X_EN: 1
; COMPUTE_PGM_RSRC2:TGID_Y_EN: 1
; COMPUTE_PGM_RSRC2:TGID_Z_EN: 1
; COMPUTE_PGM_RSRC2:TIDIG_COMP_CNT: 0
; COMPUTE_PGM_RSRC3_GFX90A:ACCUM_OFFSET: 8
; COMPUTE_PGM_RSRC3_GFX90A:TG_SPLIT: 0
	.section	.text._ZN4vllm25paged_attention_v2_kernelIttLi80ELi8ELi128ELNS_18Fp8KVCacheDataTypeE0ELb0ELi512EEEvPfS2_PT_PKS3_PKT0_S9_ifPKiSB_iPKfiiiSD_SD_iiiii,"axG",@progbits,_ZN4vllm25paged_attention_v2_kernelIttLi80ELi8ELi128ELNS_18Fp8KVCacheDataTypeE0ELb0ELi512EEEvPfS2_PT_PKS3_PKT0_S9_ifPKiSB_iPKfiiiSD_SD_iiiii,comdat
	.protected	_ZN4vllm25paged_attention_v2_kernelIttLi80ELi8ELi128ELNS_18Fp8KVCacheDataTypeE0ELb0ELi512EEEvPfS2_PT_PKS3_PKT0_S9_ifPKiSB_iPKfiiiSD_SD_iiiii ; -- Begin function _ZN4vllm25paged_attention_v2_kernelIttLi80ELi8ELi128ELNS_18Fp8KVCacheDataTypeE0ELb0ELi512EEEvPfS2_PT_PKS3_PKT0_S9_ifPKiSB_iPKfiiiSD_SD_iiiii
	.globl	_ZN4vllm25paged_attention_v2_kernelIttLi80ELi8ELi128ELNS_18Fp8KVCacheDataTypeE0ELb0ELi512EEEvPfS2_PT_PKS3_PKT0_S9_ifPKiSB_iPKfiiiSD_SD_iiiii
	.p2align	8
	.type	_ZN4vllm25paged_attention_v2_kernelIttLi80ELi8ELi128ELNS_18Fp8KVCacheDataTypeE0ELb0ELi512EEEvPfS2_PT_PKS3_PKT0_S9_ifPKiSB_iPKfiiiSD_SD_iiiii,@function
_ZN4vllm25paged_attention_v2_kernelIttLi80ELi8ELi128ELNS_18Fp8KVCacheDataTypeE0ELb0ELi512EEEvPfS2_PT_PKS3_PKT0_S9_ifPKiSB_iPKfiiiSD_SD_iiiii: ; @_ZN4vllm25paged_attention_v2_kernelIttLi80ELi8ELi128ELNS_18Fp8KVCacheDataTypeE0ELb0ELi512EEEvPfS2_PT_PKS3_PKT0_S9_ifPKiSB_iPKfiiiSD_SD_iiiii
; %bb.0:
	s_load_dwordx2 s[0:1], s[4:5], 0x40
	s_mov_b32 s26, s7
	s_ashr_i32 s27, s7, 31
	s_lshl_b64 s[2:3], s[26:27], 2
	s_waitcnt lgkmcnt(0)
	s_add_u32 s0, s0, s2
	s_addc_u32 s1, s1, s3
	s_load_dword s27, s[0:1], 0x0
	s_lshl_b32 s42, s8, 9
	s_waitcnt lgkmcnt(0)
	s_cmp_ge_i32 s42, s27
	s_cbranch_scc1 .LBB83_60
; %bb.1:
	s_load_dword s9, s[4:5], 0x90
	s_load_dwordx2 s[12:13], s[4:5], 0x30
	s_waitcnt lgkmcnt(0)
	s_abs_i32 s2, s9
	s_abs_i32 s0, s12
	v_cvt_f32_u32_e32 v1, s0
	s_sub_i32 s3, 0, s0
	s_xor_b32 s1, s9, s12
	s_ashr_i32 s1, s1, 31
	v_rcp_iflag_f32_e32 v1, v1
	s_mov_b32 s12, 0
	v_mul_f32_e32 v1, 0x4f7ffffe, v1
	v_cvt_u32_f32_e32 v1, v1
	v_readfirstlane_b32 s7, v1
	s_mul_i32 s3, s3, s7
	s_mul_hi_u32 s3, s7, s3
	s_add_i32 s7, s7, s3
	s_mul_hi_u32 s3, s2, s7
	s_mul_i32 s7, s3, s0
	s_sub_i32 s2, s2, s7
	s_add_i32 s10, s3, 1
	s_sub_i32 s7, s2, s0
	s_cmp_ge_u32 s2, s0
	s_cselect_b32 s3, s10, s3
	s_cselect_b32 s2, s7, s2
	s_add_i32 s7, s3, 1
	s_cmp_ge_u32 s2, s0
	s_cselect_b32 s0, s7, s3
	s_xor_b32 s0, s0, s1
	s_sub_i32 s2, s0, s1
	s_abs_i32 s10, s2
	v_cvt_f32_u32_e32 v1, s10
	s_load_dwordx2 s[0:1], s[4:5], 0x50
	s_sub_i32 s3, 0, s10
	s_abs_i32 s11, s6
	v_rcp_iflag_f32_e32 v1, v1
	v_mul_f32_e32 v1, 0x4f7ffffe, v1
	v_cvt_u32_f32_e32 v1, v1
	v_readfirstlane_b32 s7, v1
	s_mul_i32 s3, s3, s7
	s_mul_hi_u32 s3, s7, s3
	s_add_i32 s7, s7, s3
	s_waitcnt lgkmcnt(0)
	s_cmp_eq_u64 s[0:1], 0
	s_mul_hi_u32 s20, s11, s7
	s_cbranch_scc1 .LBB83_3
; %bb.2:
	s_ashr_i32 s7, s6, 31
	s_lshl_b64 s[14:15], s[6:7], 2
	s_add_u32 s0, s0, s14
	s_addc_u32 s1, s1, s15
	s_load_dword s12, s[0:1], 0x0
.LBB83_3:
	s_load_dwordx4 s[16:19], s[4:5], 0x58
	s_movk_i32 s0, 0x50
	s_ashr_i32 s21, s6, 31
	s_ashr_i32 s22, s2, 31
	v_and_b32_e32 v2, 7, v0
	s_mul_i32 s14, s6, 0x50
	v_cmp_gt_u32_e64 s[0:1], s0, v0
	v_lshlrev_b32_e32 v1, 1, v0
	s_and_saveexec_b64 s[2:3], s[0:1]
	s_cbranch_execz .LBB83_5
; %bb.4:
	s_load_dwordx2 s[24:25], s[4:5], 0x18
	s_waitcnt lgkmcnt(0)
	s_mul_i32 s28, s26, s16
	s_ashr_i32 s29, s28, 31
	s_lshl_b64 s[28:29], s[28:29], 1
	v_lshrrev_b32_e32 v4, 2, v0
	s_add_u32 s7, s24, s28
	s_addc_u32 s16, s25, s29
	s_ashr_i32 s15, s14, 31
	s_lshl_b64 s[24:25], s[14:15], 1
	s_add_u32 s24, s7, s24
	s_addc_u32 s25, s16, s25
	global_load_ushort v3, v1, s[24:25]
	v_and_b32_e32 v4, 0xfe, v4
	v_mad_u32_u24 v4, v2, 20, v4
	s_waitcnt vmcnt(0)
	ds_write_b16 v4, v3
.LBB83_5:
	s_or_b64 exec, exec, s[2:3]
	s_add_i32 s2, s27, 7
	s_ashr_i32 s3, s2, 31
	s_lshr_b32 s3, s3, 29
	s_add_i32 s2, s2, s3
	s_lshl_b32 s7, s8, 6
	s_mul_i32 s3, s20, s10
	s_waitcnt lgkmcnt(0)
	s_ashr_i32 s16, s2, 3
	s_add_i32 s2, s7, 64
	s_sub_i32 s3, s11, s3
	s_min_i32 s33, s2, s16
	s_xor_b32 s2, s21, s22
	s_add_i32 s11, s20, 1
	s_sub_i32 s15, s3, s10
	s_cmp_ge_u32 s3, s10
	s_cselect_b32 s11, s11, s20
	s_cselect_b32 s3, s15, s3
	s_add_i32 s15, s11, 1
	s_cmp_ge_u32 s3, s10
	s_load_dwordx2 s[28:29], s[4:5], 0x38
	s_load_dword s10, s[4:5], 0x48
	v_lshrrev_b32_e32 v4, 6, v0
	s_cselect_b32 s3, s15, s11
	s_xor_b32 s3, s3, s2
	v_or_b32_e32 v6, s7, v4
	s_waitcnt lgkmcnt(0)
	s_mul_i32 s30, s26, s10
	s_sub_i32 s19, s3, s2
	s_ashr_i32 s31, s30, 31
	v_cmp_gt_i32_e64 s[2:3], s33, v6
	v_cmp_le_i32_e32 vcc, s33, v6
	v_mbcnt_lo_u32_b32 v15, -1, 0
	s_barrier
	s_waitcnt lgkmcnt(0)
                                        ; implicit-def: $sgpr38
                                        ; implicit-def: $vgpr8
                                        ; implicit-def: $vgpr9
	s_and_saveexec_b64 s[10:11], vcc
	s_xor_b64 s[10:11], exec, s[10:11]
; %bb.6:
	v_mbcnt_hi_u32_b32 v8, -1, v15
	v_and_b32_e32 v2, 64, v8
	v_add_u32_e32 v9, 64, v2
	s_mov_b32 s38, 0xff7fffff
                                        ; implicit-def: $vgpr2
                                        ; implicit-def: $vgpr15
; %bb.7:
	s_or_saveexec_b64 s[36:37], s[10:11]
	s_load_dwordx4 s[20:23], s[4:5], 0x0
	s_load_dwordx2 s[24:25], s[4:5], 0x10
	s_load_dwordx2 s[34:35], s[4:5], 0x28
	s_load_dword s15, s[4:5], 0x98
	v_mov_b32_e32 v5, s38
	s_mul_i32 s18, s19, s18
	v_ashrrev_i32_e32 v7, 31, v6
	s_xor_b64 exec, exec, s[36:37]
	s_cbranch_execz .LBB83_13
; %bb.8:
	s_load_dwordx2 s[4:5], s[4:5], 0x20
	s_ashr_i32 s19, s18, 31
	s_lshl_b64 s[10:11], s[18:19], 1
	v_bfe_u32 v3, v0, 3, 3
	v_lshlrev_b32_e32 v5, 4, v3
	s_waitcnt lgkmcnt(0)
	s_add_u32 s4, s4, s10
	s_addc_u32 s5, s5, s11
	v_mov_b32_e32 v8, s5
	v_add_co_u32_e32 v5, vcc, s4, v5
	v_addc_co_u32_e32 v8, vcc, 0, v8, vcc
	v_lshlrev_b32_e32 v9, 1, v2
	v_add_co_u32_e32 v10, vcc, v5, v9
	v_addc_co_u32_e32 v11, vcc, 0, v8, vcc
	v_mul_u32_u24_e32 v12, 20, v2
	v_cmp_eq_u32_e32 vcc, 0, v2
	v_lshlrev_b32_e32 v2, 3, v4
	s_sub_i32 s19, 1, s27
	v_add3_u32 v13, s42, v2, v3
	v_lshlrev_b32_e32 v2, 2, v3
	s_lshl_b64 s[10:11], s[30:31], 2
	v_lshl_or_b32 v2, v4, 5, v2
	s_add_u32 s10, s28, s10
	v_add_u32_e32 v14, 0xb0, v2
	v_lshlrev_b64 v[2:3], 2, v[6:7]
	s_addc_u32 s11, s29, s11
	v_mbcnt_hi_u32_b32 v8, -1, v15
	v_mov_b32_e32 v5, s11
	v_add_co_u32_e64 v2, s[10:11], s10, v2
	v_and_b32_e32 v9, 64, v8
	s_mov_b32 s43, s17
	v_cmp_neq_f32_e64 s[4:5], s12, 0
	v_addc_co_u32_e64 v3, s[10:11], v5, v3, s[10:11]
	s_mov_b64 s[38:39], 0
	v_mov_b32_e32 v5, 0xff7fffff
	v_add_u32_e32 v9, 64, v9
	v_xor_b32_e32 v15, 4, v8
	v_xor_b32_e32 v16, 2, v8
	v_xor_b32_e32 v17, 1, v8
	v_mov_b32_e32 v18, v6
	s_branch .LBB83_10
.LBB83_9:                               ;   in Loop: Header=BB83_10 Depth=1
	s_or_b64 exec, exec, s[40:41]
	v_add_u32_e32 v18, 2, v18
	v_cmp_le_i32_e64 s[10:11], s33, v18
	s_or_b64 s[38:39], s[10:11], s[38:39]
	v_add_co_u32_e64 v2, s[10:11], 8, v2
	v_add_u32_e32 v13, 16, v13
	v_add_u32_e32 v14, 64, v14
	v_addc_co_u32_e64 v3, s[10:11], 0, v3, s[10:11]
	s_andn2_b64 exec, exec, s[38:39]
	s_cbranch_execz .LBB83_12
.LBB83_10:                              ; =>This Inner Loop Header: Depth=1
	global_load_dword v19, v[2:3], off
	s_waitcnt vmcnt(0) lgkmcnt(0)
	v_mad_i64_i32 v[20:21], s[10:11], v19, s43, 0
	v_lshlrev_b64 v[20:21], 1, v[20:21]
	v_add_co_u32_e64 v20, s[10:11], v10, v20
	v_addc_co_u32_e64 v21, s[10:11], v11, v21, s[10:11]
	global_load_ushort v19, v[20:21], off
	global_load_ushort v22, v[20:21], off offset:128
	global_load_ushort v23, v[20:21], off offset:256
	;; [unrolled: 1-line block ×9, first 2 shown]
	ds_read_u16 v20, v12
	s_waitcnt lgkmcnt(0)
	;;#ASMSTART
	v_cvt_f32_f16 v20, v20;
	;;#ASMEND
	v_cmp_lt_i32_e64 s[10:11], v15, v9
	v_cndmask_b32_e64 v37, v8, v15, s[10:11]
	v_lshlrev_b32_e32 v37, 2, v37
	v_cmp_lt_i32_e64 s[10:11], v16, v9
	s_waitcnt vmcnt(9)
	;;#ASMSTART
	v_cvt_f32_f16 v19, v19;
	;;#ASMEND
	ds_read_u16 v21, v12 offset:2
	s_waitcnt lgkmcnt(0)
	;;#ASMSTART
	v_cvt_f32_f16 v21, v21;
	;;#ASMEND
	s_waitcnt vmcnt(8)
	;;#ASMSTART
	v_cvt_f32_f16 v22, v22;
	;;#ASMEND
	v_mul_f32_e32 v21, v21, v22
	ds_read_u16 v31, v12 offset:4
	v_fmac_f32_e32 v21, v20, v19
	s_waitcnt lgkmcnt(0)
	;;#ASMSTART
	v_cvt_f32_f16 v31, v31;
	;;#ASMEND
	s_waitcnt vmcnt(7)
	;;#ASMSTART
	v_cvt_f32_f16 v23, v23;
	;;#ASMEND
	ds_read_u16 v32, v12 offset:6
	v_fmac_f32_e32 v21, v31, v23
	s_waitcnt lgkmcnt(0)
	;;#ASMSTART
	v_cvt_f32_f16 v32, v32;
	;;#ASMEND
	s_waitcnt vmcnt(6)
	;;#ASMSTART
	v_cvt_f32_f16 v24, v24;
	;;#ASMEND
	ds_read_u16 v33, v12 offset:8
	v_fmac_f32_e32 v21, v32, v24
	s_waitcnt lgkmcnt(0)
	;;#ASMSTART
	v_cvt_f32_f16 v33, v33;
	;;#ASMEND
	s_waitcnt vmcnt(5)
	;;#ASMSTART
	v_cvt_f32_f16 v25, v25;
	;;#ASMEND
	ds_read_u16 v34, v12 offset:10
	v_fmac_f32_e32 v21, v33, v25
	s_waitcnt lgkmcnt(0)
	;;#ASMSTART
	v_cvt_f32_f16 v34, v34;
	;;#ASMEND
	s_waitcnt vmcnt(4)
	;;#ASMSTART
	v_cvt_f32_f16 v26, v26;
	;;#ASMEND
	ds_read_u16 v35, v12 offset:12
	v_fmac_f32_e32 v21, v34, v26
	s_waitcnt lgkmcnt(0)
	;;#ASMSTART
	v_cvt_f32_f16 v35, v35;
	;;#ASMEND
	s_waitcnt vmcnt(3)
	;;#ASMSTART
	v_cvt_f32_f16 v27, v27;
	;;#ASMEND
	v_fmac_f32_e32 v21, v35, v27
	ds_read_u16 v36, v12 offset:14
	s_waitcnt lgkmcnt(0)
	;;#ASMSTART
	v_cvt_f32_f16 v22, v36;
	;;#ASMEND
	s_waitcnt vmcnt(2)
	;;#ASMSTART
	v_cvt_f32_f16 v28, v28;
	;;#ASMEND
	v_fmac_f32_e32 v21, v22, v28
	ds_read_u16 v36, v12 offset:16
	s_waitcnt lgkmcnt(0)
	;;#ASMSTART
	v_cvt_f32_f16 v19, v36;
	;;#ASMEND
	s_waitcnt vmcnt(1)
	;;#ASMSTART
	v_cvt_f32_f16 v20, v29;
	;;#ASMEND
	v_fmac_f32_e32 v21, v19, v20
	ds_read_u16 v23, v12 offset:18
	s_waitcnt lgkmcnt(0)
	;;#ASMSTART
	v_cvt_f32_f16 v19, v23;
	;;#ASMEND
	s_waitcnt vmcnt(0)
	;;#ASMSTART
	v_cvt_f32_f16 v20, v30;
	;;#ASMEND
	v_fmac_f32_e32 v21, v19, v20
	ds_bpermute_b32 v19, v37, v21
	v_cndmask_b32_e64 v20, v8, v16, s[10:11]
	v_lshlrev_b32_e32 v20, 2, v20
	v_cmp_lt_i32_e64 s[10:11], v17, v9
	s_waitcnt lgkmcnt(0)
	v_add_f32_e32 v19, v21, v19
	ds_bpermute_b32 v20, v20, v19
	v_cndmask_b32_e64 v21, v8, v17, s[10:11]
	s_waitcnt lgkmcnt(0)
	v_add_f32_e32 v19, v19, v20
	v_lshlrev_b32_e32 v20, 2, v21
	ds_bpermute_b32 v20, v20, v19
	s_and_saveexec_b64 s[40:41], vcc
	s_cbranch_execz .LBB83_9
; %bb.11:                               ;   in Loop: Header=BB83_10 Depth=1
	v_add_u32_e32 v21, s19, v13
	v_cvt_f32_i32_e32 v21, v21
	s_waitcnt lgkmcnt(0)
	v_add_f32_e32 v19, v19, v20
	v_cmp_gt_i32_e64 s[10:11], s27, v13
	v_max_f32_e32 v20, v5, v5
	v_mul_f32_e32 v21, s12, v21
	v_cndmask_b32_e64 v21, 0, v21, s[4:5]
	v_fmac_f32_e32 v21, s13, v19
	v_cndmask_b32_e64 v19, 0, v21, s[10:11]
	ds_write_b32 v14, v19
	v_max_f32_e32 v19, v20, v21
	v_cndmask_b32_e64 v5, v5, v19, s[10:11]
	s_branch .LBB83_9
.LBB83_12:
	s_or_b64 exec, exec, s[38:39]
.LBB83_13:
	s_or_b64 exec, exec, s[36:37]
	v_xor_b32_e32 v2, 32, v8
	v_cmp_lt_i32_e32 vcc, v2, v9
	v_cndmask_b32_e32 v2, v8, v2, vcc
	v_lshlrev_b32_e32 v3, 2, v2
	ds_bpermute_b32 v2, v3, v5
	v_xor_b32_e32 v10, 16, v8
	v_max_f32_e32 v5, v5, v5
	v_cmp_lt_i32_e32 vcc, v10, v9
	v_and_b32_e32 v12, 63, v0
	s_waitcnt lgkmcnt(0)
	v_max_f32_e32 v2, v2, v2
	v_max_f32_e32 v2, v5, v2
	v_cndmask_b32_e32 v5, v8, v10, vcc
	v_lshlrev_b32_e32 v11, 2, v5
	ds_bpermute_b32 v5, v11, v2
	v_xor_b32_e32 v10, 8, v8
	v_cmp_lt_i32_e32 vcc, v10, v9
	s_waitcnt lgkmcnt(0)
	v_max_f32_e32 v5, v5, v5
	v_max_f32_e32 v5, v2, v5
	v_cndmask_b32_e32 v2, v8, v10, vcc
	v_lshlrev_b32_e32 v13, 2, v2
	ds_bpermute_b32 v10, v13, v5
	v_cmp_eq_u32_e32 vcc, 0, v12
	v_lshlrev_b32_e32 v2, 2, v4
	s_and_saveexec_b64 s[4:5], vcc
	s_cbranch_execz .LBB83_15
; %bb.14:
	s_waitcnt lgkmcnt(0)
	v_max_f32_e32 v10, v10, v10
	v_max_f32_e32 v5, v5, v5
	;; [unrolled: 1-line block ×3, first 2 shown]
	ds_write_b32 v2, v5 offset:160
.LBB83_15:
	s_or_b64 exec, exec, s[4:5]
	v_cmp_gt_u32_e64 s[4:5], 2, v12
	v_mov_b32_e32 v5, 0xff7fffff
	s_waitcnt lgkmcnt(0)
	v_lshlrev_b32_e32 v10, 2, v12
	s_barrier
	s_and_saveexec_b64 s[10:11], s[4:5]
	s_cbranch_execz .LBB83_17
; %bb.16:
	ds_read_b32 v5, v10 offset:160
.LBB83_17:
	s_or_b64 exec, exec, s[10:11]
	v_xor_b32_e32 v14, 1, v8
	v_cmp_lt_i32_e64 s[10:11], v14, v9
	v_cndmask_b32_e64 v14, v8, v14, s[10:11]
	v_lshlrev_b32_e32 v14, 2, v14
	s_waitcnt lgkmcnt(0)
	ds_bpermute_b32 v15, v14, v5
	v_max_f32_e32 v5, v5, v5
	s_sub_i32 s7, s33, s7
	s_lshl_b32 s7, s7, 3
	s_add_i32 s7, s7, s42
	s_waitcnt lgkmcnt(0)
	v_max_f32_e32 v15, v15, v15
	v_max_f32_e32 v5, v5, v15
	v_lshlrev_b32_e32 v15, 2, v8
	v_and_b32_e32 v15, 0xffffff00, v15
	ds_bpermute_b32 v5, v15, v5
	s_min_i32 s19, s7, s27
	s_sub_i32 s7, s19, s42
	v_cmp_gt_i32_e64 s[10:11], s7, v0
	v_mov_b32_e32 v16, 0
	s_and_saveexec_b64 s[36:37], s[10:11]
	s_cbranch_execz .LBB83_21
; %bb.18:
	v_mov_b32_e32 v16, 0xb0
	v_lshl_add_u32 v17, v0, 2, v16
	s_mov_b64 s[38:39], 0
	v_mov_b32_e32 v16, 0
	v_mov_b32_e32 v18, v0
.LBB83_19:                              ; =>This Inner Loop Header: Depth=1
	ds_read_b32 v19, v17
	v_add_u32_e32 v18, 0x80, v18
	v_cmp_le_i32_e64 s[12:13], s7, v18
	s_or_b64 s[38:39], s[12:13], s[38:39]
	s_waitcnt lgkmcnt(0)
	v_sub_f32_e32 v19, v19, v5
	v_mul_f32_e32 v19, 0x3fb8aa3b, v19
	v_exp_f32_e32 v19, v19
	ds_write_b32 v17, v19
	v_add_f32_e32 v16, v16, v19
	v_add_u32_e32 v17, 0x200, v17
	s_andn2_b64 exec, exec, s[38:39]
	s_cbranch_execnz .LBB83_19
; %bb.20:
	s_or_b64 exec, exec, s[38:39]
.LBB83_21:
	s_or_b64 exec, exec, s[36:37]
	ds_bpermute_b32 v3, v3, v16
	s_waitcnt lgkmcnt(0)
	v_add_f32_e32 v3, v16, v3
	ds_bpermute_b32 v11, v11, v3
	s_waitcnt lgkmcnt(0)
	v_add_f32_e32 v3, v3, v11
	ds_bpermute_b32 v11, v13, v3
	v_xor_b32_e32 v13, 4, v8
	v_cmp_lt_i32_e64 s[12:13], v13, v9
	v_cndmask_b32_e64 v13, v8, v13, s[12:13]
	v_lshlrev_b32_e32 v13, 2, v13
	s_waitcnt lgkmcnt(0)
	v_add_f32_e32 v3, v3, v11
	ds_bpermute_b32 v11, v13, v3
	v_xor_b32_e32 v13, 2, v8
	v_cmp_lt_i32_e64 s[12:13], v13, v9
	v_cndmask_b32_e64 v8, v8, v13, s[12:13]
	v_lshlrev_b32_e32 v8, 2, v8
	s_waitcnt lgkmcnt(0)
	v_add_f32_e32 v3, v3, v11
	ds_bpermute_b32 v8, v8, v3
	s_waitcnt lgkmcnt(0)
	v_add_f32_e32 v3, v3, v8
	ds_bpermute_b32 v8, v14, v3
	s_waitcnt lgkmcnt(0)
	v_add_f32_e32 v3, v3, v8
	s_and_saveexec_b64 s[12:13], vcc
	s_cbranch_execz .LBB83_23
; %bb.22:
	ds_write_b32 v2, v3 offset:168
.LBB83_23:
	s_or_b64 exec, exec, s[12:13]
	s_waitcnt lgkmcnt(0)
	s_barrier
	s_and_saveexec_b64 s[12:13], s[4:5]
	s_cbranch_execz .LBB83_25
; %bb.24:
	ds_read_b32 v3, v10 offset:168
.LBB83_25:
	s_or_b64 exec, exec, s[12:13]
	s_waitcnt lgkmcnt(0)
	ds_bpermute_b32 v2, v14, v3
	s_waitcnt lgkmcnt(0)
	v_add_f32_e32 v2, v3, v2
	ds_bpermute_b32 v8, v15, v2
	s_and_saveexec_b64 s[4:5], s[10:11]
	s_cbranch_execz .LBB83_38
; %bb.26:
	s_waitcnt lgkmcnt(0)
	v_add_f32_e32 v2, 0x358637bd, v8
	v_div_scale_f32 v3, s[10:11], v2, v2, 1.0
	v_rcp_f32_e32 v9, v3
	v_div_scale_f32 v10, vcc, 1.0, v2, 1.0
	s_movk_i32 s10, 0x7f
	v_fma_f32 v11, -v3, v9, 1.0
	v_fmac_f32_e32 v9, v11, v9
	v_mul_f32_e32 v11, v10, v9
	v_fma_f32 v13, -v3, v11, v10
	v_fmac_f32_e32 v11, v13, v9
	v_fma_f32 v3, -v3, v11, v10
	v_div_fmas_f32 v3, v3, v9, v11
	v_div_fixup_f32 v2, v3, v2, 1.0
	v_xad_u32 v3, v0, -1, s19
	v_subrev_u32_e32 v9, s42, v3
	v_cmp_lt_u32_e32 vcc, s10, v9
	s_mov_b64 s[12:13], -1
	v_mov_b32_e32 v3, v0
	s_and_saveexec_b64 s[10:11], vcc
	s_cbranch_execz .LBB83_35
; %bb.27:
	v_lshrrev_b32_e32 v9, 7, v9
	v_add_u32_e32 v11, -1, v9
	v_lshrrev_b32_e32 v10, 1, v11
	v_mov_b32_e32 v3, v2
	v_add_u32_e32 v10, 1, v10
	v_cmp_lt_u32_e32 vcc, 13, v11
	v_mov_b32_e32 v14, 0
	s_and_saveexec_b64 s[12:13], vcc
	s_cbranch_execz .LBB83_31
; %bb.28:
	v_mov_b32_e32 v13, 0xb0
	v_and_b32_e32 v11, -8, v10
	v_lshl_add_u32 v13, v0, 2, v13
	s_mov_b32 s19, 0
	s_mov_b64 s[36:37], 0
.LBB83_29:                              ; =>This Inner Loop Header: Depth=1
	ds_read2st64_b32 v[14:15], v13 offset1:2
	ds_read2st64_b32 v[16:17], v13 offset0:4 offset1:6
	ds_read2st64_b32 v[18:19], v13 offset0:8 offset1:10
	;; [unrolled: 1-line block ×3, first 2 shown]
	v_add_u32_e32 v11, -8, v11
	s_waitcnt lgkmcnt(3)
	v_pk_mul_f32 v[14:15], v[2:3], v[14:15]
	s_waitcnt lgkmcnt(2)
	v_pk_mul_f32 v[16:17], v[2:3], v[16:17]
	ds_write2st64_b32 v13, v14, v15 offset1:2
	ds_write2st64_b32 v13, v16, v17 offset0:4 offset1:6
	ds_read2st64_b32 v[16:17], v13 offset0:16 offset1:18
	s_waitcnt lgkmcnt(4)
	v_pk_mul_f32 v[14:15], v[2:3], v[18:19]
	ds_write2st64_b32 v13, v14, v15 offset0:8 offset1:10
	s_waitcnt lgkmcnt(4)
	v_pk_mul_f32 v[14:15], v[2:3], v[20:21]
	ds_write2st64_b32 v13, v14, v15 offset0:12 offset1:14
	ds_read2st64_b32 v[14:15], v13 offset0:20 offset1:22
	s_waitcnt lgkmcnt(3)
	v_pk_mul_f32 v[16:17], v[2:3], v[16:17]
	ds_read2st64_b32 v[18:19], v13 offset0:24 offset1:26
	ds_write2st64_b32 v13, v16, v17 offset0:16 offset1:18
	ds_read2st64_b32 v[16:17], v13 offset0:28 offset1:30
	s_waitcnt lgkmcnt(3)
	v_pk_mul_f32 v[14:15], v[2:3], v[14:15]
	ds_write2st64_b32 v13, v14, v15 offset0:20 offset1:22
	s_waitcnt lgkmcnt(3)
	v_pk_mul_f32 v[14:15], v[2:3], v[18:19]
	ds_write2st64_b32 v13, v14, v15 offset0:24 offset1:26
	s_waitcnt lgkmcnt(2)
	v_pk_mul_f32 v[14:15], v[2:3], v[16:17]
	s_add_i32 s19, s19, 16
	v_cmp_eq_u32_e32 vcc, 0, v11
	ds_write2st64_b32 v13, v14, v15 offset0:28 offset1:30
	v_add_u32_e32 v13, 0x2000, v13
	s_or_b64 s[36:37], vcc, s[36:37]
	v_mov_b32_e32 v14, s19
	s_andn2_b64 exec, exec, s[36:37]
	s_cbranch_execnz .LBB83_29
; %bb.30:
	s_or_b64 exec, exec, s[36:37]
.LBB83_31:
	s_or_b64 exec, exec, s[12:13]
	v_and_b32_e32 v10, 7, v10
	v_cmp_ne_u32_e32 vcc, 0, v10
	s_and_saveexec_b64 s[12:13], vcc
	s_cbranch_execz .LBB83_34
; %bb.32:
	v_lshlrev_b32_e32 v11, 9, v14
	v_lshlrev_b32_e32 v13, 2, v0
	s_movk_i32 s19, 0xb0
	v_add3_u32 v11, v11, v13, s19
	s_mov_b64 s[36:37], 0
.LBB83_33:                              ; =>This Inner Loop Header: Depth=1
	ds_read2st64_b32 v[14:15], v11 offset1:2
	v_add_u32_e32 v10, -1, v10
	v_cmp_eq_u32_e32 vcc, 0, v10
	s_or_b64 s[36:37], vcc, s[36:37]
	s_waitcnt lgkmcnt(0)
	v_pk_mul_f32 v[14:15], v[2:3], v[14:15]
	ds_write2st64_b32 v11, v14, v15 offset1:2
	v_add_u32_e32 v11, 0x400, v11
	s_andn2_b64 exec, exec, s[36:37]
	s_cbranch_execnz .LBB83_33
.LBB83_34:
	s_or_b64 exec, exec, s[12:13]
	v_add_u32_e32 v9, 1, v9
	v_and_b32_e32 v10, 0x3fffffe, v9
	v_cmp_ne_u32_e32 vcc, v9, v10
	v_lshl_add_u32 v3, v10, 7, v0
	s_orn2_b64 s[12:13], vcc, exec
.LBB83_35:
	s_or_b64 exec, exec, s[10:11]
	s_and_b64 exec, exec, s[12:13]
	s_cbranch_execz .LBB83_38
; %bb.36:
	v_mov_b32_e32 v9, 0xb0
	v_lshl_add_u32 v9, v3, 2, v9
	s_mov_b64 s[10:11], 0
.LBB83_37:                              ; =>This Inner Loop Header: Depth=1
	ds_read_b32 v10, v9
	v_add_u32_e32 v3, 0x80, v3
	v_cmp_le_i32_e32 vcc, s7, v3
	s_or_b64 s[10:11], vcc, s[10:11]
	s_waitcnt lgkmcnt(0)
	v_mul_f32_e32 v10, v2, v10
	ds_write_b32 v9, v10
	v_add_u32_e32 v9, 0x200, v9
	s_andn2_b64 exec, exec, s[10:11]
	s_cbranch_execnz .LBB83_37
.LBB83_38:
	s_or_b64 exec, exec, s[4:5]
	s_mul_i32 s5, s15, s26
	s_mov_b32 s4, 0
	v_cmp_eq_u32_e32 vcc, 0, v0
	s_mul_i32 s10, s5, s9
	s_waitcnt lgkmcnt(0)
	s_barrier
	s_and_saveexec_b64 s[12:13], vcc
	s_cbranch_execz .LBB83_40
; %bb.39:
	s_ashr_i32 s11, s10, 31
	s_lshl_b64 s[36:37], s[10:11], 2
	s_add_u32 s5, s22, s36
	s_mul_i32 s6, s15, s6
	s_addc_u32 s9, s23, s37
	s_ashr_i32 s7, s6, 31
	s_lshl_b64 s[6:7], s[6:7], 2
	s_add_u32 s5, s5, s6
	s_addc_u32 s11, s9, s7
	s_ashr_i32 s9, s8, 31
	s_lshl_b64 s[22:23], s[8:9], 2
	s_add_u32 s38, s5, s22
	s_addc_u32 s39, s11, s23
	s_add_u32 s5, s20, s36
	s_addc_u32 s9, s21, s37
	;; [unrolled: 2-line block ×3, first 2 shown]
	s_add_u32 s6, s5, s22
	v_mov_b32_e32 v2, 0
	s_addc_u32 s7, s7, s23
	global_store_dword v2, v5, s[38:39]
	global_store_dword v2, v8, s[6:7]
.LBB83_40:
	s_or_b64 exec, exec, s[12:13]
	s_mov_b32 s5, s4
	v_pk_mov_b32 v[8:9], s[4:5], s[4:5] op_sel:[0,1]
	s_and_saveexec_b64 s[6:7], s[2:3]
	s_cbranch_execz .LBB83_50
; %bb.41:
	s_ashr_i32 s19, s18, 31
	s_lshl_b64 s[2:3], s[18:19], 1
	s_add_u32 s11, s34, s2
	v_or_b32_e32 v3, 64, v12
	s_movk_i32 s2, 0x50
	s_mov_b32 s9, s17
	s_addc_u32 s17, s35, s3
	s_add_i32 s18, s16, -1
	v_cmp_gt_u32_e32 vcc, s2, v3
	s_lshl_b64 s[2:3], s[30:31], 2
	v_lshlrev_b32_e32 v16, 3, v3
	v_mov_b32_e32 v3, 0xb0
	s_add_u32 s2, s28, s2
	v_lshl_add_u32 v13, v4, 3, s42
	v_lshl_add_u32 v14, v4, 5, v3
	v_lshlrev_b64 v[4:5], 2, v[6:7]
	s_addc_u32 s3, s29, s3
	v_lshlrev_b32_e32 v2, 3, v12
	v_mov_b32_e32 v3, s3
	v_add_co_u32_e64 v10, s[2:3], s2, v4
	s_mov_b32 s5, s4
	s_mov_b32 s19, s27
	;; [unrolled: 1-line block ×8, first 2 shown]
	v_addc_co_u32_e64 v11, s[2:3], v3, v5, s[2:3]
	s_mov_b64 s[12:13], 0
	v_pk_mov_b32 v[8:9], s[4:5], s[4:5] op_sel:[0,1]
	v_mov_b32_e32 v7, s17
	v_lshlrev_b32_e32 v15, 1, v2
	s_mov_b32 s28, 0x5040100
	v_lshlrev_b32_e32 v16, 1, v16
	s_branch .LBB83_44
.LBB83_42:                              ;   in Loop: Header=BB83_44 Depth=1
	s_or_b64 exec, exec, s[4:5]
	s_waitcnt vmcnt(0)
	;;#ASMSTART
	v_pk_mul_f16 v2, v22, v2;

	;;#ASMEND
	;;#ASMSTART
	v_pk_mul_f16 v3, v21, v3;

	;;#ASMEND
	;; [unrolled: 4-line block ×4, first 2 shown]
	;;#ASMSTART
	v_pk_add_f16 v2, v2, v3;

	;;#ASMEND
	;;#ASMSTART
	v_pk_add_f16 v2, v2, v4;

	;;#ASMEND
	;; [unrolled: 4-line block ×3, first 2 shown]
	v_lshrrev_b32_e32 v3, 16, v2
	v_and_b32_e32 v2, 0xffff, v2
	;;#ASMSTART
	v_cvt_f32_f16 v2, v2;
	;;#ASMEND
	;;#ASMSTART
	v_cvt_f32_f16 v3, v3;
	;;#ASMEND
	v_add_f32_e32 v2, v2, v3
	v_add_f32_e32 v9, v9, v2
.LBB83_43:                              ;   in Loop: Header=BB83_44 Depth=1
	s_or_b64 exec, exec, s[16:17]
	v_add_u32_e32 v6, 2, v6
	v_cmp_le_i32_e64 s[2:3], s33, v6
	s_or_b64 s[12:13], s[2:3], s[12:13]
	v_add_co_u32_e64 v10, s[2:3], 8, v10
	v_add_u32_e32 v13, 16, v13
	v_add_u32_e32 v14, 64, v14
	v_addc_co_u32_e64 v11, s[2:3], 0, v11, s[2:3]
	s_andn2_b64 exec, exec, s[12:13]
	s_cbranch_execz .LBB83_49
.LBB83_44:                              ; =>This Inner Loop Header: Depth=1
	global_load_dword v19, v[10:11], off
	ds_read2_b64 v[2:5], v14 offset1:1
	ds_read2_b64 v[24:27], v14 offset0:2 offset1:3
	s_waitcnt lgkmcnt(1)
	;;#ASMSTART
	v_cvt_f16_f32 v17, v2;

	;;#ASMEND
	;;#ASMSTART
	v_cvt_f16_f32 v18, v3;

	;;#ASMEND
	;;#ASMSTART
	v_cvt_f16_f32 v21, v4;

	;;#ASMEND
	;;#ASMSTART
	v_cvt_f16_f32 v23, v5;

	;;#ASMEND
	s_waitcnt lgkmcnt(0)
	;;#ASMSTART
	v_cvt_f16_f32 v24, v24;

	;;#ASMEND
	;;#ASMSTART
	v_cvt_f16_f32 v25, v25;

	;;#ASMEND
	;; [unrolled: 4-line block ×4, first 2 shown]
	s_waitcnt vmcnt(0)
	v_mad_i64_i32 v[2:3], s[2:3], v19, s9, 0
	v_lshlrev_b64 v[2:3], 1, v[2:3]
	v_add_co_u32_e64 v19, s[2:3], s11, v2
	v_addc_co_u32_e64 v20, s[2:3], v7, v3, s[2:3]
	v_add_co_u32_e64 v2, s[2:3], v19, v15
	v_addc_co_u32_e64 v3, s[2:3], 0, v20, s[2:3]
	global_load_dwordx4 v[2:5], v[2:3], off
	v_cmp_eq_u32_e64 s[2:3], s18, v6
	s_and_saveexec_b64 s[16:17], s[2:3]
	s_cbranch_execz .LBB83_46
; %bb.45:                               ;   in Loop: Header=BB83_44 Depth=1
	v_or_b32_e32 v32, 7, v13
	v_or_b32_e32 v33, 6, v13
	s_waitcnt vmcnt(0)
	v_lshrrev_b32_e32 v34, 16, v5
	v_cmp_gt_i32_e64 s[4:5], s34, v32
	v_cndmask_b32_e64 v32, 0, v34, s[4:5]
	v_cmp_gt_i32_e64 s[4:5], s26, v33
	v_or_b32_e32 v30, 5, v13
	v_cndmask_b32_e64 v5, 0, v5, s[4:5]
	v_or_b32_e32 v31, 4, v13
	v_perm_b32 v5, v32, v5, s28
	v_lshrrev_b32_e32 v32, 16, v4
	v_cmp_gt_i32_e64 s[4:5], s23, v30
	v_cndmask_b32_e64 v30, 0, v32, s[4:5]
	v_cmp_gt_i32_e64 s[4:5], s22, v31
	v_or_b32_e32 v28, 3, v13
	v_cndmask_b32_e64 v4, 0, v4, s[4:5]
	v_or_b32_e32 v29, 2, v13
	v_perm_b32 v4, v30, v4, s28
	v_lshrrev_b32_e32 v30, 16, v3
	v_cmp_gt_i32_e64 s[4:5], s21, v28
	v_cndmask_b32_e64 v28, 0, v30, s[4:5]
	v_cmp_gt_i32_e64 s[4:5], s20, v29
	v_add_u32_e32 v22, 1, v13
	v_cndmask_b32_e64 v3, 0, v3, s[4:5]
	v_perm_b32 v3, v28, v3, s28
	v_lshrrev_b32_e32 v28, 16, v2
	v_cmp_gt_i32_e64 s[4:5], s19, v22
	v_cndmask_b32_e64 v22, 0, v28, s[4:5]
	v_cmp_gt_i32_e64 s[4:5], s27, v13
	v_cndmask_b32_e64 v2, 0, v2, s[4:5]
	v_perm_b32 v2, v22, v2, s28
.LBB83_46:                              ;   in Loop: Header=BB83_44 Depth=1
	s_or_b64 exec, exec, s[16:17]
	v_and_b32_e32 v17, 0xffff, v17
	v_lshl_or_b32 v22, v18, 16, v17
	v_and_b32_e32 v17, 0xffff, v21
	v_lshl_or_b32 v21, v23, 16, v17
	;; [unrolled: 2-line block ×3, first 2 shown]
	v_and_b32_e32 v17, 0xffff, v26
	s_waitcnt vmcnt(0)
	;;#ASMSTART
	v_pk_mul_f16 v2, v22, v2;

	;;#ASMEND
	v_lshl_or_b32 v17, v27, 16, v17
	;;#ASMSTART
	v_pk_mul_f16 v3, v21, v3;

	;;#ASMEND
	;;#ASMSTART
	v_pk_mul_f16 v4, v18, v4;

	;;#ASMEND
	;; [unrolled: 4-line block ×3, first 2 shown]
	;;#ASMSTART
	v_pk_add_f16 v2, v2, v3;

	;;#ASMEND
	;;#ASMSTART
	v_pk_add_f16 v2, v2, v4;

	;;#ASMEND
	;; [unrolled: 4-line block ×3, first 2 shown]
	v_lshrrev_b32_e32 v3, 16, v2
	v_and_b32_e32 v2, 0xffff, v2
	;;#ASMSTART
	v_cvt_f32_f16 v2, v2;
	;;#ASMEND
	;;#ASMSTART
	v_cvt_f32_f16 v3, v3;
	;;#ASMEND
	v_add_f32_e32 v2, v2, v3
	v_add_f32_e32 v8, v8, v2
	s_and_saveexec_b64 s[16:17], vcc
	s_cbranch_execz .LBB83_43
; %bb.47:                               ;   in Loop: Header=BB83_44 Depth=1
	v_add_co_u32_e64 v2, s[4:5], v19, v16
	v_addc_co_u32_e64 v3, s[4:5], 0, v20, s[4:5]
	global_load_dwordx4 v[2:5], v[2:3], off
	s_and_saveexec_b64 s[4:5], s[2:3]
	s_cbranch_execz .LBB83_42
; %bb.48:                               ;   in Loop: Header=BB83_44 Depth=1
	v_or_b32_e32 v26, 7, v13
	v_or_b32_e32 v27, 6, v13
	s_waitcnt vmcnt(0)
	v_lshrrev_b32_e32 v28, 16, v5
	v_cmp_gt_i32_e64 s[2:3], s34, v26
	v_cndmask_b32_e64 v26, 0, v28, s[2:3]
	v_cmp_gt_i32_e64 s[2:3], s26, v27
	v_or_b32_e32 v24, 5, v13
	v_cndmask_b32_e64 v5, 0, v5, s[2:3]
	v_or_b32_e32 v25, 4, v13
	v_perm_b32 v5, v26, v5, s28
	v_lshrrev_b32_e32 v26, 16, v4
	v_cmp_gt_i32_e64 s[2:3], s23, v24
	v_cndmask_b32_e64 v24, 0, v26, s[2:3]
	v_cmp_gt_i32_e64 s[2:3], s22, v25
	v_or_b32_e32 v20, 3, v13
	v_cndmask_b32_e64 v4, 0, v4, s[2:3]
	v_or_b32_e32 v23, 2, v13
	v_perm_b32 v4, v24, v4, s28
	v_lshrrev_b32_e32 v24, 16, v3
	v_cmp_gt_i32_e64 s[2:3], s21, v20
	v_cndmask_b32_e64 v20, 0, v24, s[2:3]
	v_cmp_gt_i32_e64 s[2:3], s20, v23
	v_add_u32_e32 v19, 1, v13
	v_cndmask_b32_e64 v3, 0, v3, s[2:3]
	v_perm_b32 v3, v20, v3, s28
	v_lshrrev_b32_e32 v20, 16, v2
	v_cmp_gt_i32_e64 s[2:3], s19, v19
	v_cndmask_b32_e64 v19, 0, v20, s[2:3]
	v_cmp_gt_i32_e64 s[2:3], s27, v13
	v_cndmask_b32_e64 v2, 0, v2, s[2:3]
	v_perm_b32 v2, v19, v2, s28
	s_branch .LBB83_42
.LBB83_49:
	s_or_b64 exec, exec, s[12:13]
.LBB83_50:
	s_or_b64 exec, exec, s[6:7]
	v_and_b32_e32 v2, 0x3c0, v0
	v_cmp_eq_u32_e32 vcc, 64, v2
	s_barrier
	s_and_saveexec_b64 s[2:3], vcc
	s_cbranch_execz .LBB83_53
; %bb.51:
	v_mov_b32_e32 v2, 0xb0
	v_lshl_add_u32 v3, v12, 2, v2
	ds_write_b32 v3, v8
	s_and_b64 exec, exec, s[0:1]
	s_cbranch_execz .LBB83_53
; %bb.52:
	v_lshl_add_u32 v2, v0, 2, v2
	ds_write_b32 v2, v9
.LBB83_53:
	s_or_b64 exec, exec, s[2:3]
	v_cmp_gt_u32_e32 vcc, 64, v0
	v_or_b32_e32 v2, 64, v0
	s_waitcnt lgkmcnt(0)
	s_barrier
	s_and_saveexec_b64 s[2:3], vcc
	s_cbranch_execz .LBB83_57
; %bb.54:
	v_mov_b32_e32 v3, 0xb0
	v_lshl_add_u32 v0, v0, 2, v3
	ds_read_b32 v3, v0
	s_movk_i32 s0, 0x50
	v_cmp_gt_u32_e64 s[0:1], s0, v2
	s_waitcnt lgkmcnt(0)
	v_add_f32_e32 v8, v8, v3
	s_and_saveexec_b64 s[4:5], s[0:1]
	s_cbranch_execz .LBB83_56
; %bb.55:
	ds_read_b32 v0, v0 offset:256
	s_waitcnt lgkmcnt(0)
	v_add_f32_e32 v9, v9, v0
.LBB83_56:
	s_or_b64 exec, exec, s[4:5]
.LBB83_57:
	s_or_b64 exec, exec, s[2:3]
	s_barrier
	s_and_saveexec_b64 s[0:1], vcc
	s_cbranch_execz .LBB83_60
; %bb.58:
	s_mul_i32 s0, s10, 0x50
	s_ashr_i32 s1, s0, 31
	s_lshl_b64 s[0:1], s[0:1], 1
	s_add_u32 s3, s24, s0
	s_mul_i32 s0, s15, s14
	s_addc_u32 s4, s25, s1
	s_ashr_i32 s1, s0, 31
	s_lshl_b64 s[0:1], s[0:1], 1
	s_add_u32 s3, s3, s0
	s_mul_i32 s0, s8, 0x50
	s_addc_u32 s4, s4, s1
	s_ashr_i32 s1, s0, 31
	s_lshl_b64 s[0:1], s[0:1], 1
	s_movk_i32 s2, 0x50
	s_add_u32 s0, s3, s0
	s_addc_u32 s1, s4, s1
	v_cmp_gt_u32_e32 vcc, s2, v2
	;;#ASMSTART
	v_cvt_f16_f32 v0, v8;

	;;#ASMEND
	global_store_short v1, v0, s[0:1]
	s_and_b64 exec, exec, vcc
	s_cbranch_execz .LBB83_60
; %bb.59:
	v_mov_b32_e32 v2, s1
	v_add_co_u32_e32 v0, vcc, s0, v1
	v_addc_co_u32_e32 v1, vcc, 0, v2, vcc
	;;#ASMSTART
	v_cvt_f16_f32 v2, v9;

	;;#ASMEND
	global_store_short v[0:1], v2, off offset:128
.LBB83_60:
	s_endpgm
	.section	.rodata,"a",@progbits
	.p2align	6, 0x0
	.amdhsa_kernel _ZN4vllm25paged_attention_v2_kernelIttLi80ELi8ELi128ELNS_18Fp8KVCacheDataTypeE0ELb0ELi512EEEvPfS2_PT_PKS3_PKT0_S9_ifPKiSB_iPKfiiiSD_SD_iiiii
		.amdhsa_group_segment_fixed_size 176
		.amdhsa_private_segment_fixed_size 0
		.amdhsa_kernarg_size 400
		.amdhsa_user_sgpr_count 6
		.amdhsa_user_sgpr_private_segment_buffer 1
		.amdhsa_user_sgpr_dispatch_ptr 0
		.amdhsa_user_sgpr_queue_ptr 0
		.amdhsa_user_sgpr_kernarg_segment_ptr 1
		.amdhsa_user_sgpr_dispatch_id 0
		.amdhsa_user_sgpr_flat_scratch_init 0
		.amdhsa_user_sgpr_kernarg_preload_length 0
		.amdhsa_user_sgpr_kernarg_preload_offset 0
		.amdhsa_user_sgpr_private_segment_size 0
		.amdhsa_uses_dynamic_stack 0
		.amdhsa_system_sgpr_private_segment_wavefront_offset 0
		.amdhsa_system_sgpr_workgroup_id_x 1
		.amdhsa_system_sgpr_workgroup_id_y 1
		.amdhsa_system_sgpr_workgroup_id_z 1
		.amdhsa_system_sgpr_workgroup_info 0
		.amdhsa_system_vgpr_workitem_id 0
		.amdhsa_next_free_vgpr 38
		.amdhsa_next_free_sgpr 44
		.amdhsa_accum_offset 40
		.amdhsa_reserve_vcc 1
		.amdhsa_reserve_flat_scratch 0
		.amdhsa_float_round_mode_32 0
		.amdhsa_float_round_mode_16_64 0
		.amdhsa_float_denorm_mode_32 3
		.amdhsa_float_denorm_mode_16_64 3
		.amdhsa_dx10_clamp 1
		.amdhsa_ieee_mode 1
		.amdhsa_fp16_overflow 0
		.amdhsa_tg_split 0
		.amdhsa_exception_fp_ieee_invalid_op 0
		.amdhsa_exception_fp_denorm_src 0
		.amdhsa_exception_fp_ieee_div_zero 0
		.amdhsa_exception_fp_ieee_overflow 0
		.amdhsa_exception_fp_ieee_underflow 0
		.amdhsa_exception_fp_ieee_inexact 0
		.amdhsa_exception_int_div_zero 0
	.end_amdhsa_kernel
	.section	.text._ZN4vllm25paged_attention_v2_kernelIttLi80ELi8ELi128ELNS_18Fp8KVCacheDataTypeE0ELb0ELi512EEEvPfS2_PT_PKS3_PKT0_S9_ifPKiSB_iPKfiiiSD_SD_iiiii,"axG",@progbits,_ZN4vllm25paged_attention_v2_kernelIttLi80ELi8ELi128ELNS_18Fp8KVCacheDataTypeE0ELb0ELi512EEEvPfS2_PT_PKS3_PKT0_S9_ifPKiSB_iPKfiiiSD_SD_iiiii,comdat
.Lfunc_end83:
	.size	_ZN4vllm25paged_attention_v2_kernelIttLi80ELi8ELi128ELNS_18Fp8KVCacheDataTypeE0ELb0ELi512EEEvPfS2_PT_PKS3_PKT0_S9_ifPKiSB_iPKfiiiSD_SD_iiiii, .Lfunc_end83-_ZN4vllm25paged_attention_v2_kernelIttLi80ELi8ELi128ELNS_18Fp8KVCacheDataTypeE0ELb0ELi512EEEvPfS2_PT_PKS3_PKT0_S9_ifPKiSB_iPKfiiiSD_SD_iiiii
                                        ; -- End function
	.section	.AMDGPU.csdata,"",@progbits
; Kernel info:
; codeLenInByte = 4528
; NumSgprs: 48
; NumVgprs: 38
; NumAgprs: 0
; TotalNumVgprs: 38
; ScratchSize: 0
; MemoryBound: 0
; FloatMode: 240
; IeeeMode: 1
; LDSByteSize: 176 bytes/workgroup (compile time only)
; SGPRBlocks: 5
; VGPRBlocks: 4
; NumSGPRsForWavesPerEU: 48
; NumVGPRsForWavesPerEU: 38
; AccumOffset: 40
; Occupancy: 8
; WaveLimiterHint : 1
; COMPUTE_PGM_RSRC2:SCRATCH_EN: 0
; COMPUTE_PGM_RSRC2:USER_SGPR: 6
; COMPUTE_PGM_RSRC2:TRAP_HANDLER: 0
; COMPUTE_PGM_RSRC2:TGID_X_EN: 1
; COMPUTE_PGM_RSRC2:TGID_Y_EN: 1
; COMPUTE_PGM_RSRC2:TGID_Z_EN: 1
; COMPUTE_PGM_RSRC2:TIDIG_COMP_CNT: 0
; COMPUTE_PGM_RSRC3_GFX90A:ACCUM_OFFSET: 9
; COMPUTE_PGM_RSRC3_GFX90A:TG_SPLIT: 0
	.section	.text._ZN4vllm25paged_attention_v2_kernelIttLi96ELi8ELi128ELNS_18Fp8KVCacheDataTypeE0ELb0ELi512EEEvPfS2_PT_PKS3_PKT0_S9_ifPKiSB_iPKfiiiSD_SD_iiiii,"axG",@progbits,_ZN4vllm25paged_attention_v2_kernelIttLi96ELi8ELi128ELNS_18Fp8KVCacheDataTypeE0ELb0ELi512EEEvPfS2_PT_PKS3_PKT0_S9_ifPKiSB_iPKfiiiSD_SD_iiiii,comdat
	.protected	_ZN4vllm25paged_attention_v2_kernelIttLi96ELi8ELi128ELNS_18Fp8KVCacheDataTypeE0ELb0ELi512EEEvPfS2_PT_PKS3_PKT0_S9_ifPKiSB_iPKfiiiSD_SD_iiiii ; -- Begin function _ZN4vllm25paged_attention_v2_kernelIttLi96ELi8ELi128ELNS_18Fp8KVCacheDataTypeE0ELb0ELi512EEEvPfS2_PT_PKS3_PKT0_S9_ifPKiSB_iPKfiiiSD_SD_iiiii
	.globl	_ZN4vllm25paged_attention_v2_kernelIttLi96ELi8ELi128ELNS_18Fp8KVCacheDataTypeE0ELb0ELi512EEEvPfS2_PT_PKS3_PKT0_S9_ifPKiSB_iPKfiiiSD_SD_iiiii
	.p2align	8
	.type	_ZN4vllm25paged_attention_v2_kernelIttLi96ELi8ELi128ELNS_18Fp8KVCacheDataTypeE0ELb0ELi512EEEvPfS2_PT_PKS3_PKT0_S9_ifPKiSB_iPKfiiiSD_SD_iiiii,@function
_ZN4vllm25paged_attention_v2_kernelIttLi96ELi8ELi128ELNS_18Fp8KVCacheDataTypeE0ELb0ELi512EEEvPfS2_PT_PKS3_PKT0_S9_ifPKiSB_iPKfiiiSD_SD_iiiii: ; @_ZN4vllm25paged_attention_v2_kernelIttLi96ELi8ELi128ELNS_18Fp8KVCacheDataTypeE0ELb0ELi512EEEvPfS2_PT_PKS3_PKT0_S9_ifPKiSB_iPKfiiiSD_SD_iiiii
; %bb.0:
	s_load_dwordx2 s[0:1], s[4:5], 0x40
	s_mov_b32 s26, s7
	s_ashr_i32 s27, s7, 31
	s_lshl_b64 s[2:3], s[26:27], 2
	s_waitcnt lgkmcnt(0)
	s_add_u32 s0, s0, s2
	s_addc_u32 s1, s1, s3
	s_load_dword s27, s[0:1], 0x0
	s_lshl_b32 s42, s8, 9
	s_waitcnt lgkmcnt(0)
	s_cmp_ge_i32 s42, s27
	s_cbranch_scc1 .LBB84_60
; %bb.1:
	s_load_dword s9, s[4:5], 0x90
	s_load_dwordx2 s[12:13], s[4:5], 0x30
	s_waitcnt lgkmcnt(0)
	s_abs_i32 s2, s9
	s_abs_i32 s0, s12
	v_cvt_f32_u32_e32 v1, s0
	s_sub_i32 s3, 0, s0
	s_xor_b32 s1, s9, s12
	s_ashr_i32 s1, s1, 31
	v_rcp_iflag_f32_e32 v1, v1
	s_mov_b32 s12, 0
	v_mul_f32_e32 v1, 0x4f7ffffe, v1
	v_cvt_u32_f32_e32 v1, v1
	v_readfirstlane_b32 s7, v1
	s_mul_i32 s3, s3, s7
	s_mul_hi_u32 s3, s7, s3
	s_add_i32 s7, s7, s3
	s_mul_hi_u32 s3, s2, s7
	s_mul_i32 s7, s3, s0
	s_sub_i32 s2, s2, s7
	s_add_i32 s10, s3, 1
	s_sub_i32 s7, s2, s0
	s_cmp_ge_u32 s2, s0
	s_cselect_b32 s3, s10, s3
	s_cselect_b32 s2, s7, s2
	s_add_i32 s7, s3, 1
	s_cmp_ge_u32 s2, s0
	s_cselect_b32 s0, s7, s3
	s_xor_b32 s0, s0, s1
	s_sub_i32 s2, s0, s1
	s_abs_i32 s10, s2
	v_cvt_f32_u32_e32 v1, s10
	s_load_dwordx2 s[0:1], s[4:5], 0x50
	s_sub_i32 s3, 0, s10
	s_abs_i32 s11, s6
	v_rcp_iflag_f32_e32 v1, v1
	v_mul_f32_e32 v1, 0x4f7ffffe, v1
	v_cvt_u32_f32_e32 v1, v1
	v_readfirstlane_b32 s7, v1
	s_mul_i32 s3, s3, s7
	s_mul_hi_u32 s3, s7, s3
	s_add_i32 s7, s7, s3
	s_waitcnt lgkmcnt(0)
	s_cmp_eq_u64 s[0:1], 0
	s_mul_hi_u32 s20, s11, s7
	s_cbranch_scc1 .LBB84_3
; %bb.2:
	s_ashr_i32 s7, s6, 31
	s_lshl_b64 s[14:15], s[6:7], 2
	s_add_u32 s0, s0, s14
	s_addc_u32 s1, s1, s15
	s_load_dword s12, s[0:1], 0x0
.LBB84_3:
	s_load_dwordx4 s[16:19], s[4:5], 0x58
	s_movk_i32 s0, 0x60
	s_ashr_i32 s21, s6, 31
	s_ashr_i32 s22, s2, 31
	v_and_b32_e32 v2, 7, v0
	s_mul_i32 s14, s6, 0x60
	v_cmp_gt_u32_e64 s[0:1], s0, v0
	v_lshlrev_b32_e32 v1, 1, v0
	s_and_saveexec_b64 s[2:3], s[0:1]
	s_cbranch_execz .LBB84_5
; %bb.4:
	s_load_dwordx2 s[24:25], s[4:5], 0x18
	s_waitcnt lgkmcnt(0)
	s_mul_i32 s28, s26, s16
	s_ashr_i32 s29, s28, 31
	s_lshl_b64 s[28:29], s[28:29], 1
	v_lshrrev_b32_e32 v4, 2, v0
	s_add_u32 s7, s24, s28
	s_addc_u32 s16, s25, s29
	s_ashr_i32 s15, s14, 31
	s_lshl_b64 s[24:25], s[14:15], 1
	s_add_u32 s24, s7, s24
	s_addc_u32 s25, s16, s25
	global_load_ushort v3, v1, s[24:25]
	v_and_b32_e32 v4, 0xfe, v4
	v_mad_u32_u24 v4, v2, 24, v4
	s_waitcnt vmcnt(0)
	ds_write_b16 v4, v3
.LBB84_5:
	s_or_b64 exec, exec, s[2:3]
	s_add_i32 s2, s27, 7
	s_ashr_i32 s3, s2, 31
	s_lshr_b32 s3, s3, 29
	s_add_i32 s2, s2, s3
	s_lshl_b32 s7, s8, 6
	s_mul_i32 s3, s20, s10
	s_waitcnt lgkmcnt(0)
	s_ashr_i32 s16, s2, 3
	s_add_i32 s2, s7, 64
	s_sub_i32 s3, s11, s3
	s_min_i32 s33, s2, s16
	s_xor_b32 s2, s21, s22
	s_add_i32 s11, s20, 1
	s_sub_i32 s15, s3, s10
	s_cmp_ge_u32 s3, s10
	s_cselect_b32 s11, s11, s20
	s_cselect_b32 s3, s15, s3
	s_add_i32 s15, s11, 1
	s_cmp_ge_u32 s3, s10
	s_load_dwordx2 s[28:29], s[4:5], 0x38
	s_load_dword s10, s[4:5], 0x48
	v_lshrrev_b32_e32 v4, 6, v0
	s_cselect_b32 s3, s15, s11
	s_xor_b32 s3, s3, s2
	v_or_b32_e32 v6, s7, v4
	s_waitcnt lgkmcnt(0)
	s_mul_i32 s30, s26, s10
	s_sub_i32 s19, s3, s2
	s_ashr_i32 s31, s30, 31
	v_cmp_gt_i32_e64 s[2:3], s33, v6
	v_cmp_le_i32_e32 vcc, s33, v6
	v_mbcnt_lo_u32_b32 v15, -1, 0
	s_barrier
	s_waitcnt lgkmcnt(0)
                                        ; implicit-def: $sgpr38
                                        ; implicit-def: $vgpr5
                                        ; implicit-def: $vgpr8
	s_and_saveexec_b64 s[10:11], vcc
	s_xor_b64 s[10:11], exec, s[10:11]
; %bb.6:
	v_mbcnt_hi_u32_b32 v5, -1, v15
	v_and_b32_e32 v2, 64, v5
	v_add_u32_e32 v8, 64, v2
	s_mov_b32 s38, 0xff7fffff
                                        ; implicit-def: $vgpr2
                                        ; implicit-def: $vgpr15
; %bb.7:
	s_or_saveexec_b64 s[36:37], s[10:11]
	s_load_dwordx4 s[20:23], s[4:5], 0x0
	s_load_dwordx2 s[24:25], s[4:5], 0x10
	s_load_dwordx2 s[34:35], s[4:5], 0x28
	s_load_dword s15, s[4:5], 0x98
	v_mov_b32_e32 v9, s38
	s_mul_i32 s18, s19, s18
	v_ashrrev_i32_e32 v7, 31, v6
	s_xor_b64 exec, exec, s[36:37]
	s_cbranch_execz .LBB84_13
; %bb.8:
	s_load_dwordx2 s[4:5], s[4:5], 0x20
	s_ashr_i32 s19, s18, 31
	s_lshl_b64 s[10:11], s[18:19], 1
	v_bfe_u32 v3, v0, 3, 3
	v_lshlrev_b32_e32 v5, 4, v3
	s_waitcnt lgkmcnt(0)
	s_add_u32 s4, s4, s10
	s_addc_u32 s5, s5, s11
	v_mov_b32_e32 v8, s5
	v_add_co_u32_e32 v5, vcc, s4, v5
	v_addc_co_u32_e32 v8, vcc, 0, v8, vcc
	v_lshlrev_b32_e32 v9, 1, v2
	v_add_co_u32_e32 v10, vcc, v5, v9
	v_addc_co_u32_e32 v11, vcc, 0, v8, vcc
	v_mul_u32_u24_e32 v12, 24, v2
	v_cmp_eq_u32_e32 vcc, 0, v2
	v_lshlrev_b32_e32 v2, 3, v4
	s_sub_i32 s19, 1, s27
	v_add3_u32 v13, s42, v2, v3
	v_lshlrev_b32_e32 v2, 2, v3
	s_lshl_b64 s[10:11], s[30:31], 2
	v_lshl_or_b32 v2, v4, 5, v2
	s_add_u32 s10, s28, s10
	v_add_u32_e32 v14, 0xd0, v2
	v_lshlrev_b64 v[2:3], 2, v[6:7]
	s_addc_u32 s11, s29, s11
	v_mov_b32_e32 v5, s11
	v_add_co_u32_e64 v2, s[10:11], s10, v2
	v_addc_co_u32_e64 v3, s[10:11], v5, v3, s[10:11]
	v_mbcnt_hi_u32_b32 v5, -1, v15
	v_and_b32_e32 v8, 64, v5
	s_mov_b32 s43, s17
	v_cmp_neq_f32_e64 s[4:5], s12, 0
	s_mov_b64 s[38:39], 0
	v_mov_b32_e32 v9, 0xff7fffff
	v_add_u32_e32 v8, 64, v8
	v_xor_b32_e32 v15, 4, v5
	v_xor_b32_e32 v16, 2, v5
	v_xor_b32_e32 v17, 1, v5
	v_mov_b32_e32 v18, v6
	s_branch .LBB84_10
.LBB84_9:                               ;   in Loop: Header=BB84_10 Depth=1
	s_or_b64 exec, exec, s[40:41]
	v_add_u32_e32 v18, 2, v18
	v_cmp_le_i32_e64 s[10:11], s33, v18
	s_or_b64 s[38:39], s[10:11], s[38:39]
	v_add_co_u32_e64 v2, s[10:11], 8, v2
	v_add_u32_e32 v13, 16, v13
	v_add_u32_e32 v14, 64, v14
	v_addc_co_u32_e64 v3, s[10:11], 0, v3, s[10:11]
	s_andn2_b64 exec, exec, s[38:39]
	s_cbranch_execz .LBB84_12
.LBB84_10:                              ; =>This Inner Loop Header: Depth=1
	global_load_dword v19, v[2:3], off
	s_waitcnt vmcnt(0) lgkmcnt(0)
	v_mad_i64_i32 v[20:21], s[10:11], v19, s43, 0
	v_lshlrev_b64 v[20:21], 1, v[20:21]
	v_add_co_u32_e64 v20, s[10:11], v10, v20
	v_addc_co_u32_e64 v21, s[10:11], v11, v21, s[10:11]
	global_load_ushort v19, v[20:21], off
	global_load_ushort v22, v[20:21], off offset:128
	global_load_ushort v23, v[20:21], off offset:256
	;; [unrolled: 1-line block ×10, first 2 shown]
	ds_read_u16 v32, v12
	global_load_ushort v20, v[20:21], off offset:1408
	s_waitcnt lgkmcnt(0)
	;;#ASMSTART
	v_cvt_f32_f16 v21, v32;
	;;#ASMEND
	v_cmp_lt_i32_e64 s[10:11], v15, v8
	v_cndmask_b32_e64 v40, v5, v15, s[10:11]
	v_lshlrev_b32_e32 v40, 2, v40
	v_cmp_lt_i32_e64 s[10:11], v16, v8
	s_waitcnt vmcnt(11)
	;;#ASMSTART
	v_cvt_f32_f16 v19, v19;
	;;#ASMEND
	ds_read_u16 v32, v12 offset:2
	s_waitcnt lgkmcnt(0)
	;;#ASMSTART
	v_cvt_f32_f16 v32, v32;
	;;#ASMEND
	s_waitcnt vmcnt(10)
	;;#ASMSTART
	v_cvt_f32_f16 v22, v22;
	;;#ASMEND
	v_mul_f32_e32 v22, v32, v22
	ds_read_u16 v33, v12 offset:4
	v_fmac_f32_e32 v22, v21, v19
	s_waitcnt lgkmcnt(0)
	;;#ASMSTART
	v_cvt_f32_f16 v33, v33;
	;;#ASMEND
	s_waitcnt vmcnt(9)
	;;#ASMSTART
	v_cvt_f32_f16 v23, v23;
	;;#ASMEND
	ds_read_u16 v34, v12 offset:6
	v_fmac_f32_e32 v22, v33, v23
	s_waitcnt lgkmcnt(0)
	;;#ASMSTART
	v_cvt_f32_f16 v34, v34;
	;;#ASMEND
	s_waitcnt vmcnt(8)
	;;#ASMSTART
	v_cvt_f32_f16 v24, v24;
	;;#ASMEND
	;; [unrolled: 10-line block ×7, first 2 shown]
	v_fmac_f32_e32 v22, v39, v29
	ds_read_u16 v41, v12 offset:18
	s_waitcnt lgkmcnt(0)
	;;#ASMSTART
	v_cvt_f32_f16 v19, v41;
	;;#ASMEND
	s_waitcnt vmcnt(2)
	;;#ASMSTART
	v_cvt_f32_f16 v21, v30;
	;;#ASMEND
	ds_read_u16 v23, v12 offset:20
	v_fmac_f32_e32 v22, v19, v21
	s_waitcnt lgkmcnt(0)
	;;#ASMSTART
	v_cvt_f32_f16 v23, v23;
	;;#ASMEND
	s_waitcnt vmcnt(1)
	;;#ASMSTART
	v_cvt_f32_f16 v24, v31;
	;;#ASMEND
	v_fmac_f32_e32 v22, v23, v24
	ds_read_u16 v25, v12 offset:22
	s_waitcnt lgkmcnt(0)
	;;#ASMSTART
	v_cvt_f32_f16 v19, v25;
	;;#ASMEND
	s_waitcnt vmcnt(0)
	;;#ASMSTART
	v_cvt_f32_f16 v20, v20;
	;;#ASMEND
	v_fmac_f32_e32 v22, v19, v20
	ds_bpermute_b32 v19, v40, v22
	v_cndmask_b32_e64 v20, v5, v16, s[10:11]
	v_lshlrev_b32_e32 v20, 2, v20
	v_cmp_lt_i32_e64 s[10:11], v17, v8
	v_cndmask_b32_e64 v21, v5, v17, s[10:11]
	s_waitcnt lgkmcnt(0)
	v_add_f32_e32 v19, v22, v19
	ds_bpermute_b32 v20, v20, v19
	s_waitcnt lgkmcnt(0)
	v_add_f32_e32 v19, v19, v20
	v_lshlrev_b32_e32 v20, 2, v21
	ds_bpermute_b32 v20, v20, v19
	s_and_saveexec_b64 s[40:41], vcc
	s_cbranch_execz .LBB84_9
; %bb.11:                               ;   in Loop: Header=BB84_10 Depth=1
	v_add_u32_e32 v21, s19, v13
	v_cvt_f32_i32_e32 v21, v21
	s_waitcnt lgkmcnt(0)
	v_add_f32_e32 v19, v19, v20
	v_cmp_gt_i32_e64 s[10:11], s27, v13
	v_max_f32_e32 v20, v9, v9
	v_mul_f32_e32 v21, s12, v21
	v_cndmask_b32_e64 v21, 0, v21, s[4:5]
	v_fmac_f32_e32 v21, s13, v19
	v_cndmask_b32_e64 v19, 0, v21, s[10:11]
	ds_write_b32 v14, v19
	v_max_f32_e32 v19, v20, v21
	v_cndmask_b32_e64 v9, v9, v19, s[10:11]
	s_branch .LBB84_9
.LBB84_12:
	s_or_b64 exec, exec, s[38:39]
.LBB84_13:
	s_or_b64 exec, exec, s[36:37]
	v_xor_b32_e32 v2, 32, v5
	v_cmp_lt_i32_e32 vcc, v2, v8
	v_cndmask_b32_e32 v2, v5, v2, vcc
	v_lshlrev_b32_e32 v3, 2, v2
	ds_bpermute_b32 v2, v3, v9
	v_xor_b32_e32 v10, 16, v5
	v_max_f32_e32 v9, v9, v9
	v_cmp_lt_i32_e32 vcc, v10, v8
	v_and_b32_e32 v12, 63, v0
	s_waitcnt lgkmcnt(0)
	v_max_f32_e32 v2, v2, v2
	v_max_f32_e32 v2, v9, v2
	v_cndmask_b32_e32 v9, v5, v10, vcc
	v_lshlrev_b32_e32 v11, 2, v9
	ds_bpermute_b32 v9, v11, v2
	v_xor_b32_e32 v10, 8, v5
	v_cmp_lt_i32_e32 vcc, v10, v8
	s_waitcnt lgkmcnt(0)
	v_max_f32_e32 v9, v9, v9
	v_max_f32_e32 v9, v2, v9
	v_cndmask_b32_e32 v2, v5, v10, vcc
	v_lshlrev_b32_e32 v13, 2, v2
	ds_bpermute_b32 v10, v13, v9
	v_cmp_eq_u32_e32 vcc, 0, v12
	v_lshlrev_b32_e32 v2, 2, v4
	s_and_saveexec_b64 s[4:5], vcc
	s_cbranch_execz .LBB84_15
; %bb.14:
	s_waitcnt lgkmcnt(0)
	v_max_f32_e32 v10, v10, v10
	v_max_f32_e32 v9, v9, v9
	;; [unrolled: 1-line block ×3, first 2 shown]
	ds_write_b32 v2, v9 offset:192
.LBB84_15:
	s_or_b64 exec, exec, s[4:5]
	v_cmp_gt_u32_e64 s[4:5], 2, v12
	v_mov_b32_e32 v9, 0xff7fffff
	s_waitcnt lgkmcnt(0)
	v_lshlrev_b32_e32 v10, 2, v12
	s_barrier
	s_and_saveexec_b64 s[10:11], s[4:5]
	s_cbranch_execz .LBB84_17
; %bb.16:
	ds_read_b32 v9, v10 offset:192
.LBB84_17:
	s_or_b64 exec, exec, s[10:11]
	v_xor_b32_e32 v14, 1, v5
	v_cmp_lt_i32_e64 s[10:11], v14, v8
	v_cndmask_b32_e64 v14, v5, v14, s[10:11]
	v_lshlrev_b32_e32 v14, 2, v14
	s_waitcnt lgkmcnt(0)
	ds_bpermute_b32 v15, v14, v9
	v_max_f32_e32 v9, v9, v9
	s_sub_i32 s7, s33, s7
	s_lshl_b32 s7, s7, 3
	s_add_i32 s7, s7, s42
	s_waitcnt lgkmcnt(0)
	v_max_f32_e32 v15, v15, v15
	v_max_f32_e32 v9, v9, v15
	v_lshlrev_b32_e32 v15, 2, v5
	v_and_b32_e32 v15, 0xffffff00, v15
	ds_bpermute_b32 v9, v15, v9
	s_min_i32 s19, s7, s27
	s_sub_i32 s7, s19, s42
	v_cmp_gt_i32_e64 s[10:11], s7, v0
	v_mov_b32_e32 v16, 0
	s_and_saveexec_b64 s[36:37], s[10:11]
	s_cbranch_execz .LBB84_21
; %bb.18:
	v_mov_b32_e32 v16, 0xd0
	v_lshl_add_u32 v17, v0, 2, v16
	s_mov_b64 s[38:39], 0
	v_mov_b32_e32 v16, 0
	v_mov_b32_e32 v18, v0
.LBB84_19:                              ; =>This Inner Loop Header: Depth=1
	ds_read_b32 v19, v17
	v_add_u32_e32 v18, 0x80, v18
	v_cmp_le_i32_e64 s[12:13], s7, v18
	s_or_b64 s[38:39], s[12:13], s[38:39]
	s_waitcnt lgkmcnt(0)
	v_sub_f32_e32 v19, v19, v9
	v_mul_f32_e32 v19, 0x3fb8aa3b, v19
	v_exp_f32_e32 v19, v19
	ds_write_b32 v17, v19
	v_add_f32_e32 v16, v16, v19
	v_add_u32_e32 v17, 0x200, v17
	s_andn2_b64 exec, exec, s[38:39]
	s_cbranch_execnz .LBB84_19
; %bb.20:
	s_or_b64 exec, exec, s[38:39]
.LBB84_21:
	s_or_b64 exec, exec, s[36:37]
	ds_bpermute_b32 v3, v3, v16
	s_waitcnt lgkmcnt(0)
	v_add_f32_e32 v3, v16, v3
	ds_bpermute_b32 v11, v11, v3
	s_waitcnt lgkmcnt(0)
	v_add_f32_e32 v3, v3, v11
	ds_bpermute_b32 v11, v13, v3
	v_xor_b32_e32 v13, 4, v5
	v_cmp_lt_i32_e64 s[12:13], v13, v8
	v_cndmask_b32_e64 v13, v5, v13, s[12:13]
	v_lshlrev_b32_e32 v13, 2, v13
	s_waitcnt lgkmcnt(0)
	v_add_f32_e32 v3, v3, v11
	ds_bpermute_b32 v11, v13, v3
	v_xor_b32_e32 v13, 2, v5
	v_cmp_lt_i32_e64 s[12:13], v13, v8
	v_cndmask_b32_e64 v5, v5, v13, s[12:13]
	v_lshlrev_b32_e32 v5, 2, v5
	s_waitcnt lgkmcnt(0)
	v_add_f32_e32 v3, v3, v11
	ds_bpermute_b32 v5, v5, v3
	s_waitcnt lgkmcnt(0)
	v_add_f32_e32 v3, v3, v5
	ds_bpermute_b32 v5, v14, v3
	s_waitcnt lgkmcnt(0)
	v_add_f32_e32 v3, v3, v5
	s_and_saveexec_b64 s[12:13], vcc
	s_cbranch_execz .LBB84_23
; %bb.22:
	ds_write_b32 v2, v3 offset:200
.LBB84_23:
	s_or_b64 exec, exec, s[12:13]
	s_waitcnt lgkmcnt(0)
	s_barrier
	s_and_saveexec_b64 s[12:13], s[4:5]
	s_cbranch_execz .LBB84_25
; %bb.24:
	ds_read_b32 v3, v10 offset:200
.LBB84_25:
	s_or_b64 exec, exec, s[12:13]
	s_waitcnt lgkmcnt(0)
	ds_bpermute_b32 v2, v14, v3
	s_waitcnt lgkmcnt(0)
	v_add_f32_e32 v2, v3, v2
	ds_bpermute_b32 v5, v15, v2
	s_and_saveexec_b64 s[4:5], s[10:11]
	s_cbranch_execz .LBB84_38
; %bb.26:
	s_waitcnt lgkmcnt(0)
	v_add_f32_e32 v2, 0x358637bd, v5
	v_div_scale_f32 v3, s[10:11], v2, v2, 1.0
	v_rcp_f32_e32 v8, v3
	v_div_scale_f32 v10, vcc, 1.0, v2, 1.0
	s_movk_i32 s10, 0x7f
	v_fma_f32 v11, -v3, v8, 1.0
	v_fmac_f32_e32 v8, v11, v8
	v_mul_f32_e32 v11, v10, v8
	v_fma_f32 v13, -v3, v11, v10
	v_fmac_f32_e32 v11, v13, v8
	v_fma_f32 v3, -v3, v11, v10
	v_div_fmas_f32 v3, v3, v8, v11
	v_div_fixup_f32 v2, v3, v2, 1.0
	v_xad_u32 v3, v0, -1, s19
	v_subrev_u32_e32 v8, s42, v3
	v_cmp_lt_u32_e32 vcc, s10, v8
	s_mov_b64 s[12:13], -1
	v_mov_b32_e32 v3, v0
	s_and_saveexec_b64 s[10:11], vcc
	s_cbranch_execz .LBB84_35
; %bb.27:
	v_lshrrev_b32_e32 v8, 7, v8
	v_add_u32_e32 v11, -1, v8
	v_lshrrev_b32_e32 v10, 1, v11
	v_mov_b32_e32 v3, v2
	v_add_u32_e32 v10, 1, v10
	v_cmp_lt_u32_e32 vcc, 13, v11
	v_mov_b32_e32 v14, 0
	s_and_saveexec_b64 s[12:13], vcc
	s_cbranch_execz .LBB84_31
; %bb.28:
	v_mov_b32_e32 v13, 0xd0
	v_and_b32_e32 v11, -8, v10
	v_lshl_add_u32 v13, v0, 2, v13
	s_mov_b32 s19, 0
	s_mov_b64 s[36:37], 0
.LBB84_29:                              ; =>This Inner Loop Header: Depth=1
	ds_read2st64_b32 v[14:15], v13 offset1:2
	ds_read2st64_b32 v[16:17], v13 offset0:4 offset1:6
	ds_read2st64_b32 v[18:19], v13 offset0:8 offset1:10
	;; [unrolled: 1-line block ×3, first 2 shown]
	v_add_u32_e32 v11, -8, v11
	s_waitcnt lgkmcnt(3)
	v_pk_mul_f32 v[14:15], v[2:3], v[14:15]
	s_waitcnt lgkmcnt(2)
	v_pk_mul_f32 v[16:17], v[2:3], v[16:17]
	ds_write2st64_b32 v13, v14, v15 offset1:2
	ds_write2st64_b32 v13, v16, v17 offset0:4 offset1:6
	ds_read2st64_b32 v[16:17], v13 offset0:16 offset1:18
	s_waitcnt lgkmcnt(4)
	v_pk_mul_f32 v[14:15], v[2:3], v[18:19]
	ds_write2st64_b32 v13, v14, v15 offset0:8 offset1:10
	s_waitcnt lgkmcnt(4)
	v_pk_mul_f32 v[14:15], v[2:3], v[20:21]
	ds_write2st64_b32 v13, v14, v15 offset0:12 offset1:14
	ds_read2st64_b32 v[14:15], v13 offset0:20 offset1:22
	s_waitcnt lgkmcnt(3)
	v_pk_mul_f32 v[16:17], v[2:3], v[16:17]
	ds_read2st64_b32 v[18:19], v13 offset0:24 offset1:26
	ds_write2st64_b32 v13, v16, v17 offset0:16 offset1:18
	ds_read2st64_b32 v[16:17], v13 offset0:28 offset1:30
	s_waitcnt lgkmcnt(3)
	v_pk_mul_f32 v[14:15], v[2:3], v[14:15]
	ds_write2st64_b32 v13, v14, v15 offset0:20 offset1:22
	s_waitcnt lgkmcnt(3)
	v_pk_mul_f32 v[14:15], v[2:3], v[18:19]
	ds_write2st64_b32 v13, v14, v15 offset0:24 offset1:26
	s_waitcnt lgkmcnt(2)
	v_pk_mul_f32 v[14:15], v[2:3], v[16:17]
	s_add_i32 s19, s19, 16
	v_cmp_eq_u32_e32 vcc, 0, v11
	ds_write2st64_b32 v13, v14, v15 offset0:28 offset1:30
	v_add_u32_e32 v13, 0x2000, v13
	s_or_b64 s[36:37], vcc, s[36:37]
	v_mov_b32_e32 v14, s19
	s_andn2_b64 exec, exec, s[36:37]
	s_cbranch_execnz .LBB84_29
; %bb.30:
	s_or_b64 exec, exec, s[36:37]
.LBB84_31:
	s_or_b64 exec, exec, s[12:13]
	v_and_b32_e32 v10, 7, v10
	v_cmp_ne_u32_e32 vcc, 0, v10
	s_and_saveexec_b64 s[12:13], vcc
	s_cbranch_execz .LBB84_34
; %bb.32:
	v_lshlrev_b32_e32 v11, 9, v14
	v_lshlrev_b32_e32 v13, 2, v0
	s_movk_i32 s19, 0xd0
	v_add3_u32 v11, v11, v13, s19
	s_mov_b64 s[36:37], 0
.LBB84_33:                              ; =>This Inner Loop Header: Depth=1
	ds_read2st64_b32 v[14:15], v11 offset1:2
	v_add_u32_e32 v10, -1, v10
	v_cmp_eq_u32_e32 vcc, 0, v10
	s_or_b64 s[36:37], vcc, s[36:37]
	s_waitcnt lgkmcnt(0)
	v_pk_mul_f32 v[14:15], v[2:3], v[14:15]
	ds_write2st64_b32 v11, v14, v15 offset1:2
	v_add_u32_e32 v11, 0x400, v11
	s_andn2_b64 exec, exec, s[36:37]
	s_cbranch_execnz .LBB84_33
.LBB84_34:
	s_or_b64 exec, exec, s[12:13]
	v_add_u32_e32 v8, 1, v8
	v_and_b32_e32 v10, 0x3fffffe, v8
	v_cmp_ne_u32_e32 vcc, v8, v10
	v_lshl_add_u32 v3, v10, 7, v0
	s_orn2_b64 s[12:13], vcc, exec
.LBB84_35:
	s_or_b64 exec, exec, s[10:11]
	s_and_b64 exec, exec, s[12:13]
	s_cbranch_execz .LBB84_38
; %bb.36:
	v_mov_b32_e32 v8, 0xd0
	v_lshl_add_u32 v8, v3, 2, v8
	s_mov_b64 s[10:11], 0
.LBB84_37:                              ; =>This Inner Loop Header: Depth=1
	ds_read_b32 v10, v8
	v_add_u32_e32 v3, 0x80, v3
	v_cmp_le_i32_e32 vcc, s7, v3
	s_or_b64 s[10:11], vcc, s[10:11]
	s_waitcnt lgkmcnt(0)
	v_mul_f32_e32 v10, v2, v10
	ds_write_b32 v8, v10
	v_add_u32_e32 v8, 0x200, v8
	s_andn2_b64 exec, exec, s[10:11]
	s_cbranch_execnz .LBB84_37
.LBB84_38:
	s_or_b64 exec, exec, s[4:5]
	s_mul_i32 s5, s15, s26
	s_mov_b32 s4, 0
	v_cmp_eq_u32_e32 vcc, 0, v0
	s_mul_i32 s10, s5, s9
	s_waitcnt lgkmcnt(0)
	s_barrier
	s_and_saveexec_b64 s[12:13], vcc
	s_cbranch_execz .LBB84_40
; %bb.39:
	s_ashr_i32 s11, s10, 31
	s_lshl_b64 s[36:37], s[10:11], 2
	s_add_u32 s5, s22, s36
	s_mul_i32 s6, s15, s6
	s_addc_u32 s9, s23, s37
	s_ashr_i32 s7, s6, 31
	s_lshl_b64 s[6:7], s[6:7], 2
	s_add_u32 s5, s5, s6
	s_addc_u32 s11, s9, s7
	s_ashr_i32 s9, s8, 31
	s_lshl_b64 s[22:23], s[8:9], 2
	s_add_u32 s38, s5, s22
	s_addc_u32 s39, s11, s23
	s_add_u32 s5, s20, s36
	s_addc_u32 s9, s21, s37
	;; [unrolled: 2-line block ×3, first 2 shown]
	s_add_u32 s6, s5, s22
	v_mov_b32_e32 v2, 0
	s_addc_u32 s7, s7, s23
	global_store_dword v2, v9, s[38:39]
	global_store_dword v2, v5, s[6:7]
.LBB84_40:
	s_or_b64 exec, exec, s[12:13]
	s_mov_b32 s5, s4
	v_pk_mov_b32 v[8:9], s[4:5], s[4:5] op_sel:[0,1]
	s_and_saveexec_b64 s[6:7], s[2:3]
	s_cbranch_execz .LBB84_50
; %bb.41:
	s_ashr_i32 s19, s18, 31
	s_lshl_b64 s[2:3], s[18:19], 1
	s_add_u32 s11, s34, s2
	v_or_b32_e32 v3, 64, v12
	s_movk_i32 s2, 0x60
	s_mov_b32 s9, s17
	s_addc_u32 s17, s35, s3
	s_add_i32 s18, s16, -1
	v_cmp_gt_u32_e32 vcc, s2, v3
	s_lshl_b64 s[2:3], s[30:31], 2
	v_lshlrev_b32_e32 v16, 3, v3
	v_mov_b32_e32 v3, 0xd0
	s_add_u32 s2, s28, s2
	v_lshl_add_u32 v13, v4, 3, s42
	v_lshl_add_u32 v14, v4, 5, v3
	v_lshlrev_b64 v[4:5], 2, v[6:7]
	s_addc_u32 s3, s29, s3
	v_lshlrev_b32_e32 v2, 3, v12
	v_mov_b32_e32 v3, s3
	v_add_co_u32_e64 v10, s[2:3], s2, v4
	s_mov_b32 s5, s4
	s_mov_b32 s19, s27
	;; [unrolled: 1-line block ×8, first 2 shown]
	v_addc_co_u32_e64 v11, s[2:3], v3, v5, s[2:3]
	s_mov_b64 s[12:13], 0
	v_pk_mov_b32 v[8:9], s[4:5], s[4:5] op_sel:[0,1]
	v_mov_b32_e32 v7, s17
	v_lshlrev_b32_e32 v15, 1, v2
	s_mov_b32 s28, 0x5040100
	v_lshlrev_b32_e32 v16, 1, v16
	s_branch .LBB84_44
.LBB84_42:                              ;   in Loop: Header=BB84_44 Depth=1
	s_or_b64 exec, exec, s[4:5]
	s_waitcnt vmcnt(0)
	;;#ASMSTART
	v_pk_mul_f16 v2, v22, v2;

	;;#ASMEND
	;;#ASMSTART
	v_pk_mul_f16 v3, v21, v3;

	;;#ASMEND
	;; [unrolled: 4-line block ×4, first 2 shown]
	;;#ASMSTART
	v_pk_add_f16 v2, v2, v3;

	;;#ASMEND
	;;#ASMSTART
	v_pk_add_f16 v2, v2, v4;

	;;#ASMEND
	;; [unrolled: 4-line block ×3, first 2 shown]
	v_lshrrev_b32_e32 v3, 16, v2
	v_and_b32_e32 v2, 0xffff, v2
	;;#ASMSTART
	v_cvt_f32_f16 v2, v2;
	;;#ASMEND
	;;#ASMSTART
	v_cvt_f32_f16 v3, v3;
	;;#ASMEND
	v_add_f32_e32 v2, v2, v3
	v_add_f32_e32 v9, v9, v2
.LBB84_43:                              ;   in Loop: Header=BB84_44 Depth=1
	s_or_b64 exec, exec, s[16:17]
	v_add_u32_e32 v6, 2, v6
	v_cmp_le_i32_e64 s[2:3], s33, v6
	s_or_b64 s[12:13], s[2:3], s[12:13]
	v_add_co_u32_e64 v10, s[2:3], 8, v10
	v_add_u32_e32 v13, 16, v13
	v_add_u32_e32 v14, 64, v14
	v_addc_co_u32_e64 v11, s[2:3], 0, v11, s[2:3]
	s_andn2_b64 exec, exec, s[12:13]
	s_cbranch_execz .LBB84_49
.LBB84_44:                              ; =>This Inner Loop Header: Depth=1
	global_load_dword v19, v[10:11], off
	ds_read2_b64 v[2:5], v14 offset1:1
	ds_read2_b64 v[24:27], v14 offset0:2 offset1:3
	s_waitcnt lgkmcnt(1)
	;;#ASMSTART
	v_cvt_f16_f32 v17, v2;

	;;#ASMEND
	;;#ASMSTART
	v_cvt_f16_f32 v18, v3;

	;;#ASMEND
	;; [unrolled: 4-line block ×4, first 2 shown]
	s_waitcnt lgkmcnt(0)
	;;#ASMSTART
	v_cvt_f16_f32 v24, v24;

	;;#ASMEND
	;;#ASMSTART
	v_cvt_f16_f32 v25, v25;

	;;#ASMEND
	;; [unrolled: 4-line block ×4, first 2 shown]
	s_waitcnt vmcnt(0)
	v_mad_i64_i32 v[2:3], s[2:3], v19, s9, 0
	v_lshlrev_b64 v[2:3], 1, v[2:3]
	v_add_co_u32_e64 v19, s[2:3], s11, v2
	v_addc_co_u32_e64 v20, s[2:3], v7, v3, s[2:3]
	v_add_co_u32_e64 v2, s[2:3], v19, v15
	v_addc_co_u32_e64 v3, s[2:3], 0, v20, s[2:3]
	global_load_dwordx4 v[2:5], v[2:3], off
	v_cmp_eq_u32_e64 s[2:3], s18, v6
	s_and_saveexec_b64 s[16:17], s[2:3]
	s_cbranch_execz .LBB84_46
; %bb.45:                               ;   in Loop: Header=BB84_44 Depth=1
	v_or_b32_e32 v32, 7, v13
	v_or_b32_e32 v33, 6, v13
	s_waitcnt vmcnt(0)
	v_lshrrev_b32_e32 v34, 16, v5
	v_cmp_gt_i32_e64 s[4:5], s34, v32
	v_cndmask_b32_e64 v32, 0, v34, s[4:5]
	v_cmp_gt_i32_e64 s[4:5], s26, v33
	v_or_b32_e32 v30, 5, v13
	v_cndmask_b32_e64 v5, 0, v5, s[4:5]
	v_or_b32_e32 v31, 4, v13
	v_perm_b32 v5, v32, v5, s28
	v_lshrrev_b32_e32 v32, 16, v4
	v_cmp_gt_i32_e64 s[4:5], s23, v30
	v_cndmask_b32_e64 v30, 0, v32, s[4:5]
	v_cmp_gt_i32_e64 s[4:5], s22, v31
	v_or_b32_e32 v28, 3, v13
	v_cndmask_b32_e64 v4, 0, v4, s[4:5]
	v_or_b32_e32 v29, 2, v13
	v_perm_b32 v4, v30, v4, s28
	v_lshrrev_b32_e32 v30, 16, v3
	v_cmp_gt_i32_e64 s[4:5], s21, v28
	v_cndmask_b32_e64 v28, 0, v30, s[4:5]
	v_cmp_gt_i32_e64 s[4:5], s20, v29
	v_add_u32_e32 v22, 1, v13
	v_cndmask_b32_e64 v3, 0, v3, s[4:5]
	v_perm_b32 v3, v28, v3, s28
	v_lshrrev_b32_e32 v28, 16, v2
	v_cmp_gt_i32_e64 s[4:5], s19, v22
	v_cndmask_b32_e64 v22, 0, v28, s[4:5]
	v_cmp_gt_i32_e64 s[4:5], s27, v13
	v_cndmask_b32_e64 v2, 0, v2, s[4:5]
	v_perm_b32 v2, v22, v2, s28
.LBB84_46:                              ;   in Loop: Header=BB84_44 Depth=1
	s_or_b64 exec, exec, s[16:17]
	v_and_b32_e32 v17, 0xffff, v17
	v_lshl_or_b32 v22, v18, 16, v17
	v_and_b32_e32 v17, 0xffff, v21
	v_lshl_or_b32 v21, v23, 16, v17
	;; [unrolled: 2-line block ×3, first 2 shown]
	v_and_b32_e32 v17, 0xffff, v26
	s_waitcnt vmcnt(0)
	;;#ASMSTART
	v_pk_mul_f16 v2, v22, v2;

	;;#ASMEND
	v_lshl_or_b32 v17, v27, 16, v17
	;;#ASMSTART
	v_pk_mul_f16 v3, v21, v3;

	;;#ASMEND
	;;#ASMSTART
	v_pk_mul_f16 v4, v18, v4;

	;;#ASMEND
	;; [unrolled: 4-line block ×3, first 2 shown]
	;;#ASMSTART
	v_pk_add_f16 v2, v2, v3;

	;;#ASMEND
	;;#ASMSTART
	v_pk_add_f16 v2, v2, v4;

	;;#ASMEND
	;;#ASMSTART
	v_pk_add_f16 v2, v2, v5;

	;;#ASMEND
	v_lshrrev_b32_e32 v3, 16, v2
	v_and_b32_e32 v2, 0xffff, v2
	;;#ASMSTART
	v_cvt_f32_f16 v2, v2;
	;;#ASMEND
	;;#ASMSTART
	v_cvt_f32_f16 v3, v3;
	;;#ASMEND
	v_add_f32_e32 v2, v2, v3
	v_add_f32_e32 v8, v8, v2
	s_and_saveexec_b64 s[16:17], vcc
	s_cbranch_execz .LBB84_43
; %bb.47:                               ;   in Loop: Header=BB84_44 Depth=1
	v_add_co_u32_e64 v2, s[4:5], v19, v16
	v_addc_co_u32_e64 v3, s[4:5], 0, v20, s[4:5]
	global_load_dwordx4 v[2:5], v[2:3], off
	s_and_saveexec_b64 s[4:5], s[2:3]
	s_cbranch_execz .LBB84_42
; %bb.48:                               ;   in Loop: Header=BB84_44 Depth=1
	v_or_b32_e32 v26, 7, v13
	v_or_b32_e32 v27, 6, v13
	s_waitcnt vmcnt(0)
	v_lshrrev_b32_e32 v28, 16, v5
	v_cmp_gt_i32_e64 s[2:3], s34, v26
	v_cndmask_b32_e64 v26, 0, v28, s[2:3]
	v_cmp_gt_i32_e64 s[2:3], s26, v27
	v_or_b32_e32 v24, 5, v13
	v_cndmask_b32_e64 v5, 0, v5, s[2:3]
	v_or_b32_e32 v25, 4, v13
	v_perm_b32 v5, v26, v5, s28
	v_lshrrev_b32_e32 v26, 16, v4
	v_cmp_gt_i32_e64 s[2:3], s23, v24
	v_cndmask_b32_e64 v24, 0, v26, s[2:3]
	v_cmp_gt_i32_e64 s[2:3], s22, v25
	v_or_b32_e32 v20, 3, v13
	v_cndmask_b32_e64 v4, 0, v4, s[2:3]
	v_or_b32_e32 v23, 2, v13
	v_perm_b32 v4, v24, v4, s28
	v_lshrrev_b32_e32 v24, 16, v3
	v_cmp_gt_i32_e64 s[2:3], s21, v20
	v_cndmask_b32_e64 v20, 0, v24, s[2:3]
	v_cmp_gt_i32_e64 s[2:3], s20, v23
	v_add_u32_e32 v19, 1, v13
	v_cndmask_b32_e64 v3, 0, v3, s[2:3]
	v_perm_b32 v3, v20, v3, s28
	v_lshrrev_b32_e32 v20, 16, v2
	v_cmp_gt_i32_e64 s[2:3], s19, v19
	v_cndmask_b32_e64 v19, 0, v20, s[2:3]
	v_cmp_gt_i32_e64 s[2:3], s27, v13
	v_cndmask_b32_e64 v2, 0, v2, s[2:3]
	v_perm_b32 v2, v19, v2, s28
	s_branch .LBB84_42
.LBB84_49:
	s_or_b64 exec, exec, s[12:13]
.LBB84_50:
	s_or_b64 exec, exec, s[6:7]
	v_and_b32_e32 v2, 0x3c0, v0
	v_cmp_eq_u32_e32 vcc, 64, v2
	s_barrier
	s_and_saveexec_b64 s[2:3], vcc
	s_cbranch_execz .LBB84_53
; %bb.51:
	v_mov_b32_e32 v2, 0xd0
	v_lshl_add_u32 v3, v12, 2, v2
	ds_write_b32 v3, v8
	s_and_b64 exec, exec, s[0:1]
	s_cbranch_execz .LBB84_53
; %bb.52:
	v_lshl_add_u32 v2, v0, 2, v2
	ds_write_b32 v2, v9
.LBB84_53:
	s_or_b64 exec, exec, s[2:3]
	v_cmp_gt_u32_e32 vcc, 64, v0
	v_or_b32_e32 v2, 64, v0
	s_waitcnt lgkmcnt(0)
	s_barrier
	s_and_saveexec_b64 s[2:3], vcc
	s_cbranch_execz .LBB84_57
; %bb.54:
	v_mov_b32_e32 v3, 0xd0
	v_lshl_add_u32 v0, v0, 2, v3
	ds_read_b32 v3, v0
	s_movk_i32 s0, 0x60
	v_cmp_gt_u32_e64 s[0:1], s0, v2
	s_waitcnt lgkmcnt(0)
	v_add_f32_e32 v8, v8, v3
	s_and_saveexec_b64 s[4:5], s[0:1]
	s_cbranch_execz .LBB84_56
; %bb.55:
	ds_read_b32 v0, v0 offset:256
	s_waitcnt lgkmcnt(0)
	v_add_f32_e32 v9, v9, v0
.LBB84_56:
	s_or_b64 exec, exec, s[4:5]
.LBB84_57:
	s_or_b64 exec, exec, s[2:3]
	s_barrier
	s_and_saveexec_b64 s[0:1], vcc
	s_cbranch_execz .LBB84_60
; %bb.58:
	s_mul_i32 s0, s10, 0x60
	s_ashr_i32 s1, s0, 31
	s_lshl_b64 s[0:1], s[0:1], 1
	s_add_u32 s3, s24, s0
	s_mul_i32 s0, s15, s14
	s_addc_u32 s4, s25, s1
	s_ashr_i32 s1, s0, 31
	s_lshl_b64 s[0:1], s[0:1], 1
	s_add_u32 s3, s3, s0
	s_mul_i32 s0, s8, 0x60
	s_addc_u32 s4, s4, s1
	s_ashr_i32 s1, s0, 31
	s_lshl_b64 s[0:1], s[0:1], 1
	s_movk_i32 s2, 0x60
	s_add_u32 s0, s3, s0
	s_addc_u32 s1, s4, s1
	v_cmp_gt_u32_e32 vcc, s2, v2
	;;#ASMSTART
	v_cvt_f16_f32 v0, v8;

	;;#ASMEND
	global_store_short v1, v0, s[0:1]
	s_and_b64 exec, exec, vcc
	s_cbranch_execz .LBB84_60
; %bb.59:
	v_mov_b32_e32 v2, s1
	v_add_co_u32_e32 v0, vcc, s0, v1
	v_addc_co_u32_e32 v1, vcc, 0, v2, vcc
	;;#ASMSTART
	v_cvt_f16_f32 v2, v9;

	;;#ASMEND
	global_store_short v[0:1], v2, off offset:128
.LBB84_60:
	s_endpgm
	.section	.rodata,"a",@progbits
	.p2align	6, 0x0
	.amdhsa_kernel _ZN4vllm25paged_attention_v2_kernelIttLi96ELi8ELi128ELNS_18Fp8KVCacheDataTypeE0ELb0ELi512EEEvPfS2_PT_PKS3_PKT0_S9_ifPKiSB_iPKfiiiSD_SD_iiiii
		.amdhsa_group_segment_fixed_size 208
		.amdhsa_private_segment_fixed_size 0
		.amdhsa_kernarg_size 400
		.amdhsa_user_sgpr_count 6
		.amdhsa_user_sgpr_private_segment_buffer 1
		.amdhsa_user_sgpr_dispatch_ptr 0
		.amdhsa_user_sgpr_queue_ptr 0
		.amdhsa_user_sgpr_kernarg_segment_ptr 1
		.amdhsa_user_sgpr_dispatch_id 0
		.amdhsa_user_sgpr_flat_scratch_init 0
		.amdhsa_user_sgpr_kernarg_preload_length 0
		.amdhsa_user_sgpr_kernarg_preload_offset 0
		.amdhsa_user_sgpr_private_segment_size 0
		.amdhsa_uses_dynamic_stack 0
		.amdhsa_system_sgpr_private_segment_wavefront_offset 0
		.amdhsa_system_sgpr_workgroup_id_x 1
		.amdhsa_system_sgpr_workgroup_id_y 1
		.amdhsa_system_sgpr_workgroup_id_z 1
		.amdhsa_system_sgpr_workgroup_info 0
		.amdhsa_system_vgpr_workitem_id 0
		.amdhsa_next_free_vgpr 42
		.amdhsa_next_free_sgpr 44
		.amdhsa_accum_offset 44
		.amdhsa_reserve_vcc 1
		.amdhsa_reserve_flat_scratch 0
		.amdhsa_float_round_mode_32 0
		.amdhsa_float_round_mode_16_64 0
		.amdhsa_float_denorm_mode_32 3
		.amdhsa_float_denorm_mode_16_64 3
		.amdhsa_dx10_clamp 1
		.amdhsa_ieee_mode 1
		.amdhsa_fp16_overflow 0
		.amdhsa_tg_split 0
		.amdhsa_exception_fp_ieee_invalid_op 0
		.amdhsa_exception_fp_denorm_src 0
		.amdhsa_exception_fp_ieee_div_zero 0
		.amdhsa_exception_fp_ieee_overflow 0
		.amdhsa_exception_fp_ieee_underflow 0
		.amdhsa_exception_fp_ieee_inexact 0
		.amdhsa_exception_int_div_zero 0
	.end_amdhsa_kernel
	.section	.text._ZN4vllm25paged_attention_v2_kernelIttLi96ELi8ELi128ELNS_18Fp8KVCacheDataTypeE0ELb0ELi512EEEvPfS2_PT_PKS3_PKT0_S9_ifPKiSB_iPKfiiiSD_SD_iiiii,"axG",@progbits,_ZN4vllm25paged_attention_v2_kernelIttLi96ELi8ELi128ELNS_18Fp8KVCacheDataTypeE0ELb0ELi512EEEvPfS2_PT_PKS3_PKT0_S9_ifPKiSB_iPKfiiiSD_SD_iiiii,comdat
.Lfunc_end84:
	.size	_ZN4vllm25paged_attention_v2_kernelIttLi96ELi8ELi128ELNS_18Fp8KVCacheDataTypeE0ELb0ELi512EEEvPfS2_PT_PKS3_PKT0_S9_ifPKiSB_iPKfiiiSD_SD_iiiii, .Lfunc_end84-_ZN4vllm25paged_attention_v2_kernelIttLi96ELi8ELi128ELNS_18Fp8KVCacheDataTypeE0ELb0ELi512EEEvPfS2_PT_PKS3_PKT0_S9_ifPKiSB_iPKfiiiSD_SD_iiiii
                                        ; -- End function
	.section	.AMDGPU.csdata,"",@progbits
; Kernel info:
; codeLenInByte = 4616
; NumSgprs: 48
; NumVgprs: 42
; NumAgprs: 0
; TotalNumVgprs: 42
; ScratchSize: 0
; MemoryBound: 0
; FloatMode: 240
; IeeeMode: 1
; LDSByteSize: 208 bytes/workgroup (compile time only)
; SGPRBlocks: 5
; VGPRBlocks: 5
; NumSGPRsForWavesPerEU: 48
; NumVGPRsForWavesPerEU: 42
; AccumOffset: 44
; Occupancy: 8
; WaveLimiterHint : 1
; COMPUTE_PGM_RSRC2:SCRATCH_EN: 0
; COMPUTE_PGM_RSRC2:USER_SGPR: 6
; COMPUTE_PGM_RSRC2:TRAP_HANDLER: 0
; COMPUTE_PGM_RSRC2:TGID_X_EN: 1
; COMPUTE_PGM_RSRC2:TGID_Y_EN: 1
; COMPUTE_PGM_RSRC2:TGID_Z_EN: 1
; COMPUTE_PGM_RSRC2:TIDIG_COMP_CNT: 0
; COMPUTE_PGM_RSRC3_GFX90A:ACCUM_OFFSET: 10
; COMPUTE_PGM_RSRC3_GFX90A:TG_SPLIT: 0
	.section	.text._ZN4vllm25paged_attention_v2_kernelIttLi112ELi8ELi128ELNS_18Fp8KVCacheDataTypeE0ELb0ELi512EEEvPfS2_PT_PKS3_PKT0_S9_ifPKiSB_iPKfiiiSD_SD_iiiii,"axG",@progbits,_ZN4vllm25paged_attention_v2_kernelIttLi112ELi8ELi128ELNS_18Fp8KVCacheDataTypeE0ELb0ELi512EEEvPfS2_PT_PKS3_PKT0_S9_ifPKiSB_iPKfiiiSD_SD_iiiii,comdat
	.protected	_ZN4vllm25paged_attention_v2_kernelIttLi112ELi8ELi128ELNS_18Fp8KVCacheDataTypeE0ELb0ELi512EEEvPfS2_PT_PKS3_PKT0_S9_ifPKiSB_iPKfiiiSD_SD_iiiii ; -- Begin function _ZN4vllm25paged_attention_v2_kernelIttLi112ELi8ELi128ELNS_18Fp8KVCacheDataTypeE0ELb0ELi512EEEvPfS2_PT_PKS3_PKT0_S9_ifPKiSB_iPKfiiiSD_SD_iiiii
	.globl	_ZN4vllm25paged_attention_v2_kernelIttLi112ELi8ELi128ELNS_18Fp8KVCacheDataTypeE0ELb0ELi512EEEvPfS2_PT_PKS3_PKT0_S9_ifPKiSB_iPKfiiiSD_SD_iiiii
	.p2align	8
	.type	_ZN4vllm25paged_attention_v2_kernelIttLi112ELi8ELi128ELNS_18Fp8KVCacheDataTypeE0ELb0ELi512EEEvPfS2_PT_PKS3_PKT0_S9_ifPKiSB_iPKfiiiSD_SD_iiiii,@function
_ZN4vllm25paged_attention_v2_kernelIttLi112ELi8ELi128ELNS_18Fp8KVCacheDataTypeE0ELb0ELi512EEEvPfS2_PT_PKS3_PKT0_S9_ifPKiSB_iPKfiiiSD_SD_iiiii: ; @_ZN4vllm25paged_attention_v2_kernelIttLi112ELi8ELi128ELNS_18Fp8KVCacheDataTypeE0ELb0ELi512EEEvPfS2_PT_PKS3_PKT0_S9_ifPKiSB_iPKfiiiSD_SD_iiiii
; %bb.0:
	s_load_dwordx2 s[0:1], s[4:5], 0x40
	s_mov_b32 s26, s7
	s_ashr_i32 s27, s7, 31
	s_lshl_b64 s[2:3], s[26:27], 2
	s_waitcnt lgkmcnt(0)
	s_add_u32 s0, s0, s2
	s_addc_u32 s1, s1, s3
	s_load_dword s27, s[0:1], 0x0
	s_lshl_b32 s42, s8, 9
	s_waitcnt lgkmcnt(0)
	s_cmp_ge_i32 s42, s27
	s_cbranch_scc1 .LBB85_60
; %bb.1:
	s_load_dword s9, s[4:5], 0x90
	s_load_dwordx2 s[12:13], s[4:5], 0x30
	s_waitcnt lgkmcnt(0)
	s_abs_i32 s2, s9
	s_abs_i32 s0, s12
	v_cvt_f32_u32_e32 v1, s0
	s_sub_i32 s3, 0, s0
	s_xor_b32 s1, s9, s12
	s_ashr_i32 s1, s1, 31
	v_rcp_iflag_f32_e32 v1, v1
	s_mov_b32 s12, 0
	v_mul_f32_e32 v1, 0x4f7ffffe, v1
	v_cvt_u32_f32_e32 v1, v1
	v_readfirstlane_b32 s7, v1
	s_mul_i32 s3, s3, s7
	s_mul_hi_u32 s3, s7, s3
	s_add_i32 s7, s7, s3
	s_mul_hi_u32 s3, s2, s7
	s_mul_i32 s7, s3, s0
	s_sub_i32 s2, s2, s7
	s_add_i32 s10, s3, 1
	s_sub_i32 s7, s2, s0
	s_cmp_ge_u32 s2, s0
	s_cselect_b32 s3, s10, s3
	s_cselect_b32 s2, s7, s2
	s_add_i32 s7, s3, 1
	s_cmp_ge_u32 s2, s0
	s_cselect_b32 s0, s7, s3
	s_xor_b32 s0, s0, s1
	s_sub_i32 s2, s0, s1
	s_abs_i32 s10, s2
	v_cvt_f32_u32_e32 v1, s10
	s_load_dwordx2 s[0:1], s[4:5], 0x50
	s_sub_i32 s3, 0, s10
	s_abs_i32 s11, s6
	v_rcp_iflag_f32_e32 v1, v1
	v_mul_f32_e32 v1, 0x4f7ffffe, v1
	v_cvt_u32_f32_e32 v1, v1
	v_readfirstlane_b32 s7, v1
	s_mul_i32 s3, s3, s7
	s_mul_hi_u32 s3, s7, s3
	s_add_i32 s7, s7, s3
	s_waitcnt lgkmcnt(0)
	s_cmp_eq_u64 s[0:1], 0
	s_mul_hi_u32 s20, s11, s7
	s_cbranch_scc1 .LBB85_3
; %bb.2:
	s_ashr_i32 s7, s6, 31
	s_lshl_b64 s[14:15], s[6:7], 2
	s_add_u32 s0, s0, s14
	s_addc_u32 s1, s1, s15
	s_load_dword s12, s[0:1], 0x0
.LBB85_3:
	s_load_dwordx4 s[16:19], s[4:5], 0x58
	s_movk_i32 s0, 0x70
	s_ashr_i32 s21, s6, 31
	s_ashr_i32 s22, s2, 31
	v_and_b32_e32 v2, 7, v0
	s_mul_i32 s14, s6, 0x70
	v_cmp_gt_u32_e64 s[0:1], s0, v0
	v_lshlrev_b32_e32 v1, 1, v0
	s_and_saveexec_b64 s[2:3], s[0:1]
	s_cbranch_execz .LBB85_5
; %bb.4:
	s_load_dwordx2 s[24:25], s[4:5], 0x18
	s_waitcnt lgkmcnt(0)
	s_mul_i32 s28, s26, s16
	s_ashr_i32 s29, s28, 31
	s_lshl_b64 s[28:29], s[28:29], 1
	v_lshrrev_b32_e32 v4, 2, v0
	s_add_u32 s7, s24, s28
	s_addc_u32 s16, s25, s29
	s_ashr_i32 s15, s14, 31
	s_lshl_b64 s[24:25], s[14:15], 1
	s_add_u32 s24, s7, s24
	s_addc_u32 s25, s16, s25
	global_load_ushort v3, v1, s[24:25]
	v_and_b32_e32 v4, 0xfe, v4
	v_mad_u32_u24 v4, v2, 28, v4
	s_waitcnt vmcnt(0)
	ds_write_b16 v4, v3
.LBB85_5:
	s_or_b64 exec, exec, s[2:3]
	s_add_i32 s2, s27, 7
	s_ashr_i32 s3, s2, 31
	s_lshr_b32 s3, s3, 29
	s_add_i32 s2, s2, s3
	s_lshl_b32 s7, s8, 6
	s_mul_i32 s3, s20, s10
	s_waitcnt lgkmcnt(0)
	s_ashr_i32 s16, s2, 3
	s_add_i32 s2, s7, 64
	s_sub_i32 s3, s11, s3
	s_min_i32 s33, s2, s16
	s_xor_b32 s2, s21, s22
	s_add_i32 s11, s20, 1
	s_sub_i32 s15, s3, s10
	s_cmp_ge_u32 s3, s10
	s_cselect_b32 s11, s11, s20
	s_cselect_b32 s3, s15, s3
	s_add_i32 s15, s11, 1
	s_cmp_ge_u32 s3, s10
	s_load_dwordx2 s[28:29], s[4:5], 0x38
	s_load_dword s10, s[4:5], 0x48
	v_lshrrev_b32_e32 v4, 6, v0
	s_cselect_b32 s3, s15, s11
	s_xor_b32 s3, s3, s2
	v_or_b32_e32 v6, s7, v4
	s_waitcnt lgkmcnt(0)
	s_mul_i32 s30, s26, s10
	s_sub_i32 s19, s3, s2
	s_ashr_i32 s31, s30, 31
	v_cmp_gt_i32_e64 s[2:3], s33, v6
	v_cmp_le_i32_e32 vcc, s33, v6
	v_mbcnt_lo_u32_b32 v15, -1, 0
	s_barrier
	s_waitcnt lgkmcnt(0)
                                        ; implicit-def: $sgpr38
                                        ; implicit-def: $vgpr5
                                        ; implicit-def: $vgpr8
	s_and_saveexec_b64 s[10:11], vcc
	s_xor_b64 s[10:11], exec, s[10:11]
; %bb.6:
	v_mbcnt_hi_u32_b32 v5, -1, v15
	v_and_b32_e32 v2, 64, v5
	v_add_u32_e32 v8, 64, v2
	s_mov_b32 s38, 0xff7fffff
                                        ; implicit-def: $vgpr2
                                        ; implicit-def: $vgpr15
; %bb.7:
	s_or_saveexec_b64 s[36:37], s[10:11]
	s_load_dwordx4 s[20:23], s[4:5], 0x0
	s_load_dwordx2 s[24:25], s[4:5], 0x10
	s_load_dwordx2 s[34:35], s[4:5], 0x28
	s_load_dword s15, s[4:5], 0x98
	v_mov_b32_e32 v9, s38
	s_mul_i32 s18, s19, s18
	v_ashrrev_i32_e32 v7, 31, v6
	s_xor_b64 exec, exec, s[36:37]
	s_cbranch_execz .LBB85_13
; %bb.8:
	s_load_dwordx2 s[4:5], s[4:5], 0x20
	s_ashr_i32 s19, s18, 31
	s_lshl_b64 s[10:11], s[18:19], 1
	v_bfe_u32 v3, v0, 3, 3
	v_lshlrev_b32_e32 v5, 4, v3
	s_waitcnt lgkmcnt(0)
	s_add_u32 s4, s4, s10
	s_addc_u32 s5, s5, s11
	v_mov_b32_e32 v8, s5
	v_add_co_u32_e32 v5, vcc, s4, v5
	v_addc_co_u32_e32 v8, vcc, 0, v8, vcc
	v_lshlrev_b32_e32 v9, 1, v2
	v_add_co_u32_e32 v10, vcc, v5, v9
	v_addc_co_u32_e32 v11, vcc, 0, v8, vcc
	v_mul_u32_u24_e32 v12, 28, v2
	v_cmp_eq_u32_e32 vcc, 0, v2
	v_lshlrev_b32_e32 v2, 3, v4
	s_sub_i32 s19, 1, s27
	v_add3_u32 v13, s42, v2, v3
	v_lshlrev_b32_e32 v2, 2, v3
	s_lshl_b64 s[10:11], s[30:31], 2
	v_lshl_or_b32 v2, v4, 5, v2
	s_add_u32 s10, s28, s10
	v_add_u32_e32 v14, 0xf0, v2
	v_lshlrev_b64 v[2:3], 2, v[6:7]
	s_addc_u32 s11, s29, s11
	v_mov_b32_e32 v5, s11
	v_add_co_u32_e64 v2, s[10:11], s10, v2
	v_addc_co_u32_e64 v3, s[10:11], v5, v3, s[10:11]
	v_mbcnt_hi_u32_b32 v5, -1, v15
	v_and_b32_e32 v8, 64, v5
	s_mov_b32 s43, s17
	v_cmp_neq_f32_e64 s[4:5], s12, 0
	s_mov_b64 s[38:39], 0
	v_mov_b32_e32 v9, 0xff7fffff
	v_add_u32_e32 v8, 64, v8
	v_xor_b32_e32 v15, 4, v5
	v_xor_b32_e32 v16, 2, v5
	;; [unrolled: 1-line block ×3, first 2 shown]
	v_mov_b32_e32 v18, v6
	s_branch .LBB85_10
.LBB85_9:                               ;   in Loop: Header=BB85_10 Depth=1
	s_or_b64 exec, exec, s[40:41]
	v_add_u32_e32 v18, 2, v18
	v_cmp_le_i32_e64 s[10:11], s33, v18
	s_or_b64 s[38:39], s[10:11], s[38:39]
	v_add_co_u32_e64 v2, s[10:11], 8, v2
	v_add_u32_e32 v13, 16, v13
	v_add_u32_e32 v14, 64, v14
	v_addc_co_u32_e64 v3, s[10:11], 0, v3, s[10:11]
	s_andn2_b64 exec, exec, s[38:39]
	s_cbranch_execz .LBB85_12
.LBB85_10:                              ; =>This Inner Loop Header: Depth=1
	global_load_dword v19, v[2:3], off
	s_waitcnt vmcnt(0) lgkmcnt(0)
	v_mad_i64_i32 v[20:21], s[10:11], v19, s43, 0
	v_lshlrev_b64 v[20:21], 1, v[20:21]
	v_add_co_u32_e64 v20, s[10:11], v10, v20
	v_addc_co_u32_e64 v21, s[10:11], v11, v21, s[10:11]
	global_load_ushort v19, v[20:21], off
	global_load_ushort v22, v[20:21], off offset:128
	global_load_ushort v23, v[20:21], off offset:256
	;; [unrolled: 1-line block ×10, first 2 shown]
	ds_read_u16 v32, v12
	global_load_ushort v33, v[20:21], off offset:1408
	global_load_ushort v34, v[20:21], off offset:1536
	;; [unrolled: 1-line block ×3, first 2 shown]
	s_waitcnt lgkmcnt(0)
	;;#ASMSTART
	v_cvt_f32_f16 v20, v32;
	;;#ASMEND
	v_cmp_lt_i32_e64 s[10:11], v15, v8
	v_cndmask_b32_e64 v44, v5, v15, s[10:11]
	v_lshlrev_b32_e32 v44, 2, v44
	v_cmp_lt_i32_e64 s[10:11], v16, v8
	s_waitcnt vmcnt(13)
	;;#ASMSTART
	v_cvt_f32_f16 v19, v19;
	;;#ASMEND
	ds_read_u16 v21, v12 offset:2
	s_waitcnt lgkmcnt(0)
	;;#ASMSTART
	v_cvt_f32_f16 v21, v21;
	;;#ASMEND
	s_waitcnt vmcnt(12)
	;;#ASMSTART
	v_cvt_f32_f16 v22, v22;
	;;#ASMEND
	v_mul_f32_e32 v21, v21, v22
	ds_read_u16 v32, v12 offset:4
	v_fmac_f32_e32 v21, v20, v19
	s_waitcnt lgkmcnt(0)
	;;#ASMSTART
	v_cvt_f32_f16 v32, v32;
	;;#ASMEND
	s_waitcnt vmcnt(11)
	;;#ASMSTART
	v_cvt_f32_f16 v23, v23;
	;;#ASMEND
	ds_read_u16 v36, v12 offset:6
	v_fmac_f32_e32 v21, v32, v23
	s_waitcnt lgkmcnt(0)
	;;#ASMSTART
	v_cvt_f32_f16 v36, v36;
	;;#ASMEND
	s_waitcnt vmcnt(10)
	;;#ASMSTART
	v_cvt_f32_f16 v24, v24;
	;;#ASMEND
	;; [unrolled: 10-line block ×8, first 2 shown]
	v_fmac_f32_e32 v21, v42, v30
	ds_read_u16 v43, v12 offset:20
	s_waitcnt lgkmcnt(0)
	;;#ASMSTART
	v_cvt_f32_f16 v22, v43;
	;;#ASMEND
	s_waitcnt vmcnt(3)
	;;#ASMSTART
	v_cvt_f32_f16 v31, v31;
	;;#ASMEND
	v_fmac_f32_e32 v21, v22, v31
	ds_read_u16 v43, v12 offset:22
	s_waitcnt lgkmcnt(0)
	;;#ASMSTART
	v_cvt_f32_f16 v19, v43;
	;;#ASMEND
	s_waitcnt vmcnt(2)
	;;#ASMSTART
	v_cvt_f32_f16 v20, v33;
	;;#ASMEND
	ds_read_u16 v23, v12 offset:24
	v_fmac_f32_e32 v21, v19, v20
	s_waitcnt lgkmcnt(0)
	;;#ASMSTART
	v_cvt_f32_f16 v23, v23;
	;;#ASMEND
	s_waitcnt vmcnt(1)
	;;#ASMSTART
	v_cvt_f32_f16 v24, v34;
	;;#ASMEND
	v_fmac_f32_e32 v21, v23, v24
	ds_read_u16 v25, v12 offset:26
	s_waitcnt lgkmcnt(0)
	;;#ASMSTART
	v_cvt_f32_f16 v19, v25;
	;;#ASMEND
	s_waitcnt vmcnt(0)
	;;#ASMSTART
	v_cvt_f32_f16 v20, v35;
	;;#ASMEND
	v_fmac_f32_e32 v21, v19, v20
	ds_bpermute_b32 v19, v44, v21
	v_cndmask_b32_e64 v20, v5, v16, s[10:11]
	v_lshlrev_b32_e32 v20, 2, v20
	v_cmp_lt_i32_e64 s[10:11], v17, v8
	s_waitcnt lgkmcnt(0)
	v_add_f32_e32 v19, v21, v19
	ds_bpermute_b32 v20, v20, v19
	v_cndmask_b32_e64 v21, v5, v17, s[10:11]
	s_waitcnt lgkmcnt(0)
	v_add_f32_e32 v19, v19, v20
	v_lshlrev_b32_e32 v20, 2, v21
	ds_bpermute_b32 v20, v20, v19
	s_and_saveexec_b64 s[40:41], vcc
	s_cbranch_execz .LBB85_9
; %bb.11:                               ;   in Loop: Header=BB85_10 Depth=1
	v_add_u32_e32 v21, s19, v13
	v_cvt_f32_i32_e32 v21, v21
	s_waitcnt lgkmcnt(0)
	v_add_f32_e32 v19, v19, v20
	v_cmp_gt_i32_e64 s[10:11], s27, v13
	v_max_f32_e32 v20, v9, v9
	v_mul_f32_e32 v21, s12, v21
	v_cndmask_b32_e64 v21, 0, v21, s[4:5]
	v_fmac_f32_e32 v21, s13, v19
	v_cndmask_b32_e64 v19, 0, v21, s[10:11]
	ds_write_b32 v14, v19
	v_max_f32_e32 v19, v20, v21
	v_cndmask_b32_e64 v9, v9, v19, s[10:11]
	s_branch .LBB85_9
.LBB85_12:
	s_or_b64 exec, exec, s[38:39]
.LBB85_13:
	s_or_b64 exec, exec, s[36:37]
	v_xor_b32_e32 v2, 32, v5
	v_cmp_lt_i32_e32 vcc, v2, v8
	v_cndmask_b32_e32 v2, v5, v2, vcc
	v_lshlrev_b32_e32 v3, 2, v2
	ds_bpermute_b32 v2, v3, v9
	v_xor_b32_e32 v10, 16, v5
	v_max_f32_e32 v9, v9, v9
	v_cmp_lt_i32_e32 vcc, v10, v8
	s_waitcnt lgkmcnt(0)
	v_max_f32_e32 v2, v2, v2
	v_max_f32_e32 v2, v9, v2
	v_cndmask_b32_e32 v9, v5, v10, vcc
	v_lshlrev_b32_e32 v12, 2, v9
	ds_bpermute_b32 v9, v12, v2
	v_xor_b32_e32 v10, 8, v5
	v_cmp_lt_i32_e32 vcc, v10, v8
	s_waitcnt lgkmcnt(0)
	v_max_f32_e32 v9, v9, v9
	v_max_f32_e32 v9, v2, v9
	v_cndmask_b32_e32 v2, v5, v10, vcc
	v_lshlrev_b32_e32 v13, 2, v2
	ds_bpermute_b32 v11, v13, v9
	v_and_b32_e32 v10, 63, v0
	v_cmp_eq_u32_e32 vcc, 0, v10
	v_lshlrev_b32_e32 v2, 2, v4
	s_and_saveexec_b64 s[4:5], vcc
	s_cbranch_execz .LBB85_15
; %bb.14:
	s_waitcnt lgkmcnt(0)
	v_max_f32_e32 v11, v11, v11
	v_max_f32_e32 v9, v9, v9
	;; [unrolled: 1-line block ×3, first 2 shown]
	ds_write_b32 v2, v9 offset:224
.LBB85_15:
	s_or_b64 exec, exec, s[4:5]
	v_cmp_gt_u32_e64 s[4:5], 2, v10
	v_mov_b32_e32 v9, 0xff7fffff
	s_waitcnt lgkmcnt(0)
	v_lshlrev_b32_e32 v11, 2, v10
	s_barrier
	s_and_saveexec_b64 s[10:11], s[4:5]
	s_cbranch_execz .LBB85_17
; %bb.16:
	ds_read_b32 v9, v11 offset:224
.LBB85_17:
	s_or_b64 exec, exec, s[10:11]
	v_xor_b32_e32 v14, 1, v5
	v_cmp_lt_i32_e64 s[10:11], v14, v8
	v_cndmask_b32_e64 v14, v5, v14, s[10:11]
	v_lshlrev_b32_e32 v14, 2, v14
	s_waitcnt lgkmcnt(0)
	ds_bpermute_b32 v15, v14, v9
	v_max_f32_e32 v9, v9, v9
	s_sub_i32 s7, s33, s7
	s_lshl_b32 s7, s7, 3
	s_add_i32 s7, s7, s42
	s_waitcnt lgkmcnt(0)
	v_max_f32_e32 v15, v15, v15
	v_max_f32_e32 v9, v9, v15
	v_lshlrev_b32_e32 v15, 2, v5
	v_and_b32_e32 v15, 0xffffff00, v15
	ds_bpermute_b32 v9, v15, v9
	s_min_i32 s19, s7, s27
	s_sub_i32 s7, s19, s42
	v_cmp_gt_i32_e64 s[10:11], s7, v0
	v_mov_b32_e32 v16, 0
	s_and_saveexec_b64 s[36:37], s[10:11]
	s_cbranch_execz .LBB85_21
; %bb.18:
	v_mov_b32_e32 v16, 0xf0
	v_lshl_add_u32 v17, v0, 2, v16
	s_mov_b64 s[38:39], 0
	v_mov_b32_e32 v16, 0
	v_mov_b32_e32 v18, v0
.LBB85_19:                              ; =>This Inner Loop Header: Depth=1
	ds_read_b32 v19, v17
	v_add_u32_e32 v18, 0x80, v18
	v_cmp_le_i32_e64 s[12:13], s7, v18
	s_or_b64 s[38:39], s[12:13], s[38:39]
	s_waitcnt lgkmcnt(0)
	v_sub_f32_e32 v19, v19, v9
	v_mul_f32_e32 v19, 0x3fb8aa3b, v19
	v_exp_f32_e32 v19, v19
	ds_write_b32 v17, v19
	v_add_f32_e32 v16, v16, v19
	v_add_u32_e32 v17, 0x200, v17
	s_andn2_b64 exec, exec, s[38:39]
	s_cbranch_execnz .LBB85_19
; %bb.20:
	s_or_b64 exec, exec, s[38:39]
.LBB85_21:
	s_or_b64 exec, exec, s[36:37]
	ds_bpermute_b32 v3, v3, v16
	s_waitcnt lgkmcnt(0)
	v_add_f32_e32 v3, v16, v3
	ds_bpermute_b32 v12, v12, v3
	s_waitcnt lgkmcnt(0)
	v_add_f32_e32 v3, v3, v12
	ds_bpermute_b32 v12, v13, v3
	v_xor_b32_e32 v13, 4, v5
	v_cmp_lt_i32_e64 s[12:13], v13, v8
	v_cndmask_b32_e64 v13, v5, v13, s[12:13]
	v_lshlrev_b32_e32 v13, 2, v13
	s_waitcnt lgkmcnt(0)
	v_add_f32_e32 v3, v3, v12
	ds_bpermute_b32 v12, v13, v3
	v_xor_b32_e32 v13, 2, v5
	v_cmp_lt_i32_e64 s[12:13], v13, v8
	v_cndmask_b32_e64 v5, v5, v13, s[12:13]
	v_lshlrev_b32_e32 v5, 2, v5
	s_waitcnt lgkmcnt(0)
	v_add_f32_e32 v3, v3, v12
	ds_bpermute_b32 v5, v5, v3
	s_waitcnt lgkmcnt(0)
	v_add_f32_e32 v3, v3, v5
	ds_bpermute_b32 v5, v14, v3
	s_waitcnt lgkmcnt(0)
	v_add_f32_e32 v3, v3, v5
	s_and_saveexec_b64 s[12:13], vcc
	s_cbranch_execz .LBB85_23
; %bb.22:
	ds_write_b32 v2, v3 offset:232
.LBB85_23:
	s_or_b64 exec, exec, s[12:13]
	s_waitcnt lgkmcnt(0)
	s_barrier
	s_and_saveexec_b64 s[12:13], s[4:5]
	s_cbranch_execz .LBB85_25
; %bb.24:
	ds_read_b32 v3, v11 offset:232
.LBB85_25:
	s_or_b64 exec, exec, s[12:13]
	s_waitcnt lgkmcnt(0)
	ds_bpermute_b32 v2, v14, v3
	s_waitcnt lgkmcnt(0)
	v_add_f32_e32 v2, v3, v2
	ds_bpermute_b32 v5, v15, v2
	s_and_saveexec_b64 s[4:5], s[10:11]
	s_cbranch_execz .LBB85_38
; %bb.26:
	s_waitcnt lgkmcnt(0)
	v_add_f32_e32 v2, 0x358637bd, v5
	v_div_scale_f32 v3, s[10:11], v2, v2, 1.0
	v_rcp_f32_e32 v8, v3
	v_div_scale_f32 v11, vcc, 1.0, v2, 1.0
	s_movk_i32 s10, 0x7f
	v_fma_f32 v12, -v3, v8, 1.0
	v_fmac_f32_e32 v8, v12, v8
	v_mul_f32_e32 v12, v11, v8
	v_fma_f32 v13, -v3, v12, v11
	v_fmac_f32_e32 v12, v13, v8
	v_fma_f32 v3, -v3, v12, v11
	v_div_fmas_f32 v3, v3, v8, v12
	v_div_fixup_f32 v2, v3, v2, 1.0
	v_xad_u32 v3, v0, -1, s19
	v_subrev_u32_e32 v8, s42, v3
	v_cmp_lt_u32_e32 vcc, s10, v8
	s_mov_b64 s[12:13], -1
	v_mov_b32_e32 v3, v0
	s_and_saveexec_b64 s[10:11], vcc
	s_cbranch_execz .LBB85_35
; %bb.27:
	v_lshrrev_b32_e32 v8, 7, v8
	v_add_u32_e32 v12, -1, v8
	v_lshrrev_b32_e32 v11, 1, v12
	v_mov_b32_e32 v3, v2
	v_add_u32_e32 v11, 1, v11
	v_cmp_lt_u32_e32 vcc, 13, v12
	v_mov_b32_e32 v14, 0
	s_and_saveexec_b64 s[12:13], vcc
	s_cbranch_execz .LBB85_31
; %bb.28:
	v_mov_b32_e32 v13, 0xf0
	v_and_b32_e32 v12, -8, v11
	v_lshl_add_u32 v13, v0, 2, v13
	s_mov_b32 s19, 0
	s_mov_b64 s[36:37], 0
.LBB85_29:                              ; =>This Inner Loop Header: Depth=1
	ds_read2st64_b32 v[14:15], v13 offset1:2
	ds_read2st64_b32 v[16:17], v13 offset0:4 offset1:6
	ds_read2st64_b32 v[18:19], v13 offset0:8 offset1:10
	;; [unrolled: 1-line block ×3, first 2 shown]
	v_add_u32_e32 v12, -8, v12
	s_waitcnt lgkmcnt(3)
	v_pk_mul_f32 v[14:15], v[2:3], v[14:15]
	s_waitcnt lgkmcnt(2)
	v_pk_mul_f32 v[16:17], v[2:3], v[16:17]
	ds_write2st64_b32 v13, v14, v15 offset1:2
	ds_write2st64_b32 v13, v16, v17 offset0:4 offset1:6
	ds_read2st64_b32 v[16:17], v13 offset0:16 offset1:18
	s_waitcnt lgkmcnt(4)
	v_pk_mul_f32 v[14:15], v[2:3], v[18:19]
	ds_write2st64_b32 v13, v14, v15 offset0:8 offset1:10
	s_waitcnt lgkmcnt(4)
	v_pk_mul_f32 v[14:15], v[2:3], v[20:21]
	ds_write2st64_b32 v13, v14, v15 offset0:12 offset1:14
	ds_read2st64_b32 v[14:15], v13 offset0:20 offset1:22
	s_waitcnt lgkmcnt(3)
	v_pk_mul_f32 v[16:17], v[2:3], v[16:17]
	ds_read2st64_b32 v[18:19], v13 offset0:24 offset1:26
	ds_write2st64_b32 v13, v16, v17 offset0:16 offset1:18
	ds_read2st64_b32 v[16:17], v13 offset0:28 offset1:30
	s_waitcnt lgkmcnt(3)
	v_pk_mul_f32 v[14:15], v[2:3], v[14:15]
	ds_write2st64_b32 v13, v14, v15 offset0:20 offset1:22
	s_waitcnt lgkmcnt(3)
	v_pk_mul_f32 v[14:15], v[2:3], v[18:19]
	ds_write2st64_b32 v13, v14, v15 offset0:24 offset1:26
	s_waitcnt lgkmcnt(2)
	v_pk_mul_f32 v[14:15], v[2:3], v[16:17]
	s_add_i32 s19, s19, 16
	v_cmp_eq_u32_e32 vcc, 0, v12
	ds_write2st64_b32 v13, v14, v15 offset0:28 offset1:30
	v_add_u32_e32 v13, 0x2000, v13
	s_or_b64 s[36:37], vcc, s[36:37]
	v_mov_b32_e32 v14, s19
	s_andn2_b64 exec, exec, s[36:37]
	s_cbranch_execnz .LBB85_29
; %bb.30:
	s_or_b64 exec, exec, s[36:37]
.LBB85_31:
	s_or_b64 exec, exec, s[12:13]
	v_and_b32_e32 v11, 7, v11
	v_cmp_ne_u32_e32 vcc, 0, v11
	s_and_saveexec_b64 s[12:13], vcc
	s_cbranch_execz .LBB85_34
; %bb.32:
	v_lshlrev_b32_e32 v12, 9, v14
	v_lshlrev_b32_e32 v13, 2, v0
	s_movk_i32 s19, 0xf0
	v_add3_u32 v12, v12, v13, s19
	s_mov_b64 s[36:37], 0
.LBB85_33:                              ; =>This Inner Loop Header: Depth=1
	ds_read2st64_b32 v[14:15], v12 offset1:2
	v_add_u32_e32 v11, -1, v11
	v_cmp_eq_u32_e32 vcc, 0, v11
	s_or_b64 s[36:37], vcc, s[36:37]
	s_waitcnt lgkmcnt(0)
	v_pk_mul_f32 v[14:15], v[2:3], v[14:15]
	ds_write2st64_b32 v12, v14, v15 offset1:2
	v_add_u32_e32 v12, 0x400, v12
	s_andn2_b64 exec, exec, s[36:37]
	s_cbranch_execnz .LBB85_33
.LBB85_34:
	s_or_b64 exec, exec, s[12:13]
	v_add_u32_e32 v8, 1, v8
	v_and_b32_e32 v11, 0x3fffffe, v8
	v_cmp_ne_u32_e32 vcc, v8, v11
	v_lshl_add_u32 v3, v11, 7, v0
	s_orn2_b64 s[12:13], vcc, exec
.LBB85_35:
	s_or_b64 exec, exec, s[10:11]
	s_and_b64 exec, exec, s[12:13]
	s_cbranch_execz .LBB85_38
; %bb.36:
	v_mov_b32_e32 v8, 0xf0
	v_lshl_add_u32 v8, v3, 2, v8
	s_mov_b64 s[10:11], 0
.LBB85_37:                              ; =>This Inner Loop Header: Depth=1
	ds_read_b32 v11, v8
	v_add_u32_e32 v3, 0x80, v3
	v_cmp_le_i32_e32 vcc, s7, v3
	s_or_b64 s[10:11], vcc, s[10:11]
	s_waitcnt lgkmcnt(0)
	v_mul_f32_e32 v11, v2, v11
	ds_write_b32 v8, v11
	v_add_u32_e32 v8, 0x200, v8
	s_andn2_b64 exec, exec, s[10:11]
	s_cbranch_execnz .LBB85_37
.LBB85_38:
	s_or_b64 exec, exec, s[4:5]
	s_mul_i32 s4, s15, s26
	v_cmp_eq_u32_e32 vcc, 0, v0
	s_mul_i32 s10, s4, s9
	s_waitcnt lgkmcnt(0)
	s_barrier
	s_and_saveexec_b64 s[4:5], vcc
	s_cbranch_execz .LBB85_40
; %bb.39:
	s_ashr_i32 s11, s10, 31
	s_lshl_b64 s[12:13], s[10:11], 2
	s_add_u32 s9, s22, s12
	s_mul_i32 s6, s15, s6
	s_addc_u32 s11, s23, s13
	s_ashr_i32 s7, s6, 31
	s_lshl_b64 s[6:7], s[6:7], 2
	s_add_u32 s19, s9, s6
	s_addc_u32 s11, s11, s7
	s_ashr_i32 s9, s8, 31
	s_lshl_b64 s[22:23], s[8:9], 2
	s_add_u32 s36, s19, s22
	s_addc_u32 s37, s11, s23
	s_add_u32 s9, s20, s12
	s_addc_u32 s11, s21, s13
	;; [unrolled: 2-line block ×3, first 2 shown]
	s_add_u32 s6, s6, s22
	v_mov_b32_e32 v2, 0
	s_addc_u32 s7, s7, s23
	global_store_dword v2, v9, s[36:37]
	global_store_dword v2, v5, s[6:7]
.LBB85_40:
	s_or_b64 exec, exec, s[4:5]
	v_mov_b32_e32 v12, 0
	v_mov_b32_e32 v11, 0
	s_and_saveexec_b64 s[6:7], s[2:3]
	s_cbranch_execz .LBB85_50
; %bb.41:
	s_ashr_i32 s19, s18, 31
	s_lshl_b64 s[2:3], s[18:19], 1
	s_add_u32 s11, s34, s2
	v_or_b32_e32 v3, 64, v10
	s_movk_i32 s2, 0x70
	s_addc_u32 s4, s35, s3
	s_add_i32 s18, s16, -1
	v_cmp_gt_u32_e32 vcc, s2, v3
	s_lshl_b64 s[2:3], s[30:31], 2
	v_lshlrev_b32_e32 v12, 3, v3
	v_mov_b32_e32 v3, 0xf0
	s_add_u32 s2, s28, s2
	v_lshl_add_u32 v13, v4, 3, s42
	v_lshl_add_u32 v14, v4, 5, v3
	v_lshlrev_b64 v[4:5], 2, v[6:7]
	s_addc_u32 s3, s29, s3
	v_lshlrev_b32_e32 v2, 3, v10
	v_mov_b32_e32 v3, s3
	v_add_co_u32_e64 v8, s[2:3], s2, v4
	s_mov_b32 s9, s17
	v_mov_b32_e32 v11, 0
	s_mov_b32 s19, s27
	s_mov_b32 s20, s27
	;; [unrolled: 1-line block ×7, first 2 shown]
	v_addc_co_u32_e64 v9, s[2:3], v3, v5, s[2:3]
	s_mov_b64 s[12:13], 0
	v_mov_b32_e32 v7, s4
	v_lshlrev_b32_e32 v15, 1, v2
	s_mov_b32 s28, 0x5040100
	v_lshlrev_b32_e32 v16, 1, v12
	v_mov_b32_e32 v12, 0
	s_branch .LBB85_44
.LBB85_42:                              ;   in Loop: Header=BB85_44 Depth=1
	s_or_b64 exec, exec, s[4:5]
	s_waitcnt vmcnt(0)
	;;#ASMSTART
	v_pk_mul_f16 v2, v24, v2;

	;;#ASMEND
	;;#ASMSTART
	v_pk_mul_f16 v3, v23, v3;

	;;#ASMEND
	;; [unrolled: 4-line block ×4, first 2 shown]
	;;#ASMSTART
	v_pk_add_f16 v2, v2, v3;

	;;#ASMEND
	;;#ASMSTART
	v_pk_add_f16 v2, v2, v4;

	;;#ASMEND
	;; [unrolled: 4-line block ×3, first 2 shown]
	v_lshrrev_b32_e32 v3, 16, v2
	v_and_b32_e32 v2, 0xffff, v2
	;;#ASMSTART
	v_cvt_f32_f16 v2, v2;
	;;#ASMEND
	;;#ASMSTART
	v_cvt_f32_f16 v3, v3;
	;;#ASMEND
	v_add_f32_e32 v2, v2, v3
	v_add_f32_e32 v11, v11, v2
.LBB85_43:                              ;   in Loop: Header=BB85_44 Depth=1
	s_or_b64 exec, exec, s[16:17]
	v_add_u32_e32 v6, 2, v6
	v_cmp_le_i32_e64 s[2:3], s33, v6
	v_add_f32_e32 v2, v17, v18
	s_or_b64 s[12:13], s[2:3], s[12:13]
	v_add_co_u32_e64 v8, s[2:3], 8, v8
	v_add_f32_e32 v12, v12, v2
	v_add_u32_e32 v13, 16, v13
	v_add_u32_e32 v14, 64, v14
	v_addc_co_u32_e64 v9, s[2:3], 0, v9, s[2:3]
	s_andn2_b64 exec, exec, s[12:13]
	s_cbranch_execz .LBB85_49
.LBB85_44:                              ; =>This Inner Loop Header: Depth=1
	global_load_dword v20, v[8:9], off
	ds_read2_b64 v[2:5], v14 offset1:1
	ds_read2_b64 v[26:29], v14 offset0:2 offset1:3
	s_waitcnt lgkmcnt(1)
	;;#ASMSTART
	v_cvt_f16_f32 v17, v2;

	;;#ASMEND
	;;#ASMSTART
	v_cvt_f16_f32 v18, v3;

	;;#ASMEND
	;; [unrolled: 4-line block ×4, first 2 shown]
	s_waitcnt lgkmcnt(0)
	;;#ASMSTART
	v_cvt_f16_f32 v25, v26;

	;;#ASMEND
	;;#ASMSTART
	v_cvt_f16_f32 v26, v27;

	;;#ASMEND
	;; [unrolled: 4-line block ×4, first 2 shown]
	s_waitcnt vmcnt(0)
	v_mad_i64_i32 v[2:3], s[2:3], v20, s9, 0
	v_lshlrev_b64 v[2:3], 1, v[2:3]
	v_add_co_u32_e64 v20, s[2:3], s11, v2
	v_addc_co_u32_e64 v21, s[2:3], v7, v3, s[2:3]
	v_add_co_u32_e64 v2, s[2:3], v20, v15
	v_addc_co_u32_e64 v3, s[2:3], 0, v21, s[2:3]
	global_load_dwordx4 v[2:5], v[2:3], off
	v_cmp_eq_u32_e64 s[2:3], s18, v6
	s_and_saveexec_b64 s[16:17], s[2:3]
	s_cbranch_execz .LBB85_46
; %bb.45:                               ;   in Loop: Header=BB85_44 Depth=1
	v_or_b32_e32 v32, 7, v13
	v_or_b32_e32 v33, 6, v13
	s_waitcnt vmcnt(0)
	v_lshrrev_b32_e32 v34, 16, v5
	v_cmp_gt_i32_e64 s[4:5], s34, v32
	v_cndmask_b32_e64 v32, 0, v34, s[4:5]
	v_cmp_gt_i32_e64 s[4:5], s26, v33
	v_or_b32_e32 v30, 5, v13
	v_cndmask_b32_e64 v5, 0, v5, s[4:5]
	v_or_b32_e32 v31, 4, v13
	v_perm_b32 v5, v32, v5, s28
	v_lshrrev_b32_e32 v32, 16, v4
	v_cmp_gt_i32_e64 s[4:5], s23, v30
	v_cndmask_b32_e64 v30, 0, v32, s[4:5]
	v_cmp_gt_i32_e64 s[4:5], s22, v31
	v_or_b32_e32 v24, 3, v13
	v_cndmask_b32_e64 v4, 0, v4, s[4:5]
	v_or_b32_e32 v29, 2, v13
	v_perm_b32 v4, v30, v4, s28
	v_lshrrev_b32_e32 v30, 16, v3
	v_cmp_gt_i32_e64 s[4:5], s21, v24
	v_cndmask_b32_e64 v24, 0, v30, s[4:5]
	v_cmp_gt_i32_e64 s[4:5], s20, v29
	v_add_u32_e32 v23, 1, v13
	v_cndmask_b32_e64 v3, 0, v3, s[4:5]
	v_perm_b32 v3, v24, v3, s28
	v_lshrrev_b32_e32 v24, 16, v2
	v_cmp_gt_i32_e64 s[4:5], s19, v23
	v_cndmask_b32_e64 v23, 0, v24, s[4:5]
	v_cmp_gt_i32_e64 s[4:5], s27, v13
	v_cndmask_b32_e64 v2, 0, v2, s[4:5]
	v_perm_b32 v2, v23, v2, s28
.LBB85_46:                              ;   in Loop: Header=BB85_44 Depth=1
	s_or_b64 exec, exec, s[16:17]
	v_and_b32_e32 v17, 0xffff, v17
	v_lshl_or_b32 v24, v18, 16, v17
	v_and_b32_e32 v17, 0xffff, v19
	v_lshl_or_b32 v23, v22, 16, v17
	;; [unrolled: 2-line block ×3, first 2 shown]
	v_and_b32_e32 v17, 0xffff, v27
	s_waitcnt vmcnt(0)
	;;#ASMSTART
	v_pk_mul_f16 v2, v24, v2;

	;;#ASMEND
	v_lshl_or_b32 v19, v28, 16, v17
	;;#ASMSTART
	v_pk_mul_f16 v3, v23, v3;

	;;#ASMEND
	;;#ASMSTART
	v_pk_mul_f16 v4, v22, v4;

	;;#ASMEND
	;; [unrolled: 4-line block ×3, first 2 shown]
	;;#ASMSTART
	v_pk_add_f16 v2, v2, v3;

	;;#ASMEND
	;;#ASMSTART
	v_pk_add_f16 v2, v2, v4;

	;;#ASMEND
	;; [unrolled: 4-line block ×3, first 2 shown]
	v_lshrrev_b32_e32 v3, 16, v2
	v_and_b32_e32 v2, 0xffff, v2
	;;#ASMSTART
	v_cvt_f32_f16 v17, v2;
	;;#ASMEND
	;;#ASMSTART
	v_cvt_f32_f16 v18, v3;
	;;#ASMEND
	s_and_saveexec_b64 s[16:17], vcc
	s_cbranch_execz .LBB85_43
; %bb.47:                               ;   in Loop: Header=BB85_44 Depth=1
	v_add_co_u32_e64 v2, s[4:5], v20, v16
	v_addc_co_u32_e64 v3, s[4:5], 0, v21, s[4:5]
	global_load_dwordx4 v[2:5], v[2:3], off
	s_and_saveexec_b64 s[4:5], s[2:3]
	s_cbranch_execz .LBB85_42
; %bb.48:                               ;   in Loop: Header=BB85_44 Depth=1
	v_or_b32_e32 v28, 7, v13
	v_or_b32_e32 v29, 6, v13
	s_waitcnt vmcnt(0)
	v_lshrrev_b32_e32 v30, 16, v5
	v_cmp_gt_i32_e64 s[2:3], s34, v28
	v_cndmask_b32_e64 v28, 0, v30, s[2:3]
	v_cmp_gt_i32_e64 s[2:3], s26, v29
	v_or_b32_e32 v26, 5, v13
	v_cndmask_b32_e64 v5, 0, v5, s[2:3]
	v_or_b32_e32 v27, 4, v13
	v_perm_b32 v5, v28, v5, s28
	v_lshrrev_b32_e32 v28, 16, v4
	v_cmp_gt_i32_e64 s[2:3], s23, v26
	v_cndmask_b32_e64 v26, 0, v28, s[2:3]
	v_cmp_gt_i32_e64 s[2:3], s22, v27
	v_or_b32_e32 v21, 3, v13
	v_cndmask_b32_e64 v4, 0, v4, s[2:3]
	v_or_b32_e32 v25, 2, v13
	v_perm_b32 v4, v26, v4, s28
	v_lshrrev_b32_e32 v26, 16, v3
	v_cmp_gt_i32_e64 s[2:3], s21, v21
	v_cndmask_b32_e64 v21, 0, v26, s[2:3]
	v_cmp_gt_i32_e64 s[2:3], s20, v25
	v_add_u32_e32 v20, 1, v13
	v_cndmask_b32_e64 v3, 0, v3, s[2:3]
	v_perm_b32 v3, v21, v3, s28
	v_lshrrev_b32_e32 v21, 16, v2
	v_cmp_gt_i32_e64 s[2:3], s19, v20
	v_cndmask_b32_e64 v20, 0, v21, s[2:3]
	v_cmp_gt_i32_e64 s[2:3], s27, v13
	v_cndmask_b32_e64 v2, 0, v2, s[2:3]
	v_perm_b32 v2, v20, v2, s28
	s_branch .LBB85_42
.LBB85_49:
	s_or_b64 exec, exec, s[12:13]
.LBB85_50:
	s_or_b64 exec, exec, s[6:7]
	v_and_b32_e32 v2, 0x3c0, v0
	v_cmp_eq_u32_e32 vcc, 64, v2
	s_barrier
	s_and_saveexec_b64 s[2:3], vcc
	s_cbranch_execz .LBB85_53
; %bb.51:
	v_mov_b32_e32 v2, 0xf0
	v_lshl_add_u32 v3, v10, 2, v2
	ds_write_b32 v3, v12
	s_and_b64 exec, exec, s[0:1]
	s_cbranch_execz .LBB85_53
; %bb.52:
	v_lshl_add_u32 v2, v0, 2, v2
	ds_write_b32 v2, v11
.LBB85_53:
	s_or_b64 exec, exec, s[2:3]
	v_cmp_gt_u32_e32 vcc, 64, v0
	v_or_b32_e32 v2, 64, v0
	s_waitcnt lgkmcnt(0)
	s_barrier
	s_and_saveexec_b64 s[2:3], vcc
	s_cbranch_execz .LBB85_57
; %bb.54:
	v_mov_b32_e32 v3, 0xf0
	v_lshl_add_u32 v3, v0, 2, v3
	ds_read_b32 v0, v3
	s_movk_i32 s0, 0x70
	v_cmp_gt_u32_e64 s[0:1], s0, v2
	s_and_saveexec_b64 s[4:5], s[0:1]
	s_cbranch_execz .LBB85_56
; %bb.55:
	ds_read_b32 v3, v3 offset:256
	s_waitcnt lgkmcnt(0)
	v_add_f32_e32 v11, v11, v3
.LBB85_56:
	s_or_b64 exec, exec, s[4:5]
	s_waitcnt lgkmcnt(0)
	v_add_f32_e32 v12, v12, v0
.LBB85_57:
	s_or_b64 exec, exec, s[2:3]
	s_barrier
	s_and_saveexec_b64 s[0:1], vcc
	s_cbranch_execz .LBB85_60
; %bb.58:
	s_mul_i32 s0, s10, 0x70
	s_ashr_i32 s1, s0, 31
	s_lshl_b64 s[0:1], s[0:1], 1
	s_add_u32 s3, s24, s0
	s_mul_i32 s0, s15, s14
	s_addc_u32 s4, s25, s1
	s_ashr_i32 s1, s0, 31
	s_lshl_b64 s[0:1], s[0:1], 1
	s_add_u32 s3, s3, s0
	s_mul_i32 s0, s8, 0x70
	s_addc_u32 s4, s4, s1
	s_ashr_i32 s1, s0, 31
	s_lshl_b64 s[0:1], s[0:1], 1
	s_movk_i32 s2, 0x70
	s_add_u32 s0, s3, s0
	s_addc_u32 s1, s4, s1
	v_cmp_gt_u32_e32 vcc, s2, v2
	;;#ASMSTART
	v_cvt_f16_f32 v0, v12;

	;;#ASMEND
	global_store_short v1, v0, s[0:1]
	s_and_b64 exec, exec, vcc
	s_cbranch_execz .LBB85_60
; %bb.59:
	v_mov_b32_e32 v2, s1
	v_add_co_u32_e32 v0, vcc, s0, v1
	v_addc_co_u32_e32 v1, vcc, 0, v2, vcc
	;;#ASMSTART
	v_cvt_f16_f32 v2, v11;

	;;#ASMEND
	global_store_short v[0:1], v2, off offset:128
.LBB85_60:
	s_endpgm
	.section	.rodata,"a",@progbits
	.p2align	6, 0x0
	.amdhsa_kernel _ZN4vllm25paged_attention_v2_kernelIttLi112ELi8ELi128ELNS_18Fp8KVCacheDataTypeE0ELb0ELi512EEEvPfS2_PT_PKS3_PKT0_S9_ifPKiSB_iPKfiiiSD_SD_iiiii
		.amdhsa_group_segment_fixed_size 240
		.amdhsa_private_segment_fixed_size 0
		.amdhsa_kernarg_size 400
		.amdhsa_user_sgpr_count 6
		.amdhsa_user_sgpr_private_segment_buffer 1
		.amdhsa_user_sgpr_dispatch_ptr 0
		.amdhsa_user_sgpr_queue_ptr 0
		.amdhsa_user_sgpr_kernarg_segment_ptr 1
		.amdhsa_user_sgpr_dispatch_id 0
		.amdhsa_user_sgpr_flat_scratch_init 0
		.amdhsa_user_sgpr_kernarg_preload_length 0
		.amdhsa_user_sgpr_kernarg_preload_offset 0
		.amdhsa_user_sgpr_private_segment_size 0
		.amdhsa_uses_dynamic_stack 0
		.amdhsa_system_sgpr_private_segment_wavefront_offset 0
		.amdhsa_system_sgpr_workgroup_id_x 1
		.amdhsa_system_sgpr_workgroup_id_y 1
		.amdhsa_system_sgpr_workgroup_id_z 1
		.amdhsa_system_sgpr_workgroup_info 0
		.amdhsa_system_vgpr_workitem_id 0
		.amdhsa_next_free_vgpr 45
		.amdhsa_next_free_sgpr 44
		.amdhsa_accum_offset 48
		.amdhsa_reserve_vcc 1
		.amdhsa_reserve_flat_scratch 0
		.amdhsa_float_round_mode_32 0
		.amdhsa_float_round_mode_16_64 0
		.amdhsa_float_denorm_mode_32 3
		.amdhsa_float_denorm_mode_16_64 3
		.amdhsa_dx10_clamp 1
		.amdhsa_ieee_mode 1
		.amdhsa_fp16_overflow 0
		.amdhsa_tg_split 0
		.amdhsa_exception_fp_ieee_invalid_op 0
		.amdhsa_exception_fp_denorm_src 0
		.amdhsa_exception_fp_ieee_div_zero 0
		.amdhsa_exception_fp_ieee_overflow 0
		.amdhsa_exception_fp_ieee_underflow 0
		.amdhsa_exception_fp_ieee_inexact 0
		.amdhsa_exception_int_div_zero 0
	.end_amdhsa_kernel
	.section	.text._ZN4vllm25paged_attention_v2_kernelIttLi112ELi8ELi128ELNS_18Fp8KVCacheDataTypeE0ELb0ELi512EEEvPfS2_PT_PKS3_PKT0_S9_ifPKiSB_iPKfiiiSD_SD_iiiii,"axG",@progbits,_ZN4vllm25paged_attention_v2_kernelIttLi112ELi8ELi128ELNS_18Fp8KVCacheDataTypeE0ELb0ELi512EEEvPfS2_PT_PKS3_PKT0_S9_ifPKiSB_iPKfiiiSD_SD_iiiii,comdat
.Lfunc_end85:
	.size	_ZN4vllm25paged_attention_v2_kernelIttLi112ELi8ELi128ELNS_18Fp8KVCacheDataTypeE0ELb0ELi512EEEvPfS2_PT_PKS3_PKT0_S9_ifPKiSB_iPKfiiiSD_SD_iiiii, .Lfunc_end85-_ZN4vllm25paged_attention_v2_kernelIttLi112ELi8ELi128ELNS_18Fp8KVCacheDataTypeE0ELb0ELi512EEEvPfS2_PT_PKS3_PKT0_S9_ifPKiSB_iPKfiiiSD_SD_iiiii
                                        ; -- End function
	.section	.AMDGPU.csdata,"",@progbits
; Kernel info:
; codeLenInByte = 4692
; NumSgprs: 48
; NumVgprs: 45
; NumAgprs: 0
; TotalNumVgprs: 45
; ScratchSize: 0
; MemoryBound: 0
; FloatMode: 240
; IeeeMode: 1
; LDSByteSize: 240 bytes/workgroup (compile time only)
; SGPRBlocks: 5
; VGPRBlocks: 5
; NumSGPRsForWavesPerEU: 48
; NumVGPRsForWavesPerEU: 45
; AccumOffset: 48
; Occupancy: 8
; WaveLimiterHint : 1
; COMPUTE_PGM_RSRC2:SCRATCH_EN: 0
; COMPUTE_PGM_RSRC2:USER_SGPR: 6
; COMPUTE_PGM_RSRC2:TRAP_HANDLER: 0
; COMPUTE_PGM_RSRC2:TGID_X_EN: 1
; COMPUTE_PGM_RSRC2:TGID_Y_EN: 1
; COMPUTE_PGM_RSRC2:TGID_Z_EN: 1
; COMPUTE_PGM_RSRC2:TIDIG_COMP_CNT: 0
; COMPUTE_PGM_RSRC3_GFX90A:ACCUM_OFFSET: 11
; COMPUTE_PGM_RSRC3_GFX90A:TG_SPLIT: 0
	.section	.text._ZN4vllm25paged_attention_v2_kernelIttLi120ELi8ELi128ELNS_18Fp8KVCacheDataTypeE0ELb0ELi512EEEvPfS2_PT_PKS3_PKT0_S9_ifPKiSB_iPKfiiiSD_SD_iiiii,"axG",@progbits,_ZN4vllm25paged_attention_v2_kernelIttLi120ELi8ELi128ELNS_18Fp8KVCacheDataTypeE0ELb0ELi512EEEvPfS2_PT_PKS3_PKT0_S9_ifPKiSB_iPKfiiiSD_SD_iiiii,comdat
	.protected	_ZN4vllm25paged_attention_v2_kernelIttLi120ELi8ELi128ELNS_18Fp8KVCacheDataTypeE0ELb0ELi512EEEvPfS2_PT_PKS3_PKT0_S9_ifPKiSB_iPKfiiiSD_SD_iiiii ; -- Begin function _ZN4vllm25paged_attention_v2_kernelIttLi120ELi8ELi128ELNS_18Fp8KVCacheDataTypeE0ELb0ELi512EEEvPfS2_PT_PKS3_PKT0_S9_ifPKiSB_iPKfiiiSD_SD_iiiii
	.globl	_ZN4vllm25paged_attention_v2_kernelIttLi120ELi8ELi128ELNS_18Fp8KVCacheDataTypeE0ELb0ELi512EEEvPfS2_PT_PKS3_PKT0_S9_ifPKiSB_iPKfiiiSD_SD_iiiii
	.p2align	8
	.type	_ZN4vllm25paged_attention_v2_kernelIttLi120ELi8ELi128ELNS_18Fp8KVCacheDataTypeE0ELb0ELi512EEEvPfS2_PT_PKS3_PKT0_S9_ifPKiSB_iPKfiiiSD_SD_iiiii,@function
_ZN4vllm25paged_attention_v2_kernelIttLi120ELi8ELi128ELNS_18Fp8KVCacheDataTypeE0ELb0ELi512EEEvPfS2_PT_PKS3_PKT0_S9_ifPKiSB_iPKfiiiSD_SD_iiiii: ; @_ZN4vllm25paged_attention_v2_kernelIttLi120ELi8ELi128ELNS_18Fp8KVCacheDataTypeE0ELb0ELi512EEEvPfS2_PT_PKS3_PKT0_S9_ifPKiSB_iPKfiiiSD_SD_iiiii
; %bb.0:
	s_load_dwordx2 s[0:1], s[4:5], 0x40
	s_mov_b32 s26, s7
	s_ashr_i32 s27, s7, 31
	s_lshl_b64 s[2:3], s[26:27], 2
	s_waitcnt lgkmcnt(0)
	s_add_u32 s0, s0, s2
	s_addc_u32 s1, s1, s3
	s_load_dword s27, s[0:1], 0x0
	s_lshl_b32 s42, s8, 9
	s_waitcnt lgkmcnt(0)
	s_cmp_ge_i32 s42, s27
	s_cbranch_scc1 .LBB86_60
; %bb.1:
	s_load_dword s9, s[4:5], 0x90
	s_load_dwordx2 s[12:13], s[4:5], 0x30
	s_waitcnt lgkmcnt(0)
	s_abs_i32 s2, s9
	s_abs_i32 s0, s12
	v_cvt_f32_u32_e32 v1, s0
	s_sub_i32 s3, 0, s0
	s_xor_b32 s1, s9, s12
	s_ashr_i32 s1, s1, 31
	v_rcp_iflag_f32_e32 v1, v1
	s_mov_b32 s12, 0
	v_mul_f32_e32 v1, 0x4f7ffffe, v1
	v_cvt_u32_f32_e32 v1, v1
	v_readfirstlane_b32 s7, v1
	s_mul_i32 s3, s3, s7
	s_mul_hi_u32 s3, s7, s3
	s_add_i32 s7, s7, s3
	s_mul_hi_u32 s3, s2, s7
	s_mul_i32 s7, s3, s0
	s_sub_i32 s2, s2, s7
	s_add_i32 s10, s3, 1
	s_sub_i32 s7, s2, s0
	s_cmp_ge_u32 s2, s0
	s_cselect_b32 s3, s10, s3
	s_cselect_b32 s2, s7, s2
	s_add_i32 s7, s3, 1
	s_cmp_ge_u32 s2, s0
	s_cselect_b32 s0, s7, s3
	s_xor_b32 s0, s0, s1
	s_sub_i32 s2, s0, s1
	s_abs_i32 s10, s2
	v_cvt_f32_u32_e32 v1, s10
	s_load_dwordx2 s[0:1], s[4:5], 0x50
	s_sub_i32 s3, 0, s10
	s_abs_i32 s11, s6
	v_rcp_iflag_f32_e32 v1, v1
	v_mul_f32_e32 v1, 0x4f7ffffe, v1
	v_cvt_u32_f32_e32 v1, v1
	v_readfirstlane_b32 s7, v1
	s_mul_i32 s3, s3, s7
	s_mul_hi_u32 s3, s7, s3
	s_add_i32 s7, s7, s3
	s_waitcnt lgkmcnt(0)
	s_cmp_eq_u64 s[0:1], 0
	s_mul_hi_u32 s20, s11, s7
	s_cbranch_scc1 .LBB86_3
; %bb.2:
	s_ashr_i32 s7, s6, 31
	s_lshl_b64 s[14:15], s[6:7], 2
	s_add_u32 s0, s0, s14
	s_addc_u32 s1, s1, s15
	s_load_dword s12, s[0:1], 0x0
.LBB86_3:
	s_load_dwordx4 s[16:19], s[4:5], 0x58
	s_movk_i32 s0, 0x78
	s_ashr_i32 s21, s6, 31
	s_ashr_i32 s22, s2, 31
	v_and_b32_e32 v2, 7, v0
	s_mul_i32 s14, s6, 0x78
	v_cmp_gt_u32_e64 s[0:1], s0, v0
	v_lshlrev_b32_e32 v1, 1, v0
	s_and_saveexec_b64 s[2:3], s[0:1]
	s_cbranch_execz .LBB86_5
; %bb.4:
	s_load_dwordx2 s[24:25], s[4:5], 0x18
	s_waitcnt lgkmcnt(0)
	s_mul_i32 s28, s26, s16
	s_ashr_i32 s29, s28, 31
	s_lshl_b64 s[28:29], s[28:29], 1
	v_lshrrev_b32_e32 v4, 2, v0
	s_add_u32 s7, s24, s28
	s_addc_u32 s16, s25, s29
	s_ashr_i32 s15, s14, 31
	s_lshl_b64 s[24:25], s[14:15], 1
	s_add_u32 s24, s7, s24
	s_addc_u32 s25, s16, s25
	global_load_ushort v3, v1, s[24:25]
	v_and_b32_e32 v4, 0xfe, v4
	v_mad_u32_u24 v4, v2, 30, v4
	s_waitcnt vmcnt(0)
	ds_write_b16 v4, v3
.LBB86_5:
	s_or_b64 exec, exec, s[2:3]
	s_add_i32 s2, s27, 7
	s_ashr_i32 s3, s2, 31
	s_lshr_b32 s3, s3, 29
	s_add_i32 s2, s2, s3
	s_lshl_b32 s7, s8, 6
	s_mul_i32 s3, s20, s10
	s_waitcnt lgkmcnt(0)
	s_ashr_i32 s16, s2, 3
	s_add_i32 s2, s7, 64
	s_sub_i32 s3, s11, s3
	s_min_i32 s33, s2, s16
	s_xor_b32 s2, s21, s22
	s_add_i32 s11, s20, 1
	s_sub_i32 s15, s3, s10
	s_cmp_ge_u32 s3, s10
	s_cselect_b32 s11, s11, s20
	s_cselect_b32 s3, s15, s3
	s_add_i32 s15, s11, 1
	s_cmp_ge_u32 s3, s10
	s_load_dwordx2 s[28:29], s[4:5], 0x38
	s_load_dword s10, s[4:5], 0x48
	v_lshrrev_b32_e32 v4, 6, v0
	s_cselect_b32 s3, s15, s11
	s_xor_b32 s3, s3, s2
	v_or_b32_e32 v6, s7, v4
	s_waitcnt lgkmcnt(0)
	s_mul_i32 s30, s26, s10
	s_sub_i32 s19, s3, s2
	s_ashr_i32 s31, s30, 31
	v_cmp_gt_i32_e64 s[2:3], s33, v6
	v_cmp_le_i32_e32 vcc, s33, v6
	v_mbcnt_lo_u32_b32 v15, -1, 0
	s_barrier
	s_waitcnt lgkmcnt(0)
                                        ; implicit-def: $sgpr38
                                        ; implicit-def: $vgpr5
                                        ; implicit-def: $vgpr8
	s_and_saveexec_b64 s[10:11], vcc
	s_xor_b64 s[10:11], exec, s[10:11]
; %bb.6:
	v_mbcnt_hi_u32_b32 v5, -1, v15
	v_and_b32_e32 v2, 64, v5
	v_add_u32_e32 v8, 64, v2
	s_mov_b32 s38, 0xff7fffff
                                        ; implicit-def: $vgpr2
                                        ; implicit-def: $vgpr15
; %bb.7:
	s_or_saveexec_b64 s[36:37], s[10:11]
	s_load_dwordx4 s[20:23], s[4:5], 0x0
	s_load_dwordx2 s[24:25], s[4:5], 0x10
	s_load_dwordx2 s[34:35], s[4:5], 0x28
	s_load_dword s15, s[4:5], 0x98
	v_mov_b32_e32 v9, s38
	s_mul_i32 s18, s19, s18
	v_ashrrev_i32_e32 v7, 31, v6
	s_xor_b64 exec, exec, s[36:37]
	s_cbranch_execz .LBB86_13
; %bb.8:
	s_load_dwordx2 s[4:5], s[4:5], 0x20
	s_ashr_i32 s19, s18, 31
	s_lshl_b64 s[10:11], s[18:19], 1
	v_bfe_u32 v3, v0, 3, 3
	v_lshlrev_b32_e32 v5, 4, v3
	s_waitcnt lgkmcnt(0)
	s_add_u32 s4, s4, s10
	s_addc_u32 s5, s5, s11
	v_mov_b32_e32 v8, s5
	v_add_co_u32_e32 v5, vcc, s4, v5
	v_addc_co_u32_e32 v8, vcc, 0, v8, vcc
	v_lshlrev_b32_e32 v9, 1, v2
	v_add_co_u32_e32 v10, vcc, v5, v9
	v_addc_co_u32_e32 v11, vcc, 0, v8, vcc
	v_mul_u32_u24_e32 v12, 30, v2
	v_cmp_eq_u32_e32 vcc, 0, v2
	v_lshlrev_b32_e32 v2, 3, v4
	s_sub_i32 s19, 1, s27
	v_add3_u32 v13, s42, v2, v3
	v_lshlrev_b32_e32 v2, 2, v3
	s_lshl_b64 s[10:11], s[30:31], 2
	v_lshl_or_b32 v2, v4, 5, v2
	s_add_u32 s10, s28, s10
	v_add_u32_e32 v14, 0x100, v2
	v_lshlrev_b64 v[2:3], 2, v[6:7]
	s_addc_u32 s11, s29, s11
	v_mov_b32_e32 v5, s11
	v_add_co_u32_e64 v2, s[10:11], s10, v2
	v_addc_co_u32_e64 v3, s[10:11], v5, v3, s[10:11]
	v_mbcnt_hi_u32_b32 v5, -1, v15
	v_and_b32_e32 v8, 64, v5
	s_mov_b32 s43, s17
	v_cmp_neq_f32_e64 s[4:5], s12, 0
	s_mov_b64 s[38:39], 0
	v_mov_b32_e32 v9, 0xff7fffff
	v_add_u32_e32 v8, 64, v8
	v_xor_b32_e32 v15, 4, v5
	v_xor_b32_e32 v16, 2, v5
	;; [unrolled: 1-line block ×3, first 2 shown]
	v_mov_b32_e32 v18, v6
	s_branch .LBB86_10
.LBB86_9:                               ;   in Loop: Header=BB86_10 Depth=1
	s_or_b64 exec, exec, s[40:41]
	v_add_u32_e32 v18, 2, v18
	v_cmp_le_i32_e64 s[10:11], s33, v18
	s_or_b64 s[38:39], s[10:11], s[38:39]
	v_add_co_u32_e64 v2, s[10:11], 8, v2
	v_add_u32_e32 v13, 16, v13
	v_add_u32_e32 v14, 64, v14
	v_addc_co_u32_e64 v3, s[10:11], 0, v3, s[10:11]
	s_andn2_b64 exec, exec, s[38:39]
	s_cbranch_execz .LBB86_12
.LBB86_10:                              ; =>This Inner Loop Header: Depth=1
	global_load_dword v19, v[2:3], off
	s_waitcnt vmcnt(0) lgkmcnt(0)
	v_mad_i64_i32 v[20:21], s[10:11], v19, s43, 0
	v_lshlrev_b64 v[20:21], 1, v[20:21]
	v_add_co_u32_e64 v20, s[10:11], v10, v20
	v_addc_co_u32_e64 v21, s[10:11], v11, v21, s[10:11]
	global_load_ushort v19, v[20:21], off
	global_load_ushort v22, v[20:21], off offset:128
	global_load_ushort v23, v[20:21], off offset:256
	;; [unrolled: 1-line block ×10, first 2 shown]
	ds_read_u16 v32, v12
	global_load_ushort v33, v[20:21], off offset:1408
	global_load_ushort v34, v[20:21], off offset:1536
	;; [unrolled: 1-line block ×4, first 2 shown]
	s_waitcnt lgkmcnt(0)
	;;#ASMSTART
	v_cvt_f32_f16 v20, v32;
	;;#ASMEND
	v_cmp_lt_i32_e64 s[10:11], v15, v8
	v_cndmask_b32_e64 v46, v5, v15, s[10:11]
	v_lshlrev_b32_e32 v46, 2, v46
	v_cmp_lt_i32_e64 s[10:11], v16, v8
	s_waitcnt vmcnt(14)
	;;#ASMSTART
	v_cvt_f32_f16 v19, v19;
	;;#ASMEND
	ds_read_u16 v21, v12 offset:2
	s_waitcnt lgkmcnt(0)
	;;#ASMSTART
	v_cvt_f32_f16 v21, v21;
	;;#ASMEND
	s_waitcnt vmcnt(13)
	;;#ASMSTART
	v_cvt_f32_f16 v22, v22;
	;;#ASMEND
	v_mul_f32_e32 v21, v21, v22
	ds_read_u16 v32, v12 offset:4
	v_fmac_f32_e32 v21, v20, v19
	s_waitcnt lgkmcnt(0)
	;;#ASMSTART
	v_cvt_f32_f16 v32, v32;
	;;#ASMEND
	s_waitcnt vmcnt(12)
	;;#ASMSTART
	v_cvt_f32_f16 v23, v23;
	;;#ASMEND
	ds_read_u16 v37, v12 offset:6
	v_fmac_f32_e32 v21, v32, v23
	s_waitcnt lgkmcnt(0)
	;;#ASMSTART
	v_cvt_f32_f16 v37, v37;
	;;#ASMEND
	s_waitcnt vmcnt(11)
	;;#ASMSTART
	v_cvt_f32_f16 v24, v24;
	;;#ASMEND
	;; [unrolled: 10-line block ×9, first 2 shown]
	v_fmac_f32_e32 v21, v44, v31
	ds_read_u16 v45, v12 offset:22
	s_waitcnt lgkmcnt(0)
	;;#ASMSTART
	v_cvt_f32_f16 v19, v45;
	;;#ASMEND
	s_waitcnt vmcnt(3)
	;;#ASMSTART
	v_cvt_f32_f16 v20, v33;
	;;#ASMEND
	ds_read_u16 v22, v12 offset:24
	v_fmac_f32_e32 v21, v19, v20
	s_waitcnt lgkmcnt(0)
	;;#ASMSTART
	v_cvt_f32_f16 v22, v22;
	;;#ASMEND
	s_waitcnt vmcnt(2)
	;;#ASMSTART
	v_cvt_f32_f16 v23, v34;
	;;#ASMEND
	ds_read_u16 v24, v12 offset:26
	v_fmac_f32_e32 v21, v22, v23
	s_waitcnt lgkmcnt(0)
	;;#ASMSTART
	v_cvt_f32_f16 v24, v24;
	;;#ASMEND
	s_waitcnt vmcnt(1)
	;;#ASMSTART
	v_cvt_f32_f16 v25, v35;
	;;#ASMEND
	v_fmac_f32_e32 v21, v24, v25
	ds_read_u16 v26, v12 offset:28
	s_waitcnt lgkmcnt(0)
	;;#ASMSTART
	v_cvt_f32_f16 v19, v26;
	;;#ASMEND
	s_waitcnt vmcnt(0)
	;;#ASMSTART
	v_cvt_f32_f16 v20, v36;
	;;#ASMEND
	v_fmac_f32_e32 v21, v19, v20
	ds_bpermute_b32 v19, v46, v21
	v_cndmask_b32_e64 v20, v5, v16, s[10:11]
	v_lshlrev_b32_e32 v20, 2, v20
	v_cmp_lt_i32_e64 s[10:11], v17, v8
	s_waitcnt lgkmcnt(0)
	v_add_f32_e32 v19, v21, v19
	ds_bpermute_b32 v20, v20, v19
	v_cndmask_b32_e64 v21, v5, v17, s[10:11]
	s_waitcnt lgkmcnt(0)
	v_add_f32_e32 v19, v19, v20
	v_lshlrev_b32_e32 v20, 2, v21
	ds_bpermute_b32 v20, v20, v19
	s_and_saveexec_b64 s[40:41], vcc
	s_cbranch_execz .LBB86_9
; %bb.11:                               ;   in Loop: Header=BB86_10 Depth=1
	v_add_u32_e32 v21, s19, v13
	v_cvt_f32_i32_e32 v21, v21
	s_waitcnt lgkmcnt(0)
	v_add_f32_e32 v19, v19, v20
	v_cmp_gt_i32_e64 s[10:11], s27, v13
	v_max_f32_e32 v20, v9, v9
	v_mul_f32_e32 v21, s12, v21
	v_cndmask_b32_e64 v21, 0, v21, s[4:5]
	v_fmac_f32_e32 v21, s13, v19
	v_cndmask_b32_e64 v19, 0, v21, s[10:11]
	ds_write_b32 v14, v19
	v_max_f32_e32 v19, v20, v21
	v_cndmask_b32_e64 v9, v9, v19, s[10:11]
	s_branch .LBB86_9
.LBB86_12:
	s_or_b64 exec, exec, s[38:39]
.LBB86_13:
	s_or_b64 exec, exec, s[36:37]
	v_xor_b32_e32 v2, 32, v5
	v_cmp_lt_i32_e32 vcc, v2, v8
	v_cndmask_b32_e32 v2, v5, v2, vcc
	v_lshlrev_b32_e32 v3, 2, v2
	ds_bpermute_b32 v2, v3, v9
	v_xor_b32_e32 v10, 16, v5
	v_max_f32_e32 v9, v9, v9
	v_cmp_lt_i32_e32 vcc, v10, v8
	s_waitcnt lgkmcnt(0)
	v_max_f32_e32 v2, v2, v2
	v_max_f32_e32 v2, v9, v2
	v_cndmask_b32_e32 v9, v5, v10, vcc
	v_lshlrev_b32_e32 v12, 2, v9
	ds_bpermute_b32 v9, v12, v2
	v_xor_b32_e32 v10, 8, v5
	v_cmp_lt_i32_e32 vcc, v10, v8
	s_waitcnt lgkmcnt(0)
	v_max_f32_e32 v9, v9, v9
	v_max_f32_e32 v9, v2, v9
	v_cndmask_b32_e32 v2, v5, v10, vcc
	v_lshlrev_b32_e32 v13, 2, v2
	ds_bpermute_b32 v11, v13, v9
	v_and_b32_e32 v10, 63, v0
	v_cmp_eq_u32_e32 vcc, 0, v10
	v_lshlrev_b32_e32 v2, 2, v4
	s_and_saveexec_b64 s[4:5], vcc
	s_cbranch_execz .LBB86_15
; %bb.14:
	s_waitcnt lgkmcnt(0)
	v_max_f32_e32 v11, v11, v11
	v_max_f32_e32 v9, v9, v9
	;; [unrolled: 1-line block ×3, first 2 shown]
	ds_write_b32 v2, v9 offset:240
.LBB86_15:
	s_or_b64 exec, exec, s[4:5]
	v_cmp_gt_u32_e64 s[4:5], 2, v10
	v_mov_b32_e32 v9, 0xff7fffff
	s_waitcnt lgkmcnt(0)
	v_lshlrev_b32_e32 v11, 2, v10
	s_barrier
	s_and_saveexec_b64 s[10:11], s[4:5]
	s_cbranch_execz .LBB86_17
; %bb.16:
	ds_read_b32 v9, v11 offset:240
.LBB86_17:
	s_or_b64 exec, exec, s[10:11]
	v_xor_b32_e32 v14, 1, v5
	v_cmp_lt_i32_e64 s[10:11], v14, v8
	v_cndmask_b32_e64 v14, v5, v14, s[10:11]
	v_lshlrev_b32_e32 v14, 2, v14
	s_waitcnt lgkmcnt(0)
	ds_bpermute_b32 v15, v14, v9
	v_max_f32_e32 v9, v9, v9
	s_sub_i32 s7, s33, s7
	s_lshl_b32 s7, s7, 3
	s_add_i32 s7, s7, s42
	s_waitcnt lgkmcnt(0)
	v_max_f32_e32 v15, v15, v15
	v_max_f32_e32 v9, v9, v15
	v_lshlrev_b32_e32 v15, 2, v5
	v_and_b32_e32 v15, 0xffffff00, v15
	ds_bpermute_b32 v9, v15, v9
	s_min_i32 s19, s7, s27
	s_sub_i32 s7, s19, s42
	v_cmp_gt_i32_e64 s[10:11], s7, v0
	v_mov_b32_e32 v16, 0
	s_and_saveexec_b64 s[36:37], s[10:11]
	s_cbranch_execz .LBB86_21
; %bb.18:
	v_mov_b32_e32 v16, 0x100
	v_lshl_add_u32 v17, v0, 2, v16
	s_mov_b64 s[38:39], 0
	v_mov_b32_e32 v16, 0
	v_mov_b32_e32 v18, v0
.LBB86_19:                              ; =>This Inner Loop Header: Depth=1
	ds_read_b32 v19, v17
	v_add_u32_e32 v18, 0x80, v18
	v_cmp_le_i32_e64 s[12:13], s7, v18
	s_or_b64 s[38:39], s[12:13], s[38:39]
	s_waitcnt lgkmcnt(0)
	v_sub_f32_e32 v19, v19, v9
	v_mul_f32_e32 v19, 0x3fb8aa3b, v19
	v_exp_f32_e32 v19, v19
	ds_write_b32 v17, v19
	v_add_f32_e32 v16, v16, v19
	v_add_u32_e32 v17, 0x200, v17
	s_andn2_b64 exec, exec, s[38:39]
	s_cbranch_execnz .LBB86_19
; %bb.20:
	s_or_b64 exec, exec, s[38:39]
.LBB86_21:
	s_or_b64 exec, exec, s[36:37]
	ds_bpermute_b32 v3, v3, v16
	s_waitcnt lgkmcnt(0)
	v_add_f32_e32 v3, v16, v3
	ds_bpermute_b32 v12, v12, v3
	s_waitcnt lgkmcnt(0)
	v_add_f32_e32 v3, v3, v12
	ds_bpermute_b32 v12, v13, v3
	v_xor_b32_e32 v13, 4, v5
	v_cmp_lt_i32_e64 s[12:13], v13, v8
	v_cndmask_b32_e64 v13, v5, v13, s[12:13]
	v_lshlrev_b32_e32 v13, 2, v13
	s_waitcnt lgkmcnt(0)
	v_add_f32_e32 v3, v3, v12
	ds_bpermute_b32 v12, v13, v3
	v_xor_b32_e32 v13, 2, v5
	v_cmp_lt_i32_e64 s[12:13], v13, v8
	v_cndmask_b32_e64 v5, v5, v13, s[12:13]
	v_lshlrev_b32_e32 v5, 2, v5
	s_waitcnt lgkmcnt(0)
	v_add_f32_e32 v3, v3, v12
	ds_bpermute_b32 v5, v5, v3
	s_waitcnt lgkmcnt(0)
	v_add_f32_e32 v3, v3, v5
	ds_bpermute_b32 v5, v14, v3
	s_waitcnt lgkmcnt(0)
	v_add_f32_e32 v3, v3, v5
	s_and_saveexec_b64 s[12:13], vcc
	s_cbranch_execz .LBB86_23
; %bb.22:
	ds_write_b32 v2, v3 offset:248
.LBB86_23:
	s_or_b64 exec, exec, s[12:13]
	s_waitcnt lgkmcnt(0)
	s_barrier
	s_and_saveexec_b64 s[12:13], s[4:5]
	s_cbranch_execz .LBB86_25
; %bb.24:
	ds_read_b32 v3, v11 offset:248
.LBB86_25:
	s_or_b64 exec, exec, s[12:13]
	s_waitcnt lgkmcnt(0)
	ds_bpermute_b32 v2, v14, v3
	s_waitcnt lgkmcnt(0)
	v_add_f32_e32 v2, v3, v2
	ds_bpermute_b32 v5, v15, v2
	s_and_saveexec_b64 s[4:5], s[10:11]
	s_cbranch_execz .LBB86_38
; %bb.26:
	s_waitcnt lgkmcnt(0)
	v_add_f32_e32 v2, 0x358637bd, v5
	v_div_scale_f32 v3, s[10:11], v2, v2, 1.0
	v_rcp_f32_e32 v8, v3
	v_div_scale_f32 v11, vcc, 1.0, v2, 1.0
	s_movk_i32 s10, 0x7f
	v_fma_f32 v12, -v3, v8, 1.0
	v_fmac_f32_e32 v8, v12, v8
	v_mul_f32_e32 v12, v11, v8
	v_fma_f32 v13, -v3, v12, v11
	v_fmac_f32_e32 v12, v13, v8
	v_fma_f32 v3, -v3, v12, v11
	v_div_fmas_f32 v3, v3, v8, v12
	v_div_fixup_f32 v2, v3, v2, 1.0
	v_xad_u32 v3, v0, -1, s19
	v_subrev_u32_e32 v8, s42, v3
	v_cmp_lt_u32_e32 vcc, s10, v8
	s_mov_b64 s[12:13], -1
	v_mov_b32_e32 v3, v0
	s_and_saveexec_b64 s[10:11], vcc
	s_cbranch_execz .LBB86_35
; %bb.27:
	v_lshrrev_b32_e32 v8, 7, v8
	v_add_u32_e32 v12, -1, v8
	v_lshrrev_b32_e32 v11, 1, v12
	v_mov_b32_e32 v3, v2
	v_add_u32_e32 v11, 1, v11
	v_cmp_lt_u32_e32 vcc, 13, v12
	v_mov_b32_e32 v14, 0
	s_and_saveexec_b64 s[12:13], vcc
	s_cbranch_execz .LBB86_31
; %bb.28:
	v_mov_b32_e32 v13, 0x100
	v_and_b32_e32 v12, -8, v11
	v_lshl_add_u32 v13, v0, 2, v13
	s_mov_b32 s19, 0
	s_mov_b64 s[36:37], 0
.LBB86_29:                              ; =>This Inner Loop Header: Depth=1
	ds_read2st64_b32 v[14:15], v13 offset1:2
	ds_read2st64_b32 v[16:17], v13 offset0:4 offset1:6
	ds_read2st64_b32 v[18:19], v13 offset0:8 offset1:10
	;; [unrolled: 1-line block ×3, first 2 shown]
	v_add_u32_e32 v12, -8, v12
	s_waitcnt lgkmcnt(3)
	v_pk_mul_f32 v[14:15], v[2:3], v[14:15]
	s_waitcnt lgkmcnt(2)
	v_pk_mul_f32 v[16:17], v[2:3], v[16:17]
	ds_write2st64_b32 v13, v14, v15 offset1:2
	ds_write2st64_b32 v13, v16, v17 offset0:4 offset1:6
	ds_read2st64_b32 v[16:17], v13 offset0:16 offset1:18
	s_waitcnt lgkmcnt(4)
	v_pk_mul_f32 v[14:15], v[2:3], v[18:19]
	ds_write2st64_b32 v13, v14, v15 offset0:8 offset1:10
	s_waitcnt lgkmcnt(4)
	v_pk_mul_f32 v[14:15], v[2:3], v[20:21]
	ds_write2st64_b32 v13, v14, v15 offset0:12 offset1:14
	ds_read2st64_b32 v[14:15], v13 offset0:20 offset1:22
	s_waitcnt lgkmcnt(3)
	v_pk_mul_f32 v[16:17], v[2:3], v[16:17]
	ds_read2st64_b32 v[18:19], v13 offset0:24 offset1:26
	ds_write2st64_b32 v13, v16, v17 offset0:16 offset1:18
	ds_read2st64_b32 v[16:17], v13 offset0:28 offset1:30
	s_waitcnt lgkmcnt(3)
	v_pk_mul_f32 v[14:15], v[2:3], v[14:15]
	ds_write2st64_b32 v13, v14, v15 offset0:20 offset1:22
	s_waitcnt lgkmcnt(3)
	v_pk_mul_f32 v[14:15], v[2:3], v[18:19]
	ds_write2st64_b32 v13, v14, v15 offset0:24 offset1:26
	s_waitcnt lgkmcnt(2)
	v_pk_mul_f32 v[14:15], v[2:3], v[16:17]
	s_add_i32 s19, s19, 16
	v_cmp_eq_u32_e32 vcc, 0, v12
	ds_write2st64_b32 v13, v14, v15 offset0:28 offset1:30
	v_add_u32_e32 v13, 0x2000, v13
	s_or_b64 s[36:37], vcc, s[36:37]
	v_mov_b32_e32 v14, s19
	s_andn2_b64 exec, exec, s[36:37]
	s_cbranch_execnz .LBB86_29
; %bb.30:
	s_or_b64 exec, exec, s[36:37]
.LBB86_31:
	s_or_b64 exec, exec, s[12:13]
	v_and_b32_e32 v11, 7, v11
	v_cmp_ne_u32_e32 vcc, 0, v11
	s_and_saveexec_b64 s[12:13], vcc
	s_cbranch_execz .LBB86_34
; %bb.32:
	v_lshlrev_b32_e32 v12, 9, v14
	v_lshlrev_b32_e32 v13, 2, v0
	s_movk_i32 s19, 0x100
	v_add3_u32 v12, v12, v13, s19
	s_mov_b64 s[36:37], 0
.LBB86_33:                              ; =>This Inner Loop Header: Depth=1
	ds_read2st64_b32 v[14:15], v12 offset1:2
	v_add_u32_e32 v11, -1, v11
	v_cmp_eq_u32_e32 vcc, 0, v11
	s_or_b64 s[36:37], vcc, s[36:37]
	s_waitcnt lgkmcnt(0)
	v_pk_mul_f32 v[14:15], v[2:3], v[14:15]
	ds_write2st64_b32 v12, v14, v15 offset1:2
	v_add_u32_e32 v12, 0x400, v12
	s_andn2_b64 exec, exec, s[36:37]
	s_cbranch_execnz .LBB86_33
.LBB86_34:
	s_or_b64 exec, exec, s[12:13]
	v_add_u32_e32 v8, 1, v8
	v_and_b32_e32 v11, 0x3fffffe, v8
	v_cmp_ne_u32_e32 vcc, v8, v11
	v_lshl_add_u32 v3, v11, 7, v0
	s_orn2_b64 s[12:13], vcc, exec
.LBB86_35:
	s_or_b64 exec, exec, s[10:11]
	s_and_b64 exec, exec, s[12:13]
	s_cbranch_execz .LBB86_38
; %bb.36:
	v_mov_b32_e32 v8, 0x100
	v_lshl_add_u32 v8, v3, 2, v8
	s_mov_b64 s[10:11], 0
.LBB86_37:                              ; =>This Inner Loop Header: Depth=1
	ds_read_b32 v11, v8
	v_add_u32_e32 v3, 0x80, v3
	v_cmp_le_i32_e32 vcc, s7, v3
	s_or_b64 s[10:11], vcc, s[10:11]
	s_waitcnt lgkmcnt(0)
	v_mul_f32_e32 v11, v2, v11
	ds_write_b32 v8, v11
	v_add_u32_e32 v8, 0x200, v8
	s_andn2_b64 exec, exec, s[10:11]
	s_cbranch_execnz .LBB86_37
.LBB86_38:
	s_or_b64 exec, exec, s[4:5]
	s_mul_i32 s4, s15, s26
	v_cmp_eq_u32_e32 vcc, 0, v0
	s_mul_i32 s10, s4, s9
	s_waitcnt lgkmcnt(0)
	s_barrier
	s_and_saveexec_b64 s[4:5], vcc
	s_cbranch_execz .LBB86_40
; %bb.39:
	s_ashr_i32 s11, s10, 31
	s_lshl_b64 s[12:13], s[10:11], 2
	s_add_u32 s9, s22, s12
	s_mul_i32 s6, s15, s6
	s_addc_u32 s11, s23, s13
	s_ashr_i32 s7, s6, 31
	s_lshl_b64 s[6:7], s[6:7], 2
	s_add_u32 s19, s9, s6
	s_addc_u32 s11, s11, s7
	s_ashr_i32 s9, s8, 31
	s_lshl_b64 s[22:23], s[8:9], 2
	s_add_u32 s36, s19, s22
	s_addc_u32 s37, s11, s23
	s_add_u32 s9, s20, s12
	s_addc_u32 s11, s21, s13
	;; [unrolled: 2-line block ×3, first 2 shown]
	s_add_u32 s6, s6, s22
	v_mov_b32_e32 v2, 0
	s_addc_u32 s7, s7, s23
	global_store_dword v2, v9, s[36:37]
	global_store_dword v2, v5, s[6:7]
.LBB86_40:
	s_or_b64 exec, exec, s[4:5]
	v_mov_b32_e32 v12, 0
	v_mov_b32_e32 v11, 0
	s_and_saveexec_b64 s[6:7], s[2:3]
	s_cbranch_execz .LBB86_50
; %bb.41:
	s_ashr_i32 s19, s18, 31
	s_lshl_b64 s[2:3], s[18:19], 1
	s_add_u32 s11, s34, s2
	v_or_b32_e32 v3, 64, v10
	s_movk_i32 s2, 0x78
	s_addc_u32 s4, s35, s3
	s_add_i32 s18, s16, -1
	v_cmp_gt_u32_e32 vcc, s2, v3
	s_lshl_b64 s[2:3], s[30:31], 2
	v_lshlrev_b32_e32 v12, 3, v3
	v_mov_b32_e32 v3, 0x100
	s_add_u32 s2, s28, s2
	v_lshl_add_u32 v13, v4, 3, s42
	v_lshl_add_u32 v14, v4, 5, v3
	v_lshlrev_b64 v[4:5], 2, v[6:7]
	s_addc_u32 s3, s29, s3
	v_lshlrev_b32_e32 v2, 3, v10
	v_mov_b32_e32 v3, s3
	v_add_co_u32_e64 v8, s[2:3], s2, v4
	s_mov_b32 s9, s17
	v_mov_b32_e32 v11, 0
	s_mov_b32 s19, s27
	s_mov_b32 s20, s27
	;; [unrolled: 1-line block ×7, first 2 shown]
	v_addc_co_u32_e64 v9, s[2:3], v3, v5, s[2:3]
	s_mov_b64 s[12:13], 0
	v_mov_b32_e32 v7, s4
	v_lshlrev_b32_e32 v15, 1, v2
	s_mov_b32 s28, 0x5040100
	v_lshlrev_b32_e32 v16, 1, v12
	v_mov_b32_e32 v12, 0
	s_branch .LBB86_44
.LBB86_42:                              ;   in Loop: Header=BB86_44 Depth=1
	s_or_b64 exec, exec, s[4:5]
	s_waitcnt vmcnt(0)
	;;#ASMSTART
	v_pk_mul_f16 v2, v24, v2;

	;;#ASMEND
	;;#ASMSTART
	v_pk_mul_f16 v3, v23, v3;

	;;#ASMEND
	;; [unrolled: 4-line block ×4, first 2 shown]
	;;#ASMSTART
	v_pk_add_f16 v2, v2, v3;

	;;#ASMEND
	;;#ASMSTART
	v_pk_add_f16 v2, v2, v4;

	;;#ASMEND
	;; [unrolled: 4-line block ×3, first 2 shown]
	v_lshrrev_b32_e32 v3, 16, v2
	v_and_b32_e32 v2, 0xffff, v2
	;;#ASMSTART
	v_cvt_f32_f16 v2, v2;
	;;#ASMEND
	;;#ASMSTART
	v_cvt_f32_f16 v3, v3;
	;;#ASMEND
	v_add_f32_e32 v2, v2, v3
	v_add_f32_e32 v11, v11, v2
.LBB86_43:                              ;   in Loop: Header=BB86_44 Depth=1
	s_or_b64 exec, exec, s[16:17]
	v_add_u32_e32 v6, 2, v6
	v_cmp_le_i32_e64 s[2:3], s33, v6
	v_add_f32_e32 v2, v17, v18
	s_or_b64 s[12:13], s[2:3], s[12:13]
	v_add_co_u32_e64 v8, s[2:3], 8, v8
	v_add_f32_e32 v12, v12, v2
	v_add_u32_e32 v13, 16, v13
	v_add_u32_e32 v14, 64, v14
	v_addc_co_u32_e64 v9, s[2:3], 0, v9, s[2:3]
	s_andn2_b64 exec, exec, s[12:13]
	s_cbranch_execz .LBB86_49
.LBB86_44:                              ; =>This Inner Loop Header: Depth=1
	global_load_dword v20, v[8:9], off
	ds_read2_b64 v[2:5], v14 offset1:1
	ds_read2_b64 v[26:29], v14 offset0:2 offset1:3
	s_waitcnt lgkmcnt(1)
	;;#ASMSTART
	v_cvt_f16_f32 v17, v2;

	;;#ASMEND
	;;#ASMSTART
	v_cvt_f16_f32 v18, v3;

	;;#ASMEND
	;; [unrolled: 4-line block ×4, first 2 shown]
	s_waitcnt lgkmcnt(0)
	;;#ASMSTART
	v_cvt_f16_f32 v25, v26;

	;;#ASMEND
	;;#ASMSTART
	v_cvt_f16_f32 v26, v27;

	;;#ASMEND
	;; [unrolled: 4-line block ×4, first 2 shown]
	s_waitcnt vmcnt(0)
	v_mad_i64_i32 v[2:3], s[2:3], v20, s9, 0
	v_lshlrev_b64 v[2:3], 1, v[2:3]
	v_add_co_u32_e64 v20, s[2:3], s11, v2
	v_addc_co_u32_e64 v21, s[2:3], v7, v3, s[2:3]
	v_add_co_u32_e64 v2, s[2:3], v20, v15
	v_addc_co_u32_e64 v3, s[2:3], 0, v21, s[2:3]
	global_load_dwordx4 v[2:5], v[2:3], off
	v_cmp_eq_u32_e64 s[2:3], s18, v6
	s_and_saveexec_b64 s[16:17], s[2:3]
	s_cbranch_execz .LBB86_46
; %bb.45:                               ;   in Loop: Header=BB86_44 Depth=1
	v_or_b32_e32 v32, 7, v13
	v_or_b32_e32 v33, 6, v13
	s_waitcnt vmcnt(0)
	v_lshrrev_b32_e32 v34, 16, v5
	v_cmp_gt_i32_e64 s[4:5], s34, v32
	v_cndmask_b32_e64 v32, 0, v34, s[4:5]
	v_cmp_gt_i32_e64 s[4:5], s26, v33
	v_or_b32_e32 v30, 5, v13
	v_cndmask_b32_e64 v5, 0, v5, s[4:5]
	v_or_b32_e32 v31, 4, v13
	v_perm_b32 v5, v32, v5, s28
	v_lshrrev_b32_e32 v32, 16, v4
	v_cmp_gt_i32_e64 s[4:5], s23, v30
	v_cndmask_b32_e64 v30, 0, v32, s[4:5]
	v_cmp_gt_i32_e64 s[4:5], s22, v31
	v_or_b32_e32 v24, 3, v13
	v_cndmask_b32_e64 v4, 0, v4, s[4:5]
	v_or_b32_e32 v29, 2, v13
	v_perm_b32 v4, v30, v4, s28
	v_lshrrev_b32_e32 v30, 16, v3
	v_cmp_gt_i32_e64 s[4:5], s21, v24
	v_cndmask_b32_e64 v24, 0, v30, s[4:5]
	v_cmp_gt_i32_e64 s[4:5], s20, v29
	v_add_u32_e32 v23, 1, v13
	v_cndmask_b32_e64 v3, 0, v3, s[4:5]
	v_perm_b32 v3, v24, v3, s28
	v_lshrrev_b32_e32 v24, 16, v2
	v_cmp_gt_i32_e64 s[4:5], s19, v23
	v_cndmask_b32_e64 v23, 0, v24, s[4:5]
	v_cmp_gt_i32_e64 s[4:5], s27, v13
	v_cndmask_b32_e64 v2, 0, v2, s[4:5]
	v_perm_b32 v2, v23, v2, s28
.LBB86_46:                              ;   in Loop: Header=BB86_44 Depth=1
	s_or_b64 exec, exec, s[16:17]
	v_and_b32_e32 v17, 0xffff, v17
	v_lshl_or_b32 v24, v18, 16, v17
	v_and_b32_e32 v17, 0xffff, v19
	v_lshl_or_b32 v23, v22, 16, v17
	;; [unrolled: 2-line block ×3, first 2 shown]
	v_and_b32_e32 v17, 0xffff, v27
	s_waitcnt vmcnt(0)
	;;#ASMSTART
	v_pk_mul_f16 v2, v24, v2;

	;;#ASMEND
	v_lshl_or_b32 v19, v28, 16, v17
	;;#ASMSTART
	v_pk_mul_f16 v3, v23, v3;

	;;#ASMEND
	;;#ASMSTART
	v_pk_mul_f16 v4, v22, v4;

	;;#ASMEND
	;; [unrolled: 4-line block ×3, first 2 shown]
	;;#ASMSTART
	v_pk_add_f16 v2, v2, v3;

	;;#ASMEND
	;;#ASMSTART
	v_pk_add_f16 v2, v2, v4;

	;;#ASMEND
	;; [unrolled: 4-line block ×3, first 2 shown]
	v_lshrrev_b32_e32 v3, 16, v2
	v_and_b32_e32 v2, 0xffff, v2
	;;#ASMSTART
	v_cvt_f32_f16 v17, v2;
	;;#ASMEND
	;;#ASMSTART
	v_cvt_f32_f16 v18, v3;
	;;#ASMEND
	s_and_saveexec_b64 s[16:17], vcc
	s_cbranch_execz .LBB86_43
; %bb.47:                               ;   in Loop: Header=BB86_44 Depth=1
	v_add_co_u32_e64 v2, s[4:5], v20, v16
	v_addc_co_u32_e64 v3, s[4:5], 0, v21, s[4:5]
	global_load_dwordx4 v[2:5], v[2:3], off
	s_and_saveexec_b64 s[4:5], s[2:3]
	s_cbranch_execz .LBB86_42
; %bb.48:                               ;   in Loop: Header=BB86_44 Depth=1
	v_or_b32_e32 v28, 7, v13
	v_or_b32_e32 v29, 6, v13
	s_waitcnt vmcnt(0)
	v_lshrrev_b32_e32 v30, 16, v5
	v_cmp_gt_i32_e64 s[2:3], s34, v28
	v_cndmask_b32_e64 v28, 0, v30, s[2:3]
	v_cmp_gt_i32_e64 s[2:3], s26, v29
	v_or_b32_e32 v26, 5, v13
	v_cndmask_b32_e64 v5, 0, v5, s[2:3]
	v_or_b32_e32 v27, 4, v13
	v_perm_b32 v5, v28, v5, s28
	v_lshrrev_b32_e32 v28, 16, v4
	v_cmp_gt_i32_e64 s[2:3], s23, v26
	v_cndmask_b32_e64 v26, 0, v28, s[2:3]
	v_cmp_gt_i32_e64 s[2:3], s22, v27
	v_or_b32_e32 v21, 3, v13
	v_cndmask_b32_e64 v4, 0, v4, s[2:3]
	v_or_b32_e32 v25, 2, v13
	v_perm_b32 v4, v26, v4, s28
	v_lshrrev_b32_e32 v26, 16, v3
	v_cmp_gt_i32_e64 s[2:3], s21, v21
	v_cndmask_b32_e64 v21, 0, v26, s[2:3]
	v_cmp_gt_i32_e64 s[2:3], s20, v25
	v_add_u32_e32 v20, 1, v13
	v_cndmask_b32_e64 v3, 0, v3, s[2:3]
	v_perm_b32 v3, v21, v3, s28
	v_lshrrev_b32_e32 v21, 16, v2
	v_cmp_gt_i32_e64 s[2:3], s19, v20
	v_cndmask_b32_e64 v20, 0, v21, s[2:3]
	v_cmp_gt_i32_e64 s[2:3], s27, v13
	v_cndmask_b32_e64 v2, 0, v2, s[2:3]
	v_perm_b32 v2, v20, v2, s28
	s_branch .LBB86_42
.LBB86_49:
	s_or_b64 exec, exec, s[12:13]
.LBB86_50:
	s_or_b64 exec, exec, s[6:7]
	v_and_b32_e32 v2, 0x3c0, v0
	v_cmp_eq_u32_e32 vcc, 64, v2
	s_barrier
	s_and_saveexec_b64 s[2:3], vcc
	s_cbranch_execz .LBB86_53
; %bb.51:
	v_mov_b32_e32 v2, 0x100
	v_lshl_add_u32 v3, v10, 2, v2
	ds_write_b32 v3, v12
	s_and_b64 exec, exec, s[0:1]
	s_cbranch_execz .LBB86_53
; %bb.52:
	v_lshl_add_u32 v2, v0, 2, v2
	ds_write_b32 v2, v11
.LBB86_53:
	s_or_b64 exec, exec, s[2:3]
	v_cmp_gt_u32_e32 vcc, 64, v0
	v_or_b32_e32 v2, 64, v0
	s_waitcnt lgkmcnt(0)
	s_barrier
	s_and_saveexec_b64 s[2:3], vcc
	s_cbranch_execz .LBB86_57
; %bb.54:
	v_mov_b32_e32 v3, 0x100
	v_lshl_add_u32 v3, v0, 2, v3
	ds_read_b32 v0, v3
	s_movk_i32 s0, 0x78
	v_cmp_gt_u32_e64 s[0:1], s0, v2
	s_and_saveexec_b64 s[4:5], s[0:1]
	s_cbranch_execz .LBB86_56
; %bb.55:
	ds_read_b32 v3, v3 offset:256
	s_waitcnt lgkmcnt(0)
	v_add_f32_e32 v11, v11, v3
.LBB86_56:
	s_or_b64 exec, exec, s[4:5]
	s_waitcnt lgkmcnt(0)
	v_add_f32_e32 v12, v12, v0
.LBB86_57:
	s_or_b64 exec, exec, s[2:3]
	s_barrier
	s_and_saveexec_b64 s[0:1], vcc
	s_cbranch_execz .LBB86_60
; %bb.58:
	s_mul_i32 s0, s10, 0x78
	s_ashr_i32 s1, s0, 31
	s_lshl_b64 s[0:1], s[0:1], 1
	s_add_u32 s3, s24, s0
	s_mul_i32 s0, s15, s14
	s_addc_u32 s4, s25, s1
	s_ashr_i32 s1, s0, 31
	s_lshl_b64 s[0:1], s[0:1], 1
	s_add_u32 s3, s3, s0
	s_mul_i32 s0, s8, 0x78
	s_addc_u32 s4, s4, s1
	s_ashr_i32 s1, s0, 31
	s_lshl_b64 s[0:1], s[0:1], 1
	s_movk_i32 s2, 0x78
	s_add_u32 s0, s3, s0
	s_addc_u32 s1, s4, s1
	v_cmp_gt_u32_e32 vcc, s2, v2
	;;#ASMSTART
	v_cvt_f16_f32 v0, v12;

	;;#ASMEND
	global_store_short v1, v0, s[0:1]
	s_and_b64 exec, exec, vcc
	s_cbranch_execz .LBB86_60
; %bb.59:
	v_mov_b32_e32 v2, s1
	v_add_co_u32_e32 v0, vcc, s0, v1
	v_addc_co_u32_e32 v1, vcc, 0, v2, vcc
	;;#ASMSTART
	v_cvt_f16_f32 v2, v11;

	;;#ASMEND
	global_store_short v[0:1], v2, off offset:128
.LBB86_60:
	s_endpgm
	.section	.rodata,"a",@progbits
	.p2align	6, 0x0
	.amdhsa_kernel _ZN4vllm25paged_attention_v2_kernelIttLi120ELi8ELi128ELNS_18Fp8KVCacheDataTypeE0ELb0ELi512EEEvPfS2_PT_PKS3_PKT0_S9_ifPKiSB_iPKfiiiSD_SD_iiiii
		.amdhsa_group_segment_fixed_size 256
		.amdhsa_private_segment_fixed_size 0
		.amdhsa_kernarg_size 400
		.amdhsa_user_sgpr_count 6
		.amdhsa_user_sgpr_private_segment_buffer 1
		.amdhsa_user_sgpr_dispatch_ptr 0
		.amdhsa_user_sgpr_queue_ptr 0
		.amdhsa_user_sgpr_kernarg_segment_ptr 1
		.amdhsa_user_sgpr_dispatch_id 0
		.amdhsa_user_sgpr_flat_scratch_init 0
		.amdhsa_user_sgpr_kernarg_preload_length 0
		.amdhsa_user_sgpr_kernarg_preload_offset 0
		.amdhsa_user_sgpr_private_segment_size 0
		.amdhsa_uses_dynamic_stack 0
		.amdhsa_system_sgpr_private_segment_wavefront_offset 0
		.amdhsa_system_sgpr_workgroup_id_x 1
		.amdhsa_system_sgpr_workgroup_id_y 1
		.amdhsa_system_sgpr_workgroup_id_z 1
		.amdhsa_system_sgpr_workgroup_info 0
		.amdhsa_system_vgpr_workitem_id 0
		.amdhsa_next_free_vgpr 47
		.amdhsa_next_free_sgpr 44
		.amdhsa_accum_offset 48
		.amdhsa_reserve_vcc 1
		.amdhsa_reserve_flat_scratch 0
		.amdhsa_float_round_mode_32 0
		.amdhsa_float_round_mode_16_64 0
		.amdhsa_float_denorm_mode_32 3
		.amdhsa_float_denorm_mode_16_64 3
		.amdhsa_dx10_clamp 1
		.amdhsa_ieee_mode 1
		.amdhsa_fp16_overflow 0
		.amdhsa_tg_split 0
		.amdhsa_exception_fp_ieee_invalid_op 0
		.amdhsa_exception_fp_denorm_src 0
		.amdhsa_exception_fp_ieee_div_zero 0
		.amdhsa_exception_fp_ieee_overflow 0
		.amdhsa_exception_fp_ieee_underflow 0
		.amdhsa_exception_fp_ieee_inexact 0
		.amdhsa_exception_int_div_zero 0
	.end_amdhsa_kernel
	.section	.text._ZN4vllm25paged_attention_v2_kernelIttLi120ELi8ELi128ELNS_18Fp8KVCacheDataTypeE0ELb0ELi512EEEvPfS2_PT_PKS3_PKT0_S9_ifPKiSB_iPKfiiiSD_SD_iiiii,"axG",@progbits,_ZN4vllm25paged_attention_v2_kernelIttLi120ELi8ELi128ELNS_18Fp8KVCacheDataTypeE0ELb0ELi512EEEvPfS2_PT_PKS3_PKT0_S9_ifPKiSB_iPKfiiiSD_SD_iiiii,comdat
.Lfunc_end86:
	.size	_ZN4vllm25paged_attention_v2_kernelIttLi120ELi8ELi128ELNS_18Fp8KVCacheDataTypeE0ELb0ELi512EEEvPfS2_PT_PKS3_PKT0_S9_ifPKiSB_iPKfiiiSD_SD_iiiii, .Lfunc_end86-_ZN4vllm25paged_attention_v2_kernelIttLi120ELi8ELi128ELNS_18Fp8KVCacheDataTypeE0ELb0ELi512EEEvPfS2_PT_PKS3_PKT0_S9_ifPKiSB_iPKfiiiSD_SD_iiiii
                                        ; -- End function
	.section	.AMDGPU.csdata,"",@progbits
; Kernel info:
; codeLenInByte = 4736
; NumSgprs: 48
; NumVgprs: 47
; NumAgprs: 0
; TotalNumVgprs: 47
; ScratchSize: 0
; MemoryBound: 0
; FloatMode: 240
; IeeeMode: 1
; LDSByteSize: 256 bytes/workgroup (compile time only)
; SGPRBlocks: 5
; VGPRBlocks: 5
; NumSGPRsForWavesPerEU: 48
; NumVGPRsForWavesPerEU: 47
; AccumOffset: 48
; Occupancy: 8
; WaveLimiterHint : 1
; COMPUTE_PGM_RSRC2:SCRATCH_EN: 0
; COMPUTE_PGM_RSRC2:USER_SGPR: 6
; COMPUTE_PGM_RSRC2:TRAP_HANDLER: 0
; COMPUTE_PGM_RSRC2:TGID_X_EN: 1
; COMPUTE_PGM_RSRC2:TGID_Y_EN: 1
; COMPUTE_PGM_RSRC2:TGID_Z_EN: 1
; COMPUTE_PGM_RSRC2:TIDIG_COMP_CNT: 0
; COMPUTE_PGM_RSRC3_GFX90A:ACCUM_OFFSET: 11
; COMPUTE_PGM_RSRC3_GFX90A:TG_SPLIT: 0
	.section	.text._ZN4vllm25paged_attention_v2_kernelIttLi128ELi8ELi128ELNS_18Fp8KVCacheDataTypeE0ELb0ELi512EEEvPfS2_PT_PKS3_PKT0_S9_ifPKiSB_iPKfiiiSD_SD_iiiii,"axG",@progbits,_ZN4vllm25paged_attention_v2_kernelIttLi128ELi8ELi128ELNS_18Fp8KVCacheDataTypeE0ELb0ELi512EEEvPfS2_PT_PKS3_PKT0_S9_ifPKiSB_iPKfiiiSD_SD_iiiii,comdat
	.protected	_ZN4vllm25paged_attention_v2_kernelIttLi128ELi8ELi128ELNS_18Fp8KVCacheDataTypeE0ELb0ELi512EEEvPfS2_PT_PKS3_PKT0_S9_ifPKiSB_iPKfiiiSD_SD_iiiii ; -- Begin function _ZN4vllm25paged_attention_v2_kernelIttLi128ELi8ELi128ELNS_18Fp8KVCacheDataTypeE0ELb0ELi512EEEvPfS2_PT_PKS3_PKT0_S9_ifPKiSB_iPKfiiiSD_SD_iiiii
	.globl	_ZN4vllm25paged_attention_v2_kernelIttLi128ELi8ELi128ELNS_18Fp8KVCacheDataTypeE0ELb0ELi512EEEvPfS2_PT_PKS3_PKT0_S9_ifPKiSB_iPKfiiiSD_SD_iiiii
	.p2align	8
	.type	_ZN4vllm25paged_attention_v2_kernelIttLi128ELi8ELi128ELNS_18Fp8KVCacheDataTypeE0ELb0ELi512EEEvPfS2_PT_PKS3_PKT0_S9_ifPKiSB_iPKfiiiSD_SD_iiiii,@function
_ZN4vllm25paged_attention_v2_kernelIttLi128ELi8ELi128ELNS_18Fp8KVCacheDataTypeE0ELb0ELi512EEEvPfS2_PT_PKS3_PKT0_S9_ifPKiSB_iPKfiiiSD_SD_iiiii: ; @_ZN4vllm25paged_attention_v2_kernelIttLi128ELi8ELi128ELNS_18Fp8KVCacheDataTypeE0ELb0ELi512EEEvPfS2_PT_PKS3_PKT0_S9_ifPKiSB_iPKfiiiSD_SD_iiiii
; %bb.0:
	s_load_dwordx2 s[0:1], s[4:5], 0x40
	s_mov_b32 s24, s7
	s_ashr_i32 s25, s7, 31
	s_lshl_b64 s[2:3], s[24:25], 2
	s_waitcnt lgkmcnt(0)
	s_add_u32 s0, s0, s2
	s_addc_u32 s1, s1, s3
	s_load_dword s25, s[0:1], 0x0
	s_lshl_b32 s33, s8, 9
	s_waitcnt lgkmcnt(0)
	s_cmp_ge_i32 s33, s25
	s_cbranch_scc1 .LBB87_54
; %bb.1:
	s_load_dword s9, s[4:5], 0x90
	s_load_dwordx2 s[10:11], s[4:5], 0x30
	s_mov_b32 s40, 0
	s_waitcnt lgkmcnt(0)
	s_abs_i32 s2, s9
	s_abs_i32 s0, s10
	v_cvt_f32_u32_e32 v1, s0
	s_sub_i32 s3, 0, s0
	s_xor_b32 s1, s9, s10
	s_ashr_i32 s1, s1, 31
	v_rcp_iflag_f32_e32 v1, v1
	v_mul_f32_e32 v1, 0x4f7ffffe, v1
	v_cvt_u32_f32_e32 v1, v1
	v_readfirstlane_b32 s7, v1
	s_mul_i32 s3, s3, s7
	s_mul_hi_u32 s3, s7, s3
	s_add_i32 s7, s7, s3
	s_mul_hi_u32 s3, s2, s7
	s_mul_i32 s7, s3, s0
	s_sub_i32 s2, s2, s7
	s_add_i32 s10, s3, 1
	s_sub_i32 s7, s2, s0
	s_cmp_ge_u32 s2, s0
	s_cselect_b32 s3, s10, s3
	s_cselect_b32 s2, s7, s2
	s_add_i32 s7, s3, 1
	s_cmp_ge_u32 s2, s0
	s_cselect_b32 s0, s7, s3
	s_xor_b32 s0, s0, s1
	s_sub_i32 s10, s0, s1
	s_abs_i32 s2, s10
	v_cvt_f32_u32_e32 v1, s2
	s_load_dwordx2 s[0:1], s[4:5], 0x50
	s_sub_i32 s7, 0, s2
	s_abs_i32 s3, s6
	v_rcp_iflag_f32_e32 v1, v1
	v_mul_f32_e32 v1, 0x4f7ffffe, v1
	v_cvt_u32_f32_e32 v1, v1
	v_readfirstlane_b32 s12, v1
	s_mul_i32 s7, s7, s12
	s_mul_hi_u32 s7, s12, s7
	s_add_i32 s12, s12, s7
	s_waitcnt lgkmcnt(0)
	s_cmp_eq_u64 s[0:1], 0
	s_mul_hi_u32 s16, s3, s12
	s_cbranch_scc1 .LBB87_3
; %bb.2:
	s_ashr_i32 s7, s6, 31
	s_lshl_b64 s[12:13], s[6:7], 2
	s_add_u32 s0, s0, s12
	s_addc_u32 s1, s1, s13
	s_load_dword s40, s[0:1], 0x0
.LBB87_3:
	s_load_dwordx4 s[12:15], s[4:5], 0x58
	s_movk_i32 s0, 0x80
	s_ashr_i32 s17, s6, 31
	s_ashr_i32 s18, s10, 31
	v_and_b32_e32 v2, 7, v0
	s_lshl_b32 s20, s6, 7
	v_cmp_gt_u32_e32 vcc, s0, v0
	v_lshlrev_b32_e32 v1, 1, v0
	s_and_saveexec_b64 s[0:1], vcc
	s_cbranch_execz .LBB87_5
; %bb.4:
	s_load_dwordx2 s[22:23], s[4:5], 0x18
	s_waitcnt lgkmcnt(0)
	s_mul_i32 s26, s24, s12
	s_ashr_i32 s27, s26, 31
	s_lshl_b64 s[26:27], s[26:27], 1
	v_lshrrev_b32_e32 v4, 2, v0
	s_add_u32 s7, s22, s26
	s_addc_u32 s10, s23, s27
	s_ashr_i32 s21, s20, 31
	s_lshl_b64 s[22:23], s[20:21], 1
	s_add_u32 s22, s7, s22
	s_addc_u32 s23, s10, s23
	global_load_ushort v3, v1, s[22:23]
	v_and_b32_e32 v4, 0xfe, v4
	v_lshl_add_u32 v4, v2, 5, v4
	s_waitcnt vmcnt(0)
	ds_write_b16 v4, v3
.LBB87_5:
	s_or_b64 exec, exec, s[0:1]
	s_add_i32 s0, s25, 7
	s_ashr_i32 s1, s0, 31
	s_lshr_b32 s1, s1, 29
	s_add_i32 s0, s0, s1
	s_lshl_b32 s10, s8, 6
	s_mul_i32 s1, s16, s2
	s_ashr_i32 s7, s0, 3
	s_add_i32 s0, s10, 64
	s_sub_i32 s1, s3, s1
	s_min_i32 s21, s0, s7
	s_xor_b32 s0, s17, s18
	s_add_i32 s3, s16, 1
	s_waitcnt lgkmcnt(0)
	s_sub_i32 s12, s1, s2
	s_cmp_ge_u32 s1, s2
	s_cselect_b32 s3, s3, s16
	s_cselect_b32 s1, s12, s1
	s_add_i32 s12, s3, 1
	s_cmp_ge_u32 s1, s2
	s_load_dwordx2 s[26:27], s[4:5], 0x38
	s_load_dword s2, s[4:5], 0x48
	v_lshrrev_b32_e32 v4, 6, v0
	s_cselect_b32 s1, s12, s3
	s_xor_b32 s1, s1, s0
	v_or_b32_e32 v6, s10, v4
	s_waitcnt lgkmcnt(0)
	s_mul_i32 s28, s24, s2
	s_sub_i32 s15, s1, s0
	s_ashr_i32 s29, s28, 31
	v_cmp_gt_i32_e64 s[0:1], s21, v6
	v_cmp_le_i32_e32 vcc, s21, v6
	v_mbcnt_lo_u32_b32 v15, -1, 0
	s_barrier
	s_waitcnt lgkmcnt(0)
                                        ; implicit-def: $sgpr36
                                        ; implicit-def: $vgpr5
                                        ; implicit-def: $vgpr8
	s_and_saveexec_b64 s[2:3], vcc
	s_xor_b64 s[2:3], exec, s[2:3]
; %bb.6:
	v_mbcnt_hi_u32_b32 v5, -1, v15
	v_and_b32_e32 v2, 64, v5
	v_add_u32_e32 v8, 64, v2
	s_mov_b32 s36, 0xff7fffff
                                        ; implicit-def: $vgpr2
                                        ; implicit-def: $vgpr15
; %bb.7:
	s_or_saveexec_b64 s[34:35], s[2:3]
	s_load_dwordx4 s[16:19], s[4:5], 0x0
	s_load_dwordx2 s[22:23], s[4:5], 0x10
	s_load_dwordx2 s[30:31], s[4:5], 0x28
	s_load_dword s12, s[4:5], 0x98
	v_mov_b32_e32 v9, s36
	s_mul_i32 s14, s15, s14
	v_ashrrev_i32_e32 v7, 31, v6
	s_xor_b64 exec, exec, s[34:35]
	s_cbranch_execz .LBB87_13
; %bb.8:
	s_load_dwordx2 s[2:3], s[4:5], 0x20
	s_ashr_i32 s15, s14, 31
	s_lshl_b64 s[4:5], s[14:15], 1
	v_bfe_u32 v3, v0, 3, 3
	v_lshlrev_b32_e32 v5, 4, v3
	s_waitcnt lgkmcnt(0)
	s_add_u32 s2, s2, s4
	s_addc_u32 s3, s3, s5
	v_mov_b32_e32 v8, s3
	v_add_co_u32_e32 v5, vcc, s2, v5
	v_addc_co_u32_e32 v8, vcc, 0, v8, vcc
	v_lshlrev_b32_e32 v9, 1, v2
	v_add_co_u32_e32 v10, vcc, v5, v9
	v_addc_co_u32_e32 v11, vcc, 0, v8, vcc
	v_lshlrev_b32_e32 v12, 5, v2
	v_cmp_eq_u32_e32 vcc, 0, v2
	v_lshlrev_b32_e32 v2, 3, v4
	s_sub_i32 s15, 1, s25
	v_add3_u32 v13, s33, v2, v3
	v_lshlrev_b32_e32 v2, 2, v3
	s_lshl_b64 s[4:5], s[28:29], 2
	v_lshl_or_b32 v2, v4, 5, v2
	s_add_u32 s4, s26, s4
	v_add_u32_e32 v14, 0x110, v2
	v_lshlrev_b64 v[2:3], 2, v[6:7]
	s_addc_u32 s5, s27, s5
	v_mov_b32_e32 v5, s5
	v_add_co_u32_e64 v2, s[4:5], s4, v2
	v_addc_co_u32_e64 v3, s[4:5], v5, v3, s[4:5]
	v_mbcnt_hi_u32_b32 v5, -1, v15
	v_and_b32_e32 v8, 64, v5
	s_mov_b32 s41, s13
	v_cmp_neq_f32_e64 s[2:3], s40, 0
	s_mov_b64 s[36:37], 0
	v_mov_b32_e32 v9, 0xff7fffff
	v_add_u32_e32 v8, 64, v8
	v_xor_b32_e32 v15, 4, v5
	v_xor_b32_e32 v16, 2, v5
	;; [unrolled: 1-line block ×3, first 2 shown]
	v_mov_b32_e32 v18, v6
	s_branch .LBB87_10
.LBB87_9:                               ;   in Loop: Header=BB87_10 Depth=1
	s_or_b64 exec, exec, s[38:39]
	v_add_u32_e32 v18, 2, v18
	v_cmp_le_i32_e64 s[4:5], s21, v18
	s_or_b64 s[36:37], s[4:5], s[36:37]
	v_add_co_u32_e64 v2, s[4:5], 8, v2
	v_add_u32_e32 v13, 16, v13
	v_add_u32_e32 v14, 64, v14
	v_addc_co_u32_e64 v3, s[4:5], 0, v3, s[4:5]
	s_andn2_b64 exec, exec, s[36:37]
	s_cbranch_execz .LBB87_12
.LBB87_10:                              ; =>This Inner Loop Header: Depth=1
	global_load_dword v19, v[2:3], off
	s_waitcnt vmcnt(0) lgkmcnt(0)
	v_mad_i64_i32 v[20:21], s[4:5], v19, s41, 0
	v_lshlrev_b64 v[20:21], 1, v[20:21]
	v_add_co_u32_e64 v20, s[4:5], v10, v20
	v_addc_co_u32_e64 v21, s[4:5], v11, v21, s[4:5]
	global_load_ushort v19, v[20:21], off
	global_load_ushort v22, v[20:21], off offset:128
	global_load_ushort v23, v[20:21], off offset:256
	;; [unrolled: 1-line block ×10, first 2 shown]
	ds_read_u16 v32, v12
	global_load_ushort v33, v[20:21], off offset:1408
	global_load_ushort v34, v[20:21], off offset:1536
	;; [unrolled: 1-line block ×5, first 2 shown]
	s_waitcnt lgkmcnt(0)
	;;#ASMSTART
	v_cvt_f32_f16 v20, v32;
	;;#ASMEND
	v_cmp_lt_i32_e64 s[4:5], v15, v8
	v_cndmask_b32_e64 v47, v5, v15, s[4:5]
	v_lshlrev_b32_e32 v47, 2, v47
	v_cmp_lt_i32_e64 s[4:5], v16, v8
	s_waitcnt vmcnt(15)
	;;#ASMSTART
	v_cvt_f32_f16 v19, v19;
	;;#ASMEND
	ds_read_u16 v21, v12 offset:2
	s_waitcnt lgkmcnt(0)
	;;#ASMSTART
	v_cvt_f32_f16 v21, v21;
	;;#ASMEND
	s_waitcnt vmcnt(14)
	;;#ASMSTART
	v_cvt_f32_f16 v22, v22;
	;;#ASMEND
	v_mul_f32_e32 v21, v21, v22
	ds_read_u16 v32, v12 offset:4
	v_fmac_f32_e32 v21, v20, v19
	s_waitcnt lgkmcnt(0)
	;;#ASMSTART
	v_cvt_f32_f16 v32, v32;
	;;#ASMEND
	s_waitcnt vmcnt(13)
	;;#ASMSTART
	v_cvt_f32_f16 v23, v23;
	;;#ASMEND
	ds_read_u16 v38, v12 offset:6
	v_fmac_f32_e32 v21, v32, v23
	s_waitcnt lgkmcnt(0)
	;;#ASMSTART
	v_cvt_f32_f16 v38, v38;
	;;#ASMEND
	s_waitcnt vmcnt(12)
	;;#ASMSTART
	v_cvt_f32_f16 v24, v24;
	;;#ASMEND
	;; [unrolled: 10-line block ×10, first 2 shown]
	v_fmac_f32_e32 v21, v46, v33
	ds_read_u16 v48, v12 offset:24
	s_waitcnt lgkmcnt(0)
	;;#ASMSTART
	v_cvt_f32_f16 v19, v48;
	;;#ASMEND
	s_waitcnt vmcnt(3)
	;;#ASMSTART
	v_cvt_f32_f16 v20, v34;
	;;#ASMEND
	ds_read_u16 v22, v12 offset:26
	v_fmac_f32_e32 v21, v19, v20
	s_waitcnt lgkmcnt(0)
	;;#ASMSTART
	v_cvt_f32_f16 v22, v22;
	;;#ASMEND
	s_waitcnt vmcnt(2)
	;;#ASMSTART
	v_cvt_f32_f16 v23, v35;
	;;#ASMEND
	ds_read_u16 v24, v12 offset:28
	v_fmac_f32_e32 v21, v22, v23
	s_waitcnt lgkmcnt(0)
	;;#ASMSTART
	v_cvt_f32_f16 v24, v24;
	;;#ASMEND
	s_waitcnt vmcnt(1)
	;;#ASMSTART
	v_cvt_f32_f16 v25, v36;
	;;#ASMEND
	v_fmac_f32_e32 v21, v24, v25
	ds_read_u16 v26, v12 offset:30
	s_waitcnt lgkmcnt(0)
	;;#ASMSTART
	v_cvt_f32_f16 v19, v26;
	;;#ASMEND
	s_waitcnt vmcnt(0)
	;;#ASMSTART
	v_cvt_f32_f16 v20, v37;
	;;#ASMEND
	v_fmac_f32_e32 v21, v19, v20
	ds_bpermute_b32 v19, v47, v21
	v_cndmask_b32_e64 v20, v5, v16, s[4:5]
	v_lshlrev_b32_e32 v20, 2, v20
	v_cmp_lt_i32_e64 s[4:5], v17, v8
	s_waitcnt lgkmcnt(0)
	v_add_f32_e32 v19, v21, v19
	ds_bpermute_b32 v20, v20, v19
	v_cndmask_b32_e64 v21, v5, v17, s[4:5]
	s_waitcnt lgkmcnt(0)
	v_add_f32_e32 v19, v19, v20
	v_lshlrev_b32_e32 v20, 2, v21
	ds_bpermute_b32 v20, v20, v19
	s_and_saveexec_b64 s[38:39], vcc
	s_cbranch_execz .LBB87_9
; %bb.11:                               ;   in Loop: Header=BB87_10 Depth=1
	v_add_u32_e32 v21, s15, v13
	v_cvt_f32_i32_e32 v21, v21
	s_waitcnt lgkmcnt(0)
	v_add_f32_e32 v19, v19, v20
	v_cmp_gt_i32_e64 s[4:5], s25, v13
	v_max_f32_e32 v20, v9, v9
	v_mul_f32_e32 v21, s40, v21
	v_cndmask_b32_e64 v21, 0, v21, s[2:3]
	v_fmac_f32_e32 v21, s11, v19
	v_cndmask_b32_e64 v19, 0, v21, s[4:5]
	ds_write_b32 v14, v19
	v_max_f32_e32 v19, v20, v21
	v_cndmask_b32_e64 v9, v9, v19, s[4:5]
	s_branch .LBB87_9
.LBB87_12:
	s_or_b64 exec, exec, s[36:37]
.LBB87_13:
	s_or_b64 exec, exec, s[34:35]
	v_xor_b32_e32 v2, 32, v5
	v_cmp_lt_i32_e32 vcc, v2, v8
	v_cndmask_b32_e32 v2, v5, v2, vcc
	v_lshlrev_b32_e32 v3, 2, v2
	ds_bpermute_b32 v2, v3, v9
	v_xor_b32_e32 v10, 16, v5
	v_max_f32_e32 v9, v9, v9
	v_cmp_lt_i32_e32 vcc, v10, v8
	v_and_b32_e32 v14, 63, v0
	s_waitcnt lgkmcnt(0)
	v_max_f32_e32 v2, v2, v2
	v_max_f32_e32 v2, v9, v2
	v_cndmask_b32_e32 v9, v5, v10, vcc
	v_lshlrev_b32_e32 v11, 2, v9
	ds_bpermute_b32 v9, v11, v2
	v_xor_b32_e32 v10, 8, v5
	v_cmp_lt_i32_e32 vcc, v10, v8
	s_waitcnt lgkmcnt(0)
	v_max_f32_e32 v9, v9, v9
	v_max_f32_e32 v9, v2, v9
	v_cndmask_b32_e32 v2, v5, v10, vcc
	v_lshlrev_b32_e32 v12, 2, v2
	ds_bpermute_b32 v10, v12, v9
	v_cmp_eq_u32_e32 vcc, 0, v14
	v_lshlrev_b32_e32 v2, 2, v4
	s_and_saveexec_b64 s[2:3], vcc
	s_cbranch_execz .LBB87_15
; %bb.14:
	s_waitcnt lgkmcnt(0)
	v_max_f32_e32 v10, v10, v10
	v_max_f32_e32 v9, v9, v9
	;; [unrolled: 1-line block ×3, first 2 shown]
	ds_write_b32 v2, v9 offset:256
.LBB87_15:
	s_or_b64 exec, exec, s[2:3]
	v_cmp_gt_u32_e64 s[2:3], 2, v14
	v_mov_b32_e32 v9, 0xff7fffff
	s_waitcnt lgkmcnt(0)
	v_lshlrev_b32_e32 v10, 2, v14
	s_barrier
	s_and_saveexec_b64 s[4:5], s[2:3]
	s_cbranch_execz .LBB87_17
; %bb.16:
	ds_read_b32 v9, v10 offset:256
.LBB87_17:
	s_or_b64 exec, exec, s[4:5]
	v_xor_b32_e32 v13, 1, v5
	v_cmp_lt_i32_e64 s[4:5], v13, v8
	v_cndmask_b32_e64 v13, v5, v13, s[4:5]
	v_lshlrev_b32_e32 v13, 2, v13
	s_waitcnt lgkmcnt(0)
	ds_bpermute_b32 v15, v13, v9
	v_max_f32_e32 v9, v9, v9
	s_sub_i32 s4, s21, s10
	s_lshl_b32 s4, s4, 3
	s_add_i32 s4, s4, s33
	s_waitcnt lgkmcnt(0)
	v_max_f32_e32 v15, v15, v15
	v_max_f32_e32 v9, v9, v15
	v_lshlrev_b32_e32 v15, 2, v5
	v_and_b32_e32 v15, 0xffffff00, v15
	ds_bpermute_b32 v9, v15, v9
	s_min_i32 s38, s4, s25
	s_sub_i32 s15, s38, s33
	v_cmp_gt_i32_e64 s[4:5], s15, v0
	v_mov_b32_e32 v16, 0
	s_and_saveexec_b64 s[34:35], s[4:5]
	s_cbranch_execz .LBB87_21
; %bb.18:
	v_mov_b32_e32 v16, 0x110
	v_lshl_add_u32 v17, v0, 2, v16
	s_mov_b64 s[36:37], 0
	v_mov_b32_e32 v16, 0
	v_mov_b32_e32 v18, v0
.LBB87_19:                              ; =>This Inner Loop Header: Depth=1
	ds_read_b32 v19, v17
	v_add_u32_e32 v18, 0x80, v18
	v_cmp_le_i32_e64 s[10:11], s15, v18
	s_or_b64 s[36:37], s[10:11], s[36:37]
	s_waitcnt lgkmcnt(0)
	v_sub_f32_e32 v19, v19, v9
	v_mul_f32_e32 v19, 0x3fb8aa3b, v19
	v_exp_f32_e32 v19, v19
	ds_write_b32 v17, v19
	v_add_f32_e32 v16, v16, v19
	v_add_u32_e32 v17, 0x200, v17
	s_andn2_b64 exec, exec, s[36:37]
	s_cbranch_execnz .LBB87_19
; %bb.20:
	s_or_b64 exec, exec, s[36:37]
.LBB87_21:
	s_or_b64 exec, exec, s[34:35]
	ds_bpermute_b32 v3, v3, v16
	s_waitcnt lgkmcnt(0)
	v_add_f32_e32 v3, v16, v3
	ds_bpermute_b32 v11, v11, v3
	s_waitcnt lgkmcnt(0)
	v_add_f32_e32 v3, v3, v11
	ds_bpermute_b32 v11, v12, v3
	v_xor_b32_e32 v12, 4, v5
	v_cmp_lt_i32_e64 s[10:11], v12, v8
	v_cndmask_b32_e64 v12, v5, v12, s[10:11]
	v_lshlrev_b32_e32 v12, 2, v12
	s_waitcnt lgkmcnt(0)
	v_add_f32_e32 v3, v3, v11
	ds_bpermute_b32 v11, v12, v3
	v_xor_b32_e32 v12, 2, v5
	v_cmp_lt_i32_e64 s[10:11], v12, v8
	v_cndmask_b32_e64 v5, v5, v12, s[10:11]
	v_lshlrev_b32_e32 v5, 2, v5
	s_waitcnt lgkmcnt(0)
	v_add_f32_e32 v3, v3, v11
	ds_bpermute_b32 v5, v5, v3
	s_waitcnt lgkmcnt(0)
	v_add_f32_e32 v3, v3, v5
	ds_bpermute_b32 v5, v13, v3
	s_waitcnt lgkmcnt(0)
	v_add_f32_e32 v3, v3, v5
	s_and_saveexec_b64 s[10:11], vcc
	s_cbranch_execz .LBB87_23
; %bb.22:
	ds_write_b32 v2, v3 offset:264
.LBB87_23:
	s_or_b64 exec, exec, s[10:11]
	s_waitcnt lgkmcnt(0)
	s_barrier
	s_and_saveexec_b64 s[10:11], s[2:3]
	s_cbranch_execz .LBB87_25
; %bb.24:
	ds_read_b32 v3, v10 offset:264
.LBB87_25:
	s_or_b64 exec, exec, s[10:11]
	s_waitcnt lgkmcnt(0)
	ds_bpermute_b32 v2, v13, v3
	s_waitcnt lgkmcnt(0)
	v_add_f32_e32 v2, v3, v2
	ds_bpermute_b32 v5, v15, v2
	s_and_saveexec_b64 s[2:3], s[4:5]
	s_cbranch_execz .LBB87_38
; %bb.26:
	s_waitcnt lgkmcnt(0)
	v_add_f32_e32 v2, 0x358637bd, v5
	v_div_scale_f32 v3, s[4:5], v2, v2, 1.0
	v_rcp_f32_e32 v8, v3
	v_div_scale_f32 v10, vcc, 1.0, v2, 1.0
	s_movk_i32 s4, 0x7f
	v_fma_f32 v11, -v3, v8, 1.0
	v_fmac_f32_e32 v8, v11, v8
	v_mul_f32_e32 v11, v10, v8
	v_fma_f32 v12, -v3, v11, v10
	v_fmac_f32_e32 v11, v12, v8
	v_fma_f32 v3, -v3, v11, v10
	v_div_fmas_f32 v3, v3, v8, v11
	v_div_fixup_f32 v2, v3, v2, 1.0
	v_xad_u32 v3, v0, -1, s38
	v_subrev_u32_e32 v8, s33, v3
	v_cmp_lt_u32_e32 vcc, s4, v8
	s_mov_b64 s[10:11], -1
	v_mov_b32_e32 v3, v0
	s_and_saveexec_b64 s[4:5], vcc
	s_cbranch_execz .LBB87_35
; %bb.27:
	v_lshrrev_b32_e32 v8, 7, v8
	v_add_u32_e32 v11, -1, v8
	v_lshrrev_b32_e32 v10, 1, v11
	v_mov_b32_e32 v3, v2
	v_add_u32_e32 v10, 1, v10
	v_cmp_lt_u32_e32 vcc, 13, v11
	v_mov_b32_e32 v13, 0
	s_and_saveexec_b64 s[10:11], vcc
	s_cbranch_execz .LBB87_31
; %bb.28:
	v_mov_b32_e32 v12, 0x110
	v_and_b32_e32 v11, -8, v10
	v_lshl_add_u32 v12, v0, 2, v12
	s_mov_b32 s36, 0
	s_mov_b64 s[34:35], 0
.LBB87_29:                              ; =>This Inner Loop Header: Depth=1
	ds_read2st64_b32 v[16:17], v12 offset1:2
	ds_read2st64_b32 v[18:19], v12 offset0:4 offset1:6
	ds_read2st64_b32 v[20:21], v12 offset0:8 offset1:10
	ds_read2st64_b32 v[22:23], v12 offset0:12 offset1:14
	v_add_u32_e32 v11, -8, v11
	s_waitcnt lgkmcnt(3)
	v_pk_mul_f32 v[16:17], v[2:3], v[16:17]
	s_waitcnt lgkmcnt(2)
	v_pk_mul_f32 v[18:19], v[2:3], v[18:19]
	ds_write2st64_b32 v12, v16, v17 offset1:2
	ds_write2st64_b32 v12, v18, v19 offset0:4 offset1:6
	ds_read2st64_b32 v[18:19], v12 offset0:16 offset1:18
	s_waitcnt lgkmcnt(4)
	v_pk_mul_f32 v[16:17], v[2:3], v[20:21]
	ds_write2st64_b32 v12, v16, v17 offset0:8 offset1:10
	s_waitcnt lgkmcnt(4)
	v_pk_mul_f32 v[16:17], v[2:3], v[22:23]
	ds_write2st64_b32 v12, v16, v17 offset0:12 offset1:14
	ds_read2st64_b32 v[16:17], v12 offset0:20 offset1:22
	s_waitcnt lgkmcnt(3)
	v_pk_mul_f32 v[18:19], v[2:3], v[18:19]
	ds_read2st64_b32 v[20:21], v12 offset0:24 offset1:26
	ds_write2st64_b32 v12, v18, v19 offset0:16 offset1:18
	ds_read2st64_b32 v[18:19], v12 offset0:28 offset1:30
	s_waitcnt lgkmcnt(3)
	v_pk_mul_f32 v[16:17], v[2:3], v[16:17]
	ds_write2st64_b32 v12, v16, v17 offset0:20 offset1:22
	s_waitcnt lgkmcnt(3)
	v_pk_mul_f32 v[16:17], v[2:3], v[20:21]
	ds_write2st64_b32 v12, v16, v17 offset0:24 offset1:26
	s_waitcnt lgkmcnt(2)
	v_pk_mul_f32 v[16:17], v[2:3], v[18:19]
	s_add_i32 s36, s36, 16
	v_cmp_eq_u32_e32 vcc, 0, v11
	ds_write2st64_b32 v12, v16, v17 offset0:28 offset1:30
	v_add_u32_e32 v12, 0x2000, v12
	s_or_b64 s[34:35], vcc, s[34:35]
	v_mov_b32_e32 v13, s36
	s_andn2_b64 exec, exec, s[34:35]
	s_cbranch_execnz .LBB87_29
; %bb.30:
	s_or_b64 exec, exec, s[34:35]
.LBB87_31:
	s_or_b64 exec, exec, s[10:11]
	v_and_b32_e32 v10, 7, v10
	v_cmp_ne_u32_e32 vcc, 0, v10
	s_and_saveexec_b64 s[10:11], vcc
	s_cbranch_execz .LBB87_34
; %bb.32:
	v_lshlrev_b32_e32 v11, 9, v13
	v_lshlrev_b32_e32 v12, 2, v0
	s_movk_i32 s34, 0x110
	v_add3_u32 v11, v11, v12, s34
	s_mov_b64 s[34:35], 0
.LBB87_33:                              ; =>This Inner Loop Header: Depth=1
	ds_read2st64_b32 v[12:13], v11 offset1:2
	v_add_u32_e32 v10, -1, v10
	v_cmp_eq_u32_e32 vcc, 0, v10
	s_or_b64 s[34:35], vcc, s[34:35]
	s_waitcnt lgkmcnt(0)
	v_pk_mul_f32 v[12:13], v[2:3], v[12:13]
	ds_write2st64_b32 v11, v12, v13 offset1:2
	v_add_u32_e32 v11, 0x400, v11
	s_andn2_b64 exec, exec, s[34:35]
	s_cbranch_execnz .LBB87_33
.LBB87_34:
	s_or_b64 exec, exec, s[10:11]
	v_add_u32_e32 v8, 1, v8
	v_and_b32_e32 v10, 0x3fffffe, v8
	v_cmp_ne_u32_e32 vcc, v8, v10
	v_lshl_add_u32 v3, v10, 7, v0
	s_orn2_b64 s[10:11], vcc, exec
.LBB87_35:
	s_or_b64 exec, exec, s[4:5]
	s_and_b64 exec, exec, s[10:11]
	s_cbranch_execz .LBB87_38
; %bb.36:
	v_mov_b32_e32 v8, 0x110
	v_lshl_add_u32 v8, v3, 2, v8
	s_mov_b64 s[4:5], 0
.LBB87_37:                              ; =>This Inner Loop Header: Depth=1
	ds_read_b32 v10, v8
	v_add_u32_e32 v3, 0x80, v3
	v_cmp_le_i32_e32 vcc, s15, v3
	s_or_b64 s[4:5], vcc, s[4:5]
	s_waitcnt lgkmcnt(0)
	v_mul_f32_e32 v10, v2, v10
	ds_write_b32 v8, v10
	v_add_u32_e32 v8, 0x200, v8
	s_andn2_b64 exec, exec, s[4:5]
	s_cbranch_execnz .LBB87_37
.LBB87_38:
	s_or_b64 exec, exec, s[2:3]
	s_mul_i32 s2, s12, s24
	s_mov_b32 s4, 0
	v_cmp_eq_u32_e32 vcc, 0, v0
	s_mul_i32 s2, s2, s9
	s_waitcnt lgkmcnt(0)
	s_barrier
	s_and_saveexec_b64 s[10:11], vcc
	s_cbranch_execz .LBB87_40
; %bb.39:
	s_ashr_i32 s3, s2, 31
	s_lshl_b64 s[34:35], s[2:3], 2
	s_add_u32 s3, s18, s34
	s_mul_i32 s18, s12, s6
	s_addc_u32 s5, s19, s35
	s_ashr_i32 s19, s18, 31
	s_lshl_b64 s[18:19], s[18:19], 2
	s_add_u32 s3, s3, s18
	s_addc_u32 s5, s5, s19
	s_ashr_i32 s9, s8, 31
	s_lshl_b64 s[36:37], s[8:9], 2
	s_add_u32 s38, s3, s36
	s_addc_u32 s39, s5, s37
	s_add_u32 s3, s16, s34
	s_addc_u32 s5, s17, s35
	;; [unrolled: 2-line block ×3, first 2 shown]
	s_add_u32 s16, s3, s36
	v_mov_b32_e32 v2, 0
	s_addc_u32 s17, s5, s37
	global_store_dword v2, v9, s[38:39]
	global_store_dword v2, v5, s[16:17]
.LBB87_40:
	s_or_b64 exec, exec, s[10:11]
	s_mov_b32 s5, s4
	v_pk_mov_b32 v[8:9], s[4:5], s[4:5] op_sel:[0,1]
	s_and_saveexec_b64 s[4:5], s[0:1]
	s_cbranch_execz .LBB87_48
; %bb.41:
	s_ashr_i32 s15, s14, 31
	s_lshl_b64 s[0:1], s[14:15], 1
	s_add_u32 s0, s30, s0
	s_addc_u32 s1, s31, s1
	v_lshlrev_b32_e32 v2, 4, v14
	s_add_i32 s9, s7, -1
	v_mov_b32_e32 v3, s1
	v_add_co_u32_e32 v15, vcc, s0, v2
	s_lshl_b64 s[0:1], s[28:29], 2
	v_mov_b32_e32 v2, 0x110
	s_add_u32 s0, s26, s0
	v_addc_co_u32_e32 v16, vcc, 0, v3, vcc
	v_lshl_add_u32 v18, v4, 5, v2
	v_lshlrev_b64 v[2:3], 2, v[6:7]
	s_addc_u32 s1, s27, s1
	v_lshl_add_u32 v17, v4, 3, s33
	v_mov_b32_e32 v4, s1
	v_add_co_u32_e32 v10, vcc, s0, v2
	s_mov_b32 s3, s13
	s_mov_b32 s13, s25
	;; [unrolled: 1-line block ×8, first 2 shown]
	v_addc_co_u32_e32 v11, vcc, v4, v3, vcc
	s_mov_b64 s[6:7], 0
	v_mov_b32_e32 v9, 0
	s_mov_b32 s24, 0x5040100
	v_mov_b32_e32 v8, 0
	s_branch .LBB87_43
.LBB87_42:                              ;   in Loop: Header=BB87_43 Depth=1
	s_or_b64 exec, exec, s[0:1]
	s_waitcnt vmcnt(0)
	;;#ASMSTART
	v_pk_mul_f16 v2, v33, v2;

	;;#ASMEND
	;;#ASMSTART
	v_pk_mul_f16 v3, v27, v3;

	;;#ASMEND
	;; [unrolled: 4-line block ×4, first 2 shown]
	;;#ASMSTART
	v_pk_add_f16 v2, v2, v3;

	;;#ASMEND
	;;#ASMSTART
	v_pk_add_f16 v2, v2, v4;

	;;#ASMEND
	;; [unrolled: 4-line block ×3, first 2 shown]
	v_lshrrev_b32_e32 v3, 16, v2
	v_and_b32_e32 v2, 0xffff, v2
	v_add_u32_e32 v6, 2, v6
	;;#ASMSTART
	v_cvt_f32_f16 v2, v2;
	;;#ASMEND
	v_cmp_le_i32_e32 vcc, s21, v6
	v_add_f32_e32 v7, v28, v29
	;;#ASMSTART
	v_cvt_f32_f16 v3, v3;
	;;#ASMEND
	v_add_f32_e32 v2, v2, v3
	s_or_b64 s[6:7], vcc, s[6:7]
	v_add_co_u32_e32 v10, vcc, 8, v10
	v_add_f32_e32 v8, v8, v7
	v_add_f32_e32 v9, v9, v2
	v_add_u32_e32 v17, 16, v17
	v_add_u32_e32 v18, 64, v18
	v_addc_co_u32_e32 v11, vcc, 0, v11, vcc
	s_andn2_b64 exec, exec, s[6:7]
	s_cbranch_execz .LBB87_47
.LBB87_43:                              ; =>This Inner Loop Header: Depth=1
	global_load_dword v7, v[10:11], off
	ds_read2_b64 v[2:5], v18 offset1:1
	ds_read2_b64 v[20:23], v18 offset0:2 offset1:3
	v_or_b32_e32 v19, 2, v17
	v_or_b32_e32 v24, 7, v17
	s_waitcnt lgkmcnt(1)
	;;#ASMSTART
	v_cvt_f16_f32 v25, v2;

	;;#ASMEND
	;;#ASMSTART
	v_cvt_f16_f32 v26, v3;

	;;#ASMEND
	;; [unrolled: 4-line block ×4, first 2 shown]
	s_waitcnt lgkmcnt(0)
	;;#ASMSTART
	v_cvt_f16_f32 v29, v20;

	;;#ASMEND
	;;#ASMSTART
	v_cvt_f16_f32 v30, v21;

	;;#ASMEND
	;; [unrolled: 4-line block ×4, first 2 shown]
	v_or_b32_e32 v20, 3, v17
	v_or_b32_e32 v22, 5, v17
	;; [unrolled: 1-line block ×4, first 2 shown]
	s_waitcnt vmcnt(0)
	v_mad_i64_i32 v[2:3], s[0:1], v7, s3, 0
	v_lshlrev_b64 v[2:3], 1, v[2:3]
	v_add_co_u32_e32 v12, vcc, v15, v2
	v_addc_co_u32_e32 v13, vcc, v16, v3, vcc
	global_load_dwordx4 v[2:5], v[12:13], off
	v_cmp_eq_u32_e32 vcc, s9, v6
	v_add_u32_e32 v7, 1, v17
	s_and_saveexec_b64 s[10:11], vcc
	s_cbranch_execz .LBB87_45
; %bb.44:                               ;   in Loop: Header=BB87_43 Depth=1
	s_waitcnt vmcnt(0)
	v_lshrrev_b32_e32 v33, 16, v5
	v_cmp_gt_i32_e64 s[0:1], s19, v24
	v_cndmask_b32_e64 v33, 0, v33, s[0:1]
	v_cmp_gt_i32_e64 s[0:1], s18, v23
	v_cndmask_b32_e64 v5, 0, v5, s[0:1]
	v_perm_b32 v5, v33, v5, s24
	v_lshrrev_b32_e32 v33, 16, v4
	v_cmp_gt_i32_e64 s[0:1], s17, v22
	v_cndmask_b32_e64 v33, 0, v33, s[0:1]
	v_cmp_gt_i32_e64 s[0:1], s16, v21
	v_cndmask_b32_e64 v4, 0, v4, s[0:1]
	v_perm_b32 v4, v33, v4, s24
	;; [unrolled: 6-line block ×4, first 2 shown]
.LBB87_45:                              ;   in Loop: Header=BB87_43 Depth=1
	s_or_b64 exec, exec, s[10:11]
	v_and_b32_e32 v25, 0xffff, v25
	v_lshl_or_b32 v33, v26, 16, v25
	v_and_b32_e32 v25, 0xffff, v27
	v_lshl_or_b32 v27, v28, 16, v25
	;; [unrolled: 2-line block ×3, first 2 shown]
	v_and_b32_e32 v25, 0xffff, v31
	s_waitcnt vmcnt(0)
	;;#ASMSTART
	v_pk_mul_f16 v2, v33, v2;

	;;#ASMEND
	v_lshl_or_b32 v25, v32, 16, v25
	;;#ASMSTART
	v_pk_mul_f16 v3, v27, v3;

	;;#ASMEND
	;;#ASMSTART
	v_pk_mul_f16 v4, v26, v4;

	;;#ASMEND
	;;#ASMSTART
	v_pk_mul_f16 v5, v25, v5;

	;;#ASMEND
	;;#ASMSTART
	v_pk_add_f16 v2, v2, v3;

	;;#ASMEND
	;;#ASMSTART
	v_pk_add_f16 v2, v2, v4;

	;;#ASMEND
	;; [unrolled: 4-line block ×3, first 2 shown]
	v_lshrrev_b32_e32 v3, 16, v2
	v_and_b32_e32 v2, 0xffff, v2
	;;#ASMSTART
	v_cvt_f32_f16 v28, v2;
	;;#ASMEND
	;;#ASMSTART
	v_cvt_f32_f16 v29, v3;
	;;#ASMEND
	global_load_dwordx4 v[2:5], v[12:13], off offset:1024
	s_and_saveexec_b64 s[0:1], vcc
	s_cbranch_execz .LBB87_42
; %bb.46:                               ;   in Loop: Header=BB87_43 Depth=1
	s_waitcnt vmcnt(0)
	v_lshrrev_b32_e32 v12, 16, v5
	v_cmp_gt_i32_e32 vcc, s19, v24
	v_cndmask_b32_e32 v12, 0, v12, vcc
	v_cmp_gt_i32_e32 vcc, s18, v23
	v_cndmask_b32_e32 v5, 0, v5, vcc
	v_perm_b32 v5, v12, v5, s24
	v_lshrrev_b32_e32 v12, 16, v4
	v_cmp_gt_i32_e32 vcc, s17, v22
	v_cndmask_b32_e32 v12, 0, v12, vcc
	v_cmp_gt_i32_e32 vcc, s16, v21
	v_cndmask_b32_e32 v4, 0, v4, vcc
	v_perm_b32 v4, v12, v4, s24
	;; [unrolled: 6-line block ×4, first 2 shown]
	s_branch .LBB87_42
.LBB87_47:
	s_or_b64 exec, exec, s[6:7]
.LBB87_48:
	s_or_b64 exec, exec, s[4:5]
	v_and_b32_e32 v2, 0x3c0, v0
	v_cmp_eq_u32_e32 vcc, 64, v2
	s_barrier
	s_and_saveexec_b64 s[0:1], vcc
	s_cbranch_execz .LBB87_50
; %bb.49:
	v_mov_b32_e32 v2, 0x110
	v_lshl_add_u32 v3, v0, 2, v2
	v_lshl_add_u32 v2, v14, 2, v2
	ds_write_b32 v2, v8
	ds_write_b32 v3, v9
.LBB87_50:
	s_or_b64 exec, exec, s[0:1]
	v_cmp_gt_u32_e32 vcc, 64, v0
	s_waitcnt lgkmcnt(0)
	s_barrier
	s_and_saveexec_b64 s[0:1], vcc
	s_cbranch_execz .LBB87_52
; %bb.51:
	v_mov_b32_e32 v2, 0x110
	v_lshl_add_u32 v0, v0, 2, v2
	ds_read2st64_b32 v[2:3], v0 offset1:1
	s_waitcnt lgkmcnt(0)
	v_pk_add_f32 v[8:9], v[8:9], v[2:3]
.LBB87_52:
	s_or_b64 exec, exec, s[0:1]
	s_barrier
	s_and_saveexec_b64 s[0:1], vcc
	s_cbranch_execz .LBB87_54
; %bb.53:
	s_lshl_b32 s0, s2, 7
	s_ashr_i32 s1, s0, 31
	s_lshl_b64 s[0:1], s[0:1], 1
	s_add_u32 s2, s22, s0
	s_mul_i32 s0, s12, s20
	s_addc_u32 s3, s23, s1
	s_ashr_i32 s1, s0, 31
	s_lshl_b64 s[0:1], s[0:1], 1
	s_add_u32 s2, s2, s0
	s_addc_u32 s3, s3, s1
	s_lshl_b32 s0, s8, 7
	s_ashr_i32 s1, s0, 31
	s_lshl_b64 s[0:1], s[0:1], 1
	s_add_u32 s0, s2, s0
	s_addc_u32 s1, s3, s1
	;;#ASMSTART
	v_cvt_f16_f32 v0, v8;

	;;#ASMEND
	global_store_short v1, v0, s[0:1]
	;;#ASMSTART
	v_cvt_f16_f32 v0, v9;

	;;#ASMEND
	global_store_short v1, v0, s[0:1] offset:128
.LBB87_54:
	s_endpgm
	.section	.rodata,"a",@progbits
	.p2align	6, 0x0
	.amdhsa_kernel _ZN4vllm25paged_attention_v2_kernelIttLi128ELi8ELi128ELNS_18Fp8KVCacheDataTypeE0ELb0ELi512EEEvPfS2_PT_PKS3_PKT0_S9_ifPKiSB_iPKfiiiSD_SD_iiiii
		.amdhsa_group_segment_fixed_size 272
		.amdhsa_private_segment_fixed_size 0
		.amdhsa_kernarg_size 400
		.amdhsa_user_sgpr_count 6
		.amdhsa_user_sgpr_private_segment_buffer 1
		.amdhsa_user_sgpr_dispatch_ptr 0
		.amdhsa_user_sgpr_queue_ptr 0
		.amdhsa_user_sgpr_kernarg_segment_ptr 1
		.amdhsa_user_sgpr_dispatch_id 0
		.amdhsa_user_sgpr_flat_scratch_init 0
		.amdhsa_user_sgpr_kernarg_preload_length 0
		.amdhsa_user_sgpr_kernarg_preload_offset 0
		.amdhsa_user_sgpr_private_segment_size 0
		.amdhsa_uses_dynamic_stack 0
		.amdhsa_system_sgpr_private_segment_wavefront_offset 0
		.amdhsa_system_sgpr_workgroup_id_x 1
		.amdhsa_system_sgpr_workgroup_id_y 1
		.amdhsa_system_sgpr_workgroup_id_z 1
		.amdhsa_system_sgpr_workgroup_info 0
		.amdhsa_system_vgpr_workitem_id 0
		.amdhsa_next_free_vgpr 49
		.amdhsa_next_free_sgpr 42
		.amdhsa_accum_offset 52
		.amdhsa_reserve_vcc 1
		.amdhsa_reserve_flat_scratch 0
		.amdhsa_float_round_mode_32 0
		.amdhsa_float_round_mode_16_64 0
		.amdhsa_float_denorm_mode_32 3
		.amdhsa_float_denorm_mode_16_64 3
		.amdhsa_dx10_clamp 1
		.amdhsa_ieee_mode 1
		.amdhsa_fp16_overflow 0
		.amdhsa_tg_split 0
		.amdhsa_exception_fp_ieee_invalid_op 0
		.amdhsa_exception_fp_denorm_src 0
		.amdhsa_exception_fp_ieee_div_zero 0
		.amdhsa_exception_fp_ieee_overflow 0
		.amdhsa_exception_fp_ieee_underflow 0
		.amdhsa_exception_fp_ieee_inexact 0
		.amdhsa_exception_int_div_zero 0
	.end_amdhsa_kernel
	.section	.text._ZN4vllm25paged_attention_v2_kernelIttLi128ELi8ELi128ELNS_18Fp8KVCacheDataTypeE0ELb0ELi512EEEvPfS2_PT_PKS3_PKT0_S9_ifPKiSB_iPKfiiiSD_SD_iiiii,"axG",@progbits,_ZN4vllm25paged_attention_v2_kernelIttLi128ELi8ELi128ELNS_18Fp8KVCacheDataTypeE0ELb0ELi512EEEvPfS2_PT_PKS3_PKT0_S9_ifPKiSB_iPKfiiiSD_SD_iiiii,comdat
.Lfunc_end87:
	.size	_ZN4vllm25paged_attention_v2_kernelIttLi128ELi8ELi128ELNS_18Fp8KVCacheDataTypeE0ELb0ELi512EEEvPfS2_PT_PKS3_PKT0_S9_ifPKiSB_iPKfiiiSD_SD_iiiii, .Lfunc_end87-_ZN4vllm25paged_attention_v2_kernelIttLi128ELi8ELi128ELNS_18Fp8KVCacheDataTypeE0ELb0ELi512EEEvPfS2_PT_PKS3_PKT0_S9_ifPKiSB_iPKfiiiSD_SD_iiiii
                                        ; -- End function
	.section	.AMDGPU.csdata,"",@progbits
; Kernel info:
; codeLenInByte = 4512
; NumSgprs: 46
; NumVgprs: 49
; NumAgprs: 0
; TotalNumVgprs: 49
; ScratchSize: 0
; MemoryBound: 0
; FloatMode: 240
; IeeeMode: 1
; LDSByteSize: 272 bytes/workgroup (compile time only)
; SGPRBlocks: 5
; VGPRBlocks: 6
; NumSGPRsForWavesPerEU: 46
; NumVGPRsForWavesPerEU: 49
; AccumOffset: 52
; Occupancy: 8
; WaveLimiterHint : 1
; COMPUTE_PGM_RSRC2:SCRATCH_EN: 0
; COMPUTE_PGM_RSRC2:USER_SGPR: 6
; COMPUTE_PGM_RSRC2:TRAP_HANDLER: 0
; COMPUTE_PGM_RSRC2:TGID_X_EN: 1
; COMPUTE_PGM_RSRC2:TGID_Y_EN: 1
; COMPUTE_PGM_RSRC2:TGID_Z_EN: 1
; COMPUTE_PGM_RSRC2:TIDIG_COMP_CNT: 0
; COMPUTE_PGM_RSRC3_GFX90A:ACCUM_OFFSET: 12
; COMPUTE_PGM_RSRC3_GFX90A:TG_SPLIT: 0
	.section	.text._ZN4vllm25paged_attention_v2_kernelIttLi192ELi8ELi128ELNS_18Fp8KVCacheDataTypeE0ELb0ELi512EEEvPfS2_PT_PKS3_PKT0_S9_ifPKiSB_iPKfiiiSD_SD_iiiii,"axG",@progbits,_ZN4vllm25paged_attention_v2_kernelIttLi192ELi8ELi128ELNS_18Fp8KVCacheDataTypeE0ELb0ELi512EEEvPfS2_PT_PKS3_PKT0_S9_ifPKiSB_iPKfiiiSD_SD_iiiii,comdat
	.protected	_ZN4vllm25paged_attention_v2_kernelIttLi192ELi8ELi128ELNS_18Fp8KVCacheDataTypeE0ELb0ELi512EEEvPfS2_PT_PKS3_PKT0_S9_ifPKiSB_iPKfiiiSD_SD_iiiii ; -- Begin function _ZN4vllm25paged_attention_v2_kernelIttLi192ELi8ELi128ELNS_18Fp8KVCacheDataTypeE0ELb0ELi512EEEvPfS2_PT_PKS3_PKT0_S9_ifPKiSB_iPKfiiiSD_SD_iiiii
	.globl	_ZN4vllm25paged_attention_v2_kernelIttLi192ELi8ELi128ELNS_18Fp8KVCacheDataTypeE0ELb0ELi512EEEvPfS2_PT_PKS3_PKT0_S9_ifPKiSB_iPKfiiiSD_SD_iiiii
	.p2align	8
	.type	_ZN4vllm25paged_attention_v2_kernelIttLi192ELi8ELi128ELNS_18Fp8KVCacheDataTypeE0ELb0ELi512EEEvPfS2_PT_PKS3_PKT0_S9_ifPKiSB_iPKfiiiSD_SD_iiiii,@function
_ZN4vllm25paged_attention_v2_kernelIttLi192ELi8ELi128ELNS_18Fp8KVCacheDataTypeE0ELb0ELi512EEEvPfS2_PT_PKS3_PKT0_S9_ifPKiSB_iPKfiiiSD_SD_iiiii: ; @_ZN4vllm25paged_attention_v2_kernelIttLi192ELi8ELi128ELNS_18Fp8KVCacheDataTypeE0ELb0ELi512EEEvPfS2_PT_PKS3_PKT0_S9_ifPKiSB_iPKfiiiSD_SD_iiiii
; %bb.0:
	s_load_dwordx2 s[0:1], s[4:5], 0x40
	s_mov_b32 s28, s7
	s_ashr_i32 s29, s7, 31
	s_lshl_b64 s[2:3], s[28:29], 2
	s_waitcnt lgkmcnt(0)
	s_add_u32 s0, s0, s2
	s_addc_u32 s1, s1, s3
	s_load_dword s33, s[0:1], 0x0
	s_lshl_b32 s40, s8, 9
	s_waitcnt lgkmcnt(0)
	s_cmp_ge_i32 s40, s33
	s_cbranch_scc1 .LBB88_57
; %bb.1:
	s_load_dword s9, s[4:5], 0x90
	s_load_dwordx2 s[10:11], s[4:5], 0x30
	s_waitcnt lgkmcnt(0)
	s_abs_i32 s2, s9
	s_abs_i32 s0, s10
	v_cvt_f32_u32_e32 v1, s0
	s_sub_i32 s3, 0, s0
	s_xor_b32 s1, s9, s10
	s_ashr_i32 s1, s1, 31
	v_rcp_iflag_f32_e32 v1, v1
	v_mul_f32_e32 v1, 0x4f7ffffe, v1
	v_cvt_u32_f32_e32 v1, v1
	v_readfirstlane_b32 s7, v1
	s_mul_i32 s3, s3, s7
	s_mul_hi_u32 s3, s7, s3
	s_add_i32 s7, s7, s3
	s_mul_hi_u32 s3, s2, s7
	s_mul_i32 s7, s3, s0
	s_sub_i32 s2, s2, s7
	s_add_i32 s10, s3, 1
	s_sub_i32 s7, s2, s0
	s_cmp_ge_u32 s2, s0
	s_cselect_b32 s3, s10, s3
	s_cselect_b32 s2, s7, s2
	s_add_i32 s7, s3, 1
	s_cmp_ge_u32 s2, s0
	s_cselect_b32 s0, s7, s3
	s_xor_b32 s0, s0, s1
	s_sub_i32 s36, s0, s1
	s_abs_i32 s34, s36
	v_cvt_f32_u32_e32 v1, s34
	s_load_dwordx2 s[0:1], s[4:5], 0x50
	s_sub_i32 s2, 0, s34
	s_abs_i32 s35, s6
	v_rcp_iflag_f32_e32 v1, v1
	s_mov_b32 s10, 0
	v_mul_f32_e32 v1, 0x4f7ffffe, v1
	v_cvt_u32_f32_e32 v1, v1
	v_readfirstlane_b32 s3, v1
	s_mul_i32 s2, s2, s3
	s_mul_hi_u32 s2, s3, s2
	s_add_i32 s2, s3, s2
	s_waitcnt lgkmcnt(0)
	s_cmp_eq_u64 s[0:1], 0
	s_cbranch_scc1 .LBB88_3
; %bb.2:
	s_ashr_i32 s7, s6, 31
	s_lshl_b64 s[12:13], s[6:7], 2
	s_add_u32 s0, s0, s12
	s_addc_u32 s1, s1, s13
	s_load_dword s10, s[0:1], 0x0
.LBB88_3:
	s_load_dwordx4 s[20:23], s[4:5], 0x0
	s_load_dwordx2 s[24:25], s[4:5], 0x10
	s_load_dwordx4 s[12:15], s[4:5], 0x20
	s_load_dwordx2 s[30:31], s[4:5], 0x38
	s_load_dword s29, s[4:5], 0x98
	s_load_dwordx4 s[16:19], s[4:5], 0x58
	v_and_b32_e32 v12, 7, v0
	s_movk_i32 s0, 0xc0
	s_mul_i32 s26, s6, 0xc0
	s_mul_hi_u32 s37, s35, s2
	s_ashr_i32 s27, s26, 31
	v_cmp_gt_u32_e32 vcc, s0, v0
	v_lshlrev_b32_e32 v9, 1, v12
	s_and_saveexec_b64 s[0:1], vcc
	s_cbranch_execz .LBB88_6
; %bb.4:
	s_load_dwordx2 s[2:3], s[4:5], 0x18
	s_waitcnt lgkmcnt(0)
	s_mul_i32 s38, s28, s16
	s_ashr_i32 s39, s38, 31
	s_lshl_b64 s[38:39], s[38:39], 1
	s_lshl_b64 s[42:43], s[26:27], 1
	s_add_u32 s7, s38, s42
	s_addc_u32 s16, s39, s43
	v_lshrrev_b32_e32 v2, 3, v0
	s_add_u32 s2, s2, s7
	v_add_u32_e32 v1, -16, v2
	v_lshlrev_b32_e32 v3, 1, v2
	v_lshl_or_b32 v2, v2, 4, v9
	s_addc_u32 s3, s3, s16
	v_mad_u32_u24 v4, v12, 48, v3
	v_mov_b32_e32 v3, s3
	v_add_co_u32_e32 v2, vcc, s2, v2
	v_addc_co_u32_e32 v3, vcc, 0, v3, vcc
	s_mov_b64 s[2:3], 0
.LBB88_5:                               ; =>This Inner Loop Header: Depth=1
	global_load_ushort v5, v[2:3], off
	v_add_co_u32_e32 v2, vcc, 0x100, v2
	v_add_u32_e32 v1, 16, v1
	v_addc_co_u32_e32 v3, vcc, 0, v3, vcc
	v_cmp_lt_u32_e32 vcc, 7, v1
	s_or_b64 s[2:3], vcc, s[2:3]
	s_waitcnt vmcnt(0)
	ds_write_b16 v4, v5
	v_add_u32_e32 v4, 32, v4
	s_andn2_b64 exec, exec, s[2:3]
	s_cbranch_execnz .LBB88_5
.LBB88_6:
	s_or_b64 exec, exec, s[0:1]
	s_add_i32 s2, s33, 7
	s_ashr_i32 s3, s2, 31
	s_ashr_i32 s0, s6, 31
	;; [unrolled: 1-line block ×3, first 2 shown]
	s_lshr_b32 s3, s3, 29
	s_add_i32 s2, s2, s3
	s_lshl_b32 s27, s8, 6
	s_xor_b32 s0, s0, s1
	s_mul_i32 s1, s37, s34
	s_ashr_i32 s7, s2, 3
	s_add_i32 s2, s27, 64
	s_sub_i32 s1, s35, s1
	s_waitcnt lgkmcnt(0)
	s_min_i32 s16, s2, s7
	s_add_i32 s2, s37, 1
	s_sub_i32 s3, s1, s34
	s_cmp_ge_u32 s1, s34
	s_cselect_b32 s2, s2, s37
	s_cselect_b32 s1, s3, s1
	s_add_i32 s3, s2, 1
	s_cmp_ge_u32 s1, s34
	s_cselect_b32 s1, s3, s2
	s_load_dword s2, s[4:5], 0x48
	v_lshrrev_b32_e32 v1, 6, v0
	s_xor_b32 s1, s1, s0
	v_or_b32_e32 v6, s27, v1
	s_sub_i32 s4, s1, s0
	s_waitcnt lgkmcnt(0)
	s_mul_i32 s34, s28, s2
	s_ashr_i32 s35, s34, 31
	v_cmp_gt_i32_e64 s[0:1], s16, v6
	v_cmp_le_i32_e32 vcc, s16, v6
	v_mbcnt_lo_u32_b32 v14, -1, 0
	s_barrier
	s_waitcnt lgkmcnt(0)
                                        ; implicit-def: $sgpr5
                                        ; implicit-def: $vgpr4
                                        ; implicit-def: $vgpr5
	s_and_saveexec_b64 s[2:3], vcc
	s_xor_b64 s[2:3], exec, s[2:3]
; %bb.7:
	v_mbcnt_hi_u32_b32 v4, -1, v14
	v_and_b32_e32 v2, 64, v4
	v_add_u32_e32 v5, 64, v2
	s_mov_b32 s5, 0xff7fffff
                                        ; implicit-def: $vgpr9
                                        ; implicit-def: $vgpr12
                                        ; implicit-def: $vgpr14
; %bb.8:
	s_or_saveexec_b64 s[36:37], s[2:3]
	v_mov_b32_e32 v8, s5
	s_mul_i32 s18, s4, s18
	v_ashrrev_i32_e32 v7, 31, v6
	s_xor_b64 exec, exec, s[36:37]
	s_cbranch_execz .LBB88_14
; %bb.9:
	s_ashr_i32 s19, s18, 31
	s_lshl_b64 s[2:3], s[18:19], 1
	v_bfe_u32 v2, v0, 3, 3
	s_add_u32 s2, s12, s2
	s_addc_u32 s3, s13, s3
	v_lshlrev_b32_e32 v3, 4, v2
	v_mov_b32_e32 v4, s3
	v_add_co_u32_e32 v3, vcc, s2, v3
	v_addc_co_u32_e32 v4, vcc, 0, v4, vcc
	v_add_co_u32_e32 v9, vcc, v3, v9
	v_addc_co_u32_e32 v10, vcc, 0, v4, vcc
	v_lshlrev_b32_e32 v3, 3, v1
	v_mul_u32_u24_e32 v11, 48, v12
	v_cmp_eq_u32_e32 vcc, 0, v12
	s_sub_i32 s19, 1, s33
	v_add3_u32 v12, s40, v3, v2
	v_lshlrev_b32_e32 v2, 2, v2
	s_lshl_b64 s[4:5], s[34:35], 2
	v_lshl_or_b32 v2, v1, 5, v2
	s_add_u32 s4, s30, s4
	v_add_u32_e32 v13, 0x190, v2
	v_lshlrev_b64 v[2:3], 2, v[6:7]
	s_addc_u32 s5, s31, s5
	v_mov_b32_e32 v4, s5
	v_add_co_u32_e64 v2, s[4:5], s4, v2
	v_addc_co_u32_e64 v3, s[4:5], v4, v3, s[4:5]
	v_mbcnt_hi_u32_b32 v4, -1, v14
	v_and_b32_e32 v5, 64, v4
	s_mov_b32 s41, s17
	v_cmp_neq_f32_e64 s[2:3], s10, 0
	s_mov_b64 s[12:13], 0
	v_mov_b32_e32 v8, 0xff7fffff
	v_add_u32_e32 v5, 64, v5
	v_xor_b32_e32 v14, 4, v4
	v_xor_b32_e32 v15, 2, v4
	;; [unrolled: 1-line block ×3, first 2 shown]
	v_mov_b32_e32 v17, v6
	s_branch .LBB88_11
.LBB88_10:                              ;   in Loop: Header=BB88_11 Depth=1
	s_or_b64 exec, exec, s[38:39]
	v_add_u32_e32 v17, 2, v17
	v_cmp_le_i32_e64 s[4:5], s16, v17
	s_or_b64 s[12:13], s[4:5], s[12:13]
	v_add_co_u32_e64 v2, s[4:5], 8, v2
	v_add_u32_e32 v12, 16, v12
	v_add_u32_e32 v13, 64, v13
	v_addc_co_u32_e64 v3, s[4:5], 0, v3, s[4:5]
	s_andn2_b64 exec, exec, s[12:13]
	s_cbranch_execz .LBB88_13
.LBB88_11:                              ; =>This Inner Loop Header: Depth=1
	global_load_dword v18, v[2:3], off
	s_waitcnt vmcnt(0) lgkmcnt(0)
	v_mad_i64_i32 v[18:19], s[4:5], v18, s41, 0
	v_lshlrev_b64 v[18:19], 1, v[18:19]
	v_add_co_u32_e64 v18, s[4:5], v9, v18
	v_addc_co_u32_e64 v19, s[4:5], v10, v19, s[4:5]
	global_load_ushort v20, v[18:19], off
	global_load_ushort v21, v[18:19], off offset:128
	global_load_ushort v22, v[18:19], off offset:256
	;; [unrolled: 1-line block ×9, first 2 shown]
	ds_read_u16 v30, v11
	global_load_ushort v31, v[18:19], off offset:1280
	global_load_ushort v32, v[18:19], off offset:1408
	;; [unrolled: 1-line block ×14, first 2 shown]
	s_waitcnt lgkmcnt(0)
	;;#ASMSTART
	v_cvt_f32_f16 v18, v30;
	;;#ASMEND
	v_cmp_lt_i32_e64 s[4:5], v14, v5
	v_cndmask_b32_e64 v60, v4, v14, s[4:5]
	v_lshlrev_b32_e32 v60, 2, v60
	v_cmp_lt_i32_e64 s[4:5], v15, v5
	s_waitcnt vmcnt(23)
	;;#ASMSTART
	v_cvt_f32_f16 v19, v20;
	;;#ASMEND
	ds_read_u16 v20, v11 offset:2
	s_waitcnt lgkmcnt(0)
	;;#ASMSTART
	v_cvt_f32_f16 v20, v20;
	;;#ASMEND
	s_waitcnt vmcnt(22)
	;;#ASMSTART
	v_cvt_f32_f16 v21, v21;
	;;#ASMEND
	v_mul_f32_e32 v20, v20, v21
	ds_read_u16 v30, v11 offset:4
	v_fmac_f32_e32 v20, v18, v19
	s_waitcnt lgkmcnt(0)
	;;#ASMSTART
	v_cvt_f32_f16 v30, v30;
	;;#ASMEND
	s_waitcnt vmcnt(21)
	;;#ASMSTART
	v_cvt_f32_f16 v22, v22;
	;;#ASMEND
	ds_read_u16 v45, v11 offset:6
	v_fmac_f32_e32 v20, v30, v22
	s_waitcnt lgkmcnt(0)
	;;#ASMSTART
	v_cvt_f32_f16 v45, v45;
	;;#ASMEND
	s_waitcnt vmcnt(20)
	;;#ASMSTART
	v_cvt_f32_f16 v23, v23;
	;;#ASMEND
	;; [unrolled: 10-line block ×16, first 2 shown]
	v_fmac_f32_e32 v20, v59, v38
	ds_read_u16 v61, v11 offset:36
	s_waitcnt lgkmcnt(0)
	;;#ASMSTART
	v_cvt_f32_f16 v18, v61;
	;;#ASMEND
	s_waitcnt vmcnt(5)
	;;#ASMSTART
	v_cvt_f32_f16 v19, v39;
	;;#ASMEND
	ds_read_u16 v21, v11 offset:38
	v_fmac_f32_e32 v20, v18, v19
	s_waitcnt lgkmcnt(0)
	;;#ASMSTART
	v_cvt_f32_f16 v21, v21;
	;;#ASMEND
	s_waitcnt vmcnt(4)
	;;#ASMSTART
	v_cvt_f32_f16 v22, v40;
	;;#ASMEND
	ds_read_u16 v23, v11 offset:40
	v_fmac_f32_e32 v20, v21, v22
	;; [unrolled: 10-line block ×3, first 2 shown]
	s_waitcnt lgkmcnt(0)
	;;#ASMSTART
	v_cvt_f32_f16 v25, v25;
	;;#ASMEND
	s_waitcnt vmcnt(2)
	;;#ASMSTART
	v_cvt_f32_f16 v26, v42;
	;;#ASMEND
	v_fmac_f32_e32 v20, v25, v26
	ds_read_u16 v27, v11 offset:44
	s_waitcnt lgkmcnt(0)
	;;#ASMSTART
	v_cvt_f32_f16 v18, v27;
	;;#ASMEND
	s_waitcnt vmcnt(1)
	;;#ASMSTART
	v_cvt_f32_f16 v19, v43;
	;;#ASMEND
	v_fmac_f32_e32 v20, v18, v19
	ds_read_u16 v27, v11 offset:46
	s_waitcnt lgkmcnt(0)
	;;#ASMSTART
	v_cvt_f32_f16 v18, v27;
	;;#ASMEND
	s_waitcnt vmcnt(0)
	;;#ASMSTART
	v_cvt_f32_f16 v19, v44;
	;;#ASMEND
	v_fmac_f32_e32 v20, v18, v19
	ds_bpermute_b32 v18, v60, v20
	v_cndmask_b32_e64 v19, v4, v15, s[4:5]
	v_lshlrev_b32_e32 v19, 2, v19
	v_cmp_lt_i32_e64 s[4:5], v16, v5
	s_waitcnt lgkmcnt(0)
	v_add_f32_e32 v18, v20, v18
	ds_bpermute_b32 v19, v19, v18
	v_cndmask_b32_e64 v20, v4, v16, s[4:5]
	s_waitcnt lgkmcnt(0)
	v_add_f32_e32 v18, v18, v19
	v_lshlrev_b32_e32 v19, 2, v20
	ds_bpermute_b32 v19, v19, v18
	s_and_saveexec_b64 s[38:39], vcc
	s_cbranch_execz .LBB88_10
; %bb.12:                               ;   in Loop: Header=BB88_11 Depth=1
	v_add_u32_e32 v20, s19, v12
	v_cvt_f32_i32_e32 v20, v20
	s_waitcnt lgkmcnt(0)
	v_add_f32_e32 v18, v18, v19
	v_cmp_gt_i32_e64 s[4:5], s33, v12
	v_max_f32_e32 v19, v8, v8
	v_mul_f32_e32 v20, s10, v20
	v_cndmask_b32_e64 v20, 0, v20, s[2:3]
	v_fmac_f32_e32 v20, s11, v18
	v_cndmask_b32_e64 v18, 0, v20, s[4:5]
	ds_write_b32 v13, v18
	v_max_f32_e32 v18, v19, v20
	v_cndmask_b32_e64 v8, v8, v18, s[4:5]
	s_branch .LBB88_10
.LBB88_13:
	s_or_b64 exec, exec, s[12:13]
.LBB88_14:
	s_or_b64 exec, exec, s[36:37]
	v_xor_b32_e32 v2, 32, v4
	v_cmp_lt_i32_e32 vcc, v2, v5
	v_cndmask_b32_e32 v2, v4, v2, vcc
	v_lshlrev_b32_e32 v3, 2, v2
	ds_bpermute_b32 v2, v3, v8
	v_xor_b32_e32 v9, 16, v4
	v_max_f32_e32 v8, v8, v8
	v_cmp_lt_i32_e32 vcc, v9, v5
	v_and_b32_e32 v14, 63, v0
	s_waitcnt lgkmcnt(0)
	v_max_f32_e32 v2, v2, v2
	v_max_f32_e32 v2, v8, v2
	v_cndmask_b32_e32 v8, v4, v9, vcc
	v_lshlrev_b32_e32 v10, 2, v8
	ds_bpermute_b32 v8, v10, v2
	v_xor_b32_e32 v9, 8, v4
	v_cmp_lt_i32_e32 vcc, v9, v5
	s_waitcnt lgkmcnt(0)
	v_max_f32_e32 v8, v8, v8
	v_max_f32_e32 v8, v2, v8
	v_cndmask_b32_e32 v2, v4, v9, vcc
	v_lshlrev_b32_e32 v11, 2, v2
	ds_bpermute_b32 v9, v11, v8
	v_cmp_eq_u32_e32 vcc, 0, v14
	v_lshlrev_b32_e32 v2, 2, v1
	s_and_saveexec_b64 s[2:3], vcc
	s_cbranch_execz .LBB88_16
; %bb.15:
	s_waitcnt lgkmcnt(0)
	v_max_f32_e32 v9, v9, v9
	v_max_f32_e32 v8, v8, v8
	;; [unrolled: 1-line block ×3, first 2 shown]
	ds_write_b32 v2, v8 offset:384
.LBB88_16:
	s_or_b64 exec, exec, s[2:3]
	v_cmp_gt_u32_e64 s[2:3], 2, v14
	v_mov_b32_e32 v8, 0xff7fffff
	s_waitcnt lgkmcnt(0)
	v_lshlrev_b32_e32 v9, 2, v14
	s_barrier
	s_and_saveexec_b64 s[4:5], s[2:3]
	s_cbranch_execz .LBB88_18
; %bb.17:
	ds_read_b32 v8, v9 offset:384
.LBB88_18:
	s_or_b64 exec, exec, s[4:5]
	v_xor_b32_e32 v12, 1, v4
	v_cmp_lt_i32_e64 s[4:5], v12, v5
	v_cndmask_b32_e64 v12, v4, v12, s[4:5]
	v_lshlrev_b32_e32 v12, 2, v12
	s_waitcnt lgkmcnt(0)
	ds_bpermute_b32 v13, v12, v8
	v_max_f32_e32 v8, v8, v8
	s_sub_i32 s4, s16, s27
	s_lshl_b32 s4, s4, 3
	s_add_i32 s4, s4, s40
	s_waitcnt lgkmcnt(0)
	v_max_f32_e32 v13, v13, v13
	v_max_f32_e32 v8, v8, v13
	v_lshlrev_b32_e32 v13, 2, v4
	v_and_b32_e32 v13, 0xffffff00, v13
	ds_bpermute_b32 v8, v13, v8
	s_min_i32 s27, s4, s33
	s_sub_i32 s19, s27, s40
	v_cmp_gt_i32_e64 s[4:5], s19, v0
	v_mov_b32_e32 v15, 0
	s_and_saveexec_b64 s[12:13], s[4:5]
	s_cbranch_execz .LBB88_22
; %bb.19:
	v_mov_b32_e32 v15, 0x190
	v_lshl_add_u32 v16, v0, 2, v15
	s_mov_b64 s[36:37], 0
	v_mov_b32_e32 v15, 0
	v_mov_b32_e32 v17, v0
.LBB88_20:                              ; =>This Inner Loop Header: Depth=1
	ds_read_b32 v18, v16
	v_add_u32_e32 v17, 0x80, v17
	v_cmp_le_i32_e64 s[10:11], s19, v17
	s_or_b64 s[36:37], s[10:11], s[36:37]
	s_waitcnt lgkmcnt(0)
	v_sub_f32_e32 v18, v18, v8
	v_mul_f32_e32 v18, 0x3fb8aa3b, v18
	v_exp_f32_e32 v18, v18
	ds_write_b32 v16, v18
	v_add_f32_e32 v15, v15, v18
	v_add_u32_e32 v16, 0x200, v16
	s_andn2_b64 exec, exec, s[36:37]
	s_cbranch_execnz .LBB88_20
; %bb.21:
	s_or_b64 exec, exec, s[36:37]
.LBB88_22:
	s_or_b64 exec, exec, s[12:13]
	ds_bpermute_b32 v3, v3, v15
	s_waitcnt lgkmcnt(0)
	v_add_f32_e32 v3, v15, v3
	ds_bpermute_b32 v10, v10, v3
	s_waitcnt lgkmcnt(0)
	v_add_f32_e32 v3, v3, v10
	ds_bpermute_b32 v10, v11, v3
	v_xor_b32_e32 v11, 4, v4
	v_cmp_lt_i32_e64 s[10:11], v11, v5
	v_cndmask_b32_e64 v11, v4, v11, s[10:11]
	v_lshlrev_b32_e32 v11, 2, v11
	s_waitcnt lgkmcnt(0)
	v_add_f32_e32 v3, v3, v10
	ds_bpermute_b32 v10, v11, v3
	v_xor_b32_e32 v11, 2, v4
	v_cmp_lt_i32_e64 s[10:11], v11, v5
	v_cndmask_b32_e64 v4, v4, v11, s[10:11]
	v_lshlrev_b32_e32 v4, 2, v4
	s_waitcnt lgkmcnt(0)
	v_add_f32_e32 v3, v3, v10
	ds_bpermute_b32 v4, v4, v3
	s_waitcnt lgkmcnt(0)
	v_add_f32_e32 v3, v3, v4
	ds_bpermute_b32 v4, v12, v3
	s_waitcnt lgkmcnt(0)
	v_add_f32_e32 v3, v3, v4
	s_and_saveexec_b64 s[10:11], vcc
	s_cbranch_execz .LBB88_24
; %bb.23:
	ds_write_b32 v2, v3 offset:392
.LBB88_24:
	s_or_b64 exec, exec, s[10:11]
	s_waitcnt lgkmcnt(0)
	s_barrier
	s_and_saveexec_b64 s[10:11], s[2:3]
	s_cbranch_execz .LBB88_26
; %bb.25:
	ds_read_b32 v3, v9 offset:392
.LBB88_26:
	s_or_b64 exec, exec, s[10:11]
	s_waitcnt lgkmcnt(0)
	ds_bpermute_b32 v2, v12, v3
	s_waitcnt lgkmcnt(0)
	v_add_f32_e32 v2, v3, v2
	ds_bpermute_b32 v4, v13, v2
	s_and_saveexec_b64 s[2:3], s[4:5]
	s_cbranch_execz .LBB88_39
; %bb.27:
	s_waitcnt lgkmcnt(0)
	v_add_f32_e32 v2, 0x358637bd, v4
	v_div_scale_f32 v3, s[4:5], v2, v2, 1.0
	v_rcp_f32_e32 v5, v3
	v_div_scale_f32 v9, vcc, 1.0, v2, 1.0
	s_movk_i32 s4, 0x7f
	v_fma_f32 v10, -v3, v5, 1.0
	v_fmac_f32_e32 v5, v10, v5
	v_mul_f32_e32 v10, v9, v5
	v_fma_f32 v11, -v3, v10, v9
	v_fmac_f32_e32 v10, v11, v5
	v_fma_f32 v3, -v3, v10, v9
	v_div_fmas_f32 v3, v3, v5, v10
	v_div_fixup_f32 v2, v3, v2, 1.0
	v_xad_u32 v3, v0, -1, s27
	v_subrev_u32_e32 v5, s40, v3
	v_cmp_lt_u32_e32 vcc, s4, v5
	s_mov_b64 s[10:11], -1
	v_mov_b32_e32 v3, v0
	s_and_saveexec_b64 s[4:5], vcc
	s_cbranch_execz .LBB88_36
; %bb.28:
	v_lshrrev_b32_e32 v5, 7, v5
	v_add_u32_e32 v10, -1, v5
	v_lshrrev_b32_e32 v9, 1, v10
	v_mov_b32_e32 v3, v2
	v_add_u32_e32 v9, 1, v9
	v_cmp_lt_u32_e32 vcc, 13, v10
	v_mov_b32_e32 v12, 0
	s_and_saveexec_b64 s[10:11], vcc
	s_cbranch_execz .LBB88_32
; %bb.29:
	v_mov_b32_e32 v11, 0x190
	v_and_b32_e32 v10, -8, v9
	v_lshl_add_u32 v11, v0, 2, v11
	s_mov_b32 s27, 0
	s_mov_b64 s[12:13], 0
.LBB88_30:                              ; =>This Inner Loop Header: Depth=1
	ds_read2st64_b32 v[12:13], v11 offset1:2
	ds_read2st64_b32 v[16:17], v11 offset0:4 offset1:6
	ds_read2st64_b32 v[18:19], v11 offset0:8 offset1:10
	;; [unrolled: 1-line block ×3, first 2 shown]
	v_add_u32_e32 v10, -8, v10
	s_waitcnt lgkmcnt(3)
	v_pk_mul_f32 v[12:13], v[2:3], v[12:13]
	s_waitcnt lgkmcnt(2)
	v_pk_mul_f32 v[16:17], v[2:3], v[16:17]
	ds_write2st64_b32 v11, v12, v13 offset1:2
	ds_write2st64_b32 v11, v16, v17 offset0:4 offset1:6
	ds_read2st64_b32 v[16:17], v11 offset0:16 offset1:18
	s_waitcnt lgkmcnt(4)
	v_pk_mul_f32 v[12:13], v[2:3], v[18:19]
	ds_write2st64_b32 v11, v12, v13 offset0:8 offset1:10
	s_waitcnt lgkmcnt(4)
	v_pk_mul_f32 v[12:13], v[2:3], v[20:21]
	ds_write2st64_b32 v11, v12, v13 offset0:12 offset1:14
	ds_read2st64_b32 v[12:13], v11 offset0:20 offset1:22
	s_waitcnt lgkmcnt(3)
	v_pk_mul_f32 v[16:17], v[2:3], v[16:17]
	ds_read2st64_b32 v[18:19], v11 offset0:24 offset1:26
	ds_write2st64_b32 v11, v16, v17 offset0:16 offset1:18
	ds_read2st64_b32 v[16:17], v11 offset0:28 offset1:30
	s_waitcnt lgkmcnt(3)
	v_pk_mul_f32 v[12:13], v[2:3], v[12:13]
	ds_write2st64_b32 v11, v12, v13 offset0:20 offset1:22
	s_waitcnt lgkmcnt(3)
	v_pk_mul_f32 v[12:13], v[2:3], v[18:19]
	ds_write2st64_b32 v11, v12, v13 offset0:24 offset1:26
	s_waitcnt lgkmcnt(2)
	v_pk_mul_f32 v[12:13], v[2:3], v[16:17]
	s_add_i32 s27, s27, 16
	v_cmp_eq_u32_e32 vcc, 0, v10
	ds_write2st64_b32 v11, v12, v13 offset0:28 offset1:30
	v_add_u32_e32 v11, 0x2000, v11
	s_or_b64 s[12:13], vcc, s[12:13]
	v_mov_b32_e32 v12, s27
	s_andn2_b64 exec, exec, s[12:13]
	s_cbranch_execnz .LBB88_30
; %bb.31:
	s_or_b64 exec, exec, s[12:13]
.LBB88_32:
	s_or_b64 exec, exec, s[10:11]
	v_and_b32_e32 v9, 7, v9
	v_cmp_ne_u32_e32 vcc, 0, v9
	s_and_saveexec_b64 s[10:11], vcc
	s_cbranch_execz .LBB88_35
; %bb.33:
	v_lshlrev_b32_e32 v10, 9, v12
	v_lshlrev_b32_e32 v11, 2, v0
	s_movk_i32 s12, 0x190
	v_add3_u32 v10, v10, v11, s12
	s_mov_b64 s[12:13], 0
.LBB88_34:                              ; =>This Inner Loop Header: Depth=1
	ds_read2st64_b32 v[12:13], v10 offset1:2
	v_add_u32_e32 v9, -1, v9
	v_cmp_eq_u32_e32 vcc, 0, v9
	s_or_b64 s[12:13], vcc, s[12:13]
	s_waitcnt lgkmcnt(0)
	v_pk_mul_f32 v[12:13], v[2:3], v[12:13]
	ds_write2st64_b32 v10, v12, v13 offset1:2
	v_add_u32_e32 v10, 0x400, v10
	s_andn2_b64 exec, exec, s[12:13]
	s_cbranch_execnz .LBB88_34
.LBB88_35:
	s_or_b64 exec, exec, s[10:11]
	v_add_u32_e32 v5, 1, v5
	v_and_b32_e32 v9, 0x3fffffe, v5
	v_cmp_ne_u32_e32 vcc, v5, v9
	v_lshl_add_u32 v3, v9, 7, v0
	s_orn2_b64 s[10:11], vcc, exec
.LBB88_36:
	s_or_b64 exec, exec, s[4:5]
	s_and_b64 exec, exec, s[10:11]
	s_cbranch_execz .LBB88_39
; %bb.37:
	v_mov_b32_e32 v5, 0x190
	v_lshl_add_u32 v5, v3, 2, v5
	s_mov_b64 s[4:5], 0
.LBB88_38:                              ; =>This Inner Loop Header: Depth=1
	ds_read_b32 v9, v5
	v_add_u32_e32 v3, 0x80, v3
	v_cmp_le_i32_e32 vcc, s19, v3
	s_or_b64 s[4:5], vcc, s[4:5]
	s_waitcnt lgkmcnt(0)
	v_mul_f32_e32 v9, v2, v9
	ds_write_b32 v5, v9
	v_add_u32_e32 v5, 0x200, v5
	s_andn2_b64 exec, exec, s[4:5]
	s_cbranch_execnz .LBB88_38
.LBB88_39:
	s_or_b64 exec, exec, s[2:3]
	s_mul_i32 s2, s29, s28
	v_cmp_eq_u32_e32 vcc, 0, v0
	s_mul_i32 s2, s2, s9
	s_waitcnt lgkmcnt(0)
	s_barrier
	s_and_saveexec_b64 s[4:5], vcc
	s_cbranch_execz .LBB88_41
; %bb.40:
	s_ashr_i32 s3, s2, 31
	s_lshl_b64 s[10:11], s[2:3], 2
	s_add_u32 s3, s22, s10
	s_mul_i32 s12, s29, s6
	s_addc_u32 s9, s23, s11
	s_ashr_i32 s13, s12, 31
	s_lshl_b64 s[12:13], s[12:13], 2
	s_add_u32 s3, s3, s12
	s_addc_u32 s6, s9, s13
	s_ashr_i32 s9, s8, 31
	s_lshl_b64 s[22:23], s[8:9], 2
	s_add_u32 s36, s3, s22
	s_addc_u32 s37, s6, s23
	s_add_u32 s3, s20, s10
	s_addc_u32 s6, s21, s11
	;; [unrolled: 2-line block ×3, first 2 shown]
	s_add_u32 s10, s3, s22
	v_mov_b32_e32 v2, 0
	s_addc_u32 s11, s6, s23
	global_store_dword v2, v8, s[36:37]
	global_store_dword v2, v4, s[10:11]
.LBB88_41:
	s_or_b64 exec, exec, s[4:5]
	v_mov_b32_e32 v15, 0
	v_mov_b32_e32 v9, 0
	;; [unrolled: 1-line block ×3, first 2 shown]
	s_and_saveexec_b64 s[4:5], s[0:1]
	s_cbranch_execz .LBB88_51
; %bb.42:
	s_ashr_i32 s19, s18, 31
	s_lshl_b64 s[0:1], s[18:19], 1
	s_add_u32 s0, s14, s0
	s_addc_u32 s1, s15, s1
	v_lshlrev_b32_e32 v2, 4, v14
	s_add_i32 s9, s7, -1
	v_mov_b32_e32 v3, s1
	v_add_co_u32_e32 v16, vcc, s0, v2
	s_lshl_b64 s[0:1], s[34:35], 2
	v_mov_b32_e32 v2, 0x190
	s_add_u32 s0, s30, s0
	v_addc_co_u32_e32 v17, vcc, 0, v3, vcc
	v_lshl_add_u32 v18, v1, 3, s40
	v_lshl_add_u32 v1, v1, 5, v2
	v_lshlrev_b64 v[2:3], 2, v[6:7]
	s_addc_u32 s1, s31, s1
	v_mov_b32_e32 v4, s1
	v_add_co_u32_e32 v10, vcc, s0, v2
	s_mov_b32 s3, s17
	s_mov_b32 s12, s33
	;; [unrolled: 1-line block ×8, first 2 shown]
	v_addc_co_u32_e32 v11, vcc, v4, v3, vcc
	s_mov_b64 s[6:7], 0
	v_mov_b32_e32 v8, 0
	s_mov_b32 s20, 0x5040100
	v_mov_b32_e32 v9, 0
	v_mov_b32_e32 v15, 0
	s_branch .LBB88_44
.LBB88_43:                              ;   in Loop: Header=BB88_44 Depth=1
	s_or_b64 exec, exec, s[0:1]
	s_waitcnt vmcnt(0)
	;;#ASMSTART
	v_pk_mul_f16 v2, v28, v2;

	;;#ASMEND
	;;#ASMSTART
	v_pk_mul_f16 v3, v27, v3;

	;;#ASMEND
	;;#ASMSTART
	v_pk_mul_f16 v4, v26, v4;

	;;#ASMEND
	;;#ASMSTART
	v_pk_mul_f16 v5, v25, v5;

	;;#ASMEND
	;;#ASMSTART
	v_pk_add_f16 v2, v2, v3;

	;;#ASMEND
	;;#ASMSTART
	v_pk_add_f16 v2, v2, v4;

	;;#ASMEND
	;; [unrolled: 4-line block ×3, first 2 shown]
	v_lshrrev_b32_e32 v3, 16, v2
	v_and_b32_e32 v2, 0xffff, v2
	v_add_u32_e32 v6, 2, v6
	v_add_f32_e32 v7, v29, v30
	;;#ASMSTART
	v_cvt_f32_f16 v2, v2;
	;;#ASMEND
	v_cmp_le_i32_e32 vcc, s16, v6
	v_add_f32_e32 v8, v8, v7
	v_add_f32_e32 v7, v31, v32
	;;#ASMSTART
	v_cvt_f32_f16 v3, v3;
	;;#ASMEND
	v_add_f32_e32 v2, v2, v3
	s_or_b64 s[6:7], vcc, s[6:7]
	v_add_co_u32_e32 v10, vcc, 8, v10
	v_add_f32_e32 v9, v9, v7
	v_add_f32_e32 v15, v15, v2
	v_add_u32_e32 v18, 16, v18
	v_add_u32_e32 v1, 64, v1
	v_addc_co_u32_e32 v11, vcc, 0, v11, vcc
	s_andn2_b64 exec, exec, s[6:7]
	s_cbranch_execz .LBB88_50
.LBB88_44:                              ; =>This Inner Loop Header: Depth=1
	global_load_dword v7, v[10:11], off
	ds_read2_b64 v[2:5], v1 offset1:1
	ds_read2_b64 v[20:23], v1 offset0:2 offset1:3
	v_or_b32_e32 v19, 2, v18
	v_or_b32_e32 v24, 7, v18
	s_waitcnt lgkmcnt(1)
	;;#ASMSTART
	v_cvt_f16_f32 v25, v2;

	;;#ASMEND
	;;#ASMSTART
	v_cvt_f16_f32 v26, v3;

	;;#ASMEND
	;;#ASMSTART
	v_cvt_f16_f32 v27, v4;

	;;#ASMEND
	;;#ASMSTART
	v_cvt_f16_f32 v29, v5;

	;;#ASMEND
	s_waitcnt lgkmcnt(0)
	;;#ASMSTART
	v_cvt_f16_f32 v30, v20;

	;;#ASMEND
	;;#ASMSTART
	v_cvt_f16_f32 v31, v21;

	;;#ASMEND
	;; [unrolled: 4-line block ×4, first 2 shown]
	v_or_b32_e32 v20, 3, v18
	v_or_b32_e32 v22, 5, v18
	;; [unrolled: 1-line block ×4, first 2 shown]
	s_waitcnt vmcnt(0)
	v_mad_i64_i32 v[2:3], s[0:1], v7, s3, 0
	v_lshlrev_b64 v[2:3], 1, v[2:3]
	v_add_co_u32_e32 v12, vcc, v16, v2
	v_addc_co_u32_e32 v13, vcc, v17, v3, vcc
	global_load_dwordx4 v[2:5], v[12:13], off
	v_cmp_eq_u32_e32 vcc, s9, v6
	v_add_u32_e32 v7, 1, v18
	s_and_saveexec_b64 s[10:11], vcc
	s_cbranch_execz .LBB88_46
; %bb.45:                               ;   in Loop: Header=BB88_44 Depth=1
	s_waitcnt vmcnt(0)
	v_lshrrev_b32_e32 v28, 16, v5
	v_cmp_gt_i32_e64 s[0:1], s19, v24
	v_cndmask_b32_e64 v28, 0, v28, s[0:1]
	v_cmp_gt_i32_e64 s[0:1], s18, v23
	v_cndmask_b32_e64 v5, 0, v5, s[0:1]
	v_perm_b32 v5, v28, v5, s20
	v_lshrrev_b32_e32 v28, 16, v4
	v_cmp_gt_i32_e64 s[0:1], s17, v22
	v_cndmask_b32_e64 v28, 0, v28, s[0:1]
	v_cmp_gt_i32_e64 s[0:1], s15, v21
	v_cndmask_b32_e64 v4, 0, v4, s[0:1]
	v_perm_b32 v4, v28, v4, s20
	;; [unrolled: 6-line block ×4, first 2 shown]
.LBB88_46:                              ;   in Loop: Header=BB88_44 Depth=1
	s_or_b64 exec, exec, s[10:11]
	v_and_b32_e32 v25, 0xffff, v25
	v_lshl_or_b32 v28, v26, 16, v25
	v_and_b32_e32 v25, 0xffff, v27
	v_lshl_or_b32 v27, v29, 16, v25
	;; [unrolled: 2-line block ×3, first 2 shown]
	v_and_b32_e32 v25, 0xffff, v32
	s_waitcnt vmcnt(0)
	;;#ASMSTART
	v_pk_mul_f16 v2, v28, v2;

	;;#ASMEND
	v_lshl_or_b32 v25, v33, 16, v25
	;;#ASMSTART
	v_pk_mul_f16 v3, v27, v3;

	;;#ASMEND
	;;#ASMSTART
	v_pk_mul_f16 v4, v26, v4;

	;;#ASMEND
	;; [unrolled: 4-line block ×3, first 2 shown]
	;;#ASMSTART
	v_pk_add_f16 v2, v2, v3;

	;;#ASMEND
	;;#ASMSTART
	v_pk_add_f16 v2, v2, v4;

	;;#ASMEND
	;; [unrolled: 4-line block ×3, first 2 shown]
	v_lshrrev_b32_e32 v3, 16, v2
	v_and_b32_e32 v2, 0xffff, v2
	;;#ASMSTART
	v_cvt_f32_f16 v29, v2;
	;;#ASMEND
	;;#ASMSTART
	v_cvt_f32_f16 v30, v3;
	;;#ASMEND
	global_load_dwordx4 v[2:5], v[12:13], off offset:1024
	s_and_saveexec_b64 s[10:11], vcc
	s_cbranch_execz .LBB88_48
; %bb.47:                               ;   in Loop: Header=BB88_44 Depth=1
	s_waitcnt vmcnt(0)
	v_lshrrev_b32_e32 v31, 16, v5
	v_cmp_gt_i32_e64 s[0:1], s19, v24
	v_cndmask_b32_e64 v31, 0, v31, s[0:1]
	v_cmp_gt_i32_e64 s[0:1], s18, v23
	v_cndmask_b32_e64 v5, 0, v5, s[0:1]
	v_perm_b32 v5, v31, v5, s20
	v_lshrrev_b32_e32 v31, 16, v4
	v_cmp_gt_i32_e64 s[0:1], s17, v22
	v_cndmask_b32_e64 v31, 0, v31, s[0:1]
	v_cmp_gt_i32_e64 s[0:1], s15, v21
	v_cndmask_b32_e64 v4, 0, v4, s[0:1]
	v_perm_b32 v4, v31, v4, s20
	;; [unrolled: 6-line block ×4, first 2 shown]
.LBB88_48:                              ;   in Loop: Header=BB88_44 Depth=1
	s_or_b64 exec, exec, s[10:11]
	s_waitcnt vmcnt(0)
	;;#ASMSTART
	v_pk_mul_f16 v2, v28, v2;

	;;#ASMEND
	;;#ASMSTART
	v_pk_mul_f16 v3, v27, v3;

	;;#ASMEND
	;; [unrolled: 4-line block ×4, first 2 shown]
	;;#ASMSTART
	v_pk_add_f16 v2, v2, v3;

	;;#ASMEND
	;;#ASMSTART
	v_pk_add_f16 v2, v2, v4;

	;;#ASMEND
	;; [unrolled: 4-line block ×3, first 2 shown]
	v_lshrrev_b32_e32 v3, 16, v2
	v_and_b32_e32 v2, 0xffff, v2
	;;#ASMSTART
	v_cvt_f32_f16 v31, v2;
	;;#ASMEND
	;;#ASMSTART
	v_cvt_f32_f16 v32, v3;
	;;#ASMEND
	global_load_dwordx4 v[2:5], v[12:13], off offset:2048
	s_and_saveexec_b64 s[0:1], vcc
	s_cbranch_execz .LBB88_43
; %bb.49:                               ;   in Loop: Header=BB88_44 Depth=1
	s_waitcnt vmcnt(0)
	v_lshrrev_b32_e32 v12, 16, v5
	v_cmp_gt_i32_e32 vcc, s19, v24
	v_cndmask_b32_e32 v12, 0, v12, vcc
	v_cmp_gt_i32_e32 vcc, s18, v23
	v_cndmask_b32_e32 v5, 0, v5, vcc
	v_perm_b32 v5, v12, v5, s20
	v_lshrrev_b32_e32 v12, 16, v4
	v_cmp_gt_i32_e32 vcc, s17, v22
	v_cndmask_b32_e32 v12, 0, v12, vcc
	v_cmp_gt_i32_e32 vcc, s15, v21
	v_cndmask_b32_e32 v4, 0, v4, vcc
	v_perm_b32 v4, v12, v4, s20
	;; [unrolled: 6-line block ×4, first 2 shown]
	s_branch .LBB88_43
.LBB88_50:
	s_or_b64 exec, exec, s[6:7]
.LBB88_51:
	s_or_b64 exec, exec, s[4:5]
	v_and_b32_e32 v1, 0x3c0, v0
	v_cmp_eq_u32_e32 vcc, 64, v1
	s_barrier
	s_and_saveexec_b64 s[0:1], vcc
	s_cbranch_execz .LBB88_53
; %bb.52:
	v_mov_b32_e32 v1, 0x190
	v_lshl_add_u32 v2, v14, 2, v1
	v_lshl_add_u32 v1, v0, 2, v1
	ds_write_b32 v2, v8
	ds_write_b32 v1, v9
	ds_write_b32 v2, v15 offset:512
.LBB88_53:
	s_or_b64 exec, exec, s[0:1]
	v_cmp_gt_u32_e32 vcc, 64, v0
	s_waitcnt lgkmcnt(0)
	s_barrier
	s_and_saveexec_b64 s[0:1], vcc
	s_cbranch_execz .LBB88_55
; %bb.54:
	v_mov_b32_e32 v1, 0x190
	v_lshl_add_u32 v1, v0, 2, v1
	ds_read2st64_b32 v[2:3], v1 offset1:1
	ds_read_b32 v1, v1 offset:512
	s_waitcnt lgkmcnt(1)
	v_pk_add_f32 v[8:9], v[8:9], v[2:3]
	s_waitcnt lgkmcnt(0)
	v_add_f32_e32 v15, v15, v1
.LBB88_55:
	s_or_b64 exec, exec, s[0:1]
	s_barrier
	s_and_saveexec_b64 s[0:1], vcc
	s_cbranch_execz .LBB88_57
; %bb.56:
	s_mul_i32 s0, s2, 0xc0
	s_ashr_i32 s1, s0, 31
	s_lshl_b64 s[0:1], s[0:1], 1
	s_add_u32 s2, s24, s0
	s_mul_i32 s0, s29, s26
	s_addc_u32 s3, s25, s1
	s_ashr_i32 s1, s0, 31
	s_lshl_b64 s[0:1], s[0:1], 1
	s_add_u32 s2, s2, s0
	s_mul_i32 s0, s8, 0xc0
	s_addc_u32 s3, s3, s1
	s_ashr_i32 s1, s0, 31
	s_lshl_b64 s[0:1], s[0:1], 1
	s_add_u32 s0, s2, s0
	s_addc_u32 s1, s3, s1
	v_lshlrev_b32_e32 v0, 1, v0
	;;#ASMSTART
	v_cvt_f16_f32 v1, v8;

	;;#ASMEND
	global_store_short v0, v1, s[0:1]
	;;#ASMSTART
	v_cvt_f16_f32 v1, v9;

	;;#ASMEND
	global_store_short v0, v1, s[0:1] offset:128
	;;#ASMSTART
	v_cvt_f16_f32 v1, v15;

	;;#ASMEND
	global_store_short v0, v1, s[0:1] offset:256
.LBB88_57:
	s_endpgm
	.section	.rodata,"a",@progbits
	.p2align	6, 0x0
	.amdhsa_kernel _ZN4vllm25paged_attention_v2_kernelIttLi192ELi8ELi128ELNS_18Fp8KVCacheDataTypeE0ELb0ELi512EEEvPfS2_PT_PKS3_PKT0_S9_ifPKiSB_iPKfiiiSD_SD_iiiii
		.amdhsa_group_segment_fixed_size 400
		.amdhsa_private_segment_fixed_size 0
		.amdhsa_kernarg_size 400
		.amdhsa_user_sgpr_count 6
		.amdhsa_user_sgpr_private_segment_buffer 1
		.amdhsa_user_sgpr_dispatch_ptr 0
		.amdhsa_user_sgpr_queue_ptr 0
		.amdhsa_user_sgpr_kernarg_segment_ptr 1
		.amdhsa_user_sgpr_dispatch_id 0
		.amdhsa_user_sgpr_flat_scratch_init 0
		.amdhsa_user_sgpr_kernarg_preload_length 0
		.amdhsa_user_sgpr_kernarg_preload_offset 0
		.amdhsa_user_sgpr_private_segment_size 0
		.amdhsa_uses_dynamic_stack 0
		.amdhsa_system_sgpr_private_segment_wavefront_offset 0
		.amdhsa_system_sgpr_workgroup_id_x 1
		.amdhsa_system_sgpr_workgroup_id_y 1
		.amdhsa_system_sgpr_workgroup_id_z 1
		.amdhsa_system_sgpr_workgroup_info 0
		.amdhsa_system_vgpr_workitem_id 0
		.amdhsa_next_free_vgpr 62
		.amdhsa_next_free_sgpr 44
		.amdhsa_accum_offset 64
		.amdhsa_reserve_vcc 1
		.amdhsa_reserve_flat_scratch 0
		.amdhsa_float_round_mode_32 0
		.amdhsa_float_round_mode_16_64 0
		.amdhsa_float_denorm_mode_32 3
		.amdhsa_float_denorm_mode_16_64 3
		.amdhsa_dx10_clamp 1
		.amdhsa_ieee_mode 1
		.amdhsa_fp16_overflow 0
		.amdhsa_tg_split 0
		.amdhsa_exception_fp_ieee_invalid_op 0
		.amdhsa_exception_fp_denorm_src 0
		.amdhsa_exception_fp_ieee_div_zero 0
		.amdhsa_exception_fp_ieee_overflow 0
		.amdhsa_exception_fp_ieee_underflow 0
		.amdhsa_exception_fp_ieee_inexact 0
		.amdhsa_exception_int_div_zero 0
	.end_amdhsa_kernel
	.section	.text._ZN4vllm25paged_attention_v2_kernelIttLi192ELi8ELi128ELNS_18Fp8KVCacheDataTypeE0ELb0ELi512EEEvPfS2_PT_PKS3_PKT0_S9_ifPKiSB_iPKfiiiSD_SD_iiiii,"axG",@progbits,_ZN4vllm25paged_attention_v2_kernelIttLi192ELi8ELi128ELNS_18Fp8KVCacheDataTypeE0ELb0ELi512EEEvPfS2_PT_PKS3_PKT0_S9_ifPKiSB_iPKfiiiSD_SD_iiiii,comdat
.Lfunc_end88:
	.size	_ZN4vllm25paged_attention_v2_kernelIttLi192ELi8ELi128ELNS_18Fp8KVCacheDataTypeE0ELb0ELi512EEEvPfS2_PT_PKS3_PKT0_S9_ifPKiSB_iPKfiiiSD_SD_iiiii, .Lfunc_end88-_ZN4vllm25paged_attention_v2_kernelIttLi192ELi8ELi128ELNS_18Fp8KVCacheDataTypeE0ELb0ELi512EEEvPfS2_PT_PKS3_PKT0_S9_ifPKiSB_iPKfiiiSD_SD_iiiii
                                        ; -- End function
	.section	.AMDGPU.csdata,"",@progbits
; Kernel info:
; codeLenInByte = 5260
; NumSgprs: 48
; NumVgprs: 62
; NumAgprs: 0
; TotalNumVgprs: 62
; ScratchSize: 0
; MemoryBound: 0
; FloatMode: 240
; IeeeMode: 1
; LDSByteSize: 400 bytes/workgroup (compile time only)
; SGPRBlocks: 5
; VGPRBlocks: 7
; NumSGPRsForWavesPerEU: 48
; NumVGPRsForWavesPerEU: 62
; AccumOffset: 64
; Occupancy: 8
; WaveLimiterHint : 1
; COMPUTE_PGM_RSRC2:SCRATCH_EN: 0
; COMPUTE_PGM_RSRC2:USER_SGPR: 6
; COMPUTE_PGM_RSRC2:TRAP_HANDLER: 0
; COMPUTE_PGM_RSRC2:TGID_X_EN: 1
; COMPUTE_PGM_RSRC2:TGID_Y_EN: 1
; COMPUTE_PGM_RSRC2:TGID_Z_EN: 1
; COMPUTE_PGM_RSRC2:TIDIG_COMP_CNT: 0
; COMPUTE_PGM_RSRC3_GFX90A:ACCUM_OFFSET: 15
; COMPUTE_PGM_RSRC3_GFX90A:TG_SPLIT: 0
	.section	.text._ZN4vllm25paged_attention_v2_kernelIttLi256ELi8ELi128ELNS_18Fp8KVCacheDataTypeE0ELb0ELi512EEEvPfS2_PT_PKS3_PKT0_S9_ifPKiSB_iPKfiiiSD_SD_iiiii,"axG",@progbits,_ZN4vllm25paged_attention_v2_kernelIttLi256ELi8ELi128ELNS_18Fp8KVCacheDataTypeE0ELb0ELi512EEEvPfS2_PT_PKS3_PKT0_S9_ifPKiSB_iPKfiiiSD_SD_iiiii,comdat
	.protected	_ZN4vllm25paged_attention_v2_kernelIttLi256ELi8ELi128ELNS_18Fp8KVCacheDataTypeE0ELb0ELi512EEEvPfS2_PT_PKS3_PKT0_S9_ifPKiSB_iPKfiiiSD_SD_iiiii ; -- Begin function _ZN4vllm25paged_attention_v2_kernelIttLi256ELi8ELi128ELNS_18Fp8KVCacheDataTypeE0ELb0ELi512EEEvPfS2_PT_PKS3_PKT0_S9_ifPKiSB_iPKfiiiSD_SD_iiiii
	.globl	_ZN4vllm25paged_attention_v2_kernelIttLi256ELi8ELi128ELNS_18Fp8KVCacheDataTypeE0ELb0ELi512EEEvPfS2_PT_PKS3_PKT0_S9_ifPKiSB_iPKfiiiSD_SD_iiiii
	.p2align	8
	.type	_ZN4vllm25paged_attention_v2_kernelIttLi256ELi8ELi128ELNS_18Fp8KVCacheDataTypeE0ELb0ELi512EEEvPfS2_PT_PKS3_PKT0_S9_ifPKiSB_iPKfiiiSD_SD_iiiii,@function
_ZN4vllm25paged_attention_v2_kernelIttLi256ELi8ELi128ELNS_18Fp8KVCacheDataTypeE0ELb0ELi512EEEvPfS2_PT_PKS3_PKT0_S9_ifPKiSB_iPKfiiiSD_SD_iiiii: ; @_ZN4vllm25paged_attention_v2_kernelIttLi256ELi8ELi128ELNS_18Fp8KVCacheDataTypeE0ELb0ELi512EEEvPfS2_PT_PKS3_PKT0_S9_ifPKiSB_iPKfiiiSD_SD_iiiii
; %bb.0:
	s_load_dwordx2 s[0:1], s[4:5], 0x40
	s_mov_b32 s28, s7
	s_ashr_i32 s29, s7, 31
	s_lshl_b64 s[2:3], s[28:29], 2
	s_waitcnt lgkmcnt(0)
	s_add_u32 s0, s0, s2
	s_addc_u32 s1, s1, s3
	s_load_dword s33, s[0:1], 0x0
	s_lshl_b32 s40, s8, 9
	s_waitcnt lgkmcnt(0)
	s_cmp_ge_i32 s40, s33
	s_cbranch_scc1 .LBB89_59
; %bb.1:
	s_load_dword s9, s[4:5], 0x90
	s_load_dwordx2 s[10:11], s[4:5], 0x30
	s_waitcnt lgkmcnt(0)
	s_abs_i32 s2, s9
	s_abs_i32 s0, s10
	v_cvt_f32_u32_e32 v1, s0
	s_sub_i32 s3, 0, s0
	s_xor_b32 s1, s9, s10
	s_ashr_i32 s1, s1, 31
	v_rcp_iflag_f32_e32 v1, v1
	v_mul_f32_e32 v1, 0x4f7ffffe, v1
	v_cvt_u32_f32_e32 v1, v1
	v_readfirstlane_b32 s7, v1
	s_mul_i32 s3, s3, s7
	s_mul_hi_u32 s3, s7, s3
	s_add_i32 s7, s7, s3
	s_mul_hi_u32 s3, s2, s7
	s_mul_i32 s7, s3, s0
	s_sub_i32 s2, s2, s7
	s_add_i32 s10, s3, 1
	s_sub_i32 s7, s2, s0
	s_cmp_ge_u32 s2, s0
	s_cselect_b32 s3, s10, s3
	s_cselect_b32 s2, s7, s2
	s_add_i32 s7, s3, 1
	s_cmp_ge_u32 s2, s0
	s_cselect_b32 s0, s7, s3
	s_xor_b32 s0, s0, s1
	s_sub_i32 s10, s0, s1
	s_abs_i32 s36, s10
	v_cvt_f32_u32_e32 v1, s36
	s_load_dwordx2 s[0:1], s[4:5], 0x50
	s_sub_i32 s2, 0, s36
	s_abs_i32 s37, s6
	v_rcp_iflag_f32_e32 v1, v1
	s_mov_b32 s7, 0
	v_mul_f32_e32 v1, 0x4f7ffffe, v1
	v_cvt_u32_f32_e32 v1, v1
	v_readfirstlane_b32 s3, v1
	s_mul_i32 s2, s2, s3
	s_mul_hi_u32 s2, s3, s2
	s_add_i32 s2, s3, s2
	s_waitcnt lgkmcnt(0)
	s_cmp_eq_u64 s[0:1], 0
	s_cbranch_scc1 .LBB89_3
; %bb.2:
	s_ashr_i32 s7, s6, 31
	s_lshl_b64 s[12:13], s[6:7], 2
	s_add_u32 s0, s0, s12
	s_addc_u32 s1, s1, s13
	s_load_dword s7, s[0:1], 0x0
.LBB89_3:
	s_load_dwordx4 s[20:23], s[4:5], 0x0
	s_load_dwordx2 s[24:25], s[4:5], 0x10
	s_load_dwordx4 s[12:15], s[4:5], 0x20
	s_load_dwordx2 s[30:31], s[4:5], 0x38
	s_load_dword s29, s[4:5], 0x98
	s_load_dwordx4 s[16:19], s[4:5], 0x58
	v_and_b32_e32 v12, 7, v0
	s_lshl_b32 s26, s6, 8
	s_movk_i32 s0, 0x100
	s_mul_hi_u32 s38, s37, s2
	s_ashr_i32 s27, s26, 31
	v_cmp_gt_u32_e32 vcc, s0, v0
	v_lshlrev_b32_e32 v7, 1, v12
	s_and_saveexec_b64 s[2:3], vcc
	s_cbranch_execz .LBB89_6
; %bb.4:
	s_load_dwordx2 s[0:1], s[4:5], 0x18
	s_waitcnt lgkmcnt(0)
	s_mul_i32 s34, s28, s16
	s_ashr_i32 s35, s34, 31
	s_lshl_b64 s[34:35], s[34:35], 1
	s_lshl_b64 s[42:43], s[26:27], 1
	s_add_u32 s16, s34, s42
	s_addc_u32 s19, s35, s43
	v_lshrrev_b32_e32 v2, 3, v0
	s_add_u32 s0, s0, s16
	v_add_u32_e32 v1, -16, v2
	v_lshlrev_b32_e32 v3, 1, v2
	v_lshl_or_b32 v2, v2, 4, v7
	s_addc_u32 s1, s1, s19
	v_lshl_add_u32 v4, v12, 6, v3
	v_mov_b32_e32 v3, s1
	v_add_co_u32_e32 v2, vcc, s0, v2
	v_addc_co_u32_e32 v3, vcc, 0, v3, vcc
	s_mov_b64 s[34:35], 0
.LBB89_5:                               ; =>This Inner Loop Header: Depth=1
	global_load_ushort v5, v[2:3], off
	v_add_co_u32_e64 v1, s[0:1], 16, v1
	s_xor_b64 s[0:1], s[0:1], -1
	v_add_co_u32_e32 v2, vcc, 0x100, v2
	s_and_b64 s[0:1], exec, s[0:1]
	v_addc_co_u32_e32 v3, vcc, 0, v3, vcc
	s_or_b64 s[34:35], s[0:1], s[34:35]
	s_waitcnt vmcnt(0)
	ds_write_b16 v4, v5
	v_add_u32_e32 v4, 32, v4
	s_andn2_b64 exec, exec, s[34:35]
	s_cbranch_execnz .LBB89_5
.LBB89_6:
	s_or_b64 exec, exec, s[2:3]
	s_add_i32 s2, s33, 7
	s_ashr_i32 s3, s2, 31
	s_ashr_i32 s0, s6, 31
	;; [unrolled: 1-line block ×3, first 2 shown]
	s_lshr_b32 s3, s3, 29
	s_add_i32 s2, s2, s3
	s_lshl_b32 s10, s8, 6
	s_xor_b32 s0, s0, s1
	s_mul_i32 s1, s38, s36
	s_ashr_i32 s27, s2, 3
	s_add_i32 s2, s10, 64
	s_sub_i32 s1, s37, s1
	s_waitcnt lgkmcnt(0)
	s_min_i32 s16, s2, s27
	s_add_i32 s2, s38, 1
	s_sub_i32 s3, s1, s36
	s_cmp_ge_u32 s1, s36
	s_cselect_b32 s2, s2, s38
	s_cselect_b32 s1, s3, s1
	s_add_i32 s3, s2, 1
	s_cmp_ge_u32 s1, s36
	s_cselect_b32 s1, s3, s2
	s_load_dword s2, s[4:5], 0x48
	v_lshrrev_b32_e32 v1, 6, v0
	s_xor_b32 s1, s1, s0
	v_or_b32_e32 v10, s10, v1
	s_sub_i32 s4, s1, s0
	s_waitcnt lgkmcnt(0)
	s_mul_i32 s34, s28, s2
	s_ashr_i32 s35, s34, 31
	v_cmp_gt_i32_e64 s[0:1], s16, v10
	v_cmp_le_i32_e32 vcc, s16, v10
	v_mbcnt_lo_u32_b32 v14, -1, 0
	s_barrier
	s_waitcnt lgkmcnt(0)
                                        ; implicit-def: $sgpr5
                                        ; implicit-def: $vgpr4
                                        ; implicit-def: $vgpr5
	s_and_saveexec_b64 s[2:3], vcc
	s_xor_b64 s[2:3], exec, s[2:3]
; %bb.7:
	v_mbcnt_hi_u32_b32 v4, -1, v14
	v_and_b32_e32 v2, 64, v4
	v_add_u32_e32 v5, 64, v2
	s_mov_b32 s5, 0xff7fffff
                                        ; implicit-def: $vgpr7
                                        ; implicit-def: $vgpr12
                                        ; implicit-def: $vgpr14
; %bb.8:
	s_or_saveexec_b64 s[36:37], s[2:3]
	v_mov_b32_e32 v6, s5
	s_mul_i32 s18, s4, s18
	v_ashrrev_i32_e32 v11, 31, v10
	s_xor_b64 exec, exec, s[36:37]
	s_cbranch_execz .LBB89_14
; %bb.9:
	s_ashr_i32 s19, s18, 31
	s_lshl_b64 s[2:3], s[18:19], 1
	v_bfe_u32 v2, v0, 3, 3
	s_add_u32 s2, s12, s2
	s_addc_u32 s3, s13, s3
	v_lshlrev_b32_e32 v3, 4, v2
	v_mov_b32_e32 v4, s3
	v_add_co_u32_e32 v3, vcc, s2, v3
	v_addc_co_u32_e32 v4, vcc, 0, v4, vcc
	v_add_co_u32_e32 v7, vcc, v3, v7
	v_addc_co_u32_e32 v8, vcc, 0, v4, vcc
	v_lshlrev_b32_e32 v3, 3, v1
	v_lshlrev_b32_e32 v9, 6, v12
	v_cmp_eq_u32_e32 vcc, 0, v12
	s_sub_i32 s19, 1, s33
	v_add3_u32 v12, s40, v3, v2
	v_lshlrev_b32_e32 v2, 2, v2
	s_lshl_b64 s[4:5], s[34:35], 2
	v_lshl_or_b32 v2, v1, 5, v2
	s_add_u32 s4, s30, s4
	v_add_u32_e32 v13, 0x210, v2
	v_lshlrev_b64 v[2:3], 2, v[10:11]
	s_addc_u32 s5, s31, s5
	v_mov_b32_e32 v4, s5
	v_add_co_u32_e64 v2, s[4:5], s4, v2
	v_addc_co_u32_e64 v3, s[4:5], v4, v3, s[4:5]
	v_mbcnt_hi_u32_b32 v4, -1, v14
	v_and_b32_e32 v5, 64, v4
	s_mov_b32 s41, s17
	v_cmp_neq_f32_e64 s[2:3], s7, 0
	s_mov_b64 s[12:13], 0
	v_mov_b32_e32 v6, 0xff7fffff
	v_add_u32_e32 v5, 64, v5
	v_xor_b32_e32 v14, 4, v4
	v_xor_b32_e32 v15, 2, v4
	;; [unrolled: 1-line block ×3, first 2 shown]
	v_mov_b32_e32 v17, v10
	s_branch .LBB89_11
.LBB89_10:                              ;   in Loop: Header=BB89_11 Depth=1
	s_or_b64 exec, exec, s[38:39]
	v_add_u32_e32 v17, 2, v17
	v_cmp_le_i32_e64 s[4:5], s16, v17
	s_or_b64 s[12:13], s[4:5], s[12:13]
	v_add_co_u32_e64 v2, s[4:5], 8, v2
	v_add_u32_e32 v12, 16, v12
	v_add_u32_e32 v13, 64, v13
	v_addc_co_u32_e64 v3, s[4:5], 0, v3, s[4:5]
	s_andn2_b64 exec, exec, s[12:13]
	s_cbranch_execz .LBB89_13
.LBB89_11:                              ; =>This Inner Loop Header: Depth=1
	global_load_dword v18, v[2:3], off
	s_waitcnt vmcnt(0) lgkmcnt(0)
	v_mad_i64_i32 v[18:19], s[4:5], v18, s41, 0
	v_lshlrev_b64 v[18:19], 1, v[18:19]
	v_add_co_u32_e64 v20, s[4:5], v7, v18
	v_addc_co_u32_e64 v21, s[4:5], v8, v19, s[4:5]
	global_load_ushort v22, v[20:21], off
	global_load_ushort v23, v[20:21], off offset:128
	global_load_ushort v24, v[20:21], off offset:256
	;; [unrolled: 1-line block ×7, first 2 shown]
	ds_read_u16 v30, v9
	global_load_ushort v31, v[20:21], off offset:1024
	global_load_ushort v32, v[20:21], off offset:1152
	;; [unrolled: 1-line block ×24, first 2 shown]
	s_waitcnt lgkmcnt(0)
	;;#ASMSTART
	v_cvt_f32_f16 v20, v30;
	;;#ASMEND
	v_cmp_lt_i32_e64 s[4:5], v14, v5
	s_waitcnt vmcnt(31)
	;;#ASMSTART
	v_cvt_f32_f16 v21, v22;
	;;#ASMEND
	ds_read_u16 v22, v9 offset:2
	s_waitcnt lgkmcnt(0)
	;;#ASMSTART
	v_cvt_f32_f16 v22, v22;
	;;#ASMEND
	s_waitcnt vmcnt(30)
	;;#ASMSTART
	v_cvt_f32_f16 v23, v23;
	;;#ASMEND
	v_mul_f32_e32 v22, v22, v23
	ds_read_u16 v30, v9 offset:4
	v_fmac_f32_e32 v22, v20, v21
	s_waitcnt lgkmcnt(0)
	;;#ASMSTART
	v_cvt_f32_f16 v30, v30;
	;;#ASMEND
	s_waitcnt vmcnt(29)
	;;#ASMSTART
	v_cvt_f32_f16 v24, v24;
	;;#ASMEND
	ds_read_u16 v53, v9 offset:6
	v_fmac_f32_e32 v22, v30, v24
	s_waitcnt lgkmcnt(0)
	;;#ASMSTART
	v_cvt_f32_f16 v53, v53;
	;;#ASMEND
	s_waitcnt vmcnt(28)
	;;#ASMSTART
	v_cvt_f32_f16 v25, v25;
	;;#ASMEND
	;; [unrolled: 10-line block ×8, first 2 shown]
	v_fmac_f32_e32 v22, v59, v32
	ds_read_u16 v60, v9 offset:20
	s_waitcnt lgkmcnt(0)
	;;#ASMSTART
	v_cvt_f32_f16 v23, v60;
	;;#ASMEND
	s_waitcnt vmcnt(21)
	;;#ASMSTART
	v_cvt_f32_f16 v33, v33;
	;;#ASMEND
	v_fmac_f32_e32 v22, v23, v33
	ds_read_u16 v60, v9 offset:22
	s_waitcnt lgkmcnt(0)
	;;#ASMSTART
	v_cvt_f32_f16 v20, v60;
	;;#ASMEND
	s_waitcnt vmcnt(20)
	;;#ASMSTART
	v_cvt_f32_f16 v21, v34;
	;;#ASMEND
	ds_read_u16 v34, v9 offset:24
	v_fmac_f32_e32 v22, v20, v21
	s_waitcnt lgkmcnt(0)
	;;#ASMSTART
	v_cvt_f32_f16 v34, v34;
	;;#ASMEND
	s_waitcnt vmcnt(19)
	;;#ASMSTART
	v_cvt_f32_f16 v35, v35;
	;;#ASMEND
	v_fmac_f32_e32 v22, v34, v35
	ds_read_u16 v60, v9 offset:26
	s_waitcnt lgkmcnt(0)
	;;#ASMSTART
	v_cvt_f32_f16 v24, v60;
	;;#ASMEND
	s_waitcnt vmcnt(18)
	;;#ASMSTART
	v_cvt_f32_f16 v30, v36;
	;;#ASMEND
	ds_read_u16 v36, v9 offset:28
	v_fmac_f32_e32 v22, v24, v30
	;; [unrolled: 20-line block ×7, first 2 shown]
	s_waitcnt lgkmcnt(0)
	;;#ASMSTART
	v_cvt_f32_f16 v57, v57;
	;;#ASMEND
	s_waitcnt vmcnt(7)
	;;#ASMSTART
	v_cvt_f32_f16 v47, v47;
	;;#ASMEND
	v_fmac_f32_e32 v22, v57, v47
	ds_read_u16 v60, v9 offset:50
	s_waitcnt lgkmcnt(0)
	;;#ASMSTART
	v_cvt_f32_f16 v31, v60;
	;;#ASMEND
	s_waitcnt vmcnt(6)
	;;#ASMSTART
	v_cvt_f32_f16 v48, v48;
	;;#ASMEND
	v_fmac_f32_e32 v22, v31, v48
	ds_read_u16 v58, v9 offset:52
	;; [unrolled: 10-line block ×3, first 2 shown]
	s_waitcnt lgkmcnt(0)
	;;#ASMSTART
	v_cvt_f32_f16 v20, v33;
	;;#ASMEND
	s_waitcnt vmcnt(4)
	;;#ASMSTART
	v_cvt_f32_f16 v21, v50;
	;;#ASMEND
	ds_read_u16 v24, v9 offset:56
	v_fmac_f32_e32 v22, v20, v21
	s_waitcnt lgkmcnt(0)
	;;#ASMSTART
	v_cvt_f32_f16 v24, v24;
	;;#ASMEND
	s_waitcnt vmcnt(3)
	;;#ASMSTART
	v_cvt_f32_f16 v25, v51;
	;;#ASMEND
	ds_read_u16 v26, v9 offset:58
	v_fmac_f32_e32 v22, v24, v25
	s_waitcnt lgkmcnt(0)
	;;#ASMSTART
	v_cvt_f32_f16 v26, v26;
	;;#ASMEND
	s_waitcnt vmcnt(2)
	;;#ASMSTART
	v_cvt_f32_f16 v27, v52;
	;;#ASMEND
	v_fmac_f32_e32 v22, v26, v27
	v_cndmask_b32_e64 v60, v4, v14, s[4:5]
	ds_read_u16 v28, v9 offset:60
	s_waitcnt lgkmcnt(0)
	;;#ASMSTART
	v_cvt_f32_f16 v23, v28;
	;;#ASMEND
	s_waitcnt vmcnt(1)
	;;#ASMSTART
	v_cvt_f32_f16 v19, v19;
	;;#ASMEND
	v_fmac_f32_e32 v22, v23, v19
	v_lshlrev_b32_e32 v60, 2, v60
	ds_read_u16 v28, v9 offset:62
	s_waitcnt lgkmcnt(0)
	;;#ASMSTART
	v_cvt_f32_f16 v19, v28;
	;;#ASMEND
	s_waitcnt vmcnt(0)
	;;#ASMSTART
	v_cvt_f32_f16 v18, v18;
	;;#ASMEND
	v_fmac_f32_e32 v22, v19, v18
	ds_bpermute_b32 v18, v60, v22
	v_cmp_lt_i32_e64 s[4:5], v15, v5
	v_cndmask_b32_e64 v19, v4, v15, s[4:5]
	v_lshlrev_b32_e32 v19, 2, v19
	v_cmp_lt_i32_e64 s[4:5], v16, v5
	s_waitcnt lgkmcnt(0)
	v_add_f32_e32 v18, v22, v18
	ds_bpermute_b32 v19, v19, v18
	v_cndmask_b32_e64 v20, v4, v16, s[4:5]
	s_waitcnt lgkmcnt(0)
	v_add_f32_e32 v18, v18, v19
	v_lshlrev_b32_e32 v19, 2, v20
	ds_bpermute_b32 v19, v19, v18
	s_and_saveexec_b64 s[38:39], vcc
	s_cbranch_execz .LBB89_10
; %bb.12:                               ;   in Loop: Header=BB89_11 Depth=1
	v_add_u32_e32 v20, s19, v12
	v_cvt_f32_i32_e32 v20, v20
	s_waitcnt lgkmcnt(0)
	v_add_f32_e32 v18, v18, v19
	v_cmp_gt_i32_e64 s[4:5], s33, v12
	v_max_f32_e32 v19, v6, v6
	v_mul_f32_e32 v20, s7, v20
	v_cndmask_b32_e64 v20, 0, v20, s[2:3]
	v_fmac_f32_e32 v20, s11, v18
	v_cndmask_b32_e64 v18, 0, v20, s[4:5]
	ds_write_b32 v13, v18
	v_max_f32_e32 v18, v19, v20
	v_cndmask_b32_e64 v6, v6, v18, s[4:5]
	s_branch .LBB89_10
.LBB89_13:
	s_or_b64 exec, exec, s[12:13]
.LBB89_14:
	s_or_b64 exec, exec, s[36:37]
	v_xor_b32_e32 v2, 32, v4
	v_cmp_lt_i32_e32 vcc, v2, v5
	v_cndmask_b32_e32 v2, v4, v2, vcc
	v_lshlrev_b32_e32 v3, 2, v2
	ds_bpermute_b32 v2, v3, v6
	v_xor_b32_e32 v7, 16, v4
	v_max_f32_e32 v6, v6, v6
	v_cmp_lt_i32_e32 vcc, v7, v5
	v_and_b32_e32 v16, 63, v0
	s_waitcnt lgkmcnt(0)
	v_max_f32_e32 v2, v2, v2
	v_max_f32_e32 v2, v6, v2
	v_cndmask_b32_e32 v6, v4, v7, vcc
	v_lshlrev_b32_e32 v8, 2, v6
	ds_bpermute_b32 v6, v8, v2
	v_xor_b32_e32 v7, 8, v4
	v_cmp_lt_i32_e32 vcc, v7, v5
	s_waitcnt lgkmcnt(0)
	v_max_f32_e32 v6, v6, v6
	v_max_f32_e32 v6, v2, v6
	v_cndmask_b32_e32 v2, v4, v7, vcc
	v_lshlrev_b32_e32 v9, 2, v2
	ds_bpermute_b32 v7, v9, v6
	v_cmp_eq_u32_e32 vcc, 0, v16
	v_lshlrev_b32_e32 v2, 2, v1
	s_and_saveexec_b64 s[2:3], vcc
	s_cbranch_execz .LBB89_16
; %bb.15:
	s_waitcnt lgkmcnt(0)
	v_max_f32_e32 v7, v7, v7
	v_max_f32_e32 v6, v6, v6
	v_max_f32_e32 v6, v6, v7
	ds_write_b32 v2, v6 offset:512
.LBB89_16:
	s_or_b64 exec, exec, s[2:3]
	v_cmp_gt_u32_e64 s[2:3], 2, v16
	v_mov_b32_e32 v6, 0xff7fffff
	s_waitcnt lgkmcnt(0)
	v_lshlrev_b32_e32 v7, 2, v16
	s_barrier
	s_and_saveexec_b64 s[4:5], s[2:3]
	s_cbranch_execz .LBB89_18
; %bb.17:
	ds_read_b32 v6, v7 offset:512
.LBB89_18:
	s_or_b64 exec, exec, s[4:5]
	v_xor_b32_e32 v12, 1, v4
	v_cmp_lt_i32_e64 s[4:5], v12, v5
	v_cndmask_b32_e64 v12, v4, v12, s[4:5]
	v_lshlrev_b32_e32 v12, 2, v12
	s_waitcnt lgkmcnt(0)
	ds_bpermute_b32 v13, v12, v6
	v_max_f32_e32 v6, v6, v6
	s_sub_i32 s4, s16, s10
	s_lshl_b32 s4, s4, 3
	s_add_i32 s4, s4, s40
	s_waitcnt lgkmcnt(0)
	v_max_f32_e32 v13, v13, v13
	v_max_f32_e32 v6, v6, v13
	v_lshlrev_b32_e32 v13, 2, v4
	v_and_b32_e32 v13, 0xffffff00, v13
	ds_bpermute_b32 v6, v13, v6
	s_min_i32 s19, s4, s33
	s_sub_i32 s7, s19, s40
	v_cmp_gt_i32_e64 s[4:5], s7, v0
	v_mov_b32_e32 v14, 0
	s_and_saveexec_b64 s[12:13], s[4:5]
	s_cbranch_execz .LBB89_22
; %bb.19:
	v_mov_b32_e32 v14, 0x210
	v_lshl_add_u32 v15, v0, 2, v14
	s_mov_b64 s[36:37], 0
	v_mov_b32_e32 v14, 0
	v_mov_b32_e32 v17, v0
.LBB89_20:                              ; =>This Inner Loop Header: Depth=1
	ds_read_b32 v18, v15
	v_add_u32_e32 v17, 0x80, v17
	v_cmp_le_i32_e64 s[10:11], s7, v17
	s_or_b64 s[36:37], s[10:11], s[36:37]
	s_waitcnt lgkmcnt(0)
	v_sub_f32_e32 v18, v18, v6
	v_mul_f32_e32 v18, 0x3fb8aa3b, v18
	v_exp_f32_e32 v18, v18
	ds_write_b32 v15, v18
	v_add_f32_e32 v14, v14, v18
	v_add_u32_e32 v15, 0x200, v15
	s_andn2_b64 exec, exec, s[36:37]
	s_cbranch_execnz .LBB89_20
; %bb.21:
	s_or_b64 exec, exec, s[36:37]
.LBB89_22:
	s_or_b64 exec, exec, s[12:13]
	ds_bpermute_b32 v3, v3, v14
	s_waitcnt lgkmcnt(0)
	v_add_f32_e32 v3, v14, v3
	ds_bpermute_b32 v8, v8, v3
	s_waitcnt lgkmcnt(0)
	v_add_f32_e32 v3, v3, v8
	ds_bpermute_b32 v8, v9, v3
	v_xor_b32_e32 v9, 4, v4
	v_cmp_lt_i32_e64 s[10:11], v9, v5
	v_cndmask_b32_e64 v9, v4, v9, s[10:11]
	v_lshlrev_b32_e32 v9, 2, v9
	s_waitcnt lgkmcnt(0)
	v_add_f32_e32 v3, v3, v8
	ds_bpermute_b32 v8, v9, v3
	v_xor_b32_e32 v9, 2, v4
	v_cmp_lt_i32_e64 s[10:11], v9, v5
	v_cndmask_b32_e64 v4, v4, v9, s[10:11]
	v_lshlrev_b32_e32 v4, 2, v4
	s_waitcnt lgkmcnt(0)
	v_add_f32_e32 v3, v3, v8
	ds_bpermute_b32 v4, v4, v3
	s_waitcnt lgkmcnt(0)
	v_add_f32_e32 v3, v3, v4
	ds_bpermute_b32 v4, v12, v3
	s_waitcnt lgkmcnt(0)
	v_add_f32_e32 v3, v3, v4
	s_and_saveexec_b64 s[10:11], vcc
	s_cbranch_execz .LBB89_24
; %bb.23:
	ds_write_b32 v2, v3 offset:520
.LBB89_24:
	s_or_b64 exec, exec, s[10:11]
	s_waitcnt lgkmcnt(0)
	s_barrier
	s_and_saveexec_b64 s[10:11], s[2:3]
	s_cbranch_execz .LBB89_26
; %bb.25:
	ds_read_b32 v3, v7 offset:520
.LBB89_26:
	s_or_b64 exec, exec, s[10:11]
	s_waitcnt lgkmcnt(0)
	ds_bpermute_b32 v2, v12, v3
	s_waitcnt lgkmcnt(0)
	v_add_f32_e32 v2, v3, v2
	ds_bpermute_b32 v4, v13, v2
	s_and_saveexec_b64 s[2:3], s[4:5]
	s_cbranch_execz .LBB89_39
; %bb.27:
	s_waitcnt lgkmcnt(0)
	v_add_f32_e32 v2, 0x358637bd, v4
	v_div_scale_f32 v3, s[4:5], v2, v2, 1.0
	v_rcp_f32_e32 v5, v3
	v_div_scale_f32 v7, vcc, 1.0, v2, 1.0
	s_movk_i32 s4, 0x7f
	v_fma_f32 v8, -v3, v5, 1.0
	v_fmac_f32_e32 v5, v8, v5
	v_mul_f32_e32 v8, v7, v5
	v_fma_f32 v9, -v3, v8, v7
	v_fmac_f32_e32 v8, v9, v5
	v_fma_f32 v3, -v3, v8, v7
	v_div_fmas_f32 v3, v3, v5, v8
	v_div_fixup_f32 v2, v3, v2, 1.0
	v_xad_u32 v3, v0, -1, s19
	v_subrev_u32_e32 v5, s40, v3
	v_cmp_lt_u32_e32 vcc, s4, v5
	s_mov_b64 s[10:11], -1
	v_mov_b32_e32 v3, v0
	s_and_saveexec_b64 s[4:5], vcc
	s_cbranch_execz .LBB89_36
; %bb.28:
	v_lshrrev_b32_e32 v5, 7, v5
	v_add_u32_e32 v8, -1, v5
	v_lshrrev_b32_e32 v7, 1, v8
	v_mov_b32_e32 v3, v2
	v_add_u32_e32 v7, 1, v7
	v_cmp_lt_u32_e32 vcc, 13, v8
	v_mov_b32_e32 v12, 0
	s_and_saveexec_b64 s[10:11], vcc
	s_cbranch_execz .LBB89_32
; %bb.29:
	v_mov_b32_e32 v9, 0x210
	v_and_b32_e32 v8, -8, v7
	v_lshl_add_u32 v9, v0, 2, v9
	s_mov_b32 s19, 0
	s_mov_b64 s[12:13], 0
.LBB89_30:                              ; =>This Inner Loop Header: Depth=1
	ds_read2st64_b32 v[12:13], v9 offset1:2
	ds_read2st64_b32 v[14:15], v9 offset0:4 offset1:6
	ds_read2st64_b32 v[18:19], v9 offset0:8 offset1:10
	;; [unrolled: 1-line block ×3, first 2 shown]
	v_add_u32_e32 v8, -8, v8
	s_waitcnt lgkmcnt(3)
	v_pk_mul_f32 v[12:13], v[2:3], v[12:13]
	s_waitcnt lgkmcnt(2)
	v_pk_mul_f32 v[14:15], v[2:3], v[14:15]
	ds_write2st64_b32 v9, v12, v13 offset1:2
	ds_write2st64_b32 v9, v14, v15 offset0:4 offset1:6
	ds_read2st64_b32 v[14:15], v9 offset0:16 offset1:18
	s_waitcnt lgkmcnt(4)
	v_pk_mul_f32 v[12:13], v[2:3], v[18:19]
	ds_write2st64_b32 v9, v12, v13 offset0:8 offset1:10
	s_waitcnt lgkmcnt(4)
	v_pk_mul_f32 v[12:13], v[2:3], v[20:21]
	ds_write2st64_b32 v9, v12, v13 offset0:12 offset1:14
	ds_read2st64_b32 v[12:13], v9 offset0:20 offset1:22
	s_waitcnt lgkmcnt(3)
	v_pk_mul_f32 v[14:15], v[2:3], v[14:15]
	ds_read2st64_b32 v[18:19], v9 offset0:24 offset1:26
	ds_write2st64_b32 v9, v14, v15 offset0:16 offset1:18
	ds_read2st64_b32 v[14:15], v9 offset0:28 offset1:30
	s_waitcnt lgkmcnt(3)
	v_pk_mul_f32 v[12:13], v[2:3], v[12:13]
	ds_write2st64_b32 v9, v12, v13 offset0:20 offset1:22
	s_waitcnt lgkmcnt(3)
	v_pk_mul_f32 v[12:13], v[2:3], v[18:19]
	ds_write2st64_b32 v9, v12, v13 offset0:24 offset1:26
	s_waitcnt lgkmcnt(2)
	v_pk_mul_f32 v[12:13], v[2:3], v[14:15]
	s_add_i32 s19, s19, 16
	v_cmp_eq_u32_e32 vcc, 0, v8
	ds_write2st64_b32 v9, v12, v13 offset0:28 offset1:30
	v_add_u32_e32 v9, 0x2000, v9
	s_or_b64 s[12:13], vcc, s[12:13]
	v_mov_b32_e32 v12, s19
	s_andn2_b64 exec, exec, s[12:13]
	s_cbranch_execnz .LBB89_30
; %bb.31:
	s_or_b64 exec, exec, s[12:13]
.LBB89_32:
	s_or_b64 exec, exec, s[10:11]
	v_and_b32_e32 v7, 7, v7
	v_cmp_ne_u32_e32 vcc, 0, v7
	s_and_saveexec_b64 s[10:11], vcc
	s_cbranch_execz .LBB89_35
; %bb.33:
	v_lshlrev_b32_e32 v8, 9, v12
	v_lshlrev_b32_e32 v9, 2, v0
	s_movk_i32 s12, 0x210
	v_add3_u32 v8, v8, v9, s12
	s_mov_b64 s[12:13], 0
.LBB89_34:                              ; =>This Inner Loop Header: Depth=1
	ds_read2st64_b32 v[12:13], v8 offset1:2
	v_add_u32_e32 v7, -1, v7
	v_cmp_eq_u32_e32 vcc, 0, v7
	s_or_b64 s[12:13], vcc, s[12:13]
	s_waitcnt lgkmcnt(0)
	v_pk_mul_f32 v[12:13], v[2:3], v[12:13]
	ds_write2st64_b32 v8, v12, v13 offset1:2
	v_add_u32_e32 v8, 0x400, v8
	s_andn2_b64 exec, exec, s[12:13]
	s_cbranch_execnz .LBB89_34
.LBB89_35:
	s_or_b64 exec, exec, s[10:11]
	v_add_u32_e32 v5, 1, v5
	v_and_b32_e32 v7, 0x3fffffe, v5
	v_cmp_ne_u32_e32 vcc, v5, v7
	v_lshl_add_u32 v3, v7, 7, v0
	s_orn2_b64 s[10:11], vcc, exec
.LBB89_36:
	s_or_b64 exec, exec, s[4:5]
	s_and_b64 exec, exec, s[10:11]
	s_cbranch_execz .LBB89_39
; %bb.37:
	v_mov_b32_e32 v5, 0x210
	v_lshl_add_u32 v5, v3, 2, v5
	s_mov_b64 s[4:5], 0
.LBB89_38:                              ; =>This Inner Loop Header: Depth=1
	ds_read_b32 v7, v5
	v_add_u32_e32 v3, 0x80, v3
	v_cmp_le_i32_e32 vcc, s7, v3
	s_or_b64 s[4:5], vcc, s[4:5]
	s_waitcnt lgkmcnt(0)
	v_mul_f32_e32 v7, v2, v7
	ds_write_b32 v5, v7
	v_add_u32_e32 v5, 0x200, v5
	s_andn2_b64 exec, exec, s[4:5]
	s_cbranch_execnz .LBB89_38
.LBB89_39:
	s_or_b64 exec, exec, s[2:3]
	s_mul_i32 s2, s29, s28
	s_mov_b32 s4, 0
	v_cmp_eq_u32_e32 vcc, 0, v0
	s_mul_i32 s2, s2, s9
	s_waitcnt lgkmcnt(0)
	s_barrier
	s_and_saveexec_b64 s[10:11], vcc
	s_cbranch_execz .LBB89_41
; %bb.40:
	s_ashr_i32 s3, s2, 31
	s_lshl_b64 s[12:13], s[2:3], 2
	s_add_u32 s3, s22, s12
	s_mul_i32 s6, s29, s6
	s_addc_u32 s5, s23, s13
	s_ashr_i32 s7, s6, 31
	s_lshl_b64 s[6:7], s[6:7], 2
	s_add_u32 s3, s3, s6
	s_addc_u32 s5, s5, s7
	s_ashr_i32 s9, s8, 31
	s_lshl_b64 s[22:23], s[8:9], 2
	s_add_u32 s36, s3, s22
	s_addc_u32 s37, s5, s23
	s_add_u32 s3, s20, s12
	s_addc_u32 s5, s21, s13
	;; [unrolled: 2-line block ×3, first 2 shown]
	s_add_u32 s6, s3, s22
	v_mov_b32_e32 v2, 0
	s_addc_u32 s7, s5, s23
	global_store_dword v2, v6, s[36:37]
	global_store_dword v2, v4, s[6:7]
.LBB89_41:
	s_or_b64 exec, exec, s[10:11]
	s_mov_b32 s5, s4
	s_mov_b32 s6, s4
	;; [unrolled: 1-line block ×3, first 2 shown]
	v_pk_mov_b32 v[2:3], s[4:5], s[4:5] op_sel:[0,1]
	v_pk_mov_b32 v[4:5], s[6:7], s[6:7] op_sel:[0,1]
	s_and_saveexec_b64 s[4:5], s[0:1]
	s_cbranch_execz .LBB89_53
; %bb.42:
	s_ashr_i32 s19, s18, 31
	s_lshl_b64 s[0:1], s[18:19], 1
	s_add_u32 s0, s14, s0
	s_addc_u32 s1, s15, s1
	v_lshlrev_b32_e32 v2, 4, v16
	s_add_i32 s27, s27, -1
	v_mov_b32_e32 v3, s1
	v_add_co_u32_e32 v17, vcc, s0, v2
	s_lshl_b64 s[0:1], s[34:35], 2
	v_mov_b32_e32 v2, 0x210
	s_add_u32 s0, s30, s0
	v_addc_co_u32_e32 v18, vcc, 0, v3, vcc
	v_lshl_add_u32 v19, v1, 3, s40
	v_lshl_add_u32 v1, v1, 5, v2
	v_lshlrev_b64 v[2:3], 2, v[10:11]
	s_addc_u32 s1, s31, s1
	v_mov_b32_e32 v4, s1
	v_add_co_u32_e32 v12, vcc, s0, v2
	s_mov_b32 s3, s17
	s_mov_b32 s9, s33
	;; [unrolled: 1-line block ×8, first 2 shown]
	v_addc_co_u32_e32 v13, vcc, v4, v3, vcc
	s_mov_b64 s[6:7], 0
	v_mov_b32_e32 v2, 0
	s_mov_b32 s19, 0x5040100
	v_mov_b32_e32 v3, 0
	v_mov_b32_e32 v4, 0
	;; [unrolled: 1-line block ×3, first 2 shown]
	s_branch .LBB89_44
.LBB89_43:                              ;   in Loop: Header=BB89_44 Depth=1
	s_or_b64 exec, exec, s[0:1]
	s_waitcnt vmcnt(0)
	;;#ASMSTART
	v_pk_mul_f16 v6, v29, v6;

	;;#ASMEND
	;;#ASMSTART
	v_pk_mul_f16 v7, v28, v7;

	;;#ASMEND
	;;#ASMSTART
	v_pk_mul_f16 v8, v27, v8;

	;;#ASMEND
	;;#ASMSTART
	v_pk_mul_f16 v9, v26, v9;

	;;#ASMEND
	;;#ASMSTART
	v_pk_add_f16 v6, v6, v7;

	;;#ASMEND
	;;#ASMSTART
	v_pk_add_f16 v6, v6, v8;

	;;#ASMEND
	;; [unrolled: 4-line block ×3, first 2 shown]
	v_add_f32_e32 v11, v30, v31
	v_lshrrev_b32_e32 v7, 16, v6
	v_and_b32_e32 v6, 0xffff, v6
	v_add_u32_e32 v10, 2, v10
	v_add_f32_e32 v2, v2, v11
	v_add_f32_e32 v11, v32, v33
	;;#ASMSTART
	v_cvt_f32_f16 v6, v6;
	;;#ASMEND
	v_cmp_le_i32_e32 vcc, s16, v10
	v_add_f32_e32 v3, v3, v11
	v_add_f32_e32 v11, v34, v35
	;;#ASMSTART
	v_cvt_f32_f16 v7, v7;
	;;#ASMEND
	v_add_f32_e32 v6, v6, v7
	s_or_b64 s[6:7], vcc, s[6:7]
	v_add_co_u32_e32 v12, vcc, 8, v12
	v_add_f32_e32 v4, v4, v11
	v_add_f32_e32 v5, v5, v6
	v_add_u32_e32 v19, 16, v19
	v_add_u32_e32 v1, 64, v1
	v_addc_co_u32_e32 v13, vcc, 0, v13, vcc
	s_andn2_b64 exec, exec, s[6:7]
	s_cbranch_execz .LBB89_52
.LBB89_44:                              ; =>This Inner Loop Header: Depth=1
	global_load_dword v11, v[12:13], off
	ds_read2_b64 v[6:9], v1 offset1:1
	ds_read2_b64 v[20:23], v1 offset0:2 offset1:3
	v_or_b32_e32 v25, 7, v19
	v_or_b32_e32 v24, 6, v19
	s_waitcnt lgkmcnt(1)
	;;#ASMSTART
	v_cvt_f16_f32 v26, v6;

	;;#ASMEND
	;;#ASMSTART
	v_cvt_f16_f32 v27, v7;

	;;#ASMEND
	;; [unrolled: 4-line block ×4, first 2 shown]
	s_waitcnt lgkmcnt(0)
	;;#ASMSTART
	v_cvt_f16_f32 v31, v20;

	;;#ASMEND
	;;#ASMSTART
	v_cvt_f16_f32 v32, v21;

	;;#ASMEND
	;; [unrolled: 4-line block ×4, first 2 shown]
	v_or_b32_e32 v21, 3, v19
	v_or_b32_e32 v20, 2, v19
	;; [unrolled: 1-line block ×4, first 2 shown]
	s_waitcnt vmcnt(0)
	v_mad_i64_i32 v[6:7], s[0:1], v11, s3, 0
	v_lshlrev_b64 v[6:7], 1, v[6:7]
	v_add_co_u32_e32 v14, vcc, v17, v6
	v_addc_co_u32_e32 v15, vcc, v18, v7, vcc
	global_load_dwordx4 v[6:9], v[14:15], off
	v_cmp_eq_u32_e32 vcc, s27, v10
	v_add_u32_e32 v11, 1, v19
	s_and_saveexec_b64 s[10:11], vcc
	s_cbranch_execz .LBB89_46
; %bb.45:                               ;   in Loop: Header=BB89_44 Depth=1
	s_waitcnt vmcnt(0)
	v_lshrrev_b32_e32 v29, 16, v9
	v_cmp_gt_i32_e64 s[0:1], s18, v25
	v_cndmask_b32_e64 v29, 0, v29, s[0:1]
	v_cmp_gt_i32_e64 s[0:1], s17, v24
	v_cndmask_b32_e64 v9, 0, v9, s[0:1]
	v_perm_b32 v9, v29, v9, s19
	v_lshrrev_b32_e32 v29, 16, v8
	v_cmp_gt_i32_e64 s[0:1], s15, v23
	v_cndmask_b32_e64 v29, 0, v29, s[0:1]
	v_cmp_gt_i32_e64 s[0:1], s14, v22
	v_cndmask_b32_e64 v8, 0, v8, s[0:1]
	v_perm_b32 v8, v29, v8, s19
	;; [unrolled: 6-line block ×4, first 2 shown]
.LBB89_46:                              ;   in Loop: Header=BB89_44 Depth=1
	s_or_b64 exec, exec, s[10:11]
	v_and_b32_e32 v26, 0xffff, v26
	v_lshl_or_b32 v29, v27, 16, v26
	v_and_b32_e32 v26, 0xffff, v28
	v_lshl_or_b32 v28, v30, 16, v26
	;; [unrolled: 2-line block ×3, first 2 shown]
	v_and_b32_e32 v26, 0xffff, v33
	s_waitcnt vmcnt(0)
	;;#ASMSTART
	v_pk_mul_f16 v6, v29, v6;

	;;#ASMEND
	v_lshl_or_b32 v26, v34, 16, v26
	;;#ASMSTART
	v_pk_mul_f16 v7, v28, v7;

	;;#ASMEND
	;;#ASMSTART
	v_pk_mul_f16 v8, v27, v8;

	;;#ASMEND
	;; [unrolled: 4-line block ×3, first 2 shown]
	;;#ASMSTART
	v_pk_add_f16 v6, v6, v7;

	;;#ASMEND
	;;#ASMSTART
	v_pk_add_f16 v6, v6, v8;

	;;#ASMEND
	;; [unrolled: 4-line block ×3, first 2 shown]
	v_lshrrev_b32_e32 v7, 16, v6
	v_and_b32_e32 v6, 0xffff, v6
	;;#ASMSTART
	v_cvt_f32_f16 v30, v6;
	;;#ASMEND
	;;#ASMSTART
	v_cvt_f32_f16 v31, v7;
	;;#ASMEND
	global_load_dwordx4 v[6:9], v[14:15], off offset:1024
	s_and_saveexec_b64 s[10:11], vcc
	s_cbranch_execz .LBB89_48
; %bb.47:                               ;   in Loop: Header=BB89_44 Depth=1
	s_waitcnt vmcnt(0)
	v_lshrrev_b32_e32 v32, 16, v9
	v_cmp_gt_i32_e64 s[0:1], s18, v25
	v_cndmask_b32_e64 v32, 0, v32, s[0:1]
	v_cmp_gt_i32_e64 s[0:1], s17, v24
	v_cndmask_b32_e64 v9, 0, v9, s[0:1]
	v_perm_b32 v9, v32, v9, s19
	v_lshrrev_b32_e32 v32, 16, v8
	v_cmp_gt_i32_e64 s[0:1], s15, v23
	v_cndmask_b32_e64 v32, 0, v32, s[0:1]
	v_cmp_gt_i32_e64 s[0:1], s14, v22
	v_cndmask_b32_e64 v8, 0, v8, s[0:1]
	v_perm_b32 v8, v32, v8, s19
	;; [unrolled: 6-line block ×4, first 2 shown]
.LBB89_48:                              ;   in Loop: Header=BB89_44 Depth=1
	s_or_b64 exec, exec, s[10:11]
	s_waitcnt vmcnt(0)
	;;#ASMSTART
	v_pk_mul_f16 v6, v29, v6;

	;;#ASMEND
	;;#ASMSTART
	v_pk_mul_f16 v7, v28, v7;

	;;#ASMEND
	;; [unrolled: 4-line block ×4, first 2 shown]
	;;#ASMSTART
	v_pk_add_f16 v6, v6, v7;

	;;#ASMEND
	;;#ASMSTART
	v_pk_add_f16 v6, v6, v8;

	;;#ASMEND
	;; [unrolled: 4-line block ×3, first 2 shown]
	v_lshrrev_b32_e32 v7, 16, v6
	v_and_b32_e32 v6, 0xffff, v6
	;;#ASMSTART
	v_cvt_f32_f16 v32, v6;
	;;#ASMEND
	;;#ASMSTART
	v_cvt_f32_f16 v33, v7;
	;;#ASMEND
	global_load_dwordx4 v[6:9], v[14:15], off offset:2048
	s_and_saveexec_b64 s[10:11], vcc
	s_cbranch_execz .LBB89_50
; %bb.49:                               ;   in Loop: Header=BB89_44 Depth=1
	s_waitcnt vmcnt(0)
	v_lshrrev_b32_e32 v34, 16, v9
	v_cmp_gt_i32_e64 s[0:1], s18, v25
	v_cndmask_b32_e64 v34, 0, v34, s[0:1]
	v_cmp_gt_i32_e64 s[0:1], s17, v24
	v_cndmask_b32_e64 v9, 0, v9, s[0:1]
	v_perm_b32 v9, v34, v9, s19
	v_lshrrev_b32_e32 v34, 16, v8
	v_cmp_gt_i32_e64 s[0:1], s15, v23
	v_cndmask_b32_e64 v34, 0, v34, s[0:1]
	v_cmp_gt_i32_e64 s[0:1], s14, v22
	v_cndmask_b32_e64 v8, 0, v8, s[0:1]
	v_perm_b32 v8, v34, v8, s19
	;; [unrolled: 6-line block ×4, first 2 shown]
.LBB89_50:                              ;   in Loop: Header=BB89_44 Depth=1
	s_or_b64 exec, exec, s[10:11]
	s_waitcnt vmcnt(0)
	;;#ASMSTART
	v_pk_mul_f16 v6, v29, v6;

	;;#ASMEND
	;;#ASMSTART
	v_pk_mul_f16 v7, v28, v7;

	;;#ASMEND
	;;#ASMSTART
	v_pk_mul_f16 v8, v27, v8;

	;;#ASMEND
	;;#ASMSTART
	v_pk_mul_f16 v9, v26, v9;

	;;#ASMEND
	;;#ASMSTART
	v_pk_add_f16 v6, v6, v7;

	;;#ASMEND
	;;#ASMSTART
	v_pk_add_f16 v6, v6, v8;

	;;#ASMEND
	;; [unrolled: 4-line block ×3, first 2 shown]
	v_lshrrev_b32_e32 v7, 16, v6
	v_and_b32_e32 v6, 0xffff, v6
	;;#ASMSTART
	v_cvt_f32_f16 v34, v6;
	;;#ASMEND
	;;#ASMSTART
	v_cvt_f32_f16 v35, v7;
	;;#ASMEND
	global_load_dwordx4 v[6:9], v[14:15], off offset:3072
	s_and_saveexec_b64 s[0:1], vcc
	s_cbranch_execz .LBB89_43
; %bb.51:                               ;   in Loop: Header=BB89_44 Depth=1
	s_waitcnt vmcnt(0)
	v_lshrrev_b32_e32 v14, 16, v9
	v_cmp_gt_i32_e32 vcc, s18, v25
	v_cndmask_b32_e32 v14, 0, v14, vcc
	v_cmp_gt_i32_e32 vcc, s17, v24
	v_cndmask_b32_e32 v9, 0, v9, vcc
	v_perm_b32 v9, v14, v9, s19
	v_lshrrev_b32_e32 v14, 16, v8
	v_cmp_gt_i32_e32 vcc, s15, v23
	v_cndmask_b32_e32 v14, 0, v14, vcc
	v_cmp_gt_i32_e32 vcc, s14, v22
	v_cndmask_b32_e32 v8, 0, v8, vcc
	v_perm_b32 v8, v14, v8, s19
	;; [unrolled: 6-line block ×4, first 2 shown]
	s_branch .LBB89_43
.LBB89_52:
	s_or_b64 exec, exec, s[6:7]
.LBB89_53:
	s_or_b64 exec, exec, s[4:5]
	v_and_b32_e32 v1, 0x3c0, v0
	v_cmp_eq_u32_e32 vcc, 64, v1
	s_barrier
	s_and_saveexec_b64 s[0:1], vcc
	s_cbranch_execz .LBB89_55
; %bb.54:
	v_lshlrev_b32_e32 v1, 2, v0
	v_mov_b32_e32 v7, 0x210
	v_or_b32_e32 v6, 0x300, v1
	v_lshl_add_u32 v7, v16, 2, v7
	v_add_u32_e32 v6, 0x210, v6
	v_add_u32_e32 v1, 0x210, v1
	ds_write_b32 v7, v2
	ds_write_b32 v1, v3
	ds_write_b32 v7, v4 offset:512
	ds_write_b32 v6, v5
.LBB89_55:
	s_or_b64 exec, exec, s[0:1]
	v_cmp_gt_u32_e32 vcc, 64, v0
	s_waitcnt lgkmcnt(0)
	s_barrier
	s_and_saveexec_b64 s[0:1], vcc
	s_cbranch_execz .LBB89_57
; %bb.56:
	v_mov_b32_e32 v1, 0x210
	v_lshl_add_u32 v1, v0, 2, v1
	ds_read2st64_b32 v[6:7], v1 offset0:2 offset1:3
	ds_read2st64_b32 v[8:9], v1 offset1:1
	s_waitcnt lgkmcnt(1)
	v_pk_add_f32 v[4:5], v[4:5], v[6:7]
	s_waitcnt lgkmcnt(0)
	v_pk_add_f32 v[2:3], v[2:3], v[8:9]
.LBB89_57:
	s_or_b64 exec, exec, s[0:1]
	s_barrier
	s_and_saveexec_b64 s[0:1], vcc
	s_cbranch_execz .LBB89_59
; %bb.58:
	s_lshl_b32 s0, s2, 8
	s_ashr_i32 s1, s0, 31
	s_lshl_b64 s[0:1], s[0:1], 1
	s_add_u32 s2, s24, s0
	s_mul_i32 s0, s29, s26
	s_addc_u32 s3, s25, s1
	s_ashr_i32 s1, s0, 31
	s_lshl_b64 s[0:1], s[0:1], 1
	s_add_u32 s2, s2, s0
	s_addc_u32 s3, s3, s1
	s_lshl_b32 s0, s8, 8
	s_ashr_i32 s1, s0, 31
	s_lshl_b64 s[0:1], s[0:1], 1
	s_add_u32 s0, s2, s0
	s_addc_u32 s1, s3, s1
	v_lshlrev_b32_e32 v0, 1, v0
	;;#ASMSTART
	v_cvt_f16_f32 v1, v2;

	;;#ASMEND
	global_store_short v0, v1, s[0:1]
	;;#ASMSTART
	v_cvt_f16_f32 v1, v3;

	;;#ASMEND
	global_store_short v0, v1, s[0:1] offset:128
	;;#ASMSTART
	v_cvt_f16_f32 v1, v4;

	;;#ASMEND
	global_store_short v0, v1, s[0:1] offset:256
	;; [unrolled: 5-line block ×3, first 2 shown]
.LBB89_59:
	s_endpgm
	.section	.rodata,"a",@progbits
	.p2align	6, 0x0
	.amdhsa_kernel _ZN4vllm25paged_attention_v2_kernelIttLi256ELi8ELi128ELNS_18Fp8KVCacheDataTypeE0ELb0ELi512EEEvPfS2_PT_PKS3_PKT0_S9_ifPKiSB_iPKfiiiSD_SD_iiiii
		.amdhsa_group_segment_fixed_size 528
		.amdhsa_private_segment_fixed_size 0
		.amdhsa_kernarg_size 400
		.amdhsa_user_sgpr_count 6
		.amdhsa_user_sgpr_private_segment_buffer 1
		.amdhsa_user_sgpr_dispatch_ptr 0
		.amdhsa_user_sgpr_queue_ptr 0
		.amdhsa_user_sgpr_kernarg_segment_ptr 1
		.amdhsa_user_sgpr_dispatch_id 0
		.amdhsa_user_sgpr_flat_scratch_init 0
		.amdhsa_user_sgpr_kernarg_preload_length 0
		.amdhsa_user_sgpr_kernarg_preload_offset 0
		.amdhsa_user_sgpr_private_segment_size 0
		.amdhsa_uses_dynamic_stack 0
		.amdhsa_system_sgpr_private_segment_wavefront_offset 0
		.amdhsa_system_sgpr_workgroup_id_x 1
		.amdhsa_system_sgpr_workgroup_id_y 1
		.amdhsa_system_sgpr_workgroup_id_z 1
		.amdhsa_system_sgpr_workgroup_info 0
		.amdhsa_system_vgpr_workitem_id 0
		.amdhsa_next_free_vgpr 61
		.amdhsa_next_free_sgpr 44
		.amdhsa_accum_offset 64
		.amdhsa_reserve_vcc 1
		.amdhsa_reserve_flat_scratch 0
		.amdhsa_float_round_mode_32 0
		.amdhsa_float_round_mode_16_64 0
		.amdhsa_float_denorm_mode_32 3
		.amdhsa_float_denorm_mode_16_64 3
		.amdhsa_dx10_clamp 1
		.amdhsa_ieee_mode 1
		.amdhsa_fp16_overflow 0
		.amdhsa_tg_split 0
		.amdhsa_exception_fp_ieee_invalid_op 0
		.amdhsa_exception_fp_denorm_src 0
		.amdhsa_exception_fp_ieee_div_zero 0
		.amdhsa_exception_fp_ieee_overflow 0
		.amdhsa_exception_fp_ieee_underflow 0
		.amdhsa_exception_fp_ieee_inexact 0
		.amdhsa_exception_int_div_zero 0
	.end_amdhsa_kernel
	.section	.text._ZN4vllm25paged_attention_v2_kernelIttLi256ELi8ELi128ELNS_18Fp8KVCacheDataTypeE0ELb0ELi512EEEvPfS2_PT_PKS3_PKT0_S9_ifPKiSB_iPKfiiiSD_SD_iiiii,"axG",@progbits,_ZN4vllm25paged_attention_v2_kernelIttLi256ELi8ELi128ELNS_18Fp8KVCacheDataTypeE0ELb0ELi512EEEvPfS2_PT_PKS3_PKT0_S9_ifPKiSB_iPKfiiiSD_SD_iiiii,comdat
.Lfunc_end89:
	.size	_ZN4vllm25paged_attention_v2_kernelIttLi256ELi8ELi128ELNS_18Fp8KVCacheDataTypeE0ELb0ELi512EEEvPfS2_PT_PKS3_PKT0_S9_ifPKiSB_iPKfiiiSD_SD_iiiii, .Lfunc_end89-_ZN4vllm25paged_attention_v2_kernelIttLi256ELi8ELi128ELNS_18Fp8KVCacheDataTypeE0ELb0ELi512EEEvPfS2_PT_PKS3_PKT0_S9_ifPKiSB_iPKfiiiSD_SD_iiiii
                                        ; -- End function
	.section	.AMDGPU.csdata,"",@progbits
; Kernel info:
; codeLenInByte = 5976
; NumSgprs: 48
; NumVgprs: 61
; NumAgprs: 0
; TotalNumVgprs: 61
; ScratchSize: 0
; MemoryBound: 0
; FloatMode: 240
; IeeeMode: 1
; LDSByteSize: 528 bytes/workgroup (compile time only)
; SGPRBlocks: 5
; VGPRBlocks: 7
; NumSGPRsForWavesPerEU: 48
; NumVGPRsForWavesPerEU: 61
; AccumOffset: 64
; Occupancy: 8
; WaveLimiterHint : 1
; COMPUTE_PGM_RSRC2:SCRATCH_EN: 0
; COMPUTE_PGM_RSRC2:USER_SGPR: 6
; COMPUTE_PGM_RSRC2:TRAP_HANDLER: 0
; COMPUTE_PGM_RSRC2:TGID_X_EN: 1
; COMPUTE_PGM_RSRC2:TGID_Y_EN: 1
; COMPUTE_PGM_RSRC2:TGID_Z_EN: 1
; COMPUTE_PGM_RSRC2:TIDIG_COMP_CNT: 0
; COMPUTE_PGM_RSRC3_GFX90A:ACCUM_OFFSET: 15
; COMPUTE_PGM_RSRC3_GFX90A:TG_SPLIT: 0
	.section	.text._ZN4vllm25paged_attention_v2_kernelIttLi32ELi16ELi128ELNS_18Fp8KVCacheDataTypeE0ELb1ELi512EEEvPfS2_PT_PKS3_PKT0_S9_ifPKiSB_iPKfiiiSD_SD_iiiii,"axG",@progbits,_ZN4vllm25paged_attention_v2_kernelIttLi32ELi16ELi128ELNS_18Fp8KVCacheDataTypeE0ELb1ELi512EEEvPfS2_PT_PKS3_PKT0_S9_ifPKiSB_iPKfiiiSD_SD_iiiii,comdat
	.protected	_ZN4vllm25paged_attention_v2_kernelIttLi32ELi16ELi128ELNS_18Fp8KVCacheDataTypeE0ELb1ELi512EEEvPfS2_PT_PKS3_PKT0_S9_ifPKiSB_iPKfiiiSD_SD_iiiii ; -- Begin function _ZN4vllm25paged_attention_v2_kernelIttLi32ELi16ELi128ELNS_18Fp8KVCacheDataTypeE0ELb1ELi512EEEvPfS2_PT_PKS3_PKT0_S9_ifPKiSB_iPKfiiiSD_SD_iiiii
	.globl	_ZN4vllm25paged_attention_v2_kernelIttLi32ELi16ELi128ELNS_18Fp8KVCacheDataTypeE0ELb1ELi512EEEvPfS2_PT_PKS3_PKT0_S9_ifPKiSB_iPKfiiiSD_SD_iiiii
	.p2align	8
	.type	_ZN4vllm25paged_attention_v2_kernelIttLi32ELi16ELi128ELNS_18Fp8KVCacheDataTypeE0ELb1ELi512EEEvPfS2_PT_PKS3_PKT0_S9_ifPKiSB_iPKfiiiSD_SD_iiiii,@function
_ZN4vllm25paged_attention_v2_kernelIttLi32ELi16ELi128ELNS_18Fp8KVCacheDataTypeE0ELb1ELi512EEEvPfS2_PT_PKS3_PKT0_S9_ifPKiSB_iPKfiiiSD_SD_iiiii: ; @_ZN4vllm25paged_attention_v2_kernelIttLi32ELi16ELi128ELNS_18Fp8KVCacheDataTypeE0ELb1ELi512EEEvPfS2_PT_PKS3_PKT0_S9_ifPKiSB_iPKfiiiSD_SD_iiiii
; %bb.0:
	s_load_dwordx2 s[0:1], s[4:5], 0x40
	s_mov_b32 s28, s7
	s_ashr_i32 s29, s7, 31
	s_lshl_b64 s[2:3], s[28:29], 2
	s_waitcnt lgkmcnt(0)
	s_add_u32 s0, s0, s2
	s_addc_u32 s1, s1, s3
	s_load_dword s29, s[0:1], 0x0
	s_lshl_b32 s49, s8, 9
	s_waitcnt lgkmcnt(0)
	s_cmp_ge_i32 s49, s29
	s_cbranch_scc1 .LBB90_61
; %bb.1:
	s_load_dword s9, s[4:5], 0x90
	s_load_dwordx2 s[38:39], s[4:5], 0x30
	s_mov_b32 s50, 0
	s_waitcnt lgkmcnt(0)
	s_abs_i32 s2, s9
	s_abs_i32 s0, s38
	v_cvt_f32_u32_e32 v1, s0
	s_sub_i32 s3, 0, s0
	s_xor_b32 s1, s9, s38
	s_ashr_i32 s1, s1, 31
	v_rcp_iflag_f32_e32 v1, v1
	v_mul_f32_e32 v1, 0x4f7ffffe, v1
	v_cvt_u32_f32_e32 v1, v1
	v_readfirstlane_b32 s7, v1
	s_mul_i32 s3, s3, s7
	s_mul_hi_u32 s3, s7, s3
	s_add_i32 s7, s7, s3
	s_mul_hi_u32 s3, s2, s7
	s_mul_i32 s7, s3, s0
	s_sub_i32 s2, s2, s7
	s_add_i32 s10, s3, 1
	s_sub_i32 s7, s2, s0
	s_cmp_ge_u32 s2, s0
	s_cselect_b32 s3, s10, s3
	s_cselect_b32 s2, s7, s2
	s_add_i32 s7, s3, 1
	s_cmp_ge_u32 s2, s0
	s_cselect_b32 s0, s7, s3
	s_xor_b32 s0, s0, s1
	s_sub_i32 s11, s0, s1
	s_abs_i32 s2, s11
	v_cvt_f32_u32_e32 v1, s2
	s_load_dwordx2 s[0:1], s[4:5], 0x50
	s_sub_i32 s7, 0, s2
	s_abs_i32 s3, s6
	v_rcp_iflag_f32_e32 v1, v1
	v_mul_f32_e32 v1, 0x4f7ffffe, v1
	v_cvt_u32_f32_e32 v1, v1
	v_readfirstlane_b32 s10, v1
	s_mul_i32 s7, s7, s10
	s_mul_hi_u32 s7, s10, s7
	s_add_i32 s10, s10, s7
	s_waitcnt lgkmcnt(0)
	s_cmp_eq_u64 s[0:1], 0
	s_mul_hi_u32 s10, s3, s10
	s_cbranch_scc1 .LBB90_3
; %bb.2:
	s_ashr_i32 s7, s6, 31
	s_lshl_b64 s[12:13], s[6:7], 2
	s_add_u32 s0, s0, s12
	s_addc_u32 s1, s1, s13
	s_load_dword s50, s[0:1], 0x0
.LBB90_3:
	s_load_dwordx4 s[12:15], s[4:5], 0x58
	s_ashr_i32 s7, s6, 31
	s_ashr_i32 s11, s11, 31
	v_and_b32_e32 v2, 3, v0
	s_lshl_b32 s24, s6, 5
	v_cmp_gt_u32_e32 vcc, 16, v0
	s_and_saveexec_b64 s[0:1], vcc
	s_cbranch_execz .LBB90_5
; %bb.4:
	s_load_dwordx2 s[16:17], s[4:5], 0x18
	s_waitcnt lgkmcnt(0)
	s_mul_i32 s18, s28, s12
	s_ashr_i32 s19, s18, 31
	s_lshl_b64 s[18:19], s[18:19], 1
	v_lshlrev_b32_e32 v1, 2, v0
	s_add_u32 s12, s16, s18
	s_addc_u32 s15, s17, s19
	s_ashr_i32 s25, s24, 31
	s_lshl_b64 s[16:17], s[24:25], 1
	s_add_u32 s16, s12, s16
	s_addc_u32 s17, s15, s17
	global_load_dword v1, v1, s[16:17]
	v_and_b32_e32 v3, 0x3fc, v0
	v_lshl_add_u32 v3, v2, 4, v3
	s_waitcnt vmcnt(0)
	ds_write_b32 v3, v1
.LBB90_5:
	s_or_b64 exec, exec, s[0:1]
	s_mul_i32 s1, s10, s2
	s_sub_i32 s1, s3, s1
	s_xor_b32 s0, s7, s11
	s_add_i32 s3, s10, 1
	s_sub_i32 s7, s1, s2
	s_load_dwordx4 s[16:19], s[4:5], 0x78
	s_cmp_ge_u32 s1, s2
	s_cselect_b32 s3, s3, s10
	s_load_dword s10, s[4:5], 0x88
	s_cselect_b32 s1, s7, s1
	s_add_i32 s7, s3, 1
	s_cmp_ge_u32 s1, s2
	s_cselect_b32 s1, s7, s3
	s_waitcnt lgkmcnt(0)
	s_abs_i32 s25, s19
	v_cvt_f32_u32_e32 v1, s25
	s_xor_b32 s1, s1, s0
	s_sub_i32 s2, s1, s0
	s_sub_i32 s0, 0, s25
	v_rcp_iflag_f32_e32 v1, v1
	s_add_i32 s11, s29, -1
	s_abs_i32 s3, s11
	v_mul_f32_e32 v1, 0x4f7ffffe, v1
	v_cvt_u32_f32_e32 v1, v1
	s_barrier
	v_readfirstlane_b32 s33, v1
	s_mul_i32 s0, s0, s33
	s_mul_hi_u32 s0, s33, s0
	s_add_i32 s33, s33, s0
	s_cmp_lt_i32 s10, 0
	s_mul_hi_u32 s7, s3, s33
	s_cbranch_scc0 .LBB90_7
; %bb.6:
	s_mul_i32 s0, s16, s38
	s_add_i32 s0, s2, s0
	s_mul_i32 s0, s0, s10
	s_sub_i32 s46, 1, s0
	s_mov_b64 s[0:1], 0
	s_branch .LBB90_8
.LBB90_7:
	s_mov_b64 s[0:1], -1
                                        ; implicit-def: $sgpr46
.LBB90_8:
	s_load_dwordx2 s[30:31], s[4:5], 0x38
	s_ashr_i32 s11, s11, 31
	s_andn2_b64 vcc, exec, s[0:1]
	s_ashr_i32 s19, s19, 31
	s_cbranch_vccnz .LBB90_10
; %bb.9:
	s_mul_i32 s0, s9, s16
	s_add_i32 s0, s0, s6
	s_mul_i32 s0, s0, s10
	s_add_i32 s46, s0, 1
.LBB90_10:
	s_load_dword s0, s[4:5], 0x48
	s_load_dwordx2 s[36:37], s[4:5], 0x28
	s_load_dword s16, s[4:5], 0x98
	s_load_dwordx4 s[20:23], s[4:5], 0x0
	s_load_dwordx2 s[26:27], s[4:5], 0x10
	s_mul_i32 s1, s7, s25
	s_waitcnt lgkmcnt(0)
	s_mul_i32 s34, s28, s0
	s_sub_i32 s1, s3, s1
	s_ashr_i32 s35, s34, 31
	s_xor_b32 s0, s11, s19
	s_add_i32 s3, s7, 1
	s_sub_i32 s10, s1, s25
	s_cmp_ge_u32 s1, s25
	s_cselect_b32 s3, s3, s7
	s_cselect_b32 s1, s10, s1
	s_add_i32 s7, s3, 1
	s_cmp_ge_u32 s1, s25
	s_cselect_b32 s1, s7, s3
	s_xor_b32 s1, s1, s0
	s_sub_i32 s48, s1, s0
	s_add_i32 s0, s29, 15
	s_ashr_i32 s1, s0, 31
	s_lshr_b32 s1, s1, 28
	s_add_i32 s0, s0, s1
	s_lshl_b32 s12, s8, 5
	s_ashr_i32 s7, s0, 4
	s_add_i32 s0, s12, 32
	v_lshrrev_b32_e32 v4, 6, v0
	s_min_i32 s47, s0, s7
	v_or_b32_e32 v6, s12, v4
	v_cmp_gt_i32_e64 s[0:1], s47, v6
	v_mov_b32_e32 v12, 0xff7fffff
	s_mul_i32 s14, s2, s14
	v_ashrrev_i32_e32 v7, 31, v6
	v_lshl_add_u32 v1, v4, 4, s49
	v_mbcnt_lo_u32_b32 v5, -1, 0
	s_and_saveexec_b64 s[40:41], s[0:1]
	s_cbranch_execz .LBB90_20
; %bb.11:
	s_load_dwordx2 s[2:3], s[4:5], 0x20
	s_ashr_i32 s15, s14, 31
	s_sub_i32 s38, s48, s17
	s_lshl_b64 s[4:5], s[14:15], 1
	v_bfe_u32 v8, v0, 2, 4
	s_waitcnt lgkmcnt(0)
	s_add_u32 s2, s2, s4
	s_addc_u32 s3, s3, s5
	s_abs_i32 s15, s18
	v_cvt_f32_u32_e32 v10, s15
	v_lshlrev_b32_e32 v3, 4, v8
	v_mov_b32_e32 v9, s3
	v_add_co_u32_e64 v3, s[2:3], s2, v3
	v_rcp_iflag_f32_e32 v12, v10
	v_addc_co_u32_e64 v11, s[2:3], 0, v9, s[2:3]
	v_lshlrev_b32_e32 v9, 2, v0
	v_and_b32_e32 v9, 12, v9
	v_add_co_u32_e64 v9, s[2:3], v3, v9
	v_mul_f32_e32 v3, 0x4f7ffffe, v12
	v_cvt_u32_f32_e32 v3, v3
	s_sub_i32 s4, 0, s15
	v_cmp_eq_u32_e32 vcc, 0, v2
	v_addc_co_u32_e64 v10, s[2:3], 0, v11, s[2:3]
	v_lshlrev_b32_e32 v11, 4, v2
	v_mul_lo_u32 v2, s4, v3
	s_lshl_b64 s[4:5], s[34:35], 2
	v_mul_hi_u32 v2, v3, v2
	s_add_u32 s4, s30, s4
	v_add_u32_e32 v13, v3, v2
	v_lshlrev_b64 v[2:3], 2, v[6:7]
	s_addc_u32 s5, s31, s5
	v_mov_b32_e32 v12, s5
	v_add_co_u32_e64 v2, s[4:5], s4, v2
	v_addc_co_u32_e64 v3, s[4:5], v12, v3, s[4:5]
	v_lshlrev_b32_e32 v12, 2, v8
	v_lshl_or_b32 v12, v4, 6, v12
	v_add_u32_e32 v15, 0x50, v12
	v_subrev_u32_e32 v12, s29, v8
	v_mbcnt_hi_u32_b32 v18, -1, v5
	v_add_u32_e32 v16, 1, v12
	v_and_b32_e32 v12, 64, v18
	s_mov_b32 s51, s13
	v_cmp_neq_f32_e64 s[2:3], s50, 0
	v_lshl_add_u32 v14, v4, 4, s49
	s_mov_b64 s[42:43], 0
	v_mov_b32_e32 v17, 0xff7fffff
	v_add_u32_e32 v19, 64, v12
	v_xor_b32_e32 v20, 2, v18
	v_xor_b32_e32 v21, 1, v18
	v_mov_b32_e32 v12, 0xff7fffff
	v_mov_b32_e32 v22, v6
	s_branch .LBB90_14
.LBB90_12:                              ;   in Loop: Header=BB90_14 Depth=1
	s_or_b64 exec, exec, s[44:45]
.LBB90_13:                              ;   in Loop: Header=BB90_14 Depth=1
	s_or_b64 exec, exec, s[10:11]
	v_add_co_u32_e64 v2, s[4:5], 8, v2
	v_add_u32_e32 v22, 2, v22
	v_addc_co_u32_e64 v3, s[4:5], 0, v3, s[4:5]
	v_cmp_le_i32_e64 s[4:5], s47, v22
	v_add_u32_e32 v14, 32, v14
	s_or_b64 s[42:43], s[4:5], s[42:43]
	v_add_u32_e32 v15, 0x80, v15
	s_andn2_b64 exec, exec, s[42:43]
	s_cbranch_execz .LBB90_19
.LBB90_14:                              ; =>This Inner Loop Header: Depth=1
	s_waitcnt lgkmcnt(0)
	v_sub_u32_e32 v24, 0, v14
	v_max_i32_e32 v24, v14, v24
	v_mul_hi_u32 v25, v24, s33
	v_mul_lo_u32 v26, v25, s25
	v_sub_u32_e32 v24, v24, v26
	v_add_u32_e32 v26, 1, v25
	v_cmp_le_u32_e64 s[4:5], s25, v24
	v_cndmask_b32_e64 v25, v25, v26, s[4:5]
	v_subrev_u32_e32 v26, s25, v24
	v_cndmask_b32_e64 v24, v24, v26, s[4:5]
	v_ashrrev_i32_e32 v23, 31, v14
	v_add_u32_e32 v26, 1, v25
	v_cmp_le_u32_e64 s[4:5], s25, v24
	v_xor_b32_e32 v23, s19, v23
	v_cndmask_b32_e64 v24, v25, v26, s[4:5]
	v_xor_b32_e32 v24, v24, v23
	v_sub_u32_e32 v23, v24, v23
	v_add_u32_e32 v24, s46, v23
	v_sub_u32_e32 v26, 0, v24
	v_ashrrev_i32_e32 v25, 31, v24
	v_max_i32_e32 v24, v24, v26
	v_mul_hi_u32 v26, v24, v13
	v_mul_lo_u32 v26, v26, s15
	v_sub_u32_e32 v24, v24, v26
	v_subrev_u32_e32 v26, s15, v24
	v_cmp_le_u32_e64 s[4:5], s15, v24
	v_cndmask_b32_e64 v24, v24, v26, s[4:5]
	v_subrev_u32_e32 v26, s15, v24
	v_cmp_le_u32_e64 s[4:5], s15, v24
	v_cndmask_b32_e64 v24, v24, v26, s[4:5]
	v_xor_b32_e32 v24, v24, v25
	v_sub_u32_e32 v24, v24, v25
	v_cmp_ne_u32_e64 s[4:5], 0, v24
	v_cmp_ge_i32_e64 s[10:11], s38, v23
	s_and_b64 s[4:5], s[4:5], s[10:11]
	s_and_b64 s[44:45], vcc, s[4:5]
	s_and_saveexec_b64 s[10:11], s[44:45]
	s_cbranch_execz .LBB90_16
; %bb.15:                               ;   in Loop: Header=BB90_14 Depth=1
	ds_write_b32 v15, v17
.LBB90_16:                              ;   in Loop: Header=BB90_14 Depth=1
	s_or_b64 exec, exec, s[10:11]
	s_xor_b64 s[4:5], s[4:5], -1
	s_and_saveexec_b64 s[10:11], s[4:5]
	s_cbranch_execz .LBB90_13
; %bb.17:                               ;   in Loop: Header=BB90_14 Depth=1
	global_load_dword v23, v[2:3], off
	s_waitcnt vmcnt(0)
	v_mad_i64_i32 v[24:25], s[4:5], v23, s51, 0
	v_lshlrev_b64 v[24:25], 1, v[24:25]
	v_add_co_u32_e64 v24, s[4:5], v9, v24
	v_addc_co_u32_e64 v25, s[4:5], v10, v25, s[4:5]
	global_load_dword v23, v[24:25], off
	global_load_dword v26, v[24:25], off offset:256
	global_load_dword v27, v[24:25], off offset:512
	s_nop 0
	global_load_dword v24, v[24:25], off offset:768
	ds_read_b32 v25, v11
	v_cmp_lt_i32_e64 s[4:5], v20, v19
	v_cndmask_b32_e64 v28, v18, v20, s[4:5]
	v_lshlrev_b32_e32 v28, 2, v28
	v_cmp_lt_i32_e64 s[4:5], v21, v19
	s_waitcnt lgkmcnt(0)
	v_lshrrev_b32_e32 v29, 16, v25
	v_and_b32_e32 v25, 0xffff, v25
	;;#ASMSTART
	v_cvt_f32_f16 v25, v25;
	;;#ASMEND
	;;#ASMSTART
	v_cvt_f32_f16 v29, v29;
	;;#ASMEND
	s_waitcnt vmcnt(3)
	v_lshrrev_b32_e32 v30, 16, v23
	v_and_b32_e32 v23, 0xffff, v23
	;;#ASMSTART
	v_cvt_f32_f16 v23, v23;
	;;#ASMEND
	;;#ASMSTART
	v_cvt_f32_f16 v30, v30;
	;;#ASMEND
	ds_read_b32 v31, v11 offset:4
	s_waitcnt vmcnt(2)
	v_lshrrev_b32_e32 v32, 16, v26
	v_and_b32_e32 v26, 0xffff, v26
	s_waitcnt vmcnt(1)
	v_lshrrev_b32_e32 v33, 16, v27
	v_and_b32_e32 v27, 0xffff, v27
	s_waitcnt lgkmcnt(0)
	v_lshrrev_b32_e32 v34, 16, v31
	v_and_b32_e32 v31, 0xffff, v31
	;;#ASMSTART
	v_cvt_f32_f16 v31, v31;
	;;#ASMEND
	;;#ASMSTART
	v_cvt_f32_f16 v34, v34;
	;;#ASMEND
	;; [unrolled: 3-line block ×4, first 2 shown]
	ds_read_b32 v35, v11 offset:8
	v_mul_f32_e32 v26, v31, v26
	v_mul_f32_e32 v31, v34, v32
	v_fmac_f32_e32 v26, v25, v23
	v_fmac_f32_e32 v31, v29, v30
	s_waitcnt lgkmcnt(0)
	v_lshrrev_b32_e32 v32, 16, v35
	v_and_b32_e32 v34, 0xffff, v35
	;;#ASMSTART
	v_cvt_f32_f16 v34, v34;
	;;#ASMEND
	;;#ASMSTART
	v_cvt_f32_f16 v32, v32;
	;;#ASMEND
	;; [unrolled: 3-line block ×4, first 2 shown]
	ds_read_b32 v35, v11 offset:12
	s_waitcnt vmcnt(0)
	v_lshrrev_b32_e32 v36, 16, v24
	v_and_b32_e32 v24, 0xffff, v24
	v_fmac_f32_e32 v26, v34, v27
	v_fmac_f32_e32 v31, v32, v33
	s_waitcnt lgkmcnt(0)
	v_lshrrev_b32_e32 v23, 16, v35
	v_and_b32_e32 v25, 0xffff, v35
	;;#ASMSTART
	v_cvt_f32_f16 v25, v25;
	;;#ASMEND
	;;#ASMSTART
	v_cvt_f32_f16 v23, v23;
	;;#ASMEND
	;; [unrolled: 3-line block ×4, first 2 shown]
	v_fmac_f32_e32 v26, v25, v24
	v_fmac_f32_e32 v31, v23, v27
	v_add_f32_e32 v23, v26, v31
	ds_bpermute_b32 v24, v28, v23
	v_cndmask_b32_e64 v25, v18, v21, s[4:5]
	s_waitcnt lgkmcnt(0)
	v_add_f32_e32 v23, v23, v24
	v_lshlrev_b32_e32 v24, 2, v25
	ds_bpermute_b32 v24, v24, v23
	s_and_saveexec_b64 s[44:45], vcc
	s_cbranch_execz .LBB90_12
; %bb.18:                               ;   in Loop: Header=BB90_14 Depth=1
	v_add_u32_e32 v25, v16, v14
	v_cvt_f32_i32_e32 v25, v25
	s_waitcnt lgkmcnt(0)
	v_add_f32_e32 v23, v23, v24
	v_add_u32_e32 v26, v8, v14
	v_cmp_gt_i32_e64 s[4:5], s29, v26
	v_mul_f32_e32 v24, s50, v25
	v_cndmask_b32_e64 v24, 0, v24, s[2:3]
	v_fmac_f32_e32 v24, s39, v23
	v_cndmask_b32_e64 v23, 0, v24, s[4:5]
	ds_write_b32 v15, v23
	v_max_f32_e32 v23, v12, v12
	v_max_f32_e32 v23, v23, v24
	v_cndmask_b32_e64 v12, v12, v23, s[4:5]
	s_branch .LBB90_12
.LBB90_19:
	s_or_b64 exec, exec, s[42:43]
.LBB90_20:
	s_or_b64 exec, exec, s[40:41]
	v_mbcnt_hi_u32_b32 v2, -1, v5
	v_and_b32_e32 v3, 64, v2
	v_add_u32_e32 v3, 64, v3
	v_xor_b32_e32 v5, 32, v2
	v_cmp_lt_i32_e32 vcc, v5, v3
	v_cndmask_b32_e32 v5, v2, v5, vcc
	v_lshlrev_b32_e32 v8, 2, v5
	ds_bpermute_b32 v5, v8, v12
	v_xor_b32_e32 v10, 16, v2
	v_max_f32_e32 v9, v12, v12
	v_cmp_lt_i32_e32 vcc, v10, v3
	v_xor_b32_e32 v11, 8, v2
	s_waitcnt lgkmcnt(0)
	v_max_f32_e32 v5, v5, v5
	v_max_f32_e32 v5, v9, v5
	v_cndmask_b32_e32 v9, v2, v10, vcc
	v_lshlrev_b32_e32 v9, 2, v9
	ds_bpermute_b32 v10, v9, v5
	v_cmp_lt_i32_e32 vcc, v11, v3
	v_lshlrev_b32_e32 v12, 2, v4
	s_waitcnt lgkmcnt(0)
	v_max_f32_e32 v10, v10, v10
	v_max_f32_e32 v5, v5, v10
	v_cndmask_b32_e32 v10, v2, v11, vcc
	v_lshlrev_b32_e32 v14, 2, v10
	ds_bpermute_b32 v10, v14, v5
	v_xor_b32_e32 v11, 4, v2
	v_cmp_lt_i32_e32 vcc, v11, v3
	s_waitcnt lgkmcnt(0)
	v_max_f32_e32 v10, v10, v10
	v_max_f32_e32 v5, v5, v10
	v_cndmask_b32_e32 v10, v2, v11, vcc
	v_lshlrev_b32_e32 v15, 2, v10
	ds_bpermute_b32 v11, v15, v5
	v_and_b32_e32 v10, 63, v0
	v_cmp_eq_u32_e32 vcc, 0, v10
	s_and_saveexec_b64 s[2:3], vcc
	s_cbranch_execz .LBB90_22
; %bb.21:
	s_waitcnt lgkmcnt(0)
	v_max_f32_e32 v11, v11, v11
	v_max_f32_e32 v5, v5, v5
	;; [unrolled: 1-line block ×3, first 2 shown]
	ds_write_b32 v12, v5 offset:64
.LBB90_22:
	s_or_b64 exec, exec, s[2:3]
	v_cmp_gt_u32_e64 s[2:3], 2, v10
	v_mov_b32_e32 v5, 0xff7fffff
	v_lshlrev_b32_e32 v13, 2, v10
	s_waitcnt lgkmcnt(0)
	s_barrier
	s_and_saveexec_b64 s[4:5], s[2:3]
	s_cbranch_execz .LBB90_24
; %bb.23:
	ds_read_b32 v5, v13 offset:64
.LBB90_24:
	s_or_b64 exec, exec, s[4:5]
	v_xor_b32_e32 v11, 1, v2
	v_cmp_lt_i32_e64 s[4:5], v11, v3
	v_cndmask_b32_e64 v11, v2, v11, s[4:5]
	v_lshlrev_b32_e32 v11, 2, v11
	s_waitcnt lgkmcnt(0)
	ds_bpermute_b32 v16, v11, v5
	v_max_f32_e32 v5, v5, v5
	s_sub_i32 s4, s47, s12
	s_lshl_b32 s4, s4, 4
	s_add_i32 s4, s4, s49
	s_waitcnt lgkmcnt(0)
	v_max_f32_e32 v16, v16, v16
	v_max_f32_e32 v5, v5, v16
	v_lshlrev_b32_e32 v16, 2, v2
	v_and_b32_e32 v16, 0x100, v16
	ds_bpermute_b32 v5, v16, v5
	s_min_i32 s42, s4, s29
	s_sub_i32 s15, s42, s49
	v_cmp_gt_i32_e64 s[4:5], s15, v0
	v_mov_b32_e32 v17, 0
	s_and_saveexec_b64 s[38:39], s[4:5]
	s_cbranch_execz .LBB90_28
; %bb.25:
	v_mov_b32_e32 v17, 0x50
	v_lshl_add_u32 v18, v0, 2, v17
	s_mov_b64 s[40:41], 0
	v_mov_b32_e32 v17, 0
	v_mov_b32_e32 v19, v0
.LBB90_26:                              ; =>This Inner Loop Header: Depth=1
	ds_read_b32 v20, v18
	v_add_u32_e32 v19, 0x80, v19
	v_cmp_le_i32_e64 s[10:11], s15, v19
	s_or_b64 s[40:41], s[10:11], s[40:41]
	s_waitcnt lgkmcnt(0)
	v_sub_f32_e32 v20, v20, v5
	v_mul_f32_e32 v20, 0x3fb8aa3b, v20
	v_exp_f32_e32 v20, v20
	ds_write_b32 v18, v20
	v_add_f32_e32 v17, v17, v20
	v_add_u32_e32 v18, 0x200, v18
	s_andn2_b64 exec, exec, s[40:41]
	s_cbranch_execnz .LBB90_26
; %bb.27:
	s_or_b64 exec, exec, s[40:41]
.LBB90_28:
	s_or_b64 exec, exec, s[38:39]
	ds_bpermute_b32 v8, v8, v17
	s_waitcnt lgkmcnt(0)
	v_add_f32_e32 v8, v17, v8
	ds_bpermute_b32 v9, v9, v8
	s_waitcnt lgkmcnt(0)
	v_add_f32_e32 v8, v8, v9
	ds_bpermute_b32 v9, v14, v8
	v_xor_b32_e32 v14, 2, v2
	v_cmp_lt_i32_e64 s[10:11], v14, v3
	v_cndmask_b32_e64 v2, v2, v14, s[10:11]
	v_lshlrev_b32_e32 v2, 2, v2
	s_waitcnt lgkmcnt(0)
	v_add_f32_e32 v8, v8, v9
	ds_bpermute_b32 v9, v15, v8
	s_waitcnt lgkmcnt(0)
	v_add_f32_e32 v3, v8, v9
	ds_bpermute_b32 v2, v2, v3
	;; [unrolled: 3-line block ×3, first 2 shown]
	s_waitcnt lgkmcnt(0)
	v_add_f32_e32 v2, v2, v3
	s_and_saveexec_b64 s[10:11], vcc
	s_cbranch_execz .LBB90_30
; %bb.29:
	ds_write_b32 v12, v2 offset:72
.LBB90_30:
	s_or_b64 exec, exec, s[10:11]
	s_waitcnt lgkmcnt(0)
	s_barrier
	s_and_saveexec_b64 s[10:11], s[2:3]
	s_cbranch_execz .LBB90_32
; %bb.31:
	ds_read_b32 v2, v13 offset:72
.LBB90_32:
	s_or_b64 exec, exec, s[10:11]
	s_waitcnt lgkmcnt(0)
	ds_bpermute_b32 v3, v11, v2
	s_waitcnt lgkmcnt(0)
	v_add_f32_e32 v2, v2, v3
	ds_bpermute_b32 v8, v16, v2
	s_and_saveexec_b64 s[2:3], s[4:5]
	s_cbranch_execz .LBB90_45
; %bb.33:
	s_waitcnt lgkmcnt(0)
	v_add_f32_e32 v2, 0x358637bd, v8
	v_div_scale_f32 v3, s[4:5], v2, v2, 1.0
	v_rcp_f32_e32 v9, v3
	v_div_scale_f32 v12, vcc, 1.0, v2, 1.0
	s_movk_i32 s4, 0x7f
	v_fma_f32 v13, -v3, v9, 1.0
	v_fmac_f32_e32 v9, v13, v9
	v_mul_f32_e32 v13, v12, v9
	v_fma_f32 v14, -v3, v13, v12
	v_fmac_f32_e32 v13, v14, v9
	v_fma_f32 v3, -v3, v13, v12
	v_div_fmas_f32 v3, v3, v9, v13
	v_div_fixup_f32 v2, v3, v2, 1.0
	v_xad_u32 v3, v0, -1, s42
	v_subrev_u32_e32 v9, s49, v3
	v_cmp_lt_u32_e32 vcc, s4, v9
	s_mov_b64 s[10:11], -1
	v_mov_b32_e32 v3, v0
	s_and_saveexec_b64 s[4:5], vcc
	s_cbranch_execz .LBB90_42
; %bb.34:
	v_lshrrev_b32_e32 v9, 7, v9
	v_add_u32_e32 v13, -1, v9
	v_lshrrev_b32_e32 v12, 1, v13
	v_mov_b32_e32 v3, v2
	v_add_u32_e32 v12, 1, v12
	v_cmp_lt_u32_e32 vcc, 13, v13
	v_mov_b32_e32 v15, 0
	s_and_saveexec_b64 s[10:11], vcc
	s_cbranch_execz .LBB90_38
; %bb.35:
	v_mov_b32_e32 v14, 0x50
	v_and_b32_e32 v13, -8, v12
	v_lshl_add_u32 v14, v0, 2, v14
	s_mov_b32 s40, 0
	s_mov_b64 s[38:39], 0
.LBB90_36:                              ; =>This Inner Loop Header: Depth=1
	ds_read2st64_b32 v[16:17], v14 offset1:2
	ds_read2st64_b32 v[18:19], v14 offset0:4 offset1:6
	ds_read2st64_b32 v[20:21], v14 offset0:8 offset1:10
	ds_read2st64_b32 v[22:23], v14 offset0:12 offset1:14
	v_add_u32_e32 v13, -8, v13
	s_waitcnt lgkmcnt(3)
	v_pk_mul_f32 v[16:17], v[2:3], v[16:17]
	s_waitcnt lgkmcnt(2)
	v_pk_mul_f32 v[18:19], v[2:3], v[18:19]
	ds_write2st64_b32 v14, v16, v17 offset1:2
	ds_write2st64_b32 v14, v18, v19 offset0:4 offset1:6
	ds_read2st64_b32 v[18:19], v14 offset0:16 offset1:18
	s_waitcnt lgkmcnt(4)
	v_pk_mul_f32 v[16:17], v[2:3], v[20:21]
	ds_write2st64_b32 v14, v16, v17 offset0:8 offset1:10
	s_waitcnt lgkmcnt(4)
	v_pk_mul_f32 v[16:17], v[2:3], v[22:23]
	ds_write2st64_b32 v14, v16, v17 offset0:12 offset1:14
	ds_read2st64_b32 v[16:17], v14 offset0:20 offset1:22
	s_waitcnt lgkmcnt(3)
	v_pk_mul_f32 v[18:19], v[2:3], v[18:19]
	ds_read2st64_b32 v[20:21], v14 offset0:24 offset1:26
	ds_write2st64_b32 v14, v18, v19 offset0:16 offset1:18
	ds_read2st64_b32 v[18:19], v14 offset0:28 offset1:30
	s_waitcnt lgkmcnt(3)
	v_pk_mul_f32 v[16:17], v[2:3], v[16:17]
	ds_write2st64_b32 v14, v16, v17 offset0:20 offset1:22
	s_waitcnt lgkmcnt(3)
	v_pk_mul_f32 v[16:17], v[2:3], v[20:21]
	ds_write2st64_b32 v14, v16, v17 offset0:24 offset1:26
	s_waitcnt lgkmcnt(2)
	v_pk_mul_f32 v[16:17], v[2:3], v[18:19]
	s_add_i32 s40, s40, 16
	v_cmp_eq_u32_e32 vcc, 0, v13
	ds_write2st64_b32 v14, v16, v17 offset0:28 offset1:30
	v_add_u32_e32 v14, 0x2000, v14
	s_or_b64 s[38:39], vcc, s[38:39]
	v_mov_b32_e32 v15, s40
	s_andn2_b64 exec, exec, s[38:39]
	s_cbranch_execnz .LBB90_36
; %bb.37:
	s_or_b64 exec, exec, s[38:39]
.LBB90_38:
	s_or_b64 exec, exec, s[10:11]
	v_and_b32_e32 v12, 7, v12
	v_cmp_ne_u32_e32 vcc, 0, v12
	s_and_saveexec_b64 s[10:11], vcc
	s_cbranch_execz .LBB90_41
; %bb.39:
	v_lshlrev_b32_e32 v13, 9, v15
	v_lshlrev_b32_e32 v14, 2, v0
	s_movk_i32 s38, 0x50
	v_add3_u32 v13, v13, v14, s38
	s_mov_b64 s[38:39], 0
.LBB90_40:                              ; =>This Inner Loop Header: Depth=1
	ds_read2st64_b32 v[14:15], v13 offset1:2
	v_add_u32_e32 v12, -1, v12
	v_cmp_eq_u32_e32 vcc, 0, v12
	s_or_b64 s[38:39], vcc, s[38:39]
	s_waitcnt lgkmcnt(0)
	v_pk_mul_f32 v[14:15], v[2:3], v[14:15]
	ds_write2st64_b32 v13, v14, v15 offset1:2
	v_add_u32_e32 v13, 0x400, v13
	s_andn2_b64 exec, exec, s[38:39]
	s_cbranch_execnz .LBB90_40
.LBB90_41:
	s_or_b64 exec, exec, s[10:11]
	v_add_u32_e32 v9, 1, v9
	v_and_b32_e32 v12, 0x3fffffe, v9
	v_cmp_ne_u32_e32 vcc, v9, v12
	v_lshl_add_u32 v3, v12, 7, v0
	s_orn2_b64 s[10:11], vcc, exec
.LBB90_42:
	s_or_b64 exec, exec, s[4:5]
	s_and_b64 exec, exec, s[10:11]
	s_cbranch_execz .LBB90_45
; %bb.43:
	v_mov_b32_e32 v9, 0x50
	v_lshl_add_u32 v9, v3, 2, v9
	s_mov_b64 s[4:5], 0
.LBB90_44:                              ; =>This Inner Loop Header: Depth=1
	ds_read_b32 v12, v9
	v_add_u32_e32 v3, 0x80, v3
	v_cmp_le_i32_e32 vcc, s15, v3
	s_or_b64 s[4:5], vcc, s[4:5]
	s_waitcnt lgkmcnt(0)
	v_mul_f32_e32 v12, v2, v12
	ds_write_b32 v9, v12
	v_add_u32_e32 v9, 0x200, v9
	s_andn2_b64 exec, exec, s[4:5]
	s_cbranch_execnz .LBB90_44
.LBB90_45:
	s_or_b64 exec, exec, s[2:3]
	s_mul_i32 s2, s16, s28
	v_cmp_eq_u32_e32 vcc, 0, v0
	s_mul_i32 s2, s2, s9
	s_waitcnt lgkmcnt(0)
	s_barrier
	s_and_saveexec_b64 s[4:5], vcc
	s_cbranch_execz .LBB90_47
; %bb.46:
	s_ashr_i32 s3, s2, 31
	s_lshl_b64 s[10:11], s[2:3], 2
	s_add_u32 s3, s22, s10
	s_mul_i32 s22, s16, s6
	s_addc_u32 s9, s23, s11
	s_ashr_i32 s23, s22, 31
	s_lshl_b64 s[22:23], s[22:23], 2
	s_add_u32 s3, s3, s22
	s_addc_u32 s6, s9, s23
	s_ashr_i32 s9, s8, 31
	s_lshl_b64 s[8:9], s[8:9], 2
	s_add_u32 s38, s3, s8
	s_addc_u32 s39, s6, s9
	s_add_u32 s3, s20, s10
	s_addc_u32 s6, s21, s11
	;; [unrolled: 2-line block ×3, first 2 shown]
	s_add_u32 s8, s3, s8
	v_mov_b32_e32 v2, 0
	s_addc_u32 s9, s6, s9
	global_store_dword v2, v5, s[38:39]
	global_store_dword v2, v8, s[8:9]
.LBB90_47:
	s_or_b64 exec, exec, s[4:5]
	v_mov_b32_e32 v15, 0
	s_and_saveexec_b64 s[4:5], s[0:1]
	s_cbranch_execz .LBB90_55
; %bb.48:
	s_ashr_i32 s15, s14, 31
	s_sub_i32 s3, s48, s17
	v_lshlrev_b32_e32 v2, 3, v0
	s_lshl_b64 s[0:1], s[14:15], 1
	v_and_b32_e32 v12, 8, v2
	s_add_u32 s0, s36, s0
	v_lshlrev_b32_e32 v2, 4, v0
	s_addc_u32 s1, s37, s1
	v_and_b32_e32 v2, 0x3f0, v2
	s_abs_i32 s11, s18
	v_add_co_u32_e32 v13, vcc, s0, v2
	v_cvt_f32_u32_e32 v2, s11
	v_mov_b32_e32 v3, s1
	s_sub_i32 s0, 0, s11
	v_addc_co_u32_e32 v14, vcc, 0, v3, vcc
	v_rcp_iflag_f32_e32 v2, v2
	s_mov_b32 s10, s13
	s_add_i32 s13, s7, -1
	s_mov_b32 s14, s29
	v_mul_f32_e32 v2, 0x4f7ffffe, v2
	v_cvt_u32_f32_e32 v2, v2
	s_mov_b32 s15, s29
	s_mov_b32 s17, s29
	;; [unrolled: 1-line block ×3, first 2 shown]
	v_mul_lo_u32 v3, s0, v2
	v_mul_hi_u32 v3, v2, v3
	s_lshl_b64 s[0:1], s[34:35], 2
	v_add_u32_e32 v16, v2, v3
	v_lshlrev_b64 v[2:3], 2, v[6:7]
	s_add_u32 s0, s30, s0
	v_add_co_u32_e32 v8, vcc, s0, v2
	v_and_b32_e32 v2, 1, v0
	s_addc_u32 s1, s31, s1
	v_lshlrev_b32_e32 v2, 5, v2
	v_mov_b32_e32 v5, s1
	v_lshl_or_b32 v2, v4, 6, v2
	s_mov_b32 s20, s29
	s_mov_b32 s21, s29
	;; [unrolled: 1-line block ×3, first 2 shown]
	v_addc_co_u32_e32 v9, vcc, v5, v3, vcc
	v_add_u32_e32 v7, 0x50, v2
	s_mov_b64 s[6:7], 0
	v_mov_b32_e32 v15, 0
	s_mov_b32 s23, 0x5040100
	s_branch .LBB90_51
.LBB90_49:                              ;   in Loop: Header=BB90_51 Depth=1
	s_or_b64 exec, exec, s[8:9]
	v_and_b32_e32 v17, 0xffff, v17
	v_lshl_or_b32 v17, v18, 16, v17
	v_and_b32_e32 v18, 0xffff, v19
	v_lshl_or_b32 v18, v20, 16, v18
	v_and_b32_e32 v19, 0xffff, v21
	v_and_b32_e32 v20, 0xffff, v23
	s_waitcnt vmcnt(0)
	;;#ASMSTART
	v_pk_mul_f16 v2, v17, v2;

	;;#ASMEND
	v_lshl_or_b32 v19, v22, 16, v19
	v_lshl_or_b32 v20, v24, 16, v20
	;;#ASMSTART
	v_pk_mul_f16 v3, v18, v3;

	;;#ASMEND
	;;#ASMSTART
	v_pk_mul_f16 v4, v19, v4;

	;;#ASMEND
	;; [unrolled: 4-line block ×3, first 2 shown]
	;;#ASMSTART
	v_pk_add_f16 v2, v2, v3;

	;;#ASMEND
	;;#ASMSTART
	v_pk_add_f16 v2, v2, v4;

	;;#ASMEND
	;; [unrolled: 4-line block ×3, first 2 shown]
	v_lshrrev_b32_e32 v3, 16, v2
	v_and_b32_e32 v2, 0xffff, v2
	;;#ASMSTART
	v_cvt_f32_f16 v2, v2;
	;;#ASMEND
	;;#ASMSTART
	v_cvt_f32_f16 v3, v3;
	;;#ASMEND
	v_add_f32_e32 v2, v2, v3
	v_add_f32_e32 v15, v15, v2
.LBB90_50:                              ;   in Loop: Header=BB90_51 Depth=1
	s_or_b64 exec, exec, s[0:1]
	v_add_co_u32_e32 v8, vcc, 8, v8
	v_add_u32_e32 v6, 2, v6
	v_addc_co_u32_e32 v9, vcc, 0, v9, vcc
	v_cmp_le_i32_e32 vcc, s47, v6
	v_add_u32_e32 v1, 32, v1
	s_or_b64 s[6:7], vcc, s[6:7]
	v_add_u32_e32 v7, 0x80, v7
	s_andn2_b64 exec, exec, s[6:7]
	s_cbranch_execz .LBB90_54
.LBB90_51:                              ; =>This Inner Loop Header: Depth=1
	v_sub_u32_e32 v3, 0, v1
	v_max_i32_e32 v3, v1, v3
	v_mul_hi_u32 v4, v3, s33
	v_mul_lo_u32 v5, v4, s25
	v_sub_u32_e32 v3, v3, v5
	v_add_u32_e32 v5, 1, v4
	v_cmp_le_u32_e32 vcc, s25, v3
	v_cndmask_b32_e32 v4, v4, v5, vcc
	v_subrev_u32_e32 v5, s25, v3
	v_cndmask_b32_e32 v3, v3, v5, vcc
	v_ashrrev_i32_e32 v2, 31, v1
	v_add_u32_e32 v5, 1, v4
	v_cmp_le_u32_e32 vcc, s25, v3
	v_xor_b32_e32 v2, s19, v2
	v_cndmask_b32_e32 v3, v4, v5, vcc
	v_xor_b32_e32 v3, v3, v2
	v_sub_u32_e32 v2, v3, v2
	v_add_u32_e32 v3, s46, v2
	v_sub_u32_e32 v5, 0, v3
	v_ashrrev_i32_e32 v4, 31, v3
	v_max_i32_e32 v3, v3, v5
	v_mul_hi_u32 v5, v3, v16
	v_mul_lo_u32 v5, v5, s11
	v_sub_u32_e32 v3, v3, v5
	v_subrev_u32_e32 v5, s11, v3
	v_cmp_le_u32_e32 vcc, s11, v3
	v_cndmask_b32_e32 v3, v3, v5, vcc
	v_subrev_u32_e32 v5, s11, v3
	v_cmp_le_u32_e32 vcc, s11, v3
	v_cndmask_b32_e32 v3, v3, v5, vcc
	v_xor_b32_e32 v3, v3, v4
	v_sub_u32_e32 v3, v3, v4
	v_cmp_eq_u32_e32 vcc, 0, v3
	v_cmp_lt_i32_e64 s[0:1], s3, v2
	s_or_b64 s[8:9], vcc, s[0:1]
	s_and_saveexec_b64 s[0:1], s[8:9]
	s_cbranch_execz .LBB90_50
; %bb.52:                               ;   in Loop: Header=BB90_51 Depth=1
	global_load_dword v26, v[8:9], off
	ds_read2_b64 v[2:5], v7 offset1:1
	ds_read2_b64 v[22:25], v7 offset0:2 offset1:3
	s_waitcnt lgkmcnt(1)
	;;#ASMSTART
	v_cvt_f16_f32 v17, v2;

	;;#ASMEND
	;;#ASMSTART
	v_cvt_f16_f32 v18, v3;

	;;#ASMEND
	;; [unrolled: 4-line block ×4, first 2 shown]
	s_waitcnt lgkmcnt(0)
	;;#ASMSTART
	v_cvt_f16_f32 v21, v22;

	;;#ASMEND
	;;#ASMSTART
	v_cvt_f16_f32 v22, v23;

	;;#ASMEND
	;; [unrolled: 4-line block ×4, first 2 shown]
	s_waitcnt vmcnt(0)
	v_mad_i64_i32 v[2:3], s[8:9], v26, s10, 0
	v_lshlrev_b64 v[2:3], 1, v[2:3]
	v_add_co_u32_e32 v2, vcc, v13, v2
	v_addc_co_u32_e32 v3, vcc, v14, v3, vcc
	global_load_dwordx4 v[2:5], v[2:3], off
	v_cmp_eq_u32_e32 vcc, s13, v6
	s_and_saveexec_b64 s[8:9], vcc
	s_cbranch_execz .LBB90_49
; %bb.53:                               ;   in Loop: Header=BB90_51 Depth=1
	v_add_u32_e32 v25, v12, v1
	v_or_b32_e32 v31, 7, v25
	v_or_b32_e32 v32, 6, v25
	s_waitcnt vmcnt(0)
	v_lshrrev_b32_e32 v33, 16, v5
	v_cmp_gt_i32_e32 vcc, s22, v31
	v_cndmask_b32_e32 v31, 0, v33, vcc
	v_cmp_gt_i32_e32 vcc, s21, v32
	v_or_b32_e32 v29, 5, v25
	v_cndmask_b32_e32 v5, 0, v5, vcc
	v_or_b32_e32 v30, 4, v25
	v_perm_b32 v5, v31, v5, s23
	v_lshrrev_b32_e32 v31, 16, v4
	v_cmp_gt_i32_e32 vcc, s20, v29
	v_cndmask_b32_e32 v29, 0, v31, vcc
	v_cmp_gt_i32_e32 vcc, s18, v30
	v_or_b32_e32 v27, 3, v25
	v_cndmask_b32_e32 v4, 0, v4, vcc
	v_or_b32_e32 v28, 2, v25
	v_perm_b32 v4, v29, v4, s23
	v_lshrrev_b32_e32 v29, 16, v3
	v_cmp_gt_i32_e32 vcc, s17, v27
	v_cndmask_b32_e32 v27, 0, v29, vcc
	v_cmp_gt_i32_e32 vcc, s15, v28
	v_add_u32_e32 v26, 1, v25
	v_cndmask_b32_e32 v3, 0, v3, vcc
	v_perm_b32 v3, v27, v3, s23
	v_lshrrev_b32_e32 v27, 16, v2
	v_cmp_gt_i32_e32 vcc, s14, v26
	v_cndmask_b32_e32 v26, 0, v27, vcc
	v_cmp_gt_i32_e32 vcc, s29, v25
	v_cndmask_b32_e32 v2, 0, v2, vcc
	v_perm_b32 v2, v26, v2, s23
	s_branch .LBB90_49
.LBB90_54:
	s_or_b64 exec, exec, s[6:7]
.LBB90_55:
	s_or_b64 exec, exec, s[4:5]
	ds_bpermute_b32 v1, v11, v15
	v_and_b32_e32 v2, 0x3c1, v0
	v_cmp_eq_u32_e32 vcc, 64, v2
	s_waitcnt lgkmcnt(0)
	s_barrier
	v_add_f32_e32 v1, v15, v1
	s_and_saveexec_b64 s[0:1], vcc
	s_cbranch_execz .LBB90_57
; %bb.56:
	v_mov_b32_e32 v3, 0x50
	v_lshl_add_u32 v3, v10, 1, v3
	ds_write_b32 v3, v1
.LBB90_57:
	s_or_b64 exec, exec, s[0:1]
	v_cmp_eq_u32_e32 vcc, 0, v2
	s_waitcnt lgkmcnt(0)
	s_barrier
	s_and_saveexec_b64 s[0:1], vcc
	s_cbranch_execz .LBB90_59
; %bb.58:
	v_mov_b32_e32 v2, 0x50
	v_lshl_add_u32 v2, v0, 1, v2
	ds_read_b32 v2, v2
	s_waitcnt lgkmcnt(0)
	v_add_f32_e32 v1, v1, v2
.LBB90_59:
	s_or_b64 exec, exec, s[0:1]
	s_barrier
	s_and_saveexec_b64 s[0:1], vcc
	s_cbranch_execz .LBB90_61
; %bb.60:
	s_lshl_b32 s0, s2, 5
	s_ashr_i32 s1, s0, 31
	s_lshl_b64 s[0:1], s[0:1], 1
	s_add_u32 s2, s26, s0
	s_mul_i32 s0, s16, s24
	s_addc_u32 s3, s27, s1
	s_ashr_i32 s1, s0, 31
	s_lshl_b64 s[0:1], s[0:1], 1
	s_add_u32 s2, s2, s0
	s_addc_u32 s3, s3, s1
	s_ashr_i32 s13, s12, 31
	s_lshl_b64 s[0:1], s[12:13], 1
	s_add_u32 s0, s2, s0
	s_addc_u32 s1, s3, s1
	;;#ASMSTART
	v_cvt_f16_f32 v1, v1;

	;;#ASMEND
	global_store_short v0, v1, s[0:1]
.LBB90_61:
	s_endpgm
	.section	.rodata,"a",@progbits
	.p2align	6, 0x0
	.amdhsa_kernel _ZN4vllm25paged_attention_v2_kernelIttLi32ELi16ELi128ELNS_18Fp8KVCacheDataTypeE0ELb1ELi512EEEvPfS2_PT_PKS3_PKT0_S9_ifPKiSB_iPKfiiiSD_SD_iiiii
		.amdhsa_group_segment_fixed_size 80
		.amdhsa_private_segment_fixed_size 0
		.amdhsa_kernarg_size 400
		.amdhsa_user_sgpr_count 6
		.amdhsa_user_sgpr_private_segment_buffer 1
		.amdhsa_user_sgpr_dispatch_ptr 0
		.amdhsa_user_sgpr_queue_ptr 0
		.amdhsa_user_sgpr_kernarg_segment_ptr 1
		.amdhsa_user_sgpr_dispatch_id 0
		.amdhsa_user_sgpr_flat_scratch_init 0
		.amdhsa_user_sgpr_kernarg_preload_length 0
		.amdhsa_user_sgpr_kernarg_preload_offset 0
		.amdhsa_user_sgpr_private_segment_size 0
		.amdhsa_uses_dynamic_stack 0
		.amdhsa_system_sgpr_private_segment_wavefront_offset 0
		.amdhsa_system_sgpr_workgroup_id_x 1
		.amdhsa_system_sgpr_workgroup_id_y 1
		.amdhsa_system_sgpr_workgroup_id_z 1
		.amdhsa_system_sgpr_workgroup_info 0
		.amdhsa_system_vgpr_workitem_id 0
		.amdhsa_next_free_vgpr 37
		.amdhsa_next_free_sgpr 52
		.amdhsa_accum_offset 40
		.amdhsa_reserve_vcc 1
		.amdhsa_reserve_flat_scratch 0
		.amdhsa_float_round_mode_32 0
		.amdhsa_float_round_mode_16_64 0
		.amdhsa_float_denorm_mode_32 3
		.amdhsa_float_denorm_mode_16_64 3
		.amdhsa_dx10_clamp 1
		.amdhsa_ieee_mode 1
		.amdhsa_fp16_overflow 0
		.amdhsa_tg_split 0
		.amdhsa_exception_fp_ieee_invalid_op 0
		.amdhsa_exception_fp_denorm_src 0
		.amdhsa_exception_fp_ieee_div_zero 0
		.amdhsa_exception_fp_ieee_overflow 0
		.amdhsa_exception_fp_ieee_underflow 0
		.amdhsa_exception_fp_ieee_inexact 0
		.amdhsa_exception_int_div_zero 0
	.end_amdhsa_kernel
	.section	.text._ZN4vllm25paged_attention_v2_kernelIttLi32ELi16ELi128ELNS_18Fp8KVCacheDataTypeE0ELb1ELi512EEEvPfS2_PT_PKS3_PKT0_S9_ifPKiSB_iPKfiiiSD_SD_iiiii,"axG",@progbits,_ZN4vllm25paged_attention_v2_kernelIttLi32ELi16ELi128ELNS_18Fp8KVCacheDataTypeE0ELb1ELi512EEEvPfS2_PT_PKS3_PKT0_S9_ifPKiSB_iPKfiiiSD_SD_iiiii,comdat
.Lfunc_end90:
	.size	_ZN4vllm25paged_attention_v2_kernelIttLi32ELi16ELi128ELNS_18Fp8KVCacheDataTypeE0ELb1ELi512EEEvPfS2_PT_PKS3_PKT0_S9_ifPKiSB_iPKfiiiSD_SD_iiiii, .Lfunc_end90-_ZN4vllm25paged_attention_v2_kernelIttLi32ELi16ELi128ELNS_18Fp8KVCacheDataTypeE0ELb1ELi512EEEvPfS2_PT_PKS3_PKT0_S9_ifPKiSB_iPKfiiiSD_SD_iiiii
                                        ; -- End function
	.section	.AMDGPU.csdata,"",@progbits
; Kernel info:
; codeLenInByte = 4552
; NumSgprs: 56
; NumVgprs: 37
; NumAgprs: 0
; TotalNumVgprs: 37
; ScratchSize: 0
; MemoryBound: 0
; FloatMode: 240
; IeeeMode: 1
; LDSByteSize: 80 bytes/workgroup (compile time only)
; SGPRBlocks: 6
; VGPRBlocks: 4
; NumSGPRsForWavesPerEU: 56
; NumVGPRsForWavesPerEU: 37
; AccumOffset: 40
; Occupancy: 8
; WaveLimiterHint : 1
; COMPUTE_PGM_RSRC2:SCRATCH_EN: 0
; COMPUTE_PGM_RSRC2:USER_SGPR: 6
; COMPUTE_PGM_RSRC2:TRAP_HANDLER: 0
; COMPUTE_PGM_RSRC2:TGID_X_EN: 1
; COMPUTE_PGM_RSRC2:TGID_Y_EN: 1
; COMPUTE_PGM_RSRC2:TGID_Z_EN: 1
; COMPUTE_PGM_RSRC2:TIDIG_COMP_CNT: 0
; COMPUTE_PGM_RSRC3_GFX90A:ACCUM_OFFSET: 9
; COMPUTE_PGM_RSRC3_GFX90A:TG_SPLIT: 0
	.section	.text._ZN4vllm25paged_attention_v2_kernelIttLi64ELi16ELi128ELNS_18Fp8KVCacheDataTypeE0ELb1ELi512EEEvPfS2_PT_PKS3_PKT0_S9_ifPKiSB_iPKfiiiSD_SD_iiiii,"axG",@progbits,_ZN4vllm25paged_attention_v2_kernelIttLi64ELi16ELi128ELNS_18Fp8KVCacheDataTypeE0ELb1ELi512EEEvPfS2_PT_PKS3_PKT0_S9_ifPKiSB_iPKfiiiSD_SD_iiiii,comdat
	.protected	_ZN4vllm25paged_attention_v2_kernelIttLi64ELi16ELi128ELNS_18Fp8KVCacheDataTypeE0ELb1ELi512EEEvPfS2_PT_PKS3_PKT0_S9_ifPKiSB_iPKfiiiSD_SD_iiiii ; -- Begin function _ZN4vllm25paged_attention_v2_kernelIttLi64ELi16ELi128ELNS_18Fp8KVCacheDataTypeE0ELb1ELi512EEEvPfS2_PT_PKS3_PKT0_S9_ifPKiSB_iPKfiiiSD_SD_iiiii
	.globl	_ZN4vllm25paged_attention_v2_kernelIttLi64ELi16ELi128ELNS_18Fp8KVCacheDataTypeE0ELb1ELi512EEEvPfS2_PT_PKS3_PKT0_S9_ifPKiSB_iPKfiiiSD_SD_iiiii
	.p2align	8
	.type	_ZN4vllm25paged_attention_v2_kernelIttLi64ELi16ELi128ELNS_18Fp8KVCacheDataTypeE0ELb1ELi512EEEvPfS2_PT_PKS3_PKT0_S9_ifPKiSB_iPKfiiiSD_SD_iiiii,@function
_ZN4vllm25paged_attention_v2_kernelIttLi64ELi16ELi128ELNS_18Fp8KVCacheDataTypeE0ELb1ELi512EEEvPfS2_PT_PKS3_PKT0_S9_ifPKiSB_iPKfiiiSD_SD_iiiii: ; @_ZN4vllm25paged_attention_v2_kernelIttLi64ELi16ELi128ELNS_18Fp8KVCacheDataTypeE0ELb1ELi512EEEvPfS2_PT_PKS3_PKT0_S9_ifPKiSB_iPKfiiiSD_SD_iiiii
; %bb.0:
	s_load_dwordx2 s[0:1], s[4:5], 0x40
	s_mov_b32 s28, s7
	s_ashr_i32 s29, s7, 31
	s_lshl_b64 s[2:3], s[28:29], 2
	s_waitcnt lgkmcnt(0)
	s_add_u32 s0, s0, s2
	s_addc_u32 s1, s1, s3
	s_load_dword s29, s[0:1], 0x0
	s_lshl_b32 s48, s8, 9
	s_waitcnt lgkmcnt(0)
	s_cmp_ge_i32 s48, s29
	s_cbranch_scc1 .LBB91_67
; %bb.1:
	s_load_dword s9, s[4:5], 0x90
	s_load_dwordx2 s[38:39], s[4:5], 0x30
	s_mov_b32 s49, 0
	s_waitcnt lgkmcnt(0)
	s_abs_i32 s2, s9
	s_abs_i32 s0, s38
	v_cvt_f32_u32_e32 v1, s0
	s_sub_i32 s3, 0, s0
	s_xor_b32 s1, s9, s38
	s_ashr_i32 s1, s1, 31
	v_rcp_iflag_f32_e32 v1, v1
	v_mul_f32_e32 v1, 0x4f7ffffe, v1
	v_cvt_u32_f32_e32 v1, v1
	v_readfirstlane_b32 s7, v1
	s_mul_i32 s3, s3, s7
	s_mul_hi_u32 s3, s7, s3
	s_add_i32 s7, s7, s3
	s_mul_hi_u32 s3, s2, s7
	s_mul_i32 s7, s3, s0
	s_sub_i32 s2, s2, s7
	s_add_i32 s10, s3, 1
	s_sub_i32 s7, s2, s0
	s_cmp_ge_u32 s2, s0
	s_cselect_b32 s3, s10, s3
	s_cselect_b32 s2, s7, s2
	s_add_i32 s7, s3, 1
	s_cmp_ge_u32 s2, s0
	s_cselect_b32 s0, s7, s3
	s_xor_b32 s0, s0, s1
	s_sub_i32 s11, s0, s1
	s_abs_i32 s2, s11
	v_cvt_f32_u32_e32 v1, s2
	s_load_dwordx2 s[0:1], s[4:5], 0x50
	s_sub_i32 s7, 0, s2
	s_abs_i32 s3, s6
	v_rcp_iflag_f32_e32 v1, v1
	v_mul_f32_e32 v1, 0x4f7ffffe, v1
	v_cvt_u32_f32_e32 v1, v1
	v_readfirstlane_b32 s10, v1
	s_mul_i32 s7, s7, s10
	s_mul_hi_u32 s7, s10, s7
	s_add_i32 s10, s10, s7
	s_waitcnt lgkmcnt(0)
	s_cmp_eq_u64 s[0:1], 0
	s_mul_hi_u32 s10, s3, s10
	s_cbranch_scc1 .LBB91_3
; %bb.2:
	s_ashr_i32 s7, s6, 31
	s_lshl_b64 s[12:13], s[6:7], 2
	s_add_u32 s0, s0, s12
	s_addc_u32 s1, s1, s13
	s_load_dword s49, s[0:1], 0x0
.LBB91_3:
	s_load_dwordx4 s[12:15], s[4:5], 0x58
	s_ashr_i32 s7, s6, 31
	s_ashr_i32 s11, s11, 31
	v_and_b32_e32 v2, 3, v0
	s_lshl_b32 s24, s6, 6
	v_cmp_gt_u32_e32 vcc, 32, v0
	s_and_saveexec_b64 s[0:1], vcc
	s_cbranch_execz .LBB91_5
; %bb.4:
	s_load_dwordx2 s[16:17], s[4:5], 0x18
	s_waitcnt lgkmcnt(0)
	s_mul_i32 s18, s28, s12
	s_ashr_i32 s19, s18, 31
	s_lshl_b64 s[18:19], s[18:19], 1
	v_lshlrev_b32_e32 v1, 2, v0
	s_add_u32 s12, s16, s18
	s_addc_u32 s15, s17, s19
	s_ashr_i32 s25, s24, 31
	s_lshl_b64 s[16:17], s[24:25], 1
	s_add_u32 s16, s12, s16
	s_addc_u32 s17, s15, s17
	global_load_dword v1, v1, s[16:17]
	v_and_b32_e32 v3, 0x3fc, v0
	v_lshl_add_u32 v3, v2, 5, v3
	s_waitcnt vmcnt(0)
	ds_write_b32 v3, v1
.LBB91_5:
	s_or_b64 exec, exec, s[0:1]
	s_mul_i32 s1, s10, s2
	s_sub_i32 s1, s3, s1
	s_xor_b32 s0, s7, s11
	s_add_i32 s3, s10, 1
	s_sub_i32 s7, s1, s2
	s_load_dwordx4 s[16:19], s[4:5], 0x78
	s_cmp_ge_u32 s1, s2
	s_cselect_b32 s3, s3, s10
	s_load_dword s10, s[4:5], 0x88
	s_cselect_b32 s1, s7, s1
	s_add_i32 s7, s3, 1
	s_cmp_ge_u32 s1, s2
	s_cselect_b32 s1, s7, s3
	s_waitcnt lgkmcnt(0)
	s_abs_i32 s25, s19
	v_cvt_f32_u32_e32 v1, s25
	s_xor_b32 s1, s1, s0
	s_sub_i32 s2, s1, s0
	s_sub_i32 s0, 0, s25
	v_rcp_iflag_f32_e32 v1, v1
	s_add_i32 s11, s29, -1
	s_abs_i32 s3, s11
	v_mul_f32_e32 v1, 0x4f7ffffe, v1
	v_cvt_u32_f32_e32 v1, v1
	s_barrier
	v_readfirstlane_b32 s33, v1
	s_mul_i32 s0, s0, s33
	s_mul_hi_u32 s0, s33, s0
	s_add_i32 s33, s33, s0
	s_cmp_lt_i32 s10, 0
	s_mul_hi_u32 s7, s3, s33
	s_cbranch_scc0 .LBB91_7
; %bb.6:
	s_mul_i32 s0, s16, s38
	s_add_i32 s0, s2, s0
	s_mul_i32 s0, s0, s10
	s_sub_i32 s46, 1, s0
	s_mov_b64 s[0:1], 0
	s_branch .LBB91_8
.LBB91_7:
	s_mov_b64 s[0:1], -1
                                        ; implicit-def: $sgpr46
.LBB91_8:
	s_load_dwordx2 s[30:31], s[4:5], 0x38
	s_ashr_i32 s11, s11, 31
	s_andn2_b64 vcc, exec, s[0:1]
	s_ashr_i32 s19, s19, 31
	s_cbranch_vccnz .LBB91_10
; %bb.9:
	s_mul_i32 s0, s9, s16
	s_add_i32 s0, s0, s6
	s_mul_i32 s0, s0, s10
	s_add_i32 s46, s0, 1
.LBB91_10:
	s_load_dword s0, s[4:5], 0x48
	s_load_dwordx2 s[36:37], s[4:5], 0x28
	s_load_dword s16, s[4:5], 0x98
	s_load_dwordx4 s[20:23], s[4:5], 0x0
	s_load_dwordx2 s[26:27], s[4:5], 0x10
	s_mul_i32 s1, s7, s25
	s_waitcnt lgkmcnt(0)
	s_mul_i32 s34, s28, s0
	s_sub_i32 s1, s3, s1
	s_ashr_i32 s35, s34, 31
	s_xor_b32 s0, s11, s19
	s_add_i32 s3, s7, 1
	s_sub_i32 s10, s1, s25
	s_cmp_ge_u32 s1, s25
	s_cselect_b32 s3, s3, s7
	s_cselect_b32 s1, s10, s1
	s_add_i32 s7, s3, 1
	s_cmp_ge_u32 s1, s25
	s_cselect_b32 s1, s7, s3
	s_xor_b32 s1, s1, s0
	s_sub_i32 s12, s1, s0
	s_add_i32 s0, s29, 15
	s_ashr_i32 s1, s0, 31
	s_lshr_b32 s1, s1, 28
	s_add_i32 s0, s0, s1
	s_lshl_b32 s38, s8, 5
	s_ashr_i32 s7, s0, 4
	s_add_i32 s0, s38, 32
	v_lshrrev_b32_e32 v4, 6, v0
	s_min_i32 s47, s0, s7
	v_or_b32_e32 v6, s38, v4
	v_cmp_gt_i32_e64 s[0:1], s47, v6
	v_mov_b32_e32 v12, 0xff7fffff
	s_mul_i32 s14, s2, s14
	v_ashrrev_i32_e32 v7, 31, v6
	v_lshl_add_u32 v1, v4, 4, s48
	v_mbcnt_lo_u32_b32 v5, -1, 0
	s_and_saveexec_b64 s[40:41], s[0:1]
	s_cbranch_execz .LBB91_20
; %bb.11:
	s_load_dwordx2 s[2:3], s[4:5], 0x20
	s_ashr_i32 s15, s14, 31
	s_sub_i32 s50, s12, s17
	s_lshl_b64 s[4:5], s[14:15], 1
	v_bfe_u32 v8, v0, 2, 4
	s_waitcnt lgkmcnt(0)
	s_add_u32 s2, s2, s4
	s_addc_u32 s3, s3, s5
	s_abs_i32 s15, s18
	v_cvt_f32_u32_e32 v10, s15
	v_lshlrev_b32_e32 v3, 4, v8
	v_mov_b32_e32 v9, s3
	v_add_co_u32_e64 v3, s[2:3], s2, v3
	v_rcp_iflag_f32_e32 v12, v10
	v_addc_co_u32_e64 v11, s[2:3], 0, v9, s[2:3]
	v_lshlrev_b32_e32 v9, 2, v0
	v_and_b32_e32 v9, 12, v9
	v_add_co_u32_e64 v9, s[2:3], v3, v9
	v_mul_f32_e32 v3, 0x4f7ffffe, v12
	v_cvt_u32_f32_e32 v3, v3
	s_sub_i32 s4, 0, s15
	v_cmp_eq_u32_e32 vcc, 0, v2
	v_addc_co_u32_e64 v10, s[2:3], 0, v11, s[2:3]
	v_lshlrev_b32_e32 v11, 5, v2
	v_mul_lo_u32 v2, s4, v3
	s_lshl_b64 s[4:5], s[34:35], 2
	v_mul_hi_u32 v2, v3, v2
	s_add_u32 s4, s30, s4
	v_add_u32_e32 v13, v3, v2
	v_lshlrev_b64 v[2:3], 2, v[6:7]
	s_addc_u32 s5, s31, s5
	v_mov_b32_e32 v12, s5
	v_add_co_u32_e64 v2, s[4:5], s4, v2
	v_addc_co_u32_e64 v3, s[4:5], v12, v3, s[4:5]
	v_lshlrev_b32_e32 v12, 2, v8
	v_lshl_or_b32 v12, v4, 6, v12
	v_add_u32_e32 v15, 0x90, v12
	v_subrev_u32_e32 v12, s29, v8
	v_mbcnt_hi_u32_b32 v18, -1, v5
	v_add_u32_e32 v16, 1, v12
	v_and_b32_e32 v12, 64, v18
	s_mov_b32 s51, s13
	v_cmp_neq_f32_e64 s[2:3], s49, 0
	v_lshl_add_u32 v14, v4, 4, s48
	s_mov_b64 s[42:43], 0
	v_mov_b32_e32 v17, 0xff7fffff
	v_add_u32_e32 v19, 64, v12
	v_xor_b32_e32 v20, 2, v18
	v_xor_b32_e32 v21, 1, v18
	v_mov_b32_e32 v12, 0xff7fffff
	v_mov_b32_e32 v22, v6
	s_branch .LBB91_14
.LBB91_12:                              ;   in Loop: Header=BB91_14 Depth=1
	s_or_b64 exec, exec, s[44:45]
.LBB91_13:                              ;   in Loop: Header=BB91_14 Depth=1
	s_or_b64 exec, exec, s[10:11]
	v_add_co_u32_e64 v2, s[4:5], 8, v2
	v_add_u32_e32 v22, 2, v22
	v_addc_co_u32_e64 v3, s[4:5], 0, v3, s[4:5]
	v_cmp_le_i32_e64 s[4:5], s47, v22
	v_add_u32_e32 v14, 32, v14
	s_or_b64 s[42:43], s[4:5], s[42:43]
	v_add_u32_e32 v15, 0x80, v15
	s_andn2_b64 exec, exec, s[42:43]
	s_cbranch_execz .LBB91_19
.LBB91_14:                              ; =>This Inner Loop Header: Depth=1
	s_waitcnt lgkmcnt(0)
	v_sub_u32_e32 v24, 0, v14
	v_max_i32_e32 v24, v14, v24
	v_mul_hi_u32 v25, v24, s33
	v_mul_lo_u32 v26, v25, s25
	v_sub_u32_e32 v24, v24, v26
	v_add_u32_e32 v26, 1, v25
	v_cmp_le_u32_e64 s[4:5], s25, v24
	v_cndmask_b32_e64 v25, v25, v26, s[4:5]
	v_subrev_u32_e32 v26, s25, v24
	v_cndmask_b32_e64 v24, v24, v26, s[4:5]
	v_ashrrev_i32_e32 v23, 31, v14
	v_add_u32_e32 v26, 1, v25
	v_cmp_le_u32_e64 s[4:5], s25, v24
	v_xor_b32_e32 v23, s19, v23
	v_cndmask_b32_e64 v24, v25, v26, s[4:5]
	v_xor_b32_e32 v24, v24, v23
	v_sub_u32_e32 v23, v24, v23
	v_add_u32_e32 v24, s46, v23
	v_sub_u32_e32 v26, 0, v24
	v_ashrrev_i32_e32 v25, 31, v24
	v_max_i32_e32 v24, v24, v26
	v_mul_hi_u32 v26, v24, v13
	v_mul_lo_u32 v26, v26, s15
	v_sub_u32_e32 v24, v24, v26
	v_subrev_u32_e32 v26, s15, v24
	v_cmp_le_u32_e64 s[4:5], s15, v24
	v_cndmask_b32_e64 v24, v24, v26, s[4:5]
	v_subrev_u32_e32 v26, s15, v24
	v_cmp_le_u32_e64 s[4:5], s15, v24
	v_cndmask_b32_e64 v24, v24, v26, s[4:5]
	v_xor_b32_e32 v24, v24, v25
	v_sub_u32_e32 v24, v24, v25
	v_cmp_ne_u32_e64 s[4:5], 0, v24
	v_cmp_ge_i32_e64 s[10:11], s50, v23
	s_and_b64 s[4:5], s[4:5], s[10:11]
	s_and_b64 s[44:45], vcc, s[4:5]
	s_and_saveexec_b64 s[10:11], s[44:45]
	s_cbranch_execz .LBB91_16
; %bb.15:                               ;   in Loop: Header=BB91_14 Depth=1
	ds_write_b32 v15, v17
.LBB91_16:                              ;   in Loop: Header=BB91_14 Depth=1
	s_or_b64 exec, exec, s[10:11]
	s_xor_b64 s[4:5], s[4:5], -1
	s_and_saveexec_b64 s[10:11], s[4:5]
	s_cbranch_execz .LBB91_13
; %bb.17:                               ;   in Loop: Header=BB91_14 Depth=1
	global_load_dword v23, v[2:3], off
	s_waitcnt vmcnt(0)
	v_mad_i64_i32 v[24:25], s[4:5], v23, s51, 0
	v_lshlrev_b64 v[24:25], 1, v[24:25]
	v_add_co_u32_e64 v24, s[4:5], v9, v24
	v_addc_co_u32_e64 v25, s[4:5], v10, v25, s[4:5]
	global_load_dword v23, v[24:25], off
	global_load_dword v26, v[24:25], off offset:256
	global_load_dword v27, v[24:25], off offset:512
	;; [unrolled: 1-line block ×6, first 2 shown]
	s_nop 0
	global_load_dword v24, v[24:25], off offset:1792
	ds_read_b32 v25, v11
	v_cmp_lt_i32_e64 s[4:5], v20, v19
	v_cndmask_b32_e64 v32, v18, v20, s[4:5]
	v_lshlrev_b32_e32 v32, 2, v32
	v_cmp_lt_i32_e64 s[4:5], v21, v19
	s_waitcnt lgkmcnt(0)
	v_lshrrev_b32_e32 v33, 16, v25
	v_and_b32_e32 v25, 0xffff, v25
	;;#ASMSTART
	v_cvt_f32_f16 v25, v25;
	;;#ASMEND
	;;#ASMSTART
	v_cvt_f32_f16 v33, v33;
	;;#ASMEND
	s_waitcnt vmcnt(7)
	v_lshrrev_b32_e32 v34, 16, v23
	v_and_b32_e32 v23, 0xffff, v23
	;;#ASMSTART
	v_cvt_f32_f16 v23, v23;
	;;#ASMEND
	;;#ASMSTART
	v_cvt_f32_f16 v34, v34;
	;;#ASMEND
	ds_read_b32 v35, v11 offset:4
	s_waitcnt vmcnt(6)
	v_lshrrev_b32_e32 v36, 16, v26
	v_and_b32_e32 v26, 0xffff, v26
	s_waitcnt vmcnt(5)
	v_lshrrev_b32_e32 v37, 16, v27
	v_and_b32_e32 v27, 0xffff, v27
	s_waitcnt lgkmcnt(0)
	v_lshrrev_b32_e32 v38, 16, v35
	v_and_b32_e32 v35, 0xffff, v35
	;;#ASMSTART
	v_cvt_f32_f16 v35, v35;
	;;#ASMEND
	;;#ASMSTART
	v_cvt_f32_f16 v38, v38;
	;;#ASMEND
	;; [unrolled: 3-line block ×4, first 2 shown]
	ds_read_b32 v39, v11 offset:8
	s_waitcnt vmcnt(4)
	v_lshrrev_b32_e32 v40, 16, v28
	v_and_b32_e32 v28, 0xffff, v28
	s_waitcnt vmcnt(3)
	v_lshrrev_b32_e32 v41, 16, v29
	v_and_b32_e32 v29, 0xffff, v29
	s_waitcnt lgkmcnt(0)
	v_lshrrev_b32_e32 v42, 16, v39
	v_and_b32_e32 v39, 0xffff, v39
	;;#ASMSTART
	v_cvt_f32_f16 v39, v39;
	;;#ASMEND
	;;#ASMSTART
	v_cvt_f32_f16 v42, v42;
	;;#ASMEND
	;; [unrolled: 3-line block ×4, first 2 shown]
	ds_read_b32 v43, v11 offset:12
	v_mul_f32_e32 v26, v35, v26
	v_mul_f32_e32 v35, v38, v36
	s_waitcnt vmcnt(2)
	v_lshrrev_b32_e32 v44, 16, v30
	v_and_b32_e32 v30, 0xffff, v30
	s_waitcnt lgkmcnt(0)
	v_lshrrev_b32_e32 v46, 16, v43
	v_and_b32_e32 v43, 0xffff, v43
	;;#ASMSTART
	v_cvt_f32_f16 v43, v43;
	;;#ASMEND
	;;#ASMSTART
	v_cvt_f32_f16 v46, v46;
	;;#ASMEND
	;; [unrolled: 3-line block ×4, first 2 shown]
	ds_read_b32 v47, v11 offset:16
	v_fmac_f32_e32 v26, v25, v23
	v_fmac_f32_e32 v35, v33, v34
	;; [unrolled: 1-line block ×4, first 2 shown]
	s_waitcnt lgkmcnt(0)
	v_lshrrev_b32_e32 v36, 16, v47
	v_and_b32_e32 v38, 0xffff, v47
	;;#ASMSTART
	v_cvt_f32_f16 v38, v38;
	;;#ASMEND
	;;#ASMSTART
	v_cvt_f32_f16 v36, v36;
	;;#ASMEND
	;; [unrolled: 3-line block ×4, first 2 shown]
	ds_read_b32 v47, v11 offset:20
	s_waitcnt vmcnt(1)
	v_lshrrev_b32_e32 v45, 16, v31
	v_and_b32_e32 v31, 0xffff, v31
	v_fmac_f32_e32 v26, v38, v29
	v_fmac_f32_e32 v35, v42, v37
	s_waitcnt lgkmcnt(0)
	v_lshrrev_b32_e32 v23, 16, v47
	v_and_b32_e32 v25, 0xffff, v47
	;;#ASMSTART
	v_cvt_f32_f16 v25, v25;
	;;#ASMEND
	;;#ASMSTART
	v_cvt_f32_f16 v23, v23;
	;;#ASMEND
	;; [unrolled: 3-line block ×4, first 2 shown]
	ds_read_b32 v33, v11 offset:24
	v_fmac_f32_e32 v35, v46, v40
	v_fmac_f32_e32 v35, v36, v41
	;; [unrolled: 1-line block ×4, first 2 shown]
	s_waitcnt lgkmcnt(0)
	v_lshrrev_b32_e32 v28, 16, v33
	v_and_b32_e32 v29, 0xffff, v33
	;;#ASMSTART
	v_cvt_f32_f16 v29, v29;
	;;#ASMEND
	;;#ASMSTART
	v_cvt_f32_f16 v28, v28;
	;;#ASMEND
	;; [unrolled: 3-line block ×4, first 2 shown]
	ds_read_b32 v34, v11 offset:28
	s_waitcnt vmcnt(0)
	v_lshrrev_b32_e32 v48, 16, v24
	v_and_b32_e32 v24, 0xffff, v24
	v_fmac_f32_e32 v26, v29, v31
	v_fmac_f32_e32 v35, v28, v33
	s_waitcnt lgkmcnt(0)
	v_lshrrev_b32_e32 v23, 16, v34
	v_and_b32_e32 v25, 0xffff, v34
	;;#ASMSTART
	v_cvt_f32_f16 v25, v25;
	;;#ASMEND
	;;#ASMSTART
	v_cvt_f32_f16 v23, v23;
	;;#ASMEND
	;; [unrolled: 3-line block ×4, first 2 shown]
	v_fmac_f32_e32 v26, v25, v24
	v_fmac_f32_e32 v35, v23, v27
	v_add_f32_e32 v23, v26, v35
	ds_bpermute_b32 v24, v32, v23
	v_cndmask_b32_e64 v25, v18, v21, s[4:5]
	s_waitcnt lgkmcnt(0)
	v_add_f32_e32 v23, v23, v24
	v_lshlrev_b32_e32 v24, 2, v25
	ds_bpermute_b32 v24, v24, v23
	s_and_saveexec_b64 s[44:45], vcc
	s_cbranch_execz .LBB91_12
; %bb.18:                               ;   in Loop: Header=BB91_14 Depth=1
	v_add_u32_e32 v25, v16, v14
	v_cvt_f32_i32_e32 v25, v25
	s_waitcnt lgkmcnt(0)
	v_add_f32_e32 v23, v23, v24
	v_add_u32_e32 v26, v8, v14
	v_cmp_gt_i32_e64 s[4:5], s29, v26
	v_mul_f32_e32 v24, s49, v25
	v_cndmask_b32_e64 v24, 0, v24, s[2:3]
	v_fmac_f32_e32 v24, s39, v23
	v_cndmask_b32_e64 v23, 0, v24, s[4:5]
	ds_write_b32 v15, v23
	v_max_f32_e32 v23, v12, v12
	v_max_f32_e32 v23, v23, v24
	v_cndmask_b32_e64 v12, v12, v23, s[4:5]
	s_branch .LBB91_12
.LBB91_19:
	s_or_b64 exec, exec, s[42:43]
.LBB91_20:
	s_or_b64 exec, exec, s[40:41]
	v_mbcnt_hi_u32_b32 v2, -1, v5
	v_and_b32_e32 v3, 64, v2
	v_add_u32_e32 v3, 64, v3
	v_xor_b32_e32 v5, 32, v2
	v_cmp_lt_i32_e32 vcc, v5, v3
	v_cndmask_b32_e32 v5, v2, v5, vcc
	v_lshlrev_b32_e32 v8, 2, v5
	ds_bpermute_b32 v5, v8, v12
	v_xor_b32_e32 v10, 16, v2
	v_max_f32_e32 v9, v12, v12
	v_cmp_lt_i32_e32 vcc, v10, v3
	v_xor_b32_e32 v11, 8, v2
	s_waitcnt lgkmcnt(0)
	v_max_f32_e32 v5, v5, v5
	v_max_f32_e32 v5, v9, v5
	v_cndmask_b32_e32 v9, v2, v10, vcc
	v_lshlrev_b32_e32 v9, 2, v9
	ds_bpermute_b32 v10, v9, v5
	v_cmp_lt_i32_e32 vcc, v11, v3
	v_and_b32_e32 v14, 63, v0
	s_waitcnt lgkmcnt(0)
	v_max_f32_e32 v10, v10, v10
	v_max_f32_e32 v5, v5, v10
	v_cndmask_b32_e32 v10, v2, v11, vcc
	v_lshlrev_b32_e32 v12, 2, v10
	ds_bpermute_b32 v10, v12, v5
	v_xor_b32_e32 v11, 4, v2
	v_cmp_lt_i32_e32 vcc, v11, v3
	s_waitcnt lgkmcnt(0)
	v_max_f32_e32 v10, v10, v10
	v_max_f32_e32 v5, v5, v10
	v_cndmask_b32_e32 v10, v2, v11, vcc
	v_lshlrev_b32_e32 v13, 2, v10
	ds_bpermute_b32 v11, v13, v5
	v_cmp_eq_u32_e32 vcc, 0, v14
	v_lshlrev_b32_e32 v10, 2, v4
	s_and_saveexec_b64 s[2:3], vcc
	s_cbranch_execz .LBB91_22
; %bb.21:
	s_waitcnt lgkmcnt(0)
	v_max_f32_e32 v11, v11, v11
	v_max_f32_e32 v5, v5, v5
	;; [unrolled: 1-line block ×3, first 2 shown]
	ds_write_b32 v10, v5 offset:128
.LBB91_22:
	s_or_b64 exec, exec, s[2:3]
	v_cmp_gt_u32_e64 s[2:3], 2, v14
	v_mov_b32_e32 v5, 0xff7fffff
	s_waitcnt lgkmcnt(0)
	v_lshlrev_b32_e32 v11, 2, v14
	s_barrier
	s_and_saveexec_b64 s[4:5], s[2:3]
	s_cbranch_execz .LBB91_24
; %bb.23:
	ds_read_b32 v5, v11 offset:128
.LBB91_24:
	s_or_b64 exec, exec, s[4:5]
	v_xor_b32_e32 v15, 1, v2
	v_cmp_lt_i32_e64 s[4:5], v15, v3
	v_cndmask_b32_e64 v15, v2, v15, s[4:5]
	v_lshlrev_b32_e32 v15, 2, v15
	s_waitcnt lgkmcnt(0)
	ds_bpermute_b32 v16, v15, v5
	v_max_f32_e32 v5, v5, v5
	s_sub_i32 s4, s47, s38
	s_lshl_b32 s4, s4, 4
	s_add_i32 s4, s4, s48
	s_waitcnt lgkmcnt(0)
	v_max_f32_e32 v16, v16, v16
	v_max_f32_e32 v5, v5, v16
	v_lshlrev_b32_e32 v16, 2, v2
	v_and_b32_e32 v16, 0x100, v16
	ds_bpermute_b32 v5, v16, v5
	s_min_i32 s42, s4, s29
	s_sub_i32 s15, s42, s48
	v_cmp_gt_i32_e64 s[4:5], s15, v0
	v_mov_b32_e32 v17, 0
	s_and_saveexec_b64 s[38:39], s[4:5]
	s_cbranch_execz .LBB91_28
; %bb.25:
	v_mov_b32_e32 v17, 0x90
	v_lshl_add_u32 v18, v0, 2, v17
	s_mov_b64 s[40:41], 0
	v_mov_b32_e32 v17, 0
	v_mov_b32_e32 v19, v0
.LBB91_26:                              ; =>This Inner Loop Header: Depth=1
	ds_read_b32 v20, v18
	v_add_u32_e32 v19, 0x80, v19
	v_cmp_le_i32_e64 s[10:11], s15, v19
	s_or_b64 s[40:41], s[10:11], s[40:41]
	s_waitcnt lgkmcnt(0)
	v_sub_f32_e32 v20, v20, v5
	v_mul_f32_e32 v20, 0x3fb8aa3b, v20
	v_exp_f32_e32 v20, v20
	ds_write_b32 v18, v20
	v_add_f32_e32 v17, v17, v20
	v_add_u32_e32 v18, 0x200, v18
	s_andn2_b64 exec, exec, s[40:41]
	s_cbranch_execnz .LBB91_26
; %bb.27:
	s_or_b64 exec, exec, s[40:41]
.LBB91_28:
	s_or_b64 exec, exec, s[38:39]
	ds_bpermute_b32 v8, v8, v17
	s_waitcnt lgkmcnt(0)
	v_add_f32_e32 v8, v17, v8
	ds_bpermute_b32 v9, v9, v8
	s_waitcnt lgkmcnt(0)
	v_add_f32_e32 v8, v8, v9
	ds_bpermute_b32 v9, v12, v8
	v_xor_b32_e32 v12, 2, v2
	v_cmp_lt_i32_e64 s[10:11], v12, v3
	v_cndmask_b32_e64 v2, v2, v12, s[10:11]
	v_lshlrev_b32_e32 v2, 2, v2
	s_waitcnt lgkmcnt(0)
	v_add_f32_e32 v8, v8, v9
	ds_bpermute_b32 v9, v13, v8
	s_waitcnt lgkmcnt(0)
	v_add_f32_e32 v3, v8, v9
	ds_bpermute_b32 v2, v2, v3
	;; [unrolled: 3-line block ×3, first 2 shown]
	s_waitcnt lgkmcnt(0)
	v_add_f32_e32 v2, v2, v3
	s_and_saveexec_b64 s[10:11], vcc
	s_cbranch_execz .LBB91_30
; %bb.29:
	ds_write_b32 v10, v2 offset:136
.LBB91_30:
	s_or_b64 exec, exec, s[10:11]
	s_waitcnt lgkmcnt(0)
	s_barrier
	s_and_saveexec_b64 s[10:11], s[2:3]
	s_cbranch_execz .LBB91_32
; %bb.31:
	ds_read_b32 v2, v11 offset:136
.LBB91_32:
	s_or_b64 exec, exec, s[10:11]
	s_waitcnt lgkmcnt(0)
	ds_bpermute_b32 v3, v15, v2
	s_waitcnt lgkmcnt(0)
	v_add_f32_e32 v2, v2, v3
	ds_bpermute_b32 v8, v16, v2
	s_and_saveexec_b64 s[2:3], s[4:5]
	s_cbranch_execz .LBB91_45
; %bb.33:
	s_waitcnt lgkmcnt(0)
	v_add_f32_e32 v2, 0x358637bd, v8
	v_div_scale_f32 v3, s[4:5], v2, v2, 1.0
	v_rcp_f32_e32 v9, v3
	v_div_scale_f32 v10, vcc, 1.0, v2, 1.0
	s_movk_i32 s4, 0x7f
	v_fma_f32 v11, -v3, v9, 1.0
	v_fmac_f32_e32 v9, v11, v9
	v_mul_f32_e32 v11, v10, v9
	v_fma_f32 v12, -v3, v11, v10
	v_fmac_f32_e32 v11, v12, v9
	v_fma_f32 v3, -v3, v11, v10
	v_div_fmas_f32 v3, v3, v9, v11
	v_div_fixup_f32 v2, v3, v2, 1.0
	v_xad_u32 v3, v0, -1, s42
	v_subrev_u32_e32 v9, s48, v3
	v_cmp_lt_u32_e32 vcc, s4, v9
	s_mov_b64 s[10:11], -1
	v_mov_b32_e32 v3, v0
	s_and_saveexec_b64 s[4:5], vcc
	s_cbranch_execz .LBB91_42
; %bb.34:
	v_lshrrev_b32_e32 v9, 7, v9
	v_add_u32_e32 v11, -1, v9
	v_lshrrev_b32_e32 v10, 1, v11
	v_mov_b32_e32 v3, v2
	v_add_u32_e32 v10, 1, v10
	v_cmp_lt_u32_e32 vcc, 13, v11
	v_mov_b32_e32 v13, 0
	s_and_saveexec_b64 s[10:11], vcc
	s_cbranch_execz .LBB91_38
; %bb.35:
	v_mov_b32_e32 v12, 0x90
	v_and_b32_e32 v11, -8, v10
	v_lshl_add_u32 v12, v0, 2, v12
	s_mov_b32 s40, 0
	s_mov_b64 s[38:39], 0
.LBB91_36:                              ; =>This Inner Loop Header: Depth=1
	ds_read2st64_b32 v[16:17], v12 offset1:2
	ds_read2st64_b32 v[18:19], v12 offset0:4 offset1:6
	ds_read2st64_b32 v[20:21], v12 offset0:8 offset1:10
	ds_read2st64_b32 v[22:23], v12 offset0:12 offset1:14
	v_add_u32_e32 v11, -8, v11
	s_waitcnt lgkmcnt(3)
	v_pk_mul_f32 v[16:17], v[2:3], v[16:17]
	s_waitcnt lgkmcnt(2)
	v_pk_mul_f32 v[18:19], v[2:3], v[18:19]
	ds_write2st64_b32 v12, v16, v17 offset1:2
	ds_write2st64_b32 v12, v18, v19 offset0:4 offset1:6
	ds_read2st64_b32 v[18:19], v12 offset0:16 offset1:18
	s_waitcnt lgkmcnt(4)
	v_pk_mul_f32 v[16:17], v[2:3], v[20:21]
	ds_write2st64_b32 v12, v16, v17 offset0:8 offset1:10
	s_waitcnt lgkmcnt(4)
	v_pk_mul_f32 v[16:17], v[2:3], v[22:23]
	ds_write2st64_b32 v12, v16, v17 offset0:12 offset1:14
	ds_read2st64_b32 v[16:17], v12 offset0:20 offset1:22
	s_waitcnt lgkmcnt(3)
	v_pk_mul_f32 v[18:19], v[2:3], v[18:19]
	ds_read2st64_b32 v[20:21], v12 offset0:24 offset1:26
	ds_write2st64_b32 v12, v18, v19 offset0:16 offset1:18
	ds_read2st64_b32 v[18:19], v12 offset0:28 offset1:30
	s_waitcnt lgkmcnt(3)
	v_pk_mul_f32 v[16:17], v[2:3], v[16:17]
	ds_write2st64_b32 v12, v16, v17 offset0:20 offset1:22
	s_waitcnt lgkmcnt(3)
	v_pk_mul_f32 v[16:17], v[2:3], v[20:21]
	ds_write2st64_b32 v12, v16, v17 offset0:24 offset1:26
	s_waitcnt lgkmcnt(2)
	v_pk_mul_f32 v[16:17], v[2:3], v[18:19]
	s_add_i32 s40, s40, 16
	v_cmp_eq_u32_e32 vcc, 0, v11
	ds_write2st64_b32 v12, v16, v17 offset0:28 offset1:30
	v_add_u32_e32 v12, 0x2000, v12
	s_or_b64 s[38:39], vcc, s[38:39]
	v_mov_b32_e32 v13, s40
	s_andn2_b64 exec, exec, s[38:39]
	s_cbranch_execnz .LBB91_36
; %bb.37:
	s_or_b64 exec, exec, s[38:39]
.LBB91_38:
	s_or_b64 exec, exec, s[10:11]
	v_and_b32_e32 v10, 7, v10
	v_cmp_ne_u32_e32 vcc, 0, v10
	s_and_saveexec_b64 s[10:11], vcc
	s_cbranch_execz .LBB91_41
; %bb.39:
	v_lshlrev_b32_e32 v11, 9, v13
	v_lshlrev_b32_e32 v12, 2, v0
	s_movk_i32 s38, 0x90
	v_add3_u32 v11, v11, v12, s38
	s_mov_b64 s[38:39], 0
.LBB91_40:                              ; =>This Inner Loop Header: Depth=1
	ds_read2st64_b32 v[12:13], v11 offset1:2
	v_add_u32_e32 v10, -1, v10
	v_cmp_eq_u32_e32 vcc, 0, v10
	s_or_b64 s[38:39], vcc, s[38:39]
	s_waitcnt lgkmcnt(0)
	v_pk_mul_f32 v[12:13], v[2:3], v[12:13]
	ds_write2st64_b32 v11, v12, v13 offset1:2
	v_add_u32_e32 v11, 0x400, v11
	s_andn2_b64 exec, exec, s[38:39]
	s_cbranch_execnz .LBB91_40
.LBB91_41:
	s_or_b64 exec, exec, s[10:11]
	v_add_u32_e32 v9, 1, v9
	v_and_b32_e32 v10, 0x3fffffe, v9
	v_cmp_ne_u32_e32 vcc, v9, v10
	v_lshl_add_u32 v3, v10, 7, v0
	s_orn2_b64 s[10:11], vcc, exec
.LBB91_42:
	s_or_b64 exec, exec, s[4:5]
	s_and_b64 exec, exec, s[10:11]
	s_cbranch_execz .LBB91_45
; %bb.43:
	v_mov_b32_e32 v9, 0x90
	v_lshl_add_u32 v9, v3, 2, v9
	s_mov_b64 s[4:5], 0
.LBB91_44:                              ; =>This Inner Loop Header: Depth=1
	ds_read_b32 v10, v9
	v_add_u32_e32 v3, 0x80, v3
	v_cmp_le_i32_e32 vcc, s15, v3
	s_or_b64 s[4:5], vcc, s[4:5]
	s_waitcnt lgkmcnt(0)
	v_mul_f32_e32 v10, v2, v10
	ds_write_b32 v9, v10
	v_add_u32_e32 v9, 0x200, v9
	s_andn2_b64 exec, exec, s[4:5]
	s_cbranch_execnz .LBB91_44
.LBB91_45:
	s_or_b64 exec, exec, s[2:3]
	s_mul_i32 s2, s16, s28
	v_cmp_eq_u32_e32 vcc, 0, v0
	s_mul_i32 s2, s2, s9
	s_waitcnt lgkmcnt(0)
	s_barrier
	s_and_saveexec_b64 s[4:5], vcc
	s_cbranch_execz .LBB91_47
; %bb.46:
	s_ashr_i32 s3, s2, 31
	s_lshl_b64 s[10:11], s[2:3], 2
	s_add_u32 s3, s22, s10
	s_mul_i32 s22, s16, s6
	s_addc_u32 s9, s23, s11
	s_ashr_i32 s23, s22, 31
	s_lshl_b64 s[22:23], s[22:23], 2
	s_add_u32 s3, s3, s22
	s_addc_u32 s6, s9, s23
	s_ashr_i32 s9, s8, 31
	s_lshl_b64 s[38:39], s[8:9], 2
	s_add_u32 s40, s3, s38
	s_addc_u32 s41, s6, s39
	s_add_u32 s3, s20, s10
	s_addc_u32 s6, s21, s11
	;; [unrolled: 2-line block ×3, first 2 shown]
	s_add_u32 s10, s3, s38
	v_mov_b32_e32 v2, 0
	s_addc_u32 s11, s6, s39
	global_store_dword v2, v5, s[40:41]
	global_store_dword v2, v8, s[10:11]
.LBB91_47:
	s_or_b64 exec, exec, s[4:5]
	v_mov_b32_e32 v9, 0
	v_and_b32_e32 v16, 1, v0
	v_mov_b32_e32 v8, 0
	s_and_saveexec_b64 s[4:5], s[0:1]
	s_cbranch_execz .LBB91_57
; %bb.48:
	s_ashr_i32 s15, s14, 31
	s_sub_i32 s3, s12, s17
	s_lshl_b64 s[0:1], s[14:15], 1
	s_add_u32 s0, s36, s0
	v_lshlrev_b32_e32 v2, 3, v0
	s_addc_u32 s1, s37, s1
	s_abs_i32 s14, s18
	v_and_b32_e32 v17, 8, v2
	v_cvt_f32_u32_e32 v2, s14
	s_sub_i32 s6, 0, s14
	s_add_i32 s15, s7, -1
	v_mov_b32_e32 v8, 0
	v_rcp_iflag_f32_e32 v2, v2
	s_mov_b32 s9, s13
	s_mov_b32 s17, s29
	;; [unrolled: 1-line block ×3, first 2 shown]
	v_mul_f32_e32 v2, 0x4f7ffffe, v2
	v_cvt_u32_f32_e32 v2, v2
	s_mov_b32 s20, s29
	s_mov_b32 s21, s29
	;; [unrolled: 1-line block ×3, first 2 shown]
	v_mul_lo_u32 v3, s6, v2
	v_mul_hi_u32 v3, v2, v3
	v_add_u32_e32 v18, v2, v3
	v_lshlrev_b32_e32 v2, 4, v0
	v_and_b32_e32 v2, 0x3f0, v2
	v_mov_b32_e32 v3, s1
	v_add_co_u32_e32 v19, vcc, s0, v2
	s_lshl_b64 s[0:1], s[34:35], 2
	v_addc_co_u32_e32 v20, vcc, 0, v3, vcc
	v_lshlrev_b64 v[2:3], 2, v[6:7]
	s_add_u32 s0, s30, s0
	s_addc_u32 s1, s31, s1
	v_add_co_u32_e32 v10, vcc, s0, v2
	v_lshlrev_b32_e32 v2, 5, v16
	v_mov_b32_e32 v5, s1
	v_lshl_or_b32 v2, v4, 6, v2
	s_mov_b32 s23, s29
	s_mov_b32 s28, s29
	v_addc_co_u32_e32 v11, vcc, v5, v3, vcc
	v_add_u32_e32 v7, 0x90, v2
	s_mov_b64 s[6:7], 0
	s_mov_b32 s30, 0x5040100
	v_mov_b32_e32 v9, v8
	s_branch .LBB91_51
.LBB91_49:                              ;   in Loop: Header=BB91_51 Depth=1
	s_or_b64 exec, exec, s[0:1]
	s_waitcnt vmcnt(0)
	;;#ASMSTART
	v_pk_mul_f16 v2, v37, v2;

	;;#ASMEND
	;;#ASMSTART
	v_pk_mul_f16 v3, v31, v3;

	;;#ASMEND
	;; [unrolled: 4-line block ×4, first 2 shown]
	;;#ASMSTART
	v_pk_add_f16 v2, v2, v3;

	;;#ASMEND
	;;#ASMSTART
	v_pk_add_f16 v2, v2, v4;

	;;#ASMEND
	;; [unrolled: 4-line block ×3, first 2 shown]
	v_lshrrev_b32_e32 v3, 16, v2
	v_and_b32_e32 v2, 0xffff, v2
	;;#ASMSTART
	v_cvt_f32_f16 v2, v2;
	;;#ASMEND
	v_add_f32_e32 v12, v32, v33
	;;#ASMSTART
	v_cvt_f32_f16 v3, v3;
	;;#ASMEND
	v_add_f32_e32 v2, v2, v3
	v_add_f32_e32 v8, v8, v12
	;; [unrolled: 1-line block ×3, first 2 shown]
.LBB91_50:                              ;   in Loop: Header=BB91_51 Depth=1
	s_or_b64 exec, exec, s[10:11]
	v_add_co_u32_e32 v10, vcc, 8, v10
	v_add_u32_e32 v6, 2, v6
	v_addc_co_u32_e32 v11, vcc, 0, v11, vcc
	v_cmp_le_i32_e32 vcc, s47, v6
	v_add_u32_e32 v1, 32, v1
	s_or_b64 s[6:7], vcc, s[6:7]
	v_add_u32_e32 v7, 0x80, v7
	s_andn2_b64 exec, exec, s[6:7]
	s_cbranch_execz .LBB91_56
.LBB91_51:                              ; =>This Inner Loop Header: Depth=1
	v_sub_u32_e32 v3, 0, v1
	v_max_i32_e32 v3, v1, v3
	v_mul_hi_u32 v4, v3, s33
	v_mul_lo_u32 v5, v4, s25
	v_sub_u32_e32 v3, v3, v5
	v_add_u32_e32 v5, 1, v4
	v_cmp_le_u32_e32 vcc, s25, v3
	v_cndmask_b32_e32 v4, v4, v5, vcc
	v_subrev_u32_e32 v5, s25, v3
	v_cndmask_b32_e32 v3, v3, v5, vcc
	v_ashrrev_i32_e32 v2, 31, v1
	v_add_u32_e32 v5, 1, v4
	v_cmp_le_u32_e32 vcc, s25, v3
	v_xor_b32_e32 v2, s19, v2
	v_cndmask_b32_e32 v3, v4, v5, vcc
	v_xor_b32_e32 v3, v3, v2
	v_sub_u32_e32 v2, v3, v2
	v_add_u32_e32 v3, s46, v2
	v_sub_u32_e32 v5, 0, v3
	v_ashrrev_i32_e32 v4, 31, v3
	v_max_i32_e32 v3, v3, v5
	v_mul_hi_u32 v5, v3, v18
	v_mul_lo_u32 v5, v5, s14
	v_sub_u32_e32 v3, v3, v5
	v_subrev_u32_e32 v5, s14, v3
	v_cmp_le_u32_e32 vcc, s14, v3
	v_cndmask_b32_e32 v3, v3, v5, vcc
	v_subrev_u32_e32 v5, s14, v3
	v_cmp_le_u32_e32 vcc, s14, v3
	v_cndmask_b32_e32 v3, v3, v5, vcc
	v_xor_b32_e32 v3, v3, v4
	v_sub_u32_e32 v3, v3, v4
	v_cmp_eq_u32_e32 vcc, 0, v3
	v_cmp_lt_i32_e64 s[0:1], s3, v2
	s_or_b64 s[0:1], vcc, s[0:1]
	s_and_saveexec_b64 s[10:11], s[0:1]
	s_cbranch_execz .LBB91_50
; %bb.52:                               ;   in Loop: Header=BB91_51 Depth=1
	global_load_dword v12, v[10:11], off
	ds_read2_b64 v[2:5], v7 offset1:1
	ds_read2_b64 v[22:25], v7 offset0:2 offset1:3
	v_add_u32_e32 v21, v17, v1
	v_or_b32_e32 v26, 5, v21
	s_waitcnt lgkmcnt(1)
	;;#ASMSTART
	v_cvt_f16_f32 v29, v2;

	;;#ASMEND
	;;#ASMSTART
	v_cvt_f16_f32 v30, v3;

	;;#ASMEND
	;; [unrolled: 4-line block ×4, first 2 shown]
	s_waitcnt lgkmcnt(0)
	;;#ASMSTART
	v_cvt_f16_f32 v33, v22;

	;;#ASMEND
	;;#ASMSTART
	v_cvt_f16_f32 v34, v23;

	;;#ASMEND
	;; [unrolled: 4-line block ×4, first 2 shown]
	v_add_u32_e32 v22, 1, v21
	v_or_b32_e32 v24, 3, v21
	v_or_b32_e32 v23, 2, v21
	;; [unrolled: 1-line block ×5, first 2 shown]
	s_waitcnt vmcnt(0)
	v_mad_i64_i32 v[2:3], s[0:1], v12, s9, 0
	v_lshlrev_b64 v[2:3], 1, v[2:3]
	v_add_co_u32_e32 v12, vcc, v19, v2
	v_addc_co_u32_e32 v13, vcc, v20, v3, vcc
	global_load_dwordx4 v[2:5], v[12:13], off
	v_cmp_eq_u32_e32 vcc, s15, v6
	s_and_saveexec_b64 s[12:13], vcc
	s_cbranch_execz .LBB91_54
; %bb.53:                               ;   in Loop: Header=BB91_51 Depth=1
	s_waitcnt vmcnt(0)
	v_lshrrev_b32_e32 v37, 16, v5
	v_cmp_gt_i32_e64 s[0:1], s28, v28
	v_cndmask_b32_e64 v37, 0, v37, s[0:1]
	v_cmp_gt_i32_e64 s[0:1], s23, v27
	v_cndmask_b32_e64 v5, 0, v5, s[0:1]
	v_perm_b32 v5, v37, v5, s30
	v_lshrrev_b32_e32 v37, 16, v4
	v_cmp_gt_i32_e64 s[0:1], s22, v26
	v_cndmask_b32_e64 v37, 0, v37, s[0:1]
	v_cmp_gt_i32_e64 s[0:1], s21, v25
	v_cndmask_b32_e64 v4, 0, v4, s[0:1]
	v_perm_b32 v4, v37, v4, s30
	;; [unrolled: 6-line block ×4, first 2 shown]
.LBB91_54:                              ;   in Loop: Header=BB91_51 Depth=1
	s_or_b64 exec, exec, s[12:13]
	v_and_b32_e32 v29, 0xffff, v29
	v_lshl_or_b32 v37, v30, 16, v29
	v_and_b32_e32 v29, 0xffff, v31
	v_lshl_or_b32 v31, v32, 16, v29
	;; [unrolled: 2-line block ×3, first 2 shown]
	v_and_b32_e32 v29, 0xffff, v35
	s_waitcnt vmcnt(0)
	;;#ASMSTART
	v_pk_mul_f16 v2, v37, v2;

	;;#ASMEND
	v_lshl_or_b32 v29, v36, 16, v29
	;;#ASMSTART
	v_pk_mul_f16 v3, v31, v3;

	;;#ASMEND
	;;#ASMSTART
	v_pk_mul_f16 v4, v30, v4;

	;;#ASMEND
	;; [unrolled: 4-line block ×3, first 2 shown]
	;;#ASMSTART
	v_pk_add_f16 v2, v2, v3;

	;;#ASMEND
	;;#ASMSTART
	v_pk_add_f16 v2, v2, v4;

	;;#ASMEND
	;; [unrolled: 4-line block ×3, first 2 shown]
	v_lshrrev_b32_e32 v3, 16, v2
	v_and_b32_e32 v2, 0xffff, v2
	;;#ASMSTART
	v_cvt_f32_f16 v32, v2;
	;;#ASMEND
	;;#ASMSTART
	v_cvt_f32_f16 v33, v3;
	;;#ASMEND
	global_load_dwordx4 v[2:5], v[12:13], off offset:1024
	s_and_saveexec_b64 s[0:1], vcc
	s_cbranch_execz .LBB91_49
; %bb.55:                               ;   in Loop: Header=BB91_51 Depth=1
	s_waitcnt vmcnt(0)
	v_lshrrev_b32_e32 v12, 16, v5
	v_cmp_gt_i32_e32 vcc, s28, v28
	v_cndmask_b32_e32 v12, 0, v12, vcc
	v_cmp_gt_i32_e32 vcc, s23, v27
	v_cndmask_b32_e32 v5, 0, v5, vcc
	v_perm_b32 v5, v12, v5, s30
	v_lshrrev_b32_e32 v12, 16, v4
	v_cmp_gt_i32_e32 vcc, s22, v26
	v_cndmask_b32_e32 v12, 0, v12, vcc
	v_cmp_gt_i32_e32 vcc, s21, v25
	v_cndmask_b32_e32 v4, 0, v4, vcc
	v_perm_b32 v4, v12, v4, s30
	;; [unrolled: 6-line block ×4, first 2 shown]
	s_branch .LBB91_49
.LBB91_56:
	s_or_b64 exec, exec, s[6:7]
.LBB91_57:
	s_or_b64 exec, exec, s[4:5]
	ds_bpermute_b32 v2, v15, v8
	ds_bpermute_b32 v3, v15, v9
	v_and_b32_e32 v1, 0x3c1, v0
	v_cmp_eq_u32_e32 vcc, 64, v1
	s_waitcnt lgkmcnt(0)
	s_barrier
	v_pk_add_f32 v[2:3], v[8:9], v[2:3]
	s_and_saveexec_b64 s[0:1], vcc
	s_cbranch_execz .LBB91_59
; %bb.58:
	v_mov_b32_e32 v4, 0x90
	v_lshl_add_u32 v4, v14, 1, v4
	ds_write2_b32 v4, v2, v3 offset1:32
.LBB91_59:
	s_or_b64 exec, exec, s[0:1]
	v_cmp_gt_u32_e32 vcc, 64, v0
	s_waitcnt lgkmcnt(0)
	s_barrier
	s_and_saveexec_b64 s[0:1], vcc
	s_cbranch_execz .LBB91_65
; %bb.60:
	v_cmp_eq_u32_e32 vcc, 0, v16
	v_lshrrev_b32_e32 v4, 1, v0
	s_and_saveexec_b64 s[4:5], vcc
	s_cbranch_execz .LBB91_62
; %bb.61:
	v_mov_b32_e32 v5, 0x90
	v_lshl_add_u32 v5, v4, 2, v5
	ds_read_b32 v5, v5
	s_waitcnt lgkmcnt(0)
	v_add_f32_e32 v2, v2, v5
.LBB91_62:
	s_or_b64 exec, exec, s[4:5]
	s_and_saveexec_b64 s[4:5], vcc
	s_cbranch_execz .LBB91_64
; %bb.63:
	v_mov_b32_e32 v5, 0x90
	v_lshl_add_u32 v4, v4, 2, v5
	ds_read_b32 v4, v4 offset:128
	s_waitcnt lgkmcnt(0)
	v_add_f32_e32 v3, v3, v4
.LBB91_64:
	s_or_b64 exec, exec, s[4:5]
.LBB91_65:
	s_or_b64 exec, exec, s[0:1]
	v_cmp_eq_u32_e32 vcc, 0, v1
	s_barrier
	s_and_saveexec_b64 s[0:1], vcc
	s_cbranch_execz .LBB91_67
; %bb.66:
	s_lshl_b32 s0, s2, 6
	s_ashr_i32 s1, s0, 31
	s_lshl_b64 s[0:1], s[0:1], 1
	s_add_u32 s2, s26, s0
	s_mul_i32 s0, s16, s24
	s_addc_u32 s3, s27, s1
	s_ashr_i32 s1, s0, 31
	s_lshl_b64 s[0:1], s[0:1], 1
	s_add_u32 s2, s2, s0
	s_addc_u32 s3, s3, s1
	s_lshl_b32 s0, s8, 6
	s_ashr_i32 s1, s0, 31
	s_lshl_b64 s[0:1], s[0:1], 1
	s_add_u32 s0, s2, s0
	s_addc_u32 s1, s3, s1
	;;#ASMSTART
	v_cvt_f16_f32 v1, v2;

	;;#ASMEND
	global_store_short v0, v1, s[0:1]
	;;#ASMSTART
	v_cvt_f16_f32 v1, v3;

	;;#ASMEND
	global_store_short v0, v1, s[0:1] offset:64
.LBB91_67:
	s_endpgm
	.section	.rodata,"a",@progbits
	.p2align	6, 0x0
	.amdhsa_kernel _ZN4vllm25paged_attention_v2_kernelIttLi64ELi16ELi128ELNS_18Fp8KVCacheDataTypeE0ELb1ELi512EEEvPfS2_PT_PKS3_PKT0_S9_ifPKiSB_iPKfiiiSD_SD_iiiii
		.amdhsa_group_segment_fixed_size 144
		.amdhsa_private_segment_fixed_size 0
		.amdhsa_kernarg_size 400
		.amdhsa_user_sgpr_count 6
		.amdhsa_user_sgpr_private_segment_buffer 1
		.amdhsa_user_sgpr_dispatch_ptr 0
		.amdhsa_user_sgpr_queue_ptr 0
		.amdhsa_user_sgpr_kernarg_segment_ptr 1
		.amdhsa_user_sgpr_dispatch_id 0
		.amdhsa_user_sgpr_flat_scratch_init 0
		.amdhsa_user_sgpr_kernarg_preload_length 0
		.amdhsa_user_sgpr_kernarg_preload_offset 0
		.amdhsa_user_sgpr_private_segment_size 0
		.amdhsa_uses_dynamic_stack 0
		.amdhsa_system_sgpr_private_segment_wavefront_offset 0
		.amdhsa_system_sgpr_workgroup_id_x 1
		.amdhsa_system_sgpr_workgroup_id_y 1
		.amdhsa_system_sgpr_workgroup_id_z 1
		.amdhsa_system_sgpr_workgroup_info 0
		.amdhsa_system_vgpr_workitem_id 0
		.amdhsa_next_free_vgpr 49
		.amdhsa_next_free_sgpr 52
		.amdhsa_accum_offset 52
		.amdhsa_reserve_vcc 1
		.amdhsa_reserve_flat_scratch 0
		.amdhsa_float_round_mode_32 0
		.amdhsa_float_round_mode_16_64 0
		.amdhsa_float_denorm_mode_32 3
		.amdhsa_float_denorm_mode_16_64 3
		.amdhsa_dx10_clamp 1
		.amdhsa_ieee_mode 1
		.amdhsa_fp16_overflow 0
		.amdhsa_tg_split 0
		.amdhsa_exception_fp_ieee_invalid_op 0
		.amdhsa_exception_fp_denorm_src 0
		.amdhsa_exception_fp_ieee_div_zero 0
		.amdhsa_exception_fp_ieee_overflow 0
		.amdhsa_exception_fp_ieee_underflow 0
		.amdhsa_exception_fp_ieee_inexact 0
		.amdhsa_exception_int_div_zero 0
	.end_amdhsa_kernel
	.section	.text._ZN4vllm25paged_attention_v2_kernelIttLi64ELi16ELi128ELNS_18Fp8KVCacheDataTypeE0ELb1ELi512EEEvPfS2_PT_PKS3_PKT0_S9_ifPKiSB_iPKfiiiSD_SD_iiiii,"axG",@progbits,_ZN4vllm25paged_attention_v2_kernelIttLi64ELi16ELi128ELNS_18Fp8KVCacheDataTypeE0ELb1ELi512EEEvPfS2_PT_PKS3_PKT0_S9_ifPKiSB_iPKfiiiSD_SD_iiiii,comdat
.Lfunc_end91:
	.size	_ZN4vllm25paged_attention_v2_kernelIttLi64ELi16ELi128ELNS_18Fp8KVCacheDataTypeE0ELb1ELi512EEEvPfS2_PT_PKS3_PKT0_S9_ifPKiSB_iPKfiiiSD_SD_iiiii, .Lfunc_end91-_ZN4vllm25paged_attention_v2_kernelIttLi64ELi16ELi128ELNS_18Fp8KVCacheDataTypeE0ELb1ELi512EEEvPfS2_PT_PKS3_PKT0_S9_ifPKiSB_iPKfiiiSD_SD_iiiii
                                        ; -- End function
	.section	.AMDGPU.csdata,"",@progbits
; Kernel info:
; codeLenInByte = 5308
; NumSgprs: 56
; NumVgprs: 49
; NumAgprs: 0
; TotalNumVgprs: 49
; ScratchSize: 0
; MemoryBound: 0
; FloatMode: 240
; IeeeMode: 1
; LDSByteSize: 144 bytes/workgroup (compile time only)
; SGPRBlocks: 6
; VGPRBlocks: 6
; NumSGPRsForWavesPerEU: 56
; NumVGPRsForWavesPerEU: 49
; AccumOffset: 52
; Occupancy: 8
; WaveLimiterHint : 1
; COMPUTE_PGM_RSRC2:SCRATCH_EN: 0
; COMPUTE_PGM_RSRC2:USER_SGPR: 6
; COMPUTE_PGM_RSRC2:TRAP_HANDLER: 0
; COMPUTE_PGM_RSRC2:TGID_X_EN: 1
; COMPUTE_PGM_RSRC2:TGID_Y_EN: 1
; COMPUTE_PGM_RSRC2:TGID_Z_EN: 1
; COMPUTE_PGM_RSRC2:TIDIG_COMP_CNT: 0
; COMPUTE_PGM_RSRC3_GFX90A:ACCUM_OFFSET: 12
; COMPUTE_PGM_RSRC3_GFX90A:TG_SPLIT: 0
	.section	.text._ZN4vllm25paged_attention_v2_kernelIttLi80ELi16ELi128ELNS_18Fp8KVCacheDataTypeE0ELb1ELi512EEEvPfS2_PT_PKS3_PKT0_S9_ifPKiSB_iPKfiiiSD_SD_iiiii,"axG",@progbits,_ZN4vllm25paged_attention_v2_kernelIttLi80ELi16ELi128ELNS_18Fp8KVCacheDataTypeE0ELb1ELi512EEEvPfS2_PT_PKS3_PKT0_S9_ifPKiSB_iPKfiiiSD_SD_iiiii,comdat
	.protected	_ZN4vllm25paged_attention_v2_kernelIttLi80ELi16ELi128ELNS_18Fp8KVCacheDataTypeE0ELb1ELi512EEEvPfS2_PT_PKS3_PKT0_S9_ifPKiSB_iPKfiiiSD_SD_iiiii ; -- Begin function _ZN4vllm25paged_attention_v2_kernelIttLi80ELi16ELi128ELNS_18Fp8KVCacheDataTypeE0ELb1ELi512EEEvPfS2_PT_PKS3_PKT0_S9_ifPKiSB_iPKfiiiSD_SD_iiiii
	.globl	_ZN4vllm25paged_attention_v2_kernelIttLi80ELi16ELi128ELNS_18Fp8KVCacheDataTypeE0ELb1ELi512EEEvPfS2_PT_PKS3_PKT0_S9_ifPKiSB_iPKfiiiSD_SD_iiiii
	.p2align	8
	.type	_ZN4vllm25paged_attention_v2_kernelIttLi80ELi16ELi128ELNS_18Fp8KVCacheDataTypeE0ELb1ELi512EEEvPfS2_PT_PKS3_PKT0_S9_ifPKiSB_iPKfiiiSD_SD_iiiii,@function
_ZN4vllm25paged_attention_v2_kernelIttLi80ELi16ELi128ELNS_18Fp8KVCacheDataTypeE0ELb1ELi512EEEvPfS2_PT_PKS3_PKT0_S9_ifPKiSB_iPKfiiiSD_SD_iiiii: ; @_ZN4vllm25paged_attention_v2_kernelIttLi80ELi16ELi128ELNS_18Fp8KVCacheDataTypeE0ELb1ELi512EEEvPfS2_PT_PKS3_PKT0_S9_ifPKiSB_iPKfiiiSD_SD_iiiii
; %bb.0:
	s_load_dwordx2 s[0:1], s[4:5], 0x40
	s_mov_b32 s28, s7
	s_ashr_i32 s29, s7, 31
	s_lshl_b64 s[2:3], s[28:29], 2
	s_waitcnt lgkmcnt(0)
	s_add_u32 s0, s0, s2
	s_addc_u32 s1, s1, s3
	s_load_dword s29, s[0:1], 0x0
	s_lshl_b32 s48, s8, 9
	s_waitcnt lgkmcnt(0)
	s_cmp_ge_i32 s48, s29
	s_cbranch_scc1 .LBB92_79
; %bb.1:
	s_load_dword s9, s[4:5], 0x90
	s_load_dwordx2 s[38:39], s[4:5], 0x30
	s_mov_b32 s49, 0
	s_waitcnt lgkmcnt(0)
	s_abs_i32 s2, s9
	s_abs_i32 s0, s38
	v_cvt_f32_u32_e32 v1, s0
	s_sub_i32 s3, 0, s0
	s_xor_b32 s1, s9, s38
	s_ashr_i32 s1, s1, 31
	v_rcp_iflag_f32_e32 v1, v1
	v_mul_f32_e32 v1, 0x4f7ffffe, v1
	v_cvt_u32_f32_e32 v1, v1
	v_readfirstlane_b32 s7, v1
	s_mul_i32 s3, s3, s7
	s_mul_hi_u32 s3, s7, s3
	s_add_i32 s7, s7, s3
	s_mul_hi_u32 s3, s2, s7
	s_mul_i32 s7, s3, s0
	s_sub_i32 s2, s2, s7
	s_add_i32 s10, s3, 1
	s_sub_i32 s7, s2, s0
	s_cmp_ge_u32 s2, s0
	s_cselect_b32 s3, s10, s3
	s_cselect_b32 s2, s7, s2
	s_add_i32 s7, s3, 1
	s_cmp_ge_u32 s2, s0
	s_cselect_b32 s0, s7, s3
	s_xor_b32 s0, s0, s1
	s_sub_i32 s11, s0, s1
	s_abs_i32 s2, s11
	v_cvt_f32_u32_e32 v1, s2
	s_load_dwordx2 s[0:1], s[4:5], 0x50
	s_sub_i32 s7, 0, s2
	s_abs_i32 s3, s6
	v_rcp_iflag_f32_e32 v1, v1
	v_mul_f32_e32 v1, 0x4f7ffffe, v1
	v_cvt_u32_f32_e32 v1, v1
	v_readfirstlane_b32 s10, v1
	s_mul_i32 s7, s7, s10
	s_mul_hi_u32 s7, s10, s7
	s_add_i32 s10, s10, s7
	s_waitcnt lgkmcnt(0)
	s_cmp_eq_u64 s[0:1], 0
	s_mul_hi_u32 s10, s3, s10
	s_cbranch_scc1 .LBB92_3
; %bb.2:
	s_ashr_i32 s7, s6, 31
	s_lshl_b64 s[12:13], s[6:7], 2
	s_add_u32 s0, s0, s12
	s_addc_u32 s1, s1, s13
	s_load_dword s49, s[0:1], 0x0
.LBB92_3:
	s_load_dwordx4 s[12:15], s[4:5], 0x58
	s_ashr_i32 s7, s6, 31
	s_ashr_i32 s11, s11, 31
	v_and_b32_e32 v2, 3, v0
	s_mul_i32 s24, s6, 0x50
	v_cmp_gt_u32_e32 vcc, 40, v0
	s_and_saveexec_b64 s[0:1], vcc
	s_cbranch_execz .LBB92_5
; %bb.4:
	s_load_dwordx2 s[16:17], s[4:5], 0x18
	s_waitcnt lgkmcnt(0)
	s_mul_i32 s18, s28, s12
	s_ashr_i32 s19, s18, 31
	s_lshl_b64 s[18:19], s[18:19], 1
	v_lshlrev_b32_e32 v1, 2, v0
	s_add_u32 s12, s16, s18
	s_addc_u32 s15, s17, s19
	s_ashr_i32 s25, s24, 31
	s_lshl_b64 s[16:17], s[24:25], 1
	s_add_u32 s16, s12, s16
	s_addc_u32 s17, s15, s17
	global_load_dword v1, v1, s[16:17]
	v_and_b32_e32 v3, 0x3fc, v0
	v_mad_u32_u24 v3, v2, 40, v3
	s_waitcnt vmcnt(0)
	ds_write_b32 v3, v1
.LBB92_5:
	s_or_b64 exec, exec, s[0:1]
	s_mul_i32 s1, s10, s2
	s_sub_i32 s1, s3, s1
	s_xor_b32 s0, s7, s11
	s_add_i32 s3, s10, 1
	s_sub_i32 s7, s1, s2
	s_load_dwordx4 s[16:19], s[4:5], 0x78
	s_cmp_ge_u32 s1, s2
	s_cselect_b32 s3, s3, s10
	s_load_dword s10, s[4:5], 0x88
	s_cselect_b32 s1, s7, s1
	s_add_i32 s7, s3, 1
	s_cmp_ge_u32 s1, s2
	s_cselect_b32 s1, s7, s3
	s_waitcnt lgkmcnt(0)
	s_abs_i32 s25, s19
	v_cvt_f32_u32_e32 v1, s25
	s_xor_b32 s1, s1, s0
	s_sub_i32 s2, s1, s0
	s_sub_i32 s0, 0, s25
	v_rcp_iflag_f32_e32 v1, v1
	s_add_i32 s11, s29, -1
	s_abs_i32 s3, s11
	v_mul_f32_e32 v1, 0x4f7ffffe, v1
	v_cvt_u32_f32_e32 v1, v1
	s_barrier
	v_readfirstlane_b32 s33, v1
	s_mul_i32 s0, s0, s33
	s_mul_hi_u32 s0, s33, s0
	s_add_i32 s33, s33, s0
	s_cmp_lt_i32 s10, 0
	s_mul_hi_u32 s7, s3, s33
	s_cbranch_scc0 .LBB92_7
; %bb.6:
	s_mul_i32 s0, s16, s38
	s_add_i32 s0, s2, s0
	s_mul_i32 s0, s0, s10
	s_sub_i32 s46, 1, s0
	s_mov_b64 s[0:1], 0
	s_branch .LBB92_8
.LBB92_7:
	s_mov_b64 s[0:1], -1
                                        ; implicit-def: $sgpr46
.LBB92_8:
	s_load_dwordx2 s[30:31], s[4:5], 0x38
	s_ashr_i32 s11, s11, 31
	s_andn2_b64 vcc, exec, s[0:1]
	s_ashr_i32 s19, s19, 31
	s_cbranch_vccnz .LBB92_10
; %bb.9:
	s_mul_i32 s0, s9, s16
	s_add_i32 s0, s0, s6
	s_mul_i32 s0, s0, s10
	s_add_i32 s46, s0, 1
.LBB92_10:
	s_load_dword s0, s[4:5], 0x48
	s_load_dwordx2 s[36:37], s[4:5], 0x28
	s_load_dword s16, s[4:5], 0x98
	s_load_dwordx4 s[20:23], s[4:5], 0x0
	s_load_dwordx2 s[26:27], s[4:5], 0x10
	s_mul_i32 s1, s7, s25
	s_waitcnt lgkmcnt(0)
	s_mul_i32 s34, s28, s0
	s_sub_i32 s1, s3, s1
	s_ashr_i32 s35, s34, 31
	s_xor_b32 s0, s11, s19
	s_add_i32 s3, s7, 1
	s_sub_i32 s10, s1, s25
	s_cmp_ge_u32 s1, s25
	s_cselect_b32 s3, s3, s7
	s_cselect_b32 s1, s10, s1
	s_add_i32 s7, s3, 1
	s_cmp_ge_u32 s1, s25
	s_cselect_b32 s1, s7, s3
	s_xor_b32 s1, s1, s0
	s_sub_i32 s12, s1, s0
	s_add_i32 s0, s29, 15
	s_ashr_i32 s1, s0, 31
	s_lshr_b32 s1, s1, 28
	s_add_i32 s0, s0, s1
	s_lshl_b32 s38, s8, 5
	s_ashr_i32 s7, s0, 4
	s_add_i32 s0, s38, 32
	v_lshrrev_b32_e32 v4, 6, v0
	s_min_i32 s47, s0, s7
	v_or_b32_e32 v10, s38, v4
	v_cmp_gt_i32_e64 s[0:1], s47, v10
	v_mov_b32_e32 v12, 0xff7fffff
	s_mul_i32 s14, s2, s14
	v_ashrrev_i32_e32 v11, 31, v10
	v_lshl_add_u32 v1, v4, 4, s48
	v_mbcnt_lo_u32_b32 v5, -1, 0
	s_and_saveexec_b64 s[40:41], s[0:1]
	s_cbranch_execz .LBB92_20
; %bb.11:
	s_load_dwordx2 s[2:3], s[4:5], 0x20
	s_ashr_i32 s15, s14, 31
	s_sub_i32 s50, s12, s17
	s_lshl_b64 s[4:5], s[14:15], 1
	v_bfe_u32 v6, v0, 2, 4
	s_waitcnt lgkmcnt(0)
	s_add_u32 s2, s2, s4
	s_addc_u32 s3, s3, s5
	s_abs_i32 s15, s18
	v_cvt_f32_u32_e32 v8, s15
	v_lshlrev_b32_e32 v3, 4, v6
	v_mov_b32_e32 v7, s3
	v_add_co_u32_e64 v3, s[2:3], s2, v3
	v_rcp_iflag_f32_e32 v12, v8
	v_addc_co_u32_e64 v9, s[2:3], 0, v7, s[2:3]
	v_lshlrev_b32_e32 v7, 2, v0
	v_and_b32_e32 v7, 12, v7
	v_add_co_u32_e64 v7, s[2:3], v3, v7
	v_mul_f32_e32 v3, 0x4f7ffffe, v12
	v_cvt_u32_f32_e32 v3, v3
	s_sub_i32 s4, 0, s15
	v_cmp_eq_u32_e32 vcc, 0, v2
	v_addc_co_u32_e64 v8, s[2:3], 0, v9, s[2:3]
	v_mul_u32_u24_e32 v9, 40, v2
	v_mul_lo_u32 v2, s4, v3
	s_lshl_b64 s[4:5], s[34:35], 2
	v_mul_hi_u32 v2, v3, v2
	s_add_u32 s4, s30, s4
	v_add_u32_e32 v13, v3, v2
	v_lshlrev_b64 v[2:3], 2, v[10:11]
	s_addc_u32 s5, s31, s5
	v_mov_b32_e32 v12, s5
	v_add_co_u32_e64 v2, s[4:5], s4, v2
	v_addc_co_u32_e64 v3, s[4:5], v12, v3, s[4:5]
	v_lshlrev_b32_e32 v12, 2, v6
	v_lshl_or_b32 v12, v4, 6, v12
	v_add_u32_e32 v15, 0xb0, v12
	v_subrev_u32_e32 v12, s29, v6
	v_mbcnt_hi_u32_b32 v18, -1, v5
	v_add_u32_e32 v16, 1, v12
	v_and_b32_e32 v12, 64, v18
	s_mov_b32 s51, s13
	v_cmp_neq_f32_e64 s[2:3], s49, 0
	v_lshl_add_u32 v14, v4, 4, s48
	s_mov_b64 s[42:43], 0
	v_mov_b32_e32 v17, 0xff7fffff
	v_add_u32_e32 v19, 64, v12
	v_xor_b32_e32 v20, 2, v18
	v_xor_b32_e32 v21, 1, v18
	v_mov_b32_e32 v12, 0xff7fffff
	v_mov_b32_e32 v22, v10
	s_branch .LBB92_14
.LBB92_12:                              ;   in Loop: Header=BB92_14 Depth=1
	s_or_b64 exec, exec, s[44:45]
.LBB92_13:                              ;   in Loop: Header=BB92_14 Depth=1
	s_or_b64 exec, exec, s[10:11]
	v_add_co_u32_e64 v2, s[4:5], 8, v2
	v_add_u32_e32 v22, 2, v22
	v_addc_co_u32_e64 v3, s[4:5], 0, v3, s[4:5]
	v_cmp_le_i32_e64 s[4:5], s47, v22
	v_add_u32_e32 v14, 32, v14
	s_or_b64 s[42:43], s[4:5], s[42:43]
	v_add_u32_e32 v15, 0x80, v15
	s_andn2_b64 exec, exec, s[42:43]
	s_cbranch_execz .LBB92_19
.LBB92_14:                              ; =>This Inner Loop Header: Depth=1
	s_waitcnt lgkmcnt(0)
	v_sub_u32_e32 v24, 0, v14
	v_max_i32_e32 v24, v14, v24
	v_mul_hi_u32 v25, v24, s33
	v_mul_lo_u32 v26, v25, s25
	v_sub_u32_e32 v24, v24, v26
	v_add_u32_e32 v26, 1, v25
	v_cmp_le_u32_e64 s[4:5], s25, v24
	v_cndmask_b32_e64 v25, v25, v26, s[4:5]
	v_subrev_u32_e32 v26, s25, v24
	v_cndmask_b32_e64 v24, v24, v26, s[4:5]
	v_ashrrev_i32_e32 v23, 31, v14
	v_add_u32_e32 v26, 1, v25
	v_cmp_le_u32_e64 s[4:5], s25, v24
	v_xor_b32_e32 v23, s19, v23
	v_cndmask_b32_e64 v24, v25, v26, s[4:5]
	v_xor_b32_e32 v24, v24, v23
	v_sub_u32_e32 v23, v24, v23
	v_add_u32_e32 v24, s46, v23
	v_sub_u32_e32 v26, 0, v24
	v_ashrrev_i32_e32 v25, 31, v24
	v_max_i32_e32 v24, v24, v26
	v_mul_hi_u32 v26, v24, v13
	v_mul_lo_u32 v26, v26, s15
	v_sub_u32_e32 v24, v24, v26
	v_subrev_u32_e32 v26, s15, v24
	v_cmp_le_u32_e64 s[4:5], s15, v24
	v_cndmask_b32_e64 v24, v24, v26, s[4:5]
	v_subrev_u32_e32 v26, s15, v24
	v_cmp_le_u32_e64 s[4:5], s15, v24
	v_cndmask_b32_e64 v24, v24, v26, s[4:5]
	v_xor_b32_e32 v24, v24, v25
	v_sub_u32_e32 v24, v24, v25
	v_cmp_ne_u32_e64 s[4:5], 0, v24
	v_cmp_ge_i32_e64 s[10:11], s50, v23
	s_and_b64 s[4:5], s[4:5], s[10:11]
	s_and_b64 s[44:45], vcc, s[4:5]
	s_and_saveexec_b64 s[10:11], s[44:45]
	s_cbranch_execz .LBB92_16
; %bb.15:                               ;   in Loop: Header=BB92_14 Depth=1
	ds_write_b32 v15, v17
.LBB92_16:                              ;   in Loop: Header=BB92_14 Depth=1
	s_or_b64 exec, exec, s[10:11]
	s_xor_b64 s[4:5], s[4:5], -1
	s_and_saveexec_b64 s[10:11], s[4:5]
	s_cbranch_execz .LBB92_13
; %bb.17:                               ;   in Loop: Header=BB92_14 Depth=1
	global_load_dword v23, v[2:3], off
	s_waitcnt vmcnt(0)
	v_mad_i64_i32 v[24:25], s[4:5], v23, s51, 0
	v_lshlrev_b64 v[24:25], 1, v[24:25]
	v_add_co_u32_e64 v24, s[4:5], v7, v24
	v_addc_co_u32_e64 v25, s[4:5], v8, v25, s[4:5]
	global_load_dword v23, v[24:25], off
	global_load_dword v26, v[24:25], off offset:256
	global_load_dword v27, v[24:25], off offset:512
	global_load_dword v28, v[24:25], off offset:768
	global_load_dword v29, v[24:25], off offset:1024
	global_load_dword v30, v[24:25], off offset:1280
	global_load_dword v31, v[24:25], off offset:1536
	global_load_dword v32, v[24:25], off offset:1792
	global_load_dword v33, v[24:25], off offset:2048
	s_nop 0
	global_load_dword v24, v[24:25], off offset:2304
	ds_read_b32 v25, v9
	v_cmp_lt_i32_e64 s[4:5], v20, v19
	v_cndmask_b32_e64 v34, v18, v20, s[4:5]
	v_lshlrev_b32_e32 v34, 2, v34
	v_cmp_lt_i32_e64 s[4:5], v21, v19
	s_waitcnt lgkmcnt(0)
	v_lshrrev_b32_e32 v35, 16, v25
	v_and_b32_e32 v25, 0xffff, v25
	;;#ASMSTART
	v_cvt_f32_f16 v25, v25;
	;;#ASMEND
	;;#ASMSTART
	v_cvt_f32_f16 v35, v35;
	;;#ASMEND
	s_waitcnt vmcnt(9)
	v_lshrrev_b32_e32 v36, 16, v23
	v_and_b32_e32 v23, 0xffff, v23
	;;#ASMSTART
	v_cvt_f32_f16 v23, v23;
	;;#ASMEND
	;;#ASMSTART
	v_cvt_f32_f16 v36, v36;
	;;#ASMEND
	ds_read_b32 v37, v9 offset:4
	s_waitcnt vmcnt(8)
	v_lshrrev_b32_e32 v38, 16, v26
	v_and_b32_e32 v26, 0xffff, v26
	s_waitcnt vmcnt(7)
	v_lshrrev_b32_e32 v39, 16, v27
	v_and_b32_e32 v27, 0xffff, v27
	s_waitcnt lgkmcnt(0)
	v_lshrrev_b32_e32 v40, 16, v37
	v_and_b32_e32 v37, 0xffff, v37
	;;#ASMSTART
	v_cvt_f32_f16 v37, v37;
	;;#ASMEND
	;;#ASMSTART
	v_cvt_f32_f16 v40, v40;
	;;#ASMEND
	;; [unrolled: 3-line block ×4, first 2 shown]
	ds_read_b32 v41, v9 offset:8
	s_waitcnt vmcnt(6)
	v_lshrrev_b32_e32 v42, 16, v28
	v_and_b32_e32 v28, 0xffff, v28
	s_waitcnt vmcnt(5)
	v_lshrrev_b32_e32 v43, 16, v29
	v_and_b32_e32 v29, 0xffff, v29
	s_waitcnt lgkmcnt(0)
	v_lshrrev_b32_e32 v44, 16, v41
	v_and_b32_e32 v41, 0xffff, v41
	;;#ASMSTART
	v_cvt_f32_f16 v41, v41;
	;;#ASMEND
	;;#ASMSTART
	v_cvt_f32_f16 v44, v44;
	;;#ASMEND
	;; [unrolled: 3-line block ×4, first 2 shown]
	ds_read_b32 v45, v9 offset:12
	s_waitcnt vmcnt(4)
	v_lshrrev_b32_e32 v46, 16, v30
	v_and_b32_e32 v30, 0xffff, v30
	v_mul_f32_e32 v26, v37, v26
	v_mul_f32_e32 v37, v40, v38
	s_waitcnt lgkmcnt(0)
	v_lshrrev_b32_e32 v48, 16, v45
	v_and_b32_e32 v45, 0xffff, v45
	;;#ASMSTART
	v_cvt_f32_f16 v45, v45;
	;;#ASMEND
	;;#ASMSTART
	v_cvt_f32_f16 v48, v48;
	;;#ASMEND
	;; [unrolled: 3-line block ×4, first 2 shown]
	ds_read_b32 v49, v9 offset:16
	s_waitcnt vmcnt(3)
	v_lshrrev_b32_e32 v47, 16, v31
	v_and_b32_e32 v31, 0xffff, v31
	v_fmac_f32_e32 v26, v25, v23
	v_fmac_f32_e32 v37, v35, v36
	s_waitcnt lgkmcnt(0)
	v_lshrrev_b32_e32 v52, 16, v49
	v_and_b32_e32 v49, 0xffff, v49
	;;#ASMSTART
	v_cvt_f32_f16 v49, v49;
	;;#ASMEND
	;;#ASMSTART
	v_cvt_f32_f16 v52, v52;
	;;#ASMEND
	;; [unrolled: 3-line block ×4, first 2 shown]
	ds_read_b32 v53, v9 offset:20
	v_fmac_f32_e32 v26, v41, v27
	v_fmac_f32_e32 v26, v45, v28
	s_waitcnt vmcnt(2)
	v_lshrrev_b32_e32 v50, 16, v32
	v_and_b32_e32 v32, 0xffff, v32
	s_waitcnt lgkmcnt(0)
	v_lshrrev_b32_e32 v38, 16, v53
	v_and_b32_e32 v40, 0xffff, v53
	;;#ASMSTART
	v_cvt_f32_f16 v40, v40;
	;;#ASMEND
	;;#ASMSTART
	v_cvt_f32_f16 v38, v38;
	;;#ASMEND
	;; [unrolled: 3-line block ×4, first 2 shown]
	ds_read_b32 v53, v9 offset:24
	v_fmac_f32_e32 v26, v49, v29
	v_fmac_f32_e32 v37, v44, v39
	;; [unrolled: 1-line block ×4, first 2 shown]
	s_waitcnt lgkmcnt(0)
	v_lshrrev_b32_e32 v23, 16, v53
	v_and_b32_e32 v25, 0xffff, v53
	;;#ASMSTART
	v_cvt_f32_f16 v25, v25;
	;;#ASMEND
	;;#ASMSTART
	v_cvt_f32_f16 v23, v23;
	;;#ASMEND
	;; [unrolled: 3-line block ×4, first 2 shown]
	ds_read_b32 v35, v9 offset:28
	v_fmac_f32_e32 v26, v40, v30
	v_fmac_f32_e32 v37, v38, v46
	;; [unrolled: 1-line block ×4, first 2 shown]
	s_waitcnt lgkmcnt(0)
	v_lshrrev_b32_e32 v28, 16, v35
	v_and_b32_e32 v29, 0xffff, v35
	;;#ASMSTART
	v_cvt_f32_f16 v29, v29;
	;;#ASMEND
	;;#ASMSTART
	v_cvt_f32_f16 v28, v28;
	;;#ASMEND
	;; [unrolled: 3-line block ×4, first 2 shown]
	ds_read_b32 v36, v9 offset:32
	s_waitcnt vmcnt(1)
	v_lshrrev_b32_e32 v51, 16, v33
	v_and_b32_e32 v33, 0xffff, v33
	v_fmac_f32_e32 v26, v29, v32
	v_fmac_f32_e32 v37, v28, v35
	s_waitcnt lgkmcnt(0)
	v_lshrrev_b32_e32 v23, 16, v36
	v_and_b32_e32 v25, 0xffff, v36
	;;#ASMSTART
	v_cvt_f32_f16 v25, v25;
	;;#ASMEND
	;;#ASMSTART
	v_cvt_f32_f16 v23, v23;
	;;#ASMEND
	;; [unrolled: 3-line block ×4, first 2 shown]
	ds_read_b32 v31, v9 offset:36
	s_waitcnt vmcnt(0)
	v_lshrrev_b32_e32 v54, 16, v24
	v_and_b32_e32 v24, 0xffff, v24
	v_fmac_f32_e32 v26, v25, v27
	v_fmac_f32_e32 v37, v23, v30
	s_waitcnt lgkmcnt(0)
	v_lshrrev_b32_e32 v23, 16, v31
	v_and_b32_e32 v25, 0xffff, v31
	;;#ASMSTART
	v_cvt_f32_f16 v25, v25;
	;;#ASMEND
	;;#ASMSTART
	v_cvt_f32_f16 v23, v23;
	;;#ASMEND
	;; [unrolled: 3-line block ×4, first 2 shown]
	v_fmac_f32_e32 v26, v25, v24
	v_fmac_f32_e32 v37, v23, v27
	v_add_f32_e32 v23, v26, v37
	ds_bpermute_b32 v24, v34, v23
	v_cndmask_b32_e64 v25, v18, v21, s[4:5]
	s_waitcnt lgkmcnt(0)
	v_add_f32_e32 v23, v23, v24
	v_lshlrev_b32_e32 v24, 2, v25
	ds_bpermute_b32 v24, v24, v23
	s_and_saveexec_b64 s[44:45], vcc
	s_cbranch_execz .LBB92_12
; %bb.18:                               ;   in Loop: Header=BB92_14 Depth=1
	v_add_u32_e32 v25, v16, v14
	v_cvt_f32_i32_e32 v25, v25
	s_waitcnt lgkmcnt(0)
	v_add_f32_e32 v23, v23, v24
	v_add_u32_e32 v26, v6, v14
	v_cmp_gt_i32_e64 s[4:5], s29, v26
	v_mul_f32_e32 v24, s49, v25
	v_cndmask_b32_e64 v24, 0, v24, s[2:3]
	v_fmac_f32_e32 v24, s39, v23
	v_cndmask_b32_e64 v23, 0, v24, s[4:5]
	ds_write_b32 v15, v23
	v_max_f32_e32 v23, v12, v12
	v_max_f32_e32 v23, v23, v24
	v_cndmask_b32_e64 v12, v12, v23, s[4:5]
	s_branch .LBB92_12
.LBB92_19:
	s_or_b64 exec, exec, s[42:43]
.LBB92_20:
	s_or_b64 exec, exec, s[40:41]
	v_mbcnt_hi_u32_b32 v2, -1, v5
	v_and_b32_e32 v3, 64, v2
	v_add_u32_e32 v3, 64, v3
	v_xor_b32_e32 v5, 32, v2
	v_cmp_lt_i32_e32 vcc, v5, v3
	v_cndmask_b32_e32 v5, v2, v5, vcc
	v_lshlrev_b32_e32 v7, 2, v5
	ds_bpermute_b32 v5, v7, v12
	v_xor_b32_e32 v8, 16, v2
	v_max_f32_e32 v6, v12, v12
	v_cmp_lt_i32_e32 vcc, v8, v3
	v_xor_b32_e32 v9, 8, v2
	s_waitcnt lgkmcnt(0)
	v_max_f32_e32 v5, v5, v5
	v_max_f32_e32 v5, v6, v5
	v_cndmask_b32_e32 v6, v2, v8, vcc
	v_lshlrev_b32_e32 v8, 2, v6
	ds_bpermute_b32 v6, v8, v5
	v_cmp_lt_i32_e32 vcc, v9, v3
	v_lshlrev_b32_e32 v12, 2, v4
	s_waitcnt lgkmcnt(0)
	v_max_f32_e32 v6, v6, v6
	v_max_f32_e32 v5, v5, v6
	v_cndmask_b32_e32 v6, v2, v9, vcc
	v_lshlrev_b32_e32 v14, 2, v6
	ds_bpermute_b32 v6, v14, v5
	v_xor_b32_e32 v9, 4, v2
	v_cmp_lt_i32_e32 vcc, v9, v3
	s_waitcnt lgkmcnt(0)
	v_max_f32_e32 v6, v6, v6
	v_max_f32_e32 v6, v5, v6
	v_cndmask_b32_e32 v5, v2, v9, vcc
	v_lshlrev_b32_e32 v15, 2, v5
	ds_bpermute_b32 v9, v15, v6
	v_and_b32_e32 v5, 63, v0
	v_cmp_eq_u32_e32 vcc, 0, v5
	s_and_saveexec_b64 s[2:3], vcc
	s_cbranch_execz .LBB92_22
; %bb.21:
	s_waitcnt lgkmcnt(0)
	v_max_f32_e32 v9, v9, v9
	v_max_f32_e32 v6, v6, v6
	v_max_f32_e32 v6, v6, v9
	ds_write_b32 v12, v6 offset:160
.LBB92_22:
	s_or_b64 exec, exec, s[2:3]
	v_cmp_gt_u32_e64 s[2:3], 2, v5
	v_mov_b32_e32 v6, 0xff7fffff
	v_lshlrev_b32_e32 v13, 2, v5
	s_waitcnt lgkmcnt(0)
	s_barrier
	s_and_saveexec_b64 s[4:5], s[2:3]
	s_cbranch_execz .LBB92_24
; %bb.23:
	ds_read_b32 v6, v13 offset:160
.LBB92_24:
	s_or_b64 exec, exec, s[4:5]
	v_xor_b32_e32 v9, 1, v2
	v_cmp_lt_i32_e64 s[4:5], v9, v3
	v_cndmask_b32_e64 v9, v2, v9, s[4:5]
	v_lshlrev_b32_e32 v9, 2, v9
	s_waitcnt lgkmcnt(0)
	ds_bpermute_b32 v16, v9, v6
	v_max_f32_e32 v6, v6, v6
	s_sub_i32 s4, s47, s38
	s_lshl_b32 s4, s4, 4
	s_add_i32 s4, s4, s48
	s_waitcnt lgkmcnt(0)
	v_max_f32_e32 v16, v16, v16
	v_max_f32_e32 v6, v6, v16
	v_lshlrev_b32_e32 v16, 2, v2
	v_and_b32_e32 v16, 0x100, v16
	ds_bpermute_b32 v6, v16, v6
	s_min_i32 s42, s4, s29
	s_sub_i32 s15, s42, s48
	v_cmp_gt_i32_e64 s[4:5], s15, v0
	v_mov_b32_e32 v17, 0
	s_and_saveexec_b64 s[38:39], s[4:5]
	s_cbranch_execz .LBB92_28
; %bb.25:
	v_mov_b32_e32 v17, 0xb0
	v_lshl_add_u32 v18, v0, 2, v17
	s_mov_b64 s[40:41], 0
	v_mov_b32_e32 v17, 0
	v_mov_b32_e32 v19, v0
.LBB92_26:                              ; =>This Inner Loop Header: Depth=1
	ds_read_b32 v20, v18
	v_add_u32_e32 v19, 0x80, v19
	v_cmp_le_i32_e64 s[10:11], s15, v19
	s_or_b64 s[40:41], s[10:11], s[40:41]
	s_waitcnt lgkmcnt(0)
	v_sub_f32_e32 v20, v20, v6
	v_mul_f32_e32 v20, 0x3fb8aa3b, v20
	v_exp_f32_e32 v20, v20
	ds_write_b32 v18, v20
	v_add_f32_e32 v17, v17, v20
	v_add_u32_e32 v18, 0x200, v18
	s_andn2_b64 exec, exec, s[40:41]
	s_cbranch_execnz .LBB92_26
; %bb.27:
	s_or_b64 exec, exec, s[40:41]
.LBB92_28:
	s_or_b64 exec, exec, s[38:39]
	ds_bpermute_b32 v7, v7, v17
	s_waitcnt lgkmcnt(0)
	v_add_f32_e32 v7, v17, v7
	ds_bpermute_b32 v8, v8, v7
	s_waitcnt lgkmcnt(0)
	v_add_f32_e32 v7, v7, v8
	ds_bpermute_b32 v8, v14, v7
	v_xor_b32_e32 v14, 2, v2
	v_cmp_lt_i32_e64 s[10:11], v14, v3
	v_cndmask_b32_e64 v2, v2, v14, s[10:11]
	v_lshlrev_b32_e32 v2, 2, v2
	s_waitcnt lgkmcnt(0)
	v_add_f32_e32 v7, v7, v8
	ds_bpermute_b32 v8, v15, v7
	s_waitcnt lgkmcnt(0)
	v_add_f32_e32 v3, v7, v8
	ds_bpermute_b32 v2, v2, v3
	;; [unrolled: 3-line block ×3, first 2 shown]
	s_waitcnt lgkmcnt(0)
	v_add_f32_e32 v2, v2, v3
	s_and_saveexec_b64 s[10:11], vcc
	s_cbranch_execz .LBB92_30
; %bb.29:
	ds_write_b32 v12, v2 offset:168
.LBB92_30:
	s_or_b64 exec, exec, s[10:11]
	s_waitcnt lgkmcnt(0)
	s_barrier
	s_and_saveexec_b64 s[10:11], s[2:3]
	s_cbranch_execz .LBB92_32
; %bb.31:
	ds_read_b32 v2, v13 offset:168
.LBB92_32:
	s_or_b64 exec, exec, s[10:11]
	s_waitcnt lgkmcnt(0)
	ds_bpermute_b32 v3, v9, v2
	s_waitcnt lgkmcnt(0)
	v_add_f32_e32 v2, v2, v3
	ds_bpermute_b32 v7, v16, v2
	s_and_saveexec_b64 s[2:3], s[4:5]
	s_cbranch_execz .LBB92_45
; %bb.33:
	s_waitcnt lgkmcnt(0)
	v_add_f32_e32 v2, 0x358637bd, v7
	v_div_scale_f32 v3, s[4:5], v2, v2, 1.0
	v_rcp_f32_e32 v8, v3
	v_div_scale_f32 v12, vcc, 1.0, v2, 1.0
	s_movk_i32 s4, 0x7f
	v_fma_f32 v13, -v3, v8, 1.0
	v_fmac_f32_e32 v8, v13, v8
	v_mul_f32_e32 v13, v12, v8
	v_fma_f32 v14, -v3, v13, v12
	v_fmac_f32_e32 v13, v14, v8
	v_fma_f32 v3, -v3, v13, v12
	v_div_fmas_f32 v3, v3, v8, v13
	v_div_fixup_f32 v2, v3, v2, 1.0
	v_xad_u32 v3, v0, -1, s42
	v_subrev_u32_e32 v8, s48, v3
	v_cmp_lt_u32_e32 vcc, s4, v8
	s_mov_b64 s[10:11], -1
	v_mov_b32_e32 v3, v0
	s_and_saveexec_b64 s[4:5], vcc
	s_cbranch_execz .LBB92_42
; %bb.34:
	v_lshrrev_b32_e32 v8, 7, v8
	v_add_u32_e32 v13, -1, v8
	v_lshrrev_b32_e32 v12, 1, v13
	v_mov_b32_e32 v3, v2
	v_add_u32_e32 v12, 1, v12
	v_cmp_lt_u32_e32 vcc, 13, v13
	v_mov_b32_e32 v15, 0
	s_and_saveexec_b64 s[10:11], vcc
	s_cbranch_execz .LBB92_38
; %bb.35:
	v_mov_b32_e32 v14, 0xb0
	v_and_b32_e32 v13, -8, v12
	v_lshl_add_u32 v14, v0, 2, v14
	s_mov_b32 s40, 0
	s_mov_b64 s[38:39], 0
.LBB92_36:                              ; =>This Inner Loop Header: Depth=1
	ds_read2st64_b32 v[16:17], v14 offset1:2
	ds_read2st64_b32 v[18:19], v14 offset0:4 offset1:6
	ds_read2st64_b32 v[20:21], v14 offset0:8 offset1:10
	;; [unrolled: 1-line block ×3, first 2 shown]
	v_add_u32_e32 v13, -8, v13
	s_waitcnt lgkmcnt(3)
	v_pk_mul_f32 v[16:17], v[2:3], v[16:17]
	s_waitcnt lgkmcnt(2)
	v_pk_mul_f32 v[18:19], v[2:3], v[18:19]
	ds_write2st64_b32 v14, v16, v17 offset1:2
	ds_write2st64_b32 v14, v18, v19 offset0:4 offset1:6
	ds_read2st64_b32 v[18:19], v14 offset0:16 offset1:18
	s_waitcnt lgkmcnt(4)
	v_pk_mul_f32 v[16:17], v[2:3], v[20:21]
	ds_write2st64_b32 v14, v16, v17 offset0:8 offset1:10
	s_waitcnt lgkmcnt(4)
	v_pk_mul_f32 v[16:17], v[2:3], v[22:23]
	ds_write2st64_b32 v14, v16, v17 offset0:12 offset1:14
	ds_read2st64_b32 v[16:17], v14 offset0:20 offset1:22
	s_waitcnt lgkmcnt(3)
	v_pk_mul_f32 v[18:19], v[2:3], v[18:19]
	ds_read2st64_b32 v[20:21], v14 offset0:24 offset1:26
	ds_write2st64_b32 v14, v18, v19 offset0:16 offset1:18
	ds_read2st64_b32 v[18:19], v14 offset0:28 offset1:30
	s_waitcnt lgkmcnt(3)
	v_pk_mul_f32 v[16:17], v[2:3], v[16:17]
	ds_write2st64_b32 v14, v16, v17 offset0:20 offset1:22
	s_waitcnt lgkmcnt(3)
	v_pk_mul_f32 v[16:17], v[2:3], v[20:21]
	ds_write2st64_b32 v14, v16, v17 offset0:24 offset1:26
	s_waitcnt lgkmcnt(2)
	v_pk_mul_f32 v[16:17], v[2:3], v[18:19]
	s_add_i32 s40, s40, 16
	v_cmp_eq_u32_e32 vcc, 0, v13
	ds_write2st64_b32 v14, v16, v17 offset0:28 offset1:30
	v_add_u32_e32 v14, 0x2000, v14
	s_or_b64 s[38:39], vcc, s[38:39]
	v_mov_b32_e32 v15, s40
	s_andn2_b64 exec, exec, s[38:39]
	s_cbranch_execnz .LBB92_36
; %bb.37:
	s_or_b64 exec, exec, s[38:39]
.LBB92_38:
	s_or_b64 exec, exec, s[10:11]
	v_and_b32_e32 v12, 7, v12
	v_cmp_ne_u32_e32 vcc, 0, v12
	s_and_saveexec_b64 s[10:11], vcc
	s_cbranch_execz .LBB92_41
; %bb.39:
	v_lshlrev_b32_e32 v13, 9, v15
	v_lshlrev_b32_e32 v14, 2, v0
	s_movk_i32 s38, 0xb0
	v_add3_u32 v13, v13, v14, s38
	s_mov_b64 s[38:39], 0
.LBB92_40:                              ; =>This Inner Loop Header: Depth=1
	ds_read2st64_b32 v[14:15], v13 offset1:2
	v_add_u32_e32 v12, -1, v12
	v_cmp_eq_u32_e32 vcc, 0, v12
	s_or_b64 s[38:39], vcc, s[38:39]
	s_waitcnt lgkmcnt(0)
	v_pk_mul_f32 v[14:15], v[2:3], v[14:15]
	ds_write2st64_b32 v13, v14, v15 offset1:2
	v_add_u32_e32 v13, 0x400, v13
	s_andn2_b64 exec, exec, s[38:39]
	s_cbranch_execnz .LBB92_40
.LBB92_41:
	s_or_b64 exec, exec, s[10:11]
	v_add_u32_e32 v8, 1, v8
	v_and_b32_e32 v12, 0x3fffffe, v8
	v_cmp_ne_u32_e32 vcc, v8, v12
	v_lshl_add_u32 v3, v12, 7, v0
	s_orn2_b64 s[10:11], vcc, exec
.LBB92_42:
	s_or_b64 exec, exec, s[4:5]
	s_and_b64 exec, exec, s[10:11]
	s_cbranch_execz .LBB92_45
; %bb.43:
	v_mov_b32_e32 v8, 0xb0
	v_lshl_add_u32 v8, v3, 2, v8
	s_mov_b64 s[4:5], 0
.LBB92_44:                              ; =>This Inner Loop Header: Depth=1
	ds_read_b32 v12, v8
	v_add_u32_e32 v3, 0x80, v3
	v_cmp_le_i32_e32 vcc, s15, v3
	s_or_b64 s[4:5], vcc, s[4:5]
	s_waitcnt lgkmcnt(0)
	v_mul_f32_e32 v12, v2, v12
	ds_write_b32 v8, v12
	v_add_u32_e32 v8, 0x200, v8
	s_andn2_b64 exec, exec, s[4:5]
	s_cbranch_execnz .LBB92_44
.LBB92_45:
	s_or_b64 exec, exec, s[2:3]
	s_mul_i32 s2, s16, s28
	v_cmp_eq_u32_e32 vcc, 0, v0
	s_mul_i32 s10, s2, s9
	s_waitcnt lgkmcnt(0)
	s_barrier
	s_and_saveexec_b64 s[2:3], vcc
	s_cbranch_execz .LBB92_47
; %bb.46:
	s_ashr_i32 s11, s10, 31
	s_lshl_b64 s[4:5], s[10:11], 2
	s_add_u32 s9, s22, s4
	s_mul_i32 s22, s16, s6
	s_addc_u32 s11, s23, s5
	s_ashr_i32 s23, s22, 31
	s_lshl_b64 s[22:23], s[22:23], 2
	s_add_u32 s6, s9, s22
	s_addc_u32 s11, s11, s23
	s_ashr_i32 s9, s8, 31
	s_lshl_b64 s[38:39], s[8:9], 2
	s_add_u32 s40, s6, s38
	s_addc_u32 s41, s11, s39
	s_add_u32 s4, s20, s4
	s_addc_u32 s5, s21, s5
	;; [unrolled: 2-line block ×3, first 2 shown]
	s_add_u32 s4, s4, s38
	v_mov_b32_e32 v2, 0
	s_addc_u32 s5, s5, s39
	global_store_dword v2, v6, s[40:41]
	global_store_dword v2, v7, s[4:5]
.LBB92_47:
	s_or_b64 exec, exec, s[2:3]
	s_mov_b32 s4, 0
	v_mov_b32_e32 v8, 0
	v_lshrrev_b32_e32 v17, 1, v5
	v_and_b32_e32 v16, 1, v0
	v_mov_b32_e32 v7, 0
	v_mov_b32_e32 v6, 0
	s_and_saveexec_b64 s[20:21], s[0:1]
	s_cbranch_execz .LBB92_61
; %bb.48:
	s_ashr_i32 s15, s14, 31
	s_sub_i32 s9, s12, s17
	s_lshl_b64 s[0:1], s[14:15], 1
	s_add_u32 s14, s36, s0
	s_addc_u32 s15, s37, s1
	s_abs_i32 s18, s18
	v_cvt_f32_u32_e32 v5, s18
	v_lshlrev_b32_e32 v2, 3, v0
	v_and_b32_e32 v18, 8, v2
	v_or_b32_e32 v3, 64, v17
	s_movk_i32 s0, 0x50
	v_cmp_gt_u32_e32 vcc, s0, v3
	v_lshl_or_b32 v14, v3, 4, v18
	v_rcp_iflag_f32_e32 v3, v5
	s_sub_i32 s0, 0, s18
	s_add_i32 s17, s7, -1
	v_lshlrev_b64 v[6:7], 2, v[10:11]
	v_mul_f32_e32 v3, 0x4f7ffffe, v3
	v_cvt_u32_f32_e32 v3, v3
	s_mov_b32 s6, s4
	v_lshl_or_b32 v2, v17, 4, v18
	s_mov_b32 s5, s4
	v_mul_lo_u32 v5, s0, v3
	s_lshl_b64 s[0:1], s[34:35], 2
	s_add_u32 s0, s30, s0
	v_mul_hi_u32 v5, v3, v5
	s_addc_u32 s1, s31, s1
	v_add_u32_e32 v19, v3, v5
	v_mov_b32_e32 v3, s1
	v_add_co_u32_e64 v12, s[0:1], s0, v6
	v_addc_co_u32_e64 v13, s[0:1], v3, v7, s[0:1]
	v_lshlrev_b32_e32 v3, 5, v16
	v_lshl_or_b32 v3, v4, 6, v3
	v_mov_b32_e32 v8, s6
	s_mov_b32 s11, s13
	s_mov_b32 s22, s29
	;; [unrolled: 1-line block ×8, first 2 shown]
	v_add_u32_e32 v11, 0xb0, v3
	s_mov_b64 s[12:13], 0
	v_mov_b32_e32 v7, s5
	v_mov_b32_e32 v6, s4
	v_lshlrev_b32_e32 v20, 1, v2
	s_mov_b32 s30, 0x5040100
	v_lshlrev_b32_e32 v21, 1, v14
	s_branch .LBB92_52
.LBB92_49:                              ;   in Loop: Header=BB92_52 Depth=1
	s_or_b64 exec, exec, s[2:3]
	s_waitcnt vmcnt(0)
	;;#ASMSTART
	v_pk_mul_f16 v2, v28, v2;

	;;#ASMEND
	;;#ASMSTART
	v_pk_mul_f16 v3, v27, v3;

	;;#ASMEND
	;; [unrolled: 4-line block ×4, first 2 shown]
	;;#ASMSTART
	v_pk_add_f16 v2, v2, v3;

	;;#ASMEND
	;;#ASMSTART
	v_pk_add_f16 v2, v2, v4;

	;;#ASMEND
	;; [unrolled: 4-line block ×3, first 2 shown]
	v_lshrrev_b32_e32 v3, 16, v2
	v_and_b32_e32 v2, 0xffff, v2
	;;#ASMSTART
	v_cvt_f32_f16 v2, v2;
	;;#ASMEND
	;;#ASMSTART
	v_cvt_f32_f16 v3, v3;
	;;#ASMEND
	v_add_f32_e32 v2, v2, v3
	v_add_f32_e32 v8, v8, v2
.LBB92_50:                              ;   in Loop: Header=BB92_52 Depth=1
	s_or_b64 exec, exec, s[6:7]
.LBB92_51:                              ;   in Loop: Header=BB92_52 Depth=1
	s_or_b64 exec, exec, s[4:5]
	v_add_co_u32_e64 v12, s[0:1], 8, v12
	v_add_u32_e32 v10, 2, v10
	v_addc_co_u32_e64 v13, s[0:1], 0, v13, s[0:1]
	v_cmp_le_i32_e64 s[0:1], s47, v10
	v_add_u32_e32 v1, 32, v1
	s_or_b64 s[12:13], s[0:1], s[12:13]
	v_add_u32_e32 v11, 0x80, v11
	s_andn2_b64 exec, exec, s[12:13]
	s_cbranch_execz .LBB92_60
.LBB92_52:                              ; =>This Inner Loop Header: Depth=1
	v_sub_u32_e32 v3, 0, v1
	v_max_i32_e32 v3, v1, v3
	v_mul_hi_u32 v4, v3, s33
	v_mul_lo_u32 v5, v4, s25
	v_sub_u32_e32 v3, v3, v5
	v_add_u32_e32 v5, 1, v4
	v_cmp_le_u32_e64 s[0:1], s25, v3
	v_cndmask_b32_e64 v4, v4, v5, s[0:1]
	v_subrev_u32_e32 v5, s25, v3
	v_cndmask_b32_e64 v3, v3, v5, s[0:1]
	v_ashrrev_i32_e32 v2, 31, v1
	v_add_u32_e32 v5, 1, v4
	v_cmp_le_u32_e64 s[0:1], s25, v3
	v_xor_b32_e32 v2, s19, v2
	v_cndmask_b32_e64 v3, v4, v5, s[0:1]
	v_xor_b32_e32 v3, v3, v2
	v_sub_u32_e32 v2, v3, v2
	v_add_u32_e32 v3, s46, v2
	v_sub_u32_e32 v5, 0, v3
	v_ashrrev_i32_e32 v4, 31, v3
	v_max_i32_e32 v3, v3, v5
	v_mul_hi_u32 v5, v3, v19
	v_mul_lo_u32 v5, v5, s18
	v_sub_u32_e32 v3, v3, v5
	v_subrev_u32_e32 v5, s18, v3
	v_cmp_le_u32_e64 s[0:1], s18, v3
	v_cndmask_b32_e64 v3, v3, v5, s[0:1]
	v_subrev_u32_e32 v5, s18, v3
	v_cmp_le_u32_e64 s[0:1], s18, v3
	v_cndmask_b32_e64 v3, v3, v5, s[0:1]
	v_xor_b32_e32 v3, v3, v4
	v_sub_u32_e32 v3, v3, v4
	v_cmp_eq_u32_e64 s[0:1], 0, v3
	v_cmp_lt_i32_e64 s[2:3], s9, v2
	s_or_b64 s[0:1], s[0:1], s[2:3]
	s_and_saveexec_b64 s[4:5], s[0:1]
	s_cbranch_execz .LBB92_51
; %bb.53:                               ;   in Loop: Header=BB92_52 Depth=1
	global_load_dword v14, v[12:13], off
	ds_read2_b64 v[2:5], v11 offset1:1
	ds_read2_b64 v[30:33], v11 offset0:2 offset1:3
	v_mov_b32_e32 v15, s15
	v_add_u32_e32 v22, v18, v1
	s_waitcnt lgkmcnt(1)
	;;#ASMSTART
	v_cvt_f16_f32 v25, v2;

	;;#ASMEND
	;;#ASMSTART
	v_cvt_f16_f32 v26, v3;

	;;#ASMEND
	;; [unrolled: 4-line block ×4, first 2 shown]
	s_waitcnt lgkmcnt(0)
	;;#ASMSTART
	v_cvt_f16_f32 v30, v30;

	;;#ASMEND
	;;#ASMSTART
	v_cvt_f16_f32 v31, v31;

	;;#ASMEND
	;; [unrolled: 4-line block ×4, first 2 shown]
	s_waitcnt vmcnt(0)
	v_mad_i64_i32 v[2:3], s[0:1], v14, s11, 0
	v_lshlrev_b64 v[2:3], 1, v[2:3]
	v_add_co_u32_e64 v23, s[0:1], s14, v2
	v_addc_co_u32_e64 v24, s[0:1], v15, v3, s[0:1]
	v_add_co_u32_e64 v14, s[0:1], v23, v20
	v_addc_co_u32_e64 v15, s[0:1], 0, v24, s[0:1]
	global_load_dwordx4 v[2:5], v[14:15], off
	v_cmp_eq_u32_e64 s[0:1], s17, v10
	s_and_saveexec_b64 s[6:7], s[0:1]
	s_cbranch_execz .LBB92_55
; %bb.54:                               ;   in Loop: Header=BB92_52 Depth=1
	v_or_b32_e32 v38, 7, v22
	v_or_b32_e32 v39, 6, v22
	s_waitcnt vmcnt(0)
	v_lshrrev_b32_e32 v40, 16, v5
	v_cmp_gt_i32_e64 s[2:3], s39, v38
	v_cndmask_b32_e64 v38, 0, v40, s[2:3]
	v_cmp_gt_i32_e64 s[2:3], s38, v39
	v_or_b32_e32 v36, 5, v22
	v_cndmask_b32_e64 v5, 0, v5, s[2:3]
	v_or_b32_e32 v37, 4, v22
	v_perm_b32 v5, v38, v5, s30
	v_lshrrev_b32_e32 v38, 16, v4
	v_cmp_gt_i32_e64 s[2:3], s37, v36
	v_cndmask_b32_e64 v36, 0, v38, s[2:3]
	v_cmp_gt_i32_e64 s[2:3], s36, v37
	v_or_b32_e32 v34, 3, v22
	v_cndmask_b32_e64 v4, 0, v4, s[2:3]
	v_or_b32_e32 v35, 2, v22
	v_perm_b32 v4, v36, v4, s30
	v_lshrrev_b32_e32 v36, 16, v3
	v_cmp_gt_i32_e64 s[2:3], s28, v34
	v_cndmask_b32_e64 v34, 0, v36, s[2:3]
	v_cmp_gt_i32_e64 s[2:3], s23, v35
	v_add_u32_e32 v28, 1, v22
	v_cndmask_b32_e64 v3, 0, v3, s[2:3]
	v_perm_b32 v3, v34, v3, s30
	v_lshrrev_b32_e32 v34, 16, v2
	v_cmp_gt_i32_e64 s[2:3], s22, v28
	v_cndmask_b32_e64 v28, 0, v34, s[2:3]
	v_cmp_gt_i32_e64 s[2:3], s29, v22
	v_cndmask_b32_e64 v2, 0, v2, s[2:3]
	v_perm_b32 v2, v28, v2, s30
.LBB92_55:                              ;   in Loop: Header=BB92_52 Depth=1
	s_or_b64 exec, exec, s[6:7]
	v_and_b32_e32 v25, 0xffff, v25
	v_lshl_or_b32 v28, v26, 16, v25
	v_and_b32_e32 v25, 0xffff, v27
	v_lshl_or_b32 v27, v29, 16, v25
	v_and_b32_e32 v25, 0xffff, v30
	v_lshl_or_b32 v26, v31, 16, v25
	v_and_b32_e32 v25, 0xffff, v32
	s_waitcnt vmcnt(0)
	;;#ASMSTART
	v_pk_mul_f16 v2, v28, v2;

	;;#ASMEND
	v_lshl_or_b32 v25, v33, 16, v25
	;;#ASMSTART
	v_pk_mul_f16 v3, v27, v3;

	;;#ASMEND
	;;#ASMSTART
	v_pk_mul_f16 v4, v26, v4;

	;;#ASMEND
	;; [unrolled: 4-line block ×3, first 2 shown]
	;;#ASMSTART
	v_pk_add_f16 v2, v2, v3;

	;;#ASMEND
	;;#ASMSTART
	v_pk_add_f16 v2, v2, v4;

	;;#ASMEND
	;; [unrolled: 4-line block ×3, first 2 shown]
	v_lshrrev_b32_e32 v3, 16, v2
	v_and_b32_e32 v2, 0xffff, v2
	;;#ASMSTART
	v_cvt_f32_f16 v29, v2;
	;;#ASMEND
	;;#ASMSTART
	v_cvt_f32_f16 v30, v3;
	;;#ASMEND
	global_load_dwordx4 v[2:5], v[14:15], off offset:1024
	s_and_saveexec_b64 s[6:7], s[0:1]
	s_cbranch_execz .LBB92_57
; %bb.56:                               ;   in Loop: Header=BB92_52 Depth=1
	v_or_b32_e32 v34, 7, v22
	v_or_b32_e32 v35, 6, v22
	s_waitcnt vmcnt(0)
	v_lshrrev_b32_e32 v36, 16, v5
	v_cmp_gt_i32_e64 s[2:3], s39, v34
	v_cndmask_b32_e64 v34, 0, v36, s[2:3]
	v_cmp_gt_i32_e64 s[2:3], s38, v35
	v_or_b32_e32 v32, 5, v22
	v_cndmask_b32_e64 v5, 0, v5, s[2:3]
	v_or_b32_e32 v33, 4, v22
	v_perm_b32 v5, v34, v5, s30
	v_lshrrev_b32_e32 v34, 16, v4
	v_cmp_gt_i32_e64 s[2:3], s37, v32
	v_cndmask_b32_e64 v32, 0, v34, s[2:3]
	v_cmp_gt_i32_e64 s[2:3], s36, v33
	v_or_b32_e32 v15, 3, v22
	v_cndmask_b32_e64 v4, 0, v4, s[2:3]
	v_or_b32_e32 v31, 2, v22
	v_perm_b32 v4, v32, v4, s30
	v_lshrrev_b32_e32 v32, 16, v3
	v_cmp_gt_i32_e64 s[2:3], s28, v15
	v_cndmask_b32_e64 v15, 0, v32, s[2:3]
	v_cmp_gt_i32_e64 s[2:3], s23, v31
	v_add_u32_e32 v14, 1, v22
	v_cndmask_b32_e64 v3, 0, v3, s[2:3]
	v_perm_b32 v3, v15, v3, s30
	v_lshrrev_b32_e32 v15, 16, v2
	v_cmp_gt_i32_e64 s[2:3], s22, v14
	v_cndmask_b32_e64 v14, 0, v15, s[2:3]
	v_cmp_gt_i32_e64 s[2:3], s29, v22
	v_cndmask_b32_e64 v2, 0, v2, s[2:3]
	v_perm_b32 v2, v14, v2, s30
.LBB92_57:                              ;   in Loop: Header=BB92_52 Depth=1
	s_or_b64 exec, exec, s[6:7]
	s_waitcnt vmcnt(0)
	;;#ASMSTART
	v_pk_mul_f16 v2, v28, v2;

	;;#ASMEND
	;;#ASMSTART
	v_pk_mul_f16 v3, v27, v3;

	;;#ASMEND
	;;#ASMSTART
	v_pk_mul_f16 v4, v26, v4;

	;;#ASMEND
	;;#ASMSTART
	v_pk_mul_f16 v5, v25, v5;

	;;#ASMEND
	;;#ASMSTART
	v_pk_add_f16 v2, v2, v3;

	;;#ASMEND
	;;#ASMSTART
	v_pk_add_f16 v2, v2, v4;

	;;#ASMEND
	;; [unrolled: 4-line block ×3, first 2 shown]
	v_lshrrev_b32_e32 v3, 16, v2
	v_and_b32_e32 v2, 0xffff, v2
	;;#ASMSTART
	v_cvt_f32_f16 v2, v2;
	;;#ASMEND
	v_add_f32_e32 v14, v29, v30
	;;#ASMSTART
	v_cvt_f32_f16 v3, v3;
	;;#ASMEND
	v_add_f32_e32 v2, v2, v3
	v_add_f32_e32 v6, v6, v14
	;; [unrolled: 1-line block ×3, first 2 shown]
	s_and_saveexec_b64 s[6:7], vcc
	s_cbranch_execz .LBB92_50
; %bb.58:                               ;   in Loop: Header=BB92_52 Depth=1
	v_add_co_u32_e64 v2, s[2:3], v23, v21
	v_addc_co_u32_e64 v3, s[2:3], 0, v24, s[2:3]
	global_load_dwordx4 v[2:5], v[2:3], off
	s_and_saveexec_b64 s[2:3], s[0:1]
	s_cbranch_execz .LBB92_49
; %bb.59:                               ;   in Loop: Header=BB92_52 Depth=1
	v_or_b32_e32 v30, 7, v22
	v_or_b32_e32 v31, 6, v22
	s_waitcnt vmcnt(0)
	v_lshrrev_b32_e32 v32, 16, v5
	v_cmp_gt_i32_e64 s[0:1], s39, v30
	v_cndmask_b32_e64 v30, 0, v32, s[0:1]
	v_cmp_gt_i32_e64 s[0:1], s38, v31
	v_or_b32_e32 v24, 5, v22
	v_cndmask_b32_e64 v5, 0, v5, s[0:1]
	v_or_b32_e32 v29, 4, v22
	v_perm_b32 v5, v30, v5, s30
	v_lshrrev_b32_e32 v30, 16, v4
	v_cmp_gt_i32_e64 s[0:1], s37, v24
	v_cndmask_b32_e64 v24, 0, v30, s[0:1]
	v_cmp_gt_i32_e64 s[0:1], s36, v29
	v_or_b32_e32 v15, 3, v22
	v_cndmask_b32_e64 v4, 0, v4, s[0:1]
	v_or_b32_e32 v23, 2, v22
	v_perm_b32 v4, v24, v4, s30
	v_lshrrev_b32_e32 v24, 16, v3
	v_cmp_gt_i32_e64 s[0:1], s28, v15
	v_cndmask_b32_e64 v15, 0, v24, s[0:1]
	v_cmp_gt_i32_e64 s[0:1], s23, v23
	v_add_u32_e32 v14, 1, v22
	v_cndmask_b32_e64 v3, 0, v3, s[0:1]
	v_perm_b32 v3, v15, v3, s30
	v_lshrrev_b32_e32 v15, 16, v2
	v_cmp_gt_i32_e64 s[0:1], s22, v14
	v_cndmask_b32_e64 v14, 0, v15, s[0:1]
	v_cmp_gt_i32_e64 s[0:1], s29, v22
	v_cndmask_b32_e64 v2, 0, v2, s[0:1]
	v_perm_b32 v2, v14, v2, s30
	s_branch .LBB92_49
.LBB92_60:
	s_or_b64 exec, exec, s[12:13]
.LBB92_61:
	s_or_b64 exec, exec, s[20:21]
	ds_bpermute_b32 v2, v9, v6
	ds_bpermute_b32 v3, v9, v7
	;; [unrolled: 1-line block ×3, first 2 shown]
	v_and_b32_e32 v4, 0x3c0, v0
	v_cmp_eq_u32_e32 vcc, 64, v4
	s_waitcnt lgkmcnt(0)
	v_pk_add_f32 v[2:3], v[6:7], v[2:3]
	v_add_f32_e32 v1, v8, v1
	s_barrier
	s_and_saveexec_b64 s[2:3], vcc
	s_cbranch_execz .LBB92_66
; %bb.62:
	v_cmp_eq_u32_e32 vcc, 0, v16
	s_and_saveexec_b64 s[0:1], vcc
	s_cbranch_execz .LBB92_64
; %bb.63:
	v_mov_b32_e32 v4, 0xb0
	v_lshl_add_u32 v4, v17, 2, v4
	ds_write2_b32 v4, v2, v3 offset1:32
.LBB92_64:
	s_or_b64 exec, exec, s[0:1]
	v_or_b32_e32 v4, 64, v17
	s_movk_i32 s0, 0x50
	v_cmp_gt_u32_e64 s[0:1], s0, v4
	s_and_b64 s[0:1], vcc, s[0:1]
	s_and_b64 exec, exec, s[0:1]
	s_cbranch_execz .LBB92_66
; %bb.65:
	v_mov_b32_e32 v4, 0xb0
	v_lshl_add_u32 v4, v17, 2, v4
	ds_write_b32 v4, v1 offset:256
.LBB92_66:
	s_or_b64 exec, exec, s[2:3]
	v_cmp_gt_u32_e32 vcc, 64, v0
	v_lshrrev_b32_e32 v0, 1, v0
	s_waitcnt lgkmcnt(0)
	s_barrier
	s_and_saveexec_b64 s[4:5], vcc
	s_cbranch_execz .LBB92_74
; %bb.67:
	v_cmp_eq_u32_e64 s[0:1], 0, v16
	s_and_saveexec_b64 s[2:3], s[0:1]
	s_cbranch_execz .LBB92_69
; %bb.68:
	v_mov_b32_e32 v4, 0xb0
	v_lshl_add_u32 v4, v0, 2, v4
	ds_read_b32 v4, v4
	s_waitcnt lgkmcnt(0)
	v_add_f32_e32 v2, v2, v4
.LBB92_69:
	s_or_b64 exec, exec, s[2:3]
	s_and_saveexec_b64 s[2:3], s[0:1]
	s_cbranch_execz .LBB92_71
; %bb.70:
	v_mov_b32_e32 v4, 0xb0
	v_lshl_add_u32 v4, v0, 2, v4
	ds_read_b32 v4, v4 offset:128
	s_waitcnt lgkmcnt(0)
	v_add_f32_e32 v3, v3, v4
.LBB92_71:
	s_or_b64 exec, exec, s[2:3]
	v_or_b32_e32 v4, 64, v0
	s_movk_i32 s2, 0x50
	v_cmp_gt_u32_e64 s[2:3], s2, v4
	s_and_b64 s[2:3], s[0:1], s[2:3]
	s_and_saveexec_b64 s[0:1], s[2:3]
	s_cbranch_execz .LBB92_73
; %bb.72:
	v_mov_b32_e32 v4, 0xb0
	v_lshl_add_u32 v4, v0, 2, v4
	ds_read_b32 v4, v4 offset:256
	s_waitcnt lgkmcnt(0)
	v_add_f32_e32 v1, v1, v4
.LBB92_73:
	s_or_b64 exec, exec, s[0:1]
.LBB92_74:
	s_or_b64 exec, exec, s[4:5]
	s_barrier
	s_and_saveexec_b64 s[0:1], vcc
	s_cbranch_execz .LBB92_79
; %bb.75:
	s_mul_i32 s0, s10, 0x50
	s_ashr_i32 s1, s0, 31
	s_lshl_b64 s[0:1], s[0:1], 1
	s_add_u32 s2, s26, s0
	s_mul_i32 s0, s16, s24
	s_addc_u32 s3, s27, s1
	s_ashr_i32 s1, s0, 31
	s_lshl_b64 s[0:1], s[0:1], 1
	s_add_u32 s2, s2, s0
	s_mul_i32 s0, s8, 0x50
	s_addc_u32 s3, s3, s1
	s_ashr_i32 s1, s0, 31
	s_lshl_b64 s[0:1], s[0:1], 1
	s_add_u32 s2, s2, s0
	s_movk_i32 s4, 0x50
	s_addc_u32 s3, s3, s1
	v_cmp_eq_u32_e32 vcc, 0, v16
	v_lshlrev_b32_e32 v4, 1, v0
	s_and_saveexec_b64 s[0:1], vcc
	s_cbranch_execz .LBB92_77
; %bb.76:
	;;#ASMSTART
	v_cvt_f16_f32 v2, v2;

	;;#ASMEND
	global_store_short v4, v2, s[2:3]
	;;#ASMSTART
	v_cvt_f16_f32 v2, v3;

	;;#ASMEND
	global_store_short v4, v2, s[2:3] offset:64
.LBB92_77:
	s_or_b64 exec, exec, s[0:1]
	v_or_b32_e32 v0, 64, v0
	v_cmp_gt_u32_e64 s[0:1], s4, v0
	s_and_b64 s[0:1], vcc, s[0:1]
	s_and_b64 exec, exec, s[0:1]
	s_cbranch_execz .LBB92_79
; %bb.78:
	;;#ASMSTART
	v_cvt_f16_f32 v0, v1;

	;;#ASMEND
	global_store_short v4, v0, s[2:3] offset:128
.LBB92_79:
	s_endpgm
	.section	.rodata,"a",@progbits
	.p2align	6, 0x0
	.amdhsa_kernel _ZN4vllm25paged_attention_v2_kernelIttLi80ELi16ELi128ELNS_18Fp8KVCacheDataTypeE0ELb1ELi512EEEvPfS2_PT_PKS3_PKT0_S9_ifPKiSB_iPKfiiiSD_SD_iiiii
		.amdhsa_group_segment_fixed_size 176
		.amdhsa_private_segment_fixed_size 0
		.amdhsa_kernarg_size 400
		.amdhsa_user_sgpr_count 6
		.amdhsa_user_sgpr_private_segment_buffer 1
		.amdhsa_user_sgpr_dispatch_ptr 0
		.amdhsa_user_sgpr_queue_ptr 0
		.amdhsa_user_sgpr_kernarg_segment_ptr 1
		.amdhsa_user_sgpr_dispatch_id 0
		.amdhsa_user_sgpr_flat_scratch_init 0
		.amdhsa_user_sgpr_kernarg_preload_length 0
		.amdhsa_user_sgpr_kernarg_preload_offset 0
		.amdhsa_user_sgpr_private_segment_size 0
		.amdhsa_uses_dynamic_stack 0
		.amdhsa_system_sgpr_private_segment_wavefront_offset 0
		.amdhsa_system_sgpr_workgroup_id_x 1
		.amdhsa_system_sgpr_workgroup_id_y 1
		.amdhsa_system_sgpr_workgroup_id_z 1
		.amdhsa_system_sgpr_workgroup_info 0
		.amdhsa_system_vgpr_workitem_id 0
		.amdhsa_next_free_vgpr 55
		.amdhsa_next_free_sgpr 52
		.amdhsa_accum_offset 56
		.amdhsa_reserve_vcc 1
		.amdhsa_reserve_flat_scratch 0
		.amdhsa_float_round_mode_32 0
		.amdhsa_float_round_mode_16_64 0
		.amdhsa_float_denorm_mode_32 3
		.amdhsa_float_denorm_mode_16_64 3
		.amdhsa_dx10_clamp 1
		.amdhsa_ieee_mode 1
		.amdhsa_fp16_overflow 0
		.amdhsa_tg_split 0
		.amdhsa_exception_fp_ieee_invalid_op 0
		.amdhsa_exception_fp_denorm_src 0
		.amdhsa_exception_fp_ieee_div_zero 0
		.amdhsa_exception_fp_ieee_overflow 0
		.amdhsa_exception_fp_ieee_underflow 0
		.amdhsa_exception_fp_ieee_inexact 0
		.amdhsa_exception_int_div_zero 0
	.end_amdhsa_kernel
	.section	.text._ZN4vllm25paged_attention_v2_kernelIttLi80ELi16ELi128ELNS_18Fp8KVCacheDataTypeE0ELb1ELi512EEEvPfS2_PT_PKS3_PKT0_S9_ifPKiSB_iPKfiiiSD_SD_iiiii,"axG",@progbits,_ZN4vllm25paged_attention_v2_kernelIttLi80ELi16ELi128ELNS_18Fp8KVCacheDataTypeE0ELb1ELi512EEEvPfS2_PT_PKS3_PKT0_S9_ifPKiSB_iPKfiiiSD_SD_iiiii,comdat
.Lfunc_end92:
	.size	_ZN4vllm25paged_attention_v2_kernelIttLi80ELi16ELi128ELNS_18Fp8KVCacheDataTypeE0ELb1ELi512EEEvPfS2_PT_PKS3_PKT0_S9_ifPKiSB_iPKfiiiSD_SD_iiiii, .Lfunc_end92-_ZN4vllm25paged_attention_v2_kernelIttLi80ELi16ELi128ELNS_18Fp8KVCacheDataTypeE0ELb1ELi512EEEvPfS2_PT_PKS3_PKT0_S9_ifPKiSB_iPKfiiiSD_SD_iiiii
                                        ; -- End function
	.section	.AMDGPU.csdata,"",@progbits
; Kernel info:
; codeLenInByte = 6276
; NumSgprs: 56
; NumVgprs: 55
; NumAgprs: 0
; TotalNumVgprs: 55
; ScratchSize: 0
; MemoryBound: 0
; FloatMode: 240
; IeeeMode: 1
; LDSByteSize: 176 bytes/workgroup (compile time only)
; SGPRBlocks: 6
; VGPRBlocks: 6
; NumSGPRsForWavesPerEU: 56
; NumVGPRsForWavesPerEU: 55
; AccumOffset: 56
; Occupancy: 8
; WaveLimiterHint : 1
; COMPUTE_PGM_RSRC2:SCRATCH_EN: 0
; COMPUTE_PGM_RSRC2:USER_SGPR: 6
; COMPUTE_PGM_RSRC2:TRAP_HANDLER: 0
; COMPUTE_PGM_RSRC2:TGID_X_EN: 1
; COMPUTE_PGM_RSRC2:TGID_Y_EN: 1
; COMPUTE_PGM_RSRC2:TGID_Z_EN: 1
; COMPUTE_PGM_RSRC2:TIDIG_COMP_CNT: 0
; COMPUTE_PGM_RSRC3_GFX90A:ACCUM_OFFSET: 13
; COMPUTE_PGM_RSRC3_GFX90A:TG_SPLIT: 0
	.section	.text._ZN4vllm25paged_attention_v2_kernelIttLi96ELi16ELi128ELNS_18Fp8KVCacheDataTypeE0ELb1ELi512EEEvPfS2_PT_PKS3_PKT0_S9_ifPKiSB_iPKfiiiSD_SD_iiiii,"axG",@progbits,_ZN4vllm25paged_attention_v2_kernelIttLi96ELi16ELi128ELNS_18Fp8KVCacheDataTypeE0ELb1ELi512EEEvPfS2_PT_PKS3_PKT0_S9_ifPKiSB_iPKfiiiSD_SD_iiiii,comdat
	.protected	_ZN4vllm25paged_attention_v2_kernelIttLi96ELi16ELi128ELNS_18Fp8KVCacheDataTypeE0ELb1ELi512EEEvPfS2_PT_PKS3_PKT0_S9_ifPKiSB_iPKfiiiSD_SD_iiiii ; -- Begin function _ZN4vllm25paged_attention_v2_kernelIttLi96ELi16ELi128ELNS_18Fp8KVCacheDataTypeE0ELb1ELi512EEEvPfS2_PT_PKS3_PKT0_S9_ifPKiSB_iPKfiiiSD_SD_iiiii
	.globl	_ZN4vllm25paged_attention_v2_kernelIttLi96ELi16ELi128ELNS_18Fp8KVCacheDataTypeE0ELb1ELi512EEEvPfS2_PT_PKS3_PKT0_S9_ifPKiSB_iPKfiiiSD_SD_iiiii
	.p2align	8
	.type	_ZN4vllm25paged_attention_v2_kernelIttLi96ELi16ELi128ELNS_18Fp8KVCacheDataTypeE0ELb1ELi512EEEvPfS2_PT_PKS3_PKT0_S9_ifPKiSB_iPKfiiiSD_SD_iiiii,@function
_ZN4vllm25paged_attention_v2_kernelIttLi96ELi16ELi128ELNS_18Fp8KVCacheDataTypeE0ELb1ELi512EEEvPfS2_PT_PKS3_PKT0_S9_ifPKiSB_iPKfiiiSD_SD_iiiii: ; @_ZN4vllm25paged_attention_v2_kernelIttLi96ELi16ELi128ELNS_18Fp8KVCacheDataTypeE0ELb1ELi512EEEvPfS2_PT_PKS3_PKT0_S9_ifPKiSB_iPKfiiiSD_SD_iiiii
; %bb.0:
	s_load_dwordx2 s[0:1], s[4:5], 0x40
	s_mov_b32 s28, s7
	s_ashr_i32 s29, s7, 31
	s_lshl_b64 s[2:3], s[28:29], 2
	s_waitcnt lgkmcnt(0)
	s_add_u32 s0, s0, s2
	s_addc_u32 s1, s1, s3
	s_load_dword s29, s[0:1], 0x0
	s_lshl_b32 s48, s8, 9
	s_waitcnt lgkmcnt(0)
	s_cmp_ge_i32 s48, s29
	s_cbranch_scc1 .LBB93_69
; %bb.1:
	s_load_dword s9, s[4:5], 0x90
	s_load_dwordx2 s[38:39], s[4:5], 0x30
	s_mov_b32 s49, 0
	s_waitcnt lgkmcnt(0)
	s_abs_i32 s2, s9
	s_abs_i32 s0, s38
	v_cvt_f32_u32_e32 v1, s0
	s_sub_i32 s3, 0, s0
	s_xor_b32 s1, s9, s38
	s_ashr_i32 s1, s1, 31
	v_rcp_iflag_f32_e32 v1, v1
	v_mul_f32_e32 v1, 0x4f7ffffe, v1
	v_cvt_u32_f32_e32 v1, v1
	v_readfirstlane_b32 s7, v1
	s_mul_i32 s3, s3, s7
	s_mul_hi_u32 s3, s7, s3
	s_add_i32 s7, s7, s3
	s_mul_hi_u32 s3, s2, s7
	s_mul_i32 s7, s3, s0
	s_sub_i32 s2, s2, s7
	s_add_i32 s10, s3, 1
	s_sub_i32 s7, s2, s0
	s_cmp_ge_u32 s2, s0
	s_cselect_b32 s3, s10, s3
	s_cselect_b32 s2, s7, s2
	s_add_i32 s7, s3, 1
	s_cmp_ge_u32 s2, s0
	s_cselect_b32 s0, s7, s3
	s_xor_b32 s0, s0, s1
	s_sub_i32 s11, s0, s1
	s_abs_i32 s2, s11
	v_cvt_f32_u32_e32 v1, s2
	s_load_dwordx2 s[0:1], s[4:5], 0x50
	s_sub_i32 s7, 0, s2
	s_abs_i32 s3, s6
	v_rcp_iflag_f32_e32 v1, v1
	v_mul_f32_e32 v1, 0x4f7ffffe, v1
	v_cvt_u32_f32_e32 v1, v1
	v_readfirstlane_b32 s10, v1
	s_mul_i32 s7, s7, s10
	s_mul_hi_u32 s7, s10, s7
	s_add_i32 s10, s10, s7
	s_waitcnt lgkmcnt(0)
	s_cmp_eq_u64 s[0:1], 0
	s_mul_hi_u32 s10, s3, s10
	s_cbranch_scc1 .LBB93_3
; %bb.2:
	s_ashr_i32 s7, s6, 31
	s_lshl_b64 s[12:13], s[6:7], 2
	s_add_u32 s0, s0, s12
	s_addc_u32 s1, s1, s13
	s_load_dword s49, s[0:1], 0x0
.LBB93_3:
	s_load_dwordx4 s[12:15], s[4:5], 0x58
	s_ashr_i32 s7, s6, 31
	s_ashr_i32 s11, s11, 31
	v_and_b32_e32 v2, 3, v0
	s_mul_i32 s24, s6, 0x60
	v_cmp_gt_u32_e32 vcc, 48, v0
	s_and_saveexec_b64 s[0:1], vcc
	s_cbranch_execz .LBB93_5
; %bb.4:
	s_load_dwordx2 s[16:17], s[4:5], 0x18
	s_waitcnt lgkmcnt(0)
	s_mul_i32 s18, s28, s12
	s_ashr_i32 s19, s18, 31
	s_lshl_b64 s[18:19], s[18:19], 1
	v_lshlrev_b32_e32 v1, 2, v0
	s_add_u32 s12, s16, s18
	s_addc_u32 s15, s17, s19
	s_ashr_i32 s25, s24, 31
	s_lshl_b64 s[16:17], s[24:25], 1
	s_add_u32 s16, s12, s16
	s_addc_u32 s17, s15, s17
	global_load_dword v1, v1, s[16:17]
	v_and_b32_e32 v3, 0x3fc, v0
	v_mad_u32_u24 v3, v2, 48, v3
	s_waitcnt vmcnt(0)
	ds_write_b32 v3, v1
.LBB93_5:
	s_or_b64 exec, exec, s[0:1]
	s_mul_i32 s1, s10, s2
	s_sub_i32 s1, s3, s1
	s_xor_b32 s0, s7, s11
	s_add_i32 s3, s10, 1
	s_sub_i32 s7, s1, s2
	s_load_dwordx4 s[16:19], s[4:5], 0x78
	s_cmp_ge_u32 s1, s2
	s_cselect_b32 s3, s3, s10
	s_load_dword s10, s[4:5], 0x88
	s_cselect_b32 s1, s7, s1
	s_add_i32 s7, s3, 1
	s_cmp_ge_u32 s1, s2
	s_cselect_b32 s1, s7, s3
	s_waitcnt lgkmcnt(0)
	s_abs_i32 s25, s19
	v_cvt_f32_u32_e32 v1, s25
	s_xor_b32 s1, s1, s0
	s_sub_i32 s2, s1, s0
	s_sub_i32 s0, 0, s25
	v_rcp_iflag_f32_e32 v1, v1
	s_add_i32 s11, s29, -1
	s_abs_i32 s3, s11
	v_mul_f32_e32 v1, 0x4f7ffffe, v1
	v_cvt_u32_f32_e32 v1, v1
	s_barrier
	v_readfirstlane_b32 s33, v1
	s_mul_i32 s0, s0, s33
	s_mul_hi_u32 s0, s33, s0
	s_add_i32 s33, s33, s0
	s_cmp_lt_i32 s10, 0
	s_mul_hi_u32 s7, s3, s33
	s_cbranch_scc0 .LBB93_7
; %bb.6:
	s_mul_i32 s0, s16, s38
	s_add_i32 s0, s2, s0
	s_mul_i32 s0, s0, s10
	s_sub_i32 s46, 1, s0
	s_mov_b64 s[0:1], 0
	s_branch .LBB93_8
.LBB93_7:
	s_mov_b64 s[0:1], -1
                                        ; implicit-def: $sgpr46
.LBB93_8:
	s_load_dwordx2 s[30:31], s[4:5], 0x38
	s_ashr_i32 s11, s11, 31
	s_andn2_b64 vcc, exec, s[0:1]
	s_ashr_i32 s19, s19, 31
	s_cbranch_vccnz .LBB93_10
; %bb.9:
	s_mul_i32 s0, s9, s16
	s_add_i32 s0, s0, s6
	s_mul_i32 s0, s0, s10
	s_add_i32 s46, s0, 1
.LBB93_10:
	s_load_dword s0, s[4:5], 0x48
	s_load_dwordx2 s[36:37], s[4:5], 0x28
	s_load_dword s16, s[4:5], 0x98
	s_load_dwordx4 s[20:23], s[4:5], 0x0
	s_load_dwordx2 s[26:27], s[4:5], 0x10
	s_mul_i32 s1, s7, s25
	s_waitcnt lgkmcnt(0)
	s_mul_i32 s34, s28, s0
	s_sub_i32 s1, s3, s1
	s_ashr_i32 s35, s34, 31
	s_xor_b32 s0, s11, s19
	s_add_i32 s3, s7, 1
	s_sub_i32 s10, s1, s25
	s_cmp_ge_u32 s1, s25
	s_cselect_b32 s3, s3, s7
	s_cselect_b32 s1, s10, s1
	s_add_i32 s7, s3, 1
	s_cmp_ge_u32 s1, s25
	s_cselect_b32 s1, s7, s3
	s_xor_b32 s1, s1, s0
	s_sub_i32 s12, s1, s0
	s_add_i32 s0, s29, 15
	s_ashr_i32 s1, s0, 31
	s_lshr_b32 s1, s1, 28
	s_add_i32 s0, s0, s1
	s_lshl_b32 s38, s8, 5
	s_ashr_i32 s7, s0, 4
	s_add_i32 s0, s38, 32
	v_lshrrev_b32_e32 v4, 6, v0
	s_min_i32 s47, s0, s7
	v_or_b32_e32 v10, s38, v4
	v_cmp_gt_i32_e64 s[0:1], s47, v10
	v_mov_b32_e32 v12, 0xff7fffff
	s_mul_i32 s14, s2, s14
	v_ashrrev_i32_e32 v11, 31, v10
	v_lshl_add_u32 v1, v4, 4, s48
	v_mbcnt_lo_u32_b32 v5, -1, 0
	s_and_saveexec_b64 s[40:41], s[0:1]
	s_cbranch_execz .LBB93_20
; %bb.11:
	s_load_dwordx2 s[2:3], s[4:5], 0x20
	s_ashr_i32 s15, s14, 31
	s_sub_i32 s50, s12, s17
	s_lshl_b64 s[4:5], s[14:15], 1
	v_bfe_u32 v6, v0, 2, 4
	s_waitcnt lgkmcnt(0)
	s_add_u32 s2, s2, s4
	s_addc_u32 s3, s3, s5
	s_abs_i32 s15, s18
	v_cvt_f32_u32_e32 v8, s15
	v_lshlrev_b32_e32 v3, 4, v6
	v_mov_b32_e32 v7, s3
	v_add_co_u32_e64 v3, s[2:3], s2, v3
	v_rcp_iflag_f32_e32 v12, v8
	v_addc_co_u32_e64 v9, s[2:3], 0, v7, s[2:3]
	v_lshlrev_b32_e32 v7, 2, v0
	v_and_b32_e32 v7, 12, v7
	v_add_co_u32_e64 v7, s[2:3], v3, v7
	v_mul_f32_e32 v3, 0x4f7ffffe, v12
	v_cvt_u32_f32_e32 v3, v3
	s_sub_i32 s4, 0, s15
	v_cmp_eq_u32_e32 vcc, 0, v2
	v_addc_co_u32_e64 v8, s[2:3], 0, v9, s[2:3]
	v_mul_u32_u24_e32 v9, 48, v2
	v_mul_lo_u32 v2, s4, v3
	s_lshl_b64 s[4:5], s[34:35], 2
	v_mul_hi_u32 v2, v3, v2
	s_add_u32 s4, s30, s4
	v_add_u32_e32 v13, v3, v2
	v_lshlrev_b64 v[2:3], 2, v[10:11]
	s_addc_u32 s5, s31, s5
	v_mov_b32_e32 v12, s5
	v_add_co_u32_e64 v2, s[4:5], s4, v2
	v_addc_co_u32_e64 v3, s[4:5], v12, v3, s[4:5]
	v_lshlrev_b32_e32 v12, 2, v6
	v_lshl_or_b32 v12, v4, 6, v12
	v_add_u32_e32 v15, 0xd0, v12
	v_subrev_u32_e32 v12, s29, v6
	v_mbcnt_hi_u32_b32 v18, -1, v5
	v_add_u32_e32 v16, 1, v12
	v_and_b32_e32 v12, 64, v18
	s_mov_b32 s51, s13
	v_cmp_neq_f32_e64 s[2:3], s49, 0
	v_lshl_add_u32 v14, v4, 4, s48
	s_mov_b64 s[42:43], 0
	v_mov_b32_e32 v17, 0xff7fffff
	v_add_u32_e32 v19, 64, v12
	v_xor_b32_e32 v20, 2, v18
	v_xor_b32_e32 v21, 1, v18
	v_mov_b32_e32 v12, 0xff7fffff
	v_mov_b32_e32 v22, v10
	s_branch .LBB93_14
.LBB93_12:                              ;   in Loop: Header=BB93_14 Depth=1
	s_or_b64 exec, exec, s[44:45]
.LBB93_13:                              ;   in Loop: Header=BB93_14 Depth=1
	s_or_b64 exec, exec, s[10:11]
	v_add_co_u32_e64 v2, s[4:5], 8, v2
	v_add_u32_e32 v22, 2, v22
	v_addc_co_u32_e64 v3, s[4:5], 0, v3, s[4:5]
	v_cmp_le_i32_e64 s[4:5], s47, v22
	v_add_u32_e32 v14, 32, v14
	s_or_b64 s[42:43], s[4:5], s[42:43]
	v_add_u32_e32 v15, 0x80, v15
	s_andn2_b64 exec, exec, s[42:43]
	s_cbranch_execz .LBB93_19
.LBB93_14:                              ; =>This Inner Loop Header: Depth=1
	s_waitcnt lgkmcnt(0)
	v_sub_u32_e32 v24, 0, v14
	v_max_i32_e32 v24, v14, v24
	v_mul_hi_u32 v25, v24, s33
	v_mul_lo_u32 v26, v25, s25
	v_sub_u32_e32 v24, v24, v26
	v_add_u32_e32 v26, 1, v25
	v_cmp_le_u32_e64 s[4:5], s25, v24
	v_cndmask_b32_e64 v25, v25, v26, s[4:5]
	v_subrev_u32_e32 v26, s25, v24
	v_cndmask_b32_e64 v24, v24, v26, s[4:5]
	v_ashrrev_i32_e32 v23, 31, v14
	v_add_u32_e32 v26, 1, v25
	v_cmp_le_u32_e64 s[4:5], s25, v24
	v_xor_b32_e32 v23, s19, v23
	v_cndmask_b32_e64 v24, v25, v26, s[4:5]
	v_xor_b32_e32 v24, v24, v23
	v_sub_u32_e32 v23, v24, v23
	v_add_u32_e32 v24, s46, v23
	v_sub_u32_e32 v26, 0, v24
	v_ashrrev_i32_e32 v25, 31, v24
	v_max_i32_e32 v24, v24, v26
	v_mul_hi_u32 v26, v24, v13
	v_mul_lo_u32 v26, v26, s15
	v_sub_u32_e32 v24, v24, v26
	v_subrev_u32_e32 v26, s15, v24
	v_cmp_le_u32_e64 s[4:5], s15, v24
	v_cndmask_b32_e64 v24, v24, v26, s[4:5]
	v_subrev_u32_e32 v26, s15, v24
	v_cmp_le_u32_e64 s[4:5], s15, v24
	v_cndmask_b32_e64 v24, v24, v26, s[4:5]
	v_xor_b32_e32 v24, v24, v25
	v_sub_u32_e32 v24, v24, v25
	v_cmp_ne_u32_e64 s[4:5], 0, v24
	v_cmp_ge_i32_e64 s[10:11], s50, v23
	s_and_b64 s[4:5], s[4:5], s[10:11]
	s_and_b64 s[44:45], vcc, s[4:5]
	s_and_saveexec_b64 s[10:11], s[44:45]
	s_cbranch_execz .LBB93_16
; %bb.15:                               ;   in Loop: Header=BB93_14 Depth=1
	ds_write_b32 v15, v17
.LBB93_16:                              ;   in Loop: Header=BB93_14 Depth=1
	s_or_b64 exec, exec, s[10:11]
	s_xor_b64 s[4:5], s[4:5], -1
	s_and_saveexec_b64 s[10:11], s[4:5]
	s_cbranch_execz .LBB93_13
; %bb.17:                               ;   in Loop: Header=BB93_14 Depth=1
	global_load_dword v23, v[2:3], off
	s_waitcnt vmcnt(0)
	v_mad_i64_i32 v[24:25], s[4:5], v23, s51, 0
	v_lshlrev_b64 v[24:25], 1, v[24:25]
	v_add_co_u32_e64 v24, s[4:5], v7, v24
	v_addc_co_u32_e64 v25, s[4:5], v8, v25, s[4:5]
	global_load_dword v23, v[24:25], off
	global_load_dword v26, v[24:25], off offset:256
	global_load_dword v27, v[24:25], off offset:512
	;; [unrolled: 1-line block ×10, first 2 shown]
	s_nop 0
	global_load_dword v24, v[24:25], off offset:2816
	ds_read_b32 v25, v9
	v_cmp_lt_i32_e64 s[4:5], v20, v19
	v_cndmask_b32_e64 v36, v18, v20, s[4:5]
	v_lshlrev_b32_e32 v36, 2, v36
	v_cmp_lt_i32_e64 s[4:5], v21, v19
	s_waitcnt lgkmcnt(0)
	v_lshrrev_b32_e32 v37, 16, v25
	v_and_b32_e32 v25, 0xffff, v25
	;;#ASMSTART
	v_cvt_f32_f16 v25, v25;
	;;#ASMEND
	;;#ASMSTART
	v_cvt_f32_f16 v37, v37;
	;;#ASMEND
	s_waitcnt vmcnt(11)
	v_lshrrev_b32_e32 v38, 16, v23
	v_and_b32_e32 v23, 0xffff, v23
	;;#ASMSTART
	v_cvt_f32_f16 v23, v23;
	;;#ASMEND
	;;#ASMSTART
	v_cvt_f32_f16 v38, v38;
	;;#ASMEND
	ds_read_b32 v39, v9 offset:4
	s_waitcnt vmcnt(10)
	v_lshrrev_b32_e32 v40, 16, v26
	v_and_b32_e32 v26, 0xffff, v26
	s_waitcnt vmcnt(9)
	v_lshrrev_b32_e32 v41, 16, v27
	v_and_b32_e32 v27, 0xffff, v27
	s_waitcnt lgkmcnt(0)
	v_lshrrev_b32_e32 v42, 16, v39
	v_and_b32_e32 v39, 0xffff, v39
	;;#ASMSTART
	v_cvt_f32_f16 v39, v39;
	;;#ASMEND
	;;#ASMSTART
	v_cvt_f32_f16 v42, v42;
	;;#ASMEND
	;;#ASMSTART
	v_cvt_f32_f16 v26, v26;
	;;#ASMEND
	;;#ASMSTART
	v_cvt_f32_f16 v40, v40;
	;;#ASMEND
	ds_read_b32 v43, v9 offset:8
	s_waitcnt vmcnt(8)
	v_lshrrev_b32_e32 v44, 16, v28
	v_and_b32_e32 v28, 0xffff, v28
	s_waitcnt vmcnt(7)
	v_lshrrev_b32_e32 v45, 16, v29
	v_and_b32_e32 v29, 0xffff, v29
	s_waitcnt lgkmcnt(0)
	v_lshrrev_b32_e32 v46, 16, v43
	v_and_b32_e32 v43, 0xffff, v43
	;;#ASMSTART
	v_cvt_f32_f16 v43, v43;
	;;#ASMEND
	;;#ASMSTART
	v_cvt_f32_f16 v46, v46;
	;;#ASMEND
	;; [unrolled: 22-line block ×3, first 2 shown]
	;;#ASMSTART
	v_cvt_f32_f16 v28, v28;
	;;#ASMEND
	;;#ASMSTART
	v_cvt_f32_f16 v44, v44;
	;;#ASMEND
	ds_read_b32 v51, v9 offset:16
	v_mul_f32_e32 v26, v39, v26
	v_mul_f32_e32 v39, v42, v40
	s_waitcnt vmcnt(4)
	v_lshrrev_b32_e32 v52, 16, v32
	v_and_b32_e32 v32, 0xffff, v32
	s_waitcnt lgkmcnt(0)
	v_lshrrev_b32_e32 v54, 16, v51
	v_and_b32_e32 v51, 0xffff, v51
	;;#ASMSTART
	v_cvt_f32_f16 v51, v51;
	;;#ASMEND
	;;#ASMSTART
	v_cvt_f32_f16 v54, v54;
	;;#ASMEND
	;; [unrolled: 3-line block ×4, first 2 shown]
	ds_read_b32 v55, v9 offset:20
	v_fmac_f32_e32 v26, v25, v23
	v_fmac_f32_e32 v39, v37, v38
	;; [unrolled: 1-line block ×4, first 2 shown]
	s_waitcnt lgkmcnt(0)
	v_lshrrev_b32_e32 v58, 16, v55
	v_and_b32_e32 v55, 0xffff, v55
	;;#ASMSTART
	v_cvt_f32_f16 v55, v55;
	;;#ASMEND
	;;#ASMSTART
	v_cvt_f32_f16 v58, v58;
	;;#ASMEND
	;; [unrolled: 3-line block ×4, first 2 shown]
	ds_read_b32 v59, v9 offset:24
	s_waitcnt vmcnt(3)
	v_lshrrev_b32_e32 v53, 16, v33
	v_and_b32_e32 v33, 0xffff, v33
	v_fmac_f32_e32 v26, v51, v29
	v_fmac_f32_e32 v39, v46, v41
	s_waitcnt lgkmcnt(0)
	v_lshrrev_b32_e32 v40, 16, v59
	v_and_b32_e32 v42, 0xffff, v59
	;;#ASMSTART
	v_cvt_f32_f16 v42, v42;
	;;#ASMEND
	;;#ASMSTART
	v_cvt_f32_f16 v40, v40;
	;;#ASMEND
	;; [unrolled: 3-line block ×4, first 2 shown]
	ds_read_b32 v59, v9 offset:28
	v_fmac_f32_e32 v39, v50, v44
	v_fmac_f32_e32 v39, v54, v45
	v_fmac_f32_e32 v26, v55, v30
	s_waitcnt vmcnt(2)
	v_lshrrev_b32_e32 v56, 16, v34
	s_waitcnt lgkmcnt(0)
	v_lshrrev_b32_e32 v23, 16, v59
	v_and_b32_e32 v25, 0xffff, v59
	;;#ASMSTART
	v_cvt_f32_f16 v25, v25;
	;;#ASMEND
	;;#ASMSTART
	v_cvt_f32_f16 v23, v23;
	;;#ASMEND
	;; [unrolled: 3-line block ×4, first 2 shown]
	ds_read_b32 v37, v9 offset:32
	v_and_b32_e32 v34, 0xffff, v34
	v_fmac_f32_e32 v39, v58, v48
	v_fmac_f32_e32 v26, v42, v31
	;; [unrolled: 1-line block ×3, first 2 shown]
	s_waitcnt lgkmcnt(0)
	v_lshrrev_b32_e32 v28, 16, v37
	v_and_b32_e32 v29, 0xffff, v37
	;;#ASMSTART
	v_cvt_f32_f16 v29, v29;
	;;#ASMEND
	;;#ASMSTART
	v_cvt_f32_f16 v28, v28;
	;;#ASMEND
	;; [unrolled: 3-line block ×4, first 2 shown]
	ds_read_b32 v38, v9 offset:36
	v_fmac_f32_e32 v26, v25, v27
	v_fmac_f32_e32 v39, v23, v32
	s_waitcnt vmcnt(1)
	v_lshrrev_b32_e32 v57, 16, v35
	v_and_b32_e32 v35, 0xffff, v35
	s_waitcnt lgkmcnt(0)
	v_lshrrev_b32_e32 v30, 16, v38
	v_and_b32_e32 v31, 0xffff, v38
	;;#ASMSTART
	v_cvt_f32_f16 v31, v31;
	;;#ASMEND
	;;#ASMSTART
	v_cvt_f32_f16 v30, v30;
	;;#ASMEND
	;; [unrolled: 3-line block ×4, first 2 shown]
	ds_read_b32 v40, v9 offset:40
	v_fmac_f32_e32 v26, v29, v33
	v_fmac_f32_e32 v39, v28, v37
	;; [unrolled: 1-line block ×4, first 2 shown]
	s_waitcnt lgkmcnt(0)
	v_lshrrev_b32_e32 v23, 16, v40
	v_and_b32_e32 v25, 0xffff, v40
	;;#ASMSTART
	v_cvt_f32_f16 v25, v25;
	;;#ASMEND
	;;#ASMSTART
	v_cvt_f32_f16 v23, v23;
	;;#ASMEND
	;; [unrolled: 3-line block ×4, first 2 shown]
	ds_read_b32 v29, v9 offset:44
	s_waitcnt vmcnt(0)
	v_lshrrev_b32_e32 v60, 16, v24
	v_and_b32_e32 v24, 0xffff, v24
	v_fmac_f32_e32 v26, v25, v27
	v_fmac_f32_e32 v39, v23, v28
	s_waitcnt lgkmcnt(0)
	v_lshrrev_b32_e32 v23, 16, v29
	v_and_b32_e32 v25, 0xffff, v29
	;;#ASMSTART
	v_cvt_f32_f16 v25, v25;
	;;#ASMEND
	;;#ASMSTART
	v_cvt_f32_f16 v23, v23;
	;;#ASMEND
	;; [unrolled: 3-line block ×4, first 2 shown]
	v_fmac_f32_e32 v26, v25, v24
	v_fmac_f32_e32 v39, v23, v27
	v_add_f32_e32 v23, v26, v39
	ds_bpermute_b32 v24, v36, v23
	v_cndmask_b32_e64 v25, v18, v21, s[4:5]
	s_waitcnt lgkmcnt(0)
	v_add_f32_e32 v23, v23, v24
	v_lshlrev_b32_e32 v24, 2, v25
	ds_bpermute_b32 v24, v24, v23
	s_and_saveexec_b64 s[44:45], vcc
	s_cbranch_execz .LBB93_12
; %bb.18:                               ;   in Loop: Header=BB93_14 Depth=1
	v_add_u32_e32 v25, v16, v14
	v_cvt_f32_i32_e32 v25, v25
	s_waitcnt lgkmcnt(0)
	v_add_f32_e32 v23, v23, v24
	v_add_u32_e32 v26, v6, v14
	v_cmp_gt_i32_e64 s[4:5], s29, v26
	v_mul_f32_e32 v24, s49, v25
	v_cndmask_b32_e64 v24, 0, v24, s[2:3]
	v_fmac_f32_e32 v24, s39, v23
	v_cndmask_b32_e64 v23, 0, v24, s[4:5]
	ds_write_b32 v15, v23
	v_max_f32_e32 v23, v12, v12
	v_max_f32_e32 v23, v23, v24
	v_cndmask_b32_e64 v12, v12, v23, s[4:5]
	s_branch .LBB93_12
.LBB93_19:
	s_or_b64 exec, exec, s[42:43]
.LBB93_20:
	s_or_b64 exec, exec, s[40:41]
	v_mbcnt_hi_u32_b32 v2, -1, v5
	v_and_b32_e32 v3, 64, v2
	v_add_u32_e32 v3, 64, v3
	v_xor_b32_e32 v5, 32, v2
	v_cmp_lt_i32_e32 vcc, v5, v3
	v_cndmask_b32_e32 v5, v2, v5, vcc
	v_lshlrev_b32_e32 v6, 2, v5
	ds_bpermute_b32 v5, v6, v12
	v_xor_b32_e32 v8, 16, v2
	v_max_f32_e32 v7, v12, v12
	v_cmp_lt_i32_e32 vcc, v8, v3
	v_xor_b32_e32 v9, 8, v2
	s_waitcnt lgkmcnt(0)
	v_max_f32_e32 v5, v5, v5
	v_max_f32_e32 v5, v7, v5
	v_cndmask_b32_e32 v7, v2, v8, vcc
	v_lshlrev_b32_e32 v7, 2, v7
	ds_bpermute_b32 v8, v7, v5
	v_cmp_lt_i32_e32 vcc, v9, v3
	s_waitcnt lgkmcnt(0)
	v_max_f32_e32 v8, v8, v8
	v_max_f32_e32 v5, v5, v8
	v_cndmask_b32_e32 v8, v2, v9, vcc
	v_lshlrev_b32_e32 v13, 2, v8
	ds_bpermute_b32 v8, v13, v5
	v_xor_b32_e32 v9, 4, v2
	v_cmp_lt_i32_e32 vcc, v9, v3
	s_waitcnt lgkmcnt(0)
	v_max_f32_e32 v8, v8, v8
	v_max_f32_e32 v5, v5, v8
	v_cndmask_b32_e32 v8, v2, v9, vcc
	v_lshlrev_b32_e32 v14, 2, v8
	ds_bpermute_b32 v12, v14, v5
	v_and_b32_e32 v9, 63, v0
	v_cmp_eq_u32_e32 vcc, 0, v9
	v_lshlrev_b32_e32 v8, 2, v4
	s_and_saveexec_b64 s[2:3], vcc
	s_cbranch_execz .LBB93_22
; %bb.21:
	s_waitcnt lgkmcnt(0)
	v_max_f32_e32 v12, v12, v12
	v_max_f32_e32 v5, v5, v5
	;; [unrolled: 1-line block ×3, first 2 shown]
	ds_write_b32 v8, v5 offset:192
.LBB93_22:
	s_or_b64 exec, exec, s[2:3]
	v_cmp_gt_u32_e64 s[2:3], 2, v9
	v_mov_b32_e32 v5, 0xff7fffff
	s_waitcnt lgkmcnt(0)
	v_lshlrev_b32_e32 v12, 2, v9
	s_barrier
	s_and_saveexec_b64 s[4:5], s[2:3]
	s_cbranch_execz .LBB93_24
; %bb.23:
	ds_read_b32 v5, v12 offset:192
.LBB93_24:
	s_or_b64 exec, exec, s[4:5]
	v_xor_b32_e32 v15, 1, v2
	v_cmp_lt_i32_e64 s[4:5], v15, v3
	v_cndmask_b32_e64 v15, v2, v15, s[4:5]
	v_lshlrev_b32_e32 v16, 2, v15
	s_waitcnt lgkmcnt(0)
	ds_bpermute_b32 v15, v16, v5
	v_max_f32_e32 v5, v5, v5
	s_sub_i32 s4, s47, s38
	s_lshl_b32 s4, s4, 4
	s_add_i32 s4, s4, s48
	s_waitcnt lgkmcnt(0)
	v_max_f32_e32 v15, v15, v15
	v_max_f32_e32 v5, v5, v15
	v_lshlrev_b32_e32 v15, 2, v2
	v_and_b32_e32 v15, 0x100, v15
	ds_bpermute_b32 v5, v15, v5
	s_min_i32 s42, s4, s29
	s_sub_i32 s15, s42, s48
	v_cmp_gt_i32_e64 s[4:5], s15, v0
	v_mov_b32_e32 v17, 0
	s_and_saveexec_b64 s[38:39], s[4:5]
	s_cbranch_execz .LBB93_28
; %bb.25:
	v_mov_b32_e32 v17, 0xd0
	v_lshl_add_u32 v18, v0, 2, v17
	s_mov_b64 s[40:41], 0
	v_mov_b32_e32 v17, 0
	v_mov_b32_e32 v19, v0
.LBB93_26:                              ; =>This Inner Loop Header: Depth=1
	ds_read_b32 v20, v18
	v_add_u32_e32 v19, 0x80, v19
	v_cmp_le_i32_e64 s[10:11], s15, v19
	s_or_b64 s[40:41], s[10:11], s[40:41]
	s_waitcnt lgkmcnt(0)
	v_sub_f32_e32 v20, v20, v5
	v_mul_f32_e32 v20, 0x3fb8aa3b, v20
	v_exp_f32_e32 v20, v20
	ds_write_b32 v18, v20
	v_add_f32_e32 v17, v17, v20
	v_add_u32_e32 v18, 0x200, v18
	s_andn2_b64 exec, exec, s[40:41]
	s_cbranch_execnz .LBB93_26
; %bb.27:
	s_or_b64 exec, exec, s[40:41]
.LBB93_28:
	s_or_b64 exec, exec, s[38:39]
	ds_bpermute_b32 v6, v6, v17
	s_waitcnt lgkmcnt(0)
	v_add_f32_e32 v6, v17, v6
	ds_bpermute_b32 v7, v7, v6
	s_waitcnt lgkmcnt(0)
	v_add_f32_e32 v6, v6, v7
	ds_bpermute_b32 v7, v13, v6
	v_xor_b32_e32 v13, 2, v2
	v_cmp_lt_i32_e64 s[10:11], v13, v3
	v_cndmask_b32_e64 v2, v2, v13, s[10:11]
	v_lshlrev_b32_e32 v2, 2, v2
	s_waitcnt lgkmcnt(0)
	v_add_f32_e32 v6, v6, v7
	ds_bpermute_b32 v7, v14, v6
	s_waitcnt lgkmcnt(0)
	v_add_f32_e32 v3, v6, v7
	ds_bpermute_b32 v2, v2, v3
	;; [unrolled: 3-line block ×3, first 2 shown]
	s_waitcnt lgkmcnt(0)
	v_add_f32_e32 v2, v2, v3
	s_and_saveexec_b64 s[10:11], vcc
	s_cbranch_execz .LBB93_30
; %bb.29:
	ds_write_b32 v8, v2 offset:200
.LBB93_30:
	s_or_b64 exec, exec, s[10:11]
	s_waitcnt lgkmcnt(0)
	s_barrier
	s_and_saveexec_b64 s[10:11], s[2:3]
	s_cbranch_execz .LBB93_32
; %bb.31:
	ds_read_b32 v2, v12 offset:200
.LBB93_32:
	s_or_b64 exec, exec, s[10:11]
	s_waitcnt lgkmcnt(0)
	ds_bpermute_b32 v3, v16, v2
	s_waitcnt lgkmcnt(0)
	v_add_f32_e32 v2, v2, v3
	ds_bpermute_b32 v6, v15, v2
	s_and_saveexec_b64 s[2:3], s[4:5]
	s_cbranch_execz .LBB93_45
; %bb.33:
	s_waitcnt lgkmcnt(0)
	v_add_f32_e32 v2, 0x358637bd, v6
	v_div_scale_f32 v3, s[4:5], v2, v2, 1.0
	v_rcp_f32_e32 v7, v3
	v_div_scale_f32 v8, vcc, 1.0, v2, 1.0
	s_movk_i32 s4, 0x7f
	v_fma_f32 v12, -v3, v7, 1.0
	v_fmac_f32_e32 v7, v12, v7
	v_mul_f32_e32 v12, v8, v7
	v_fma_f32 v13, -v3, v12, v8
	v_fmac_f32_e32 v12, v13, v7
	v_fma_f32 v3, -v3, v12, v8
	v_div_fmas_f32 v3, v3, v7, v12
	v_div_fixup_f32 v2, v3, v2, 1.0
	v_xad_u32 v3, v0, -1, s42
	v_subrev_u32_e32 v7, s48, v3
	v_cmp_lt_u32_e32 vcc, s4, v7
	s_mov_b64 s[10:11], -1
	v_mov_b32_e32 v3, v0
	s_and_saveexec_b64 s[4:5], vcc
	s_cbranch_execz .LBB93_42
; %bb.34:
	v_lshrrev_b32_e32 v7, 7, v7
	v_add_u32_e32 v12, -1, v7
	v_lshrrev_b32_e32 v8, 1, v12
	v_mov_b32_e32 v3, v2
	v_add_u32_e32 v8, 1, v8
	v_cmp_lt_u32_e32 vcc, 13, v12
	v_mov_b32_e32 v14, 0
	s_and_saveexec_b64 s[10:11], vcc
	s_cbranch_execz .LBB93_38
; %bb.35:
	v_mov_b32_e32 v13, 0xd0
	v_and_b32_e32 v12, -8, v8
	v_lshl_add_u32 v13, v0, 2, v13
	s_mov_b32 s40, 0
	s_mov_b64 s[38:39], 0
.LBB93_36:                              ; =>This Inner Loop Header: Depth=1
	ds_read2st64_b32 v[14:15], v13 offset1:2
	ds_read2st64_b32 v[18:19], v13 offset0:4 offset1:6
	ds_read2st64_b32 v[20:21], v13 offset0:8 offset1:10
	;; [unrolled: 1-line block ×3, first 2 shown]
	v_add_u32_e32 v12, -8, v12
	s_waitcnt lgkmcnt(3)
	v_pk_mul_f32 v[14:15], v[2:3], v[14:15]
	s_waitcnt lgkmcnt(2)
	v_pk_mul_f32 v[18:19], v[2:3], v[18:19]
	ds_write2st64_b32 v13, v14, v15 offset1:2
	ds_write2st64_b32 v13, v18, v19 offset0:4 offset1:6
	ds_read2st64_b32 v[18:19], v13 offset0:16 offset1:18
	s_waitcnt lgkmcnt(4)
	v_pk_mul_f32 v[14:15], v[2:3], v[20:21]
	ds_write2st64_b32 v13, v14, v15 offset0:8 offset1:10
	s_waitcnt lgkmcnt(4)
	v_pk_mul_f32 v[14:15], v[2:3], v[22:23]
	ds_write2st64_b32 v13, v14, v15 offset0:12 offset1:14
	ds_read2st64_b32 v[14:15], v13 offset0:20 offset1:22
	s_waitcnt lgkmcnt(3)
	v_pk_mul_f32 v[18:19], v[2:3], v[18:19]
	ds_read2st64_b32 v[20:21], v13 offset0:24 offset1:26
	ds_write2st64_b32 v13, v18, v19 offset0:16 offset1:18
	ds_read2st64_b32 v[18:19], v13 offset0:28 offset1:30
	s_waitcnt lgkmcnt(3)
	v_pk_mul_f32 v[14:15], v[2:3], v[14:15]
	ds_write2st64_b32 v13, v14, v15 offset0:20 offset1:22
	s_waitcnt lgkmcnt(3)
	v_pk_mul_f32 v[14:15], v[2:3], v[20:21]
	ds_write2st64_b32 v13, v14, v15 offset0:24 offset1:26
	s_waitcnt lgkmcnt(2)
	v_pk_mul_f32 v[14:15], v[2:3], v[18:19]
	s_add_i32 s40, s40, 16
	v_cmp_eq_u32_e32 vcc, 0, v12
	ds_write2st64_b32 v13, v14, v15 offset0:28 offset1:30
	v_add_u32_e32 v13, 0x2000, v13
	s_or_b64 s[38:39], vcc, s[38:39]
	v_mov_b32_e32 v14, s40
	s_andn2_b64 exec, exec, s[38:39]
	s_cbranch_execnz .LBB93_36
; %bb.37:
	s_or_b64 exec, exec, s[38:39]
.LBB93_38:
	s_or_b64 exec, exec, s[10:11]
	v_and_b32_e32 v8, 7, v8
	v_cmp_ne_u32_e32 vcc, 0, v8
	s_and_saveexec_b64 s[10:11], vcc
	s_cbranch_execz .LBB93_41
; %bb.39:
	v_lshlrev_b32_e32 v12, 9, v14
	v_lshlrev_b32_e32 v13, 2, v0
	s_movk_i32 s38, 0xd0
	v_add3_u32 v12, v12, v13, s38
	s_mov_b64 s[38:39], 0
.LBB93_40:                              ; =>This Inner Loop Header: Depth=1
	ds_read2st64_b32 v[14:15], v12 offset1:2
	v_add_u32_e32 v8, -1, v8
	v_cmp_eq_u32_e32 vcc, 0, v8
	s_or_b64 s[38:39], vcc, s[38:39]
	s_waitcnt lgkmcnt(0)
	v_pk_mul_f32 v[14:15], v[2:3], v[14:15]
	ds_write2st64_b32 v12, v14, v15 offset1:2
	v_add_u32_e32 v12, 0x400, v12
	s_andn2_b64 exec, exec, s[38:39]
	s_cbranch_execnz .LBB93_40
.LBB93_41:
	s_or_b64 exec, exec, s[10:11]
	v_add_u32_e32 v7, 1, v7
	v_and_b32_e32 v8, 0x3fffffe, v7
	v_cmp_ne_u32_e32 vcc, v7, v8
	v_lshl_add_u32 v3, v8, 7, v0
	s_orn2_b64 s[10:11], vcc, exec
.LBB93_42:
	s_or_b64 exec, exec, s[4:5]
	s_and_b64 exec, exec, s[10:11]
	s_cbranch_execz .LBB93_45
; %bb.43:
	v_mov_b32_e32 v7, 0xd0
	v_lshl_add_u32 v7, v3, 2, v7
	s_mov_b64 s[4:5], 0
.LBB93_44:                              ; =>This Inner Loop Header: Depth=1
	ds_read_b32 v8, v7
	v_add_u32_e32 v3, 0x80, v3
	v_cmp_le_i32_e32 vcc, s15, v3
	s_or_b64 s[4:5], vcc, s[4:5]
	s_waitcnt lgkmcnt(0)
	v_mul_f32_e32 v8, v2, v8
	ds_write_b32 v7, v8
	v_add_u32_e32 v7, 0x200, v7
	s_andn2_b64 exec, exec, s[4:5]
	s_cbranch_execnz .LBB93_44
.LBB93_45:
	s_or_b64 exec, exec, s[2:3]
	s_mul_i32 s2, s16, s28
	v_cmp_eq_u32_e32 vcc, 0, v0
	s_mul_i32 s2, s2, s9
	s_waitcnt lgkmcnt(0)
	s_barrier
	s_and_saveexec_b64 s[4:5], vcc
	s_cbranch_execz .LBB93_47
; %bb.46:
	s_ashr_i32 s3, s2, 31
	s_lshl_b64 s[10:11], s[2:3], 2
	s_add_u32 s3, s22, s10
	s_mul_i32 s22, s16, s6
	s_addc_u32 s9, s23, s11
	s_ashr_i32 s23, s22, 31
	s_lshl_b64 s[22:23], s[22:23], 2
	s_add_u32 s3, s3, s22
	s_addc_u32 s6, s9, s23
	s_ashr_i32 s9, s8, 31
	s_lshl_b64 s[38:39], s[8:9], 2
	s_add_u32 s40, s3, s38
	s_addc_u32 s41, s6, s39
	s_add_u32 s3, s20, s10
	s_addc_u32 s6, s21, s11
	;; [unrolled: 2-line block ×3, first 2 shown]
	s_add_u32 s10, s3, s38
	v_mov_b32_e32 v2, 0
	s_addc_u32 s11, s6, s39
	global_store_dword v2, v5, s[40:41]
	global_store_dword v2, v6, s[10:11]
.LBB93_47:
	s_or_b64 exec, exec, s[4:5]
	v_mov_b32_e32 v8, 0
	v_and_b32_e32 v17, 1, v0
	v_mov_b32_e32 v7, 0
	v_mov_b32_e32 v6, 0
	s_and_saveexec_b64 s[4:5], s[0:1]
	s_cbranch_execz .LBB93_59
; %bb.48:
	s_ashr_i32 s15, s14, 31
	s_sub_i32 s3, s12, s17
	s_lshl_b64 s[0:1], s[14:15], 1
	s_add_u32 s0, s36, s0
	v_lshlrev_b32_e32 v2, 3, v0
	s_addc_u32 s1, s37, s1
	s_abs_i32 s14, s18
	v_and_b32_e32 v18, 8, v2
	v_cvt_f32_u32_e32 v2, s14
	s_sub_i32 s6, 0, s14
	s_add_i32 s15, s7, -1
	s_mov_b32 s36, 0
	v_rcp_iflag_f32_e32 v2, v2
	s_mov_b32 s37, s36
	s_mov_b32 s38, s36
	v_mov_b32_e32 v6, s36
	v_mul_f32_e32 v2, 0x4f7ffffe, v2
	v_cvt_u32_f32_e32 v2, v2
	s_mov_b32 s9, s13
	s_mov_b32 s17, s29
	s_mov_b32 s18, s29
	v_mul_lo_u32 v3, s6, v2
	v_mul_hi_u32 v3, v2, v3
	v_add_u32_e32 v19, v2, v3
	v_lshlrev_b32_e32 v2, 4, v0
	v_and_b32_e32 v2, 0x3f0, v2
	v_mov_b32_e32 v3, s1
	v_add_co_u32_e32 v20, vcc, s0, v2
	s_lshl_b64 s[0:1], s[34:35], 2
	v_addc_co_u32_e32 v21, vcc, 0, v3, vcc
	v_lshlrev_b64 v[2:3], 2, v[10:11]
	s_add_u32 s0, s30, s0
	s_addc_u32 s1, s31, s1
	v_add_co_u32_e32 v12, vcc, s0, v2
	v_lshlrev_b32_e32 v2, 5, v17
	v_mov_b32_e32 v5, s1
	v_lshl_or_b32 v2, v4, 6, v2
	s_mov_b32 s20, s29
	s_mov_b32 s21, s29
	;; [unrolled: 1-line block ×5, first 2 shown]
	v_addc_co_u32_e32 v13, vcc, v5, v3, vcc
	v_add_u32_e32 v11, 0xd0, v2
	s_mov_b64 s[6:7], 0
	v_mov_b32_e32 v7, s37
	v_mov_b32_e32 v8, s38
	s_mov_b32 s30, 0x5040100
	s_branch .LBB93_51
.LBB93_49:                              ;   in Loop: Header=BB93_51 Depth=1
	s_or_b64 exec, exec, s[0:1]
	s_waitcnt vmcnt(0)
	;;#ASMSTART
	v_pk_mul_f16 v2, v33, v2;

	;;#ASMEND
	;;#ASMSTART
	v_pk_mul_f16 v3, v32, v3;

	;;#ASMEND
	;; [unrolled: 4-line block ×4, first 2 shown]
	;;#ASMSTART
	v_pk_add_f16 v2, v2, v3;

	;;#ASMEND
	;;#ASMSTART
	v_pk_add_f16 v2, v2, v4;

	;;#ASMEND
	;; [unrolled: 4-line block ×3, first 2 shown]
	v_lshrrev_b32_e32 v3, 16, v2
	v_and_b32_e32 v2, 0xffff, v2
	v_add_f32_e32 v14, v34, v35
	;;#ASMSTART
	v_cvt_f32_f16 v2, v2;
	;;#ASMEND
	v_add_f32_e32 v6, v6, v14
	v_add_f32_e32 v14, v36, v37
	;;#ASMSTART
	v_cvt_f32_f16 v3, v3;
	;;#ASMEND
	v_add_f32_e32 v2, v2, v3
	v_add_f32_e32 v7, v7, v14
	;; [unrolled: 1-line block ×3, first 2 shown]
.LBB93_50:                              ;   in Loop: Header=BB93_51 Depth=1
	s_or_b64 exec, exec, s[10:11]
	v_add_co_u32_e32 v12, vcc, 8, v12
	v_add_u32_e32 v10, 2, v10
	v_addc_co_u32_e32 v13, vcc, 0, v13, vcc
	v_cmp_le_i32_e32 vcc, s47, v10
	v_add_u32_e32 v1, 32, v1
	s_or_b64 s[6:7], vcc, s[6:7]
	v_add_u32_e32 v11, 0x80, v11
	s_andn2_b64 exec, exec, s[6:7]
	s_cbranch_execz .LBB93_58
.LBB93_51:                              ; =>This Inner Loop Header: Depth=1
	v_sub_u32_e32 v3, 0, v1
	v_max_i32_e32 v3, v1, v3
	v_mul_hi_u32 v4, v3, s33
	v_mul_lo_u32 v5, v4, s25
	v_sub_u32_e32 v3, v3, v5
	v_add_u32_e32 v5, 1, v4
	v_cmp_le_u32_e32 vcc, s25, v3
	v_cndmask_b32_e32 v4, v4, v5, vcc
	v_subrev_u32_e32 v5, s25, v3
	v_cndmask_b32_e32 v3, v3, v5, vcc
	v_ashrrev_i32_e32 v2, 31, v1
	v_add_u32_e32 v5, 1, v4
	v_cmp_le_u32_e32 vcc, s25, v3
	v_xor_b32_e32 v2, s19, v2
	v_cndmask_b32_e32 v3, v4, v5, vcc
	v_xor_b32_e32 v3, v3, v2
	v_sub_u32_e32 v2, v3, v2
	v_add_u32_e32 v3, s46, v2
	v_sub_u32_e32 v5, 0, v3
	v_ashrrev_i32_e32 v4, 31, v3
	v_max_i32_e32 v3, v3, v5
	v_mul_hi_u32 v5, v3, v19
	v_mul_lo_u32 v5, v5, s14
	v_sub_u32_e32 v3, v3, v5
	v_subrev_u32_e32 v5, s14, v3
	v_cmp_le_u32_e32 vcc, s14, v3
	v_cndmask_b32_e32 v3, v3, v5, vcc
	v_subrev_u32_e32 v5, s14, v3
	v_cmp_le_u32_e32 vcc, s14, v3
	v_cndmask_b32_e32 v3, v3, v5, vcc
	v_xor_b32_e32 v3, v3, v4
	v_sub_u32_e32 v3, v3, v4
	v_cmp_eq_u32_e32 vcc, 0, v3
	v_cmp_lt_i32_e64 s[0:1], s3, v2
	s_or_b64 s[0:1], vcc, s[0:1]
	s_and_saveexec_b64 s[10:11], s[0:1]
	s_cbranch_execz .LBB93_50
; %bb.52:                               ;   in Loop: Header=BB93_51 Depth=1
	global_load_dword v14, v[12:13], off
	ds_read2_b64 v[2:5], v11 offset1:1
	ds_read2_b64 v[22:25], v11 offset0:2 offset1:3
	s_waitcnt lgkmcnt(1)
	;;#ASMSTART
	v_cvt_f16_f32 v30, v2;

	;;#ASMEND
	;;#ASMSTART
	v_cvt_f16_f32 v31, v3;

	;;#ASMEND
	;;#ASMSTART
	v_cvt_f16_f32 v32, v4;

	;;#ASMEND
	;;#ASMSTART
	v_cvt_f16_f32 v34, v5;

	;;#ASMEND
	s_waitcnt lgkmcnt(0)
	;;#ASMSTART
	v_cvt_f16_f32 v35, v22;

	;;#ASMEND
	;;#ASMSTART
	v_cvt_f16_f32 v36, v23;

	;;#ASMEND
	;; [unrolled: 4-line block ×4, first 2 shown]
	v_add_u32_e32 v22, v18, v1
	v_add_u32_e32 v23, 1, v22
	v_or_b32_e32 v25, 3, v22
	v_or_b32_e32 v24, 2, v22
	;; [unrolled: 1-line block ×6, first 2 shown]
	s_waitcnt vmcnt(0)
	v_mad_i64_i32 v[2:3], s[0:1], v14, s9, 0
	v_lshlrev_b64 v[2:3], 1, v[2:3]
	v_add_co_u32_e32 v14, vcc, v20, v2
	v_addc_co_u32_e32 v15, vcc, v21, v3, vcc
	global_load_dwordx4 v[2:5], v[14:15], off
	v_cmp_eq_u32_e32 vcc, s15, v10
	s_and_saveexec_b64 s[12:13], vcc
	s_cbranch_execz .LBB93_54
; %bb.53:                               ;   in Loop: Header=BB93_51 Depth=1
	s_waitcnt vmcnt(0)
	v_lshrrev_b32_e32 v33, 16, v5
	v_cmp_gt_i32_e64 s[0:1], s28, v29
	v_cndmask_b32_e64 v33, 0, v33, s[0:1]
	v_cmp_gt_i32_e64 s[0:1], s23, v28
	v_cndmask_b32_e64 v5, 0, v5, s[0:1]
	v_perm_b32 v5, v33, v5, s30
	v_lshrrev_b32_e32 v33, 16, v4
	v_cmp_gt_i32_e64 s[0:1], s22, v27
	v_cndmask_b32_e64 v33, 0, v33, s[0:1]
	v_cmp_gt_i32_e64 s[0:1], s21, v26
	v_cndmask_b32_e64 v4, 0, v4, s[0:1]
	v_perm_b32 v4, v33, v4, s30
	;; [unrolled: 6-line block ×4, first 2 shown]
.LBB93_54:                              ;   in Loop: Header=BB93_51 Depth=1
	s_or_b64 exec, exec, s[12:13]
	v_and_b32_e32 v30, 0xffff, v30
	v_lshl_or_b32 v33, v31, 16, v30
	v_and_b32_e32 v30, 0xffff, v32
	v_lshl_or_b32 v32, v34, 16, v30
	;; [unrolled: 2-line block ×3, first 2 shown]
	v_and_b32_e32 v30, 0xffff, v37
	s_waitcnt vmcnt(0)
	;;#ASMSTART
	v_pk_mul_f16 v2, v33, v2;

	;;#ASMEND
	v_lshl_or_b32 v30, v38, 16, v30
	;;#ASMSTART
	v_pk_mul_f16 v3, v32, v3;

	;;#ASMEND
	;;#ASMSTART
	v_pk_mul_f16 v4, v31, v4;

	;;#ASMEND
	;; [unrolled: 4-line block ×3, first 2 shown]
	;;#ASMSTART
	v_pk_add_f16 v2, v2, v3;

	;;#ASMEND
	;;#ASMSTART
	v_pk_add_f16 v2, v2, v4;

	;;#ASMEND
	;; [unrolled: 4-line block ×3, first 2 shown]
	v_lshrrev_b32_e32 v3, 16, v2
	v_and_b32_e32 v2, 0xffff, v2
	;;#ASMSTART
	v_cvt_f32_f16 v34, v2;
	;;#ASMEND
	;;#ASMSTART
	v_cvt_f32_f16 v35, v3;
	;;#ASMEND
	global_load_dwordx4 v[2:5], v[14:15], off offset:1024
	s_and_saveexec_b64 s[12:13], vcc
	s_cbranch_execz .LBB93_56
; %bb.55:                               ;   in Loop: Header=BB93_51 Depth=1
	s_waitcnt vmcnt(0)
	v_lshrrev_b32_e32 v36, 16, v5
	v_cmp_gt_i32_e64 s[0:1], s28, v29
	v_cndmask_b32_e64 v36, 0, v36, s[0:1]
	v_cmp_gt_i32_e64 s[0:1], s23, v28
	v_cndmask_b32_e64 v5, 0, v5, s[0:1]
	v_perm_b32 v5, v36, v5, s30
	v_lshrrev_b32_e32 v36, 16, v4
	v_cmp_gt_i32_e64 s[0:1], s22, v27
	v_cndmask_b32_e64 v36, 0, v36, s[0:1]
	v_cmp_gt_i32_e64 s[0:1], s21, v26
	v_cndmask_b32_e64 v4, 0, v4, s[0:1]
	v_perm_b32 v4, v36, v4, s30
	;; [unrolled: 6-line block ×4, first 2 shown]
.LBB93_56:                              ;   in Loop: Header=BB93_51 Depth=1
	s_or_b64 exec, exec, s[12:13]
	s_waitcnt vmcnt(0)
	;;#ASMSTART
	v_pk_mul_f16 v2, v33, v2;

	;;#ASMEND
	;;#ASMSTART
	v_pk_mul_f16 v3, v32, v3;

	;;#ASMEND
	;; [unrolled: 4-line block ×4, first 2 shown]
	;;#ASMSTART
	v_pk_add_f16 v2, v2, v3;

	;;#ASMEND
	;;#ASMSTART
	v_pk_add_f16 v2, v2, v4;

	;;#ASMEND
	;; [unrolled: 4-line block ×3, first 2 shown]
	v_lshrrev_b32_e32 v3, 16, v2
	v_and_b32_e32 v2, 0xffff, v2
	;;#ASMSTART
	v_cvt_f32_f16 v36, v2;
	;;#ASMEND
	;;#ASMSTART
	v_cvt_f32_f16 v37, v3;
	;;#ASMEND
	global_load_dwordx4 v[2:5], v[14:15], off offset:2048
	s_and_saveexec_b64 s[0:1], vcc
	s_cbranch_execz .LBB93_49
; %bb.57:                               ;   in Loop: Header=BB93_51 Depth=1
	s_waitcnt vmcnt(0)
	v_lshrrev_b32_e32 v14, 16, v5
	v_cmp_gt_i32_e32 vcc, s28, v29
	v_cndmask_b32_e32 v14, 0, v14, vcc
	v_cmp_gt_i32_e32 vcc, s23, v28
	v_cndmask_b32_e32 v5, 0, v5, vcc
	v_perm_b32 v5, v14, v5, s30
	v_lshrrev_b32_e32 v14, 16, v4
	v_cmp_gt_i32_e32 vcc, s22, v27
	v_cndmask_b32_e32 v14, 0, v14, vcc
	v_cmp_gt_i32_e32 vcc, s21, v26
	v_cndmask_b32_e32 v4, 0, v4, vcc
	v_perm_b32 v4, v14, v4, s30
	;; [unrolled: 6-line block ×4, first 2 shown]
	s_branch .LBB93_49
.LBB93_58:
	s_or_b64 exec, exec, s[6:7]
.LBB93_59:
	s_or_b64 exec, exec, s[4:5]
	ds_bpermute_b32 v2, v16, v6
	ds_bpermute_b32 v3, v16, v7
	ds_bpermute_b32 v1, v16, v8
	v_and_b32_e32 v4, 0x3c1, v0
	v_cmp_eq_u32_e32 vcc, 64, v4
	s_waitcnt lgkmcnt(0)
	v_pk_add_f32 v[2:3], v[6:7], v[2:3]
	v_add_f32_e32 v1, v8, v1
	s_barrier
	s_and_saveexec_b64 s[0:1], vcc
	s_cbranch_execz .LBB93_61
; %bb.60:
	v_mov_b32_e32 v5, 0xd0
	v_lshl_add_u32 v5, v9, 1, v5
	ds_write2_b32 v5, v2, v3 offset1:32
	ds_write_b32 v5, v1 offset:256
.LBB93_61:
	s_or_b64 exec, exec, s[0:1]
	v_cmp_gt_u32_e32 vcc, 64, v0
	s_waitcnt lgkmcnt(0)
	s_barrier
	s_and_saveexec_b64 s[0:1], vcc
	s_cbranch_execz .LBB93_67
; %bb.62:
	v_cmp_eq_u32_e32 vcc, 0, v17
	v_lshrrev_b32_e32 v5, 1, v0
	s_and_saveexec_b64 s[4:5], vcc
	s_cbranch_execnz .LBB93_70
; %bb.63:
	s_or_b64 exec, exec, s[4:5]
	s_and_saveexec_b64 s[4:5], vcc
	s_cbranch_execnz .LBB93_71
.LBB93_64:
	s_or_b64 exec, exec, s[4:5]
	s_and_saveexec_b64 s[4:5], vcc
	s_cbranch_execz .LBB93_66
.LBB93_65:
	v_mov_b32_e32 v6, 0xd0
	v_lshl_add_u32 v5, v5, 2, v6
	ds_read_b32 v5, v5 offset:256
	s_waitcnt lgkmcnt(0)
	v_add_f32_e32 v1, v1, v5
.LBB93_66:
	s_or_b64 exec, exec, s[4:5]
.LBB93_67:
	s_or_b64 exec, exec, s[0:1]
	v_cmp_eq_u32_e32 vcc, 0, v4
	s_barrier
	s_and_saveexec_b64 s[0:1], vcc
	s_cbranch_execz .LBB93_69
; %bb.68:
	s_mul_i32 s0, s2, 0x60
	s_ashr_i32 s1, s0, 31
	s_lshl_b64 s[0:1], s[0:1], 1
	s_add_u32 s2, s26, s0
	s_mul_i32 s0, s16, s24
	s_addc_u32 s3, s27, s1
	s_ashr_i32 s1, s0, 31
	s_lshl_b64 s[0:1], s[0:1], 1
	s_add_u32 s2, s2, s0
	s_mul_i32 s0, s8, 0x60
	s_addc_u32 s3, s3, s1
	s_ashr_i32 s1, s0, 31
	s_lshl_b64 s[0:1], s[0:1], 1
	s_add_u32 s0, s2, s0
	s_addc_u32 s1, s3, s1
	;;#ASMSTART
	v_cvt_f16_f32 v2, v2;

	;;#ASMEND
	global_store_short v0, v2, s[0:1]
	;;#ASMSTART
	v_cvt_f16_f32 v2, v3;

	;;#ASMEND
	global_store_short v0, v2, s[0:1] offset:64
	;;#ASMSTART
	v_cvt_f16_f32 v1, v1;

	;;#ASMEND
	global_store_short v0, v1, s[0:1] offset:128
.LBB93_69:
	s_endpgm
.LBB93_70:
	v_mov_b32_e32 v6, 0xd0
	v_lshl_add_u32 v6, v5, 2, v6
	ds_read_b32 v6, v6
	s_waitcnt lgkmcnt(0)
	v_add_f32_e32 v2, v2, v6
	s_or_b64 exec, exec, s[4:5]
	s_and_saveexec_b64 s[4:5], vcc
	s_cbranch_execz .LBB93_64
.LBB93_71:
	v_mov_b32_e32 v6, 0xd0
	v_lshl_add_u32 v6, v5, 2, v6
	ds_read_b32 v6, v6 offset:128
	s_waitcnt lgkmcnt(0)
	v_add_f32_e32 v3, v3, v6
	s_or_b64 exec, exec, s[4:5]
	s_and_saveexec_b64 s[4:5], vcc
	s_cbranch_execnz .LBB93_65
	s_branch .LBB93_66
	.section	.rodata,"a",@progbits
	.p2align	6, 0x0
	.amdhsa_kernel _ZN4vllm25paged_attention_v2_kernelIttLi96ELi16ELi128ELNS_18Fp8KVCacheDataTypeE0ELb1ELi512EEEvPfS2_PT_PKS3_PKT0_S9_ifPKiSB_iPKfiiiSD_SD_iiiii
		.amdhsa_group_segment_fixed_size 208
		.amdhsa_private_segment_fixed_size 0
		.amdhsa_kernarg_size 400
		.amdhsa_user_sgpr_count 6
		.amdhsa_user_sgpr_private_segment_buffer 1
		.amdhsa_user_sgpr_dispatch_ptr 0
		.amdhsa_user_sgpr_queue_ptr 0
		.amdhsa_user_sgpr_kernarg_segment_ptr 1
		.amdhsa_user_sgpr_dispatch_id 0
		.amdhsa_user_sgpr_flat_scratch_init 0
		.amdhsa_user_sgpr_kernarg_preload_length 0
		.amdhsa_user_sgpr_kernarg_preload_offset 0
		.amdhsa_user_sgpr_private_segment_size 0
		.amdhsa_uses_dynamic_stack 0
		.amdhsa_system_sgpr_private_segment_wavefront_offset 0
		.amdhsa_system_sgpr_workgroup_id_x 1
		.amdhsa_system_sgpr_workgroup_id_y 1
		.amdhsa_system_sgpr_workgroup_id_z 1
		.amdhsa_system_sgpr_workgroup_info 0
		.amdhsa_system_vgpr_workitem_id 0
		.amdhsa_next_free_vgpr 61
		.amdhsa_next_free_sgpr 52
		.amdhsa_accum_offset 64
		.amdhsa_reserve_vcc 1
		.amdhsa_reserve_flat_scratch 0
		.amdhsa_float_round_mode_32 0
		.amdhsa_float_round_mode_16_64 0
		.amdhsa_float_denorm_mode_32 3
		.amdhsa_float_denorm_mode_16_64 3
		.amdhsa_dx10_clamp 1
		.amdhsa_ieee_mode 1
		.amdhsa_fp16_overflow 0
		.amdhsa_tg_split 0
		.amdhsa_exception_fp_ieee_invalid_op 0
		.amdhsa_exception_fp_denorm_src 0
		.amdhsa_exception_fp_ieee_div_zero 0
		.amdhsa_exception_fp_ieee_overflow 0
		.amdhsa_exception_fp_ieee_underflow 0
		.amdhsa_exception_fp_ieee_inexact 0
		.amdhsa_exception_int_div_zero 0
	.end_amdhsa_kernel
	.section	.text._ZN4vllm25paged_attention_v2_kernelIttLi96ELi16ELi128ELNS_18Fp8KVCacheDataTypeE0ELb1ELi512EEEvPfS2_PT_PKS3_PKT0_S9_ifPKiSB_iPKfiiiSD_SD_iiiii,"axG",@progbits,_ZN4vllm25paged_attention_v2_kernelIttLi96ELi16ELi128ELNS_18Fp8KVCacheDataTypeE0ELb1ELi512EEEvPfS2_PT_PKS3_PKT0_S9_ifPKiSB_iPKfiiiSD_SD_iiiii,comdat
.Lfunc_end93:
	.size	_ZN4vllm25paged_attention_v2_kernelIttLi96ELi16ELi128ELNS_18Fp8KVCacheDataTypeE0ELb1ELi512EEEvPfS2_PT_PKS3_PKT0_S9_ifPKiSB_iPKfiiiSD_SD_iiiii, .Lfunc_end93-_ZN4vllm25paged_attention_v2_kernelIttLi96ELi16ELi128ELNS_18Fp8KVCacheDataTypeE0ELb1ELi512EEEvPfS2_PT_PKS3_PKT0_S9_ifPKiSB_iPKfiiiSD_SD_iiiii
                                        ; -- End function
	.section	.AMDGPU.csdata,"",@progbits
; Kernel info:
; codeLenInByte = 6096
; NumSgprs: 56
; NumVgprs: 61
; NumAgprs: 0
; TotalNumVgprs: 61
; ScratchSize: 0
; MemoryBound: 0
; FloatMode: 240
; IeeeMode: 1
; LDSByteSize: 208 bytes/workgroup (compile time only)
; SGPRBlocks: 6
; VGPRBlocks: 7
; NumSGPRsForWavesPerEU: 56
; NumVGPRsForWavesPerEU: 61
; AccumOffset: 64
; Occupancy: 8
; WaveLimiterHint : 1
; COMPUTE_PGM_RSRC2:SCRATCH_EN: 0
; COMPUTE_PGM_RSRC2:USER_SGPR: 6
; COMPUTE_PGM_RSRC2:TRAP_HANDLER: 0
; COMPUTE_PGM_RSRC2:TGID_X_EN: 1
; COMPUTE_PGM_RSRC2:TGID_Y_EN: 1
; COMPUTE_PGM_RSRC2:TGID_Z_EN: 1
; COMPUTE_PGM_RSRC2:TIDIG_COMP_CNT: 0
; COMPUTE_PGM_RSRC3_GFX90A:ACCUM_OFFSET: 15
; COMPUTE_PGM_RSRC3_GFX90A:TG_SPLIT: 0
	.section	.text._ZN4vllm25paged_attention_v2_kernelIttLi112ELi16ELi128ELNS_18Fp8KVCacheDataTypeE0ELb1ELi512EEEvPfS2_PT_PKS3_PKT0_S9_ifPKiSB_iPKfiiiSD_SD_iiiii,"axG",@progbits,_ZN4vllm25paged_attention_v2_kernelIttLi112ELi16ELi128ELNS_18Fp8KVCacheDataTypeE0ELb1ELi512EEEvPfS2_PT_PKS3_PKT0_S9_ifPKiSB_iPKfiiiSD_SD_iiiii,comdat
	.protected	_ZN4vllm25paged_attention_v2_kernelIttLi112ELi16ELi128ELNS_18Fp8KVCacheDataTypeE0ELb1ELi512EEEvPfS2_PT_PKS3_PKT0_S9_ifPKiSB_iPKfiiiSD_SD_iiiii ; -- Begin function _ZN4vllm25paged_attention_v2_kernelIttLi112ELi16ELi128ELNS_18Fp8KVCacheDataTypeE0ELb1ELi512EEEvPfS2_PT_PKS3_PKT0_S9_ifPKiSB_iPKfiiiSD_SD_iiiii
	.globl	_ZN4vllm25paged_attention_v2_kernelIttLi112ELi16ELi128ELNS_18Fp8KVCacheDataTypeE0ELb1ELi512EEEvPfS2_PT_PKS3_PKT0_S9_ifPKiSB_iPKfiiiSD_SD_iiiii
	.p2align	8
	.type	_ZN4vllm25paged_attention_v2_kernelIttLi112ELi16ELi128ELNS_18Fp8KVCacheDataTypeE0ELb1ELi512EEEvPfS2_PT_PKS3_PKT0_S9_ifPKiSB_iPKfiiiSD_SD_iiiii,@function
_ZN4vllm25paged_attention_v2_kernelIttLi112ELi16ELi128ELNS_18Fp8KVCacheDataTypeE0ELb1ELi512EEEvPfS2_PT_PKS3_PKT0_S9_ifPKiSB_iPKfiiiSD_SD_iiiii: ; @_ZN4vllm25paged_attention_v2_kernelIttLi112ELi16ELi128ELNS_18Fp8KVCacheDataTypeE0ELb1ELi512EEEvPfS2_PT_PKS3_PKT0_S9_ifPKiSB_iPKfiiiSD_SD_iiiii
; %bb.0:
	s_load_dwordx2 s[0:1], s[4:5], 0x40
	s_mov_b32 s28, s7
	s_ashr_i32 s29, s7, 31
	s_lshl_b64 s[2:3], s[28:29], 2
	s_waitcnt lgkmcnt(0)
	s_add_u32 s0, s0, s2
	s_addc_u32 s1, s1, s3
	s_load_dword s29, s[0:1], 0x0
	s_lshl_b32 s48, s8, 9
	s_waitcnt lgkmcnt(0)
	s_cmp_ge_i32 s48, s29
	s_cbranch_scc1 .LBB94_81
; %bb.1:
	s_load_dword s9, s[4:5], 0x90
	s_load_dwordx2 s[38:39], s[4:5], 0x30
	s_mov_b32 s49, 0
	s_waitcnt lgkmcnt(0)
	s_abs_i32 s2, s9
	s_abs_i32 s0, s38
	v_cvt_f32_u32_e32 v1, s0
	s_sub_i32 s3, 0, s0
	s_xor_b32 s1, s9, s38
	s_ashr_i32 s1, s1, 31
	v_rcp_iflag_f32_e32 v1, v1
	v_mul_f32_e32 v1, 0x4f7ffffe, v1
	v_cvt_u32_f32_e32 v1, v1
	v_readfirstlane_b32 s7, v1
	s_mul_i32 s3, s3, s7
	s_mul_hi_u32 s3, s7, s3
	s_add_i32 s7, s7, s3
	s_mul_hi_u32 s3, s2, s7
	s_mul_i32 s7, s3, s0
	s_sub_i32 s2, s2, s7
	s_add_i32 s10, s3, 1
	s_sub_i32 s7, s2, s0
	s_cmp_ge_u32 s2, s0
	s_cselect_b32 s3, s10, s3
	s_cselect_b32 s2, s7, s2
	s_add_i32 s7, s3, 1
	s_cmp_ge_u32 s2, s0
	s_cselect_b32 s0, s7, s3
	s_xor_b32 s0, s0, s1
	s_sub_i32 s11, s0, s1
	s_abs_i32 s2, s11
	v_cvt_f32_u32_e32 v1, s2
	s_load_dwordx2 s[0:1], s[4:5], 0x50
	s_sub_i32 s7, 0, s2
	s_abs_i32 s3, s6
	v_rcp_iflag_f32_e32 v1, v1
	v_mul_f32_e32 v1, 0x4f7ffffe, v1
	v_cvt_u32_f32_e32 v1, v1
	v_readfirstlane_b32 s10, v1
	s_mul_i32 s7, s7, s10
	s_mul_hi_u32 s7, s10, s7
	s_add_i32 s10, s10, s7
	s_waitcnt lgkmcnt(0)
	s_cmp_eq_u64 s[0:1], 0
	s_mul_hi_u32 s10, s3, s10
	s_cbranch_scc1 .LBB94_3
; %bb.2:
	s_ashr_i32 s7, s6, 31
	s_lshl_b64 s[12:13], s[6:7], 2
	s_add_u32 s0, s0, s12
	s_addc_u32 s1, s1, s13
	s_load_dword s49, s[0:1], 0x0
.LBB94_3:
	s_load_dwordx4 s[12:15], s[4:5], 0x58
	s_ashr_i32 s7, s6, 31
	s_ashr_i32 s11, s11, 31
	v_and_b32_e32 v2, 3, v0
	s_mul_i32 s24, s6, 0x70
	v_cmp_gt_u32_e32 vcc, 56, v0
	s_and_saveexec_b64 s[0:1], vcc
	s_cbranch_execz .LBB94_5
; %bb.4:
	s_load_dwordx2 s[16:17], s[4:5], 0x18
	s_waitcnt lgkmcnt(0)
	s_mul_i32 s18, s28, s12
	s_ashr_i32 s19, s18, 31
	s_lshl_b64 s[18:19], s[18:19], 1
	v_lshlrev_b32_e32 v1, 2, v0
	s_add_u32 s12, s16, s18
	s_addc_u32 s15, s17, s19
	s_ashr_i32 s25, s24, 31
	s_lshl_b64 s[16:17], s[24:25], 1
	s_add_u32 s16, s12, s16
	s_addc_u32 s17, s15, s17
	global_load_dword v1, v1, s[16:17]
	v_and_b32_e32 v3, 0x3fc, v0
	v_mad_u32_u24 v3, v2, 56, v3
	s_waitcnt vmcnt(0)
	ds_write_b32 v3, v1
.LBB94_5:
	s_or_b64 exec, exec, s[0:1]
	s_mul_i32 s1, s10, s2
	s_sub_i32 s1, s3, s1
	s_xor_b32 s0, s7, s11
	s_add_i32 s3, s10, 1
	s_sub_i32 s7, s1, s2
	s_load_dwordx4 s[16:19], s[4:5], 0x78
	s_cmp_ge_u32 s1, s2
	s_cselect_b32 s3, s3, s10
	s_load_dword s10, s[4:5], 0x88
	s_cselect_b32 s1, s7, s1
	s_add_i32 s7, s3, 1
	s_cmp_ge_u32 s1, s2
	s_cselect_b32 s1, s7, s3
	s_waitcnt lgkmcnt(0)
	s_abs_i32 s25, s19
	v_cvt_f32_u32_e32 v1, s25
	s_xor_b32 s1, s1, s0
	s_sub_i32 s2, s1, s0
	s_sub_i32 s0, 0, s25
	v_rcp_iflag_f32_e32 v1, v1
	s_add_i32 s11, s29, -1
	s_abs_i32 s3, s11
	v_mul_f32_e32 v1, 0x4f7ffffe, v1
	v_cvt_u32_f32_e32 v1, v1
	s_barrier
	v_readfirstlane_b32 s33, v1
	s_mul_i32 s0, s0, s33
	s_mul_hi_u32 s0, s33, s0
	s_add_i32 s33, s33, s0
	s_cmp_lt_i32 s10, 0
	s_mul_hi_u32 s7, s3, s33
	s_cbranch_scc0 .LBB94_7
; %bb.6:
	s_mul_i32 s0, s16, s38
	s_add_i32 s0, s2, s0
	s_mul_i32 s0, s0, s10
	s_sub_i32 s46, 1, s0
	s_mov_b64 s[0:1], 0
	s_branch .LBB94_8
.LBB94_7:
	s_mov_b64 s[0:1], -1
                                        ; implicit-def: $sgpr46
.LBB94_8:
	s_load_dwordx2 s[30:31], s[4:5], 0x38
	s_ashr_i32 s11, s11, 31
	s_andn2_b64 vcc, exec, s[0:1]
	s_ashr_i32 s19, s19, 31
	s_cbranch_vccnz .LBB94_10
; %bb.9:
	s_mul_i32 s0, s9, s16
	s_add_i32 s0, s0, s6
	s_mul_i32 s0, s0, s10
	s_add_i32 s46, s0, 1
.LBB94_10:
	s_load_dword s0, s[4:5], 0x48
	s_load_dwordx2 s[36:37], s[4:5], 0x28
	s_load_dword s16, s[4:5], 0x98
	s_load_dwordx4 s[20:23], s[4:5], 0x0
	s_load_dwordx2 s[26:27], s[4:5], 0x10
	s_mul_i32 s1, s7, s25
	s_waitcnt lgkmcnt(0)
	s_mul_i32 s34, s28, s0
	s_sub_i32 s1, s3, s1
	s_ashr_i32 s35, s34, 31
	s_xor_b32 s0, s11, s19
	s_add_i32 s3, s7, 1
	s_sub_i32 s10, s1, s25
	s_cmp_ge_u32 s1, s25
	s_cselect_b32 s3, s3, s7
	s_cselect_b32 s1, s10, s1
	s_add_i32 s7, s3, 1
	s_cmp_ge_u32 s1, s25
	s_cselect_b32 s1, s7, s3
	s_xor_b32 s1, s1, s0
	s_sub_i32 s12, s1, s0
	s_add_i32 s0, s29, 15
	s_ashr_i32 s1, s0, 31
	s_lshr_b32 s1, s1, 28
	s_add_i32 s0, s0, s1
	s_lshl_b32 s38, s8, 5
	s_ashr_i32 s7, s0, 4
	s_add_i32 s0, s38, 32
	v_lshrrev_b32_e32 v6, 6, v0
	s_min_i32 s47, s0, s7
	v_or_b32_e32 v10, s38, v6
	v_cmp_gt_i32_e64 s[0:1], s47, v10
	v_mov_b32_e32 v12, 0xff7fffff
	s_mul_i32 s14, s2, s14
	v_ashrrev_i32_e32 v11, 31, v10
	v_lshl_add_u32 v1, v6, 4, s48
	v_mbcnt_lo_u32_b32 v4, -1, 0
	s_and_saveexec_b64 s[40:41], s[0:1]
	s_cbranch_execz .LBB94_20
; %bb.11:
	s_load_dwordx2 s[2:3], s[4:5], 0x20
	s_ashr_i32 s15, s14, 31
	s_sub_i32 s50, s12, s17
	s_lshl_b64 s[4:5], s[14:15], 1
	v_bfe_u32 v5, v0, 2, 4
	s_waitcnt lgkmcnt(0)
	s_add_u32 s2, s2, s4
	s_addc_u32 s3, s3, s5
	s_abs_i32 s15, s18
	v_cvt_f32_u32_e32 v8, s15
	v_lshlrev_b32_e32 v3, 4, v5
	v_mov_b32_e32 v7, s3
	v_add_co_u32_e64 v3, s[2:3], s2, v3
	v_rcp_iflag_f32_e32 v12, v8
	v_addc_co_u32_e64 v9, s[2:3], 0, v7, s[2:3]
	v_lshlrev_b32_e32 v7, 2, v0
	v_and_b32_e32 v7, 12, v7
	v_add_co_u32_e64 v7, s[2:3], v3, v7
	v_mul_f32_e32 v3, 0x4f7ffffe, v12
	v_cvt_u32_f32_e32 v3, v3
	s_sub_i32 s4, 0, s15
	v_cmp_eq_u32_e32 vcc, 0, v2
	v_addc_co_u32_e64 v8, s[2:3], 0, v9, s[2:3]
	v_mul_u32_u24_e32 v9, 56, v2
	v_mul_lo_u32 v2, s4, v3
	s_lshl_b64 s[4:5], s[34:35], 2
	v_mul_hi_u32 v2, v3, v2
	s_add_u32 s4, s30, s4
	v_add_u32_e32 v13, v3, v2
	v_lshlrev_b64 v[2:3], 2, v[10:11]
	s_addc_u32 s5, s31, s5
	v_mov_b32_e32 v12, s5
	v_add_co_u32_e64 v2, s[4:5], s4, v2
	v_addc_co_u32_e64 v3, s[4:5], v12, v3, s[4:5]
	v_lshlrev_b32_e32 v12, 2, v5
	v_lshl_or_b32 v12, v6, 6, v12
	v_add_u32_e32 v15, 0xf0, v12
	v_subrev_u32_e32 v12, s29, v5
	v_mbcnt_hi_u32_b32 v18, -1, v4
	v_add_u32_e32 v16, 1, v12
	v_and_b32_e32 v12, 64, v18
	s_mov_b32 s51, s13
	v_cmp_neq_f32_e64 s[2:3], s49, 0
	v_lshl_add_u32 v14, v6, 4, s48
	s_mov_b64 s[42:43], 0
	v_mov_b32_e32 v17, 0xff7fffff
	v_add_u32_e32 v19, 64, v12
	v_xor_b32_e32 v20, 2, v18
	v_xor_b32_e32 v21, 1, v18
	v_mov_b32_e32 v12, 0xff7fffff
	v_mov_b32_e32 v22, v10
	s_branch .LBB94_14
.LBB94_12:                              ;   in Loop: Header=BB94_14 Depth=1
	s_or_b64 exec, exec, s[44:45]
.LBB94_13:                              ;   in Loop: Header=BB94_14 Depth=1
	s_or_b64 exec, exec, s[10:11]
	v_add_co_u32_e64 v2, s[4:5], 8, v2
	v_add_u32_e32 v22, 2, v22
	v_addc_co_u32_e64 v3, s[4:5], 0, v3, s[4:5]
	v_cmp_le_i32_e64 s[4:5], s47, v22
	v_add_u32_e32 v14, 32, v14
	s_or_b64 s[42:43], s[4:5], s[42:43]
	v_add_u32_e32 v15, 0x80, v15
	s_andn2_b64 exec, exec, s[42:43]
	s_cbranch_execz .LBB94_19
.LBB94_14:                              ; =>This Inner Loop Header: Depth=1
	s_waitcnt lgkmcnt(0)
	v_sub_u32_e32 v24, 0, v14
	v_max_i32_e32 v24, v14, v24
	v_mul_hi_u32 v25, v24, s33
	v_mul_lo_u32 v26, v25, s25
	v_sub_u32_e32 v24, v24, v26
	v_add_u32_e32 v26, 1, v25
	v_cmp_le_u32_e64 s[4:5], s25, v24
	v_cndmask_b32_e64 v25, v25, v26, s[4:5]
	v_subrev_u32_e32 v26, s25, v24
	v_cndmask_b32_e64 v24, v24, v26, s[4:5]
	v_ashrrev_i32_e32 v23, 31, v14
	v_add_u32_e32 v26, 1, v25
	v_cmp_le_u32_e64 s[4:5], s25, v24
	v_xor_b32_e32 v23, s19, v23
	v_cndmask_b32_e64 v24, v25, v26, s[4:5]
	v_xor_b32_e32 v24, v24, v23
	v_sub_u32_e32 v23, v24, v23
	v_add_u32_e32 v24, s46, v23
	v_sub_u32_e32 v26, 0, v24
	v_ashrrev_i32_e32 v25, 31, v24
	v_max_i32_e32 v24, v24, v26
	v_mul_hi_u32 v26, v24, v13
	v_mul_lo_u32 v26, v26, s15
	v_sub_u32_e32 v24, v24, v26
	v_subrev_u32_e32 v26, s15, v24
	v_cmp_le_u32_e64 s[4:5], s15, v24
	v_cndmask_b32_e64 v24, v24, v26, s[4:5]
	v_subrev_u32_e32 v26, s15, v24
	v_cmp_le_u32_e64 s[4:5], s15, v24
	v_cndmask_b32_e64 v24, v24, v26, s[4:5]
	v_xor_b32_e32 v24, v24, v25
	v_sub_u32_e32 v24, v24, v25
	v_cmp_ne_u32_e64 s[4:5], 0, v24
	v_cmp_ge_i32_e64 s[10:11], s50, v23
	s_and_b64 s[4:5], s[4:5], s[10:11]
	s_and_b64 s[44:45], vcc, s[4:5]
	s_and_saveexec_b64 s[10:11], s[44:45]
	s_cbranch_execz .LBB94_16
; %bb.15:                               ;   in Loop: Header=BB94_14 Depth=1
	ds_write_b32 v15, v17
.LBB94_16:                              ;   in Loop: Header=BB94_14 Depth=1
	s_or_b64 exec, exec, s[10:11]
	s_xor_b64 s[4:5], s[4:5], -1
	s_and_saveexec_b64 s[10:11], s[4:5]
	s_cbranch_execz .LBB94_13
; %bb.17:                               ;   in Loop: Header=BB94_14 Depth=1
	global_load_dword v23, v[2:3], off
	s_waitcnt vmcnt(0)
	v_mad_i64_i32 v[24:25], s[4:5], v23, s51, 0
	v_lshlrev_b64 v[24:25], 1, v[24:25]
	v_add_co_u32_e64 v24, s[4:5], v7, v24
	v_addc_co_u32_e64 v25, s[4:5], v8, v25, s[4:5]
	global_load_dword v26, v[24:25], off
	global_load_dword v27, v[24:25], off offset:256
	global_load_dword v28, v[24:25], off offset:512
	;; [unrolled: 1-line block ×12, first 2 shown]
	ds_read_b32 v39, v9
	global_load_dword v23, v[24:25], off offset:3328
	v_cmp_lt_i32_e64 s[4:5], v20, v19
	v_cndmask_b32_e64 v24, v18, v20, s[4:5]
	v_lshlrev_b32_e32 v24, 2, v24
	s_waitcnt lgkmcnt(0)
	v_lshrrev_b32_e32 v25, 16, v39
	v_and_b32_e32 v39, 0xffff, v39
	;;#ASMSTART
	v_cvt_f32_f16 v39, v39;
	;;#ASMEND
	;;#ASMSTART
	v_cvt_f32_f16 v25, v25;
	;;#ASMEND
	v_cmp_lt_i32_e64 s[4:5], v21, v19
	s_waitcnt vmcnt(13)
	v_lshrrev_b32_e32 v40, 16, v26
	v_and_b32_e32 v26, 0xffff, v26
	;;#ASMSTART
	v_cvt_f32_f16 v26, v26;
	;;#ASMEND
	;;#ASMSTART
	v_cvt_f32_f16 v40, v40;
	;;#ASMEND
	ds_read_b32 v41, v9 offset:4
	s_waitcnt vmcnt(12)
	v_lshrrev_b32_e32 v42, 16, v27
	v_and_b32_e32 v27, 0xffff, v27
	s_waitcnt vmcnt(11)
	v_lshrrev_b32_e32 v43, 16, v28
	v_and_b32_e32 v28, 0xffff, v28
	s_waitcnt lgkmcnt(0)
	v_lshrrev_b32_e32 v44, 16, v41
	v_and_b32_e32 v41, 0xffff, v41
	;;#ASMSTART
	v_cvt_f32_f16 v41, v41;
	;;#ASMEND
	;;#ASMSTART
	v_cvt_f32_f16 v44, v44;
	;;#ASMEND
	;;#ASMSTART
	v_cvt_f32_f16 v27, v27;
	;;#ASMEND
	;;#ASMSTART
	v_cvt_f32_f16 v42, v42;
	;;#ASMEND
	ds_read_b32 v45, v9 offset:8
	s_waitcnt vmcnt(10)
	v_lshrrev_b32_e32 v46, 16, v29
	v_and_b32_e32 v29, 0xffff, v29
	s_waitcnt vmcnt(9)
	v_lshrrev_b32_e32 v47, 16, v30
	v_and_b32_e32 v30, 0xffff, v30
	s_waitcnt lgkmcnt(0)
	v_lshrrev_b32_e32 v48, 16, v45
	v_and_b32_e32 v45, 0xffff, v45
	;;#ASMSTART
	v_cvt_f32_f16 v45, v45;
	;;#ASMEND
	;;#ASMSTART
	v_cvt_f32_f16 v48, v48;
	;;#ASMEND
	;; [unrolled: 22-line block ×3, first 2 shown]
	;;#ASMSTART
	v_cvt_f32_f16 v29, v29;
	;;#ASMEND
	;;#ASMSTART
	v_cvt_f32_f16 v46, v46;
	;;#ASMEND
	ds_read_b32 v53, v9 offset:16
	s_waitcnt vmcnt(6)
	v_lshrrev_b32_e32 v54, 16, v33
	v_and_b32_e32 v33, 0xffff, v33
	v_mul_f32_e32 v27, v41, v27
	v_mul_f32_e32 v41, v44, v42
	s_waitcnt lgkmcnt(0)
	v_lshrrev_b32_e32 v56, 16, v53
	v_and_b32_e32 v53, 0xffff, v53
	;;#ASMSTART
	v_cvt_f32_f16 v53, v53;
	;;#ASMEND
	;;#ASMSTART
	v_cvt_f32_f16 v56, v56;
	;;#ASMEND
	;; [unrolled: 3-line block ×4, first 2 shown]
	ds_read_b32 v57, v9 offset:20
	s_waitcnt vmcnt(5)
	v_lshrrev_b32_e32 v55, 16, v34
	v_and_b32_e32 v34, 0xffff, v34
	v_fmac_f32_e32 v27, v39, v26
	v_fmac_f32_e32 v41, v25, v40
	s_waitcnt lgkmcnt(0)
	v_lshrrev_b32_e32 v60, 16, v57
	v_and_b32_e32 v57, 0xffff, v57
	;;#ASMSTART
	v_cvt_f32_f16 v57, v57;
	;;#ASMEND
	;;#ASMSTART
	v_cvt_f32_f16 v60, v60;
	;;#ASMEND
	;; [unrolled: 3-line block ×4, first 2 shown]
	ds_read_b32 v61, v9 offset:24
	v_fmac_f32_e32 v27, v45, v28
	v_fmac_f32_e32 v27, v49, v29
	s_waitcnt vmcnt(4)
	v_lshrrev_b32_e32 v58, 16, v35
	v_and_b32_e32 v35, 0xffff, v35
	s_waitcnt lgkmcnt(0)
	v_lshrrev_b32_e32 v64, 16, v61
	v_and_b32_e32 v61, 0xffff, v61
	;;#ASMSTART
	v_cvt_f32_f16 v61, v61;
	;;#ASMEND
	;;#ASMSTART
	v_cvt_f32_f16 v64, v64;
	;;#ASMEND
	;;#ASMSTART
	v_cvt_f32_f16 v32, v32;
	;;#ASMEND
	;;#ASMSTART
	v_cvt_f32_f16 v51, v51;
	;;#ASMEND
	ds_read_b32 v65, v9 offset:28
	v_fmac_f32_e32 v27, v53, v30
	v_fmac_f32_e32 v27, v57, v31
	s_waitcnt vmcnt(3)
	v_lshrrev_b32_e32 v59, 16, v36
	v_and_b32_e32 v36, 0xffff, v36
	s_waitcnt lgkmcnt(0)
	v_lshrrev_b32_e32 v42, 16, v65
	v_and_b32_e32 v44, 0xffff, v65
	;;#ASMSTART
	v_cvt_f32_f16 v44, v44;
	;;#ASMEND
	;;#ASMSTART
	v_cvt_f32_f16 v42, v42;
	;;#ASMEND
	;; [unrolled: 3-line block ×4, first 2 shown]
	ds_read_b32 v65, v9 offset:32
	v_fmac_f32_e32 v41, v48, v43
	v_fmac_f32_e32 v27, v61, v32
	;; [unrolled: 1-line block ×4, first 2 shown]
	s_waitcnt lgkmcnt(0)
	v_lshrrev_b32_e32 v25, 16, v65
	v_and_b32_e32 v26, 0xffff, v65
	;;#ASMSTART
	v_cvt_f32_f16 v26, v26;
	;;#ASMEND
	;;#ASMSTART
	v_cvt_f32_f16 v25, v25;
	;;#ASMEND
	;; [unrolled: 3-line block ×4, first 2 shown]
	ds_read_b32 v39, v9 offset:36
	v_fmac_f32_e32 v41, v60, v50
	v_fmac_f32_e32 v41, v64, v51
	;; [unrolled: 1-line block ×4, first 2 shown]
	s_waitcnt lgkmcnt(0)
	v_lshrrev_b32_e32 v29, 16, v39
	v_and_b32_e32 v30, 0xffff, v39
	;;#ASMSTART
	v_cvt_f32_f16 v30, v30;
	;;#ASMEND
	;;#ASMSTART
	v_cvt_f32_f16 v29, v29;
	;;#ASMEND
	;; [unrolled: 3-line block ×4, first 2 shown]
	ds_read_b32 v40, v9 offset:40
	v_fmac_f32_e32 v27, v26, v28
	v_fmac_f32_e32 v41, v25, v34
	s_waitcnt vmcnt(2)
	v_lshrrev_b32_e32 v62, 16, v37
	v_and_b32_e32 v37, 0xffff, v37
	s_waitcnt lgkmcnt(0)
	v_lshrrev_b32_e32 v31, 16, v40
	v_and_b32_e32 v32, 0xffff, v40
	;;#ASMSTART
	v_cvt_f32_f16 v32, v32;
	;;#ASMEND
	;;#ASMSTART
	v_cvt_f32_f16 v31, v31;
	;;#ASMEND
	;; [unrolled: 3-line block ×4, first 2 shown]
	ds_read_b32 v43, v9 offset:44
	v_fmac_f32_e32 v27, v30, v35
	v_fmac_f32_e32 v41, v29, v39
	s_waitcnt vmcnt(1)
	v_lshrrev_b32_e32 v63, 16, v38
	v_and_b32_e32 v38, 0xffff, v38
	s_waitcnt lgkmcnt(0)
	v_lshrrev_b32_e32 v25, 16, v43
	v_and_b32_e32 v26, 0xffff, v43
	;;#ASMSTART
	v_cvt_f32_f16 v26, v26;
	;;#ASMEND
	;;#ASMSTART
	v_cvt_f32_f16 v25, v25;
	;;#ASMEND
	;; [unrolled: 3-line block ×4, first 2 shown]
	ds_read_b32 v34, v9 offset:48
	v_fmac_f32_e32 v27, v32, v36
	v_fmac_f32_e32 v41, v31, v40
	;; [unrolled: 1-line block ×4, first 2 shown]
	s_waitcnt lgkmcnt(0)
	v_lshrrev_b32_e32 v29, 16, v34
	v_and_b32_e32 v30, 0xffff, v34
	;;#ASMSTART
	v_cvt_f32_f16 v30, v30;
	;;#ASMEND
	;;#ASMSTART
	v_cvt_f32_f16 v29, v29;
	;;#ASMEND
	;; [unrolled: 3-line block ×4, first 2 shown]
	ds_read_b32 v34, v9 offset:52
	s_waitcnt vmcnt(0)
	v_lshrrev_b32_e32 v66, 16, v23
	v_and_b32_e32 v23, 0xffff, v23
	v_fmac_f32_e32 v27, v30, v31
	v_fmac_f32_e32 v41, v29, v32
	s_waitcnt lgkmcnt(0)
	v_lshrrev_b32_e32 v25, 16, v34
	v_and_b32_e32 v26, 0xffff, v34
	;;#ASMSTART
	v_cvt_f32_f16 v26, v26;
	;;#ASMEND
	;;#ASMSTART
	v_cvt_f32_f16 v25, v25;
	;;#ASMEND
	;; [unrolled: 3-line block ×4, first 2 shown]
	v_fmac_f32_e32 v27, v26, v23
	v_fmac_f32_e32 v41, v25, v28
	v_add_f32_e32 v23, v27, v41
	ds_bpermute_b32 v24, v24, v23
	v_cndmask_b32_e64 v25, v18, v21, s[4:5]
	s_waitcnt lgkmcnt(0)
	v_add_f32_e32 v23, v23, v24
	v_lshlrev_b32_e32 v24, 2, v25
	ds_bpermute_b32 v24, v24, v23
	s_and_saveexec_b64 s[44:45], vcc
	s_cbranch_execz .LBB94_12
; %bb.18:                               ;   in Loop: Header=BB94_14 Depth=1
	v_add_u32_e32 v25, v16, v14
	v_cvt_f32_i32_e32 v25, v25
	s_waitcnt lgkmcnt(0)
	v_add_f32_e32 v23, v23, v24
	v_add_u32_e32 v26, v5, v14
	v_cmp_gt_i32_e64 s[4:5], s29, v26
	v_mul_f32_e32 v24, s49, v25
	v_cndmask_b32_e64 v24, 0, v24, s[2:3]
	v_fmac_f32_e32 v24, s39, v23
	v_cndmask_b32_e64 v23, 0, v24, s[4:5]
	ds_write_b32 v15, v23
	v_max_f32_e32 v23, v12, v12
	v_max_f32_e32 v23, v23, v24
	v_cndmask_b32_e64 v12, v12, v23, s[4:5]
	s_branch .LBB94_12
.LBB94_19:
	s_or_b64 exec, exec, s[42:43]
.LBB94_20:
	s_or_b64 exec, exec, s[40:41]
	v_mbcnt_hi_u32_b32 v2, -1, v4
	v_and_b32_e32 v3, 64, v2
	v_add_u32_e32 v3, 64, v3
	v_xor_b32_e32 v4, 32, v2
	v_cmp_lt_i32_e32 vcc, v4, v3
	v_cndmask_b32_e32 v4, v2, v4, vcc
	v_lshlrev_b32_e32 v7, 2, v4
	ds_bpermute_b32 v4, v7, v12
	v_xor_b32_e32 v8, 16, v2
	v_max_f32_e32 v5, v12, v12
	v_cmp_lt_i32_e32 vcc, v8, v3
	v_xor_b32_e32 v9, 8, v2
	s_waitcnt lgkmcnt(0)
	v_max_f32_e32 v4, v4, v4
	v_max_f32_e32 v4, v5, v4
	v_cndmask_b32_e32 v5, v2, v8, vcc
	v_lshlrev_b32_e32 v8, 2, v5
	ds_bpermute_b32 v5, v8, v4
	v_cmp_lt_i32_e32 vcc, v9, v3
	s_waitcnt lgkmcnt(0)
	v_max_f32_e32 v5, v5, v5
	v_max_f32_e32 v4, v4, v5
	v_cndmask_b32_e32 v5, v2, v9, vcc
	v_lshlrev_b32_e32 v13, 2, v5
	ds_bpermute_b32 v5, v13, v4
	v_xor_b32_e32 v9, 4, v2
	v_cmp_lt_i32_e32 vcc, v9, v3
	s_waitcnt lgkmcnt(0)
	v_max_f32_e32 v5, v5, v5
	v_max_f32_e32 v5, v4, v5
	v_cndmask_b32_e32 v4, v2, v9, vcc
	v_lshlrev_b32_e32 v14, 2, v4
	ds_bpermute_b32 v12, v14, v5
	v_and_b32_e32 v4, 63, v0
	v_cmp_eq_u32_e32 vcc, 0, v4
	v_lshlrev_b32_e32 v9, 2, v6
	s_and_saveexec_b64 s[2:3], vcc
	s_cbranch_execz .LBB94_22
; %bb.21:
	s_waitcnt lgkmcnt(0)
	v_max_f32_e32 v12, v12, v12
	v_max_f32_e32 v5, v5, v5
	;; [unrolled: 1-line block ×3, first 2 shown]
	ds_write_b32 v9, v5 offset:224
.LBB94_22:
	s_or_b64 exec, exec, s[2:3]
	v_cmp_gt_u32_e64 s[2:3], 2, v4
	v_mov_b32_e32 v5, 0xff7fffff
	s_waitcnt lgkmcnt(0)
	v_lshlrev_b32_e32 v12, 2, v4
	s_barrier
	s_and_saveexec_b64 s[4:5], s[2:3]
	s_cbranch_execz .LBB94_24
; %bb.23:
	ds_read_b32 v5, v12 offset:224
.LBB94_24:
	s_or_b64 exec, exec, s[4:5]
	v_xor_b32_e32 v15, 1, v2
	v_cmp_lt_i32_e64 s[4:5], v15, v3
	v_cndmask_b32_e64 v15, v2, v15, s[4:5]
	v_lshlrev_b32_e32 v16, 2, v15
	s_waitcnt lgkmcnt(0)
	ds_bpermute_b32 v15, v16, v5
	v_max_f32_e32 v5, v5, v5
	s_sub_i32 s4, s47, s38
	s_lshl_b32 s4, s4, 4
	s_add_i32 s4, s4, s48
	s_waitcnt lgkmcnt(0)
	v_max_f32_e32 v15, v15, v15
	v_max_f32_e32 v5, v5, v15
	v_lshlrev_b32_e32 v15, 2, v2
	v_and_b32_e32 v15, 0x100, v15
	ds_bpermute_b32 v5, v15, v5
	s_min_i32 s42, s4, s29
	s_sub_i32 s15, s42, s48
	v_cmp_gt_i32_e64 s[4:5], s15, v0
	v_mov_b32_e32 v17, 0
	s_and_saveexec_b64 s[38:39], s[4:5]
	s_cbranch_execz .LBB94_28
; %bb.25:
	v_mov_b32_e32 v17, 0xf0
	v_lshl_add_u32 v18, v0, 2, v17
	s_mov_b64 s[40:41], 0
	v_mov_b32_e32 v17, 0
	v_mov_b32_e32 v19, v0
.LBB94_26:                              ; =>This Inner Loop Header: Depth=1
	ds_read_b32 v20, v18
	v_add_u32_e32 v19, 0x80, v19
	v_cmp_le_i32_e64 s[10:11], s15, v19
	s_or_b64 s[40:41], s[10:11], s[40:41]
	s_waitcnt lgkmcnt(0)
	v_sub_f32_e32 v20, v20, v5
	v_mul_f32_e32 v20, 0x3fb8aa3b, v20
	v_exp_f32_e32 v20, v20
	ds_write_b32 v18, v20
	v_add_f32_e32 v17, v17, v20
	v_add_u32_e32 v18, 0x200, v18
	s_andn2_b64 exec, exec, s[40:41]
	s_cbranch_execnz .LBB94_26
; %bb.27:
	s_or_b64 exec, exec, s[40:41]
.LBB94_28:
	s_or_b64 exec, exec, s[38:39]
	ds_bpermute_b32 v7, v7, v17
	s_waitcnt lgkmcnt(0)
	v_add_f32_e32 v7, v17, v7
	ds_bpermute_b32 v8, v8, v7
	s_waitcnt lgkmcnt(0)
	v_add_f32_e32 v7, v7, v8
	ds_bpermute_b32 v8, v13, v7
	v_xor_b32_e32 v13, 2, v2
	v_cmp_lt_i32_e64 s[10:11], v13, v3
	v_cndmask_b32_e64 v2, v2, v13, s[10:11]
	v_lshlrev_b32_e32 v2, 2, v2
	s_waitcnt lgkmcnt(0)
	v_add_f32_e32 v7, v7, v8
	ds_bpermute_b32 v8, v14, v7
	s_waitcnt lgkmcnt(0)
	v_add_f32_e32 v3, v7, v8
	ds_bpermute_b32 v2, v2, v3
	;; [unrolled: 3-line block ×3, first 2 shown]
	s_waitcnt lgkmcnt(0)
	v_add_f32_e32 v2, v2, v3
	s_and_saveexec_b64 s[10:11], vcc
	s_cbranch_execz .LBB94_30
; %bb.29:
	ds_write_b32 v9, v2 offset:232
.LBB94_30:
	s_or_b64 exec, exec, s[10:11]
	s_waitcnt lgkmcnt(0)
	s_barrier
	s_and_saveexec_b64 s[10:11], s[2:3]
	s_cbranch_execz .LBB94_32
; %bb.31:
	ds_read_b32 v2, v12 offset:232
.LBB94_32:
	s_or_b64 exec, exec, s[10:11]
	s_waitcnt lgkmcnt(0)
	ds_bpermute_b32 v3, v16, v2
	s_waitcnt lgkmcnt(0)
	v_add_f32_e32 v2, v2, v3
	ds_bpermute_b32 v7, v15, v2
	s_and_saveexec_b64 s[2:3], s[4:5]
	s_cbranch_execz .LBB94_45
; %bb.33:
	s_waitcnt lgkmcnt(0)
	v_add_f32_e32 v2, 0x358637bd, v7
	v_div_scale_f32 v3, s[4:5], v2, v2, 1.0
	v_rcp_f32_e32 v8, v3
	v_div_scale_f32 v9, vcc, 1.0, v2, 1.0
	s_movk_i32 s4, 0x7f
	v_fma_f32 v12, -v3, v8, 1.0
	v_fmac_f32_e32 v8, v12, v8
	v_mul_f32_e32 v12, v9, v8
	v_fma_f32 v13, -v3, v12, v9
	v_fmac_f32_e32 v12, v13, v8
	v_fma_f32 v3, -v3, v12, v9
	v_div_fmas_f32 v3, v3, v8, v12
	v_div_fixup_f32 v2, v3, v2, 1.0
	v_xad_u32 v3, v0, -1, s42
	v_subrev_u32_e32 v8, s48, v3
	v_cmp_lt_u32_e32 vcc, s4, v8
	s_mov_b64 s[10:11], -1
	v_mov_b32_e32 v3, v0
	s_and_saveexec_b64 s[4:5], vcc
	s_cbranch_execz .LBB94_42
; %bb.34:
	v_lshrrev_b32_e32 v8, 7, v8
	v_add_u32_e32 v12, -1, v8
	v_lshrrev_b32_e32 v9, 1, v12
	v_mov_b32_e32 v3, v2
	v_add_u32_e32 v9, 1, v9
	v_cmp_lt_u32_e32 vcc, 13, v12
	v_mov_b32_e32 v14, 0
	s_and_saveexec_b64 s[10:11], vcc
	s_cbranch_execz .LBB94_38
; %bb.35:
	v_mov_b32_e32 v13, 0xf0
	v_and_b32_e32 v12, -8, v9
	v_lshl_add_u32 v13, v0, 2, v13
	s_mov_b32 s40, 0
	s_mov_b64 s[38:39], 0
.LBB94_36:                              ; =>This Inner Loop Header: Depth=1
	ds_read2st64_b32 v[14:15], v13 offset1:2
	ds_read2st64_b32 v[18:19], v13 offset0:4 offset1:6
	ds_read2st64_b32 v[20:21], v13 offset0:8 offset1:10
	;; [unrolled: 1-line block ×3, first 2 shown]
	v_add_u32_e32 v12, -8, v12
	s_waitcnt lgkmcnt(3)
	v_pk_mul_f32 v[14:15], v[2:3], v[14:15]
	s_waitcnt lgkmcnt(2)
	v_pk_mul_f32 v[18:19], v[2:3], v[18:19]
	ds_write2st64_b32 v13, v14, v15 offset1:2
	ds_write2st64_b32 v13, v18, v19 offset0:4 offset1:6
	ds_read2st64_b32 v[18:19], v13 offset0:16 offset1:18
	s_waitcnt lgkmcnt(4)
	v_pk_mul_f32 v[14:15], v[2:3], v[20:21]
	ds_write2st64_b32 v13, v14, v15 offset0:8 offset1:10
	s_waitcnt lgkmcnt(4)
	v_pk_mul_f32 v[14:15], v[2:3], v[22:23]
	ds_write2st64_b32 v13, v14, v15 offset0:12 offset1:14
	ds_read2st64_b32 v[14:15], v13 offset0:20 offset1:22
	s_waitcnt lgkmcnt(3)
	v_pk_mul_f32 v[18:19], v[2:3], v[18:19]
	ds_read2st64_b32 v[20:21], v13 offset0:24 offset1:26
	ds_write2st64_b32 v13, v18, v19 offset0:16 offset1:18
	ds_read2st64_b32 v[18:19], v13 offset0:28 offset1:30
	s_waitcnt lgkmcnt(3)
	v_pk_mul_f32 v[14:15], v[2:3], v[14:15]
	ds_write2st64_b32 v13, v14, v15 offset0:20 offset1:22
	s_waitcnt lgkmcnt(3)
	v_pk_mul_f32 v[14:15], v[2:3], v[20:21]
	ds_write2st64_b32 v13, v14, v15 offset0:24 offset1:26
	s_waitcnt lgkmcnt(2)
	v_pk_mul_f32 v[14:15], v[2:3], v[18:19]
	s_add_i32 s40, s40, 16
	v_cmp_eq_u32_e32 vcc, 0, v12
	ds_write2st64_b32 v13, v14, v15 offset0:28 offset1:30
	v_add_u32_e32 v13, 0x2000, v13
	s_or_b64 s[38:39], vcc, s[38:39]
	v_mov_b32_e32 v14, s40
	s_andn2_b64 exec, exec, s[38:39]
	s_cbranch_execnz .LBB94_36
; %bb.37:
	s_or_b64 exec, exec, s[38:39]
.LBB94_38:
	s_or_b64 exec, exec, s[10:11]
	v_and_b32_e32 v9, 7, v9
	v_cmp_ne_u32_e32 vcc, 0, v9
	s_and_saveexec_b64 s[10:11], vcc
	s_cbranch_execz .LBB94_41
; %bb.39:
	v_lshlrev_b32_e32 v12, 9, v14
	v_lshlrev_b32_e32 v13, 2, v0
	s_movk_i32 s38, 0xf0
	v_add3_u32 v12, v12, v13, s38
	s_mov_b64 s[38:39], 0
.LBB94_40:                              ; =>This Inner Loop Header: Depth=1
	ds_read2st64_b32 v[14:15], v12 offset1:2
	v_add_u32_e32 v9, -1, v9
	v_cmp_eq_u32_e32 vcc, 0, v9
	s_or_b64 s[38:39], vcc, s[38:39]
	s_waitcnt lgkmcnt(0)
	v_pk_mul_f32 v[14:15], v[2:3], v[14:15]
	ds_write2st64_b32 v12, v14, v15 offset1:2
	v_add_u32_e32 v12, 0x400, v12
	s_andn2_b64 exec, exec, s[38:39]
	s_cbranch_execnz .LBB94_40
.LBB94_41:
	s_or_b64 exec, exec, s[10:11]
	v_add_u32_e32 v8, 1, v8
	v_and_b32_e32 v9, 0x3fffffe, v8
	v_cmp_ne_u32_e32 vcc, v8, v9
	v_lshl_add_u32 v3, v9, 7, v0
	s_orn2_b64 s[10:11], vcc, exec
.LBB94_42:
	s_or_b64 exec, exec, s[4:5]
	s_and_b64 exec, exec, s[10:11]
	s_cbranch_execz .LBB94_45
; %bb.43:
	v_mov_b32_e32 v8, 0xf0
	v_lshl_add_u32 v8, v3, 2, v8
	s_mov_b64 s[4:5], 0
.LBB94_44:                              ; =>This Inner Loop Header: Depth=1
	ds_read_b32 v9, v8
	v_add_u32_e32 v3, 0x80, v3
	v_cmp_le_i32_e32 vcc, s15, v3
	s_or_b64 s[4:5], vcc, s[4:5]
	s_waitcnt lgkmcnt(0)
	v_mul_f32_e32 v9, v2, v9
	ds_write_b32 v8, v9
	v_add_u32_e32 v8, 0x200, v8
	s_andn2_b64 exec, exec, s[4:5]
	s_cbranch_execnz .LBB94_44
.LBB94_45:
	s_or_b64 exec, exec, s[2:3]
	s_mul_i32 s2, s16, s28
	v_cmp_eq_u32_e32 vcc, 0, v0
	s_mul_i32 s10, s2, s9
	s_waitcnt lgkmcnt(0)
	s_barrier
	s_and_saveexec_b64 s[2:3], vcc
	s_cbranch_execz .LBB94_47
; %bb.46:
	s_ashr_i32 s11, s10, 31
	s_lshl_b64 s[4:5], s[10:11], 2
	s_add_u32 s9, s22, s4
	s_mul_i32 s22, s16, s6
	s_addc_u32 s11, s23, s5
	s_ashr_i32 s23, s22, 31
	s_lshl_b64 s[22:23], s[22:23], 2
	s_add_u32 s6, s9, s22
	s_addc_u32 s11, s11, s23
	s_ashr_i32 s9, s8, 31
	s_lshl_b64 s[38:39], s[8:9], 2
	s_add_u32 s40, s6, s38
	s_addc_u32 s41, s11, s39
	s_add_u32 s4, s20, s4
	s_addc_u32 s5, s21, s5
	;; [unrolled: 2-line block ×3, first 2 shown]
	s_add_u32 s4, s4, s38
	v_mov_b32_e32 v2, 0
	s_addc_u32 s5, s5, s39
	global_store_dword v2, v5, s[40:41]
	global_store_dword v2, v7, s[4:5]
.LBB94_47:
	s_or_b64 exec, exec, s[2:3]
	s_mov_b32 s4, 0
	v_mov_b32_e32 v5, 0
	v_lshrrev_b32_e32 v18, 1, v4
	v_and_b32_e32 v17, 1, v0
	v_mov_b32_e32 v4, 0
	v_mov_b32_e32 v3, 0
	;; [unrolled: 1-line block ×3, first 2 shown]
	s_and_saveexec_b64 s[20:21], s[0:1]
	s_cbranch_execz .LBB94_63
; %bb.48:
	s_ashr_i32 s15, s14, 31
	s_sub_i32 s9, s12, s17
	s_lshl_b64 s[0:1], s[14:15], 1
	s_add_u32 s14, s36, s0
	s_addc_u32 s15, s37, s1
	s_abs_i32 s18, s18
	v_cvt_f32_u32_e32 v3, s18
	v_lshlrev_b32_e32 v2, 3, v0
	v_and_b32_e32 v19, 8, v2
	v_or_b32_e32 v2, 0x60, v18
	s_movk_i32 s0, 0x70
	v_cmp_gt_u32_e32 vcc, s0, v2
	v_lshl_or_b32 v14, v2, 4, v19
	v_rcp_iflag_f32_e32 v2, v3
	s_sub_i32 s0, 0, s18
	s_add_i32 s17, s7, -1
	s_mov_b32 s5, s4
	v_mul_f32_e32 v2, 0x4f7ffffe, v2
	v_cvt_u32_f32_e32 v2, v2
	v_lshl_or_b32 v8, v18, 4, v19
	s_mov_b32 s6, s4
	s_mov_b32 s7, s4
	v_mul_lo_u32 v3, s0, v2
	s_lshl_b64 s[0:1], s[34:35], 2
	v_mul_hi_u32 v3, v2, v3
	s_add_u32 s0, s30, s0
	v_add_u32_e32 v20, v2, v3
	v_lshlrev_b64 v[2:3], 2, v[10:11]
	s_addc_u32 s1, s31, s1
	v_mov_b32_e32 v4, s1
	v_add_co_u32_e64 v12, s[0:1], s0, v2
	v_lshlrev_b32_e32 v2, 5, v17
	v_lshl_or_b32 v2, v6, 6, v2
	v_addc_co_u32_e64 v13, s[0:1], v4, v3, s[0:1]
	v_add_u32_e32 v11, 0xf0, v2
	v_pk_mov_b32 v[2:3], s[4:5], s[4:5] op_sel:[0,1]
	s_mov_b32 s11, s13
	s_mov_b32 s22, s29
	;; [unrolled: 1-line block ×8, first 2 shown]
	s_mov_b64 s[12:13], 0
	v_pk_mov_b32 v[4:5], s[6:7], s[6:7] op_sel:[0,1]
	v_lshlrev_b32_e32 v21, 1, v8
	s_mov_b32 s30, 0x5040100
	v_lshlrev_b32_e32 v22, 1, v14
	s_branch .LBB94_52
.LBB94_49:                              ;   in Loop: Header=BB94_52 Depth=1
	s_or_b64 exec, exec, s[2:3]
	s_waitcnt vmcnt(0)
	;;#ASMSTART
	v_pk_mul_f16 v6, v29, v6;

	;;#ASMEND
	;;#ASMSTART
	v_pk_mul_f16 v7, v28, v7;

	;;#ASMEND
	;;#ASMSTART
	v_pk_mul_f16 v8, v27, v8;

	;;#ASMEND
	;;#ASMSTART
	v_pk_mul_f16 v9, v26, v9;

	;;#ASMEND
	;;#ASMSTART
	v_pk_add_f16 v6, v6, v7;

	;;#ASMEND
	;;#ASMSTART
	v_pk_add_f16 v6, v6, v8;

	;;#ASMEND
	;; [unrolled: 4-line block ×3, first 2 shown]
	v_lshrrev_b32_e32 v7, 16, v6
	v_and_b32_e32 v6, 0xffff, v6
	;;#ASMSTART
	v_cvt_f32_f16 v6, v6;
	;;#ASMEND
	;;#ASMSTART
	v_cvt_f32_f16 v7, v7;
	;;#ASMEND
	v_add_f32_e32 v6, v6, v7
	v_add_f32_e32 v5, v5, v6
.LBB94_50:                              ;   in Loop: Header=BB94_52 Depth=1
	s_or_b64 exec, exec, s[6:7]
.LBB94_51:                              ;   in Loop: Header=BB94_52 Depth=1
	s_or_b64 exec, exec, s[4:5]
	v_add_co_u32_e64 v12, s[0:1], 8, v12
	v_add_u32_e32 v10, 2, v10
	v_addc_co_u32_e64 v13, s[0:1], 0, v13, s[0:1]
	v_cmp_le_i32_e64 s[0:1], s47, v10
	v_add_u32_e32 v1, 32, v1
	s_or_b64 s[12:13], s[0:1], s[12:13]
	v_add_u32_e32 v11, 0x80, v11
	s_andn2_b64 exec, exec, s[12:13]
	s_cbranch_execz .LBB94_62
.LBB94_52:                              ; =>This Inner Loop Header: Depth=1
	v_sub_u32_e32 v7, 0, v1
	v_max_i32_e32 v7, v1, v7
	v_mul_hi_u32 v8, v7, s33
	v_mul_lo_u32 v9, v8, s25
	v_sub_u32_e32 v7, v7, v9
	v_add_u32_e32 v9, 1, v8
	v_cmp_le_u32_e64 s[0:1], s25, v7
	v_cndmask_b32_e64 v8, v8, v9, s[0:1]
	v_subrev_u32_e32 v9, s25, v7
	v_cndmask_b32_e64 v7, v7, v9, s[0:1]
	v_ashrrev_i32_e32 v6, 31, v1
	v_add_u32_e32 v9, 1, v8
	v_cmp_le_u32_e64 s[0:1], s25, v7
	v_xor_b32_e32 v6, s19, v6
	v_cndmask_b32_e64 v7, v8, v9, s[0:1]
	v_xor_b32_e32 v7, v7, v6
	v_sub_u32_e32 v6, v7, v6
	v_add_u32_e32 v7, s46, v6
	v_sub_u32_e32 v9, 0, v7
	v_ashrrev_i32_e32 v8, 31, v7
	v_max_i32_e32 v7, v7, v9
	v_mul_hi_u32 v9, v7, v20
	v_mul_lo_u32 v9, v9, s18
	v_sub_u32_e32 v7, v7, v9
	v_subrev_u32_e32 v9, s18, v7
	v_cmp_le_u32_e64 s[0:1], s18, v7
	v_cndmask_b32_e64 v7, v7, v9, s[0:1]
	v_subrev_u32_e32 v9, s18, v7
	v_cmp_le_u32_e64 s[0:1], s18, v7
	v_cndmask_b32_e64 v7, v7, v9, s[0:1]
	v_xor_b32_e32 v7, v7, v8
	v_sub_u32_e32 v7, v7, v8
	v_cmp_eq_u32_e64 s[0:1], 0, v7
	v_cmp_lt_i32_e64 s[2:3], s9, v6
	s_or_b64 s[0:1], s[0:1], s[2:3]
	s_and_saveexec_b64 s[4:5], s[0:1]
	s_cbranch_execz .LBB94_51
; %bb.53:                               ;   in Loop: Header=BB94_52 Depth=1
	global_load_dword v14, v[12:13], off
	ds_read2_b64 v[6:9], v11 offset1:1
	ds_read2_b64 v[32:35], v11 offset0:2 offset1:3
	v_mov_b32_e32 v15, s15
	v_add_u32_e32 v23, v19, v1
	s_waitcnt lgkmcnt(1)
	;;#ASMSTART
	v_cvt_f16_f32 v26, v6;

	;;#ASMEND
	;;#ASMSTART
	v_cvt_f16_f32 v27, v7;

	;;#ASMEND
	;; [unrolled: 4-line block ×4, first 2 shown]
	s_waitcnt lgkmcnt(0)
	;;#ASMSTART
	v_cvt_f16_f32 v31, v32;

	;;#ASMEND
	;;#ASMSTART
	v_cvt_f16_f32 v32, v33;

	;;#ASMEND
	;; [unrolled: 4-line block ×4, first 2 shown]
	s_waitcnt vmcnt(0)
	v_mad_i64_i32 v[6:7], s[0:1], v14, s11, 0
	v_lshlrev_b64 v[6:7], 1, v[6:7]
	v_add_co_u32_e64 v24, s[0:1], s14, v6
	v_addc_co_u32_e64 v25, s[0:1], v15, v7, s[0:1]
	v_add_co_u32_e64 v14, s[0:1], v24, v21
	v_addc_co_u32_e64 v15, s[0:1], 0, v25, s[0:1]
	global_load_dwordx4 v[6:9], v[14:15], off
	v_cmp_eq_u32_e64 s[0:1], s17, v10
	s_and_saveexec_b64 s[6:7], s[0:1]
	s_cbranch_execz .LBB94_55
; %bb.54:                               ;   in Loop: Header=BB94_52 Depth=1
	v_or_b32_e32 v39, 7, v23
	v_or_b32_e32 v40, 6, v23
	s_waitcnt vmcnt(0)
	v_lshrrev_b32_e32 v41, 16, v9
	v_cmp_gt_i32_e64 s[2:3], s39, v39
	v_cndmask_b32_e64 v39, 0, v41, s[2:3]
	v_cmp_gt_i32_e64 s[2:3], s38, v40
	v_or_b32_e32 v37, 5, v23
	v_cndmask_b32_e64 v9, 0, v9, s[2:3]
	v_or_b32_e32 v38, 4, v23
	v_perm_b32 v9, v39, v9, s30
	v_lshrrev_b32_e32 v39, 16, v8
	v_cmp_gt_i32_e64 s[2:3], s37, v37
	v_cndmask_b32_e64 v37, 0, v39, s[2:3]
	v_cmp_gt_i32_e64 s[2:3], s36, v38
	v_or_b32_e32 v35, 3, v23
	v_cndmask_b32_e64 v8, 0, v8, s[2:3]
	v_or_b32_e32 v36, 2, v23
	v_perm_b32 v8, v37, v8, s30
	v_lshrrev_b32_e32 v37, 16, v7
	v_cmp_gt_i32_e64 s[2:3], s28, v35
	v_cndmask_b32_e64 v35, 0, v37, s[2:3]
	v_cmp_gt_i32_e64 s[2:3], s23, v36
	v_add_u32_e32 v29, 1, v23
	v_cndmask_b32_e64 v7, 0, v7, s[2:3]
	v_perm_b32 v7, v35, v7, s30
	v_lshrrev_b32_e32 v35, 16, v6
	v_cmp_gt_i32_e64 s[2:3], s22, v29
	v_cndmask_b32_e64 v29, 0, v35, s[2:3]
	v_cmp_gt_i32_e64 s[2:3], s29, v23
	v_cndmask_b32_e64 v6, 0, v6, s[2:3]
	v_perm_b32 v6, v29, v6, s30
.LBB94_55:                              ;   in Loop: Header=BB94_52 Depth=1
	s_or_b64 exec, exec, s[6:7]
	v_and_b32_e32 v26, 0xffff, v26
	v_lshl_or_b32 v29, v27, 16, v26
	v_and_b32_e32 v26, 0xffff, v28
	v_lshl_or_b32 v28, v30, 16, v26
	;; [unrolled: 2-line block ×3, first 2 shown]
	v_and_b32_e32 v26, 0xffff, v33
	s_waitcnt vmcnt(0)
	;;#ASMSTART
	v_pk_mul_f16 v6, v29, v6;

	;;#ASMEND
	v_lshl_or_b32 v26, v34, 16, v26
	;;#ASMSTART
	v_pk_mul_f16 v7, v28, v7;

	;;#ASMEND
	;;#ASMSTART
	v_pk_mul_f16 v8, v27, v8;

	;;#ASMEND
	;; [unrolled: 4-line block ×3, first 2 shown]
	;;#ASMSTART
	v_pk_add_f16 v6, v6, v7;

	;;#ASMEND
	;;#ASMSTART
	v_pk_add_f16 v6, v6, v8;

	;;#ASMEND
	;; [unrolled: 4-line block ×3, first 2 shown]
	v_lshrrev_b32_e32 v7, 16, v6
	v_and_b32_e32 v6, 0xffff, v6
	;;#ASMSTART
	v_cvt_f32_f16 v30, v6;
	;;#ASMEND
	;;#ASMSTART
	v_cvt_f32_f16 v31, v7;
	;;#ASMEND
	global_load_dwordx4 v[6:9], v[14:15], off offset:1024
	s_and_saveexec_b64 s[6:7], s[0:1]
	s_cbranch_execz .LBB94_57
; %bb.56:                               ;   in Loop: Header=BB94_52 Depth=1
	v_or_b32_e32 v37, 7, v23
	v_or_b32_e32 v38, 6, v23
	s_waitcnt vmcnt(0)
	v_lshrrev_b32_e32 v39, 16, v9
	v_cmp_gt_i32_e64 s[2:3], s39, v37
	v_cndmask_b32_e64 v37, 0, v39, s[2:3]
	v_cmp_gt_i32_e64 s[2:3], s38, v38
	v_or_b32_e32 v35, 5, v23
	v_cndmask_b32_e64 v9, 0, v9, s[2:3]
	v_or_b32_e32 v36, 4, v23
	v_perm_b32 v9, v37, v9, s30
	v_lshrrev_b32_e32 v37, 16, v8
	v_cmp_gt_i32_e64 s[2:3], s37, v35
	v_cndmask_b32_e64 v35, 0, v37, s[2:3]
	v_cmp_gt_i32_e64 s[2:3], s36, v36
	v_or_b32_e32 v33, 3, v23
	v_cndmask_b32_e64 v8, 0, v8, s[2:3]
	v_or_b32_e32 v34, 2, v23
	v_perm_b32 v8, v35, v8, s30
	v_lshrrev_b32_e32 v35, 16, v7
	v_cmp_gt_i32_e64 s[2:3], s28, v33
	v_cndmask_b32_e64 v33, 0, v35, s[2:3]
	v_cmp_gt_i32_e64 s[2:3], s23, v34
	v_add_u32_e32 v32, 1, v23
	v_cndmask_b32_e64 v7, 0, v7, s[2:3]
	v_perm_b32 v7, v33, v7, s30
	v_lshrrev_b32_e32 v33, 16, v6
	v_cmp_gt_i32_e64 s[2:3], s22, v32
	v_cndmask_b32_e64 v32, 0, v33, s[2:3]
	v_cmp_gt_i32_e64 s[2:3], s29, v23
	v_cndmask_b32_e64 v6, 0, v6, s[2:3]
	v_perm_b32 v6, v32, v6, s30
.LBB94_57:                              ;   in Loop: Header=BB94_52 Depth=1
	s_or_b64 exec, exec, s[6:7]
	s_waitcnt vmcnt(0)
	;;#ASMSTART
	v_pk_mul_f16 v6, v29, v6;

	;;#ASMEND
	;;#ASMSTART
	v_pk_mul_f16 v7, v28, v7;

	;;#ASMEND
	;; [unrolled: 4-line block ×4, first 2 shown]
	;;#ASMSTART
	v_pk_add_f16 v6, v6, v7;

	;;#ASMEND
	;;#ASMSTART
	v_pk_add_f16 v6, v6, v8;

	;;#ASMEND
	;; [unrolled: 4-line block ×3, first 2 shown]
	v_lshrrev_b32_e32 v7, 16, v6
	v_and_b32_e32 v6, 0xffff, v6
	;;#ASMSTART
	v_cvt_f32_f16 v32, v6;
	;;#ASMEND
	;;#ASMSTART
	v_cvt_f32_f16 v33, v7;
	;;#ASMEND
	global_load_dwordx4 v[6:9], v[14:15], off offset:2048
	s_and_saveexec_b64 s[6:7], s[0:1]
	s_cbranch_execz .LBB94_59
; %bb.58:                               ;   in Loop: Header=BB94_52 Depth=1
	v_or_b32_e32 v37, 7, v23
	v_or_b32_e32 v38, 6, v23
	s_waitcnt vmcnt(0)
	v_lshrrev_b32_e32 v39, 16, v9
	v_cmp_gt_i32_e64 s[2:3], s39, v37
	v_cndmask_b32_e64 v37, 0, v39, s[2:3]
	v_cmp_gt_i32_e64 s[2:3], s38, v38
	v_or_b32_e32 v35, 5, v23
	v_cndmask_b32_e64 v9, 0, v9, s[2:3]
	v_or_b32_e32 v36, 4, v23
	v_perm_b32 v9, v37, v9, s30
	v_lshrrev_b32_e32 v37, 16, v8
	v_cmp_gt_i32_e64 s[2:3], s37, v35
	v_cndmask_b32_e64 v35, 0, v37, s[2:3]
	v_cmp_gt_i32_e64 s[2:3], s36, v36
	v_or_b32_e32 v15, 3, v23
	v_cndmask_b32_e64 v8, 0, v8, s[2:3]
	v_or_b32_e32 v34, 2, v23
	v_perm_b32 v8, v35, v8, s30
	v_lshrrev_b32_e32 v35, 16, v7
	v_cmp_gt_i32_e64 s[2:3], s28, v15
	v_cndmask_b32_e64 v15, 0, v35, s[2:3]
	v_cmp_gt_i32_e64 s[2:3], s23, v34
	v_add_u32_e32 v14, 1, v23
	v_cndmask_b32_e64 v7, 0, v7, s[2:3]
	v_perm_b32 v7, v15, v7, s30
	v_lshrrev_b32_e32 v15, 16, v6
	v_cmp_gt_i32_e64 s[2:3], s22, v14
	v_cndmask_b32_e64 v14, 0, v15, s[2:3]
	v_cmp_gt_i32_e64 s[2:3], s29, v23
	v_cndmask_b32_e64 v6, 0, v6, s[2:3]
	v_perm_b32 v6, v14, v6, s30
.LBB94_59:                              ;   in Loop: Header=BB94_52 Depth=1
	s_or_b64 exec, exec, s[6:7]
	s_waitcnt vmcnt(0)
	;;#ASMSTART
	v_pk_mul_f16 v6, v29, v6;

	;;#ASMEND
	;;#ASMSTART
	v_pk_mul_f16 v7, v28, v7;

	;;#ASMEND
	;; [unrolled: 4-line block ×4, first 2 shown]
	;;#ASMSTART
	v_pk_add_f16 v6, v6, v7;

	;;#ASMEND
	;;#ASMSTART
	v_pk_add_f16 v6, v6, v8;

	;;#ASMEND
	;; [unrolled: 4-line block ×3, first 2 shown]
	v_lshrrev_b32_e32 v7, 16, v6
	v_and_b32_e32 v6, 0xffff, v6
	v_add_f32_e32 v14, v30, v31
	;;#ASMSTART
	v_cvt_f32_f16 v6, v6;
	;;#ASMEND
	v_add_f32_e32 v2, v2, v14
	v_add_f32_e32 v14, v32, v33
	;;#ASMSTART
	v_cvt_f32_f16 v7, v7;
	;;#ASMEND
	v_add_f32_e32 v6, v6, v7
	v_add_f32_e32 v3, v3, v14
	;; [unrolled: 1-line block ×3, first 2 shown]
	s_and_saveexec_b64 s[6:7], vcc
	s_cbranch_execz .LBB94_50
; %bb.60:                               ;   in Loop: Header=BB94_52 Depth=1
	v_add_co_u32_e64 v6, s[2:3], v24, v22
	v_addc_co_u32_e64 v7, s[2:3], 0, v25, s[2:3]
	global_load_dwordx4 v[6:9], v[6:7], off
	s_and_saveexec_b64 s[2:3], s[0:1]
	s_cbranch_execz .LBB94_49
; %bb.61:                               ;   in Loop: Header=BB94_52 Depth=1
	v_or_b32_e32 v31, 7, v23
	v_or_b32_e32 v32, 6, v23
	s_waitcnt vmcnt(0)
	v_lshrrev_b32_e32 v33, 16, v9
	v_cmp_gt_i32_e64 s[0:1], s39, v31
	v_cndmask_b32_e64 v31, 0, v33, s[0:1]
	v_cmp_gt_i32_e64 s[0:1], s38, v32
	v_or_b32_e32 v25, 5, v23
	v_cndmask_b32_e64 v9, 0, v9, s[0:1]
	v_or_b32_e32 v30, 4, v23
	v_perm_b32 v9, v31, v9, s30
	v_lshrrev_b32_e32 v31, 16, v8
	v_cmp_gt_i32_e64 s[0:1], s37, v25
	v_cndmask_b32_e64 v25, 0, v31, s[0:1]
	v_cmp_gt_i32_e64 s[0:1], s36, v30
	v_or_b32_e32 v15, 3, v23
	v_cndmask_b32_e64 v8, 0, v8, s[0:1]
	v_or_b32_e32 v24, 2, v23
	v_perm_b32 v8, v25, v8, s30
	v_lshrrev_b32_e32 v25, 16, v7
	v_cmp_gt_i32_e64 s[0:1], s28, v15
	v_cndmask_b32_e64 v15, 0, v25, s[0:1]
	v_cmp_gt_i32_e64 s[0:1], s23, v24
	v_add_u32_e32 v14, 1, v23
	v_cndmask_b32_e64 v7, 0, v7, s[0:1]
	v_perm_b32 v7, v15, v7, s30
	v_lshrrev_b32_e32 v15, 16, v6
	v_cmp_gt_i32_e64 s[0:1], s22, v14
	v_cndmask_b32_e64 v14, 0, v15, s[0:1]
	v_cmp_gt_i32_e64 s[0:1], s29, v23
	v_cndmask_b32_e64 v6, 0, v6, s[0:1]
	v_perm_b32 v6, v14, v6, s30
	s_branch .LBB94_49
.LBB94_62:
	s_or_b64 exec, exec, s[12:13]
.LBB94_63:
	s_or_b64 exec, exec, s[20:21]
	ds_bpermute_b32 v6, v16, v2
	ds_bpermute_b32 v7, v16, v3
	;; [unrolled: 1-line block ×4, first 2 shown]
	v_and_b32_e32 v1, 0x3c0, v0
	v_cmp_eq_u32_e32 vcc, 64, v1
	s_waitcnt lgkmcnt(2)
	v_pk_add_f32 v[6:7], v[2:3], v[6:7]
	s_waitcnt lgkmcnt(0)
	v_pk_add_f32 v[2:3], v[4:5], v[8:9]
	s_barrier
	s_and_saveexec_b64 s[2:3], vcc
	s_cbranch_execz .LBB94_68
; %bb.64:
	v_cmp_eq_u32_e32 vcc, 0, v17
	s_and_saveexec_b64 s[0:1], vcc
	s_cbranch_execz .LBB94_66
; %bb.65:
	v_mov_b32_e32 v1, 0xf0
	v_lshl_add_u32 v1, v18, 2, v1
	ds_write2_b32 v1, v6, v7 offset1:32
	ds_write_b32 v1, v2 offset:256
.LBB94_66:
	s_or_b64 exec, exec, s[0:1]
	v_or_b32_e32 v1, 0x60, v18
	s_movk_i32 s0, 0x70
	v_cmp_gt_u32_e64 s[0:1], s0, v1
	s_and_b64 s[0:1], vcc, s[0:1]
	s_and_b64 exec, exec, s[0:1]
	s_cbranch_execz .LBB94_68
; %bb.67:
	v_mov_b32_e32 v1, 0xf0
	v_lshl_add_u32 v1, v18, 2, v1
	ds_write_b32 v1, v3 offset:384
.LBB94_68:
	s_or_b64 exec, exec, s[2:3]
	v_cmp_gt_u32_e32 vcc, 64, v0
	v_lshrrev_b32_e32 v0, 1, v0
	s_waitcnt lgkmcnt(0)
	s_barrier
	s_and_saveexec_b64 s[4:5], vcc
	s_cbranch_execz .LBB94_76
; %bb.69:
	v_cmp_eq_u32_e64 s[0:1], 0, v17
	s_and_saveexec_b64 s[2:3], s[0:1]
	s_cbranch_execnz .LBB94_82
; %bb.70:
	s_or_b64 exec, exec, s[2:3]
	s_and_saveexec_b64 s[2:3], s[0:1]
	s_cbranch_execnz .LBB94_83
.LBB94_71:
	s_or_b64 exec, exec, s[2:3]
	s_and_saveexec_b64 s[2:3], s[0:1]
	s_cbranch_execz .LBB94_73
.LBB94_72:
	v_mov_b32_e32 v1, 0xf0
	v_lshl_add_u32 v1, v0, 2, v1
	ds_read_b32 v1, v1 offset:256
	s_waitcnt lgkmcnt(0)
	v_add_f32_e32 v2, v2, v1
.LBB94_73:
	s_or_b64 exec, exec, s[2:3]
	v_or_b32_e32 v1, 0x60, v0
	s_movk_i32 s2, 0x70
	v_cmp_gt_u32_e64 s[2:3], s2, v1
	s_and_b64 s[2:3], s[0:1], s[2:3]
	s_and_saveexec_b64 s[0:1], s[2:3]
	s_cbranch_execz .LBB94_75
; %bb.74:
	v_mov_b32_e32 v1, 0xf0
	v_lshl_add_u32 v1, v0, 2, v1
	ds_read_b32 v1, v1 offset:384
	s_waitcnt lgkmcnt(0)
	v_add_f32_e32 v3, v3, v1
.LBB94_75:
	s_or_b64 exec, exec, s[0:1]
.LBB94_76:
	s_or_b64 exec, exec, s[4:5]
	s_barrier
	s_and_saveexec_b64 s[0:1], vcc
	s_cbranch_execz .LBB94_81
; %bb.77:
	s_mul_i32 s0, s10, 0x70
	s_ashr_i32 s1, s0, 31
	s_lshl_b64 s[0:1], s[0:1], 1
	s_add_u32 s2, s26, s0
	s_mul_i32 s0, s16, s24
	s_addc_u32 s3, s27, s1
	s_ashr_i32 s1, s0, 31
	s_lshl_b64 s[0:1], s[0:1], 1
	s_add_u32 s2, s2, s0
	s_mul_i32 s0, s8, 0x70
	s_addc_u32 s3, s3, s1
	s_ashr_i32 s1, s0, 31
	s_lshl_b64 s[0:1], s[0:1], 1
	s_add_u32 s2, s2, s0
	s_movk_i32 s4, 0x70
	s_addc_u32 s3, s3, s1
	v_cmp_eq_u32_e32 vcc, 0, v17
	v_lshlrev_b32_e32 v1, 1, v0
	s_and_saveexec_b64 s[0:1], vcc
	s_cbranch_execz .LBB94_79
; %bb.78:
	;;#ASMSTART
	v_cvt_f16_f32 v4, v6;

	;;#ASMEND
	global_store_short v1, v4, s[2:3]
	;;#ASMSTART
	v_cvt_f16_f32 v4, v7;

	;;#ASMEND
	global_store_short v1, v4, s[2:3] offset:64
	;;#ASMSTART
	v_cvt_f16_f32 v2, v2;

	;;#ASMEND
	global_store_short v1, v2, s[2:3] offset:128
.LBB94_79:
	s_or_b64 exec, exec, s[0:1]
	v_or_b32_e32 v0, 0x60, v0
	v_cmp_gt_u32_e64 s[0:1], s4, v0
	s_and_b64 s[0:1], vcc, s[0:1]
	s_and_b64 exec, exec, s[0:1]
	s_cbranch_execz .LBB94_81
; %bb.80:
	;;#ASMSTART
	v_cvt_f16_f32 v0, v3;

	;;#ASMEND
	global_store_short v1, v0, s[2:3] offset:192
.LBB94_81:
	s_endpgm
.LBB94_82:
	v_mov_b32_e32 v1, 0xf0
	v_lshl_add_u32 v1, v0, 2, v1
	ds_read_b32 v1, v1
	s_waitcnt lgkmcnt(0)
	v_add_f32_e32 v6, v6, v1
	s_or_b64 exec, exec, s[2:3]
	s_and_saveexec_b64 s[2:3], s[0:1]
	s_cbranch_execz .LBB94_71
.LBB94_83:
	v_mov_b32_e32 v1, 0xf0
	v_lshl_add_u32 v1, v0, 2, v1
	ds_read_b32 v1, v1 offset:128
	s_waitcnt lgkmcnt(0)
	v_add_f32_e32 v7, v7, v1
	s_or_b64 exec, exec, s[2:3]
	s_and_saveexec_b64 s[2:3], s[0:1]
	s_cbranch_execnz .LBB94_72
	s_branch .LBB94_73
	.section	.rodata,"a",@progbits
	.p2align	6, 0x0
	.amdhsa_kernel _ZN4vllm25paged_attention_v2_kernelIttLi112ELi16ELi128ELNS_18Fp8KVCacheDataTypeE0ELb1ELi512EEEvPfS2_PT_PKS3_PKT0_S9_ifPKiSB_iPKfiiiSD_SD_iiiii
		.amdhsa_group_segment_fixed_size 240
		.amdhsa_private_segment_fixed_size 0
		.amdhsa_kernarg_size 400
		.amdhsa_user_sgpr_count 6
		.amdhsa_user_sgpr_private_segment_buffer 1
		.amdhsa_user_sgpr_dispatch_ptr 0
		.amdhsa_user_sgpr_queue_ptr 0
		.amdhsa_user_sgpr_kernarg_segment_ptr 1
		.amdhsa_user_sgpr_dispatch_id 0
		.amdhsa_user_sgpr_flat_scratch_init 0
		.amdhsa_user_sgpr_kernarg_preload_length 0
		.amdhsa_user_sgpr_kernarg_preload_offset 0
		.amdhsa_user_sgpr_private_segment_size 0
		.amdhsa_uses_dynamic_stack 0
		.amdhsa_system_sgpr_private_segment_wavefront_offset 0
		.amdhsa_system_sgpr_workgroup_id_x 1
		.amdhsa_system_sgpr_workgroup_id_y 1
		.amdhsa_system_sgpr_workgroup_id_z 1
		.amdhsa_system_sgpr_workgroup_info 0
		.amdhsa_system_vgpr_workitem_id 0
		.amdhsa_next_free_vgpr 67
		.amdhsa_next_free_sgpr 52
		.amdhsa_accum_offset 68
		.amdhsa_reserve_vcc 1
		.amdhsa_reserve_flat_scratch 0
		.amdhsa_float_round_mode_32 0
		.amdhsa_float_round_mode_16_64 0
		.amdhsa_float_denorm_mode_32 3
		.amdhsa_float_denorm_mode_16_64 3
		.amdhsa_dx10_clamp 1
		.amdhsa_ieee_mode 1
		.amdhsa_fp16_overflow 0
		.amdhsa_tg_split 0
		.amdhsa_exception_fp_ieee_invalid_op 0
		.amdhsa_exception_fp_denorm_src 0
		.amdhsa_exception_fp_ieee_div_zero 0
		.amdhsa_exception_fp_ieee_overflow 0
		.amdhsa_exception_fp_ieee_underflow 0
		.amdhsa_exception_fp_ieee_inexact 0
		.amdhsa_exception_int_div_zero 0
	.end_amdhsa_kernel
	.section	.text._ZN4vllm25paged_attention_v2_kernelIttLi112ELi16ELi128ELNS_18Fp8KVCacheDataTypeE0ELb1ELi512EEEvPfS2_PT_PKS3_PKT0_S9_ifPKiSB_iPKfiiiSD_SD_iiiii,"axG",@progbits,_ZN4vllm25paged_attention_v2_kernelIttLi112ELi16ELi128ELNS_18Fp8KVCacheDataTypeE0ELb1ELi512EEEvPfS2_PT_PKS3_PKT0_S9_ifPKiSB_iPKfiiiSD_SD_iiiii,comdat
.Lfunc_end94:
	.size	_ZN4vllm25paged_attention_v2_kernelIttLi112ELi16ELi128ELNS_18Fp8KVCacheDataTypeE0ELb1ELi512EEEvPfS2_PT_PKS3_PKT0_S9_ifPKiSB_iPKfiiiSD_SD_iiiii, .Lfunc_end94-_ZN4vllm25paged_attention_v2_kernelIttLi112ELi16ELi128ELNS_18Fp8KVCacheDataTypeE0ELb1ELi512EEEvPfS2_PT_PKS3_PKT0_S9_ifPKiSB_iPKfiiiSD_SD_iiiii
                                        ; -- End function
	.section	.AMDGPU.csdata,"",@progbits
; Kernel info:
; codeLenInByte = 7088
; NumSgprs: 56
; NumVgprs: 67
; NumAgprs: 0
; TotalNumVgprs: 67
; ScratchSize: 0
; MemoryBound: 0
; FloatMode: 240
; IeeeMode: 1
; LDSByteSize: 240 bytes/workgroup (compile time only)
; SGPRBlocks: 6
; VGPRBlocks: 8
; NumSGPRsForWavesPerEU: 56
; NumVGPRsForWavesPerEU: 67
; AccumOffset: 68
; Occupancy: 7
; WaveLimiterHint : 1
; COMPUTE_PGM_RSRC2:SCRATCH_EN: 0
; COMPUTE_PGM_RSRC2:USER_SGPR: 6
; COMPUTE_PGM_RSRC2:TRAP_HANDLER: 0
; COMPUTE_PGM_RSRC2:TGID_X_EN: 1
; COMPUTE_PGM_RSRC2:TGID_Y_EN: 1
; COMPUTE_PGM_RSRC2:TGID_Z_EN: 1
; COMPUTE_PGM_RSRC2:TIDIG_COMP_CNT: 0
; COMPUTE_PGM_RSRC3_GFX90A:ACCUM_OFFSET: 16
; COMPUTE_PGM_RSRC3_GFX90A:TG_SPLIT: 0
	.section	.text._ZN4vllm25paged_attention_v2_kernelIttLi120ELi16ELi128ELNS_18Fp8KVCacheDataTypeE0ELb1ELi512EEEvPfS2_PT_PKS3_PKT0_S9_ifPKiSB_iPKfiiiSD_SD_iiiii,"axG",@progbits,_ZN4vllm25paged_attention_v2_kernelIttLi120ELi16ELi128ELNS_18Fp8KVCacheDataTypeE0ELb1ELi512EEEvPfS2_PT_PKS3_PKT0_S9_ifPKiSB_iPKfiiiSD_SD_iiiii,comdat
	.protected	_ZN4vllm25paged_attention_v2_kernelIttLi120ELi16ELi128ELNS_18Fp8KVCacheDataTypeE0ELb1ELi512EEEvPfS2_PT_PKS3_PKT0_S9_ifPKiSB_iPKfiiiSD_SD_iiiii ; -- Begin function _ZN4vllm25paged_attention_v2_kernelIttLi120ELi16ELi128ELNS_18Fp8KVCacheDataTypeE0ELb1ELi512EEEvPfS2_PT_PKS3_PKT0_S9_ifPKiSB_iPKfiiiSD_SD_iiiii
	.globl	_ZN4vllm25paged_attention_v2_kernelIttLi120ELi16ELi128ELNS_18Fp8KVCacheDataTypeE0ELb1ELi512EEEvPfS2_PT_PKS3_PKT0_S9_ifPKiSB_iPKfiiiSD_SD_iiiii
	.p2align	8
	.type	_ZN4vllm25paged_attention_v2_kernelIttLi120ELi16ELi128ELNS_18Fp8KVCacheDataTypeE0ELb1ELi512EEEvPfS2_PT_PKS3_PKT0_S9_ifPKiSB_iPKfiiiSD_SD_iiiii,@function
_ZN4vllm25paged_attention_v2_kernelIttLi120ELi16ELi128ELNS_18Fp8KVCacheDataTypeE0ELb1ELi512EEEvPfS2_PT_PKS3_PKT0_S9_ifPKiSB_iPKfiiiSD_SD_iiiii: ; @_ZN4vllm25paged_attention_v2_kernelIttLi120ELi16ELi128ELNS_18Fp8KVCacheDataTypeE0ELb1ELi512EEEvPfS2_PT_PKS3_PKT0_S9_ifPKiSB_iPKfiiiSD_SD_iiiii
; %bb.0:
	s_load_dwordx2 s[0:1], s[4:5], 0x40
	s_mov_b32 s28, s7
	s_ashr_i32 s29, s7, 31
	s_lshl_b64 s[2:3], s[28:29], 2
	s_waitcnt lgkmcnt(0)
	s_add_u32 s0, s0, s2
	s_addc_u32 s1, s1, s3
	s_load_dword s29, s[0:1], 0x0
	s_lshl_b32 s48, s8, 9
	s_waitcnt lgkmcnt(0)
	s_cmp_ge_i32 s48, s29
	s_cbranch_scc1 .LBB95_81
; %bb.1:
	s_load_dword s9, s[4:5], 0x90
	s_load_dwordx2 s[38:39], s[4:5], 0x30
	s_mov_b32 s49, 0
	s_waitcnt lgkmcnt(0)
	s_abs_i32 s2, s9
	s_abs_i32 s0, s38
	v_cvt_f32_u32_e32 v1, s0
	s_sub_i32 s3, 0, s0
	s_xor_b32 s1, s9, s38
	s_ashr_i32 s1, s1, 31
	v_rcp_iflag_f32_e32 v1, v1
	v_mul_f32_e32 v1, 0x4f7ffffe, v1
	v_cvt_u32_f32_e32 v1, v1
	v_readfirstlane_b32 s7, v1
	s_mul_i32 s3, s3, s7
	s_mul_hi_u32 s3, s7, s3
	s_add_i32 s7, s7, s3
	s_mul_hi_u32 s3, s2, s7
	s_mul_i32 s7, s3, s0
	s_sub_i32 s2, s2, s7
	s_add_i32 s10, s3, 1
	s_sub_i32 s7, s2, s0
	s_cmp_ge_u32 s2, s0
	s_cselect_b32 s3, s10, s3
	s_cselect_b32 s2, s7, s2
	s_add_i32 s7, s3, 1
	s_cmp_ge_u32 s2, s0
	s_cselect_b32 s0, s7, s3
	s_xor_b32 s0, s0, s1
	s_sub_i32 s11, s0, s1
	s_abs_i32 s2, s11
	v_cvt_f32_u32_e32 v1, s2
	s_load_dwordx2 s[0:1], s[4:5], 0x50
	s_sub_i32 s7, 0, s2
	s_abs_i32 s3, s6
	v_rcp_iflag_f32_e32 v1, v1
	v_mul_f32_e32 v1, 0x4f7ffffe, v1
	v_cvt_u32_f32_e32 v1, v1
	v_readfirstlane_b32 s10, v1
	s_mul_i32 s7, s7, s10
	s_mul_hi_u32 s7, s10, s7
	s_add_i32 s10, s10, s7
	s_waitcnt lgkmcnt(0)
	s_cmp_eq_u64 s[0:1], 0
	s_mul_hi_u32 s10, s3, s10
	s_cbranch_scc1 .LBB95_3
; %bb.2:
	s_ashr_i32 s7, s6, 31
	s_lshl_b64 s[12:13], s[6:7], 2
	s_add_u32 s0, s0, s12
	s_addc_u32 s1, s1, s13
	s_load_dword s49, s[0:1], 0x0
.LBB95_3:
	s_load_dwordx4 s[12:15], s[4:5], 0x58
	s_ashr_i32 s7, s6, 31
	s_ashr_i32 s11, s11, 31
	v_and_b32_e32 v2, 3, v0
	s_mul_i32 s24, s6, 0x78
	v_cmp_gt_u32_e32 vcc, 60, v0
	s_and_saveexec_b64 s[0:1], vcc
	s_cbranch_execz .LBB95_5
; %bb.4:
	s_load_dwordx2 s[16:17], s[4:5], 0x18
	s_waitcnt lgkmcnt(0)
	s_mul_i32 s18, s28, s12
	s_ashr_i32 s19, s18, 31
	s_lshl_b64 s[18:19], s[18:19], 1
	v_lshlrev_b32_e32 v1, 2, v0
	s_add_u32 s12, s16, s18
	s_addc_u32 s15, s17, s19
	s_ashr_i32 s25, s24, 31
	s_lshl_b64 s[16:17], s[24:25], 1
	s_add_u32 s16, s12, s16
	s_addc_u32 s17, s15, s17
	global_load_dword v1, v1, s[16:17]
	v_and_b32_e32 v3, 0x3fc, v0
	v_mad_u32_u24 v3, v2, 60, v3
	s_waitcnt vmcnt(0)
	ds_write_b32 v3, v1
.LBB95_5:
	s_or_b64 exec, exec, s[0:1]
	s_mul_i32 s1, s10, s2
	s_sub_i32 s1, s3, s1
	s_xor_b32 s0, s7, s11
	s_add_i32 s3, s10, 1
	s_sub_i32 s7, s1, s2
	s_load_dwordx4 s[16:19], s[4:5], 0x78
	s_cmp_ge_u32 s1, s2
	s_cselect_b32 s3, s3, s10
	s_load_dword s10, s[4:5], 0x88
	s_cselect_b32 s1, s7, s1
	s_add_i32 s7, s3, 1
	s_cmp_ge_u32 s1, s2
	s_cselect_b32 s1, s7, s3
	s_waitcnt lgkmcnt(0)
	s_abs_i32 s25, s19
	v_cvt_f32_u32_e32 v1, s25
	s_xor_b32 s1, s1, s0
	s_sub_i32 s2, s1, s0
	s_sub_i32 s0, 0, s25
	v_rcp_iflag_f32_e32 v1, v1
	s_add_i32 s11, s29, -1
	s_abs_i32 s3, s11
	v_mul_f32_e32 v1, 0x4f7ffffe, v1
	v_cvt_u32_f32_e32 v1, v1
	s_barrier
	v_readfirstlane_b32 s33, v1
	s_mul_i32 s0, s0, s33
	s_mul_hi_u32 s0, s33, s0
	s_add_i32 s33, s33, s0
	s_cmp_lt_i32 s10, 0
	s_mul_hi_u32 s7, s3, s33
	s_cbranch_scc0 .LBB95_7
; %bb.6:
	s_mul_i32 s0, s16, s38
	s_add_i32 s0, s2, s0
	s_mul_i32 s0, s0, s10
	s_sub_i32 s46, 1, s0
	s_mov_b64 s[0:1], 0
	s_branch .LBB95_8
.LBB95_7:
	s_mov_b64 s[0:1], -1
                                        ; implicit-def: $sgpr46
.LBB95_8:
	s_load_dwordx2 s[30:31], s[4:5], 0x38
	s_ashr_i32 s11, s11, 31
	s_andn2_b64 vcc, exec, s[0:1]
	s_ashr_i32 s19, s19, 31
	s_cbranch_vccnz .LBB95_10
; %bb.9:
	s_mul_i32 s0, s9, s16
	s_add_i32 s0, s0, s6
	s_mul_i32 s0, s0, s10
	s_add_i32 s46, s0, 1
.LBB95_10:
	s_load_dword s0, s[4:5], 0x48
	s_load_dwordx2 s[36:37], s[4:5], 0x28
	s_load_dword s16, s[4:5], 0x98
	s_load_dwordx4 s[20:23], s[4:5], 0x0
	s_load_dwordx2 s[26:27], s[4:5], 0x10
	s_mul_i32 s1, s7, s25
	s_waitcnt lgkmcnt(0)
	s_mul_i32 s34, s28, s0
	s_sub_i32 s1, s3, s1
	s_ashr_i32 s35, s34, 31
	s_xor_b32 s0, s11, s19
	s_add_i32 s3, s7, 1
	s_sub_i32 s10, s1, s25
	s_cmp_ge_u32 s1, s25
	s_cselect_b32 s3, s3, s7
	s_cselect_b32 s1, s10, s1
	s_add_i32 s7, s3, 1
	s_cmp_ge_u32 s1, s25
	s_cselect_b32 s1, s7, s3
	s_xor_b32 s1, s1, s0
	s_sub_i32 s12, s1, s0
	s_add_i32 s0, s29, 15
	s_ashr_i32 s1, s0, 31
	s_lshr_b32 s1, s1, 28
	s_add_i32 s0, s0, s1
	s_lshl_b32 s38, s8, 5
	s_ashr_i32 s7, s0, 4
	s_add_i32 s0, s38, 32
	v_lshrrev_b32_e32 v6, 6, v0
	s_min_i32 s47, s0, s7
	v_or_b32_e32 v10, s38, v6
	v_cmp_gt_i32_e64 s[0:1], s47, v10
	v_mov_b32_e32 v12, 0xff7fffff
	s_mul_i32 s14, s2, s14
	v_ashrrev_i32_e32 v11, 31, v10
	v_lshl_add_u32 v1, v6, 4, s48
	v_mbcnt_lo_u32_b32 v4, -1, 0
	s_and_saveexec_b64 s[40:41], s[0:1]
	s_cbranch_execz .LBB95_20
; %bb.11:
	s_load_dwordx2 s[2:3], s[4:5], 0x20
	s_ashr_i32 s15, s14, 31
	s_sub_i32 s50, s12, s17
	s_lshl_b64 s[4:5], s[14:15], 1
	v_bfe_u32 v5, v0, 2, 4
	s_waitcnt lgkmcnt(0)
	s_add_u32 s2, s2, s4
	s_addc_u32 s3, s3, s5
	s_abs_i32 s15, s18
	v_cvt_f32_u32_e32 v8, s15
	v_lshlrev_b32_e32 v3, 4, v5
	v_mov_b32_e32 v7, s3
	v_add_co_u32_e64 v3, s[2:3], s2, v3
	v_rcp_iflag_f32_e32 v12, v8
	v_addc_co_u32_e64 v9, s[2:3], 0, v7, s[2:3]
	v_lshlrev_b32_e32 v7, 2, v0
	v_and_b32_e32 v7, 12, v7
	v_add_co_u32_e64 v7, s[2:3], v3, v7
	v_mul_f32_e32 v3, 0x4f7ffffe, v12
	v_cvt_u32_f32_e32 v3, v3
	s_sub_i32 s4, 0, s15
	v_cmp_eq_u32_e32 vcc, 0, v2
	v_addc_co_u32_e64 v8, s[2:3], 0, v9, s[2:3]
	v_mul_u32_u24_e32 v9, 60, v2
	v_mul_lo_u32 v2, s4, v3
	s_lshl_b64 s[4:5], s[34:35], 2
	v_mul_hi_u32 v2, v3, v2
	s_add_u32 s4, s30, s4
	v_add_u32_e32 v13, v3, v2
	v_lshlrev_b64 v[2:3], 2, v[10:11]
	s_addc_u32 s5, s31, s5
	v_mov_b32_e32 v12, s5
	v_add_co_u32_e64 v2, s[4:5], s4, v2
	v_addc_co_u32_e64 v3, s[4:5], v12, v3, s[4:5]
	v_lshlrev_b32_e32 v12, 2, v5
	v_lshl_or_b32 v12, v6, 6, v12
	v_add_u32_e32 v15, 0x100, v12
	v_subrev_u32_e32 v12, s29, v5
	v_mbcnt_hi_u32_b32 v18, -1, v4
	v_add_u32_e32 v16, 1, v12
	v_and_b32_e32 v12, 64, v18
	s_mov_b32 s51, s13
	v_cmp_neq_f32_e64 s[2:3], s49, 0
	v_lshl_add_u32 v14, v6, 4, s48
	s_mov_b64 s[42:43], 0
	v_mov_b32_e32 v17, 0xff7fffff
	v_add_u32_e32 v19, 64, v12
	v_xor_b32_e32 v20, 2, v18
	v_xor_b32_e32 v21, 1, v18
	v_mov_b32_e32 v12, 0xff7fffff
	v_mov_b32_e32 v22, v10
	s_branch .LBB95_14
.LBB95_12:                              ;   in Loop: Header=BB95_14 Depth=1
	s_or_b64 exec, exec, s[44:45]
.LBB95_13:                              ;   in Loop: Header=BB95_14 Depth=1
	s_or_b64 exec, exec, s[10:11]
	v_add_co_u32_e64 v2, s[4:5], 8, v2
	v_add_u32_e32 v22, 2, v22
	v_addc_co_u32_e64 v3, s[4:5], 0, v3, s[4:5]
	v_cmp_le_i32_e64 s[4:5], s47, v22
	v_add_u32_e32 v14, 32, v14
	s_or_b64 s[42:43], s[4:5], s[42:43]
	v_add_u32_e32 v15, 0x80, v15
	s_andn2_b64 exec, exec, s[42:43]
	s_cbranch_execz .LBB95_19
.LBB95_14:                              ; =>This Inner Loop Header: Depth=1
	s_waitcnt lgkmcnt(0)
	v_sub_u32_e32 v24, 0, v14
	v_max_i32_e32 v24, v14, v24
	v_mul_hi_u32 v25, v24, s33
	v_mul_lo_u32 v26, v25, s25
	v_sub_u32_e32 v24, v24, v26
	v_add_u32_e32 v26, 1, v25
	v_cmp_le_u32_e64 s[4:5], s25, v24
	v_cndmask_b32_e64 v25, v25, v26, s[4:5]
	v_subrev_u32_e32 v26, s25, v24
	v_cndmask_b32_e64 v24, v24, v26, s[4:5]
	v_ashrrev_i32_e32 v23, 31, v14
	v_add_u32_e32 v26, 1, v25
	v_cmp_le_u32_e64 s[4:5], s25, v24
	v_xor_b32_e32 v23, s19, v23
	v_cndmask_b32_e64 v24, v25, v26, s[4:5]
	v_xor_b32_e32 v24, v24, v23
	v_sub_u32_e32 v23, v24, v23
	v_add_u32_e32 v24, s46, v23
	v_sub_u32_e32 v26, 0, v24
	v_ashrrev_i32_e32 v25, 31, v24
	v_max_i32_e32 v24, v24, v26
	v_mul_hi_u32 v26, v24, v13
	v_mul_lo_u32 v26, v26, s15
	v_sub_u32_e32 v24, v24, v26
	v_subrev_u32_e32 v26, s15, v24
	v_cmp_le_u32_e64 s[4:5], s15, v24
	v_cndmask_b32_e64 v24, v24, v26, s[4:5]
	v_subrev_u32_e32 v26, s15, v24
	v_cmp_le_u32_e64 s[4:5], s15, v24
	v_cndmask_b32_e64 v24, v24, v26, s[4:5]
	v_xor_b32_e32 v24, v24, v25
	v_sub_u32_e32 v24, v24, v25
	v_cmp_ne_u32_e64 s[4:5], 0, v24
	v_cmp_ge_i32_e64 s[10:11], s50, v23
	s_and_b64 s[4:5], s[4:5], s[10:11]
	s_and_b64 s[44:45], vcc, s[4:5]
	s_and_saveexec_b64 s[10:11], s[44:45]
	s_cbranch_execz .LBB95_16
; %bb.15:                               ;   in Loop: Header=BB95_14 Depth=1
	ds_write_b32 v15, v17
.LBB95_16:                              ;   in Loop: Header=BB95_14 Depth=1
	s_or_b64 exec, exec, s[10:11]
	s_xor_b64 s[4:5], s[4:5], -1
	s_and_saveexec_b64 s[10:11], s[4:5]
	s_cbranch_execz .LBB95_13
; %bb.17:                               ;   in Loop: Header=BB95_14 Depth=1
	global_load_dword v23, v[2:3], off
	s_waitcnt vmcnt(0)
	v_mad_i64_i32 v[24:25], s[4:5], v23, s51, 0
	v_lshlrev_b64 v[24:25], 1, v[24:25]
	v_add_co_u32_e64 v30, s[4:5], v7, v24
	v_addc_co_u32_e64 v31, s[4:5], v8, v25, s[4:5]
	global_load_dword v29, v[30:31], off
	global_load_dword v32, v[30:31], off offset:256
	global_load_dword v33, v[30:31], off offset:512
	;; [unrolled: 1-line block ×12, first 2 shown]
	ds_read_b32 v40, v9
	global_load_dword v24, v[30:31], off offset:3328
	global_load_dword v23, v[30:31], off offset:3584
	v_cmp_lt_i32_e64 s[4:5], v20, v19
	v_cndmask_b32_e64 v30, v18, v20, s[4:5]
	v_lshlrev_b32_e32 v30, 2, v30
	s_waitcnt lgkmcnt(0)
	v_lshrrev_b32_e32 v31, 16, v40
	v_and_b32_e32 v40, 0xffff, v40
	;;#ASMSTART
	v_cvt_f32_f16 v40, v40;
	;;#ASMEND
	;;#ASMSTART
	v_cvt_f32_f16 v31, v31;
	;;#ASMEND
	v_cmp_lt_i32_e64 s[4:5], v21, v19
	s_waitcnt vmcnt(14)
	v_lshrrev_b32_e32 v41, 16, v29
	v_and_b32_e32 v29, 0xffff, v29
	;;#ASMSTART
	v_cvt_f32_f16 v29, v29;
	;;#ASMEND
	;;#ASMSTART
	v_cvt_f32_f16 v41, v41;
	;;#ASMEND
	ds_read_b32 v42, v9 offset:4
	s_waitcnt vmcnt(13)
	v_lshrrev_b32_e32 v43, 16, v32
	v_and_b32_e32 v32, 0xffff, v32
	s_waitcnt vmcnt(12)
	v_lshrrev_b32_e32 v44, 16, v33
	v_and_b32_e32 v33, 0xffff, v33
	s_waitcnt lgkmcnt(0)
	v_lshrrev_b32_e32 v45, 16, v42
	v_and_b32_e32 v42, 0xffff, v42
	;;#ASMSTART
	v_cvt_f32_f16 v42, v42;
	;;#ASMEND
	;;#ASMSTART
	v_cvt_f32_f16 v45, v45;
	;;#ASMEND
	;;#ASMSTART
	v_cvt_f32_f16 v32, v32;
	;;#ASMEND
	;;#ASMSTART
	v_cvt_f32_f16 v43, v43;
	;;#ASMEND
	ds_read_b32 v46, v9 offset:8
	s_waitcnt vmcnt(11)
	v_lshrrev_b32_e32 v47, 16, v34
	v_and_b32_e32 v34, 0xffff, v34
	s_waitcnt vmcnt(10)
	v_lshrrev_b32_e32 v48, 16, v35
	v_and_b32_e32 v35, 0xffff, v35
	s_waitcnt lgkmcnt(0)
	v_lshrrev_b32_e32 v49, 16, v46
	v_and_b32_e32 v46, 0xffff, v46
	;;#ASMSTART
	v_cvt_f32_f16 v46, v46;
	;;#ASMEND
	;;#ASMSTART
	v_cvt_f32_f16 v49, v49;
	;;#ASMEND
	;; [unrolled: 22-line block ×3, first 2 shown]
	;;#ASMSTART
	v_cvt_f32_f16 v34, v34;
	;;#ASMEND
	;;#ASMSTART
	v_cvt_f32_f16 v47, v47;
	;;#ASMEND
	ds_read_b32 v54, v9 offset:16
	s_waitcnt vmcnt(7)
	v_lshrrev_b32_e32 v55, 16, v38
	v_and_b32_e32 v38, 0xffff, v38
	v_mul_f32_e32 v32, v42, v32
	v_mul_f32_e32 v42, v45, v43
	s_waitcnt lgkmcnt(0)
	v_lshrrev_b32_e32 v57, 16, v54
	v_and_b32_e32 v54, 0xffff, v54
	;;#ASMSTART
	v_cvt_f32_f16 v54, v54;
	;;#ASMEND
	;;#ASMSTART
	v_cvt_f32_f16 v57, v57;
	;;#ASMEND
	;; [unrolled: 3-line block ×4, first 2 shown]
	ds_read_b32 v58, v9 offset:20
	s_waitcnt vmcnt(6)
	v_lshrrev_b32_e32 v56, 16, v39
	v_and_b32_e32 v39, 0xffff, v39
	v_fmac_f32_e32 v32, v40, v29
	v_fmac_f32_e32 v42, v31, v41
	s_waitcnt lgkmcnt(0)
	v_lshrrev_b32_e32 v61, 16, v58
	v_and_b32_e32 v58, 0xffff, v58
	;;#ASMSTART
	v_cvt_f32_f16 v58, v58;
	;;#ASMEND
	;;#ASMSTART
	v_cvt_f32_f16 v61, v61;
	;;#ASMEND
	;; [unrolled: 3-line block ×4, first 2 shown]
	ds_read_b32 v62, v9 offset:24
	v_fmac_f32_e32 v32, v46, v33
	s_waitcnt vmcnt(5)
	v_lshrrev_b32_e32 v59, 16, v28
	v_and_b32_e32 v28, 0xffff, v28
	v_fmac_f32_e32 v32, v50, v34
	s_waitcnt lgkmcnt(0)
	v_lshrrev_b32_e32 v65, 16, v62
	v_and_b32_e32 v62, 0xffff, v62
	;;#ASMSTART
	v_cvt_f32_f16 v62, v62;
	;;#ASMEND
	;;#ASMSTART
	v_cvt_f32_f16 v65, v65;
	;;#ASMEND
	;; [unrolled: 3-line block ×4, first 2 shown]
	ds_read_b32 v66, v9 offset:28
	v_fmac_f32_e32 v32, v54, v35
	s_waitcnt vmcnt(4)
	v_lshrrev_b32_e32 v60, 16, v27
	v_and_b32_e32 v27, 0xffff, v27
	v_fmac_f32_e32 v32, v58, v36
	s_waitcnt lgkmcnt(0)
	v_lshrrev_b32_e32 v69, 16, v66
	v_and_b32_e32 v66, 0xffff, v66
	;;#ASMSTART
	v_cvt_f32_f16 v66, v66;
	;;#ASMEND
	;;#ASMSTART
	v_cvt_f32_f16 v69, v69;
	;;#ASMEND
	;; [unrolled: 3-line block ×4, first 2 shown]
	ds_read_b32 v70, v9 offset:32
	v_fmac_f32_e32 v42, v49, v44
	v_fmac_f32_e32 v32, v62, v37
	s_waitcnt vmcnt(3)
	v_lshrrev_b32_e32 v63, 16, v26
	v_and_b32_e32 v26, 0xffff, v26
	s_waitcnt lgkmcnt(0)
	v_lshrrev_b32_e32 v29, 16, v70
	v_and_b32_e32 v31, 0xffff, v70
	;;#ASMSTART
	v_cvt_f32_f16 v31, v31;
	;;#ASMEND
	;;#ASMSTART
	v_cvt_f32_f16 v29, v29;
	;;#ASMEND
	;; [unrolled: 3-line block ×4, first 2 shown]
	ds_read_b32 v41, v9 offset:36
	v_fmac_f32_e32 v32, v66, v38
	v_fmac_f32_e32 v42, v53, v47
	;; [unrolled: 1-line block ×4, first 2 shown]
	s_waitcnt lgkmcnt(0)
	v_lshrrev_b32_e32 v33, 16, v41
	v_and_b32_e32 v34, 0xffff, v41
	;;#ASMSTART
	v_cvt_f32_f16 v34, v34;
	;;#ASMEND
	;;#ASMSTART
	v_cvt_f32_f16 v33, v33;
	;;#ASMEND
	;;#ASMSTART
	v_cvt_f32_f16 v28, v28;
	;;#ASMEND
	;;#ASMSTART
	v_cvt_f32_f16 v41, v59;
	;;#ASMEND
	ds_read_b32 v43, v9 offset:40
	v_fmac_f32_e32 v42, v65, v52
	v_fmac_f32_e32 v42, v69, v55
	v_fmac_f32_e32 v32, v31, v39
	s_waitcnt vmcnt(2)
	v_lshrrev_b32_e32 v64, 16, v25
	s_waitcnt lgkmcnt(0)
	v_lshrrev_b32_e32 v35, 16, v43
	v_and_b32_e32 v36, 0xffff, v43
	;;#ASMSTART
	v_cvt_f32_f16 v36, v36;
	;;#ASMEND
	;;#ASMSTART
	v_cvt_f32_f16 v35, v35;
	;;#ASMEND
	;; [unrolled: 3-line block ×4, first 2 shown]
	ds_read_b32 v44, v9 offset:44
	v_and_b32_e32 v25, 0xffff, v25
	v_fmac_f32_e32 v42, v29, v40
	v_fmac_f32_e32 v32, v34, v28
	;; [unrolled: 1-line block ×3, first 2 shown]
	s_waitcnt lgkmcnt(0)
	v_lshrrev_b32_e32 v37, 16, v44
	v_and_b32_e32 v38, 0xffff, v44
	;;#ASMSTART
	v_cvt_f32_f16 v38, v38;
	;;#ASMEND
	;;#ASMSTART
	v_cvt_f32_f16 v37, v37;
	;;#ASMEND
	;; [unrolled: 3-line block ×4, first 2 shown]
	ds_read_b32 v45, v9 offset:48
	v_fmac_f32_e32 v32, v36, v27
	s_waitcnt vmcnt(1)
	v_lshrrev_b32_e32 v67, 16, v24
	v_and_b32_e32 v24, 0xffff, v24
	v_fmac_f32_e32 v32, v38, v26
	s_waitcnt lgkmcnt(0)
	v_lshrrev_b32_e32 v28, 16, v45
	v_and_b32_e32 v29, 0xffff, v45
	;;#ASMSTART
	v_cvt_f32_f16 v29, v29;
	;;#ASMEND
	;;#ASMSTART
	v_cvt_f32_f16 v28, v28;
	;;#ASMEND
	;; [unrolled: 3-line block ×4, first 2 shown]
	ds_read_b32 v33, v9 offset:52
	v_fmac_f32_e32 v42, v35, v43
	v_fmac_f32_e32 v42, v37, v44
	;; [unrolled: 1-line block ×4, first 2 shown]
	s_waitcnt lgkmcnt(0)
	v_lshrrev_b32_e32 v26, 16, v33
	v_and_b32_e32 v27, 0xffff, v33
	;;#ASMSTART
	v_cvt_f32_f16 v27, v27;
	;;#ASMEND
	;;#ASMSTART
	v_cvt_f32_f16 v26, v26;
	;;#ASMEND
	;; [unrolled: 3-line block ×4, first 2 shown]
	ds_read_b32 v34, v9 offset:56
	s_waitcnt vmcnt(0)
	v_lshrrev_b32_e32 v68, 16, v23
	v_and_b32_e32 v23, 0xffff, v23
	v_fmac_f32_e32 v32, v27, v24
	v_fmac_f32_e32 v42, v26, v33
	s_waitcnt lgkmcnt(0)
	v_lshrrev_b32_e32 v24, 16, v34
	v_and_b32_e32 v25, 0xffff, v34
	;;#ASMSTART
	v_cvt_f32_f16 v25, v25;
	;;#ASMEND
	;;#ASMSTART
	v_cvt_f32_f16 v24, v24;
	;;#ASMEND
	;; [unrolled: 3-line block ×4, first 2 shown]
	v_fmac_f32_e32 v32, v25, v23
	v_fmac_f32_e32 v42, v24, v26
	v_add_f32_e32 v23, v32, v42
	ds_bpermute_b32 v24, v30, v23
	v_cndmask_b32_e64 v25, v18, v21, s[4:5]
	s_waitcnt lgkmcnt(0)
	v_add_f32_e32 v23, v23, v24
	v_lshlrev_b32_e32 v24, 2, v25
	ds_bpermute_b32 v24, v24, v23
	s_and_saveexec_b64 s[44:45], vcc
	s_cbranch_execz .LBB95_12
; %bb.18:                               ;   in Loop: Header=BB95_14 Depth=1
	v_add_u32_e32 v25, v16, v14
	v_cvt_f32_i32_e32 v25, v25
	s_waitcnt lgkmcnt(0)
	v_add_f32_e32 v23, v23, v24
	v_add_u32_e32 v26, v5, v14
	v_cmp_gt_i32_e64 s[4:5], s29, v26
	v_mul_f32_e32 v24, s49, v25
	v_cndmask_b32_e64 v24, 0, v24, s[2:3]
	v_fmac_f32_e32 v24, s39, v23
	v_cndmask_b32_e64 v23, 0, v24, s[4:5]
	ds_write_b32 v15, v23
	v_max_f32_e32 v23, v12, v12
	v_max_f32_e32 v23, v23, v24
	v_cndmask_b32_e64 v12, v12, v23, s[4:5]
	s_branch .LBB95_12
.LBB95_19:
	s_or_b64 exec, exec, s[42:43]
.LBB95_20:
	s_or_b64 exec, exec, s[40:41]
	v_mbcnt_hi_u32_b32 v2, -1, v4
	v_and_b32_e32 v3, 64, v2
	v_add_u32_e32 v3, 64, v3
	v_xor_b32_e32 v4, 32, v2
	v_cmp_lt_i32_e32 vcc, v4, v3
	v_cndmask_b32_e32 v4, v2, v4, vcc
	v_lshlrev_b32_e32 v7, 2, v4
	ds_bpermute_b32 v4, v7, v12
	v_xor_b32_e32 v8, 16, v2
	v_max_f32_e32 v5, v12, v12
	v_cmp_lt_i32_e32 vcc, v8, v3
	v_xor_b32_e32 v9, 8, v2
	s_waitcnt lgkmcnt(0)
	v_max_f32_e32 v4, v4, v4
	v_max_f32_e32 v4, v5, v4
	v_cndmask_b32_e32 v5, v2, v8, vcc
	v_lshlrev_b32_e32 v8, 2, v5
	ds_bpermute_b32 v5, v8, v4
	v_cmp_lt_i32_e32 vcc, v9, v3
	s_waitcnt lgkmcnt(0)
	v_max_f32_e32 v5, v5, v5
	v_max_f32_e32 v4, v4, v5
	v_cndmask_b32_e32 v5, v2, v9, vcc
	v_lshlrev_b32_e32 v13, 2, v5
	ds_bpermute_b32 v5, v13, v4
	v_xor_b32_e32 v9, 4, v2
	v_cmp_lt_i32_e32 vcc, v9, v3
	s_waitcnt lgkmcnt(0)
	v_max_f32_e32 v5, v5, v5
	v_max_f32_e32 v5, v4, v5
	v_cndmask_b32_e32 v4, v2, v9, vcc
	v_lshlrev_b32_e32 v14, 2, v4
	ds_bpermute_b32 v12, v14, v5
	v_and_b32_e32 v4, 63, v0
	v_cmp_eq_u32_e32 vcc, 0, v4
	v_lshlrev_b32_e32 v9, 2, v6
	s_and_saveexec_b64 s[2:3], vcc
	s_cbranch_execz .LBB95_22
; %bb.21:
	s_waitcnt lgkmcnt(0)
	v_max_f32_e32 v12, v12, v12
	v_max_f32_e32 v5, v5, v5
	;; [unrolled: 1-line block ×3, first 2 shown]
	ds_write_b32 v9, v5 offset:240
.LBB95_22:
	s_or_b64 exec, exec, s[2:3]
	v_cmp_gt_u32_e64 s[2:3], 2, v4
	v_mov_b32_e32 v5, 0xff7fffff
	s_waitcnt lgkmcnt(0)
	v_lshlrev_b32_e32 v12, 2, v4
	s_barrier
	s_and_saveexec_b64 s[4:5], s[2:3]
	s_cbranch_execz .LBB95_24
; %bb.23:
	ds_read_b32 v5, v12 offset:240
.LBB95_24:
	s_or_b64 exec, exec, s[4:5]
	v_xor_b32_e32 v15, 1, v2
	v_cmp_lt_i32_e64 s[4:5], v15, v3
	v_cndmask_b32_e64 v15, v2, v15, s[4:5]
	v_lshlrev_b32_e32 v16, 2, v15
	s_waitcnt lgkmcnt(0)
	ds_bpermute_b32 v15, v16, v5
	v_max_f32_e32 v5, v5, v5
	s_sub_i32 s4, s47, s38
	s_lshl_b32 s4, s4, 4
	s_add_i32 s4, s4, s48
	s_waitcnt lgkmcnt(0)
	v_max_f32_e32 v15, v15, v15
	v_max_f32_e32 v5, v5, v15
	v_lshlrev_b32_e32 v15, 2, v2
	v_and_b32_e32 v15, 0x100, v15
	ds_bpermute_b32 v5, v15, v5
	s_min_i32 s42, s4, s29
	s_sub_i32 s15, s42, s48
	v_cmp_gt_i32_e64 s[4:5], s15, v0
	v_mov_b32_e32 v17, 0
	s_and_saveexec_b64 s[38:39], s[4:5]
	s_cbranch_execz .LBB95_28
; %bb.25:
	v_mov_b32_e32 v17, 0x100
	v_lshl_add_u32 v18, v0, 2, v17
	s_mov_b64 s[40:41], 0
	v_mov_b32_e32 v17, 0
	v_mov_b32_e32 v19, v0
.LBB95_26:                              ; =>This Inner Loop Header: Depth=1
	ds_read_b32 v20, v18
	v_add_u32_e32 v19, 0x80, v19
	v_cmp_le_i32_e64 s[10:11], s15, v19
	s_or_b64 s[40:41], s[10:11], s[40:41]
	s_waitcnt lgkmcnt(0)
	v_sub_f32_e32 v20, v20, v5
	v_mul_f32_e32 v20, 0x3fb8aa3b, v20
	v_exp_f32_e32 v20, v20
	ds_write_b32 v18, v20
	v_add_f32_e32 v17, v17, v20
	v_add_u32_e32 v18, 0x200, v18
	s_andn2_b64 exec, exec, s[40:41]
	s_cbranch_execnz .LBB95_26
; %bb.27:
	s_or_b64 exec, exec, s[40:41]
.LBB95_28:
	s_or_b64 exec, exec, s[38:39]
	ds_bpermute_b32 v7, v7, v17
	s_waitcnt lgkmcnt(0)
	v_add_f32_e32 v7, v17, v7
	ds_bpermute_b32 v8, v8, v7
	s_waitcnt lgkmcnt(0)
	v_add_f32_e32 v7, v7, v8
	ds_bpermute_b32 v8, v13, v7
	v_xor_b32_e32 v13, 2, v2
	v_cmp_lt_i32_e64 s[10:11], v13, v3
	v_cndmask_b32_e64 v2, v2, v13, s[10:11]
	v_lshlrev_b32_e32 v2, 2, v2
	s_waitcnt lgkmcnt(0)
	v_add_f32_e32 v7, v7, v8
	ds_bpermute_b32 v8, v14, v7
	s_waitcnt lgkmcnt(0)
	v_add_f32_e32 v3, v7, v8
	ds_bpermute_b32 v2, v2, v3
	;; [unrolled: 3-line block ×3, first 2 shown]
	s_waitcnt lgkmcnt(0)
	v_add_f32_e32 v2, v2, v3
	s_and_saveexec_b64 s[10:11], vcc
	s_cbranch_execz .LBB95_30
; %bb.29:
	ds_write_b32 v9, v2 offset:248
.LBB95_30:
	s_or_b64 exec, exec, s[10:11]
	s_waitcnt lgkmcnt(0)
	s_barrier
	s_and_saveexec_b64 s[10:11], s[2:3]
	s_cbranch_execz .LBB95_32
; %bb.31:
	ds_read_b32 v2, v12 offset:248
.LBB95_32:
	s_or_b64 exec, exec, s[10:11]
	s_waitcnt lgkmcnt(0)
	ds_bpermute_b32 v3, v16, v2
	s_waitcnt lgkmcnt(0)
	v_add_f32_e32 v2, v2, v3
	ds_bpermute_b32 v7, v15, v2
	s_and_saveexec_b64 s[2:3], s[4:5]
	s_cbranch_execz .LBB95_45
; %bb.33:
	s_waitcnt lgkmcnt(0)
	v_add_f32_e32 v2, 0x358637bd, v7
	v_div_scale_f32 v3, s[4:5], v2, v2, 1.0
	v_rcp_f32_e32 v8, v3
	v_div_scale_f32 v9, vcc, 1.0, v2, 1.0
	s_movk_i32 s4, 0x7f
	v_fma_f32 v12, -v3, v8, 1.0
	v_fmac_f32_e32 v8, v12, v8
	v_mul_f32_e32 v12, v9, v8
	v_fma_f32 v13, -v3, v12, v9
	v_fmac_f32_e32 v12, v13, v8
	v_fma_f32 v3, -v3, v12, v9
	v_div_fmas_f32 v3, v3, v8, v12
	v_div_fixup_f32 v2, v3, v2, 1.0
	v_xad_u32 v3, v0, -1, s42
	v_subrev_u32_e32 v8, s48, v3
	v_cmp_lt_u32_e32 vcc, s4, v8
	s_mov_b64 s[10:11], -1
	v_mov_b32_e32 v3, v0
	s_and_saveexec_b64 s[4:5], vcc
	s_cbranch_execz .LBB95_42
; %bb.34:
	v_lshrrev_b32_e32 v8, 7, v8
	v_add_u32_e32 v12, -1, v8
	v_lshrrev_b32_e32 v9, 1, v12
	v_mov_b32_e32 v3, v2
	v_add_u32_e32 v9, 1, v9
	v_cmp_lt_u32_e32 vcc, 13, v12
	v_mov_b32_e32 v14, 0
	s_and_saveexec_b64 s[10:11], vcc
	s_cbranch_execz .LBB95_38
; %bb.35:
	v_mov_b32_e32 v13, 0x100
	v_and_b32_e32 v12, -8, v9
	v_lshl_add_u32 v13, v0, 2, v13
	s_mov_b32 s40, 0
	s_mov_b64 s[38:39], 0
.LBB95_36:                              ; =>This Inner Loop Header: Depth=1
	ds_read2st64_b32 v[14:15], v13 offset1:2
	ds_read2st64_b32 v[18:19], v13 offset0:4 offset1:6
	ds_read2st64_b32 v[20:21], v13 offset0:8 offset1:10
	;; [unrolled: 1-line block ×3, first 2 shown]
	v_add_u32_e32 v12, -8, v12
	s_waitcnt lgkmcnt(3)
	v_pk_mul_f32 v[14:15], v[2:3], v[14:15]
	s_waitcnt lgkmcnt(2)
	v_pk_mul_f32 v[18:19], v[2:3], v[18:19]
	ds_write2st64_b32 v13, v14, v15 offset1:2
	ds_write2st64_b32 v13, v18, v19 offset0:4 offset1:6
	ds_read2st64_b32 v[18:19], v13 offset0:16 offset1:18
	s_waitcnt lgkmcnt(4)
	v_pk_mul_f32 v[14:15], v[2:3], v[20:21]
	ds_write2st64_b32 v13, v14, v15 offset0:8 offset1:10
	s_waitcnt lgkmcnt(4)
	v_pk_mul_f32 v[14:15], v[2:3], v[22:23]
	ds_write2st64_b32 v13, v14, v15 offset0:12 offset1:14
	ds_read2st64_b32 v[14:15], v13 offset0:20 offset1:22
	s_waitcnt lgkmcnt(3)
	v_pk_mul_f32 v[18:19], v[2:3], v[18:19]
	ds_read2st64_b32 v[20:21], v13 offset0:24 offset1:26
	ds_write2st64_b32 v13, v18, v19 offset0:16 offset1:18
	ds_read2st64_b32 v[18:19], v13 offset0:28 offset1:30
	s_waitcnt lgkmcnt(3)
	v_pk_mul_f32 v[14:15], v[2:3], v[14:15]
	ds_write2st64_b32 v13, v14, v15 offset0:20 offset1:22
	s_waitcnt lgkmcnt(3)
	v_pk_mul_f32 v[14:15], v[2:3], v[20:21]
	ds_write2st64_b32 v13, v14, v15 offset0:24 offset1:26
	s_waitcnt lgkmcnt(2)
	v_pk_mul_f32 v[14:15], v[2:3], v[18:19]
	s_add_i32 s40, s40, 16
	v_cmp_eq_u32_e32 vcc, 0, v12
	ds_write2st64_b32 v13, v14, v15 offset0:28 offset1:30
	v_add_u32_e32 v13, 0x2000, v13
	s_or_b64 s[38:39], vcc, s[38:39]
	v_mov_b32_e32 v14, s40
	s_andn2_b64 exec, exec, s[38:39]
	s_cbranch_execnz .LBB95_36
; %bb.37:
	s_or_b64 exec, exec, s[38:39]
.LBB95_38:
	s_or_b64 exec, exec, s[10:11]
	v_and_b32_e32 v9, 7, v9
	v_cmp_ne_u32_e32 vcc, 0, v9
	s_and_saveexec_b64 s[10:11], vcc
	s_cbranch_execz .LBB95_41
; %bb.39:
	v_lshlrev_b32_e32 v12, 9, v14
	v_lshlrev_b32_e32 v13, 2, v0
	s_movk_i32 s38, 0x100
	v_add3_u32 v12, v12, v13, s38
	s_mov_b64 s[38:39], 0
.LBB95_40:                              ; =>This Inner Loop Header: Depth=1
	ds_read2st64_b32 v[14:15], v12 offset1:2
	v_add_u32_e32 v9, -1, v9
	v_cmp_eq_u32_e32 vcc, 0, v9
	s_or_b64 s[38:39], vcc, s[38:39]
	s_waitcnt lgkmcnt(0)
	v_pk_mul_f32 v[14:15], v[2:3], v[14:15]
	ds_write2st64_b32 v12, v14, v15 offset1:2
	v_add_u32_e32 v12, 0x400, v12
	s_andn2_b64 exec, exec, s[38:39]
	s_cbranch_execnz .LBB95_40
.LBB95_41:
	s_or_b64 exec, exec, s[10:11]
	v_add_u32_e32 v8, 1, v8
	v_and_b32_e32 v9, 0x3fffffe, v8
	v_cmp_ne_u32_e32 vcc, v8, v9
	v_lshl_add_u32 v3, v9, 7, v0
	s_orn2_b64 s[10:11], vcc, exec
.LBB95_42:
	s_or_b64 exec, exec, s[4:5]
	s_and_b64 exec, exec, s[10:11]
	s_cbranch_execz .LBB95_45
; %bb.43:
	v_mov_b32_e32 v8, 0x100
	v_lshl_add_u32 v8, v3, 2, v8
	s_mov_b64 s[4:5], 0
.LBB95_44:                              ; =>This Inner Loop Header: Depth=1
	ds_read_b32 v9, v8
	v_add_u32_e32 v3, 0x80, v3
	v_cmp_le_i32_e32 vcc, s15, v3
	s_or_b64 s[4:5], vcc, s[4:5]
	s_waitcnt lgkmcnt(0)
	v_mul_f32_e32 v9, v2, v9
	ds_write_b32 v8, v9
	v_add_u32_e32 v8, 0x200, v8
	s_andn2_b64 exec, exec, s[4:5]
	s_cbranch_execnz .LBB95_44
.LBB95_45:
	s_or_b64 exec, exec, s[2:3]
	s_mul_i32 s2, s16, s28
	v_cmp_eq_u32_e32 vcc, 0, v0
	s_mul_i32 s10, s2, s9
	s_waitcnt lgkmcnt(0)
	s_barrier
	s_and_saveexec_b64 s[2:3], vcc
	s_cbranch_execz .LBB95_47
; %bb.46:
	s_ashr_i32 s11, s10, 31
	s_lshl_b64 s[4:5], s[10:11], 2
	s_add_u32 s9, s22, s4
	s_mul_i32 s22, s16, s6
	s_addc_u32 s11, s23, s5
	s_ashr_i32 s23, s22, 31
	s_lshl_b64 s[22:23], s[22:23], 2
	s_add_u32 s6, s9, s22
	s_addc_u32 s11, s11, s23
	s_ashr_i32 s9, s8, 31
	s_lshl_b64 s[38:39], s[8:9], 2
	s_add_u32 s40, s6, s38
	s_addc_u32 s41, s11, s39
	s_add_u32 s4, s20, s4
	s_addc_u32 s5, s21, s5
	;; [unrolled: 2-line block ×3, first 2 shown]
	s_add_u32 s4, s4, s38
	v_mov_b32_e32 v2, 0
	s_addc_u32 s5, s5, s39
	global_store_dword v2, v5, s[40:41]
	global_store_dword v2, v7, s[4:5]
.LBB95_47:
	s_or_b64 exec, exec, s[2:3]
	s_mov_b32 s4, 0
	v_mov_b32_e32 v5, 0
	v_lshrrev_b32_e32 v18, 1, v4
	v_and_b32_e32 v17, 1, v0
	v_mov_b32_e32 v4, 0
	v_mov_b32_e32 v3, 0
	;; [unrolled: 1-line block ×3, first 2 shown]
	s_and_saveexec_b64 s[20:21], s[0:1]
	s_cbranch_execz .LBB95_63
; %bb.48:
	s_ashr_i32 s15, s14, 31
	s_sub_i32 s9, s12, s17
	s_lshl_b64 s[0:1], s[14:15], 1
	s_add_u32 s14, s36, s0
	s_addc_u32 s15, s37, s1
	s_abs_i32 s18, s18
	v_cvt_f32_u32_e32 v3, s18
	v_lshlrev_b32_e32 v2, 3, v0
	v_and_b32_e32 v19, 8, v2
	v_or_b32_e32 v2, 0x60, v18
	s_movk_i32 s0, 0x78
	v_cmp_gt_u32_e32 vcc, s0, v2
	v_lshl_or_b32 v14, v2, 4, v19
	v_rcp_iflag_f32_e32 v2, v3
	s_sub_i32 s0, 0, s18
	s_add_i32 s17, s7, -1
	s_mov_b32 s5, s4
	v_mul_f32_e32 v2, 0x4f7ffffe, v2
	v_cvt_u32_f32_e32 v2, v2
	v_lshl_or_b32 v8, v18, 4, v19
	s_mov_b32 s6, s4
	s_mov_b32 s7, s4
	v_mul_lo_u32 v3, s0, v2
	s_lshl_b64 s[0:1], s[34:35], 2
	v_mul_hi_u32 v3, v2, v3
	s_add_u32 s0, s30, s0
	v_add_u32_e32 v20, v2, v3
	v_lshlrev_b64 v[2:3], 2, v[10:11]
	s_addc_u32 s1, s31, s1
	v_mov_b32_e32 v4, s1
	v_add_co_u32_e64 v12, s[0:1], s0, v2
	v_lshlrev_b32_e32 v2, 5, v17
	v_lshl_or_b32 v2, v6, 6, v2
	v_addc_co_u32_e64 v13, s[0:1], v4, v3, s[0:1]
	v_add_u32_e32 v11, 0x100, v2
	v_pk_mov_b32 v[2:3], s[4:5], s[4:5] op_sel:[0,1]
	s_mov_b32 s11, s13
	s_mov_b32 s22, s29
	;; [unrolled: 1-line block ×8, first 2 shown]
	s_mov_b64 s[12:13], 0
	v_pk_mov_b32 v[4:5], s[6:7], s[6:7] op_sel:[0,1]
	v_lshlrev_b32_e32 v21, 1, v8
	s_mov_b32 s30, 0x5040100
	v_lshlrev_b32_e32 v22, 1, v14
	s_branch .LBB95_52
.LBB95_49:                              ;   in Loop: Header=BB95_52 Depth=1
	s_or_b64 exec, exec, s[2:3]
	s_waitcnt vmcnt(0)
	;;#ASMSTART
	v_pk_mul_f16 v6, v29, v6;

	;;#ASMEND
	;;#ASMSTART
	v_pk_mul_f16 v7, v28, v7;

	;;#ASMEND
	;; [unrolled: 4-line block ×4, first 2 shown]
	;;#ASMSTART
	v_pk_add_f16 v6, v6, v7;

	;;#ASMEND
	;;#ASMSTART
	v_pk_add_f16 v6, v6, v8;

	;;#ASMEND
	;; [unrolled: 4-line block ×3, first 2 shown]
	v_lshrrev_b32_e32 v7, 16, v6
	v_and_b32_e32 v6, 0xffff, v6
	;;#ASMSTART
	v_cvt_f32_f16 v6, v6;
	;;#ASMEND
	;;#ASMSTART
	v_cvt_f32_f16 v7, v7;
	;;#ASMEND
	v_add_f32_e32 v6, v6, v7
	v_add_f32_e32 v5, v5, v6
.LBB95_50:                              ;   in Loop: Header=BB95_52 Depth=1
	s_or_b64 exec, exec, s[6:7]
.LBB95_51:                              ;   in Loop: Header=BB95_52 Depth=1
	s_or_b64 exec, exec, s[4:5]
	v_add_co_u32_e64 v12, s[0:1], 8, v12
	v_add_u32_e32 v10, 2, v10
	v_addc_co_u32_e64 v13, s[0:1], 0, v13, s[0:1]
	v_cmp_le_i32_e64 s[0:1], s47, v10
	v_add_u32_e32 v1, 32, v1
	s_or_b64 s[12:13], s[0:1], s[12:13]
	v_add_u32_e32 v11, 0x80, v11
	s_andn2_b64 exec, exec, s[12:13]
	s_cbranch_execz .LBB95_62
.LBB95_52:                              ; =>This Inner Loop Header: Depth=1
	v_sub_u32_e32 v7, 0, v1
	v_max_i32_e32 v7, v1, v7
	v_mul_hi_u32 v8, v7, s33
	v_mul_lo_u32 v9, v8, s25
	v_sub_u32_e32 v7, v7, v9
	v_add_u32_e32 v9, 1, v8
	v_cmp_le_u32_e64 s[0:1], s25, v7
	v_cndmask_b32_e64 v8, v8, v9, s[0:1]
	v_subrev_u32_e32 v9, s25, v7
	v_cndmask_b32_e64 v7, v7, v9, s[0:1]
	v_ashrrev_i32_e32 v6, 31, v1
	v_add_u32_e32 v9, 1, v8
	v_cmp_le_u32_e64 s[0:1], s25, v7
	v_xor_b32_e32 v6, s19, v6
	v_cndmask_b32_e64 v7, v8, v9, s[0:1]
	v_xor_b32_e32 v7, v7, v6
	v_sub_u32_e32 v6, v7, v6
	v_add_u32_e32 v7, s46, v6
	v_sub_u32_e32 v9, 0, v7
	v_ashrrev_i32_e32 v8, 31, v7
	v_max_i32_e32 v7, v7, v9
	v_mul_hi_u32 v9, v7, v20
	v_mul_lo_u32 v9, v9, s18
	v_sub_u32_e32 v7, v7, v9
	v_subrev_u32_e32 v9, s18, v7
	v_cmp_le_u32_e64 s[0:1], s18, v7
	v_cndmask_b32_e64 v7, v7, v9, s[0:1]
	v_subrev_u32_e32 v9, s18, v7
	v_cmp_le_u32_e64 s[0:1], s18, v7
	v_cndmask_b32_e64 v7, v7, v9, s[0:1]
	v_xor_b32_e32 v7, v7, v8
	v_sub_u32_e32 v7, v7, v8
	v_cmp_eq_u32_e64 s[0:1], 0, v7
	v_cmp_lt_i32_e64 s[2:3], s9, v6
	s_or_b64 s[0:1], s[0:1], s[2:3]
	s_and_saveexec_b64 s[4:5], s[0:1]
	s_cbranch_execz .LBB95_51
; %bb.53:                               ;   in Loop: Header=BB95_52 Depth=1
	global_load_dword v14, v[12:13], off
	ds_read2_b64 v[6:9], v11 offset1:1
	ds_read2_b64 v[32:35], v11 offset0:2 offset1:3
	v_mov_b32_e32 v15, s15
	v_add_u32_e32 v23, v19, v1
	s_waitcnt lgkmcnt(1)
	;;#ASMSTART
	v_cvt_f16_f32 v26, v6;

	;;#ASMEND
	;;#ASMSTART
	v_cvt_f16_f32 v27, v7;

	;;#ASMEND
	;; [unrolled: 4-line block ×4, first 2 shown]
	s_waitcnt lgkmcnt(0)
	;;#ASMSTART
	v_cvt_f16_f32 v31, v32;

	;;#ASMEND
	;;#ASMSTART
	v_cvt_f16_f32 v32, v33;

	;;#ASMEND
	;; [unrolled: 4-line block ×4, first 2 shown]
	s_waitcnt vmcnt(0)
	v_mad_i64_i32 v[6:7], s[0:1], v14, s11, 0
	v_lshlrev_b64 v[6:7], 1, v[6:7]
	v_add_co_u32_e64 v24, s[0:1], s14, v6
	v_addc_co_u32_e64 v25, s[0:1], v15, v7, s[0:1]
	v_add_co_u32_e64 v14, s[0:1], v24, v21
	v_addc_co_u32_e64 v15, s[0:1], 0, v25, s[0:1]
	global_load_dwordx4 v[6:9], v[14:15], off
	v_cmp_eq_u32_e64 s[0:1], s17, v10
	s_and_saveexec_b64 s[6:7], s[0:1]
	s_cbranch_execz .LBB95_55
; %bb.54:                               ;   in Loop: Header=BB95_52 Depth=1
	v_or_b32_e32 v39, 7, v23
	v_or_b32_e32 v40, 6, v23
	s_waitcnt vmcnt(0)
	v_lshrrev_b32_e32 v41, 16, v9
	v_cmp_gt_i32_e64 s[2:3], s39, v39
	v_cndmask_b32_e64 v39, 0, v41, s[2:3]
	v_cmp_gt_i32_e64 s[2:3], s38, v40
	v_or_b32_e32 v37, 5, v23
	v_cndmask_b32_e64 v9, 0, v9, s[2:3]
	v_or_b32_e32 v38, 4, v23
	v_perm_b32 v9, v39, v9, s30
	v_lshrrev_b32_e32 v39, 16, v8
	v_cmp_gt_i32_e64 s[2:3], s37, v37
	v_cndmask_b32_e64 v37, 0, v39, s[2:3]
	v_cmp_gt_i32_e64 s[2:3], s36, v38
	v_or_b32_e32 v35, 3, v23
	v_cndmask_b32_e64 v8, 0, v8, s[2:3]
	v_or_b32_e32 v36, 2, v23
	v_perm_b32 v8, v37, v8, s30
	v_lshrrev_b32_e32 v37, 16, v7
	v_cmp_gt_i32_e64 s[2:3], s28, v35
	v_cndmask_b32_e64 v35, 0, v37, s[2:3]
	v_cmp_gt_i32_e64 s[2:3], s23, v36
	v_add_u32_e32 v29, 1, v23
	v_cndmask_b32_e64 v7, 0, v7, s[2:3]
	v_perm_b32 v7, v35, v7, s30
	v_lshrrev_b32_e32 v35, 16, v6
	v_cmp_gt_i32_e64 s[2:3], s22, v29
	v_cndmask_b32_e64 v29, 0, v35, s[2:3]
	v_cmp_gt_i32_e64 s[2:3], s29, v23
	v_cndmask_b32_e64 v6, 0, v6, s[2:3]
	v_perm_b32 v6, v29, v6, s30
.LBB95_55:                              ;   in Loop: Header=BB95_52 Depth=1
	s_or_b64 exec, exec, s[6:7]
	v_and_b32_e32 v26, 0xffff, v26
	v_lshl_or_b32 v29, v27, 16, v26
	v_and_b32_e32 v26, 0xffff, v28
	v_lshl_or_b32 v28, v30, 16, v26
	;; [unrolled: 2-line block ×3, first 2 shown]
	v_and_b32_e32 v26, 0xffff, v33
	s_waitcnt vmcnt(0)
	;;#ASMSTART
	v_pk_mul_f16 v6, v29, v6;

	;;#ASMEND
	v_lshl_or_b32 v26, v34, 16, v26
	;;#ASMSTART
	v_pk_mul_f16 v7, v28, v7;

	;;#ASMEND
	;;#ASMSTART
	v_pk_mul_f16 v8, v27, v8;

	;;#ASMEND
	;; [unrolled: 4-line block ×3, first 2 shown]
	;;#ASMSTART
	v_pk_add_f16 v6, v6, v7;

	;;#ASMEND
	;;#ASMSTART
	v_pk_add_f16 v6, v6, v8;

	;;#ASMEND
	;; [unrolled: 4-line block ×3, first 2 shown]
	v_lshrrev_b32_e32 v7, 16, v6
	v_and_b32_e32 v6, 0xffff, v6
	;;#ASMSTART
	v_cvt_f32_f16 v30, v6;
	;;#ASMEND
	;;#ASMSTART
	v_cvt_f32_f16 v31, v7;
	;;#ASMEND
	global_load_dwordx4 v[6:9], v[14:15], off offset:1024
	s_and_saveexec_b64 s[6:7], s[0:1]
	s_cbranch_execz .LBB95_57
; %bb.56:                               ;   in Loop: Header=BB95_52 Depth=1
	v_or_b32_e32 v37, 7, v23
	v_or_b32_e32 v38, 6, v23
	s_waitcnt vmcnt(0)
	v_lshrrev_b32_e32 v39, 16, v9
	v_cmp_gt_i32_e64 s[2:3], s39, v37
	v_cndmask_b32_e64 v37, 0, v39, s[2:3]
	v_cmp_gt_i32_e64 s[2:3], s38, v38
	v_or_b32_e32 v35, 5, v23
	v_cndmask_b32_e64 v9, 0, v9, s[2:3]
	v_or_b32_e32 v36, 4, v23
	v_perm_b32 v9, v37, v9, s30
	v_lshrrev_b32_e32 v37, 16, v8
	v_cmp_gt_i32_e64 s[2:3], s37, v35
	v_cndmask_b32_e64 v35, 0, v37, s[2:3]
	v_cmp_gt_i32_e64 s[2:3], s36, v36
	v_or_b32_e32 v33, 3, v23
	v_cndmask_b32_e64 v8, 0, v8, s[2:3]
	v_or_b32_e32 v34, 2, v23
	v_perm_b32 v8, v35, v8, s30
	v_lshrrev_b32_e32 v35, 16, v7
	v_cmp_gt_i32_e64 s[2:3], s28, v33
	v_cndmask_b32_e64 v33, 0, v35, s[2:3]
	v_cmp_gt_i32_e64 s[2:3], s23, v34
	v_add_u32_e32 v32, 1, v23
	v_cndmask_b32_e64 v7, 0, v7, s[2:3]
	v_perm_b32 v7, v33, v7, s30
	v_lshrrev_b32_e32 v33, 16, v6
	v_cmp_gt_i32_e64 s[2:3], s22, v32
	v_cndmask_b32_e64 v32, 0, v33, s[2:3]
	v_cmp_gt_i32_e64 s[2:3], s29, v23
	v_cndmask_b32_e64 v6, 0, v6, s[2:3]
	v_perm_b32 v6, v32, v6, s30
.LBB95_57:                              ;   in Loop: Header=BB95_52 Depth=1
	s_or_b64 exec, exec, s[6:7]
	s_waitcnt vmcnt(0)
	;;#ASMSTART
	v_pk_mul_f16 v6, v29, v6;

	;;#ASMEND
	;;#ASMSTART
	v_pk_mul_f16 v7, v28, v7;

	;;#ASMEND
	;; [unrolled: 4-line block ×4, first 2 shown]
	;;#ASMSTART
	v_pk_add_f16 v6, v6, v7;

	;;#ASMEND
	;;#ASMSTART
	v_pk_add_f16 v6, v6, v8;

	;;#ASMEND
	;; [unrolled: 4-line block ×3, first 2 shown]
	v_lshrrev_b32_e32 v7, 16, v6
	v_and_b32_e32 v6, 0xffff, v6
	;;#ASMSTART
	v_cvt_f32_f16 v32, v6;
	;;#ASMEND
	;;#ASMSTART
	v_cvt_f32_f16 v33, v7;
	;;#ASMEND
	global_load_dwordx4 v[6:9], v[14:15], off offset:2048
	s_and_saveexec_b64 s[6:7], s[0:1]
	s_cbranch_execz .LBB95_59
; %bb.58:                               ;   in Loop: Header=BB95_52 Depth=1
	v_or_b32_e32 v37, 7, v23
	v_or_b32_e32 v38, 6, v23
	s_waitcnt vmcnt(0)
	v_lshrrev_b32_e32 v39, 16, v9
	v_cmp_gt_i32_e64 s[2:3], s39, v37
	v_cndmask_b32_e64 v37, 0, v39, s[2:3]
	v_cmp_gt_i32_e64 s[2:3], s38, v38
	v_or_b32_e32 v35, 5, v23
	v_cndmask_b32_e64 v9, 0, v9, s[2:3]
	v_or_b32_e32 v36, 4, v23
	v_perm_b32 v9, v37, v9, s30
	v_lshrrev_b32_e32 v37, 16, v8
	v_cmp_gt_i32_e64 s[2:3], s37, v35
	v_cndmask_b32_e64 v35, 0, v37, s[2:3]
	v_cmp_gt_i32_e64 s[2:3], s36, v36
	v_or_b32_e32 v15, 3, v23
	v_cndmask_b32_e64 v8, 0, v8, s[2:3]
	v_or_b32_e32 v34, 2, v23
	v_perm_b32 v8, v35, v8, s30
	v_lshrrev_b32_e32 v35, 16, v7
	v_cmp_gt_i32_e64 s[2:3], s28, v15
	v_cndmask_b32_e64 v15, 0, v35, s[2:3]
	v_cmp_gt_i32_e64 s[2:3], s23, v34
	v_add_u32_e32 v14, 1, v23
	v_cndmask_b32_e64 v7, 0, v7, s[2:3]
	v_perm_b32 v7, v15, v7, s30
	v_lshrrev_b32_e32 v15, 16, v6
	v_cmp_gt_i32_e64 s[2:3], s22, v14
	v_cndmask_b32_e64 v14, 0, v15, s[2:3]
	v_cmp_gt_i32_e64 s[2:3], s29, v23
	v_cndmask_b32_e64 v6, 0, v6, s[2:3]
	v_perm_b32 v6, v14, v6, s30
.LBB95_59:                              ;   in Loop: Header=BB95_52 Depth=1
	s_or_b64 exec, exec, s[6:7]
	s_waitcnt vmcnt(0)
	;;#ASMSTART
	v_pk_mul_f16 v6, v29, v6;

	;;#ASMEND
	;;#ASMSTART
	v_pk_mul_f16 v7, v28, v7;

	;;#ASMEND
	;;#ASMSTART
	v_pk_mul_f16 v8, v27, v8;

	;;#ASMEND
	;;#ASMSTART
	v_pk_mul_f16 v9, v26, v9;

	;;#ASMEND
	;;#ASMSTART
	v_pk_add_f16 v6, v6, v7;

	;;#ASMEND
	;;#ASMSTART
	v_pk_add_f16 v6, v6, v8;

	;;#ASMEND
	;; [unrolled: 4-line block ×3, first 2 shown]
	v_lshrrev_b32_e32 v7, 16, v6
	v_and_b32_e32 v6, 0xffff, v6
	v_add_f32_e32 v14, v30, v31
	;;#ASMSTART
	v_cvt_f32_f16 v6, v6;
	;;#ASMEND
	v_add_f32_e32 v2, v2, v14
	v_add_f32_e32 v14, v32, v33
	;;#ASMSTART
	v_cvt_f32_f16 v7, v7;
	;;#ASMEND
	v_add_f32_e32 v6, v6, v7
	v_add_f32_e32 v3, v3, v14
	;; [unrolled: 1-line block ×3, first 2 shown]
	s_and_saveexec_b64 s[6:7], vcc
	s_cbranch_execz .LBB95_50
; %bb.60:                               ;   in Loop: Header=BB95_52 Depth=1
	v_add_co_u32_e64 v6, s[2:3], v24, v22
	v_addc_co_u32_e64 v7, s[2:3], 0, v25, s[2:3]
	global_load_dwordx4 v[6:9], v[6:7], off
	s_and_saveexec_b64 s[2:3], s[0:1]
	s_cbranch_execz .LBB95_49
; %bb.61:                               ;   in Loop: Header=BB95_52 Depth=1
	v_or_b32_e32 v31, 7, v23
	v_or_b32_e32 v32, 6, v23
	s_waitcnt vmcnt(0)
	v_lshrrev_b32_e32 v33, 16, v9
	v_cmp_gt_i32_e64 s[0:1], s39, v31
	v_cndmask_b32_e64 v31, 0, v33, s[0:1]
	v_cmp_gt_i32_e64 s[0:1], s38, v32
	v_or_b32_e32 v25, 5, v23
	v_cndmask_b32_e64 v9, 0, v9, s[0:1]
	v_or_b32_e32 v30, 4, v23
	v_perm_b32 v9, v31, v9, s30
	v_lshrrev_b32_e32 v31, 16, v8
	v_cmp_gt_i32_e64 s[0:1], s37, v25
	v_cndmask_b32_e64 v25, 0, v31, s[0:1]
	v_cmp_gt_i32_e64 s[0:1], s36, v30
	v_or_b32_e32 v15, 3, v23
	v_cndmask_b32_e64 v8, 0, v8, s[0:1]
	v_or_b32_e32 v24, 2, v23
	v_perm_b32 v8, v25, v8, s30
	v_lshrrev_b32_e32 v25, 16, v7
	v_cmp_gt_i32_e64 s[0:1], s28, v15
	v_cndmask_b32_e64 v15, 0, v25, s[0:1]
	v_cmp_gt_i32_e64 s[0:1], s23, v24
	v_add_u32_e32 v14, 1, v23
	v_cndmask_b32_e64 v7, 0, v7, s[0:1]
	v_perm_b32 v7, v15, v7, s30
	v_lshrrev_b32_e32 v15, 16, v6
	v_cmp_gt_i32_e64 s[0:1], s22, v14
	v_cndmask_b32_e64 v14, 0, v15, s[0:1]
	v_cmp_gt_i32_e64 s[0:1], s29, v23
	v_cndmask_b32_e64 v6, 0, v6, s[0:1]
	v_perm_b32 v6, v14, v6, s30
	s_branch .LBB95_49
.LBB95_62:
	s_or_b64 exec, exec, s[12:13]
.LBB95_63:
	s_or_b64 exec, exec, s[20:21]
	ds_bpermute_b32 v6, v16, v2
	ds_bpermute_b32 v7, v16, v3
	;; [unrolled: 1-line block ×4, first 2 shown]
	v_and_b32_e32 v1, 0x3c0, v0
	v_cmp_eq_u32_e32 vcc, 64, v1
	s_waitcnt lgkmcnt(2)
	v_pk_add_f32 v[6:7], v[2:3], v[6:7]
	s_waitcnt lgkmcnt(0)
	v_pk_add_f32 v[2:3], v[4:5], v[8:9]
	s_barrier
	s_and_saveexec_b64 s[2:3], vcc
	s_cbranch_execz .LBB95_68
; %bb.64:
	v_cmp_eq_u32_e32 vcc, 0, v17
	s_and_saveexec_b64 s[0:1], vcc
	s_cbranch_execz .LBB95_66
; %bb.65:
	v_mov_b32_e32 v1, 0x100
	v_lshl_add_u32 v1, v18, 2, v1
	ds_write2_b32 v1, v6, v7 offset1:32
	ds_write_b32 v1, v2 offset:256
.LBB95_66:
	s_or_b64 exec, exec, s[0:1]
	v_or_b32_e32 v1, 0x60, v18
	s_movk_i32 s0, 0x78
	v_cmp_gt_u32_e64 s[0:1], s0, v1
	s_and_b64 s[0:1], vcc, s[0:1]
	s_and_b64 exec, exec, s[0:1]
	s_cbranch_execz .LBB95_68
; %bb.67:
	v_mov_b32_e32 v1, 0x100
	v_lshl_add_u32 v1, v18, 2, v1
	ds_write_b32 v1, v3 offset:384
.LBB95_68:
	s_or_b64 exec, exec, s[2:3]
	v_cmp_gt_u32_e32 vcc, 64, v0
	v_lshrrev_b32_e32 v0, 1, v0
	s_waitcnt lgkmcnt(0)
	s_barrier
	s_and_saveexec_b64 s[4:5], vcc
	s_cbranch_execz .LBB95_76
; %bb.69:
	v_cmp_eq_u32_e64 s[0:1], 0, v17
	s_and_saveexec_b64 s[2:3], s[0:1]
	s_cbranch_execnz .LBB95_82
; %bb.70:
	s_or_b64 exec, exec, s[2:3]
	s_and_saveexec_b64 s[2:3], s[0:1]
	s_cbranch_execnz .LBB95_83
.LBB95_71:
	s_or_b64 exec, exec, s[2:3]
	s_and_saveexec_b64 s[2:3], s[0:1]
	s_cbranch_execz .LBB95_73
.LBB95_72:
	v_mov_b32_e32 v1, 0x100
	v_lshl_add_u32 v1, v0, 2, v1
	ds_read_b32 v1, v1 offset:256
	s_waitcnt lgkmcnt(0)
	v_add_f32_e32 v2, v2, v1
.LBB95_73:
	s_or_b64 exec, exec, s[2:3]
	v_or_b32_e32 v1, 0x60, v0
	s_movk_i32 s2, 0x78
	v_cmp_gt_u32_e64 s[2:3], s2, v1
	s_and_b64 s[2:3], s[0:1], s[2:3]
	s_and_saveexec_b64 s[0:1], s[2:3]
	s_cbranch_execz .LBB95_75
; %bb.74:
	v_mov_b32_e32 v1, 0x100
	v_lshl_add_u32 v1, v0, 2, v1
	ds_read_b32 v1, v1 offset:384
	s_waitcnt lgkmcnt(0)
	v_add_f32_e32 v3, v3, v1
.LBB95_75:
	s_or_b64 exec, exec, s[0:1]
.LBB95_76:
	s_or_b64 exec, exec, s[4:5]
	s_barrier
	s_and_saveexec_b64 s[0:1], vcc
	s_cbranch_execz .LBB95_81
; %bb.77:
	s_mul_i32 s0, s10, 0x78
	s_ashr_i32 s1, s0, 31
	s_lshl_b64 s[0:1], s[0:1], 1
	s_add_u32 s2, s26, s0
	s_mul_i32 s0, s16, s24
	s_addc_u32 s3, s27, s1
	s_ashr_i32 s1, s0, 31
	s_lshl_b64 s[0:1], s[0:1], 1
	s_add_u32 s2, s2, s0
	s_mul_i32 s0, s8, 0x78
	s_addc_u32 s3, s3, s1
	s_ashr_i32 s1, s0, 31
	s_lshl_b64 s[0:1], s[0:1], 1
	s_add_u32 s2, s2, s0
	s_movk_i32 s4, 0x78
	s_addc_u32 s3, s3, s1
	v_cmp_eq_u32_e32 vcc, 0, v17
	v_lshlrev_b32_e32 v1, 1, v0
	s_and_saveexec_b64 s[0:1], vcc
	s_cbranch_execz .LBB95_79
; %bb.78:
	;;#ASMSTART
	v_cvt_f16_f32 v4, v6;

	;;#ASMEND
	global_store_short v1, v4, s[2:3]
	;;#ASMSTART
	v_cvt_f16_f32 v4, v7;

	;;#ASMEND
	global_store_short v1, v4, s[2:3] offset:64
	;;#ASMSTART
	v_cvt_f16_f32 v2, v2;

	;;#ASMEND
	global_store_short v1, v2, s[2:3] offset:128
.LBB95_79:
	s_or_b64 exec, exec, s[0:1]
	v_or_b32_e32 v0, 0x60, v0
	v_cmp_gt_u32_e64 s[0:1], s4, v0
	s_and_b64 s[0:1], vcc, s[0:1]
	s_and_b64 exec, exec, s[0:1]
	s_cbranch_execz .LBB95_81
; %bb.80:
	;;#ASMSTART
	v_cvt_f16_f32 v0, v3;

	;;#ASMEND
	global_store_short v1, v0, s[2:3] offset:192
.LBB95_81:
	s_endpgm
.LBB95_82:
	v_mov_b32_e32 v1, 0x100
	v_lshl_add_u32 v1, v0, 2, v1
	ds_read_b32 v1, v1
	s_waitcnt lgkmcnt(0)
	v_add_f32_e32 v6, v6, v1
	s_or_b64 exec, exec, s[2:3]
	s_and_saveexec_b64 s[2:3], s[0:1]
	s_cbranch_execz .LBB95_71
.LBB95_83:
	v_mov_b32_e32 v1, 0x100
	v_lshl_add_u32 v1, v0, 2, v1
	ds_read_b32 v1, v1 offset:128
	s_waitcnt lgkmcnt(0)
	v_add_f32_e32 v7, v7, v1
	s_or_b64 exec, exec, s[2:3]
	s_and_saveexec_b64 s[2:3], s[0:1]
	s_cbranch_execnz .LBB95_72
	s_branch .LBB95_73
	.section	.rodata,"a",@progbits
	.p2align	6, 0x0
	.amdhsa_kernel _ZN4vllm25paged_attention_v2_kernelIttLi120ELi16ELi128ELNS_18Fp8KVCacheDataTypeE0ELb1ELi512EEEvPfS2_PT_PKS3_PKT0_S9_ifPKiSB_iPKfiiiSD_SD_iiiii
		.amdhsa_group_segment_fixed_size 256
		.amdhsa_private_segment_fixed_size 0
		.amdhsa_kernarg_size 400
		.amdhsa_user_sgpr_count 6
		.amdhsa_user_sgpr_private_segment_buffer 1
		.amdhsa_user_sgpr_dispatch_ptr 0
		.amdhsa_user_sgpr_queue_ptr 0
		.amdhsa_user_sgpr_kernarg_segment_ptr 1
		.amdhsa_user_sgpr_dispatch_id 0
		.amdhsa_user_sgpr_flat_scratch_init 0
		.amdhsa_user_sgpr_kernarg_preload_length 0
		.amdhsa_user_sgpr_kernarg_preload_offset 0
		.amdhsa_user_sgpr_private_segment_size 0
		.amdhsa_uses_dynamic_stack 0
		.amdhsa_system_sgpr_private_segment_wavefront_offset 0
		.amdhsa_system_sgpr_workgroup_id_x 1
		.amdhsa_system_sgpr_workgroup_id_y 1
		.amdhsa_system_sgpr_workgroup_id_z 1
		.amdhsa_system_sgpr_workgroup_info 0
		.amdhsa_system_vgpr_workitem_id 0
		.amdhsa_next_free_vgpr 71
		.amdhsa_next_free_sgpr 52
		.amdhsa_accum_offset 72
		.amdhsa_reserve_vcc 1
		.amdhsa_reserve_flat_scratch 0
		.amdhsa_float_round_mode_32 0
		.amdhsa_float_round_mode_16_64 0
		.amdhsa_float_denorm_mode_32 3
		.amdhsa_float_denorm_mode_16_64 3
		.amdhsa_dx10_clamp 1
		.amdhsa_ieee_mode 1
		.amdhsa_fp16_overflow 0
		.amdhsa_tg_split 0
		.amdhsa_exception_fp_ieee_invalid_op 0
		.amdhsa_exception_fp_denorm_src 0
		.amdhsa_exception_fp_ieee_div_zero 0
		.amdhsa_exception_fp_ieee_overflow 0
		.amdhsa_exception_fp_ieee_underflow 0
		.amdhsa_exception_fp_ieee_inexact 0
		.amdhsa_exception_int_div_zero 0
	.end_amdhsa_kernel
	.section	.text._ZN4vllm25paged_attention_v2_kernelIttLi120ELi16ELi128ELNS_18Fp8KVCacheDataTypeE0ELb1ELi512EEEvPfS2_PT_PKS3_PKT0_S9_ifPKiSB_iPKfiiiSD_SD_iiiii,"axG",@progbits,_ZN4vllm25paged_attention_v2_kernelIttLi120ELi16ELi128ELNS_18Fp8KVCacheDataTypeE0ELb1ELi512EEEvPfS2_PT_PKS3_PKT0_S9_ifPKiSB_iPKfiiiSD_SD_iiiii,comdat
.Lfunc_end95:
	.size	_ZN4vllm25paged_attention_v2_kernelIttLi120ELi16ELi128ELNS_18Fp8KVCacheDataTypeE0ELb1ELi512EEEvPfS2_PT_PKS3_PKT0_S9_ifPKiSB_iPKfiiiSD_SD_iiiii, .Lfunc_end95-_ZN4vllm25paged_attention_v2_kernelIttLi120ELi16ELi128ELNS_18Fp8KVCacheDataTypeE0ELb1ELi512EEEvPfS2_PT_PKS3_PKT0_S9_ifPKiSB_iPKfiiiSD_SD_iiiii
                                        ; -- End function
	.section	.AMDGPU.csdata,"",@progbits
; Kernel info:
; codeLenInByte = 7176
; NumSgprs: 56
; NumVgprs: 71
; NumAgprs: 0
; TotalNumVgprs: 71
; ScratchSize: 0
; MemoryBound: 0
; FloatMode: 240
; IeeeMode: 1
; LDSByteSize: 256 bytes/workgroup (compile time only)
; SGPRBlocks: 6
; VGPRBlocks: 8
; NumSGPRsForWavesPerEU: 56
; NumVGPRsForWavesPerEU: 71
; AccumOffset: 72
; Occupancy: 7
; WaveLimiterHint : 1
; COMPUTE_PGM_RSRC2:SCRATCH_EN: 0
; COMPUTE_PGM_RSRC2:USER_SGPR: 6
; COMPUTE_PGM_RSRC2:TRAP_HANDLER: 0
; COMPUTE_PGM_RSRC2:TGID_X_EN: 1
; COMPUTE_PGM_RSRC2:TGID_Y_EN: 1
; COMPUTE_PGM_RSRC2:TGID_Z_EN: 1
; COMPUTE_PGM_RSRC2:TIDIG_COMP_CNT: 0
; COMPUTE_PGM_RSRC3_GFX90A:ACCUM_OFFSET: 17
; COMPUTE_PGM_RSRC3_GFX90A:TG_SPLIT: 0
	.section	.text._ZN4vllm25paged_attention_v2_kernelIttLi128ELi16ELi128ELNS_18Fp8KVCacheDataTypeE0ELb1ELi512EEEvPfS2_PT_PKS3_PKT0_S9_ifPKiSB_iPKfiiiSD_SD_iiiii,"axG",@progbits,_ZN4vllm25paged_attention_v2_kernelIttLi128ELi16ELi128ELNS_18Fp8KVCacheDataTypeE0ELb1ELi512EEEvPfS2_PT_PKS3_PKT0_S9_ifPKiSB_iPKfiiiSD_SD_iiiii,comdat
	.protected	_ZN4vllm25paged_attention_v2_kernelIttLi128ELi16ELi128ELNS_18Fp8KVCacheDataTypeE0ELb1ELi512EEEvPfS2_PT_PKS3_PKT0_S9_ifPKiSB_iPKfiiiSD_SD_iiiii ; -- Begin function _ZN4vllm25paged_attention_v2_kernelIttLi128ELi16ELi128ELNS_18Fp8KVCacheDataTypeE0ELb1ELi512EEEvPfS2_PT_PKS3_PKT0_S9_ifPKiSB_iPKfiiiSD_SD_iiiii
	.globl	_ZN4vllm25paged_attention_v2_kernelIttLi128ELi16ELi128ELNS_18Fp8KVCacheDataTypeE0ELb1ELi512EEEvPfS2_PT_PKS3_PKT0_S9_ifPKiSB_iPKfiiiSD_SD_iiiii
	.p2align	8
	.type	_ZN4vllm25paged_attention_v2_kernelIttLi128ELi16ELi128ELNS_18Fp8KVCacheDataTypeE0ELb1ELi512EEEvPfS2_PT_PKS3_PKT0_S9_ifPKiSB_iPKfiiiSD_SD_iiiii,@function
_ZN4vllm25paged_attention_v2_kernelIttLi128ELi16ELi128ELNS_18Fp8KVCacheDataTypeE0ELb1ELi512EEEvPfS2_PT_PKS3_PKT0_S9_ifPKiSB_iPKfiiiSD_SD_iiiii: ; @_ZN4vllm25paged_attention_v2_kernelIttLi128ELi16ELi128ELNS_18Fp8KVCacheDataTypeE0ELb1ELi512EEEvPfS2_PT_PKS3_PKT0_S9_ifPKiSB_iPKfiiiSD_SD_iiiii
; %bb.0:
	s_load_dwordx2 s[0:1], s[4:5], 0x40
	s_mov_b32 s30, s7
	s_ashr_i32 s31, s7, 31
	s_lshl_b64 s[2:3], s[30:31], 2
	s_waitcnt lgkmcnt(0)
	s_add_u32 s0, s0, s2
	s_addc_u32 s1, s1, s3
	s_load_dword s31, s[0:1], 0x0
	s_lshl_b32 s51, s8, 9
	s_waitcnt lgkmcnt(0)
	s_cmp_ge_i32 s51, s31
	s_cbranch_scc1 .LBB96_72
; %bb.1:
	s_load_dword s9, s[4:5], 0x90
	s_load_dwordx2 s[40:41], s[4:5], 0x30
	s_waitcnt lgkmcnt(0)
	s_abs_i32 s2, s9
	s_abs_i32 s0, s40
	v_cvt_f32_u32_e32 v1, s0
	s_sub_i32 s3, 0, s0
	s_xor_b32 s1, s9, s40
	s_ashr_i32 s1, s1, 31
	v_rcp_iflag_f32_e32 v1, v1
	v_mul_f32_e32 v1, 0x4f7ffffe, v1
	v_cvt_u32_f32_e32 v1, v1
	v_readfirstlane_b32 s7, v1
	s_mul_i32 s3, s3, s7
	s_mul_hi_u32 s3, s7, s3
	s_add_i32 s7, s7, s3
	s_mul_hi_u32 s3, s2, s7
	s_mul_i32 s7, s3, s0
	s_sub_i32 s2, s2, s7
	s_add_i32 s10, s3, 1
	s_sub_i32 s7, s2, s0
	s_cmp_ge_u32 s2, s0
	s_cselect_b32 s3, s10, s3
	s_cselect_b32 s2, s7, s2
	s_add_i32 s7, s3, 1
	s_cmp_ge_u32 s2, s0
	s_cselect_b32 s0, s7, s3
	s_xor_b32 s0, s0, s1
	s_sub_i32 s2, s0, s1
	s_abs_i32 s10, s2
	v_cvt_f32_u32_e32 v1, s10
	s_load_dwordx2 s[0:1], s[4:5], 0x50
	s_sub_i32 s3, 0, s10
	s_abs_i32 s11, s6
	v_rcp_iflag_f32_e32 v1, v1
	s_mov_b32 s7, 0
	v_mul_f32_e32 v1, 0x4f7ffffe, v1
	v_cvt_u32_f32_e32 v1, v1
	v_readfirstlane_b32 s12, v1
	s_mul_i32 s3, s3, s12
	s_mul_hi_u32 s3, s12, s3
	s_add_i32 s12, s12, s3
	s_waitcnt lgkmcnt(0)
	s_cmp_eq_u64 s[0:1], 0
	s_mul_hi_u32 s12, s11, s12
	s_cbranch_scc1 .LBB96_3
; %bb.2:
	s_ashr_i32 s7, s6, 31
	s_lshl_b64 s[14:15], s[6:7], 2
	s_add_u32 s0, s0, s14
	s_addc_u32 s1, s1, s15
	s_load_dword s7, s[0:1], 0x0
.LBB96_3:
	s_load_dwordx4 s[16:19], s[4:5], 0x58
	s_ashr_i32 s13, s6, 31
	s_waitcnt lgkmcnt(0)
	s_ashr_i32 s19, s2, 31
	v_and_b32_e32 v2, 3, v0
	s_lshl_b32 s14, s6, 7
	v_cmp_gt_u32_e64 s[0:1], 64, v0
	s_and_saveexec_b64 s[2:3], s[0:1]
	s_cbranch_execz .LBB96_5
; %bb.4:
	s_load_dwordx2 s[20:21], s[4:5], 0x18
	s_mul_i32 s22, s30, s16
	s_ashr_i32 s23, s22, 31
	s_lshl_b64 s[22:23], s[22:23], 1
	v_lshlrev_b32_e32 v1, 2, v0
	s_waitcnt lgkmcnt(0)
	s_add_u32 s16, s20, s22
	s_addc_u32 s22, s21, s23
	s_ashr_i32 s15, s14, 31
	s_lshl_b64 s[20:21], s[14:15], 1
	s_add_u32 s20, s16, s20
	s_addc_u32 s21, s22, s21
	global_load_dword v1, v1, s[20:21]
	v_and_b32_e32 v3, 0x3fc, v0
	v_lshl_add_u32 v3, v2, 6, v3
	s_waitcnt vmcnt(0)
	ds_write_b32 v3, v1
.LBB96_5:
	s_or_b64 exec, exec, s[2:3]
	s_mul_i32 s3, s12, s10
	s_sub_i32 s3, s11, s3
	s_xor_b32 s2, s13, s19
	s_add_i32 s11, s12, 1
	s_sub_i32 s13, s3, s10
	s_load_dwordx4 s[20:23], s[4:5], 0x78
	s_cmp_ge_u32 s3, s10
	s_cselect_b32 s11, s11, s12
	s_cselect_b32 s3, s13, s3
	s_load_dword s13, s[4:5], 0x88
	s_add_i32 s12, s11, 1
	s_cmp_ge_u32 s3, s10
	s_cselect_b32 s3, s12, s11
	s_waitcnt lgkmcnt(0)
	s_abs_i32 s33, s23
	v_cvt_f32_u32_e32 v1, s33
	s_xor_b32 s3, s3, s2
	s_sub_i32 s10, s3, s2
	s_sub_i32 s2, 0, s33
	v_rcp_iflag_f32_e32 v1, v1
	s_add_i32 s15, s31, -1
	s_abs_i32 s11, s15
	v_mul_f32_e32 v1, 0x4f7ffffe, v1
	v_cvt_u32_f32_e32 v1, v1
	s_barrier
	v_readfirstlane_b32 s48, v1
	s_mul_i32 s2, s2, s48
	s_mul_hi_u32 s2, s48, s2
	s_add_i32 s48, s48, s2
	s_cmp_lt_i32 s13, 0
	s_mul_hi_u32 s12, s11, s48
	s_cbranch_scc0 .LBB96_7
; %bb.6:
	s_mul_i32 s2, s20, s40
	s_add_i32 s2, s10, s2
	s_mul_i32 s2, s2, s13
	s_sub_i32 s49, 1, s2
	s_mov_b64 s[2:3], 0
	s_branch .LBB96_8
.LBB96_7:
	s_mov_b64 s[2:3], -1
                                        ; implicit-def: $sgpr49
.LBB96_8:
	s_load_dwordx2 s[34:35], s[4:5], 0x38
	s_ashr_i32 s16, s15, 31
	s_andn2_b64 vcc, exec, s[2:3]
	s_ashr_i32 s23, s23, 31
	s_cbranch_vccnz .LBB96_10
; %bb.9:
	s_mul_i32 s2, s9, s20
	s_add_i32 s2, s2, s6
	s_mul_i32 s2, s2, s13
	s_add_i32 s49, s2, 1
.LBB96_10:
	s_load_dword s2, s[4:5], 0x48
	s_load_dwordx2 s[38:39], s[4:5], 0x28
	s_load_dword s15, s[4:5], 0x98
	s_load_dwordx4 s[24:27], s[4:5], 0x0
	s_load_dwordx2 s[28:29], s[4:5], 0x10
	s_mul_i32 s3, s12, s33
	s_waitcnt lgkmcnt(0)
	s_mul_i32 s36, s30, s2
	s_sub_i32 s3, s11, s3
	s_ashr_i32 s37, s36, 31
	s_xor_b32 s2, s16, s23
	s_add_i32 s11, s12, 1
	s_sub_i32 s13, s3, s33
	s_cmp_ge_u32 s3, s33
	s_cselect_b32 s11, s11, s12
	s_cselect_b32 s3, s13, s3
	s_add_i32 s12, s11, 1
	s_cmp_ge_u32 s3, s33
	s_cselect_b32 s3, s12, s11
	s_xor_b32 s3, s3, s2
	s_sub_i32 s50, s3, s2
	s_add_i32 s2, s31, 15
	s_ashr_i32 s3, s2, 31
	s_lshr_b32 s3, s3, 28
	s_add_i32 s2, s2, s3
	s_lshl_b32 s40, s8, 5
	s_ashr_i32 s16, s2, 4
	s_add_i32 s2, s40, 32
	v_lshrrev_b32_e32 v6, 6, v0
	s_min_i32 s20, s2, s16
	v_or_b32_e32 v10, s40, v6
	v_cmp_gt_i32_e64 s[2:3], s20, v10
	v_mov_b32_e32 v14, 0xff7fffff
	s_mul_i32 s18, s10, s18
	v_ashrrev_i32_e32 v11, 31, v10
	v_lshl_add_u32 v1, v6, 4, s51
	v_mbcnt_lo_u32_b32 v7, -1, 0
	s_and_saveexec_b64 s[42:43], s[2:3]
	s_cbranch_execz .LBB96_20
; %bb.11:
	s_load_dwordx2 s[4:5], s[4:5], 0x20
	s_ashr_i32 s19, s18, 31
	s_sub_i32 s52, s50, s21
	s_lshl_b64 s[10:11], s[18:19], 1
	v_bfe_u32 v8, v0, 2, 4
	s_waitcnt lgkmcnt(0)
	s_add_u32 s4, s4, s10
	s_addc_u32 s5, s5, s11
	s_abs_i32 s19, s22
	v_cvt_f32_u32_e32 v5, s19
	v_lshlrev_b32_e32 v3, 4, v8
	v_mov_b32_e32 v4, s5
	v_add_co_u32_e64 v3, s[4:5], s4, v3
	v_rcp_iflag_f32_e32 v5, v5
	v_lshlrev_b32_e32 v9, 2, v0
	v_addc_co_u32_e64 v4, s[4:5], 0, v4, s[4:5]
	v_and_b32_e32 v9, 12, v9
	v_add_co_u32_e64 v9, s[4:5], v3, v9
	v_mul_f32_e32 v3, 0x4f7ffffe, v5
	v_cvt_u32_f32_e32 v3, v3
	s_sub_i32 s10, 0, s19
	v_cmp_eq_u32_e32 vcc, 0, v2
	v_lshlrev_b32_e32 v13, 6, v2
	v_mul_lo_u32 v2, s10, v3
	s_lshl_b64 s[10:11], s[36:37], 2
	v_mul_hi_u32 v2, v3, v2
	s_add_u32 s10, s34, s10
	v_add_u32_e32 v15, v3, v2
	v_lshlrev_b64 v[2:3], 2, v[10:11]
	s_addc_u32 s11, s35, s11
	v_addc_co_u32_e64 v12, s[4:5], 0, v4, s[4:5]
	v_mov_b32_e32 v4, s11
	v_add_co_u32_e64 v2, s[10:11], s10, v2
	v_addc_co_u32_e64 v3, s[10:11], v4, v3, s[10:11]
	v_lshlrev_b32_e32 v4, 2, v8
	v_lshl_or_b32 v4, v6, 6, v4
	v_add_u32_e32 v17, 0x110, v4
	v_subrev_u32_e32 v4, s31, v8
	v_mbcnt_hi_u32_b32 v20, -1, v7
	v_add_u32_e32 v18, 1, v4
	v_and_b32_e32 v4, 64, v20
	s_mov_b32 s53, s17
	v_cmp_neq_f32_e64 s[4:5], s7, 0
	v_lshl_add_u32 v16, v6, 4, s51
	s_mov_b64 s[44:45], 0
	v_mov_b32_e32 v19, 0xff7fffff
	v_add_u32_e32 v21, 64, v4
	v_xor_b32_e32 v22, 2, v20
	v_xor_b32_e32 v23, 1, v20
	v_mov_b32_e32 v14, 0xff7fffff
	v_mov_b32_e32 v24, v10
	s_branch .LBB96_14
.LBB96_12:                              ;   in Loop: Header=BB96_14 Depth=1
	s_or_b64 exec, exec, s[46:47]
.LBB96_13:                              ;   in Loop: Header=BB96_14 Depth=1
	s_or_b64 exec, exec, s[12:13]
	v_add_co_u32_e64 v2, s[10:11], 8, v2
	v_add_u32_e32 v24, 2, v24
	v_addc_co_u32_e64 v3, s[10:11], 0, v3, s[10:11]
	v_cmp_le_i32_e64 s[10:11], s20, v24
	v_add_u32_e32 v16, 32, v16
	s_or_b64 s[44:45], s[10:11], s[44:45]
	v_add_u32_e32 v17, 0x80, v17
	s_andn2_b64 exec, exec, s[44:45]
	s_cbranch_execz .LBB96_19
.LBB96_14:                              ; =>This Inner Loop Header: Depth=1
	s_waitcnt lgkmcnt(0)
	v_sub_u32_e32 v5, 0, v16
	v_max_i32_e32 v5, v16, v5
	v_mul_hi_u32 v25, v5, s48
	v_mul_lo_u32 v26, v25, s33
	v_sub_u32_e32 v5, v5, v26
	v_add_u32_e32 v26, 1, v25
	v_cmp_le_u32_e64 s[10:11], s33, v5
	v_cndmask_b32_e64 v25, v25, v26, s[10:11]
	v_subrev_u32_e32 v26, s33, v5
	v_cndmask_b32_e64 v5, v5, v26, s[10:11]
	v_ashrrev_i32_e32 v4, 31, v16
	v_add_u32_e32 v26, 1, v25
	v_cmp_le_u32_e64 s[10:11], s33, v5
	v_xor_b32_e32 v4, s23, v4
	v_cndmask_b32_e64 v5, v25, v26, s[10:11]
	v_xor_b32_e32 v5, v5, v4
	v_sub_u32_e32 v4, v5, v4
	v_add_u32_e32 v5, s49, v4
	v_sub_u32_e32 v26, 0, v5
	v_ashrrev_i32_e32 v25, 31, v5
	v_max_i32_e32 v5, v5, v26
	v_mul_hi_u32 v26, v5, v15
	v_mul_lo_u32 v26, v26, s19
	v_sub_u32_e32 v5, v5, v26
	v_subrev_u32_e32 v26, s19, v5
	v_cmp_le_u32_e64 s[10:11], s19, v5
	v_cndmask_b32_e64 v5, v5, v26, s[10:11]
	v_subrev_u32_e32 v26, s19, v5
	v_cmp_le_u32_e64 s[10:11], s19, v5
	v_cndmask_b32_e64 v5, v5, v26, s[10:11]
	v_xor_b32_e32 v5, v5, v25
	v_sub_u32_e32 v5, v5, v25
	v_cmp_ne_u32_e64 s[10:11], 0, v5
	v_cmp_ge_i32_e64 s[12:13], s52, v4
	s_and_b64 s[10:11], s[10:11], s[12:13]
	s_and_b64 s[46:47], vcc, s[10:11]
	s_and_saveexec_b64 s[12:13], s[46:47]
	s_cbranch_execz .LBB96_16
; %bb.15:                               ;   in Loop: Header=BB96_14 Depth=1
	ds_write_b32 v17, v19
.LBB96_16:                              ;   in Loop: Header=BB96_14 Depth=1
	s_or_b64 exec, exec, s[12:13]
	s_xor_b64 s[10:11], s[10:11], -1
	s_and_saveexec_b64 s[12:13], s[10:11]
	s_cbranch_execz .LBB96_13
; %bb.17:                               ;   in Loop: Header=BB96_14 Depth=1
	global_load_dword v4, v[2:3], off
	s_waitcnt vmcnt(0)
	v_mad_i64_i32 v[4:5], s[10:11], v4, s53, 0
	v_lshlrev_b64 v[4:5], 1, v[4:5]
	v_add_co_u32_e64 v4, s[10:11], v9, v4
	v_addc_co_u32_e64 v5, s[10:11], v12, v5, s[10:11]
	global_load_dword v33, v[4:5], off
	global_load_dword v34, v[4:5], off offset:256
	global_load_dword v35, v[4:5], off offset:512
	;; [unrolled: 1-line block ×12, first 2 shown]
	ds_read_b32 v39, v13
	global_load_dword v25, v[4:5], off offset:3328
	global_load_dword v41, v[4:5], off offset:3584
	v_cmp_lt_i32_e64 s[10:11], v22, v21
	global_load_dword v4, v[4:5], off offset:3840
	s_waitcnt lgkmcnt(0)
	v_lshrrev_b32_e32 v42, 16, v39
	v_and_b32_e32 v39, 0xffff, v39
	;;#ASMSTART
	v_cvt_f32_f16 v5, v39;
	;;#ASMEND
	;;#ASMSTART
	v_cvt_f32_f16 v39, v42;
	;;#ASMEND
	v_cndmask_b32_e64 v40, v20, v22, s[10:11]
	v_lshlrev_b32_e32 v40, 2, v40
	v_cmp_lt_i32_e64 s[10:11], v23, v21
	s_waitcnt vmcnt(15)
	v_lshrrev_b32_e32 v42, 16, v33
	v_and_b32_e32 v33, 0xffff, v33
	;;#ASMSTART
	v_cvt_f32_f16 v33, v33;
	;;#ASMEND
	;;#ASMSTART
	v_cvt_f32_f16 v42, v42;
	;;#ASMEND
	ds_read_b32 v43, v13 offset:4
	s_waitcnt vmcnt(14)
	v_lshrrev_b32_e32 v44, 16, v34
	v_and_b32_e32 v34, 0xffff, v34
	s_waitcnt vmcnt(13)
	v_lshrrev_b32_e32 v45, 16, v35
	v_and_b32_e32 v35, 0xffff, v35
	s_waitcnt lgkmcnt(0)
	v_lshrrev_b32_e32 v46, 16, v43
	v_and_b32_e32 v43, 0xffff, v43
	;;#ASMSTART
	v_cvt_f32_f16 v43, v43;
	;;#ASMEND
	;;#ASMSTART
	v_cvt_f32_f16 v46, v46;
	;;#ASMEND
	;;#ASMSTART
	v_cvt_f32_f16 v34, v34;
	;;#ASMEND
	;;#ASMSTART
	v_cvt_f32_f16 v44, v44;
	;;#ASMEND
	ds_read_b32 v47, v13 offset:8
	s_waitcnt vmcnt(12)
	v_lshrrev_b32_e32 v48, 16, v36
	v_and_b32_e32 v36, 0xffff, v36
	s_waitcnt vmcnt(11)
	v_lshrrev_b32_e32 v49, 16, v37
	v_and_b32_e32 v37, 0xffff, v37
	s_waitcnt lgkmcnt(0)
	v_lshrrev_b32_e32 v50, 16, v47
	v_and_b32_e32 v47, 0xffff, v47
	;;#ASMSTART
	v_cvt_f32_f16 v47, v47;
	;;#ASMEND
	;;#ASMSTART
	v_cvt_f32_f16 v50, v50;
	;;#ASMEND
	;; [unrolled: 22-line block ×4, first 2 shown]
	;;#ASMSTART
	v_cvt_f32_f16 v37, v37;
	;;#ASMEND
	;;#ASMSTART
	v_cvt_f32_f16 v49, v49;
	;;#ASMEND
	ds_read_b32 v59, v13 offset:20
	v_mul_f32_e32 v34, v43, v34
	v_mul_f32_e32 v43, v46, v44
	s_waitcnt vmcnt(6)
	v_lshrrev_b32_e32 v60, 16, v29
	v_and_b32_e32 v29, 0xffff, v29
	s_waitcnt lgkmcnt(0)
	v_lshrrev_b32_e32 v62, 16, v59
	v_and_b32_e32 v59, 0xffff, v59
	;;#ASMSTART
	v_cvt_f32_f16 v59, v59;
	;;#ASMEND
	;;#ASMSTART
	v_cvt_f32_f16 v62, v62;
	;;#ASMEND
	;;#ASMSTART
	v_cvt_f32_f16 v38, v38;
	;;#ASMEND
	;;#ASMSTART
	v_cvt_f32_f16 v52, v52;
	;;#ASMEND
	ds_read_b32 v63, v13 offset:24
	v_fmac_f32_e32 v34, v5, v33
	v_fmac_f32_e32 v43, v39, v42
	;; [unrolled: 1-line block ×4, first 2 shown]
	s_waitcnt lgkmcnt(0)
	v_lshrrev_b32_e32 v66, 16, v63
	v_and_b32_e32 v63, 0xffff, v63
	;;#ASMSTART
	v_cvt_f32_f16 v63, v63;
	;;#ASMEND
	;;#ASMSTART
	v_cvt_f32_f16 v66, v66;
	;;#ASMEND
	;; [unrolled: 3-line block ×4, first 2 shown]
	ds_read_b32 v67, v13 offset:28
	s_waitcnt vmcnt(5)
	v_lshrrev_b32_e32 v61, 16, v28
	v_and_b32_e32 v28, 0xffff, v28
	v_fmac_f32_e32 v34, v55, v37
	v_fmac_f32_e32 v34, v59, v38
	s_waitcnt lgkmcnt(0)
	v_lshrrev_b32_e32 v70, 16, v67
	v_and_b32_e32 v67, 0xffff, v67
	;;#ASMSTART
	v_cvt_f32_f16 v67, v67;
	;;#ASMEND
	;;#ASMSTART
	v_cvt_f32_f16 v70, v70;
	;;#ASMEND
	;; [unrolled: 3-line block ×4, first 2 shown]
	ds_read_b32 v71, v13 offset:32
	s_waitcnt vmcnt(4)
	v_lshrrev_b32_e32 v64, 16, v27
	v_and_b32_e32 v27, 0xffff, v27
	v_fmac_f32_e32 v34, v63, v32
	v_fmac_f32_e32 v43, v50, v45
	s_waitcnt lgkmcnt(0)
	v_lshrrev_b32_e32 v44, 16, v71
	v_and_b32_e32 v46, 0xffff, v71
	;;#ASMSTART
	v_cvt_f32_f16 v46, v46;
	;;#ASMEND
	;;#ASMSTART
	v_cvt_f32_f16 v44, v44;
	;;#ASMEND
	;; [unrolled: 3-line block ×4, first 2 shown]
	ds_read_b32 v71, v13 offset:36
	v_fmac_f32_e32 v43, v54, v48
	v_fmac_f32_e32 v43, v58, v49
	;; [unrolled: 1-line block ×4, first 2 shown]
	s_waitcnt lgkmcnt(0)
	v_lshrrev_b32_e32 v5, 16, v71
	v_and_b32_e32 v33, 0xffff, v71
	;;#ASMSTART
	v_cvt_f32_f16 v33, v33;
	;;#ASMEND
	;;#ASMSTART
	v_cvt_f32_f16 v5, v5;
	;;#ASMEND
	;; [unrolled: 3-line block ×4, first 2 shown]
	ds_read_b32 v39, v13 offset:40
	v_fmac_f32_e32 v34, v67, v31
	s_waitcnt vmcnt(3)
	v_lshrrev_b32_e32 v65, 16, v26
	v_and_b32_e32 v26, 0xffff, v26
	v_fmac_f32_e32 v43, v70, v56
	s_waitcnt lgkmcnt(0)
	v_lshrrev_b32_e32 v36, 16, v39
	v_and_b32_e32 v37, 0xffff, v39
	;;#ASMSTART
	v_cvt_f32_f16 v37, v37;
	;;#ASMEND
	;;#ASMSTART
	v_cvt_f32_f16 v36, v36;
	;;#ASMEND
	;; [unrolled: 3-line block ×4, first 2 shown]
	ds_read_b32 v42, v13 offset:44
	v_fmac_f32_e32 v34, v46, v30
	v_fmac_f32_e32 v43, v44, v57
	;; [unrolled: 1-line block ×3, first 2 shown]
	s_waitcnt vmcnt(2)
	v_lshrrev_b32_e32 v68, 16, v25
	s_waitcnt lgkmcnt(0)
	v_lshrrev_b32_e32 v32, 16, v42
	v_and_b32_e32 v38, 0xffff, v42
	;;#ASMSTART
	v_cvt_f32_f16 v38, v38;
	;;#ASMEND
	;;#ASMSTART
	v_cvt_f32_f16 v32, v32;
	;;#ASMEND
	;; [unrolled: 3-line block ×4, first 2 shown]
	ds_read_b32 v45, v13 offset:48
	v_and_b32_e32 v25, 0xffff, v25
	v_fmac_f32_e32 v43, v5, v35
	v_fmac_f32_e32 v34, v37, v28
	;; [unrolled: 1-line block ×3, first 2 shown]
	s_waitcnt lgkmcnt(0)
	v_lshrrev_b32_e32 v30, 16, v45
	v_and_b32_e32 v31, 0xffff, v45
	;;#ASMSTART
	v_cvt_f32_f16 v31, v31;
	;;#ASMEND
	;;#ASMSTART
	v_cvt_f32_f16 v30, v30;
	;;#ASMEND
	;; [unrolled: 3-line block ×4, first 2 shown]
	ds_read_b32 v45, v13 offset:52
	v_fmac_f32_e32 v34, v38, v27
	v_fmac_f32_e32 v43, v32, v42
	;; [unrolled: 1-line block ×3, first 2 shown]
	s_waitcnt vmcnt(1)
	v_lshrrev_b32_e32 v69, 16, v41
	s_waitcnt lgkmcnt(0)
	v_lshrrev_b32_e32 v5, 16, v45
	v_and_b32_e32 v28, 0xffff, v45
	;;#ASMSTART
	v_cvt_f32_f16 v28, v28;
	;;#ASMEND
	;;#ASMSTART
	v_cvt_f32_f16 v5, v5;
	;;#ASMEND
	;; [unrolled: 3-line block ×4, first 2 shown]
	ds_read_b32 v33, v13 offset:56
	v_and_b32_e32 v41, 0xffff, v41
	v_fmac_f32_e32 v43, v30, v44
	v_fmac_f32_e32 v34, v28, v25
	;; [unrolled: 1-line block ×3, first 2 shown]
	s_waitcnt lgkmcnt(0)
	v_lshrrev_b32_e32 v26, 16, v33
	v_and_b32_e32 v27, 0xffff, v33
	;;#ASMSTART
	v_cvt_f32_f16 v27, v27;
	;;#ASMEND
	;;#ASMSTART
	v_cvt_f32_f16 v26, v26;
	;;#ASMEND
	;; [unrolled: 3-line block ×4, first 2 shown]
	ds_read_b32 v32, v13 offset:60
	s_waitcnt vmcnt(0)
	v_lshrrev_b32_e32 v72, 16, v4
	v_and_b32_e32 v4, 0xffff, v4
	v_fmac_f32_e32 v34, v27, v30
	v_fmac_f32_e32 v43, v26, v31
	s_waitcnt lgkmcnt(0)
	v_lshrrev_b32_e32 v5, 16, v32
	v_and_b32_e32 v25, 0xffff, v32
	;;#ASMSTART
	v_cvt_f32_f16 v25, v25;
	;;#ASMEND
	;;#ASMSTART
	v_cvt_f32_f16 v5, v5;
	;;#ASMEND
	;; [unrolled: 3-line block ×4, first 2 shown]
	v_fmac_f32_e32 v34, v25, v4
	v_fmac_f32_e32 v43, v5, v26
	v_add_f32_e32 v4, v34, v43
	ds_bpermute_b32 v5, v40, v4
	v_cndmask_b32_e64 v25, v20, v23, s[10:11]
	s_waitcnt lgkmcnt(0)
	v_add_f32_e32 v4, v4, v5
	v_lshlrev_b32_e32 v5, 2, v25
	ds_bpermute_b32 v5, v5, v4
	s_and_saveexec_b64 s[46:47], vcc
	s_cbranch_execz .LBB96_12
; %bb.18:                               ;   in Loop: Header=BB96_14 Depth=1
	v_add_u32_e32 v25, v18, v16
	v_cvt_f32_i32_e32 v25, v25
	s_waitcnt lgkmcnt(0)
	v_add_f32_e32 v4, v4, v5
	v_add_u32_e32 v26, v8, v16
	v_cmp_gt_i32_e64 s[10:11], s31, v26
	v_mul_f32_e32 v5, s7, v25
	v_cndmask_b32_e64 v5, 0, v5, s[4:5]
	v_fmac_f32_e32 v5, s41, v4
	v_cndmask_b32_e64 v4, 0, v5, s[10:11]
	ds_write_b32 v17, v4
	v_max_f32_e32 v4, v14, v14
	v_max_f32_e32 v4, v4, v5
	v_cndmask_b32_e64 v14, v14, v4, s[10:11]
	s_branch .LBB96_12
.LBB96_19:
	s_or_b64 exec, exec, s[44:45]
.LBB96_20:
	s_or_b64 exec, exec, s[42:43]
	v_mbcnt_hi_u32_b32 v2, -1, v7
	v_and_b32_e32 v3, 64, v2
	v_add_u32_e32 v3, 64, v3
	v_xor_b32_e32 v4, 32, v2
	v_cmp_lt_i32_e32 vcc, v4, v3
	v_cndmask_b32_e32 v4, v2, v4, vcc
	s_waitcnt lgkmcnt(0)
	v_lshlrev_b32_e32 v5, 2, v4
	ds_bpermute_b32 v4, v5, v14
	v_xor_b32_e32 v8, 16, v2
	v_max_f32_e32 v7, v14, v14
	v_cmp_lt_i32_e32 vcc, v8, v3
	v_xor_b32_e32 v9, 8, v2
	s_waitcnt lgkmcnt(0)
	v_max_f32_e32 v4, v4, v4
	v_max_f32_e32 v4, v7, v4
	v_cndmask_b32_e32 v7, v2, v8, vcc
	v_lshlrev_b32_e32 v7, 2, v7
	ds_bpermute_b32 v8, v7, v4
	v_cmp_lt_i32_e32 vcc, v9, v3
	v_and_b32_e32 v16, 63, v0
	s_waitcnt lgkmcnt(0)
	v_max_f32_e32 v8, v8, v8
	v_max_f32_e32 v4, v4, v8
	v_cndmask_b32_e32 v8, v2, v9, vcc
	v_lshlrev_b32_e32 v12, 2, v8
	ds_bpermute_b32 v8, v12, v4
	v_xor_b32_e32 v9, 4, v2
	v_cmp_lt_i32_e32 vcc, v9, v3
	s_waitcnt lgkmcnt(0)
	v_max_f32_e32 v8, v8, v8
	v_max_f32_e32 v4, v4, v8
	v_cndmask_b32_e32 v8, v2, v9, vcc
	v_lshlrev_b32_e32 v13, 2, v8
	ds_bpermute_b32 v9, v13, v4
	v_cmp_eq_u32_e32 vcc, 0, v16
	v_lshlrev_b32_e32 v8, 2, v6
	s_and_saveexec_b64 s[4:5], vcc
	s_cbranch_execz .LBB96_22
; %bb.21:
	s_waitcnt lgkmcnt(0)
	v_max_f32_e32 v9, v9, v9
	v_max_f32_e32 v4, v4, v4
	v_max_f32_e32 v4, v4, v9
	ds_write_b32 v8, v4 offset:256
.LBB96_22:
	s_or_b64 exec, exec, s[4:5]
	v_cmp_gt_u32_e64 s[4:5], 2, v16
	v_mov_b32_e32 v4, 0xff7fffff
	s_waitcnt lgkmcnt(0)
	v_lshlrev_b32_e32 v9, 2, v16
	s_barrier
	s_and_saveexec_b64 s[10:11], s[4:5]
	s_cbranch_execz .LBB96_24
; %bb.23:
	ds_read_b32 v4, v9 offset:256
.LBB96_24:
	s_or_b64 exec, exec, s[10:11]
	v_xor_b32_e32 v14, 1, v2
	v_cmp_lt_i32_e64 s[10:11], v14, v3
	v_cndmask_b32_e64 v14, v2, v14, s[10:11]
	v_lshlrev_b32_e32 v17, 2, v14
	s_waitcnt lgkmcnt(0)
	ds_bpermute_b32 v14, v17, v4
	v_max_f32_e32 v4, v4, v4
	s_sub_i32 s7, s20, s40
	s_lshl_b32 s7, s7, 4
	s_add_i32 s7, s7, s51
	s_waitcnt lgkmcnt(0)
	v_max_f32_e32 v14, v14, v14
	v_max_f32_e32 v4, v4, v14
	v_lshlrev_b32_e32 v14, 2, v2
	v_and_b32_e32 v14, 0x100, v14
	ds_bpermute_b32 v4, v14, v4
	s_min_i32 s19, s7, s31
	s_sub_i32 s7, s19, s51
	v_cmp_gt_i32_e64 s[10:11], s7, v0
	v_mov_b32_e32 v15, 0
	s_and_saveexec_b64 s[40:41], s[10:11]
	s_cbranch_execz .LBB96_28
; %bb.25:
	v_mov_b32_e32 v15, 0x110
	v_lshl_add_u32 v18, v0, 2, v15
	s_mov_b64 s[42:43], 0
	v_mov_b32_e32 v15, 0
	v_mov_b32_e32 v19, v0
.LBB96_26:                              ; =>This Inner Loop Header: Depth=1
	ds_read_b32 v20, v18
	v_add_u32_e32 v19, 0x80, v19
	v_cmp_le_i32_e64 s[12:13], s7, v19
	s_or_b64 s[42:43], s[12:13], s[42:43]
	s_waitcnt lgkmcnt(0)
	v_sub_f32_e32 v20, v20, v4
	v_mul_f32_e32 v20, 0x3fb8aa3b, v20
	v_exp_f32_e32 v20, v20
	ds_write_b32 v18, v20
	v_add_f32_e32 v15, v15, v20
	v_add_u32_e32 v18, 0x200, v18
	s_andn2_b64 exec, exec, s[42:43]
	s_cbranch_execnz .LBB96_26
; %bb.27:
	s_or_b64 exec, exec, s[42:43]
.LBB96_28:
	s_or_b64 exec, exec, s[40:41]
	ds_bpermute_b32 v5, v5, v15
	s_waitcnt lgkmcnt(0)
	v_add_f32_e32 v5, v15, v5
	ds_bpermute_b32 v7, v7, v5
	s_waitcnt lgkmcnt(0)
	v_add_f32_e32 v5, v5, v7
	ds_bpermute_b32 v7, v12, v5
	v_xor_b32_e32 v12, 2, v2
	v_cmp_lt_i32_e64 s[12:13], v12, v3
	v_cndmask_b32_e64 v2, v2, v12, s[12:13]
	v_lshlrev_b32_e32 v2, 2, v2
	s_waitcnt lgkmcnt(0)
	v_add_f32_e32 v5, v5, v7
	ds_bpermute_b32 v7, v13, v5
	s_waitcnt lgkmcnt(0)
	v_add_f32_e32 v3, v5, v7
	ds_bpermute_b32 v2, v2, v3
	;; [unrolled: 3-line block ×3, first 2 shown]
	s_waitcnt lgkmcnt(0)
	v_add_f32_e32 v2, v2, v3
	s_and_saveexec_b64 s[12:13], vcc
	s_cbranch_execz .LBB96_30
; %bb.29:
	ds_write_b32 v8, v2 offset:264
.LBB96_30:
	s_or_b64 exec, exec, s[12:13]
	s_waitcnt lgkmcnt(0)
	s_barrier
	s_and_saveexec_b64 s[12:13], s[4:5]
	s_cbranch_execz .LBB96_32
; %bb.31:
	ds_read_b32 v2, v9 offset:264
.LBB96_32:
	s_or_b64 exec, exec, s[12:13]
	s_waitcnt lgkmcnt(0)
	ds_bpermute_b32 v3, v17, v2
	s_waitcnt lgkmcnt(0)
	v_add_f32_e32 v2, v2, v3
	ds_bpermute_b32 v5, v14, v2
	s_and_saveexec_b64 s[4:5], s[10:11]
	s_cbranch_execz .LBB96_45
; %bb.33:
	s_waitcnt lgkmcnt(0)
	v_add_f32_e32 v2, 0x358637bd, v5
	v_div_scale_f32 v3, s[10:11], v2, v2, 1.0
	v_rcp_f32_e32 v7, v3
	v_div_scale_f32 v8, vcc, 1.0, v2, 1.0
	s_movk_i32 s10, 0x7f
	v_fma_f32 v9, -v3, v7, 1.0
	v_fmac_f32_e32 v7, v9, v7
	v_mul_f32_e32 v9, v8, v7
	v_fma_f32 v12, -v3, v9, v8
	v_fmac_f32_e32 v9, v12, v7
	v_fma_f32 v3, -v3, v9, v8
	v_div_fmas_f32 v3, v3, v7, v9
	v_div_fixup_f32 v2, v3, v2, 1.0
	v_xad_u32 v3, v0, -1, s19
	v_subrev_u32_e32 v7, s51, v3
	v_cmp_lt_u32_e32 vcc, s10, v7
	s_mov_b64 s[12:13], -1
	v_mov_b32_e32 v3, v0
	s_and_saveexec_b64 s[10:11], vcc
	s_cbranch_execz .LBB96_42
; %bb.34:
	v_lshrrev_b32_e32 v7, 7, v7
	v_add_u32_e32 v9, -1, v7
	v_lshrrev_b32_e32 v8, 1, v9
	v_mov_b32_e32 v3, v2
	v_add_u32_e32 v8, 1, v8
	v_cmp_lt_u32_e32 vcc, 13, v9
	v_mov_b32_e32 v13, 0
	s_and_saveexec_b64 s[12:13], vcc
	s_cbranch_execz .LBB96_38
; %bb.35:
	v_mov_b32_e32 v12, 0x110
	v_and_b32_e32 v9, -8, v8
	v_lshl_add_u32 v12, v0, 2, v12
	s_mov_b32 s19, 0
	s_mov_b64 s[40:41], 0
.LBB96_36:                              ; =>This Inner Loop Header: Depth=1
	ds_read2st64_b32 v[14:15], v12 offset1:2
	ds_read2st64_b32 v[18:19], v12 offset0:4 offset1:6
	ds_read2st64_b32 v[20:21], v12 offset0:8 offset1:10
	;; [unrolled: 1-line block ×3, first 2 shown]
	v_add_u32_e32 v9, -8, v9
	s_waitcnt lgkmcnt(3)
	v_pk_mul_f32 v[14:15], v[2:3], v[14:15]
	s_waitcnt lgkmcnt(2)
	v_pk_mul_f32 v[18:19], v[2:3], v[18:19]
	ds_write2st64_b32 v12, v14, v15 offset1:2
	ds_write2st64_b32 v12, v18, v19 offset0:4 offset1:6
	ds_read2st64_b32 v[18:19], v12 offset0:16 offset1:18
	s_waitcnt lgkmcnt(4)
	v_pk_mul_f32 v[14:15], v[2:3], v[20:21]
	ds_write2st64_b32 v12, v14, v15 offset0:8 offset1:10
	s_waitcnt lgkmcnt(4)
	v_pk_mul_f32 v[14:15], v[2:3], v[22:23]
	ds_write2st64_b32 v12, v14, v15 offset0:12 offset1:14
	ds_read2st64_b32 v[14:15], v12 offset0:20 offset1:22
	s_waitcnt lgkmcnt(3)
	v_pk_mul_f32 v[18:19], v[2:3], v[18:19]
	ds_read2st64_b32 v[20:21], v12 offset0:24 offset1:26
	ds_write2st64_b32 v12, v18, v19 offset0:16 offset1:18
	ds_read2st64_b32 v[18:19], v12 offset0:28 offset1:30
	s_waitcnt lgkmcnt(3)
	v_pk_mul_f32 v[14:15], v[2:3], v[14:15]
	ds_write2st64_b32 v12, v14, v15 offset0:20 offset1:22
	s_waitcnt lgkmcnt(3)
	v_pk_mul_f32 v[14:15], v[2:3], v[20:21]
	ds_write2st64_b32 v12, v14, v15 offset0:24 offset1:26
	s_waitcnt lgkmcnt(2)
	v_pk_mul_f32 v[14:15], v[2:3], v[18:19]
	s_add_i32 s19, s19, 16
	v_cmp_eq_u32_e32 vcc, 0, v9
	ds_write2st64_b32 v12, v14, v15 offset0:28 offset1:30
	v_add_u32_e32 v12, 0x2000, v12
	s_or_b64 s[40:41], vcc, s[40:41]
	v_mov_b32_e32 v13, s19
	s_andn2_b64 exec, exec, s[40:41]
	s_cbranch_execnz .LBB96_36
; %bb.37:
	s_or_b64 exec, exec, s[40:41]
.LBB96_38:
	s_or_b64 exec, exec, s[12:13]
	v_and_b32_e32 v8, 7, v8
	v_cmp_ne_u32_e32 vcc, 0, v8
	s_and_saveexec_b64 s[12:13], vcc
	s_cbranch_execz .LBB96_41
; %bb.39:
	v_lshlrev_b32_e32 v9, 9, v13
	v_lshlrev_b32_e32 v12, 2, v0
	s_movk_i32 s19, 0x110
	v_add3_u32 v9, v9, v12, s19
	s_mov_b64 s[40:41], 0
.LBB96_40:                              ; =>This Inner Loop Header: Depth=1
	ds_read2st64_b32 v[12:13], v9 offset1:2
	v_add_u32_e32 v8, -1, v8
	v_cmp_eq_u32_e32 vcc, 0, v8
	s_or_b64 s[40:41], vcc, s[40:41]
	s_waitcnt lgkmcnt(0)
	v_pk_mul_f32 v[12:13], v[2:3], v[12:13]
	ds_write2st64_b32 v9, v12, v13 offset1:2
	v_add_u32_e32 v9, 0x400, v9
	s_andn2_b64 exec, exec, s[40:41]
	s_cbranch_execnz .LBB96_40
.LBB96_41:
	s_or_b64 exec, exec, s[12:13]
	v_add_u32_e32 v7, 1, v7
	v_and_b32_e32 v8, 0x3fffffe, v7
	v_cmp_ne_u32_e32 vcc, v7, v8
	v_lshl_add_u32 v3, v8, 7, v0
	s_orn2_b64 s[12:13], vcc, exec
.LBB96_42:
	s_or_b64 exec, exec, s[10:11]
	s_and_b64 exec, exec, s[12:13]
	s_cbranch_execz .LBB96_45
; %bb.43:
	v_mov_b32_e32 v7, 0x110
	v_lshl_add_u32 v7, v3, 2, v7
	s_mov_b64 s[10:11], 0
.LBB96_44:                              ; =>This Inner Loop Header: Depth=1
	ds_read_b32 v8, v7
	v_add_u32_e32 v3, 0x80, v3
	v_cmp_le_i32_e32 vcc, s7, v3
	s_or_b64 s[10:11], vcc, s[10:11]
	s_waitcnt lgkmcnt(0)
	v_mul_f32_e32 v8, v2, v8
	ds_write_b32 v7, v8
	v_add_u32_e32 v7, 0x200, v7
	s_andn2_b64 exec, exec, s[10:11]
	s_cbranch_execnz .LBB96_44
.LBB96_45:
	s_or_b64 exec, exec, s[4:5]
	s_mul_i32 s4, s15, s30
	v_cmp_eq_u32_e32 vcc, 0, v0
	s_mul_i32 s4, s4, s9
	s_waitcnt lgkmcnt(0)
	s_barrier
	s_and_saveexec_b64 s[10:11], vcc
	s_cbranch_execz .LBB96_47
; %bb.46:
	s_ashr_i32 s5, s4, 31
	s_lshl_b64 s[12:13], s[4:5], 2
	s_add_u32 s5, s26, s12
	s_mul_i32 s6, s15, s6
	s_addc_u32 s9, s27, s13
	s_ashr_i32 s7, s6, 31
	s_lshl_b64 s[6:7], s[6:7], 2
	s_add_u32 s5, s5, s6
	s_addc_u32 s19, s9, s7
	s_ashr_i32 s9, s8, 31
	s_lshl_b64 s[26:27], s[8:9], 2
	s_add_u32 s40, s5, s26
	s_addc_u32 s41, s19, s27
	s_add_u32 s5, s24, s12
	s_addc_u32 s9, s25, s13
	;; [unrolled: 2-line block ×3, first 2 shown]
	s_add_u32 s6, s5, s26
	v_mov_b32_e32 v2, 0
	s_addc_u32 s7, s7, s27
	global_store_dword v2, v4, s[40:41]
	global_store_dword v2, v5, s[6:7]
.LBB96_47:
	s_or_b64 exec, exec, s[10:11]
	v_mov_b32_e32 v5, 0
	v_and_b32_e32 v18, 1, v0
	v_mov_b32_e32 v4, 0
	v_mov_b32_e32 v3, 0
	;; [unrolled: 1-line block ×3, first 2 shown]
	s_and_saveexec_b64 s[6:7], s[2:3]
	s_cbranch_execz .LBB96_61
; %bb.48:
	s_ashr_i32 s19, s18, 31
	s_sub_i32 s5, s50, s21
	s_lshl_b64 s[2:3], s[18:19], 1
	s_add_u32 s2, s38, s2
	v_lshlrev_b32_e32 v2, 3, v0
	s_addc_u32 s3, s39, s3
	s_abs_i32 s18, s22
	v_and_b32_e32 v19, 8, v2
	v_cvt_f32_u32_e32 v2, s18
	s_sub_i32 s10, 0, s18
	s_add_i32 s19, s16, -1
	s_mov_b32 s40, 0
	v_rcp_iflag_f32_e32 v2, v2
	s_mov_b32 s41, s40
	s_mov_b32 s42, s40
	;; [unrolled: 1-line block ×3, first 2 shown]
	v_mul_f32_e32 v2, 0x4f7ffffe, v2
	v_cvt_u32_f32_e32 v2, v2
	s_mov_b32 s9, s17
	s_mov_b32 s21, s31
	;; [unrolled: 1-line block ×3, first 2 shown]
	v_mul_lo_u32 v3, s10, v2
	v_mul_hi_u32 v3, v2, v3
	v_add_u32_e32 v20, v2, v3
	v_lshlrev_b32_e32 v2, 4, v0
	v_and_b32_e32 v2, 0x3f0, v2
	v_mov_b32_e32 v3, s3
	v_add_co_u32_e32 v21, vcc, s2, v2
	s_lshl_b64 s[2:3], s[36:37], 2
	v_addc_co_u32_e32 v22, vcc, 0, v3, vcc
	v_lshlrev_b64 v[2:3], 2, v[10:11]
	s_add_u32 s2, s34, s2
	s_addc_u32 s3, s35, s3
	v_add_co_u32_e32 v12, vcc, s2, v2
	v_lshlrev_b32_e32 v2, 5, v18
	v_mov_b32_e32 v4, s3
	v_lshl_or_b32 v2, v6, 6, v2
	v_addc_co_u32_e32 v13, vcc, v4, v3, vcc
	v_add_u32_e32 v11, 0x110, v2
	v_pk_mov_b32 v[2:3], s[40:41], s[40:41] op_sel:[0,1]
	s_mov_b32 s24, s31
	s_mov_b32 s25, s31
	;; [unrolled: 1-line block ×5, first 2 shown]
	s_mov_b64 s[10:11], 0
	v_pk_mov_b32 v[4:5], s[42:43], s[42:43] op_sel:[0,1]
	s_mov_b32 s34, 0x5040100
	s_branch .LBB96_51
.LBB96_49:                              ;   in Loop: Header=BB96_51 Depth=1
	s_or_b64 exec, exec, s[2:3]
	s_waitcnt vmcnt(0)
	;;#ASMSTART
	v_pk_mul_f16 v6, v34, v6;

	;;#ASMEND
	;;#ASMSTART
	v_pk_mul_f16 v7, v33, v7;

	;;#ASMEND
	;; [unrolled: 4-line block ×4, first 2 shown]
	;;#ASMSTART
	v_pk_add_f16 v6, v6, v7;

	;;#ASMEND
	;;#ASMSTART
	v_pk_add_f16 v6, v6, v8;

	;;#ASMEND
	;; [unrolled: 4-line block ×3, first 2 shown]
	v_add_f32_e32 v14, v35, v36
	v_lshrrev_b32_e32 v7, 16, v6
	v_and_b32_e32 v6, 0xffff, v6
	v_add_f32_e32 v2, v2, v14
	v_add_f32_e32 v14, v37, v38
	;;#ASMSTART
	v_cvt_f32_f16 v6, v6;
	;;#ASMEND
	v_add_f32_e32 v3, v3, v14
	v_add_f32_e32 v14, v39, v40
	;;#ASMSTART
	v_cvt_f32_f16 v7, v7;
	;;#ASMEND
	v_add_f32_e32 v6, v6, v7
	v_add_f32_e32 v4, v4, v14
	;; [unrolled: 1-line block ×3, first 2 shown]
.LBB96_50:                              ;   in Loop: Header=BB96_51 Depth=1
	s_or_b64 exec, exec, s[12:13]
	v_add_co_u32_e32 v12, vcc, 8, v12
	v_add_u32_e32 v10, 2, v10
	v_addc_co_u32_e32 v13, vcc, 0, v13, vcc
	v_cmp_le_i32_e32 vcc, s20, v10
	v_add_u32_e32 v1, 32, v1
	s_or_b64 s[10:11], vcc, s[10:11]
	v_add_u32_e32 v11, 0x80, v11
	s_andn2_b64 exec, exec, s[10:11]
	s_cbranch_execz .LBB96_60
.LBB96_51:                              ; =>This Inner Loop Header: Depth=1
	v_sub_u32_e32 v7, 0, v1
	v_max_i32_e32 v7, v1, v7
	v_mul_hi_u32 v8, v7, s48
	v_mul_lo_u32 v9, v8, s33
	v_sub_u32_e32 v7, v7, v9
	v_add_u32_e32 v9, 1, v8
	v_cmp_le_u32_e32 vcc, s33, v7
	v_cndmask_b32_e32 v8, v8, v9, vcc
	v_subrev_u32_e32 v9, s33, v7
	v_cndmask_b32_e32 v7, v7, v9, vcc
	v_ashrrev_i32_e32 v6, 31, v1
	v_add_u32_e32 v9, 1, v8
	v_cmp_le_u32_e32 vcc, s33, v7
	v_xor_b32_e32 v6, s23, v6
	v_cndmask_b32_e32 v7, v8, v9, vcc
	v_xor_b32_e32 v7, v7, v6
	v_sub_u32_e32 v6, v7, v6
	v_add_u32_e32 v7, s49, v6
	v_sub_u32_e32 v9, 0, v7
	v_ashrrev_i32_e32 v8, 31, v7
	v_max_i32_e32 v7, v7, v9
	v_mul_hi_u32 v9, v7, v20
	v_mul_lo_u32 v9, v9, s18
	v_sub_u32_e32 v7, v7, v9
	v_subrev_u32_e32 v9, s18, v7
	v_cmp_le_u32_e32 vcc, s18, v7
	v_cndmask_b32_e32 v7, v7, v9, vcc
	v_subrev_u32_e32 v9, s18, v7
	v_cmp_le_u32_e32 vcc, s18, v7
	v_cndmask_b32_e32 v7, v7, v9, vcc
	v_xor_b32_e32 v7, v7, v8
	v_sub_u32_e32 v7, v7, v8
	v_cmp_eq_u32_e32 vcc, 0, v7
	v_cmp_lt_i32_e64 s[2:3], s5, v6
	s_or_b64 s[2:3], vcc, s[2:3]
	s_and_saveexec_b64 s[12:13], s[2:3]
	s_cbranch_execz .LBB96_50
; %bb.52:                               ;   in Loop: Header=BB96_51 Depth=1
	global_load_dword v14, v[12:13], off
	ds_read2_b64 v[6:9], v11 offset1:1
	ds_read2_b64 v[24:27], v11 offset0:2 offset1:3
	v_add_u32_e32 v23, v19, v1
	v_or_b32_e32 v28, 5, v23
	s_waitcnt lgkmcnt(1)
	;;#ASMSTART
	v_cvt_f16_f32 v31, v6;

	;;#ASMEND
	;;#ASMSTART
	v_cvt_f16_f32 v32, v7;

	;;#ASMEND
	;; [unrolled: 4-line block ×4, first 2 shown]
	s_waitcnt lgkmcnt(0)
	;;#ASMSTART
	v_cvt_f16_f32 v36, v24;

	;;#ASMEND
	;;#ASMSTART
	v_cvt_f16_f32 v37, v25;

	;;#ASMEND
	;; [unrolled: 4-line block ×4, first 2 shown]
	v_add_u32_e32 v24, 1, v23
	v_or_b32_e32 v26, 3, v23
	v_or_b32_e32 v25, 2, v23
	;; [unrolled: 1-line block ×5, first 2 shown]
	s_waitcnt vmcnt(0)
	v_mad_i64_i32 v[6:7], s[2:3], v14, s9, 0
	v_lshlrev_b64 v[6:7], 1, v[6:7]
	v_add_co_u32_e32 v14, vcc, v21, v6
	v_addc_co_u32_e32 v15, vcc, v22, v7, vcc
	global_load_dwordx4 v[6:9], v[14:15], off
	v_cmp_eq_u32_e32 vcc, s19, v10
	s_and_saveexec_b64 s[16:17], vcc
	s_cbranch_execz .LBB96_54
; %bb.53:                               ;   in Loop: Header=BB96_51 Depth=1
	s_waitcnt vmcnt(0)
	v_lshrrev_b32_e32 v34, 16, v9
	v_cmp_gt_i32_e64 s[2:3], s30, v30
	v_cndmask_b32_e64 v34, 0, v34, s[2:3]
	v_cmp_gt_i32_e64 s[2:3], s27, v29
	v_cndmask_b32_e64 v9, 0, v9, s[2:3]
	v_perm_b32 v9, v34, v9, s34
	v_lshrrev_b32_e32 v34, 16, v8
	v_cmp_gt_i32_e64 s[2:3], s26, v28
	v_cndmask_b32_e64 v34, 0, v34, s[2:3]
	v_cmp_gt_i32_e64 s[2:3], s25, v27
	v_cndmask_b32_e64 v8, 0, v8, s[2:3]
	v_perm_b32 v8, v34, v8, s34
	;; [unrolled: 6-line block ×4, first 2 shown]
.LBB96_54:                              ;   in Loop: Header=BB96_51 Depth=1
	s_or_b64 exec, exec, s[16:17]
	v_and_b32_e32 v31, 0xffff, v31
	v_lshl_or_b32 v34, v32, 16, v31
	v_and_b32_e32 v31, 0xffff, v33
	v_lshl_or_b32 v33, v35, 16, v31
	;; [unrolled: 2-line block ×3, first 2 shown]
	v_and_b32_e32 v31, 0xffff, v38
	s_waitcnt vmcnt(0)
	;;#ASMSTART
	v_pk_mul_f16 v6, v34, v6;

	;;#ASMEND
	v_lshl_or_b32 v31, v39, 16, v31
	;;#ASMSTART
	v_pk_mul_f16 v7, v33, v7;

	;;#ASMEND
	;;#ASMSTART
	v_pk_mul_f16 v8, v32, v8;

	;;#ASMEND
	;; [unrolled: 4-line block ×3, first 2 shown]
	;;#ASMSTART
	v_pk_add_f16 v6, v6, v7;

	;;#ASMEND
	;;#ASMSTART
	v_pk_add_f16 v6, v6, v8;

	;;#ASMEND
	;; [unrolled: 4-line block ×3, first 2 shown]
	v_lshrrev_b32_e32 v7, 16, v6
	v_and_b32_e32 v6, 0xffff, v6
	;;#ASMSTART
	v_cvt_f32_f16 v35, v6;
	;;#ASMEND
	;;#ASMSTART
	v_cvt_f32_f16 v36, v7;
	;;#ASMEND
	global_load_dwordx4 v[6:9], v[14:15], off offset:1024
	s_and_saveexec_b64 s[16:17], vcc
	s_cbranch_execz .LBB96_56
; %bb.55:                               ;   in Loop: Header=BB96_51 Depth=1
	s_waitcnt vmcnt(0)
	v_lshrrev_b32_e32 v37, 16, v9
	v_cmp_gt_i32_e64 s[2:3], s30, v30
	v_cndmask_b32_e64 v37, 0, v37, s[2:3]
	v_cmp_gt_i32_e64 s[2:3], s27, v29
	v_cndmask_b32_e64 v9, 0, v9, s[2:3]
	v_perm_b32 v9, v37, v9, s34
	v_lshrrev_b32_e32 v37, 16, v8
	v_cmp_gt_i32_e64 s[2:3], s26, v28
	v_cndmask_b32_e64 v37, 0, v37, s[2:3]
	v_cmp_gt_i32_e64 s[2:3], s25, v27
	v_cndmask_b32_e64 v8, 0, v8, s[2:3]
	v_perm_b32 v8, v37, v8, s34
	;; [unrolled: 6-line block ×4, first 2 shown]
.LBB96_56:                              ;   in Loop: Header=BB96_51 Depth=1
	s_or_b64 exec, exec, s[16:17]
	s_waitcnt vmcnt(0)
	;;#ASMSTART
	v_pk_mul_f16 v6, v34, v6;

	;;#ASMEND
	;;#ASMSTART
	v_pk_mul_f16 v7, v33, v7;

	;;#ASMEND
	;; [unrolled: 4-line block ×4, first 2 shown]
	;;#ASMSTART
	v_pk_add_f16 v6, v6, v7;

	;;#ASMEND
	;;#ASMSTART
	v_pk_add_f16 v6, v6, v8;

	;;#ASMEND
	;; [unrolled: 4-line block ×3, first 2 shown]
	v_lshrrev_b32_e32 v7, 16, v6
	v_and_b32_e32 v6, 0xffff, v6
	;;#ASMSTART
	v_cvt_f32_f16 v37, v6;
	;;#ASMEND
	;;#ASMSTART
	v_cvt_f32_f16 v38, v7;
	;;#ASMEND
	global_load_dwordx4 v[6:9], v[14:15], off offset:2048
	s_and_saveexec_b64 s[16:17], vcc
	s_cbranch_execz .LBB96_58
; %bb.57:                               ;   in Loop: Header=BB96_51 Depth=1
	s_waitcnt vmcnt(0)
	v_lshrrev_b32_e32 v39, 16, v9
	v_cmp_gt_i32_e64 s[2:3], s30, v30
	v_cndmask_b32_e64 v39, 0, v39, s[2:3]
	v_cmp_gt_i32_e64 s[2:3], s27, v29
	v_cndmask_b32_e64 v9, 0, v9, s[2:3]
	v_perm_b32 v9, v39, v9, s34
	v_lshrrev_b32_e32 v39, 16, v8
	v_cmp_gt_i32_e64 s[2:3], s26, v28
	v_cndmask_b32_e64 v39, 0, v39, s[2:3]
	v_cmp_gt_i32_e64 s[2:3], s25, v27
	v_cndmask_b32_e64 v8, 0, v8, s[2:3]
	v_perm_b32 v8, v39, v8, s34
	;; [unrolled: 6-line block ×4, first 2 shown]
.LBB96_58:                              ;   in Loop: Header=BB96_51 Depth=1
	s_or_b64 exec, exec, s[16:17]
	s_waitcnt vmcnt(0)
	;;#ASMSTART
	v_pk_mul_f16 v6, v34, v6;

	;;#ASMEND
	;;#ASMSTART
	v_pk_mul_f16 v7, v33, v7;

	;;#ASMEND
	;; [unrolled: 4-line block ×4, first 2 shown]
	;;#ASMSTART
	v_pk_add_f16 v6, v6, v7;

	;;#ASMEND
	;;#ASMSTART
	v_pk_add_f16 v6, v6, v8;

	;;#ASMEND
	;; [unrolled: 4-line block ×3, first 2 shown]
	v_lshrrev_b32_e32 v7, 16, v6
	v_and_b32_e32 v6, 0xffff, v6
	;;#ASMSTART
	v_cvt_f32_f16 v39, v6;
	;;#ASMEND
	;;#ASMSTART
	v_cvt_f32_f16 v40, v7;
	;;#ASMEND
	global_load_dwordx4 v[6:9], v[14:15], off offset:3072
	s_and_saveexec_b64 s[2:3], vcc
	s_cbranch_execz .LBB96_49
; %bb.59:                               ;   in Loop: Header=BB96_51 Depth=1
	s_waitcnt vmcnt(0)
	v_lshrrev_b32_e32 v14, 16, v9
	v_cmp_gt_i32_e32 vcc, s30, v30
	v_cndmask_b32_e32 v14, 0, v14, vcc
	v_cmp_gt_i32_e32 vcc, s27, v29
	v_cndmask_b32_e32 v9, 0, v9, vcc
	v_perm_b32 v9, v14, v9, s34
	v_lshrrev_b32_e32 v14, 16, v8
	v_cmp_gt_i32_e32 vcc, s26, v28
	v_cndmask_b32_e32 v14, 0, v14, vcc
	v_cmp_gt_i32_e32 vcc, s25, v27
	v_cndmask_b32_e32 v8, 0, v8, vcc
	v_perm_b32 v8, v14, v8, s34
	v_lshrrev_b32_e32 v14, 16, v7
	v_cmp_gt_i32_e32 vcc, s24, v26
	v_cndmask_b32_e32 v14, 0, v14, vcc
	v_cmp_gt_i32_e32 vcc, s22, v25
	v_cndmask_b32_e32 v7, 0, v7, vcc
	v_perm_b32 v7, v14, v7, s34
	v_lshrrev_b32_e32 v14, 16, v6
	v_cmp_gt_i32_e32 vcc, s21, v24
	v_cndmask_b32_e32 v14, 0, v14, vcc
	v_cmp_gt_i32_e32 vcc, s31, v23
	v_cndmask_b32_e32 v6, 0, v6, vcc
	v_perm_b32 v6, v14, v6, s34
	s_branch .LBB96_49
.LBB96_60:
	s_or_b64 exec, exec, s[10:11]
.LBB96_61:
	s_or_b64 exec, exec, s[6:7]
	ds_bpermute_b32 v6, v17, v2
	ds_bpermute_b32 v7, v17, v3
	;; [unrolled: 1-line block ×4, first 2 shown]
	v_and_b32_e32 v1, 0x3c1, v0
	v_cmp_eq_u32_e32 vcc, 64, v1
	s_waitcnt lgkmcnt(2)
	v_pk_add_f32 v[6:7], v[2:3], v[6:7]
	s_waitcnt lgkmcnt(0)
	v_pk_add_f32 v[2:3], v[4:5], v[8:9]
	s_barrier
	s_and_saveexec_b64 s[2:3], vcc
	s_cbranch_execz .LBB96_63
; %bb.62:
	v_mov_b32_e32 v4, 0x110
	v_lshl_add_u32 v4, v16, 1, v4
	ds_write2_b32 v4, v6, v7 offset1:32
	ds_write2_b32 v4, v2, v3 offset0:64 offset1:96
.LBB96_63:
	s_or_b64 exec, exec, s[2:3]
	s_waitcnt lgkmcnt(0)
	s_barrier
	s_and_saveexec_b64 s[2:3], s[0:1]
	s_cbranch_execz .LBB96_70
; %bb.64:
	v_cmp_eq_u32_e32 vcc, 0, v18
	v_lshrrev_b32_e32 v4, 1, v0
	s_and_saveexec_b64 s[0:1], vcc
	s_cbranch_execnz .LBB96_73
; %bb.65:
	s_or_b64 exec, exec, s[0:1]
	s_and_saveexec_b64 s[0:1], vcc
	s_cbranch_execnz .LBB96_74
.LBB96_66:
	s_or_b64 exec, exec, s[0:1]
	s_and_saveexec_b64 s[0:1], vcc
	s_cbranch_execnz .LBB96_75
.LBB96_67:
	s_or_b64 exec, exec, s[0:1]
	s_and_saveexec_b64 s[0:1], vcc
	s_cbranch_execz .LBB96_69
.LBB96_68:
	v_mov_b32_e32 v5, 0x110
	v_lshl_add_u32 v4, v4, 2, v5
	ds_read_b32 v4, v4 offset:384
	s_waitcnt lgkmcnt(0)
	v_add_f32_e32 v3, v3, v4
.LBB96_69:
	s_or_b64 exec, exec, s[0:1]
.LBB96_70:
	s_or_b64 exec, exec, s[2:3]
	v_cmp_eq_u32_e32 vcc, 0, v1
	s_barrier
	s_and_saveexec_b64 s[0:1], vcc
	s_cbranch_execz .LBB96_72
; %bb.71:
	s_lshl_b32 s0, s4, 7
	s_ashr_i32 s1, s0, 31
	s_lshl_b64 s[0:1], s[0:1], 1
	s_add_u32 s2, s28, s0
	s_mul_i32 s0, s15, s14
	s_addc_u32 s3, s29, s1
	s_ashr_i32 s1, s0, 31
	s_lshl_b64 s[0:1], s[0:1], 1
	s_add_u32 s2, s2, s0
	s_addc_u32 s3, s3, s1
	s_lshl_b32 s0, s8, 7
	s_ashr_i32 s1, s0, 31
	s_lshl_b64 s[0:1], s[0:1], 1
	s_add_u32 s0, s2, s0
	s_addc_u32 s1, s3, s1
	;;#ASMSTART
	v_cvt_f16_f32 v1, v6;

	;;#ASMEND
	global_store_short v0, v1, s[0:1]
	;;#ASMSTART
	v_cvt_f16_f32 v1, v7;

	;;#ASMEND
	global_store_short v0, v1, s[0:1] offset:64
	;;#ASMSTART
	v_cvt_f16_f32 v1, v2;

	;;#ASMEND
	global_store_short v0, v1, s[0:1] offset:128
	;; [unrolled: 5-line block ×3, first 2 shown]
.LBB96_72:
	s_endpgm
.LBB96_73:
	v_mov_b32_e32 v5, 0x110
	v_lshl_add_u32 v5, v4, 2, v5
	ds_read_b32 v5, v5
	s_waitcnt lgkmcnt(0)
	v_add_f32_e32 v6, v6, v5
	s_or_b64 exec, exec, s[0:1]
	s_and_saveexec_b64 s[0:1], vcc
	s_cbranch_execz .LBB96_66
.LBB96_74:
	v_mov_b32_e32 v5, 0x110
	v_lshl_add_u32 v5, v4, 2, v5
	ds_read_b32 v5, v5 offset:128
	s_waitcnt lgkmcnt(0)
	v_add_f32_e32 v7, v7, v5
	s_or_b64 exec, exec, s[0:1]
	s_and_saveexec_b64 s[0:1], vcc
	s_cbranch_execz .LBB96_67
.LBB96_75:
	v_mov_b32_e32 v5, 0x110
	v_lshl_add_u32 v5, v4, 2, v5
	ds_read_b32 v5, v5 offset:256
	s_waitcnt lgkmcnt(0)
	v_add_f32_e32 v2, v2, v5
	s_or_b64 exec, exec, s[0:1]
	s_and_saveexec_b64 s[0:1], vcc
	s_cbranch_execnz .LBB96_68
	s_branch .LBB96_69
	.section	.rodata,"a",@progbits
	.p2align	6, 0x0
	.amdhsa_kernel _ZN4vllm25paged_attention_v2_kernelIttLi128ELi16ELi128ELNS_18Fp8KVCacheDataTypeE0ELb1ELi512EEEvPfS2_PT_PKS3_PKT0_S9_ifPKiSB_iPKfiiiSD_SD_iiiii
		.amdhsa_group_segment_fixed_size 272
		.amdhsa_private_segment_fixed_size 0
		.amdhsa_kernarg_size 400
		.amdhsa_user_sgpr_count 6
		.amdhsa_user_sgpr_private_segment_buffer 1
		.amdhsa_user_sgpr_dispatch_ptr 0
		.amdhsa_user_sgpr_queue_ptr 0
		.amdhsa_user_sgpr_kernarg_segment_ptr 1
		.amdhsa_user_sgpr_dispatch_id 0
		.amdhsa_user_sgpr_flat_scratch_init 0
		.amdhsa_user_sgpr_kernarg_preload_length 0
		.amdhsa_user_sgpr_kernarg_preload_offset 0
		.amdhsa_user_sgpr_private_segment_size 0
		.amdhsa_uses_dynamic_stack 0
		.amdhsa_system_sgpr_private_segment_wavefront_offset 0
		.amdhsa_system_sgpr_workgroup_id_x 1
		.amdhsa_system_sgpr_workgroup_id_y 1
		.amdhsa_system_sgpr_workgroup_id_z 1
		.amdhsa_system_sgpr_workgroup_info 0
		.amdhsa_system_vgpr_workitem_id 0
		.amdhsa_next_free_vgpr 73
		.amdhsa_next_free_sgpr 54
		.amdhsa_accum_offset 76
		.amdhsa_reserve_vcc 1
		.amdhsa_reserve_flat_scratch 0
		.amdhsa_float_round_mode_32 0
		.amdhsa_float_round_mode_16_64 0
		.amdhsa_float_denorm_mode_32 3
		.amdhsa_float_denorm_mode_16_64 3
		.amdhsa_dx10_clamp 1
		.amdhsa_ieee_mode 1
		.amdhsa_fp16_overflow 0
		.amdhsa_tg_split 0
		.amdhsa_exception_fp_ieee_invalid_op 0
		.amdhsa_exception_fp_denorm_src 0
		.amdhsa_exception_fp_ieee_div_zero 0
		.amdhsa_exception_fp_ieee_overflow 0
		.amdhsa_exception_fp_ieee_underflow 0
		.amdhsa_exception_fp_ieee_inexact 0
		.amdhsa_exception_int_div_zero 0
	.end_amdhsa_kernel
	.section	.text._ZN4vllm25paged_attention_v2_kernelIttLi128ELi16ELi128ELNS_18Fp8KVCacheDataTypeE0ELb1ELi512EEEvPfS2_PT_PKS3_PKT0_S9_ifPKiSB_iPKfiiiSD_SD_iiiii,"axG",@progbits,_ZN4vllm25paged_attention_v2_kernelIttLi128ELi16ELi128ELNS_18Fp8KVCacheDataTypeE0ELb1ELi512EEEvPfS2_PT_PKS3_PKT0_S9_ifPKiSB_iPKfiiiSD_SD_iiiii,comdat
.Lfunc_end96:
	.size	_ZN4vllm25paged_attention_v2_kernelIttLi128ELi16ELi128ELNS_18Fp8KVCacheDataTypeE0ELb1ELi512EEEvPfS2_PT_PKS3_PKT0_S9_ifPKiSB_iPKfiiiSD_SD_iiiii, .Lfunc_end96-_ZN4vllm25paged_attention_v2_kernelIttLi128ELi16ELi128ELNS_18Fp8KVCacheDataTypeE0ELb1ELi512EEEvPfS2_PT_PKS3_PKT0_S9_ifPKiSB_iPKfiiiSD_SD_iiiii
                                        ; -- End function
	.section	.AMDGPU.csdata,"",@progbits
; Kernel info:
; codeLenInByte = 6836
; NumSgprs: 58
; NumVgprs: 73
; NumAgprs: 0
; TotalNumVgprs: 73
; ScratchSize: 0
; MemoryBound: 0
; FloatMode: 240
; IeeeMode: 1
; LDSByteSize: 272 bytes/workgroup (compile time only)
; SGPRBlocks: 7
; VGPRBlocks: 9
; NumSGPRsForWavesPerEU: 58
; NumVGPRsForWavesPerEU: 73
; AccumOffset: 76
; Occupancy: 6
; WaveLimiterHint : 1
; COMPUTE_PGM_RSRC2:SCRATCH_EN: 0
; COMPUTE_PGM_RSRC2:USER_SGPR: 6
; COMPUTE_PGM_RSRC2:TRAP_HANDLER: 0
; COMPUTE_PGM_RSRC2:TGID_X_EN: 1
; COMPUTE_PGM_RSRC2:TGID_Y_EN: 1
; COMPUTE_PGM_RSRC2:TGID_Z_EN: 1
; COMPUTE_PGM_RSRC2:TIDIG_COMP_CNT: 0
; COMPUTE_PGM_RSRC3_GFX90A:ACCUM_OFFSET: 18
; COMPUTE_PGM_RSRC3_GFX90A:TG_SPLIT: 0
	.section	.text._ZN4vllm25paged_attention_v2_kernelIttLi192ELi16ELi128ELNS_18Fp8KVCacheDataTypeE0ELb1ELi512EEEvPfS2_PT_PKS3_PKT0_S9_ifPKiSB_iPKfiiiSD_SD_iiiii,"axG",@progbits,_ZN4vllm25paged_attention_v2_kernelIttLi192ELi16ELi128ELNS_18Fp8KVCacheDataTypeE0ELb1ELi512EEEvPfS2_PT_PKS3_PKT0_S9_ifPKiSB_iPKfiiiSD_SD_iiiii,comdat
	.protected	_ZN4vllm25paged_attention_v2_kernelIttLi192ELi16ELi128ELNS_18Fp8KVCacheDataTypeE0ELb1ELi512EEEvPfS2_PT_PKS3_PKT0_S9_ifPKiSB_iPKfiiiSD_SD_iiiii ; -- Begin function _ZN4vllm25paged_attention_v2_kernelIttLi192ELi16ELi128ELNS_18Fp8KVCacheDataTypeE0ELb1ELi512EEEvPfS2_PT_PKS3_PKT0_S9_ifPKiSB_iPKfiiiSD_SD_iiiii
	.globl	_ZN4vllm25paged_attention_v2_kernelIttLi192ELi16ELi128ELNS_18Fp8KVCacheDataTypeE0ELb1ELi512EEEvPfS2_PT_PKS3_PKT0_S9_ifPKiSB_iPKfiiiSD_SD_iiiii
	.p2align	8
	.type	_ZN4vllm25paged_attention_v2_kernelIttLi192ELi16ELi128ELNS_18Fp8KVCacheDataTypeE0ELb1ELi512EEEvPfS2_PT_PKS3_PKT0_S9_ifPKiSB_iPKfiiiSD_SD_iiiii,@function
_ZN4vllm25paged_attention_v2_kernelIttLi192ELi16ELi128ELNS_18Fp8KVCacheDataTypeE0ELb1ELi512EEEvPfS2_PT_PKS3_PKT0_S9_ifPKiSB_iPKfiiiSD_SD_iiiii: ; @_ZN4vllm25paged_attention_v2_kernelIttLi192ELi16ELi128ELNS_18Fp8KVCacheDataTypeE0ELb1ELi512EEEvPfS2_PT_PKS3_PKT0_S9_ifPKiSB_iPKfiiiSD_SD_iiiii
; %bb.0:
	s_load_dwordx2 s[0:1], s[4:5], 0x40
	s_mov_b32 s28, s7
	s_ashr_i32 s29, s7, 31
	s_lshl_b64 s[2:3], s[28:29], 2
	s_waitcnt lgkmcnt(0)
	s_add_u32 s0, s0, s2
	s_addc_u32 s1, s1, s3
	s_load_dword s29, s[0:1], 0x0
	s_lshl_b32 s49, s8, 9
	s_waitcnt lgkmcnt(0)
	s_cmp_ge_i32 s49, s29
	s_cbranch_scc1 .LBB97_78
; %bb.1:
	s_load_dword s9, s[4:5], 0x90
	s_load_dwordx2 s[38:39], s[4:5], 0x30
	s_mov_b32 s50, 0
	s_waitcnt lgkmcnt(0)
	s_abs_i32 s2, s9
	s_abs_i32 s0, s38
	v_cvt_f32_u32_e32 v1, s0
	s_sub_i32 s3, 0, s0
	s_xor_b32 s1, s9, s38
	s_ashr_i32 s1, s1, 31
	v_rcp_iflag_f32_e32 v1, v1
	v_mul_f32_e32 v1, 0x4f7ffffe, v1
	v_cvt_u32_f32_e32 v1, v1
	v_readfirstlane_b32 s7, v1
	s_mul_i32 s3, s3, s7
	s_mul_hi_u32 s3, s7, s3
	s_add_i32 s7, s7, s3
	s_mul_hi_u32 s3, s2, s7
	s_mul_i32 s7, s3, s0
	s_sub_i32 s2, s2, s7
	s_add_i32 s10, s3, 1
	s_sub_i32 s7, s2, s0
	s_cmp_ge_u32 s2, s0
	s_cselect_b32 s3, s10, s3
	s_cselect_b32 s2, s7, s2
	s_add_i32 s7, s3, 1
	s_cmp_ge_u32 s2, s0
	s_cselect_b32 s0, s7, s3
	s_xor_b32 s0, s0, s1
	s_sub_i32 s11, s0, s1
	s_abs_i32 s2, s11
	v_cvt_f32_u32_e32 v1, s2
	s_load_dwordx2 s[0:1], s[4:5], 0x50
	s_sub_i32 s7, 0, s2
	s_abs_i32 s3, s6
	v_rcp_iflag_f32_e32 v1, v1
	v_mul_f32_e32 v1, 0x4f7ffffe, v1
	v_cvt_u32_f32_e32 v1, v1
	v_readfirstlane_b32 s10, v1
	s_mul_i32 s7, s7, s10
	s_mul_hi_u32 s7, s10, s7
	s_add_i32 s10, s10, s7
	s_waitcnt lgkmcnt(0)
	s_cmp_eq_u64 s[0:1], 0
	s_mul_hi_u32 s10, s3, s10
	s_cbranch_scc1 .LBB97_3
; %bb.2:
	s_ashr_i32 s7, s6, 31
	s_lshl_b64 s[12:13], s[6:7], 2
	s_add_u32 s0, s0, s12
	s_addc_u32 s1, s1, s13
	s_load_dword s50, s[0:1], 0x0
.LBB97_3:
	s_load_dwordx4 s[12:15], s[4:5], 0x58
	s_waitcnt lgkmcnt(0)
	s_movk_i32 s15, 0x60
	s_ashr_i32 s7, s6, 31
	s_ashr_i32 s11, s11, 31
	v_and_b32_e32 v2, 3, v0
	s_mul_i32 s24, s6, 0xc0
	v_cmp_gt_u32_e32 vcc, s15, v0
	s_and_saveexec_b64 s[0:1], vcc
	s_cbranch_execz .LBB97_5
; %bb.4:
	s_load_dwordx2 s[16:17], s[4:5], 0x18
	s_mul_i32 s18, s28, s12
	s_ashr_i32 s19, s18, 31
	s_lshl_b64 s[18:19], s[18:19], 1
	v_lshlrev_b32_e32 v1, 2, v0
	s_waitcnt lgkmcnt(0)
	s_add_u32 s12, s16, s18
	s_addc_u32 s18, s17, s19
	s_ashr_i32 s25, s24, 31
	s_lshl_b64 s[16:17], s[24:25], 1
	s_add_u32 s16, s12, s16
	s_addc_u32 s17, s18, s17
	global_load_dword v1, v1, s[16:17]
	v_and_b32_e32 v3, 0x3fc, v0
	v_mad_u32_u24 v3, v2, s15, v3
	s_waitcnt vmcnt(0)
	ds_write_b32 v3, v1
.LBB97_5:
	s_or_b64 exec, exec, s[0:1]
	s_mul_i32 s1, s10, s2
	s_sub_i32 s1, s3, s1
	s_xor_b32 s0, s7, s11
	s_add_i32 s3, s10, 1
	s_sub_i32 s7, s1, s2
	s_load_dwordx4 s[16:19], s[4:5], 0x78
	s_cmp_ge_u32 s1, s2
	s_cselect_b32 s3, s3, s10
	s_load_dword s10, s[4:5], 0x88
	s_cselect_b32 s1, s7, s1
	s_add_i32 s7, s3, 1
	s_cmp_ge_u32 s1, s2
	s_cselect_b32 s1, s7, s3
	s_waitcnt lgkmcnt(0)
	s_abs_i32 s25, s19
	v_cvt_f32_u32_e32 v1, s25
	s_xor_b32 s1, s1, s0
	s_sub_i32 s2, s1, s0
	s_sub_i32 s0, 0, s25
	v_rcp_iflag_f32_e32 v1, v1
	s_add_i32 s11, s29, -1
	s_abs_i32 s3, s11
	v_mul_f32_e32 v1, 0x4f7ffffe, v1
	v_cvt_u32_f32_e32 v1, v1
	s_barrier
	v_readfirstlane_b32 s33, v1
	s_mul_i32 s0, s0, s33
	s_mul_hi_u32 s0, s33, s0
	s_add_i32 s33, s33, s0
	s_cmp_lt_i32 s10, 0
	s_mul_hi_u32 s7, s3, s33
	s_cbranch_scc0 .LBB97_7
; %bb.6:
	s_mul_i32 s0, s16, s38
	s_add_i32 s0, s2, s0
	s_mul_i32 s0, s0, s10
	s_sub_i32 s46, 1, s0
	s_mov_b64 s[0:1], 0
	s_branch .LBB97_8
.LBB97_7:
	s_mov_b64 s[0:1], -1
                                        ; implicit-def: $sgpr46
.LBB97_8:
	s_load_dwordx2 s[30:31], s[4:5], 0x38
	s_ashr_i32 s11, s11, 31
	s_andn2_b64 vcc, exec, s[0:1]
	s_ashr_i32 s47, s19, 31
	s_cbranch_vccnz .LBB97_10
; %bb.9:
	s_mul_i32 s0, s9, s16
	s_add_i32 s0, s0, s6
	s_mul_i32 s0, s0, s10
	s_add_i32 s46, s0, 1
.LBB97_10:
	s_load_dword s0, s[4:5], 0x48
	s_load_dwordx2 s[36:37], s[4:5], 0x28
	s_load_dword s19, s[4:5], 0x98
	s_load_dwordx4 s[20:23], s[4:5], 0x0
	s_load_dwordx2 s[26:27], s[4:5], 0x10
	s_mul_i32 s1, s7, s25
	s_waitcnt lgkmcnt(0)
	s_mul_i32 s34, s28, s0
	s_sub_i32 s1, s3, s1
	s_ashr_i32 s35, s34, 31
	s_xor_b32 s0, s11, s47
	s_add_i32 s3, s7, 1
	s_sub_i32 s10, s1, s25
	s_cmp_ge_u32 s1, s25
	s_cselect_b32 s3, s3, s7
	s_cselect_b32 s1, s10, s1
	s_add_i32 s7, s3, 1
	s_cmp_ge_u32 s1, s25
	s_cselect_b32 s1, s7, s3
	s_xor_b32 s1, s1, s0
	s_sub_i32 s16, s1, s0
	s_add_i32 s0, s29, 15
	s_ashr_i32 s1, s0, 31
	s_lshr_b32 s1, s1, 28
	s_add_i32 s0, s0, s1
	s_lshl_b32 s12, s8, 5
	s_ashr_i32 s7, s0, 4
	s_add_i32 s0, s12, 32
	v_lshrrev_b32_e32 v8, 6, v0
	s_min_i32 s48, s0, s7
	v_or_b32_e32 v12, s12, v8
	v_cmp_gt_i32_e64 s[0:1], s48, v12
	v_mov_b32_e32 v15, 0xff7fffff
	s_mul_i32 s14, s2, s14
	v_ashrrev_i32_e32 v13, 31, v12
	v_lshl_add_u32 v1, v8, 4, s49
	v_mbcnt_lo_u32_b32 v6, -1, 0
	s_and_saveexec_b64 s[40:41], s[0:1]
	s_cbranch_execz .LBB97_20
; %bb.11:
	s_load_dwordx2 s[2:3], s[4:5], 0x20
	s_ashr_i32 s15, s14, 31
	s_sub_i32 s38, s16, s17
	s_lshl_b64 s[4:5], s[14:15], 1
	v_bfe_u32 v7, v0, 2, 4
	s_waitcnt lgkmcnt(0)
	s_add_u32 s2, s2, s4
	s_addc_u32 s3, s3, s5
	s_abs_i32 s15, s18
	v_cvt_f32_u32_e32 v5, s15
	v_lshlrev_b32_e32 v3, 4, v7
	v_mov_b32_e32 v4, s3
	v_add_co_u32_e64 v3, s[2:3], s2, v3
	v_rcp_iflag_f32_e32 v5, v5
	v_lshlrev_b32_e32 v9, 2, v0
	v_addc_co_u32_e64 v4, s[2:3], 0, v4, s[2:3]
	v_and_b32_e32 v9, 12, v9
	v_add_co_u32_e64 v9, s[2:3], v3, v9
	v_mul_f32_e32 v3, 0x4f7ffffe, v5
	v_cvt_u32_f32_e32 v3, v3
	s_sub_i32 s4, 0, s15
	v_cmp_eq_u32_e32 vcc, 0, v2
	v_mul_u32_u24_e32 v11, 0x60, v2
	v_mul_lo_u32 v2, s4, v3
	s_lshl_b64 s[4:5], s[34:35], 2
	v_mul_hi_u32 v2, v3, v2
	s_add_u32 s4, s30, s4
	v_add_u32_e32 v14, v3, v2
	v_lshlrev_b64 v[2:3], 2, v[12:13]
	s_addc_u32 s5, s31, s5
	v_addc_co_u32_e64 v10, s[2:3], 0, v4, s[2:3]
	v_mov_b32_e32 v4, s5
	v_add_co_u32_e64 v2, s[4:5], s4, v2
	v_addc_co_u32_e64 v3, s[4:5], v4, v3, s[4:5]
	v_lshlrev_b32_e32 v4, 2, v7
	v_lshl_or_b32 v4, v8, 6, v4
	v_add_u32_e32 v17, 0x190, v4
	v_subrev_u32_e32 v4, s29, v7
	v_mbcnt_hi_u32_b32 v20, -1, v6
	v_add_u32_e32 v18, 1, v4
	v_and_b32_e32 v4, 64, v20
	s_mov_b32 s51, s13
	v_cmp_neq_f32_e64 s[2:3], s50, 0
	v_lshl_add_u32 v16, v8, 4, s49
	s_mov_b64 s[42:43], 0
	v_mov_b32_e32 v19, 0xff7fffff
	s_movk_i32 s52, 0x1000
	v_add_u32_e32 v21, 64, v4
	v_xor_b32_e32 v22, 2, v20
	v_xor_b32_e32 v23, 1, v20
	v_mov_b32_e32 v15, 0xff7fffff
	v_mov_b32_e32 v24, v12
	s_branch .LBB97_14
.LBB97_12:                              ;   in Loop: Header=BB97_14 Depth=1
	s_or_b64 exec, exec, s[44:45]
.LBB97_13:                              ;   in Loop: Header=BB97_14 Depth=1
	s_or_b64 exec, exec, s[10:11]
	v_add_co_u32_e64 v2, s[4:5], 8, v2
	v_add_u32_e32 v24, 2, v24
	v_addc_co_u32_e64 v3, s[4:5], 0, v3, s[4:5]
	v_cmp_le_i32_e64 s[4:5], s48, v24
	v_add_u32_e32 v16, 32, v16
	s_or_b64 s[42:43], s[4:5], s[42:43]
	v_add_u32_e32 v17, 0x80, v17
	s_andn2_b64 exec, exec, s[42:43]
	s_cbranch_execz .LBB97_19
.LBB97_14:                              ; =>This Inner Loop Header: Depth=1
	s_waitcnt lgkmcnt(0)
	v_sub_u32_e32 v5, 0, v16
	v_max_i32_e32 v5, v16, v5
	v_mul_hi_u32 v25, v5, s33
	v_mul_lo_u32 v26, v25, s25
	v_sub_u32_e32 v5, v5, v26
	v_add_u32_e32 v26, 1, v25
	v_cmp_le_u32_e64 s[4:5], s25, v5
	v_cndmask_b32_e64 v25, v25, v26, s[4:5]
	v_subrev_u32_e32 v26, s25, v5
	v_cndmask_b32_e64 v5, v5, v26, s[4:5]
	v_ashrrev_i32_e32 v4, 31, v16
	v_add_u32_e32 v26, 1, v25
	v_cmp_le_u32_e64 s[4:5], s25, v5
	v_xor_b32_e32 v4, s47, v4
	v_cndmask_b32_e64 v5, v25, v26, s[4:5]
	v_xor_b32_e32 v5, v5, v4
	v_sub_u32_e32 v4, v5, v4
	v_add_u32_e32 v5, s46, v4
	v_sub_u32_e32 v26, 0, v5
	v_ashrrev_i32_e32 v25, 31, v5
	v_max_i32_e32 v5, v5, v26
	v_mul_hi_u32 v26, v5, v14
	v_mul_lo_u32 v26, v26, s15
	v_sub_u32_e32 v5, v5, v26
	v_subrev_u32_e32 v26, s15, v5
	v_cmp_le_u32_e64 s[4:5], s15, v5
	v_cndmask_b32_e64 v5, v5, v26, s[4:5]
	v_subrev_u32_e32 v26, s15, v5
	v_cmp_le_u32_e64 s[4:5], s15, v5
	v_cndmask_b32_e64 v5, v5, v26, s[4:5]
	v_xor_b32_e32 v5, v5, v25
	v_sub_u32_e32 v5, v5, v25
	v_cmp_ne_u32_e64 s[4:5], 0, v5
	v_cmp_ge_i32_e64 s[10:11], s38, v4
	s_and_b64 s[4:5], s[4:5], s[10:11]
	s_and_b64 s[44:45], vcc, s[4:5]
	s_and_saveexec_b64 s[10:11], s[44:45]
	s_cbranch_execz .LBB97_16
; %bb.15:                               ;   in Loop: Header=BB97_14 Depth=1
	ds_write_b32 v17, v19
.LBB97_16:                              ;   in Loop: Header=BB97_14 Depth=1
	s_or_b64 exec, exec, s[10:11]
	s_xor_b64 s[4:5], s[4:5], -1
	s_and_saveexec_b64 s[10:11], s[4:5]
	s_cbranch_execz .LBB97_13
; %bb.17:                               ;   in Loop: Header=BB97_14 Depth=1
	global_load_dword v4, v[2:3], off
	s_waitcnt vmcnt(0)
	v_mad_i64_i32 v[4:5], s[4:5], v4, s51, 0
	v_lshlrev_b64 v[4:5], 1, v[4:5]
	v_add_co_u32_e64 v4, s[4:5], v9, v4
	v_addc_co_u32_e64 v5, s[4:5], v10, v5, s[4:5]
	global_load_dword v36, v[4:5], off
	global_load_dword v35, v[4:5], off offset:256
	global_load_dword v34, v[4:5], off offset:512
	;; [unrolled: 1-line block ×11, first 2 shown]
	ds_read_b32 v37, v11
	global_load_dword v42, v[4:5], off offset:3072
	global_load_dword v43, v[4:5], off offset:3328
	;; [unrolled: 1-line block ×4, first 2 shown]
	v_cmp_lt_i32_e64 s[4:5], v22, v21
	v_cndmask_b32_e64 v25, v20, v22, s[4:5]
	v_add_co_u32_e64 v38, s[4:5], s52, v4
	v_addc_co_u32_e64 v39, s[4:5], 0, v5, s[4:5]
	s_waitcnt lgkmcnt(0)
	v_lshrrev_b32_e32 v40, 16, v37
	v_and_b32_e32 v37, 0xffff, v37
	global_load_dword v46, v[38:39], off
	global_load_dword v47, v[38:39], off offset:256
	global_load_dword v48, v[38:39], off offset:512
	;; [unrolled: 1-line block ×7, first 2 shown]
	;;#ASMSTART
	v_cvt_f32_f16 v37, v37;
	;;#ASMEND
	;;#ASMSTART
	v_cvt_f32_f16 v38, v40;
	;;#ASMEND
	v_lshlrev_b32_e32 v25, 2, v25
	v_cmp_lt_i32_e64 s[4:5], v23, v21
	s_waitcnt vmcnt(23)
	v_lshrrev_b32_e32 v39, 16, v36
	v_and_b32_e32 v36, 0xffff, v36
	;;#ASMSTART
	v_cvt_f32_f16 v36, v36;
	;;#ASMEND
	;;#ASMSTART
	v_cvt_f32_f16 v39, v39;
	;;#ASMEND
	ds_read_b32 v40, v11 offset:4
	s_waitcnt vmcnt(22)
	v_lshrrev_b32_e32 v52, 16, v35
	v_and_b32_e32 v35, 0xffff, v35
	s_waitcnt vmcnt(21)
	v_lshrrev_b32_e32 v53, 16, v34
	v_and_b32_e32 v34, 0xffff, v34
	s_waitcnt lgkmcnt(0)
	v_lshrrev_b32_e32 v54, 16, v40
	v_and_b32_e32 v40, 0xffff, v40
	;;#ASMSTART
	v_cvt_f32_f16 v40, v40;
	;;#ASMEND
	;;#ASMSTART
	v_cvt_f32_f16 v54, v54;
	;;#ASMEND
	;;#ASMSTART
	v_cvt_f32_f16 v35, v35;
	;;#ASMEND
	;;#ASMSTART
	v_cvt_f32_f16 v52, v52;
	;;#ASMEND
	ds_read_b32 v55, v11 offset:8
	s_waitcnt vmcnt(20)
	v_lshrrev_b32_e32 v56, 16, v33
	v_and_b32_e32 v33, 0xffff, v33
	s_waitcnt vmcnt(19)
	v_lshrrev_b32_e32 v57, 16, v32
	v_and_b32_e32 v32, 0xffff, v32
	s_waitcnt lgkmcnt(0)
	v_lshrrev_b32_e32 v58, 16, v55
	v_and_b32_e32 v55, 0xffff, v55
	;;#ASMSTART
	v_cvt_f32_f16 v55, v55;
	;;#ASMEND
	;;#ASMSTART
	v_cvt_f32_f16 v58, v58;
	;;#ASMEND
	;; [unrolled: 22-line block ×5, first 2 shown]
	;;#ASMSTART
	v_cvt_f32_f16 v31, v31;
	;;#ASMEND
	;;#ASMSTART
	v_cvt_f32_f16 v60, v60;
	;;#ASMEND
	ds_read_b32 v71, v11 offset:24
	v_mul_f32_e32 v35, v40, v35
	v_mul_f32_e32 v40, v54, v52
	s_waitcnt vmcnt(12)
	v_lshrrev_b32_e32 v72, 16, v41
	v_and_b32_e32 v41, 0xffff, v41
	s_waitcnt lgkmcnt(0)
	v_lshrrev_b32_e32 v74, 16, v71
	v_and_b32_e32 v71, 0xffff, v71
	;;#ASMSTART
	v_cvt_f32_f16 v71, v71;
	;;#ASMEND
	;;#ASMSTART
	v_cvt_f32_f16 v74, v74;
	;;#ASMEND
	;;#ASMSTART
	v_cvt_f32_f16 v30, v30;
	;;#ASMEND
	;;#ASMSTART
	v_cvt_f32_f16 v61, v61;
	;;#ASMEND
	ds_read_b32 v75, v11 offset:28
	v_fmac_f32_e32 v35, v37, v36
	v_fmac_f32_e32 v40, v38, v39
	s_waitcnt vmcnt(11)
	v_lshrrev_b32_e32 v73, 16, v42
	v_and_b32_e32 v42, 0xffff, v42
	s_waitcnt lgkmcnt(0)
	v_lshrrev_b32_e32 v78, 16, v75
	v_and_b32_e32 v75, 0xffff, v75
	;;#ASMSTART
	v_cvt_f32_f16 v75, v75;
	;;#ASMEND
	;;#ASMSTART
	v_cvt_f32_f16 v78, v78;
	;;#ASMEND
	;; [unrolled: 3-line block ×4, first 2 shown]
	ds_read_b32 v79, v11 offset:32
	v_fmac_f32_e32 v35, v55, v34
	s_waitcnt vmcnt(10)
	v_lshrrev_b32_e32 v76, 16, v43
	v_and_b32_e32 v43, 0xffff, v43
	v_fmac_f32_e32 v40, v58, v53
	s_waitcnt lgkmcnt(0)
	v_lshrrev_b32_e32 v82, 16, v79
	v_and_b32_e32 v79, 0xffff, v79
	;;#ASMSTART
	v_cvt_f32_f16 v79, v79;
	;;#ASMEND
	;;#ASMSTART
	v_cvt_f32_f16 v82, v82;
	;;#ASMEND
	;; [unrolled: 3-line block ×4, first 2 shown]
	ds_read_b32 v83, v11 offset:36
	v_fmac_f32_e32 v35, v59, v33
	s_waitcnt vmcnt(9)
	v_lshrrev_b32_e32 v77, 16, v44
	v_and_b32_e32 v44, 0xffff, v44
	v_fmac_f32_e32 v40, v62, v56
	s_waitcnt lgkmcnt(0)
	v_lshrrev_b32_e32 v86, 16, v83
	v_and_b32_e32 v83, 0xffff, v83
	;;#ASMSTART
	v_cvt_f32_f16 v83, v83;
	;;#ASMEND
	;;#ASMSTART
	v_cvt_f32_f16 v86, v86;
	;;#ASMEND
	;; [unrolled: 3-line block ×4, first 2 shown]
	ds_read_b32 v87, v11 offset:40
	v_fmac_f32_e32 v35, v63, v32
	v_fmac_f32_e32 v40, v66, v57
	;; [unrolled: 1-line block ×3, first 2 shown]
	s_waitcnt vmcnt(8)
	v_lshrrev_b32_e32 v80, 16, v45
	s_waitcnt lgkmcnt(0)
	v_lshrrev_b32_e32 v52, 16, v87
	v_and_b32_e32 v54, 0xffff, v87
	;;#ASMSTART
	v_cvt_f32_f16 v54, v54;
	;;#ASMEND
	;;#ASMSTART
	v_cvt_f32_f16 v52, v52;
	;;#ASMEND
	;; [unrolled: 3-line block ×4, first 2 shown]
	ds_read_b32 v87, v11 offset:44
	v_and_b32_e32 v45, 0xffff, v45
	v_fmac_f32_e32 v40, v70, v60
	v_fmac_f32_e32 v35, v71, v30
	;; [unrolled: 1-line block ×3, first 2 shown]
	s_waitcnt lgkmcnt(0)
	v_lshrrev_b32_e32 v36, 16, v87
	v_and_b32_e32 v37, 0xffff, v87
	;;#ASMSTART
	v_cvt_f32_f16 v37, v37;
	;;#ASMEND
	;;#ASMSTART
	v_cvt_f32_f16 v36, v36;
	;;#ASMEND
	;; [unrolled: 3-line block ×4, first 2 shown]
	ds_read_b32 v41, v11 offset:48
	v_fmac_f32_e32 v35, v75, v29
	s_waitcnt vmcnt(7)
	v_lshrrev_b32_e32 v81, 16, v46
	v_and_b32_e32 v46, 0xffff, v46
	v_fmac_f32_e32 v35, v79, v28
	s_waitcnt lgkmcnt(0)
	v_lshrrev_b32_e32 v34, 16, v41
	v_and_b32_e32 v41, 0xffff, v41
	;;#ASMSTART
	v_cvt_f32_f16 v41, v41;
	;;#ASMEND
	;;#ASMSTART
	v_cvt_f32_f16 v34, v34;
	;;#ASMEND
	;; [unrolled: 3-line block ×4, first 2 shown]
	ds_read_b32 v73, v11 offset:52
	v_fmac_f32_e32 v40, v78, v64
	v_fmac_f32_e32 v40, v82, v65
	;; [unrolled: 1-line block ×3, first 2 shown]
	s_waitcnt vmcnt(6)
	v_lshrrev_b32_e32 v84, 16, v47
	s_waitcnt lgkmcnt(0)
	v_lshrrev_b32_e32 v33, 16, v73
	v_and_b32_e32 v58, 0xffff, v73
	;;#ASMSTART
	v_cvt_f32_f16 v58, v58;
	;;#ASMEND
	;;#ASMSTART
	v_cvt_f32_f16 v33, v33;
	;;#ASMEND
	;; [unrolled: 3-line block ×4, first 2 shown]
	ds_read_b32 v73, v11 offset:56
	v_and_b32_e32 v47, 0xffff, v47
	v_fmac_f32_e32 v40, v86, v68
	v_fmac_f32_e32 v35, v54, v26
	v_fmac_f32_e32 v40, v52, v69
	s_waitcnt lgkmcnt(0)
	v_lshrrev_b32_e32 v32, 16, v73
	v_and_b32_e32 v56, 0xffff, v73
	;;#ASMSTART
	v_cvt_f32_f16 v56, v56;
	;;#ASMEND
	;;#ASMSTART
	v_cvt_f32_f16 v32, v32;
	;;#ASMEND
	;; [unrolled: 3-line block ×4, first 2 shown]
	ds_read_b32 v62, v11 offset:60
	v_fmac_f32_e32 v40, v36, v39
	v_fmac_f32_e32 v40, v34, v55
	s_waitcnt vmcnt(5)
	v_lshrrev_b32_e32 v85, 16, v48
	v_and_b32_e32 v48, 0xffff, v48
	s_waitcnt lgkmcnt(0)
	v_lshrrev_b32_e32 v30, 16, v62
	v_and_b32_e32 v31, 0xffff, v62
	;;#ASMSTART
	v_cvt_f32_f16 v31, v31;
	;;#ASMEND
	;;#ASMSTART
	v_cvt_f32_f16 v30, v30;
	;;#ASMEND
	;;#ASMSTART
	v_cvt_f32_f16 v45, v45;
	;;#ASMEND
	;;#ASMSTART
	v_cvt_f32_f16 v60, v80;
	;;#ASMEND
	ds_read_b32 v61, v11 offset:64
	v_fmac_f32_e32 v35, v37, v38
	v_fmac_f32_e32 v40, v33, v59
	;; [unrolled: 1-line block ×3, first 2 shown]
	s_waitcnt vmcnt(4)
	v_lshrrev_b32_e32 v88, 16, v49
	s_waitcnt lgkmcnt(0)
	v_lshrrev_b32_e32 v28, 16, v61
	v_and_b32_e32 v29, 0xffff, v61
	;;#ASMSTART
	v_cvt_f32_f16 v29, v29;
	;;#ASMEND
	;;#ASMSTART
	v_cvt_f32_f16 v28, v28;
	;;#ASMEND
	;; [unrolled: 3-line block ×4, first 2 shown]
	ds_read_b32 v62, v11 offset:68
	v_and_b32_e32 v49, 0xffff, v49
	v_fmac_f32_e32 v35, v41, v42
	v_fmac_f32_e32 v35, v58, v43
	;; [unrolled: 1-line block ×3, first 2 shown]
	s_waitcnt lgkmcnt(0)
	v_lshrrev_b32_e32 v26, 16, v62
	v_and_b32_e32 v27, 0xffff, v62
	;;#ASMSTART
	v_cvt_f32_f16 v27, v27;
	;;#ASMEND
	;;#ASMSTART
	v_cvt_f32_f16 v26, v26;
	;;#ASMEND
	;; [unrolled: 3-line block ×4, first 2 shown]
	ds_read_b32 v54, v11 offset:72
	v_fmac_f32_e32 v35, v31, v45
	v_fmac_f32_e32 v40, v30, v60
	;; [unrolled: 1-line block ×4, first 2 shown]
	s_waitcnt lgkmcnt(0)
	v_lshrrev_b32_e32 v34, 16, v54
	v_and_b32_e32 v36, 0xffff, v54
	;;#ASMSTART
	v_cvt_f32_f16 v36, v36;
	;;#ASMEND
	;;#ASMSTART
	v_cvt_f32_f16 v34, v34;
	;;#ASMEND
	;; [unrolled: 3-line block ×4, first 2 shown]
	ds_read_b32 v39, v11 offset:76
	s_waitcnt vmcnt(3)
	v_lshrrev_b32_e32 v89, 16, v50
	v_and_b32_e32 v50, 0xffff, v50
	v_fmac_f32_e32 v35, v27, v47
	v_fmac_f32_e32 v40, v26, v52
	s_waitcnt lgkmcnt(0)
	v_lshrrev_b32_e32 v32, 16, v39
	v_and_b32_e32 v33, 0xffff, v39
	;;#ASMSTART
	v_cvt_f32_f16 v33, v33;
	;;#ASMEND
	;;#ASMSTART
	v_cvt_f32_f16 v32, v32;
	;;#ASMEND
	;; [unrolled: 3-line block ×4, first 2 shown]
	ds_read_b32 v42, v11 offset:80
	s_waitcnt vmcnt(2)
	v_lshrrev_b32_e32 v72, 16, v51
	v_and_b32_e32 v51, 0xffff, v51
	v_fmac_f32_e32 v35, v36, v37
	v_fmac_f32_e32 v40, v34, v38
	s_waitcnt lgkmcnt(0)
	v_lshrrev_b32_e32 v28, 16, v42
	v_and_b32_e32 v29, 0xffff, v42
	;;#ASMSTART
	v_cvt_f32_f16 v29, v29;
	;;#ASMEND
	;;#ASMSTART
	v_cvt_f32_f16 v28, v28;
	;;#ASMEND
	;; [unrolled: 3-line block ×4, first 2 shown]
	ds_read_b32 v42, v11 offset:84
	v_fmac_f32_e32 v35, v33, v39
	v_fmac_f32_e32 v40, v32, v41
	s_waitcnt vmcnt(1)
	v_lshrrev_b32_e32 v87, 16, v5
	v_and_b32_e32 v5, 0xffff, v5
	s_waitcnt lgkmcnt(0)
	v_lshrrev_b32_e32 v26, 16, v42
	v_and_b32_e32 v27, 0xffff, v42
	;;#ASMSTART
	v_cvt_f32_f16 v27, v27;
	;;#ASMEND
	;;#ASMSTART
	v_cvt_f32_f16 v26, v26;
	;;#ASMEND
	;; [unrolled: 3-line block ×4, first 2 shown]
	ds_read_b32 v37, v11 offset:88
	v_fmac_f32_e32 v35, v29, v30
	v_fmac_f32_e32 v40, v28, v31
	;; [unrolled: 1-line block ×4, first 2 shown]
	s_waitcnt lgkmcnt(0)
	v_lshrrev_b32_e32 v28, 16, v37
	v_and_b32_e32 v29, 0xffff, v37
	;;#ASMSTART
	v_cvt_f32_f16 v29, v29;
	;;#ASMEND
	;;#ASMSTART
	v_cvt_f32_f16 v28, v28;
	;;#ASMEND
	;; [unrolled: 3-line block ×4, first 2 shown]
	ds_read_b32 v31, v11 offset:92
	s_waitcnt vmcnt(0)
	v_lshrrev_b32_e32 v53, 16, v4
	v_and_b32_e32 v4, 0xffff, v4
	v_fmac_f32_e32 v35, v29, v5
	v_fmac_f32_e32 v40, v28, v30
	s_waitcnt lgkmcnt(0)
	v_lshrrev_b32_e32 v5, 16, v31
	v_and_b32_e32 v26, 0xffff, v31
	;;#ASMSTART
	v_cvt_f32_f16 v26, v26;
	;;#ASMEND
	;;#ASMSTART
	v_cvt_f32_f16 v5, v5;
	;;#ASMEND
	;; [unrolled: 3-line block ×4, first 2 shown]
	v_fmac_f32_e32 v35, v26, v4
	v_fmac_f32_e32 v40, v5, v27
	v_add_f32_e32 v4, v35, v40
	ds_bpermute_b32 v5, v25, v4
	v_cndmask_b32_e64 v25, v20, v23, s[4:5]
	s_waitcnt lgkmcnt(0)
	v_add_f32_e32 v4, v4, v5
	v_lshlrev_b32_e32 v5, 2, v25
	ds_bpermute_b32 v5, v5, v4
	s_and_saveexec_b64 s[44:45], vcc
	s_cbranch_execz .LBB97_12
; %bb.18:                               ;   in Loop: Header=BB97_14 Depth=1
	v_add_u32_e32 v25, v18, v16
	v_cvt_f32_i32_e32 v25, v25
	s_waitcnt lgkmcnt(0)
	v_add_f32_e32 v4, v4, v5
	v_add_u32_e32 v26, v7, v16
	v_cmp_gt_i32_e64 s[4:5], s29, v26
	v_mul_f32_e32 v5, s50, v25
	v_cndmask_b32_e64 v5, 0, v5, s[2:3]
	v_fmac_f32_e32 v5, s39, v4
	v_cndmask_b32_e64 v4, 0, v5, s[4:5]
	ds_write_b32 v17, v4
	v_max_f32_e32 v4, v15, v15
	v_max_f32_e32 v4, v4, v5
	v_cndmask_b32_e64 v15, v15, v4, s[4:5]
	s_branch .LBB97_12
.LBB97_19:
	s_or_b64 exec, exec, s[42:43]
.LBB97_20:
	s_or_b64 exec, exec, s[40:41]
	v_mbcnt_hi_u32_b32 v2, -1, v6
	v_and_b32_e32 v3, 64, v2
	v_add_u32_e32 v3, 64, v3
	v_xor_b32_e32 v4, 32, v2
	v_cmp_lt_i32_e32 vcc, v4, v3
	v_cndmask_b32_e32 v4, v2, v4, vcc
	s_waitcnt lgkmcnt(0)
	v_lshlrev_b32_e32 v5, 2, v4
	ds_bpermute_b32 v4, v5, v15
	v_xor_b32_e32 v7, 16, v2
	v_max_f32_e32 v6, v15, v15
	v_cmp_lt_i32_e32 vcc, v7, v3
	v_xor_b32_e32 v9, 8, v2
	s_waitcnt lgkmcnt(0)
	v_max_f32_e32 v4, v4, v4
	v_max_f32_e32 v4, v6, v4
	v_cndmask_b32_e32 v6, v2, v7, vcc
	v_lshlrev_b32_e32 v6, 2, v6
	ds_bpermute_b32 v7, v6, v4
	v_cmp_lt_i32_e32 vcc, v9, v3
	v_and_b32_e32 v18, 63, v0
	s_waitcnt lgkmcnt(0)
	v_max_f32_e32 v7, v7, v7
	v_max_f32_e32 v4, v4, v7
	v_cndmask_b32_e32 v7, v2, v9, vcc
	v_lshlrev_b32_e32 v10, 2, v7
	ds_bpermute_b32 v7, v10, v4
	v_xor_b32_e32 v9, 4, v2
	v_cmp_lt_i32_e32 vcc, v9, v3
	s_waitcnt lgkmcnt(0)
	v_max_f32_e32 v7, v7, v7
	v_max_f32_e32 v4, v4, v7
	v_cndmask_b32_e32 v7, v2, v9, vcc
	v_lshlrev_b32_e32 v11, 2, v7
	ds_bpermute_b32 v9, v11, v4
	v_cmp_eq_u32_e32 vcc, 0, v18
	v_lshlrev_b32_e32 v7, 2, v8
	s_and_saveexec_b64 s[2:3], vcc
	s_cbranch_execz .LBB97_22
; %bb.21:
	s_waitcnt lgkmcnt(0)
	v_max_f32_e32 v9, v9, v9
	v_max_f32_e32 v4, v4, v4
	;; [unrolled: 1-line block ×3, first 2 shown]
	ds_write_b32 v7, v4 offset:384
.LBB97_22:
	s_or_b64 exec, exec, s[2:3]
	v_cmp_gt_u32_e64 s[2:3], 2, v18
	v_mov_b32_e32 v4, 0xff7fffff
	s_waitcnt lgkmcnt(0)
	v_lshlrev_b32_e32 v9, 2, v18
	s_barrier
	s_and_saveexec_b64 s[4:5], s[2:3]
	s_cbranch_execz .LBB97_24
; %bb.23:
	ds_read_b32 v4, v9 offset:384
.LBB97_24:
	s_or_b64 exec, exec, s[4:5]
	v_xor_b32_e32 v14, 1, v2
	v_cmp_lt_i32_e64 s[4:5], v14, v3
	v_cndmask_b32_e64 v14, v2, v14, s[4:5]
	v_lshlrev_b32_e32 v19, 2, v14
	s_waitcnt lgkmcnt(0)
	ds_bpermute_b32 v14, v19, v4
	v_max_f32_e32 v4, v4, v4
	s_sub_i32 s4, s48, s12
	s_lshl_b32 s4, s4, 4
	s_add_i32 s4, s4, s49
	s_waitcnt lgkmcnt(0)
	v_max_f32_e32 v14, v14, v14
	v_max_f32_e32 v4, v4, v14
	v_lshlrev_b32_e32 v14, 2, v2
	v_and_b32_e32 v14, 0x100, v14
	ds_bpermute_b32 v4, v14, v4
	s_min_i32 s15, s4, s29
	s_sub_i32 s12, s15, s49
	v_cmp_gt_i32_e64 s[4:5], s12, v0
	v_mov_b32_e32 v15, 0
	s_and_saveexec_b64 s[38:39], s[4:5]
	s_cbranch_execz .LBB97_28
; %bb.25:
	v_mov_b32_e32 v15, 0x190
	v_lshl_add_u32 v16, v0, 2, v15
	s_mov_b64 s[40:41], 0
	v_mov_b32_e32 v15, 0
	v_mov_b32_e32 v17, v0
.LBB97_26:                              ; =>This Inner Loop Header: Depth=1
	ds_read_b32 v20, v16
	v_add_u32_e32 v17, 0x80, v17
	v_cmp_le_i32_e64 s[10:11], s12, v17
	s_or_b64 s[40:41], s[10:11], s[40:41]
	s_waitcnt lgkmcnt(0)
	v_sub_f32_e32 v20, v20, v4
	v_mul_f32_e32 v20, 0x3fb8aa3b, v20
	v_exp_f32_e32 v20, v20
	ds_write_b32 v16, v20
	v_add_f32_e32 v15, v15, v20
	v_add_u32_e32 v16, 0x200, v16
	s_andn2_b64 exec, exec, s[40:41]
	s_cbranch_execnz .LBB97_26
; %bb.27:
	s_or_b64 exec, exec, s[40:41]
.LBB97_28:
	s_or_b64 exec, exec, s[38:39]
	ds_bpermute_b32 v5, v5, v15
	s_waitcnt lgkmcnt(0)
	v_add_f32_e32 v5, v15, v5
	ds_bpermute_b32 v6, v6, v5
	s_waitcnt lgkmcnt(0)
	v_add_f32_e32 v5, v5, v6
	ds_bpermute_b32 v6, v10, v5
	v_xor_b32_e32 v10, 2, v2
	v_cmp_lt_i32_e64 s[10:11], v10, v3
	v_cndmask_b32_e64 v2, v2, v10, s[10:11]
	v_lshlrev_b32_e32 v2, 2, v2
	s_waitcnt lgkmcnt(0)
	v_add_f32_e32 v5, v5, v6
	ds_bpermute_b32 v6, v11, v5
	s_waitcnt lgkmcnt(0)
	v_add_f32_e32 v3, v5, v6
	ds_bpermute_b32 v2, v2, v3
	;; [unrolled: 3-line block ×3, first 2 shown]
	s_waitcnt lgkmcnt(0)
	v_add_f32_e32 v2, v2, v3
	s_and_saveexec_b64 s[10:11], vcc
	s_cbranch_execz .LBB97_30
; %bb.29:
	ds_write_b32 v7, v2 offset:392
.LBB97_30:
	s_or_b64 exec, exec, s[10:11]
	s_waitcnt lgkmcnt(0)
	s_barrier
	s_and_saveexec_b64 s[10:11], s[2:3]
	s_cbranch_execz .LBB97_32
; %bb.31:
	ds_read_b32 v2, v9 offset:392
.LBB97_32:
	s_or_b64 exec, exec, s[10:11]
	s_waitcnt lgkmcnt(0)
	ds_bpermute_b32 v3, v19, v2
	s_waitcnt lgkmcnt(0)
	v_add_f32_e32 v2, v2, v3
	ds_bpermute_b32 v5, v14, v2
	s_and_saveexec_b64 s[2:3], s[4:5]
	s_cbranch_execz .LBB97_45
; %bb.33:
	s_waitcnt lgkmcnt(0)
	v_add_f32_e32 v2, 0x358637bd, v5
	v_div_scale_f32 v3, s[4:5], v2, v2, 1.0
	v_rcp_f32_e32 v6, v3
	v_div_scale_f32 v7, vcc, 1.0, v2, 1.0
	s_movk_i32 s4, 0x7f
	v_fma_f32 v9, -v3, v6, 1.0
	v_fmac_f32_e32 v6, v9, v6
	v_mul_f32_e32 v9, v7, v6
	v_fma_f32 v10, -v3, v9, v7
	v_fmac_f32_e32 v9, v10, v6
	v_fma_f32 v3, -v3, v9, v7
	v_div_fmas_f32 v3, v3, v6, v9
	v_div_fixup_f32 v2, v3, v2, 1.0
	v_xad_u32 v3, v0, -1, s15
	v_subrev_u32_e32 v6, s49, v3
	v_cmp_lt_u32_e32 vcc, s4, v6
	s_mov_b64 s[10:11], -1
	v_mov_b32_e32 v3, v0
	s_and_saveexec_b64 s[4:5], vcc
	s_cbranch_execz .LBB97_42
; %bb.34:
	v_lshrrev_b32_e32 v6, 7, v6
	v_add_u32_e32 v9, -1, v6
	v_lshrrev_b32_e32 v7, 1, v9
	v_mov_b32_e32 v3, v2
	v_add_u32_e32 v7, 1, v7
	v_cmp_lt_u32_e32 vcc, 13, v9
	v_mov_b32_e32 v11, 0
	s_and_saveexec_b64 s[10:11], vcc
	s_cbranch_execz .LBB97_38
; %bb.35:
	v_mov_b32_e32 v10, 0x190
	v_and_b32_e32 v9, -8, v7
	v_lshl_add_u32 v10, v0, 2, v10
	s_mov_b32 s15, 0
	s_mov_b64 s[38:39], 0
.LBB97_36:                              ; =>This Inner Loop Header: Depth=1
	ds_read2st64_b32 v[14:15], v10 offset1:2
	ds_read2st64_b32 v[16:17], v10 offset0:4 offset1:6
	ds_read2st64_b32 v[20:21], v10 offset0:8 offset1:10
	;; [unrolled: 1-line block ×3, first 2 shown]
	v_add_u32_e32 v9, -8, v9
	s_waitcnt lgkmcnt(3)
	v_pk_mul_f32 v[14:15], v[2:3], v[14:15]
	s_waitcnt lgkmcnt(2)
	v_pk_mul_f32 v[16:17], v[2:3], v[16:17]
	ds_write2st64_b32 v10, v14, v15 offset1:2
	ds_write2st64_b32 v10, v16, v17 offset0:4 offset1:6
	ds_read2st64_b32 v[16:17], v10 offset0:16 offset1:18
	s_waitcnt lgkmcnt(4)
	v_pk_mul_f32 v[14:15], v[2:3], v[20:21]
	ds_write2st64_b32 v10, v14, v15 offset0:8 offset1:10
	s_waitcnt lgkmcnt(4)
	v_pk_mul_f32 v[14:15], v[2:3], v[22:23]
	ds_write2st64_b32 v10, v14, v15 offset0:12 offset1:14
	ds_read2st64_b32 v[14:15], v10 offset0:20 offset1:22
	s_waitcnt lgkmcnt(3)
	v_pk_mul_f32 v[16:17], v[2:3], v[16:17]
	ds_read2st64_b32 v[20:21], v10 offset0:24 offset1:26
	ds_write2st64_b32 v10, v16, v17 offset0:16 offset1:18
	ds_read2st64_b32 v[16:17], v10 offset0:28 offset1:30
	s_waitcnt lgkmcnt(3)
	v_pk_mul_f32 v[14:15], v[2:3], v[14:15]
	ds_write2st64_b32 v10, v14, v15 offset0:20 offset1:22
	s_waitcnt lgkmcnt(3)
	v_pk_mul_f32 v[14:15], v[2:3], v[20:21]
	ds_write2st64_b32 v10, v14, v15 offset0:24 offset1:26
	s_waitcnt lgkmcnt(2)
	v_pk_mul_f32 v[14:15], v[2:3], v[16:17]
	s_add_i32 s15, s15, 16
	v_cmp_eq_u32_e32 vcc, 0, v9
	ds_write2st64_b32 v10, v14, v15 offset0:28 offset1:30
	v_add_u32_e32 v10, 0x2000, v10
	s_or_b64 s[38:39], vcc, s[38:39]
	v_mov_b32_e32 v11, s15
	s_andn2_b64 exec, exec, s[38:39]
	s_cbranch_execnz .LBB97_36
; %bb.37:
	s_or_b64 exec, exec, s[38:39]
.LBB97_38:
	s_or_b64 exec, exec, s[10:11]
	v_and_b32_e32 v7, 7, v7
	v_cmp_ne_u32_e32 vcc, 0, v7
	s_and_saveexec_b64 s[10:11], vcc
	s_cbranch_execz .LBB97_41
; %bb.39:
	v_lshlrev_b32_e32 v9, 9, v11
	v_lshlrev_b32_e32 v10, 2, v0
	s_movk_i32 s15, 0x190
	v_add3_u32 v9, v9, v10, s15
	s_mov_b64 s[38:39], 0
.LBB97_40:                              ; =>This Inner Loop Header: Depth=1
	ds_read2st64_b32 v[10:11], v9 offset1:2
	v_add_u32_e32 v7, -1, v7
	v_cmp_eq_u32_e32 vcc, 0, v7
	s_or_b64 s[38:39], vcc, s[38:39]
	s_waitcnt lgkmcnt(0)
	v_pk_mul_f32 v[10:11], v[2:3], v[10:11]
	ds_write2st64_b32 v9, v10, v11 offset1:2
	v_add_u32_e32 v9, 0x400, v9
	s_andn2_b64 exec, exec, s[38:39]
	s_cbranch_execnz .LBB97_40
.LBB97_41:
	s_or_b64 exec, exec, s[10:11]
	v_add_u32_e32 v6, 1, v6
	v_and_b32_e32 v7, 0x3fffffe, v6
	v_cmp_ne_u32_e32 vcc, v6, v7
	v_lshl_add_u32 v3, v7, 7, v0
	s_orn2_b64 s[10:11], vcc, exec
.LBB97_42:
	s_or_b64 exec, exec, s[4:5]
	s_and_b64 exec, exec, s[10:11]
	s_cbranch_execz .LBB97_45
; %bb.43:
	v_mov_b32_e32 v6, 0x190
	v_lshl_add_u32 v6, v3, 2, v6
	s_mov_b64 s[4:5], 0
.LBB97_44:                              ; =>This Inner Loop Header: Depth=1
	ds_read_b32 v7, v6
	v_add_u32_e32 v3, 0x80, v3
	v_cmp_le_i32_e32 vcc, s12, v3
	s_or_b64 s[4:5], vcc, s[4:5]
	s_waitcnt lgkmcnt(0)
	v_mul_f32_e32 v7, v2, v7
	ds_write_b32 v6, v7
	v_add_u32_e32 v6, 0x200, v6
	s_andn2_b64 exec, exec, s[4:5]
	s_cbranch_execnz .LBB97_44
.LBB97_45:
	s_or_b64 exec, exec, s[2:3]
	s_mul_i32 s2, s19, s28
	v_cmp_eq_u32_e32 vcc, 0, v0
	s_mul_i32 s2, s2, s9
	s_waitcnt lgkmcnt(0)
	s_barrier
	s_and_saveexec_b64 s[4:5], vcc
	s_cbranch_execz .LBB97_47
; %bb.46:
	s_ashr_i32 s3, s2, 31
	s_lshl_b64 s[10:11], s[2:3], 2
	s_add_u32 s3, s22, s10
	s_mul_i32 s22, s19, s6
	s_addc_u32 s9, s23, s11
	s_ashr_i32 s23, s22, 31
	s_lshl_b64 s[22:23], s[22:23], 2
	s_add_u32 s3, s3, s22
	s_addc_u32 s6, s9, s23
	s_ashr_i32 s9, s8, 31
	s_lshl_b64 s[38:39], s[8:9], 2
	s_add_u32 s40, s3, s38
	s_addc_u32 s41, s6, s39
	s_add_u32 s3, s20, s10
	s_addc_u32 s6, s21, s11
	s_add_u32 s3, s3, s22
	s_addc_u32 s6, s6, s23
	s_add_u32 s10, s3, s38
	v_mov_b32_e32 v2, 0
	s_addc_u32 s11, s6, s39
	global_store_dword v2, v4, s[40:41]
	global_store_dword v2, v5, s[10:11]
.LBB97_47:
	s_or_b64 exec, exec, s[4:5]
	s_mov_b32 s12, 0
	v_mov_b32_e32 v7, 0
	v_and_b32_e32 v20, 1, v0
	v_mov_b32_e32 v6, 0
	v_mov_b32_e32 v5, 0
	;; [unrolled: 1-line block ×5, first 2 shown]
	s_and_saveexec_b64 s[4:5], s[0:1]
	s_cbranch_execz .LBB97_65
; %bb.48:
	s_ashr_i32 s15, s14, 31
	s_sub_i32 s3, s16, s17
	s_lshl_b64 s[0:1], s[14:15], 1
	s_add_u32 s20, s36, s0
	v_lshlrev_b32_e32 v2, 3, v0
	s_addc_u32 s21, s37, s1
	s_abs_i32 s18, s18
	v_and_b32_e32 v21, 8, v2
	v_and_b32_e32 v10, 0x1f8, v2
	v_cvt_f32_u32_e32 v2, s18
	s_sub_i32 s0, 0, s18
	s_add_i32 s22, s7, -1
	s_mov_b32 s9, s13
	v_rcp_iflag_f32_e32 v2, v2
	s_mov_b32 s13, s12
	v_or_b32_e32 v16, 0x800, v10
	v_or_b32_e32 v26, 0xa00, v10
	v_mul_f32_e32 v2, 0x4f7ffffe, v2
	v_cvt_u32_f32_e32 v2, v2
	s_mov_b32 s14, s12
	s_mov_b32 s15, s12
	;; [unrolled: 1-line block ×3, first 2 shown]
	v_mul_lo_u32 v3, s0, v2
	v_mul_hi_u32 v3, v2, v3
	s_lshl_b64 s[0:1], s[34:35], 2
	v_add_u32_e32 v22, v2, v3
	v_lshlrev_b64 v[2:3], 2, v[12:13]
	s_add_u32 s0, s30, s0
	s_addc_u32 s1, s31, s1
	v_add_co_u32_e32 v14, vcc, s0, v2
	v_lshlrev_b32_e32 v2, 5, v20
	v_mov_b32_e32 v4, s1
	v_lshl_or_b32 v2, v8, 6, v2
	v_addc_co_u32_e32 v15, vcc, v4, v3, vcc
	v_add_u32_e32 v13, 0x190, v2
	s_mov_b32 s17, s12
	v_pk_mov_b32 v[2:3], s[12:13], s[12:13] op_sel:[0,1]
	s_mov_b32 s23, s29
	s_mov_b32 s28, s29
	;; [unrolled: 1-line block ×7, first 2 shown]
	s_mov_b64 s[6:7], 0
	v_pk_mov_b32 v[4:5], s[14:15], s[14:15] op_sel:[0,1]
	v_pk_mov_b32 v[6:7], s[16:17], s[16:17] op_sel:[0,1]
	v_lshlrev_b32_e32 v23, 1, v10
	s_mov_b32 s14, 0x5040100
	v_lshlrev_b32_e32 v24, 1, v16
	v_lshlrev_b32_e32 v25, 1, v26
	s_branch .LBB97_51
.LBB97_49:                              ;   in Loop: Header=BB97_51 Depth=1
	s_or_b64 exec, exec, s[0:1]
	s_waitcnt vmcnt(0)
	;;#ASMSTART
	v_pk_mul_f16 v8, v39, v8;

	;;#ASMEND
	;;#ASMSTART
	v_pk_mul_f16 v9, v38, v9;

	;;#ASMEND
	;; [unrolled: 4-line block ×4, first 2 shown]
	;;#ASMSTART
	v_pk_add_f16 v8, v8, v9;

	;;#ASMEND
	;;#ASMSTART
	v_pk_add_f16 v8, v8, v10;

	;;#ASMEND
	;; [unrolled: 4-line block ×3, first 2 shown]
	v_add_f32_e32 v26, v40, v41
	v_lshrrev_b32_e32 v9, 16, v8
	v_and_b32_e32 v8, 0xffff, v8
	v_add_f32_e32 v2, v2, v26
	v_add_f32_e32 v26, v42, v43
	;; [unrolled: 1-line block ×3, first 2 shown]
	;;#ASMSTART
	v_cvt_f32_f16 v8, v8;
	;;#ASMEND
	v_add_f32_e32 v3, v3, v26
	v_add_f32_e32 v26, v44, v45
	;; [unrolled: 1-line block ×4, first 2 shown]
	;;#ASMSTART
	v_cvt_f32_f16 v9, v9;
	;;#ASMEND
	v_add_f32_e32 v8, v8, v9
	v_add_f32_e32 v4, v4, v26
	;; [unrolled: 1-line block ×4, first 2 shown]
.LBB97_50:                              ;   in Loop: Header=BB97_51 Depth=1
	s_or_b64 exec, exec, s[10:11]
	v_add_co_u32_e32 v14, vcc, 8, v14
	v_add_u32_e32 v12, 2, v12
	v_addc_co_u32_e32 v15, vcc, 0, v15, vcc
	v_cmp_le_i32_e32 vcc, s48, v12
	v_add_u32_e32 v1, 32, v1
	s_or_b64 s[6:7], vcc, s[6:7]
	v_add_u32_e32 v13, 0x80, v13
	s_andn2_b64 exec, exec, s[6:7]
	s_cbranch_execz .LBB97_64
.LBB97_51:                              ; =>This Inner Loop Header: Depth=1
	v_sub_u32_e32 v9, 0, v1
	v_max_i32_e32 v9, v1, v9
	v_mul_hi_u32 v10, v9, s33
	v_mul_lo_u32 v11, v10, s25
	v_sub_u32_e32 v9, v9, v11
	v_add_u32_e32 v11, 1, v10
	v_cmp_le_u32_e32 vcc, s25, v9
	v_cndmask_b32_e32 v10, v10, v11, vcc
	v_subrev_u32_e32 v11, s25, v9
	v_cndmask_b32_e32 v9, v9, v11, vcc
	v_ashrrev_i32_e32 v8, 31, v1
	v_add_u32_e32 v11, 1, v10
	v_cmp_le_u32_e32 vcc, s25, v9
	v_xor_b32_e32 v8, s47, v8
	v_cndmask_b32_e32 v9, v10, v11, vcc
	v_xor_b32_e32 v9, v9, v8
	v_sub_u32_e32 v8, v9, v8
	v_add_u32_e32 v9, s46, v8
	v_sub_u32_e32 v11, 0, v9
	v_ashrrev_i32_e32 v10, 31, v9
	v_max_i32_e32 v9, v9, v11
	v_mul_hi_u32 v11, v9, v22
	v_mul_lo_u32 v11, v11, s18
	v_sub_u32_e32 v9, v9, v11
	v_subrev_u32_e32 v11, s18, v9
	v_cmp_le_u32_e32 vcc, s18, v9
	v_cndmask_b32_e32 v9, v9, v11, vcc
	v_subrev_u32_e32 v11, s18, v9
	v_cmp_le_u32_e32 vcc, s18, v9
	v_cndmask_b32_e32 v9, v9, v11, vcc
	v_xor_b32_e32 v9, v9, v10
	v_sub_u32_e32 v9, v9, v10
	v_cmp_eq_u32_e32 vcc, 0, v9
	v_cmp_lt_i32_e64 s[0:1], s3, v8
	s_or_b64 s[0:1], vcc, s[0:1]
	s_and_saveexec_b64 s[10:11], s[0:1]
	s_cbranch_execz .LBB97_50
; %bb.52:                               ;   in Loop: Header=BB97_51 Depth=1
	global_load_dword v16, v[14:15], off
	ds_read2_b64 v[8:11], v13 offset1:1
	ds_read2_b64 v[26:29], v13 offset0:2 offset1:3
	v_mov_b32_e32 v17, s21
	s_waitcnt lgkmcnt(1)
	;;#ASMSTART
	v_cvt_f16_f32 v34, v8;

	;;#ASMEND
	;;#ASMSTART
	v_cvt_f16_f32 v35, v9;

	;;#ASMEND
	;; [unrolled: 4-line block ×4, first 2 shown]
	s_waitcnt lgkmcnt(0)
	;;#ASMSTART
	v_cvt_f16_f32 v41, v26;

	;;#ASMEND
	;;#ASMSTART
	v_cvt_f16_f32 v42, v27;

	;;#ASMEND
	;; [unrolled: 4-line block ×4, first 2 shown]
	v_add_u32_e32 v26, v21, v1
	v_add_u32_e32 v27, 1, v26
	v_or_b32_e32 v29, 3, v26
	v_or_b32_e32 v28, 2, v26
	;; [unrolled: 1-line block ×6, first 2 shown]
	s_waitcnt vmcnt(0)
	v_mad_i64_i32 v[8:9], s[0:1], v16, s9, 0
	v_lshlrev_b64 v[8:9], 1, v[8:9]
	v_add_co_u32_e32 v36, vcc, s20, v8
	v_addc_co_u32_e32 v37, vcc, v17, v9, vcc
	v_add_co_u32_e32 v16, vcc, v36, v23
	v_addc_co_u32_e32 v17, vcc, 0, v37, vcc
	global_load_dwordx4 v[8:11], v[16:17], off
	v_cmp_eq_u32_e32 vcc, s22, v12
	s_and_saveexec_b64 s[12:13], vcc
	s_cbranch_execz .LBB97_54
; %bb.53:                               ;   in Loop: Header=BB97_51 Depth=1
	s_waitcnt vmcnt(0)
	v_lshrrev_b32_e32 v39, 16, v11
	v_cmp_gt_i32_e64 s[0:1], s40, v33
	v_cndmask_b32_e64 v39, 0, v39, s[0:1]
	v_cmp_gt_i32_e64 s[0:1], s39, v32
	v_cndmask_b32_e64 v11, 0, v11, s[0:1]
	v_perm_b32 v11, v39, v11, s14
	v_lshrrev_b32_e32 v39, 16, v10
	v_cmp_gt_i32_e64 s[0:1], s38, v31
	v_cndmask_b32_e64 v39, 0, v39, s[0:1]
	v_cmp_gt_i32_e64 s[0:1], s37, v30
	v_cndmask_b32_e64 v10, 0, v10, s[0:1]
	v_perm_b32 v10, v39, v10, s14
	;; [unrolled: 6-line block ×4, first 2 shown]
.LBB97_54:                              ;   in Loop: Header=BB97_51 Depth=1
	s_or_b64 exec, exec, s[12:13]
	v_and_b32_e32 v34, 0xffff, v34
	v_lshl_or_b32 v39, v35, 16, v34
	v_and_b32_e32 v34, 0xffff, v38
	v_lshl_or_b32 v38, v40, 16, v34
	;; [unrolled: 2-line block ×3, first 2 shown]
	v_and_b32_e32 v34, 0xffff, v43
	s_waitcnt vmcnt(0)
	;;#ASMSTART
	v_pk_mul_f16 v8, v39, v8;

	;;#ASMEND
	v_lshl_or_b32 v34, v44, 16, v34
	;;#ASMSTART
	v_pk_mul_f16 v9, v38, v9;

	;;#ASMEND
	;;#ASMSTART
	v_pk_mul_f16 v10, v35, v10;

	;;#ASMEND
	;; [unrolled: 4-line block ×3, first 2 shown]
	;;#ASMSTART
	v_pk_add_f16 v8, v8, v9;

	;;#ASMEND
	;;#ASMSTART
	v_pk_add_f16 v8, v8, v10;

	;;#ASMEND
	;; [unrolled: 4-line block ×3, first 2 shown]
	v_lshrrev_b32_e32 v9, 16, v8
	v_and_b32_e32 v8, 0xffff, v8
	;;#ASMSTART
	v_cvt_f32_f16 v40, v8;
	;;#ASMEND
	;;#ASMSTART
	v_cvt_f32_f16 v41, v9;
	;;#ASMEND
	global_load_dwordx4 v[8:11], v[16:17], off offset:1024
	s_and_saveexec_b64 s[12:13], vcc
	s_cbranch_execz .LBB97_56
; %bb.55:                               ;   in Loop: Header=BB97_51 Depth=1
	s_waitcnt vmcnt(0)
	v_lshrrev_b32_e32 v42, 16, v11
	v_cmp_gt_i32_e64 s[0:1], s40, v33
	v_cndmask_b32_e64 v42, 0, v42, s[0:1]
	v_cmp_gt_i32_e64 s[0:1], s39, v32
	v_cndmask_b32_e64 v11, 0, v11, s[0:1]
	v_perm_b32 v11, v42, v11, s14
	v_lshrrev_b32_e32 v42, 16, v10
	v_cmp_gt_i32_e64 s[0:1], s38, v31
	v_cndmask_b32_e64 v42, 0, v42, s[0:1]
	v_cmp_gt_i32_e64 s[0:1], s37, v30
	v_cndmask_b32_e64 v10, 0, v10, s[0:1]
	v_perm_b32 v10, v42, v10, s14
	;; [unrolled: 6-line block ×4, first 2 shown]
.LBB97_56:                              ;   in Loop: Header=BB97_51 Depth=1
	s_or_b64 exec, exec, s[12:13]
	s_waitcnt vmcnt(0)
	;;#ASMSTART
	v_pk_mul_f16 v8, v39, v8;

	;;#ASMEND
	;;#ASMSTART
	v_pk_mul_f16 v9, v38, v9;

	;;#ASMEND
	;; [unrolled: 4-line block ×4, first 2 shown]
	;;#ASMSTART
	v_pk_add_f16 v8, v8, v9;

	;;#ASMEND
	;;#ASMSTART
	v_pk_add_f16 v8, v8, v10;

	;;#ASMEND
	;; [unrolled: 4-line block ×3, first 2 shown]
	v_lshrrev_b32_e32 v9, 16, v8
	v_and_b32_e32 v8, 0xffff, v8
	;;#ASMSTART
	v_cvt_f32_f16 v42, v8;
	;;#ASMEND
	;;#ASMSTART
	v_cvt_f32_f16 v43, v9;
	;;#ASMEND
	global_load_dwordx4 v[8:11], v[16:17], off offset:2048
	s_and_saveexec_b64 s[12:13], vcc
	s_cbranch_execz .LBB97_58
; %bb.57:                               ;   in Loop: Header=BB97_51 Depth=1
	s_waitcnt vmcnt(0)
	v_lshrrev_b32_e32 v44, 16, v11
	v_cmp_gt_i32_e64 s[0:1], s40, v33
	v_cndmask_b32_e64 v44, 0, v44, s[0:1]
	v_cmp_gt_i32_e64 s[0:1], s39, v32
	v_cndmask_b32_e64 v11, 0, v11, s[0:1]
	v_perm_b32 v11, v44, v11, s14
	v_lshrrev_b32_e32 v44, 16, v10
	v_cmp_gt_i32_e64 s[0:1], s38, v31
	v_cndmask_b32_e64 v44, 0, v44, s[0:1]
	v_cmp_gt_i32_e64 s[0:1], s37, v30
	v_cndmask_b32_e64 v10, 0, v10, s[0:1]
	v_perm_b32 v10, v44, v10, s14
	;; [unrolled: 6-line block ×4, first 2 shown]
.LBB97_58:                              ;   in Loop: Header=BB97_51 Depth=1
	s_or_b64 exec, exec, s[12:13]
	s_waitcnt vmcnt(0)
	;;#ASMSTART
	v_pk_mul_f16 v8, v39, v8;

	;;#ASMEND
	;;#ASMSTART
	v_pk_mul_f16 v9, v38, v9;

	;;#ASMEND
	;; [unrolled: 4-line block ×4, first 2 shown]
	;;#ASMSTART
	v_pk_add_f16 v8, v8, v9;

	;;#ASMEND
	;;#ASMSTART
	v_pk_add_f16 v8, v8, v10;

	;;#ASMEND
	;;#ASMSTART
	v_pk_add_f16 v8, v8, v11;

	;;#ASMEND
	v_lshrrev_b32_e32 v9, 16, v8
	v_and_b32_e32 v8, 0xffff, v8
	;;#ASMSTART
	v_cvt_f32_f16 v44, v8;
	;;#ASMEND
	;;#ASMSTART
	v_cvt_f32_f16 v45, v9;
	;;#ASMEND
	global_load_dwordx4 v[8:11], v[16:17], off offset:3072
	s_and_saveexec_b64 s[12:13], vcc
	s_cbranch_execz .LBB97_60
; %bb.59:                               ;   in Loop: Header=BB97_51 Depth=1
	s_waitcnt vmcnt(0)
	v_lshrrev_b32_e32 v16, 16, v11
	v_cmp_gt_i32_e64 s[0:1], s40, v33
	v_cndmask_b32_e64 v16, 0, v16, s[0:1]
	v_cmp_gt_i32_e64 s[0:1], s39, v32
	v_cndmask_b32_e64 v11, 0, v11, s[0:1]
	v_perm_b32 v11, v16, v11, s14
	v_lshrrev_b32_e32 v16, 16, v10
	v_cmp_gt_i32_e64 s[0:1], s38, v31
	v_cndmask_b32_e64 v16, 0, v16, s[0:1]
	v_cmp_gt_i32_e64 s[0:1], s37, v30
	v_cndmask_b32_e64 v10, 0, v10, s[0:1]
	v_perm_b32 v10, v16, v10, s14
	;; [unrolled: 6-line block ×4, first 2 shown]
.LBB97_60:                              ;   in Loop: Header=BB97_51 Depth=1
	s_or_b64 exec, exec, s[12:13]
	s_waitcnt vmcnt(0)
	;;#ASMSTART
	v_pk_mul_f16 v8, v39, v8;

	;;#ASMEND
	;;#ASMSTART
	v_pk_mul_f16 v9, v38, v9;

	;;#ASMEND
	;; [unrolled: 4-line block ×4, first 2 shown]
	;;#ASMSTART
	v_pk_add_f16 v8, v8, v9;

	;;#ASMEND
	;;#ASMSTART
	v_pk_add_f16 v8, v8, v10;

	;;#ASMEND
	;; [unrolled: 4-line block ×3, first 2 shown]
	v_lshrrev_b32_e32 v9, 16, v8
	v_and_b32_e32 v8, 0xffff, v8
	;;#ASMSTART
	v_cvt_f32_f16 v16, v8;
	;;#ASMEND
	v_add_co_u32_e64 v8, s[0:1], v36, v24
	;;#ASMSTART
	v_cvt_f32_f16 v17, v9;
	;;#ASMEND
	v_addc_co_u32_e64 v9, s[0:1], 0, v37, s[0:1]
	global_load_dwordx4 v[8:11], v[8:9], off
	s_and_saveexec_b64 s[12:13], vcc
	s_cbranch_execz .LBB97_62
; %bb.61:                               ;   in Loop: Header=BB97_51 Depth=1
	s_waitcnt vmcnt(0)
	v_lshrrev_b32_e32 v46, 16, v11
	v_cmp_gt_i32_e64 s[0:1], s40, v33
	v_cndmask_b32_e64 v46, 0, v46, s[0:1]
	v_cmp_gt_i32_e64 s[0:1], s39, v32
	v_cndmask_b32_e64 v11, 0, v11, s[0:1]
	v_perm_b32 v11, v46, v11, s14
	v_lshrrev_b32_e32 v46, 16, v10
	v_cmp_gt_i32_e64 s[0:1], s38, v31
	v_cndmask_b32_e64 v46, 0, v46, s[0:1]
	v_cmp_gt_i32_e64 s[0:1], s37, v30
	v_cndmask_b32_e64 v10, 0, v10, s[0:1]
	v_perm_b32 v10, v46, v10, s14
	;; [unrolled: 6-line block ×4, first 2 shown]
.LBB97_62:                              ;   in Loop: Header=BB97_51 Depth=1
	s_or_b64 exec, exec, s[12:13]
	s_waitcnt vmcnt(0)
	;;#ASMSTART
	v_pk_mul_f16 v8, v39, v8;

	;;#ASMEND
	;;#ASMSTART
	v_pk_mul_f16 v9, v38, v9;

	;;#ASMEND
	;; [unrolled: 4-line block ×4, first 2 shown]
	;;#ASMSTART
	v_pk_add_f16 v8, v8, v9;

	;;#ASMEND
	;;#ASMSTART
	v_pk_add_f16 v8, v8, v10;

	;;#ASMEND
	;; [unrolled: 4-line block ×3, first 2 shown]
	v_lshrrev_b32_e32 v9, 16, v8
	v_and_b32_e32 v8, 0xffff, v8
	;;#ASMSTART
	v_cvt_f32_f16 v46, v8;
	;;#ASMEND
	v_add_co_u32_e64 v8, s[0:1], v36, v25
	;;#ASMSTART
	v_cvt_f32_f16 v47, v9;
	;;#ASMEND
	v_addc_co_u32_e64 v9, s[0:1], 0, v37, s[0:1]
	global_load_dwordx4 v[8:11], v[8:9], off
	s_and_saveexec_b64 s[0:1], vcc
	s_cbranch_execz .LBB97_49
; %bb.63:                               ;   in Loop: Header=BB97_51 Depth=1
	s_waitcnt vmcnt(0)
	v_lshrrev_b32_e32 v36, 16, v11
	v_cmp_gt_i32_e32 vcc, s40, v33
	v_cndmask_b32_e32 v33, 0, v36, vcc
	v_cmp_gt_i32_e32 vcc, s39, v32
	v_cndmask_b32_e32 v11, 0, v11, vcc
	v_lshrrev_b32_e32 v32, 16, v10
	v_cmp_gt_i32_e32 vcc, s38, v31
	v_cndmask_b32_e32 v31, 0, v32, vcc
	v_cmp_gt_i32_e32 vcc, s37, v30
	v_cndmask_b32_e32 v10, 0, v10, vcc
	;; [unrolled: 5-line block ×4, first 2 shown]
	v_perm_b32 v11, v33, v11, s14
	v_perm_b32 v10, v31, v10, s14
	;; [unrolled: 1-line block ×4, first 2 shown]
	s_branch .LBB97_49
.LBB97_64:
	s_or_b64 exec, exec, s[6:7]
.LBB97_65:
	s_or_b64 exec, exec, s[4:5]
	ds_bpermute_b32 v8, v19, v2
	ds_bpermute_b32 v9, v19, v3
	;; [unrolled: 1-line block ×6, first 2 shown]
	v_and_b32_e32 v1, 0x3c1, v0
	s_waitcnt lgkmcnt(4)
	v_pk_add_f32 v[8:9], v[2:3], v[8:9]
	s_waitcnt lgkmcnt(2)
	v_pk_add_f32 v[4:5], v[4:5], v[10:11]
	v_cmp_eq_u32_e32 vcc, 64, v1
	s_waitcnt lgkmcnt(0)
	v_pk_add_f32 v[2:3], v[6:7], v[12:13]
	s_barrier
	s_and_saveexec_b64 s[0:1], vcc
	s_cbranch_execz .LBB97_67
; %bb.66:
	v_mov_b32_e32 v6, 0x190
	v_lshl_add_u32 v6, v18, 1, v6
	ds_write2_b32 v6, v8, v9 offset1:32
	ds_write2_b32 v6, v4, v5 offset0:64 offset1:96
	ds_write2_b32 v6, v2, v3 offset0:128 offset1:160
.LBB97_67:
	s_or_b64 exec, exec, s[0:1]
	v_cmp_gt_u32_e32 vcc, 64, v0
	s_waitcnt lgkmcnt(0)
	s_barrier
	s_and_saveexec_b64 s[0:1], vcc
	s_cbranch_execz .LBB97_76
; %bb.68:
	v_cmp_eq_u32_e32 vcc, 0, v20
	v_lshrrev_b32_e32 v6, 1, v0
	s_and_saveexec_b64 s[4:5], vcc
	s_cbranch_execnz .LBB97_79
; %bb.69:
	s_or_b64 exec, exec, s[4:5]
	s_and_saveexec_b64 s[4:5], vcc
	s_cbranch_execnz .LBB97_80
.LBB97_70:
	s_or_b64 exec, exec, s[4:5]
	s_and_saveexec_b64 s[4:5], vcc
	s_cbranch_execnz .LBB97_81
.LBB97_71:
	s_or_b64 exec, exec, s[4:5]
	s_and_saveexec_b64 s[4:5], vcc
	s_cbranch_execnz .LBB97_82
.LBB97_72:
	s_or_b64 exec, exec, s[4:5]
	s_and_saveexec_b64 s[4:5], vcc
	s_cbranch_execnz .LBB97_83
.LBB97_73:
	s_or_b64 exec, exec, s[4:5]
	s_and_saveexec_b64 s[4:5], vcc
	s_cbranch_execz .LBB97_75
.LBB97_74:
	v_mov_b32_e32 v7, 0x190
	v_lshl_add_u32 v6, v6, 2, v7
	ds_read_b32 v6, v6 offset:640
	s_waitcnt lgkmcnt(0)
	v_add_f32_e32 v3, v3, v6
.LBB97_75:
	s_or_b64 exec, exec, s[4:5]
.LBB97_76:
	s_or_b64 exec, exec, s[0:1]
	v_cmp_eq_u32_e32 vcc, 0, v1
	s_barrier
	s_and_saveexec_b64 s[0:1], vcc
	s_cbranch_execz .LBB97_78
; %bb.77:
	s_mul_i32 s0, s2, 0xc0
	s_ashr_i32 s1, s0, 31
	s_lshl_b64 s[0:1], s[0:1], 1
	s_add_u32 s2, s26, s0
	s_mul_i32 s0, s19, s24
	s_addc_u32 s3, s27, s1
	s_ashr_i32 s1, s0, 31
	s_lshl_b64 s[0:1], s[0:1], 1
	s_add_u32 s2, s2, s0
	s_mul_i32 s0, s8, 0xc0
	s_addc_u32 s3, s3, s1
	s_ashr_i32 s1, s0, 31
	s_lshl_b64 s[0:1], s[0:1], 1
	s_add_u32 s0, s2, s0
	s_addc_u32 s1, s3, s1
	;;#ASMSTART
	v_cvt_f16_f32 v1, v8;

	;;#ASMEND
	global_store_short v0, v1, s[0:1]
	;;#ASMSTART
	v_cvt_f16_f32 v1, v9;

	;;#ASMEND
	global_store_short v0, v1, s[0:1] offset:64
	;;#ASMSTART
	v_cvt_f16_f32 v1, v4;

	;;#ASMEND
	global_store_short v0, v1, s[0:1] offset:128
	;; [unrolled: 5-line block ×5, first 2 shown]
.LBB97_78:
	s_endpgm
.LBB97_79:
	v_mov_b32_e32 v7, 0x190
	v_lshl_add_u32 v7, v6, 2, v7
	ds_read_b32 v7, v7
	s_waitcnt lgkmcnt(0)
	v_add_f32_e32 v8, v8, v7
	s_or_b64 exec, exec, s[4:5]
	s_and_saveexec_b64 s[4:5], vcc
	s_cbranch_execz .LBB97_70
.LBB97_80:
	v_mov_b32_e32 v7, 0x190
	v_lshl_add_u32 v7, v6, 2, v7
	ds_read_b32 v7, v7 offset:128
	s_waitcnt lgkmcnt(0)
	v_add_f32_e32 v9, v9, v7
	s_or_b64 exec, exec, s[4:5]
	s_and_saveexec_b64 s[4:5], vcc
	s_cbranch_execz .LBB97_71
.LBB97_81:
	v_mov_b32_e32 v7, 0x190
	v_lshl_add_u32 v7, v6, 2, v7
	ds_read_b32 v7, v7 offset:256
	s_waitcnt lgkmcnt(0)
	v_add_f32_e32 v4, v4, v7
	s_or_b64 exec, exec, s[4:5]
	s_and_saveexec_b64 s[4:5], vcc
	s_cbranch_execz .LBB97_72
.LBB97_82:
	v_mov_b32_e32 v7, 0x190
	v_lshl_add_u32 v7, v6, 2, v7
	ds_read_b32 v7, v7 offset:384
	s_waitcnt lgkmcnt(0)
	v_add_f32_e32 v5, v5, v7
	s_or_b64 exec, exec, s[4:5]
	s_and_saveexec_b64 s[4:5], vcc
	s_cbranch_execz .LBB97_73
.LBB97_83:
	v_mov_b32_e32 v7, 0x190
	v_lshl_add_u32 v7, v6, 2, v7
	ds_read_b32 v7, v7 offset:512
	s_waitcnt lgkmcnt(0)
	v_add_f32_e32 v2, v2, v7
	s_or_b64 exec, exec, s[4:5]
	s_and_saveexec_b64 s[4:5], vcc
	s_cbranch_execnz .LBB97_74
	s_branch .LBB97_75
	.section	.rodata,"a",@progbits
	.p2align	6, 0x0
	.amdhsa_kernel _ZN4vllm25paged_attention_v2_kernelIttLi192ELi16ELi128ELNS_18Fp8KVCacheDataTypeE0ELb1ELi512EEEvPfS2_PT_PKS3_PKT0_S9_ifPKiSB_iPKfiiiSD_SD_iiiii
		.amdhsa_group_segment_fixed_size 400
		.amdhsa_private_segment_fixed_size 0
		.amdhsa_kernarg_size 400
		.amdhsa_user_sgpr_count 6
		.amdhsa_user_sgpr_private_segment_buffer 1
		.amdhsa_user_sgpr_dispatch_ptr 0
		.amdhsa_user_sgpr_queue_ptr 0
		.amdhsa_user_sgpr_kernarg_segment_ptr 1
		.amdhsa_user_sgpr_dispatch_id 0
		.amdhsa_user_sgpr_flat_scratch_init 0
		.amdhsa_user_sgpr_kernarg_preload_length 0
		.amdhsa_user_sgpr_kernarg_preload_offset 0
		.amdhsa_user_sgpr_private_segment_size 0
		.amdhsa_uses_dynamic_stack 0
		.amdhsa_system_sgpr_private_segment_wavefront_offset 0
		.amdhsa_system_sgpr_workgroup_id_x 1
		.amdhsa_system_sgpr_workgroup_id_y 1
		.amdhsa_system_sgpr_workgroup_id_z 1
		.amdhsa_system_sgpr_workgroup_info 0
		.amdhsa_system_vgpr_workitem_id 0
		.amdhsa_next_free_vgpr 90
		.amdhsa_next_free_sgpr 53
		.amdhsa_accum_offset 92
		.amdhsa_reserve_vcc 1
		.amdhsa_reserve_flat_scratch 0
		.amdhsa_float_round_mode_32 0
		.amdhsa_float_round_mode_16_64 0
		.amdhsa_float_denorm_mode_32 3
		.amdhsa_float_denorm_mode_16_64 3
		.amdhsa_dx10_clamp 1
		.amdhsa_ieee_mode 1
		.amdhsa_fp16_overflow 0
		.amdhsa_tg_split 0
		.amdhsa_exception_fp_ieee_invalid_op 0
		.amdhsa_exception_fp_denorm_src 0
		.amdhsa_exception_fp_ieee_div_zero 0
		.amdhsa_exception_fp_ieee_overflow 0
		.amdhsa_exception_fp_ieee_underflow 0
		.amdhsa_exception_fp_ieee_inexact 0
		.amdhsa_exception_int_div_zero 0
	.end_amdhsa_kernel
	.section	.text._ZN4vllm25paged_attention_v2_kernelIttLi192ELi16ELi128ELNS_18Fp8KVCacheDataTypeE0ELb1ELi512EEEvPfS2_PT_PKS3_PKT0_S9_ifPKiSB_iPKfiiiSD_SD_iiiii,"axG",@progbits,_ZN4vllm25paged_attention_v2_kernelIttLi192ELi16ELi128ELNS_18Fp8KVCacheDataTypeE0ELb1ELi512EEEvPfS2_PT_PKS3_PKT0_S9_ifPKiSB_iPKfiiiSD_SD_iiiii,comdat
.Lfunc_end97:
	.size	_ZN4vllm25paged_attention_v2_kernelIttLi192ELi16ELi128ELNS_18Fp8KVCacheDataTypeE0ELb1ELi512EEEvPfS2_PT_PKS3_PKT0_S9_ifPKiSB_iPKfiiiSD_SD_iiiii, .Lfunc_end97-_ZN4vllm25paged_attention_v2_kernelIttLi192ELi16ELi128ELNS_18Fp8KVCacheDataTypeE0ELb1ELi512EEEvPfS2_PT_PKS3_PKT0_S9_ifPKiSB_iPKfiiiSD_SD_iiiii
                                        ; -- End function
	.section	.AMDGPU.csdata,"",@progbits
; Kernel info:
; codeLenInByte = 8432
; NumSgprs: 57
; NumVgprs: 90
; NumAgprs: 0
; TotalNumVgprs: 90
; ScratchSize: 0
; MemoryBound: 0
; FloatMode: 240
; IeeeMode: 1
; LDSByteSize: 400 bytes/workgroup (compile time only)
; SGPRBlocks: 7
; VGPRBlocks: 11
; NumSGPRsForWavesPerEU: 57
; NumVGPRsForWavesPerEU: 90
; AccumOffset: 92
; Occupancy: 5
; WaveLimiterHint : 1
; COMPUTE_PGM_RSRC2:SCRATCH_EN: 0
; COMPUTE_PGM_RSRC2:USER_SGPR: 6
; COMPUTE_PGM_RSRC2:TRAP_HANDLER: 0
; COMPUTE_PGM_RSRC2:TGID_X_EN: 1
; COMPUTE_PGM_RSRC2:TGID_Y_EN: 1
; COMPUTE_PGM_RSRC2:TGID_Z_EN: 1
; COMPUTE_PGM_RSRC2:TIDIG_COMP_CNT: 0
; COMPUTE_PGM_RSRC3_GFX90A:ACCUM_OFFSET: 22
; COMPUTE_PGM_RSRC3_GFX90A:TG_SPLIT: 0
	.section	.text._ZN4vllm25paged_attention_v2_kernelIttLi256ELi16ELi128ELNS_18Fp8KVCacheDataTypeE0ELb1ELi512EEEvPfS2_PT_PKS3_PKT0_S9_ifPKiSB_iPKfiiiSD_SD_iiiii,"axG",@progbits,_ZN4vllm25paged_attention_v2_kernelIttLi256ELi16ELi128ELNS_18Fp8KVCacheDataTypeE0ELb1ELi512EEEvPfS2_PT_PKS3_PKT0_S9_ifPKiSB_iPKfiiiSD_SD_iiiii,comdat
	.protected	_ZN4vllm25paged_attention_v2_kernelIttLi256ELi16ELi128ELNS_18Fp8KVCacheDataTypeE0ELb1ELi512EEEvPfS2_PT_PKS3_PKT0_S9_ifPKiSB_iPKfiiiSD_SD_iiiii ; -- Begin function _ZN4vllm25paged_attention_v2_kernelIttLi256ELi16ELi128ELNS_18Fp8KVCacheDataTypeE0ELb1ELi512EEEvPfS2_PT_PKS3_PKT0_S9_ifPKiSB_iPKfiiiSD_SD_iiiii
	.globl	_ZN4vllm25paged_attention_v2_kernelIttLi256ELi16ELi128ELNS_18Fp8KVCacheDataTypeE0ELb1ELi512EEEvPfS2_PT_PKS3_PKT0_S9_ifPKiSB_iPKfiiiSD_SD_iiiii
	.p2align	8
	.type	_ZN4vllm25paged_attention_v2_kernelIttLi256ELi16ELi128ELNS_18Fp8KVCacheDataTypeE0ELb1ELi512EEEvPfS2_PT_PKS3_PKT0_S9_ifPKiSB_iPKfiiiSD_SD_iiiii,@function
_ZN4vllm25paged_attention_v2_kernelIttLi256ELi16ELi128ELNS_18Fp8KVCacheDataTypeE0ELb1ELi512EEEvPfS2_PT_PKS3_PKT0_S9_ifPKiSB_iPKfiiiSD_SD_iiiii: ; @_ZN4vllm25paged_attention_v2_kernelIttLi256ELi16ELi128ELNS_18Fp8KVCacheDataTypeE0ELb1ELi512EEEvPfS2_PT_PKS3_PKT0_S9_ifPKiSB_iPKfiiiSD_SD_iiiii
; %bb.0:
	s_load_dwordx2 s[0:1], s[4:5], 0x40
	s_mov_b32 s28, s7
	s_ashr_i32 s29, s7, 31
	s_lshl_b64 s[2:3], s[28:29], 2
	s_waitcnt lgkmcnt(0)
	s_add_u32 s0, s0, s2
	s_addc_u32 s1, s1, s3
	s_load_dword s29, s[0:1], 0x0
	s_lshl_b32 s50, s8, 9
	s_waitcnt lgkmcnt(0)
	s_cmp_ge_i32 s50, s29
	s_cbranch_scc1 .LBB98_84
; %bb.1:
	s_load_dword s9, s[4:5], 0x90
	s_load_dwordx2 s[38:39], s[4:5], 0x30
	s_mov_b32 s51, 0
	s_waitcnt lgkmcnt(0)
	s_abs_i32 s2, s9
	s_abs_i32 s0, s38
	v_cvt_f32_u32_e32 v1, s0
	s_sub_i32 s3, 0, s0
	s_xor_b32 s1, s9, s38
	s_ashr_i32 s1, s1, 31
	v_rcp_iflag_f32_e32 v1, v1
	v_mul_f32_e32 v1, 0x4f7ffffe, v1
	v_cvt_u32_f32_e32 v1, v1
	v_readfirstlane_b32 s7, v1
	s_mul_i32 s3, s3, s7
	s_mul_hi_u32 s3, s7, s3
	s_add_i32 s7, s7, s3
	s_mul_hi_u32 s3, s2, s7
	s_mul_i32 s7, s3, s0
	s_sub_i32 s2, s2, s7
	s_add_i32 s10, s3, 1
	s_sub_i32 s7, s2, s0
	s_cmp_ge_u32 s2, s0
	s_cselect_b32 s3, s10, s3
	s_cselect_b32 s2, s7, s2
	s_add_i32 s7, s3, 1
	s_cmp_ge_u32 s2, s0
	s_cselect_b32 s0, s7, s3
	s_xor_b32 s0, s0, s1
	s_sub_i32 s11, s0, s1
	s_abs_i32 s2, s11
	v_cvt_f32_u32_e32 v1, s2
	s_load_dwordx2 s[0:1], s[4:5], 0x50
	s_sub_i32 s7, 0, s2
	s_abs_i32 s3, s6
	v_rcp_iflag_f32_e32 v1, v1
	v_mul_f32_e32 v1, 0x4f7ffffe, v1
	v_cvt_u32_f32_e32 v1, v1
	v_readfirstlane_b32 s10, v1
	s_mul_i32 s7, s7, s10
	s_mul_hi_u32 s7, s10, s7
	s_add_i32 s10, s10, s7
	s_waitcnt lgkmcnt(0)
	s_cmp_eq_u64 s[0:1], 0
	s_mul_hi_u32 s10, s3, s10
	s_cbranch_scc1 .LBB98_3
; %bb.2:
	s_ashr_i32 s7, s6, 31
	s_lshl_b64 s[12:13], s[6:7], 2
	s_add_u32 s0, s0, s12
	s_addc_u32 s1, s1, s13
	s_load_dword s51, s[0:1], 0x0
.LBB98_3:
	s_load_dwordx4 s[12:15], s[4:5], 0x58
	s_movk_i32 s0, 0x80
	s_ashr_i32 s7, s6, 31
	s_ashr_i32 s11, s11, 31
	v_and_b32_e32 v2, 3, v0
	s_lshl_b32 s24, s6, 8
	v_cmp_gt_u32_e32 vcc, s0, v0
	s_and_saveexec_b64 s[0:1], vcc
	s_cbranch_execz .LBB98_5
; %bb.4:
	s_load_dwordx2 s[16:17], s[4:5], 0x18
	s_waitcnt lgkmcnt(0)
	s_mul_i32 s18, s28, s12
	s_ashr_i32 s19, s18, 31
	s_lshl_b64 s[18:19], s[18:19], 1
	v_lshlrev_b32_e32 v1, 2, v0
	s_add_u32 s12, s16, s18
	s_addc_u32 s15, s17, s19
	s_ashr_i32 s25, s24, 31
	s_lshl_b64 s[16:17], s[24:25], 1
	s_add_u32 s16, s12, s16
	s_addc_u32 s17, s15, s17
	global_load_dword v1, v1, s[16:17]
	v_and_b32_e32 v3, 0x3fc, v0
	v_lshl_add_u32 v3, v2, 7, v3
	s_waitcnt vmcnt(0)
	ds_write_b32 v3, v1
.LBB98_5:
	s_or_b64 exec, exec, s[0:1]
	s_mul_i32 s1, s10, s2
	s_sub_i32 s1, s3, s1
	s_xor_b32 s0, s7, s11
	s_add_i32 s3, s10, 1
	s_sub_i32 s7, s1, s2
	s_load_dwordx4 s[16:19], s[4:5], 0x78
	s_cmp_ge_u32 s1, s2
	s_cselect_b32 s3, s3, s10
	s_load_dword s10, s[4:5], 0x88
	s_cselect_b32 s1, s7, s1
	s_add_i32 s7, s3, 1
	s_cmp_ge_u32 s1, s2
	s_cselect_b32 s1, s7, s3
	s_waitcnt lgkmcnt(0)
	s_abs_i32 s33, s19
	v_cvt_f32_u32_e32 v1, s33
	s_xor_b32 s1, s1, s0
	s_sub_i32 s2, s1, s0
	s_sub_i32 s0, 0, s33
	v_rcp_iflag_f32_e32 v1, v1
	s_add_i32 s11, s29, -1
	s_abs_i32 s3, s11
	v_mul_f32_e32 v1, 0x4f7ffffe, v1
	v_cvt_u32_f32_e32 v1, v1
	s_barrier
	v_readfirstlane_b32 s46, v1
	s_mul_i32 s0, s0, s46
	s_mul_hi_u32 s0, s46, s0
	s_add_i32 s46, s46, s0
	s_cmp_lt_i32 s10, 0
	s_mul_hi_u32 s7, s3, s46
	s_cbranch_scc0 .LBB98_7
; %bb.6:
	s_mul_i32 s0, s16, s38
	s_add_i32 s0, s2, s0
	s_mul_i32 s0, s0, s10
	s_sub_i32 s47, 1, s0
	s_mov_b64 s[0:1], 0
	s_branch .LBB98_8
.LBB98_7:
	s_mov_b64 s[0:1], -1
                                        ; implicit-def: $sgpr47
.LBB98_8:
	s_load_dwordx2 s[30:31], s[4:5], 0x38
	s_ashr_i32 s11, s11, 31
	s_andn2_b64 vcc, exec, s[0:1]
	s_ashr_i32 s48, s19, 31
	s_cbranch_vccnz .LBB98_10
; %bb.9:
	s_mul_i32 s0, s9, s16
	s_add_i32 s0, s0, s6
	s_mul_i32 s0, s0, s10
	s_add_i32 s47, s0, 1
.LBB98_10:
	s_load_dword s0, s[4:5], 0x48
	s_load_dwordx2 s[36:37], s[4:5], 0x28
	s_load_dword s25, s[4:5], 0x98
	s_load_dwordx4 s[20:23], s[4:5], 0x0
	s_load_dwordx2 s[26:27], s[4:5], 0x10
	s_mul_i32 s1, s7, s33
	s_waitcnt lgkmcnt(0)
	s_mul_i32 s34, s28, s0
	s_sub_i32 s1, s3, s1
	s_ashr_i32 s35, s34, 31
	s_xor_b32 s0, s11, s48
	s_add_i32 s3, s7, 1
	s_sub_i32 s10, s1, s33
	s_cmp_ge_u32 s1, s33
	s_cselect_b32 s3, s3, s7
	s_cselect_b32 s1, s10, s1
	s_add_i32 s7, s3, 1
	s_cmp_ge_u32 s1, s33
	s_cselect_b32 s1, s7, s3
	s_xor_b32 s1, s1, s0
	s_sub_i32 s16, s1, s0
	s_add_i32 s0, s29, 15
	s_ashr_i32 s1, s0, 31
	s_lshr_b32 s1, s1, 28
	s_add_i32 s0, s0, s1
	s_lshl_b32 s12, s8, 5
	s_ashr_i32 s7, s0, 4
	s_add_i32 s0, s12, 32
	v_lshrrev_b32_e32 v10, 6, v0
	s_min_i32 s49, s0, s7
	v_or_b32_e32 v14, s12, v10
	v_cmp_gt_i32_e64 s[0:1], s49, v14
	v_mov_b32_e32 v11, 0xff7fffff
	s_mul_i32 s14, s2, s14
	v_ashrrev_i32_e32 v15, 31, v14
	v_lshl_add_u32 v1, v10, 4, s50
	v_mbcnt_lo_u32_b32 v4, -1, 0
	s_and_saveexec_b64 s[40:41], s[0:1]
	s_cbranch_execz .LBB98_20
; %bb.11:
	s_load_dwordx2 s[2:3], s[4:5], 0x20
	s_ashr_i32 s15, s14, 31
	s_sub_i32 s19, s16, s17
	s_lshl_b64 s[4:5], s[14:15], 1
	v_bfe_u32 v5, v0, 2, 4
	s_waitcnt lgkmcnt(0)
	s_add_u32 s2, s2, s4
	s_addc_u32 s3, s3, s5
	s_abs_i32 s15, s18
	v_cvt_f32_u32_e32 v7, s15
	v_lshlrev_b32_e32 v3, 4, v5
	v_mov_b32_e32 v6, s3
	v_add_co_u32_e64 v3, s[2:3], s2, v3
	v_rcp_iflag_f32_e32 v9, v7
	v_addc_co_u32_e64 v8, s[2:3], 0, v6, s[2:3]
	v_lshlrev_b32_e32 v6, 2, v0
	v_and_b32_e32 v6, 12, v6
	v_add_co_u32_e64 v6, s[2:3], v3, v6
	v_mul_f32_e32 v3, 0x4f7ffffe, v9
	v_cvt_u32_f32_e32 v3, v3
	s_sub_i32 s4, 0, s15
	v_cmp_eq_u32_e32 vcc, 0, v2
	v_addc_co_u32_e64 v7, s[2:3], 0, v8, s[2:3]
	v_lshlrev_b32_e32 v8, 7, v2
	v_mul_lo_u32 v2, s4, v3
	s_lshl_b64 s[4:5], s[34:35], 2
	v_mul_hi_u32 v2, v3, v2
	s_add_u32 s4, s30, s4
	v_add_u32_e32 v9, v3, v2
	v_lshlrev_b64 v[2:3], 2, v[14:15]
	s_addc_u32 s5, s31, s5
	v_mov_b32_e32 v11, s5
	v_add_co_u32_e64 v2, s[4:5], s4, v2
	v_addc_co_u32_e64 v3, s[4:5], v11, v3, s[4:5]
	v_lshlrev_b32_e32 v11, 2, v5
	v_lshl_or_b32 v11, v10, 6, v11
	v_add_u32_e32 v13, 0x210, v11
	v_subrev_u32_e32 v11, s29, v5
	v_mbcnt_hi_u32_b32 v18, -1, v4
	v_add_u32_e32 v16, 1, v11
	v_and_b32_e32 v11, 64, v18
	s_mov_b32 s38, s13
	v_cmp_neq_f32_e64 s[2:3], s51, 0
	v_lshl_add_u32 v12, v10, 4, s50
	s_mov_b64 s[42:43], 0
	v_mov_b32_e32 v17, 0xff7fffff
	s_movk_i32 s52, 0x1000
	v_add_u32_e32 v19, 64, v11
	v_xor_b32_e32 v20, 2, v18
	v_xor_b32_e32 v21, 1, v18
	v_mov_b32_e32 v11, 0xff7fffff
	v_mov_b32_e32 v22, v14
	s_branch .LBB98_14
.LBB98_12:                              ;   in Loop: Header=BB98_14 Depth=1
	s_or_b64 exec, exec, s[44:45]
.LBB98_13:                              ;   in Loop: Header=BB98_14 Depth=1
	s_or_b64 exec, exec, s[10:11]
	v_add_co_u32_e64 v2, s[4:5], 8, v2
	v_add_u32_e32 v22, 2, v22
	v_addc_co_u32_e64 v3, s[4:5], 0, v3, s[4:5]
	v_cmp_le_i32_e64 s[4:5], s49, v22
	v_add_u32_e32 v12, 32, v12
	s_or_b64 s[42:43], s[4:5], s[42:43]
	v_add_u32_e32 v13, 0x80, v13
	s_andn2_b64 exec, exec, s[42:43]
	s_cbranch_execz .LBB98_19
.LBB98_14:                              ; =>This Inner Loop Header: Depth=1
	s_waitcnt lgkmcnt(0)
	v_sub_u32_e32 v24, 0, v12
	v_max_i32_e32 v24, v12, v24
	v_mul_hi_u32 v25, v24, s46
	v_mul_lo_u32 v26, v25, s33
	v_sub_u32_e32 v24, v24, v26
	v_add_u32_e32 v26, 1, v25
	v_cmp_le_u32_e64 s[4:5], s33, v24
	v_cndmask_b32_e64 v25, v25, v26, s[4:5]
	v_subrev_u32_e32 v26, s33, v24
	v_cndmask_b32_e64 v24, v24, v26, s[4:5]
	v_ashrrev_i32_e32 v23, 31, v12
	v_add_u32_e32 v26, 1, v25
	v_cmp_le_u32_e64 s[4:5], s33, v24
	v_xor_b32_e32 v23, s48, v23
	v_cndmask_b32_e64 v24, v25, v26, s[4:5]
	v_xor_b32_e32 v24, v24, v23
	v_sub_u32_e32 v23, v24, v23
	v_add_u32_e32 v24, s47, v23
	v_sub_u32_e32 v26, 0, v24
	v_ashrrev_i32_e32 v25, 31, v24
	v_max_i32_e32 v24, v24, v26
	v_mul_hi_u32 v26, v24, v9
	v_mul_lo_u32 v26, v26, s15
	v_sub_u32_e32 v24, v24, v26
	v_subrev_u32_e32 v26, s15, v24
	v_cmp_le_u32_e64 s[4:5], s15, v24
	v_cndmask_b32_e64 v24, v24, v26, s[4:5]
	v_subrev_u32_e32 v26, s15, v24
	v_cmp_le_u32_e64 s[4:5], s15, v24
	v_cndmask_b32_e64 v24, v24, v26, s[4:5]
	v_xor_b32_e32 v24, v24, v25
	v_sub_u32_e32 v24, v24, v25
	v_cmp_ne_u32_e64 s[4:5], 0, v24
	v_cmp_ge_i32_e64 s[10:11], s19, v23
	s_and_b64 s[4:5], s[4:5], s[10:11]
	s_and_b64 s[44:45], vcc, s[4:5]
	s_and_saveexec_b64 s[10:11], s[44:45]
	s_cbranch_execz .LBB98_16
; %bb.15:                               ;   in Loop: Header=BB98_14 Depth=1
	ds_write_b32 v13, v17
.LBB98_16:                              ;   in Loop: Header=BB98_14 Depth=1
	s_or_b64 exec, exec, s[10:11]
	s_xor_b64 s[4:5], s[4:5], -1
	s_and_saveexec_b64 s[10:11], s[4:5]
	s_cbranch_execz .LBB98_13
; %bb.17:                               ;   in Loop: Header=BB98_14 Depth=1
	global_load_dword v23, v[2:3], off
	s_waitcnt vmcnt(0)
	v_mad_i64_i32 v[24:25], s[4:5], v23, s38, 0
	v_lshlrev_b64 v[24:25], 1, v[24:25]
	v_add_co_u32_e64 v24, s[4:5], v6, v24
	v_addc_co_u32_e64 v25, s[4:5], v7, v25, s[4:5]
	global_load_dword v41, v[24:25], off
	global_load_dword v42, v[24:25], off offset:256
	global_load_dword v43, v[24:25], off offset:512
	;; [unrolled: 1-line block ×4, first 2 shown]
	ds_read_b32 v23, v8
	global_load_dword v48, v[24:25], off offset:1280
	global_load_dword v49, v[24:25], off offset:1536
	;; [unrolled: 1-line block ×11, first 2 shown]
	v_add_co_u32_e64 v38, s[4:5], s52, v24
	v_addc_co_u32_e64 v39, s[4:5], 0, v25, s[4:5]
	s_waitcnt lgkmcnt(0)
	v_lshrrev_b32_e32 v46, 16, v23
	v_and_b32_e32 v47, 0xffff, v23
	global_load_dword v58, v[38:39], off
	global_load_dword v51, v[38:39], off offset:256
	global_load_dword v40, v[38:39], off offset:512
	;; [unrolled: 1-line block ×15, first 2 shown]
	;;#ASMSTART
	v_cvt_f32_f16 v60, v47;
	;;#ASMEND
	;;#ASMSTART
	v_cvt_f32_f16 v68, v46;
	;;#ASMEND
	v_cmp_lt_i32_e64 s[4:5], v20, v19
	s_waitcnt vmcnt(23)
	v_lshrrev_b32_e32 v83, 16, v52
	v_lshrrev_b32_e32 v38, 16, v41
	v_and_b32_e32 v39, 0xffff, v41
	;;#ASMSTART
	v_cvt_f32_f16 v63, v39;
	;;#ASMEND
	;;#ASMSTART
	v_cvt_f32_f16 v69, v38;
	;;#ASMEND
	ds_read_b32 v38, v8 offset:4
	v_lshrrev_b32_e32 v39, 16, v42
	v_and_b32_e32 v41, 0xffff, v42
	s_waitcnt vmcnt(22)
	v_lshrrev_b32_e32 v84, 16, v53
	v_and_b32_e32 v85, 0xffff, v53
	s_waitcnt lgkmcnt(0)
	v_lshrrev_b32_e32 v42, 16, v38
	v_and_b32_e32 v38, 0xffff, v38
	;;#ASMSTART
	v_cvt_f32_f16 v64, v38;
	;;#ASMEND
	;;#ASMSTART
	v_cvt_f32_f16 v71, v42;
	;;#ASMEND
	;; [unrolled: 3-line block ×4, first 2 shown]
	ds_read_b32 v38, v8 offset:8
	v_lshrrev_b32_e32 v39, 16, v43
	v_and_b32_e32 v41, 0xffff, v43
	s_waitcnt vmcnt(21)
	v_lshrrev_b32_e32 v86, 16, v54
	v_and_b32_e32 v87, 0xffff, v54
	s_waitcnt lgkmcnt(0)
	v_lshrrev_b32_e32 v42, 16, v38
	v_and_b32_e32 v38, 0xffff, v38
	;;#ASMSTART
	v_cvt_f32_f16 v78, v38;
	;;#ASMEND
	;;#ASMSTART
	v_cvt_f32_f16 v79, v42;
	;;#ASMEND
	;; [unrolled: 3-line block ×4, first 2 shown]
	ds_read_b32 v38, v8 offset:12
	v_lshrrev_b32_e32 v39, 16, v44
	v_and_b32_e32 v41, 0xffff, v44
	s_waitcnt vmcnt(20)
	v_and_b32_e32 v88, 0xffff, v55
	s_waitcnt vmcnt(19)
	v_lshrrev_b32_e32 v89, 16, v61
	s_waitcnt lgkmcnt(0)
	v_lshrrev_b32_e32 v42, 16, v38
	v_and_b32_e32 v38, 0xffff, v38
	;;#ASMSTART
	v_cvt_f32_f16 v76, v38;
	;;#ASMEND
	;;#ASMSTART
	v_cvt_f32_f16 v74, v42;
	;;#ASMEND
	;; [unrolled: 3-line block ×4, first 2 shown]
	ds_read_b32 v38, v8 offset:16
	v_lshrrev_b32_e32 v39, 16, v45
	v_and_b32_e32 v41, 0xffff, v45
	v_and_b32_e32 v90, 0xffff, v61
	s_waitcnt lgkmcnt(0)
	v_lshrrev_b32_e32 v42, 16, v38
	v_and_b32_e32 v38, 0xffff, v38
	;;#ASMSTART
	v_cvt_f32_f16 v70, v38;
	;;#ASMEND
	;;#ASMSTART
	v_cvt_f32_f16 v59, v42;
	;;#ASMEND
	;; [unrolled: 3-line block ×4, first 2 shown]
	ds_read_b32 v38, v8 offset:20
	v_lshrrev_b32_e32 v39, 16, v48
	v_and_b32_e32 v41, 0xffff, v48
	s_waitcnt lgkmcnt(0)
	v_lshrrev_b32_e32 v42, 16, v38
	v_and_b32_e32 v38, 0xffff, v38
	;;#ASMSTART
	v_cvt_f32_f16 v65, v38;
	;;#ASMEND
	;;#ASMSTART
	v_cvt_f32_f16 v56, v42;
	;;#ASMEND
	;; [unrolled: 3-line block ×4, first 2 shown]
	ds_read_b32 v38, v8 offset:24
	v_lshrrev_b32_e32 v39, 16, v49
	v_and_b32_e32 v41, 0xffff, v49
	s_waitcnt lgkmcnt(0)
	v_lshrrev_b32_e32 v42, 16, v38
	v_and_b32_e32 v38, 0xffff, v38
	;;#ASMSTART
	v_cvt_f32_f16 v45, v38;
	;;#ASMEND
	;;#ASMSTART
	v_cvt_f32_f16 v46, v42;
	;;#ASMEND
	;; [unrolled: 3-line block ×4, first 2 shown]
	ds_read_b32 v38, v8 offset:28
	v_and_b32_e32 v42, 0xffff, v50
	v_lshrrev_b32_e32 v39, 16, v50
	v_and_b32_e32 v50, 0xffff, v52
	s_waitcnt lgkmcnt(0)
	v_lshrrev_b32_e32 v41, 16, v38
	v_and_b32_e32 v38, 0xffff, v38
	;;#ASMSTART
	v_cvt_f32_f16 v43, v38;
	;;#ASMEND
	;;#ASMSTART
	v_cvt_f32_f16 v41, v41;
	;;#ASMEND
	;; [unrolled: 3-line block ×4, first 2 shown]
	ds_read_b32 v38, v8 offset:32
	s_waitcnt lgkmcnt(0)
	v_lshrrev_b32_e32 v39, 16, v38
	v_and_b32_e32 v38, 0xffff, v38
	;;#ASMSTART
	v_cvt_f32_f16 v47, v38;
	;;#ASMEND
	;;#ASMSTART
	v_cvt_f32_f16 v38, v39;
	;;#ASMEND
	;; [unrolled: 3-line block ×4, first 2 shown]
	ds_read_b32 v52, v8 offset:36
	v_lshrrev_b32_e32 v83, 16, v55
	s_waitcnt lgkmcnt(0)
	v_lshrrev_b32_e32 v53, 16, v52
	v_and_b32_e32 v52, 0xffff, v52
	;;#ASMSTART
	v_cvt_f32_f16 v52, v52;
	;;#ASMEND
	;;#ASMSTART
	v_cvt_f32_f16 v53, v53;
	;;#ASMEND
	;; [unrolled: 3-line block ×4, first 2 shown]
	ds_read_b32 v61, v8 offset:40
	s_waitcnt vmcnt(18)
	v_lshrrev_b32_e32 v84, 16, v33
	v_and_b32_e32 v85, 0xffff, v33
	v_mul_f32_e32 v33, v64, v82
	v_fmac_f32_e32 v33, v60, v63
	s_waitcnt lgkmcnt(0)
	v_lshrrev_b32_e32 v63, 16, v61
	v_and_b32_e32 v60, 0xffff, v61
	;;#ASMSTART
	v_cvt_f32_f16 v60, v60;
	;;#ASMEND
	;;#ASMSTART
	v_cvt_f32_f16 v61, v63;
	;;#ASMEND
	;;#ASMSTART
	v_cvt_f32_f16 v63, v87;
	;;#ASMEND
	;;#ASMSTART
	v_cvt_f32_f16 v64, v86;
	;;#ASMEND
	ds_read_b32 v82, v8 offset:44
	s_waitcnt vmcnt(17)
	v_lshrrev_b32_e32 v86, 16, v35
	v_and_b32_e32 v87, 0xffff, v35
	v_mul_f32_e32 v35, v71, v72
	v_fmac_f32_e32 v35, v68, v69
	s_waitcnt lgkmcnt(0)
	v_lshrrev_b32_e32 v69, 16, v82
	v_and_b32_e32 v68, 0xffff, v82
	;;#ASMSTART
	v_cvt_f32_f16 v68, v68;
	;;#ASMEND
	;;#ASMSTART
	v_cvt_f32_f16 v69, v69;
	;;#ASMEND
	;; [unrolled: 3-line block ×4, first 2 shown]
	ds_read_b32 v82, v8 offset:48
	s_waitcnt vmcnt(16)
	v_lshrrev_b32_e32 v83, 16, v67
	v_and_b32_e32 v88, 0xffff, v67
	v_fmac_f32_e32 v33, v78, v80
	v_fmac_f32_e32 v35, v79, v81
	s_waitcnt lgkmcnt(0)
	v_lshrrev_b32_e32 v78, 16, v82
	v_and_b32_e32 v67, 0xffff, v82
	;;#ASMSTART
	v_cvt_f32_f16 v67, v67;
	;;#ASMEND
	;;#ASMSTART
	v_cvt_f32_f16 v78, v78;
	;;#ASMEND
	;; [unrolled: 3-line block ×4, first 2 shown]
	ds_read_b32 v81, v8 offset:52
	s_waitcnt vmcnt(15)
	v_lshrrev_b32_e32 v82, 16, v58
	v_and_b32_e32 v89, 0xffff, v58
	v_fmac_f32_e32 v33, v76, v77
	v_fmac_f32_e32 v33, v70, v73
	s_waitcnt lgkmcnt(0)
	v_lshrrev_b32_e32 v76, 16, v81
	v_and_b32_e32 v58, 0xffff, v81
	;;#ASMSTART
	v_cvt_f32_f16 v58, v58;
	;;#ASMEND
	;;#ASMSTART
	v_cvt_f32_f16 v76, v76;
	;;#ASMEND
	;; [unrolled: 3-line block ×4, first 2 shown]
	ds_read_b32 v84, v8 offset:56
	v_fmac_f32_e32 v35, v74, v75
	v_fmac_f32_e32 v35, v59, v62
	;; [unrolled: 1-line block ×4, first 2 shown]
	s_waitcnt lgkmcnt(0)
	v_lshrrev_b32_e32 v70, 16, v84
	v_and_b32_e32 v73, 0xffff, v84
	;;#ASMSTART
	v_cvt_f32_f16 v73, v73;
	;;#ASMEND
	;;#ASMSTART
	v_cvt_f32_f16 v70, v70;
	;;#ASMEND
	;; [unrolled: 3-line block ×4, first 2 shown]
	ds_read_b32 v85, v8 offset:60
	s_waitcnt vmcnt(14)
	v_lshrrev_b32_e32 v90, 16, v51
	v_and_b32_e32 v51, 0xffff, v51
	v_fmac_f32_e32 v33, v45, v48
	v_fmac_f32_e32 v35, v46, v49
	s_waitcnt lgkmcnt(0)
	v_lshrrev_b32_e32 v59, 16, v85
	v_and_b32_e32 v62, 0xffff, v85
	;;#ASMSTART
	v_cvt_f32_f16 v62, v62;
	;;#ASMEND
	;;#ASMSTART
	v_cvt_f32_f16 v59, v59;
	;;#ASMEND
	;; [unrolled: 3-line block ×4, first 2 shown]
	ds_read_b32 v87, v8 offset:64
	s_waitcnt vmcnt(13)
	v_lshrrev_b32_e32 v74, 16, v40
	v_and_b32_e32 v40, 0xffff, v40
	v_fmac_f32_e32 v33, v43, v44
	s_waitcnt vmcnt(12)
	v_lshrrev_b32_e32 v86, 16, v37
	s_waitcnt lgkmcnt(0)
	v_lshrrev_b32_e32 v56, 16, v87
	v_and_b32_e32 v57, 0xffff, v87
	;;#ASMSTART
	v_cvt_f32_f16 v57, v57;
	;;#ASMEND
	;;#ASMSTART
	v_cvt_f32_f16 v56, v56;
	;;#ASMEND
	;; [unrolled: 3-line block ×4, first 2 shown]
	ds_read_b32 v87, v8 offset:68
	v_and_b32_e32 v37, 0xffff, v37
	v_fmac_f32_e32 v35, v41, v42
	v_fmac_f32_e32 v33, v47, v50
	s_waitcnt vmcnt(11)
	v_lshrrev_b32_e32 v65, 16, v36
	s_waitcnt lgkmcnt(0)
	v_lshrrev_b32_e32 v45, 16, v87
	v_and_b32_e32 v46, 0xffff, v87
	;;#ASMSTART
	v_cvt_f32_f16 v46, v46;
	;;#ASMEND
	;;#ASMSTART
	v_cvt_f32_f16 v45, v45;
	;;#ASMEND
	;; [unrolled: 3-line block ×4, first 2 shown]
	ds_read_b32 v51, v8 offset:72
	v_and_b32_e32 v36, 0xffff, v36
	v_fmac_f32_e32 v35, v38, v39
	s_waitcnt vmcnt(10)
	v_lshrrev_b32_e32 v88, 16, v34
	v_and_b32_e32 v34, 0xffff, v34
	s_waitcnt lgkmcnt(0)
	v_lshrrev_b32_e32 v43, 16, v51
	v_and_b32_e32 v44, 0xffff, v51
	;;#ASMSTART
	v_cvt_f32_f16 v44, v44;
	;;#ASMEND
	;;#ASMSTART
	v_cvt_f32_f16 v43, v43;
	;;#ASMEND
	;; [unrolled: 3-line block ×4, first 2 shown]
	ds_read_b32 v74, v8 offset:76
	v_fmac_f32_e32 v33, v52, v54
	v_fmac_f32_e32 v35, v53, v55
	s_waitcnt vmcnt(9)
	v_lshrrev_b32_e32 v87, 16, v32
	v_and_b32_e32 v32, 0xffff, v32
	s_waitcnt lgkmcnt(0)
	v_lshrrev_b32_e32 v42, 16, v74
	v_and_b32_e32 v47, 0xffff, v74
	;;#ASMSTART
	v_cvt_f32_f16 v47, v47;
	;;#ASMEND
	;;#ASMSTART
	v_cvt_f32_f16 v42, v42;
	;;#ASMEND
	;; [unrolled: 3-line block ×4, first 2 shown]
	ds_read_b32 v74, v8 offset:80
	v_fmac_f32_e32 v33, v60, v63
	v_fmac_f32_e32 v35, v61, v64
	;; [unrolled: 1-line block ×4, first 2 shown]
	s_waitcnt lgkmcnt(0)
	v_lshrrev_b32_e32 v38, 16, v74
	v_and_b32_e32 v39, 0xffff, v74
	;;#ASMSTART
	v_cvt_f32_f16 v39, v39;
	;;#ASMEND
	;;#ASMSTART
	v_cvt_f32_f16 v38, v38;
	;;#ASMEND
	;; [unrolled: 3-line block ×4, first 2 shown]
	ds_read_b32 v74, v8 offset:84
	s_waitcnt vmcnt(8)
	v_lshrrev_b32_e32 v89, 16, v31
	v_and_b32_e32 v31, 0xffff, v31
	v_fmac_f32_e32 v33, v58, v77
	v_fmac_f32_e32 v35, v69, v72
	s_waitcnt lgkmcnt(0)
	v_lshrrev_b32_e32 v52, 16, v74
	v_and_b32_e32 v53, 0xffff, v74
	;;#ASMSTART
	v_cvt_f32_f16 v53, v53;
	;;#ASMEND
	;;#ASMSTART
	v_cvt_f32_f16 v52, v52;
	;;#ASMEND
	;; [unrolled: 3-line block ×4, first 2 shown]
	ds_read_b32 v55, v8 offset:88
	v_fmac_f32_e32 v35, v78, v80
	v_fmac_f32_e32 v35, v76, v81
	;; [unrolled: 1-line block ×4, first 2 shown]
	s_waitcnt lgkmcnt(0)
	v_lshrrev_b32_e32 v60, 16, v55
	v_and_b32_e32 v55, 0xffff, v55
	;;#ASMSTART
	v_cvt_f32_f16 v55, v55;
	;;#ASMEND
	;;#ASMSTART
	v_cvt_f32_f16 v60, v60;
	;;#ASMEND
	;; [unrolled: 3-line block ×4, first 2 shown]
	ds_read_b32 v63, v8 offset:92
	v_fmac_f32_e32 v33, v62, v85
	v_fmac_f32_e32 v35, v59, v83
	s_waitcnt vmcnt(7)
	v_lshrrev_b32_e32 v41, 16, v30
	v_and_b32_e32 v30, 0xffff, v30
	s_waitcnt lgkmcnt(0)
	v_lshrrev_b32_e32 v58, 16, v63
	v_and_b32_e32 v63, 0xffff, v63
	;;#ASMSTART
	v_cvt_f32_f16 v63, v63;
	;;#ASMEND
	;;#ASMSTART
	v_cvt_f32_f16 v58, v58;
	;;#ASMEND
	;; [unrolled: 3-line block ×4, first 2 shown]
	ds_read_b32 v67, v8 offset:96
	v_fmac_f32_e32 v33, v57, v66
	v_fmac_f32_e32 v35, v56, v82
	;; [unrolled: 1-line block ×4, first 2 shown]
	s_waitcnt lgkmcnt(0)
	v_lshrrev_b32_e32 v56, 16, v67
	v_and_b32_e32 v57, 0xffff, v67
	;;#ASMSTART
	v_cvt_f32_f16 v57, v57;
	;;#ASMEND
	;;#ASMSTART
	v_cvt_f32_f16 v56, v56;
	;;#ASMEND
	;; [unrolled: 3-line block ×4, first 2 shown]
	ds_read_b32 v59, v8 offset:100
	s_waitcnt vmcnt(6)
	v_lshrrev_b32_e32 v86, 16, v29
	v_and_b32_e32 v29, 0xffff, v29
	v_fmac_f32_e32 v33, v44, v40
	v_fmac_f32_e32 v35, v43, v51
	s_waitcnt lgkmcnt(0)
	v_lshrrev_b32_e32 v40, 16, v59
	v_and_b32_e32 v43, 0xffff, v59
	;;#ASMSTART
	v_cvt_f32_f16 v43, v43;
	;;#ASMEND
	;;#ASMSTART
	v_cvt_f32_f16 v40, v40;
	;;#ASMEND
	;;#ASMSTART
	v_cvt_f32_f16 v29, v29;
	;;#ASMEND
	;;#ASMSTART
	v_cvt_f32_f16 v44, v86;
	;;#ASMEND
	ds_read_b32 v45, v8 offset:104
	v_fmac_f32_e32 v33, v47, v37
	v_fmac_f32_e32 v35, v42, v50
	v_fmac_f32_e32 v33, v39, v36
	v_fmac_f32_e32 v35, v38, v65
	s_waitcnt lgkmcnt(0)
	v_lshrrev_b32_e32 v36, 16, v45
	v_and_b32_e32 v37, 0xffff, v45
	s_waitcnt vmcnt(5)
	v_lshrrev_b32_e32 v38, 16, v28
	v_and_b32_e32 v28, 0xffff, v28
	;;#ASMSTART
	v_cvt_f32_f16 v37, v37;
	;;#ASMEND
	;;#ASMSTART
	v_cvt_f32_f16 v36, v36;
	;;#ASMEND
	;;#ASMSTART
	v_cvt_f32_f16 v28, v28;
	;;#ASMEND
	;;#ASMSTART
	v_cvt_f32_f16 v38, v38;
	;;#ASMEND
	ds_read_b32 v39, v8 offset:108
	v_fmac_f32_e32 v33, v53, v34
	v_fmac_f32_e32 v33, v55, v32
	v_fmac_f32_e32 v35, v52, v54
	v_fmac_f32_e32 v35, v60, v61
	s_waitcnt lgkmcnt(0)
	v_lshrrev_b32_e32 v32, 16, v39
	v_and_b32_e32 v34, 0xffff, v39
	s_waitcnt vmcnt(4)
	v_lshrrev_b32_e32 v39, 16, v27
	v_and_b32_e32 v27, 0xffff, v27
	;;#ASMSTART
	v_cvt_f32_f16 v34, v34;
	;;#ASMEND
	;;#ASMSTART
	v_cvt_f32_f16 v32, v32;
	;;#ASMEND
	;;#ASMSTART
	v_cvt_f32_f16 v27, v27;
	;;#ASMEND
	;;#ASMSTART
	v_cvt_f32_f16 v39, v39;
	;;#ASMEND
	ds_read_b32 v42, v8 offset:112
	v_fmac_f32_e32 v33, v63, v31
	v_fmac_f32_e32 v35, v58, v64
	v_fmac_f32_e32 v33, v57, v30
	v_fmac_f32_e32 v35, v56, v41
	s_waitcnt lgkmcnt(0)
	v_lshrrev_b32_e32 v30, 16, v42
	v_and_b32_e32 v31, 0xffff, v42
	s_waitcnt vmcnt(3)
	v_lshrrev_b32_e32 v41, 16, v26
	v_and_b32_e32 v26, 0xffff, v26
	;;#ASMSTART
	v_cvt_f32_f16 v31, v31;
	;;#ASMEND
	;;#ASMSTART
	v_cvt_f32_f16 v30, v30;
	;;#ASMEND
	;;#ASMSTART
	v_cvt_f32_f16 v26, v26;
	;;#ASMEND
	;;#ASMSTART
	v_cvt_f32_f16 v41, v41;
	;;#ASMEND
	ds_read_b32 v42, v8 offset:116
	v_fmac_f32_e32 v33, v43, v29
	v_fmac_f32_e32 v35, v40, v44
	v_fmac_f32_e32 v33, v37, v28
	v_fmac_f32_e32 v35, v36, v38
	s_waitcnt lgkmcnt(0)
	v_lshrrev_b32_e32 v28, 16, v42
	v_and_b32_e32 v29, 0xffff, v42
	s_waitcnt vmcnt(2)
	v_lshrrev_b32_e32 v36, 16, v25
	v_and_b32_e32 v25, 0xffff, v25
	;;#ASMSTART
	v_cvt_f32_f16 v29, v29;
	;;#ASMEND
	;;#ASMSTART
	v_cvt_f32_f16 v28, v28;
	;;#ASMEND
	;;#ASMSTART
	v_cvt_f32_f16 v25, v25;
	;;#ASMEND
	;;#ASMSTART
	v_cvt_f32_f16 v36, v36;
	;;#ASMEND
	ds_read_b32 v37, v8 offset:120
	v_fmac_f32_e32 v33, v34, v27
	v_fmac_f32_e32 v35, v32, v39
	v_fmac_f32_e32 v33, v31, v26
	v_fmac_f32_e32 v35, v30, v41
	s_waitcnt lgkmcnt(0)
	v_lshrrev_b32_e32 v26, 16, v37
	v_and_b32_e32 v27, 0xffff, v37
	s_waitcnt vmcnt(1)
	v_lshrrev_b32_e32 v30, 16, v24
	v_and_b32_e32 v24, 0xffff, v24
	;;#ASMSTART
	v_cvt_f32_f16 v27, v27;
	;;#ASMEND
	;;#ASMSTART
	v_cvt_f32_f16 v26, v26;
	;;#ASMEND
	;; [unrolled: 3-line block ×4, first 2 shown]
	ds_read_b32 v31, v8 offset:124
	v_fmac_f32_e32 v33, v29, v25
	v_fmac_f32_e32 v35, v28, v36
	;; [unrolled: 1-line block ×4, first 2 shown]
	s_waitcnt lgkmcnt(0)
	v_lshrrev_b32_e32 v24, 16, v31
	v_and_b32_e32 v25, 0xffff, v31
	;;#ASMSTART
	v_cvt_f32_f16 v25, v25;
	;;#ASMEND
	;;#ASMSTART
	v_cvt_f32_f16 v24, v24;
	;;#ASMEND
	s_waitcnt vmcnt(0)
	v_lshrrev_b32_e32 v26, 16, v23
	v_and_b32_e32 v23, 0xffff, v23
	;;#ASMSTART
	v_cvt_f32_f16 v23, v23;
	;;#ASMEND
	;;#ASMSTART
	v_cvt_f32_f16 v26, v26;
	;;#ASMEND
	v_fmac_f32_e32 v33, v25, v23
	v_fmac_f32_e32 v35, v24, v26
	v_cndmask_b32_e64 v24, v18, v20, s[4:5]
	v_add_f32_e32 v23, v33, v35
	v_lshlrev_b32_e32 v24, 2, v24
	ds_bpermute_b32 v24, v24, v23
	v_cmp_lt_i32_e64 s[4:5], v21, v19
	s_waitcnt lgkmcnt(0)
	v_add_f32_e32 v23, v23, v24
	v_cndmask_b32_e64 v24, v18, v21, s[4:5]
	v_lshlrev_b32_e32 v24, 2, v24
	ds_bpermute_b32 v24, v24, v23
	s_and_saveexec_b64 s[44:45], vcc
	s_cbranch_execz .LBB98_12
; %bb.18:                               ;   in Loop: Header=BB98_14 Depth=1
	v_add_u32_e32 v25, v16, v12
	v_cvt_f32_i32_e32 v25, v25
	s_waitcnt lgkmcnt(0)
	v_add_f32_e32 v23, v23, v24
	v_add_u32_e32 v26, v5, v12
	v_cmp_gt_i32_e64 s[4:5], s29, v26
	v_mul_f32_e32 v24, s51, v25
	v_cndmask_b32_e64 v24, 0, v24, s[2:3]
	v_fmac_f32_e32 v24, s39, v23
	v_cndmask_b32_e64 v23, 0, v24, s[4:5]
	ds_write_b32 v13, v23
	v_max_f32_e32 v23, v11, v11
	v_max_f32_e32 v23, v23, v24
	v_cndmask_b32_e64 v11, v11, v23, s[4:5]
	s_branch .LBB98_12
.LBB98_19:
	s_or_b64 exec, exec, s[42:43]
.LBB98_20:
	s_or_b64 exec, exec, s[40:41]
	v_mbcnt_hi_u32_b32 v2, -1, v4
	v_and_b32_e32 v3, 64, v2
	v_add_u32_e32 v3, 64, v3
	v_xor_b32_e32 v4, 32, v2
	v_cmp_lt_i32_e32 vcc, v4, v3
	v_cndmask_b32_e32 v4, v2, v4, vcc
	v_lshlrev_b32_e32 v5, 2, v4
	ds_bpermute_b32 v4, v5, v11
	v_xor_b32_e32 v7, 16, v2
	v_max_f32_e32 v6, v11, v11
	v_cmp_lt_i32_e32 vcc, v7, v3
	v_xor_b32_e32 v8, 8, v2
	s_waitcnt lgkmcnt(0)
	v_max_f32_e32 v4, v4, v4
	v_max_f32_e32 v4, v6, v4
	v_cndmask_b32_e32 v6, v2, v7, vcc
	v_lshlrev_b32_e32 v6, 2, v6
	ds_bpermute_b32 v7, v6, v4
	v_cmp_lt_i32_e32 vcc, v8, v3
	v_and_b32_e32 v20, 63, v0
	s_waitcnt lgkmcnt(0)
	v_max_f32_e32 v7, v7, v7
	v_max_f32_e32 v4, v4, v7
	v_cndmask_b32_e32 v7, v2, v8, vcc
	v_lshlrev_b32_e32 v9, 2, v7
	ds_bpermute_b32 v7, v9, v4
	v_xor_b32_e32 v8, 4, v2
	v_cmp_lt_i32_e32 vcc, v8, v3
	s_waitcnt lgkmcnt(0)
	v_max_f32_e32 v7, v7, v7
	v_max_f32_e32 v4, v4, v7
	v_cndmask_b32_e32 v7, v2, v8, vcc
	v_lshlrev_b32_e32 v11, 2, v7
	ds_bpermute_b32 v8, v11, v4
	v_cmp_eq_u32_e32 vcc, 0, v20
	v_lshlrev_b32_e32 v7, 2, v10
	s_and_saveexec_b64 s[2:3], vcc
	s_cbranch_execz .LBB98_22
; %bb.21:
	s_waitcnt lgkmcnt(0)
	v_max_f32_e32 v8, v8, v8
	v_max_f32_e32 v4, v4, v4
	v_max_f32_e32 v4, v4, v8
	ds_write_b32 v7, v4 offset:512
.LBB98_22:
	s_or_b64 exec, exec, s[2:3]
	v_cmp_gt_u32_e64 s[2:3], 2, v20
	v_mov_b32_e32 v4, 0xff7fffff
	s_waitcnt lgkmcnt(0)
	v_lshlrev_b32_e32 v8, 2, v20
	s_barrier
	s_and_saveexec_b64 s[4:5], s[2:3]
	s_cbranch_execz .LBB98_24
; %bb.23:
	ds_read_b32 v4, v8 offset:512
.LBB98_24:
	s_or_b64 exec, exec, s[4:5]
	v_xor_b32_e32 v12, 1, v2
	v_cmp_lt_i32_e64 s[4:5], v12, v3
	v_cndmask_b32_e64 v12, v2, v12, s[4:5]
	v_lshlrev_b32_e32 v21, 2, v12
	s_waitcnt lgkmcnt(0)
	ds_bpermute_b32 v12, v21, v4
	v_max_f32_e32 v4, v4, v4
	s_sub_i32 s4, s49, s12
	s_lshl_b32 s4, s4, 4
	s_add_i32 s4, s4, s50
	s_waitcnt lgkmcnt(0)
	v_max_f32_e32 v12, v12, v12
	v_max_f32_e32 v4, v4, v12
	v_lshlrev_b32_e32 v12, 2, v2
	v_and_b32_e32 v12, 0x100, v12
	ds_bpermute_b32 v4, v12, v4
	s_min_i32 s15, s4, s29
	s_sub_i32 s12, s15, s50
	v_cmp_gt_i32_e64 s[4:5], s12, v0
	v_mov_b32_e32 v13, 0
	s_and_saveexec_b64 s[38:39], s[4:5]
	s_cbranch_execz .LBB98_28
; %bb.25:
	v_mov_b32_e32 v13, 0x210
	v_lshl_add_u32 v16, v0, 2, v13
	s_mov_b64 s[40:41], 0
	v_mov_b32_e32 v13, 0
	v_mov_b32_e32 v17, v0
.LBB98_26:                              ; =>This Inner Loop Header: Depth=1
	ds_read_b32 v18, v16
	v_add_u32_e32 v17, 0x80, v17
	v_cmp_le_i32_e64 s[10:11], s12, v17
	s_or_b64 s[40:41], s[10:11], s[40:41]
	s_waitcnt lgkmcnt(0)
	v_sub_f32_e32 v18, v18, v4
	v_mul_f32_e32 v18, 0x3fb8aa3b, v18
	v_exp_f32_e32 v18, v18
	ds_write_b32 v16, v18
	v_add_f32_e32 v13, v13, v18
	v_add_u32_e32 v16, 0x200, v16
	s_andn2_b64 exec, exec, s[40:41]
	s_cbranch_execnz .LBB98_26
; %bb.27:
	s_or_b64 exec, exec, s[40:41]
.LBB98_28:
	s_or_b64 exec, exec, s[38:39]
	ds_bpermute_b32 v5, v5, v13
	s_waitcnt lgkmcnt(0)
	v_add_f32_e32 v5, v13, v5
	ds_bpermute_b32 v6, v6, v5
	s_waitcnt lgkmcnt(0)
	v_add_f32_e32 v5, v5, v6
	ds_bpermute_b32 v6, v9, v5
	v_xor_b32_e32 v9, 2, v2
	v_cmp_lt_i32_e64 s[10:11], v9, v3
	v_cndmask_b32_e64 v2, v2, v9, s[10:11]
	v_lshlrev_b32_e32 v2, 2, v2
	s_waitcnt lgkmcnt(0)
	v_add_f32_e32 v5, v5, v6
	ds_bpermute_b32 v6, v11, v5
	s_waitcnt lgkmcnt(0)
	v_add_f32_e32 v3, v5, v6
	ds_bpermute_b32 v2, v2, v3
	;; [unrolled: 3-line block ×3, first 2 shown]
	s_waitcnt lgkmcnt(0)
	v_add_f32_e32 v2, v2, v3
	s_and_saveexec_b64 s[10:11], vcc
	s_cbranch_execz .LBB98_30
; %bb.29:
	ds_write_b32 v7, v2 offset:520
.LBB98_30:
	s_or_b64 exec, exec, s[10:11]
	s_waitcnt lgkmcnt(0)
	s_barrier
	s_and_saveexec_b64 s[10:11], s[2:3]
	s_cbranch_execz .LBB98_32
; %bb.31:
	ds_read_b32 v2, v8 offset:520
.LBB98_32:
	s_or_b64 exec, exec, s[10:11]
	s_waitcnt lgkmcnt(0)
	ds_bpermute_b32 v3, v21, v2
	s_waitcnt lgkmcnt(0)
	v_add_f32_e32 v2, v2, v3
	ds_bpermute_b32 v5, v12, v2
	s_and_saveexec_b64 s[2:3], s[4:5]
	s_cbranch_execz .LBB98_45
; %bb.33:
	s_waitcnt lgkmcnt(0)
	v_add_f32_e32 v2, 0x358637bd, v5
	v_div_scale_f32 v3, s[4:5], v2, v2, 1.0
	v_rcp_f32_e32 v6, v3
	v_div_scale_f32 v7, vcc, 1.0, v2, 1.0
	s_movk_i32 s4, 0x7f
	v_fma_f32 v8, -v3, v6, 1.0
	v_fmac_f32_e32 v6, v8, v6
	v_mul_f32_e32 v8, v7, v6
	v_fma_f32 v9, -v3, v8, v7
	v_fmac_f32_e32 v8, v9, v6
	v_fma_f32 v3, -v3, v8, v7
	v_div_fmas_f32 v3, v3, v6, v8
	v_div_fixup_f32 v2, v3, v2, 1.0
	v_xad_u32 v3, v0, -1, s15
	v_subrev_u32_e32 v6, s50, v3
	v_cmp_lt_u32_e32 vcc, s4, v6
	s_mov_b64 s[10:11], -1
	v_mov_b32_e32 v3, v0
	s_and_saveexec_b64 s[4:5], vcc
	s_cbranch_execz .LBB98_42
; %bb.34:
	v_lshrrev_b32_e32 v6, 7, v6
	v_add_u32_e32 v8, -1, v6
	v_lshrrev_b32_e32 v7, 1, v8
	v_mov_b32_e32 v3, v2
	v_add_u32_e32 v7, 1, v7
	v_cmp_lt_u32_e32 vcc, 13, v8
	v_mov_b32_e32 v11, 0
	s_and_saveexec_b64 s[10:11], vcc
	s_cbranch_execz .LBB98_38
; %bb.35:
	v_mov_b32_e32 v9, 0x210
	v_and_b32_e32 v8, -8, v7
	v_lshl_add_u32 v9, v0, 2, v9
	s_mov_b32 s15, 0
	s_mov_b64 s[38:39], 0
.LBB98_36:                              ; =>This Inner Loop Header: Depth=1
	ds_read2st64_b32 v[12:13], v9 offset1:2
	ds_read2st64_b32 v[16:17], v9 offset0:4 offset1:6
	ds_read2st64_b32 v[18:19], v9 offset0:8 offset1:10
	;; [unrolled: 1-line block ×3, first 2 shown]
	v_add_u32_e32 v8, -8, v8
	s_waitcnt lgkmcnt(3)
	v_pk_mul_f32 v[12:13], v[2:3], v[12:13]
	s_waitcnt lgkmcnt(2)
	v_pk_mul_f32 v[16:17], v[2:3], v[16:17]
	ds_write2st64_b32 v9, v12, v13 offset1:2
	ds_write2st64_b32 v9, v16, v17 offset0:4 offset1:6
	ds_read2st64_b32 v[16:17], v9 offset0:16 offset1:18
	s_waitcnt lgkmcnt(4)
	v_pk_mul_f32 v[12:13], v[2:3], v[18:19]
	ds_write2st64_b32 v9, v12, v13 offset0:8 offset1:10
	s_waitcnt lgkmcnt(4)
	v_pk_mul_f32 v[12:13], v[2:3], v[22:23]
	ds_write2st64_b32 v9, v12, v13 offset0:12 offset1:14
	ds_read2st64_b32 v[12:13], v9 offset0:20 offset1:22
	s_waitcnt lgkmcnt(3)
	v_pk_mul_f32 v[16:17], v[2:3], v[16:17]
	ds_read2st64_b32 v[18:19], v9 offset0:24 offset1:26
	ds_write2st64_b32 v9, v16, v17 offset0:16 offset1:18
	ds_read2st64_b32 v[16:17], v9 offset0:28 offset1:30
	s_waitcnt lgkmcnt(3)
	v_pk_mul_f32 v[12:13], v[2:3], v[12:13]
	ds_write2st64_b32 v9, v12, v13 offset0:20 offset1:22
	s_waitcnt lgkmcnt(3)
	v_pk_mul_f32 v[12:13], v[2:3], v[18:19]
	ds_write2st64_b32 v9, v12, v13 offset0:24 offset1:26
	s_waitcnt lgkmcnt(2)
	v_pk_mul_f32 v[12:13], v[2:3], v[16:17]
	s_add_i32 s15, s15, 16
	v_cmp_eq_u32_e32 vcc, 0, v8
	ds_write2st64_b32 v9, v12, v13 offset0:28 offset1:30
	v_add_u32_e32 v9, 0x2000, v9
	s_or_b64 s[38:39], vcc, s[38:39]
	v_mov_b32_e32 v11, s15
	s_andn2_b64 exec, exec, s[38:39]
	s_cbranch_execnz .LBB98_36
; %bb.37:
	s_or_b64 exec, exec, s[38:39]
.LBB98_38:
	s_or_b64 exec, exec, s[10:11]
	v_and_b32_e32 v7, 7, v7
	v_cmp_ne_u32_e32 vcc, 0, v7
	s_and_saveexec_b64 s[10:11], vcc
	s_cbranch_execz .LBB98_41
; %bb.39:
	v_lshlrev_b32_e32 v8, 9, v11
	v_lshlrev_b32_e32 v9, 2, v0
	s_movk_i32 s15, 0x210
	v_add3_u32 v8, v8, v9, s15
	s_mov_b64 s[38:39], 0
.LBB98_40:                              ; =>This Inner Loop Header: Depth=1
	ds_read2st64_b32 v[12:13], v8 offset1:2
	v_add_u32_e32 v7, -1, v7
	v_cmp_eq_u32_e32 vcc, 0, v7
	s_or_b64 s[38:39], vcc, s[38:39]
	s_waitcnt lgkmcnt(0)
	v_pk_mul_f32 v[12:13], v[2:3], v[12:13]
	ds_write2st64_b32 v8, v12, v13 offset1:2
	v_add_u32_e32 v8, 0x400, v8
	s_andn2_b64 exec, exec, s[38:39]
	s_cbranch_execnz .LBB98_40
.LBB98_41:
	s_or_b64 exec, exec, s[10:11]
	v_add_u32_e32 v6, 1, v6
	v_and_b32_e32 v7, 0x3fffffe, v6
	v_cmp_ne_u32_e32 vcc, v6, v7
	v_lshl_add_u32 v3, v7, 7, v0
	s_orn2_b64 s[10:11], vcc, exec
.LBB98_42:
	s_or_b64 exec, exec, s[4:5]
	s_and_b64 exec, exec, s[10:11]
	s_cbranch_execz .LBB98_45
; %bb.43:
	v_mov_b32_e32 v6, 0x210
	v_lshl_add_u32 v6, v3, 2, v6
	s_mov_b64 s[4:5], 0
.LBB98_44:                              ; =>This Inner Loop Header: Depth=1
	ds_read_b32 v7, v6
	v_add_u32_e32 v3, 0x80, v3
	v_cmp_le_i32_e32 vcc, s12, v3
	s_or_b64 s[4:5], vcc, s[4:5]
	s_waitcnt lgkmcnt(0)
	v_mul_f32_e32 v7, v2, v7
	ds_write_b32 v6, v7
	v_add_u32_e32 v6, 0x200, v6
	s_andn2_b64 exec, exec, s[4:5]
	s_cbranch_execnz .LBB98_44
.LBB98_45:
	s_or_b64 exec, exec, s[2:3]
	s_mul_i32 s2, s25, s28
	v_cmp_eq_u32_e32 vcc, 0, v0
	s_mul_i32 s2, s2, s9
	s_waitcnt lgkmcnt(0)
	s_barrier
	s_and_saveexec_b64 s[4:5], vcc
	s_cbranch_execz .LBB98_47
; %bb.46:
	s_ashr_i32 s3, s2, 31
	s_lshl_b64 s[10:11], s[2:3], 2
	s_add_u32 s3, s22, s10
	s_mul_i32 s22, s25, s6
	s_addc_u32 s9, s23, s11
	s_ashr_i32 s23, s22, 31
	s_lshl_b64 s[22:23], s[22:23], 2
	s_add_u32 s3, s3, s22
	s_addc_u32 s6, s9, s23
	s_ashr_i32 s9, s8, 31
	s_lshl_b64 s[38:39], s[8:9], 2
	s_add_u32 s40, s3, s38
	s_addc_u32 s41, s6, s39
	s_add_u32 s3, s20, s10
	s_addc_u32 s6, s21, s11
	;; [unrolled: 2-line block ×3, first 2 shown]
	s_add_u32 s10, s3, s38
	v_mov_b32_e32 v2, 0
	s_addc_u32 s11, s6, s39
	global_store_dword v2, v4, s[40:41]
	global_store_dword v2, v5, s[10:11]
.LBB98_47:
	s_or_b64 exec, exec, s[4:5]
	s_mov_b32 s12, 0
	v_mov_b32_e32 v9, 0
	v_and_b32_e32 v22, 1, v0
	v_mov_b32_e32 v8, 0
	v_mov_b32_e32 v7, 0
	;; [unrolled: 1-line block ×7, first 2 shown]
	s_and_saveexec_b64 s[4:5], s[0:1]
	s_cbranch_execz .LBB98_69
; %bb.48:
	s_ashr_i32 s15, s14, 31
	s_sub_i32 s3, s16, s17
	s_lshl_b64 s[0:1], s[14:15], 1
	s_add_u32 s20, s36, s0
	v_lshlrev_b32_e32 v2, 3, v0
	s_addc_u32 s21, s37, s1
	s_abs_i32 s23, s18
	v_and_b32_e32 v23, 8, v2
	v_and_b32_e32 v12, 0x1f8, v2
	v_cvt_f32_u32_e32 v2, s23
	s_sub_i32 s0, 0, s23
	s_add_i32 s22, s7, -1
	s_mov_b32 s9, s13
	v_rcp_iflag_f32_e32 v2, v2
	s_mov_b32 s13, s12
	v_or_b32_e32 v18, 0x800, v12
	v_or_b32_e32 v28, 0xa00, v12
	v_mul_f32_e32 v2, 0x4f7ffffe, v2
	v_cvt_u32_f32_e32 v2, v2
	v_or_b32_e32 v30, 0xc00, v12
	v_or_b32_e32 v32, 0xe00, v12
	s_mov_b32 s14, s12
	v_mul_lo_u32 v3, s0, v2
	v_mul_hi_u32 v3, v2, v3
	s_lshl_b64 s[0:1], s[34:35], 2
	v_add_u32_e32 v24, v2, v3
	v_lshlrev_b64 v[2:3], 2, v[14:15]
	s_add_u32 s0, s30, s0
	s_addc_u32 s1, s31, s1
	v_add_co_u32_e32 v16, vcc, s0, v2
	v_lshlrev_b32_e32 v2, 5, v22
	v_mov_b32_e32 v4, s1
	v_lshl_or_b32 v2, v10, 6, v2
	v_addc_co_u32_e32 v17, vcc, v4, v3, vcc
	v_add_u32_e32 v15, 0x210, v2
	s_mov_b32 s15, s12
	s_mov_b32 s16, s12
	;; [unrolled: 1-line block ×5, first 2 shown]
	v_pk_mov_b32 v[2:3], s[12:13], s[12:13] op_sel:[0,1]
	s_mov_b32 s28, s29
	s_mov_b32 s36, s29
	;; [unrolled: 1-line block ×7, first 2 shown]
	s_mov_b64 s[6:7], 0
	v_pk_mov_b32 v[4:5], s[14:15], s[14:15] op_sel:[0,1]
	v_pk_mov_b32 v[6:7], s[16:17], s[16:17] op_sel:[0,1]
	;; [unrolled: 1-line block ×3, first 2 shown]
	v_lshlrev_b32_e32 v25, 1, v12
	s_mov_b32 s14, 0x5040100
	v_lshlrev_b32_e32 v26, 1, v18
	v_lshlrev_b32_e32 v27, 1, v28
	v_lshlrev_b32_e32 v28, 1, v30
	v_lshlrev_b32_e32 v29, 1, v32
	s_branch .LBB98_51
.LBB98_49:                              ;   in Loop: Header=BB98_51 Depth=1
	s_or_b64 exec, exec, s[0:1]
	s_waitcnt vmcnt(0)
	;;#ASMSTART
	v_pk_mul_f16 v10, v41, v10;

	;;#ASMEND
	;;#ASMSTART
	v_pk_mul_f16 v11, v40, v11;

	;;#ASMEND
	;; [unrolled: 4-line block ×4, first 2 shown]
	;;#ASMSTART
	v_pk_add_f16 v10, v10, v11;

	;;#ASMEND
	;;#ASMSTART
	v_pk_add_f16 v10, v10, v12;

	;;#ASMEND
	v_add_f32_e32 v18, v18, v19
	;;#ASMSTART
	v_pk_add_f16 v10, v10, v13;

	;;#ASMEND
	v_add_f32_e32 v30, v44, v45
	v_add_f32_e32 v5, v5, v18
	v_add_f32_e32 v18, v50, v51
	v_lshrrev_b32_e32 v11, 16, v10
	v_and_b32_e32 v10, 0xffff, v10
	v_add_f32_e32 v2, v2, v30
	v_add_f32_e32 v30, v46, v47
	;; [unrolled: 1-line block ×4, first 2 shown]
	;;#ASMSTART
	v_cvt_f32_f16 v10, v10;
	;;#ASMEND
	v_add_f32_e32 v3, v3, v30
	v_add_f32_e32 v30, v48, v49
	;; [unrolled: 1-line block ×4, first 2 shown]
	;;#ASMSTART
	v_cvt_f32_f16 v11, v11;
	;;#ASMEND
	v_add_f32_e32 v10, v10, v11
	v_add_f32_e32 v4, v4, v30
	;; [unrolled: 1-line block ×4, first 2 shown]
.LBB98_50:                              ;   in Loop: Header=BB98_51 Depth=1
	s_or_b64 exec, exec, s[10:11]
	v_add_co_u32_e32 v16, vcc, 8, v16
	v_add_u32_e32 v14, 2, v14
	v_addc_co_u32_e32 v17, vcc, 0, v17, vcc
	v_cmp_le_i32_e32 vcc, s49, v14
	v_add_u32_e32 v1, 32, v1
	s_or_b64 s[6:7], vcc, s[6:7]
	v_add_u32_e32 v15, 0x80, v15
	s_andn2_b64 exec, exec, s[6:7]
	s_cbranch_execz .LBB98_68
.LBB98_51:                              ; =>This Inner Loop Header: Depth=1
	v_sub_u32_e32 v11, 0, v1
	v_max_i32_e32 v11, v1, v11
	v_mul_hi_u32 v12, v11, s46
	v_mul_lo_u32 v13, v12, s33
	v_sub_u32_e32 v11, v11, v13
	v_add_u32_e32 v13, 1, v12
	v_cmp_le_u32_e32 vcc, s33, v11
	v_cndmask_b32_e32 v12, v12, v13, vcc
	v_subrev_u32_e32 v13, s33, v11
	v_cndmask_b32_e32 v11, v11, v13, vcc
	v_ashrrev_i32_e32 v10, 31, v1
	v_add_u32_e32 v13, 1, v12
	v_cmp_le_u32_e32 vcc, s33, v11
	v_xor_b32_e32 v10, s48, v10
	v_cndmask_b32_e32 v11, v12, v13, vcc
	v_xor_b32_e32 v11, v11, v10
	v_sub_u32_e32 v10, v11, v10
	v_add_u32_e32 v11, s47, v10
	v_sub_u32_e32 v13, 0, v11
	v_ashrrev_i32_e32 v12, 31, v11
	v_max_i32_e32 v11, v11, v13
	v_mul_hi_u32 v13, v11, v24
	v_mul_lo_u32 v13, v13, s23
	v_sub_u32_e32 v11, v11, v13
	v_subrev_u32_e32 v13, s23, v11
	v_cmp_le_u32_e32 vcc, s23, v11
	v_cndmask_b32_e32 v11, v11, v13, vcc
	v_subrev_u32_e32 v13, s23, v11
	v_cmp_le_u32_e32 vcc, s23, v11
	v_cndmask_b32_e32 v11, v11, v13, vcc
	v_xor_b32_e32 v11, v11, v12
	v_sub_u32_e32 v11, v11, v12
	v_cmp_eq_u32_e32 vcc, 0, v11
	v_cmp_lt_i32_e64 s[0:1], s3, v10
	s_or_b64 s[0:1], vcc, s[0:1]
	s_and_saveexec_b64 s[10:11], s[0:1]
	s_cbranch_execz .LBB98_50
; %bb.52:                               ;   in Loop: Header=BB98_51 Depth=1
	global_load_dword v18, v[16:17], off
	ds_read2_b64 v[10:13], v15 offset1:1
	ds_read2_b64 v[30:33], v15 offset0:2 offset1:3
	v_mov_b32_e32 v19, s21
	s_waitcnt lgkmcnt(1)
	;;#ASMSTART
	v_cvt_f16_f32 v38, v10;

	;;#ASMEND
	;;#ASMSTART
	v_cvt_f16_f32 v39, v11;

	;;#ASMEND
	;; [unrolled: 4-line block ×4, first 2 shown]
	s_waitcnt lgkmcnt(0)
	;;#ASMSTART
	v_cvt_f16_f32 v45, v30;

	;;#ASMEND
	;;#ASMSTART
	v_cvt_f16_f32 v46, v31;

	;;#ASMEND
	;; [unrolled: 4-line block ×4, first 2 shown]
	v_add_u32_e32 v30, v23, v1
	v_add_u32_e32 v31, 1, v30
	v_or_b32_e32 v33, 3, v30
	v_or_b32_e32 v32, 2, v30
	;; [unrolled: 1-line block ×6, first 2 shown]
	s_waitcnt vmcnt(0)
	v_mad_i64_i32 v[10:11], s[0:1], v18, s9, 0
	v_lshlrev_b64 v[10:11], 1, v[10:11]
	v_add_co_u32_e32 v42, vcc, s20, v10
	v_addc_co_u32_e32 v43, vcc, v19, v11, vcc
	v_add_co_u32_e32 v18, vcc, v42, v25
	v_addc_co_u32_e32 v19, vcc, 0, v43, vcc
	global_load_dwordx4 v[10:13], v[18:19], off
	v_cmp_eq_u32_e32 vcc, s22, v14
	s_and_saveexec_b64 s[12:13], vcc
	s_cbranch_execz .LBB98_54
; %bb.53:                               ;   in Loop: Header=BB98_51 Depth=1
	s_waitcnt vmcnt(0)
	v_lshrrev_b32_e32 v41, 16, v13
	v_cmp_gt_i32_e64 s[0:1], s41, v37
	v_cndmask_b32_e64 v41, 0, v41, s[0:1]
	v_cmp_gt_i32_e64 s[0:1], s40, v36
	v_cndmask_b32_e64 v13, 0, v13, s[0:1]
	v_perm_b32 v13, v41, v13, s14
	v_lshrrev_b32_e32 v41, 16, v12
	v_cmp_gt_i32_e64 s[0:1], s39, v35
	v_cndmask_b32_e64 v41, 0, v41, s[0:1]
	v_cmp_gt_i32_e64 s[0:1], s38, v34
	v_cndmask_b32_e64 v12, 0, v12, s[0:1]
	v_perm_b32 v12, v41, v12, s14
	;; [unrolled: 6-line block ×4, first 2 shown]
.LBB98_54:                              ;   in Loop: Header=BB98_51 Depth=1
	s_or_b64 exec, exec, s[12:13]
	v_and_b32_e32 v38, 0xffff, v38
	v_lshl_or_b32 v41, v39, 16, v38
	v_and_b32_e32 v38, 0xffff, v40
	v_lshl_or_b32 v40, v44, 16, v38
	;; [unrolled: 2-line block ×3, first 2 shown]
	v_and_b32_e32 v38, 0xffff, v47
	s_waitcnt vmcnt(0)
	;;#ASMSTART
	v_pk_mul_f16 v10, v41, v10;

	;;#ASMEND
	v_lshl_or_b32 v38, v48, 16, v38
	;;#ASMSTART
	v_pk_mul_f16 v11, v40, v11;

	;;#ASMEND
	;;#ASMSTART
	v_pk_mul_f16 v12, v39, v12;

	;;#ASMEND
	;; [unrolled: 4-line block ×3, first 2 shown]
	;;#ASMSTART
	v_pk_add_f16 v10, v10, v11;

	;;#ASMEND
	;;#ASMSTART
	v_pk_add_f16 v10, v10, v12;

	;;#ASMEND
	;; [unrolled: 4-line block ×3, first 2 shown]
	v_lshrrev_b32_e32 v11, 16, v10
	v_and_b32_e32 v10, 0xffff, v10
	;;#ASMSTART
	v_cvt_f32_f16 v44, v10;
	;;#ASMEND
	;;#ASMSTART
	v_cvt_f32_f16 v45, v11;
	;;#ASMEND
	global_load_dwordx4 v[10:13], v[18:19], off offset:1024
	s_and_saveexec_b64 s[12:13], vcc
	s_cbranch_execz .LBB98_56
; %bb.55:                               ;   in Loop: Header=BB98_51 Depth=1
	s_waitcnt vmcnt(0)
	v_lshrrev_b32_e32 v46, 16, v13
	v_cmp_gt_i32_e64 s[0:1], s41, v37
	v_cndmask_b32_e64 v46, 0, v46, s[0:1]
	v_cmp_gt_i32_e64 s[0:1], s40, v36
	v_cndmask_b32_e64 v13, 0, v13, s[0:1]
	v_perm_b32 v13, v46, v13, s14
	v_lshrrev_b32_e32 v46, 16, v12
	v_cmp_gt_i32_e64 s[0:1], s39, v35
	v_cndmask_b32_e64 v46, 0, v46, s[0:1]
	v_cmp_gt_i32_e64 s[0:1], s38, v34
	v_cndmask_b32_e64 v12, 0, v12, s[0:1]
	v_perm_b32 v12, v46, v12, s14
	;; [unrolled: 6-line block ×4, first 2 shown]
.LBB98_56:                              ;   in Loop: Header=BB98_51 Depth=1
	s_or_b64 exec, exec, s[12:13]
	s_waitcnt vmcnt(0)
	;;#ASMSTART
	v_pk_mul_f16 v10, v41, v10;

	;;#ASMEND
	;;#ASMSTART
	v_pk_mul_f16 v11, v40, v11;

	;;#ASMEND
	;; [unrolled: 4-line block ×4, first 2 shown]
	;;#ASMSTART
	v_pk_add_f16 v10, v10, v11;

	;;#ASMEND
	;;#ASMSTART
	v_pk_add_f16 v10, v10, v12;

	;;#ASMEND
	;; [unrolled: 4-line block ×3, first 2 shown]
	v_lshrrev_b32_e32 v11, 16, v10
	v_and_b32_e32 v10, 0xffff, v10
	;;#ASMSTART
	v_cvt_f32_f16 v46, v10;
	;;#ASMEND
	;;#ASMSTART
	v_cvt_f32_f16 v47, v11;
	;;#ASMEND
	global_load_dwordx4 v[10:13], v[18:19], off offset:2048
	s_and_saveexec_b64 s[12:13], vcc
	s_cbranch_execz .LBB98_58
; %bb.57:                               ;   in Loop: Header=BB98_51 Depth=1
	s_waitcnt vmcnt(0)
	v_lshrrev_b32_e32 v48, 16, v13
	v_cmp_gt_i32_e64 s[0:1], s41, v37
	v_cndmask_b32_e64 v48, 0, v48, s[0:1]
	v_cmp_gt_i32_e64 s[0:1], s40, v36
	v_cndmask_b32_e64 v13, 0, v13, s[0:1]
	v_perm_b32 v13, v48, v13, s14
	v_lshrrev_b32_e32 v48, 16, v12
	v_cmp_gt_i32_e64 s[0:1], s39, v35
	v_cndmask_b32_e64 v48, 0, v48, s[0:1]
	v_cmp_gt_i32_e64 s[0:1], s38, v34
	v_cndmask_b32_e64 v12, 0, v12, s[0:1]
	v_perm_b32 v12, v48, v12, s14
	;; [unrolled: 6-line block ×4, first 2 shown]
.LBB98_58:                              ;   in Loop: Header=BB98_51 Depth=1
	s_or_b64 exec, exec, s[12:13]
	s_waitcnt vmcnt(0)
	;;#ASMSTART
	v_pk_mul_f16 v10, v41, v10;

	;;#ASMEND
	;;#ASMSTART
	v_pk_mul_f16 v11, v40, v11;

	;;#ASMEND
	;; [unrolled: 4-line block ×4, first 2 shown]
	;;#ASMSTART
	v_pk_add_f16 v10, v10, v11;

	;;#ASMEND
	;;#ASMSTART
	v_pk_add_f16 v10, v10, v12;

	;;#ASMEND
	;; [unrolled: 4-line block ×3, first 2 shown]
	v_lshrrev_b32_e32 v11, 16, v10
	v_and_b32_e32 v10, 0xffff, v10
	;;#ASMSTART
	v_cvt_f32_f16 v48, v10;
	;;#ASMEND
	;;#ASMSTART
	v_cvt_f32_f16 v49, v11;
	;;#ASMEND
	global_load_dwordx4 v[10:13], v[18:19], off offset:3072
	s_and_saveexec_b64 s[12:13], vcc
	s_cbranch_execz .LBB98_60
; %bb.59:                               ;   in Loop: Header=BB98_51 Depth=1
	s_waitcnt vmcnt(0)
	v_lshrrev_b32_e32 v18, 16, v13
	v_cmp_gt_i32_e64 s[0:1], s41, v37
	v_cndmask_b32_e64 v18, 0, v18, s[0:1]
	v_cmp_gt_i32_e64 s[0:1], s40, v36
	v_cndmask_b32_e64 v13, 0, v13, s[0:1]
	v_perm_b32 v13, v18, v13, s14
	v_lshrrev_b32_e32 v18, 16, v12
	v_cmp_gt_i32_e64 s[0:1], s39, v35
	v_cndmask_b32_e64 v18, 0, v18, s[0:1]
	v_cmp_gt_i32_e64 s[0:1], s38, v34
	v_cndmask_b32_e64 v12, 0, v12, s[0:1]
	v_perm_b32 v12, v18, v12, s14
	;; [unrolled: 6-line block ×4, first 2 shown]
.LBB98_60:                              ;   in Loop: Header=BB98_51 Depth=1
	s_or_b64 exec, exec, s[12:13]
	s_waitcnt vmcnt(0)
	;;#ASMSTART
	v_pk_mul_f16 v10, v41, v10;

	;;#ASMEND
	;;#ASMSTART
	v_pk_mul_f16 v11, v40, v11;

	;;#ASMEND
	;; [unrolled: 4-line block ×4, first 2 shown]
	;;#ASMSTART
	v_pk_add_f16 v10, v10, v11;

	;;#ASMEND
	;;#ASMSTART
	v_pk_add_f16 v10, v10, v12;

	;;#ASMEND
	;; [unrolled: 4-line block ×3, first 2 shown]
	v_lshrrev_b32_e32 v11, 16, v10
	v_and_b32_e32 v10, 0xffff, v10
	;;#ASMSTART
	v_cvt_f32_f16 v18, v10;
	;;#ASMEND
	v_add_co_u32_e64 v10, s[0:1], v42, v26
	;;#ASMSTART
	v_cvt_f32_f16 v19, v11;
	;;#ASMEND
	v_addc_co_u32_e64 v11, s[0:1], 0, v43, s[0:1]
	global_load_dwordx4 v[10:13], v[10:11], off
	s_and_saveexec_b64 s[12:13], vcc
	s_cbranch_execz .LBB98_62
; %bb.61:                               ;   in Loop: Header=BB98_51 Depth=1
	s_waitcnt vmcnt(0)
	v_lshrrev_b32_e32 v50, 16, v13
	v_cmp_gt_i32_e64 s[0:1], s41, v37
	v_cndmask_b32_e64 v50, 0, v50, s[0:1]
	v_cmp_gt_i32_e64 s[0:1], s40, v36
	v_cndmask_b32_e64 v13, 0, v13, s[0:1]
	v_perm_b32 v13, v50, v13, s14
	v_lshrrev_b32_e32 v50, 16, v12
	v_cmp_gt_i32_e64 s[0:1], s39, v35
	v_cndmask_b32_e64 v50, 0, v50, s[0:1]
	v_cmp_gt_i32_e64 s[0:1], s38, v34
	v_cndmask_b32_e64 v12, 0, v12, s[0:1]
	v_perm_b32 v12, v50, v12, s14
	;; [unrolled: 6-line block ×4, first 2 shown]
.LBB98_62:                              ;   in Loop: Header=BB98_51 Depth=1
	s_or_b64 exec, exec, s[12:13]
	s_waitcnt vmcnt(0)
	;;#ASMSTART
	v_pk_mul_f16 v10, v41, v10;

	;;#ASMEND
	;;#ASMSTART
	v_pk_mul_f16 v11, v40, v11;

	;;#ASMEND
	;; [unrolled: 4-line block ×4, first 2 shown]
	;;#ASMSTART
	v_pk_add_f16 v10, v10, v11;

	;;#ASMEND
	;;#ASMSTART
	v_pk_add_f16 v10, v10, v12;

	;;#ASMEND
	;; [unrolled: 4-line block ×3, first 2 shown]
	v_lshrrev_b32_e32 v11, 16, v10
	v_and_b32_e32 v10, 0xffff, v10
	;;#ASMSTART
	v_cvt_f32_f16 v50, v10;
	;;#ASMEND
	v_add_co_u32_e64 v10, s[0:1], v42, v27
	;;#ASMSTART
	v_cvt_f32_f16 v51, v11;
	;;#ASMEND
	v_addc_co_u32_e64 v11, s[0:1], 0, v43, s[0:1]
	global_load_dwordx4 v[10:13], v[10:11], off
	s_and_saveexec_b64 s[12:13], vcc
	s_cbranch_execz .LBB98_64
; %bb.63:                               ;   in Loop: Header=BB98_51 Depth=1
	s_waitcnt vmcnt(0)
	v_lshrrev_b32_e32 v52, 16, v13
	v_cmp_gt_i32_e64 s[0:1], s41, v37
	v_cndmask_b32_e64 v52, 0, v52, s[0:1]
	v_cmp_gt_i32_e64 s[0:1], s40, v36
	v_cndmask_b32_e64 v13, 0, v13, s[0:1]
	v_perm_b32 v13, v52, v13, s14
	v_lshrrev_b32_e32 v52, 16, v12
	v_cmp_gt_i32_e64 s[0:1], s39, v35
	v_cndmask_b32_e64 v52, 0, v52, s[0:1]
	v_cmp_gt_i32_e64 s[0:1], s38, v34
	v_cndmask_b32_e64 v12, 0, v12, s[0:1]
	v_perm_b32 v12, v52, v12, s14
	v_lshrrev_b32_e32 v52, 16, v11
	v_cmp_gt_i32_e64 s[0:1], s37, v33
	v_cndmask_b32_e64 v52, 0, v52, s[0:1]
	v_cmp_gt_i32_e64 s[0:1], s36, v32
	v_cndmask_b32_e64 v11, 0, v11, s[0:1]
	v_perm_b32 v11, v52, v11, s14
	v_lshrrev_b32_e32 v52, 16, v10
	v_cmp_gt_i32_e64 s[0:1], s28, v31
	v_cndmask_b32_e64 v52, 0, v52, s[0:1]
	v_cmp_gt_i32_e64 s[0:1], s29, v30
	v_cndmask_b32_e64 v10, 0, v10, s[0:1]
	v_perm_b32 v10, v52, v10, s14
.LBB98_64:                              ;   in Loop: Header=BB98_51 Depth=1
	s_or_b64 exec, exec, s[12:13]
	s_waitcnt vmcnt(0)
	;;#ASMSTART
	v_pk_mul_f16 v10, v41, v10;

	;;#ASMEND
	;;#ASMSTART
	v_pk_mul_f16 v11, v40, v11;

	;;#ASMEND
	;; [unrolled: 4-line block ×4, first 2 shown]
	;;#ASMSTART
	v_pk_add_f16 v10, v10, v11;

	;;#ASMEND
	;;#ASMSTART
	v_pk_add_f16 v10, v10, v12;

	;;#ASMEND
	;; [unrolled: 4-line block ×3, first 2 shown]
	v_lshrrev_b32_e32 v11, 16, v10
	v_and_b32_e32 v10, 0xffff, v10
	;;#ASMSTART
	v_cvt_f32_f16 v52, v10;
	;;#ASMEND
	v_add_co_u32_e64 v10, s[0:1], v42, v28
	;;#ASMSTART
	v_cvt_f32_f16 v53, v11;
	;;#ASMEND
	v_addc_co_u32_e64 v11, s[0:1], 0, v43, s[0:1]
	global_load_dwordx4 v[10:13], v[10:11], off
	s_and_saveexec_b64 s[12:13], vcc
	s_cbranch_execz .LBB98_66
; %bb.65:                               ;   in Loop: Header=BB98_51 Depth=1
	s_waitcnt vmcnt(0)
	v_lshrrev_b32_e32 v54, 16, v13
	v_cmp_gt_i32_e64 s[0:1], s41, v37
	v_cndmask_b32_e64 v54, 0, v54, s[0:1]
	v_cmp_gt_i32_e64 s[0:1], s40, v36
	v_cndmask_b32_e64 v13, 0, v13, s[0:1]
	v_perm_b32 v13, v54, v13, s14
	v_lshrrev_b32_e32 v54, 16, v12
	v_cmp_gt_i32_e64 s[0:1], s39, v35
	v_cndmask_b32_e64 v54, 0, v54, s[0:1]
	v_cmp_gt_i32_e64 s[0:1], s38, v34
	v_cndmask_b32_e64 v12, 0, v12, s[0:1]
	v_perm_b32 v12, v54, v12, s14
	;; [unrolled: 6-line block ×4, first 2 shown]
.LBB98_66:                              ;   in Loop: Header=BB98_51 Depth=1
	s_or_b64 exec, exec, s[12:13]
	s_waitcnt vmcnt(0)
	;;#ASMSTART
	v_pk_mul_f16 v10, v41, v10;

	;;#ASMEND
	;;#ASMSTART
	v_pk_mul_f16 v11, v40, v11;

	;;#ASMEND
	;; [unrolled: 4-line block ×4, first 2 shown]
	;;#ASMSTART
	v_pk_add_f16 v10, v10, v11;

	;;#ASMEND
	;;#ASMSTART
	v_pk_add_f16 v10, v10, v12;

	;;#ASMEND
	;; [unrolled: 4-line block ×3, first 2 shown]
	v_lshrrev_b32_e32 v11, 16, v10
	v_and_b32_e32 v10, 0xffff, v10
	;;#ASMSTART
	v_cvt_f32_f16 v54, v10;
	;;#ASMEND
	v_add_co_u32_e64 v10, s[0:1], v42, v29
	;;#ASMSTART
	v_cvt_f32_f16 v55, v11;
	;;#ASMEND
	v_addc_co_u32_e64 v11, s[0:1], 0, v43, s[0:1]
	global_load_dwordx4 v[10:13], v[10:11], off
	s_and_saveexec_b64 s[0:1], vcc
	s_cbranch_execz .LBB98_49
; %bb.67:                               ;   in Loop: Header=BB98_51 Depth=1
	s_waitcnt vmcnt(0)
	v_lshrrev_b32_e32 v42, 16, v13
	v_cmp_gt_i32_e32 vcc, s41, v37
	v_cndmask_b32_e32 v37, 0, v42, vcc
	v_cmp_gt_i32_e32 vcc, s40, v36
	v_cndmask_b32_e32 v13, 0, v13, vcc
	v_lshrrev_b32_e32 v36, 16, v12
	v_cmp_gt_i32_e32 vcc, s39, v35
	v_cndmask_b32_e32 v35, 0, v36, vcc
	v_cmp_gt_i32_e32 vcc, s38, v34
	v_cndmask_b32_e32 v12, 0, v12, vcc
	;; [unrolled: 5-line block ×4, first 2 shown]
	v_perm_b32 v13, v37, v13, s14
	v_perm_b32 v12, v35, v12, s14
	;; [unrolled: 1-line block ×4, first 2 shown]
	s_branch .LBB98_49
.LBB98_68:
	s_or_b64 exec, exec, s[6:7]
.LBB98_69:
	s_or_b64 exec, exec, s[4:5]
	ds_bpermute_b32 v10, v21, v2
	ds_bpermute_b32 v11, v21, v3
	ds_bpermute_b32 v14, v21, v4
	ds_bpermute_b32 v15, v21, v5
	ds_bpermute_b32 v16, v21, v6
	ds_bpermute_b32 v17, v21, v7
	ds_bpermute_b32 v18, v21, v8
	ds_bpermute_b32 v19, v21, v9
	v_and_b32_e32 v1, 0x3c1, v0
	s_waitcnt lgkmcnt(6)
	v_pk_add_f32 v[12:13], v[2:3], v[10:11]
	s_waitcnt lgkmcnt(4)
	v_pk_add_f32 v[10:11], v[4:5], v[14:15]
	;; [unrolled: 2-line block ×4, first 2 shown]
	v_cmp_eq_u32_e32 vcc, 64, v1
	s_barrier
	s_and_saveexec_b64 s[0:1], vcc
	s_cbranch_execz .LBB98_71
; %bb.70:
	v_mov_b32_e32 v6, 0x210
	v_lshl_add_u32 v6, v20, 1, v6
	ds_write2_b32 v6, v12, v13 offset1:32
	ds_write2_b32 v6, v10, v11 offset0:64 offset1:96
	ds_write2_b32 v6, v4, v5 offset0:128 offset1:160
	;; [unrolled: 1-line block ×3, first 2 shown]
.LBB98_71:
	s_or_b64 exec, exec, s[0:1]
	v_cmp_gt_u32_e32 vcc, 64, v0
	s_waitcnt lgkmcnt(0)
	s_barrier
	s_and_saveexec_b64 s[0:1], vcc
	s_cbranch_execz .LBB98_82
; %bb.72:
	v_cmp_eq_u32_e32 vcc, 0, v22
	v_lshrrev_b32_e32 v6, 1, v0
	s_and_saveexec_b64 s[4:5], vcc
	s_cbranch_execnz .LBB98_85
; %bb.73:
	s_or_b64 exec, exec, s[4:5]
	s_and_saveexec_b64 s[4:5], vcc
	s_cbranch_execnz .LBB98_86
.LBB98_74:
	s_or_b64 exec, exec, s[4:5]
	s_and_saveexec_b64 s[4:5], vcc
	s_cbranch_execnz .LBB98_87
.LBB98_75:
	s_or_b64 exec, exec, s[4:5]
	s_and_saveexec_b64 s[4:5], vcc
	s_cbranch_execnz .LBB98_88
.LBB98_76:
	s_or_b64 exec, exec, s[4:5]
	s_and_saveexec_b64 s[4:5], vcc
	s_cbranch_execnz .LBB98_89
.LBB98_77:
	s_or_b64 exec, exec, s[4:5]
	s_and_saveexec_b64 s[4:5], vcc
	s_cbranch_execnz .LBB98_90
.LBB98_78:
	s_or_b64 exec, exec, s[4:5]
	s_and_saveexec_b64 s[4:5], vcc
	s_cbranch_execnz .LBB98_91
.LBB98_79:
	s_or_b64 exec, exec, s[4:5]
	s_and_saveexec_b64 s[4:5], vcc
	s_cbranch_execz .LBB98_81
.LBB98_80:
	v_mov_b32_e32 v7, 0x210
	v_lshl_add_u32 v6, v6, 2, v7
	ds_read_b32 v6, v6 offset:896
	s_waitcnt lgkmcnt(0)
	v_add_f32_e32 v3, v3, v6
.LBB98_81:
	s_or_b64 exec, exec, s[4:5]
.LBB98_82:
	s_or_b64 exec, exec, s[0:1]
	v_cmp_eq_u32_e32 vcc, 0, v1
	s_barrier
	s_and_saveexec_b64 s[0:1], vcc
	s_cbranch_execz .LBB98_84
; %bb.83:
	s_lshl_b32 s0, s2, 8
	s_ashr_i32 s1, s0, 31
	s_lshl_b64 s[0:1], s[0:1], 1
	s_add_u32 s2, s26, s0
	s_mul_i32 s0, s25, s24
	s_addc_u32 s3, s27, s1
	s_ashr_i32 s1, s0, 31
	s_lshl_b64 s[0:1], s[0:1], 1
	s_add_u32 s2, s2, s0
	s_addc_u32 s3, s3, s1
	s_lshl_b32 s0, s8, 8
	s_ashr_i32 s1, s0, 31
	s_lshl_b64 s[0:1], s[0:1], 1
	s_add_u32 s0, s2, s0
	s_addc_u32 s1, s3, s1
	;;#ASMSTART
	v_cvt_f16_f32 v1, v12;

	;;#ASMEND
	global_store_short v0, v1, s[0:1]
	;;#ASMSTART
	v_cvt_f16_f32 v1, v13;

	;;#ASMEND
	global_store_short v0, v1, s[0:1] offset:64
	;;#ASMSTART
	v_cvt_f16_f32 v1, v10;

	;;#ASMEND
	global_store_short v0, v1, s[0:1] offset:128
	;; [unrolled: 5-line block ×7, first 2 shown]
.LBB98_84:
	s_endpgm
.LBB98_85:
	v_mov_b32_e32 v7, 0x210
	v_lshl_add_u32 v7, v6, 2, v7
	ds_read_b32 v7, v7
	s_waitcnt lgkmcnt(0)
	v_add_f32_e32 v12, v12, v7
	s_or_b64 exec, exec, s[4:5]
	s_and_saveexec_b64 s[4:5], vcc
	s_cbranch_execz .LBB98_74
.LBB98_86:
	v_mov_b32_e32 v7, 0x210
	v_lshl_add_u32 v7, v6, 2, v7
	ds_read_b32 v7, v7 offset:128
	s_waitcnt lgkmcnt(0)
	v_add_f32_e32 v13, v13, v7
	s_or_b64 exec, exec, s[4:5]
	s_and_saveexec_b64 s[4:5], vcc
	s_cbranch_execz .LBB98_75
.LBB98_87:
	v_mov_b32_e32 v7, 0x210
	v_lshl_add_u32 v7, v6, 2, v7
	ds_read_b32 v7, v7 offset:256
	s_waitcnt lgkmcnt(0)
	v_add_f32_e32 v10, v10, v7
	s_or_b64 exec, exec, s[4:5]
	s_and_saveexec_b64 s[4:5], vcc
	s_cbranch_execz .LBB98_76
.LBB98_88:
	v_mov_b32_e32 v7, 0x210
	v_lshl_add_u32 v7, v6, 2, v7
	ds_read_b32 v7, v7 offset:384
	s_waitcnt lgkmcnt(0)
	v_add_f32_e32 v11, v11, v7
	s_or_b64 exec, exec, s[4:5]
	s_and_saveexec_b64 s[4:5], vcc
	s_cbranch_execz .LBB98_77
.LBB98_89:
	v_mov_b32_e32 v7, 0x210
	v_lshl_add_u32 v7, v6, 2, v7
	ds_read_b32 v7, v7 offset:512
	s_waitcnt lgkmcnt(0)
	v_add_f32_e32 v4, v4, v7
	s_or_b64 exec, exec, s[4:5]
	s_and_saveexec_b64 s[4:5], vcc
	s_cbranch_execz .LBB98_78
.LBB98_90:
	v_mov_b32_e32 v7, 0x210
	v_lshl_add_u32 v7, v6, 2, v7
	ds_read_b32 v7, v7 offset:640
	s_waitcnt lgkmcnt(0)
	v_add_f32_e32 v5, v5, v7
	s_or_b64 exec, exec, s[4:5]
	s_and_saveexec_b64 s[4:5], vcc
	s_cbranch_execz .LBB98_79
.LBB98_91:
	v_mov_b32_e32 v7, 0x210
	v_lshl_add_u32 v7, v6, 2, v7
	ds_read_b32 v7, v7 offset:768
	s_waitcnt lgkmcnt(0)
	v_add_f32_e32 v2, v2, v7
	s_or_b64 exec, exec, s[4:5]
	s_and_saveexec_b64 s[4:5], vcc
	s_cbranch_execnz .LBB98_80
	s_branch .LBB98_81
	.section	.rodata,"a",@progbits
	.p2align	6, 0x0
	.amdhsa_kernel _ZN4vllm25paged_attention_v2_kernelIttLi256ELi16ELi128ELNS_18Fp8KVCacheDataTypeE0ELb1ELi512EEEvPfS2_PT_PKS3_PKT0_S9_ifPKiSB_iPKfiiiSD_SD_iiiii
		.amdhsa_group_segment_fixed_size 528
		.amdhsa_private_segment_fixed_size 0
		.amdhsa_kernarg_size 400
		.amdhsa_user_sgpr_count 6
		.amdhsa_user_sgpr_private_segment_buffer 1
		.amdhsa_user_sgpr_dispatch_ptr 0
		.amdhsa_user_sgpr_queue_ptr 0
		.amdhsa_user_sgpr_kernarg_segment_ptr 1
		.amdhsa_user_sgpr_dispatch_id 0
		.amdhsa_user_sgpr_flat_scratch_init 0
		.amdhsa_user_sgpr_kernarg_preload_length 0
		.amdhsa_user_sgpr_kernarg_preload_offset 0
		.amdhsa_user_sgpr_private_segment_size 0
		.amdhsa_uses_dynamic_stack 0
		.amdhsa_system_sgpr_private_segment_wavefront_offset 0
		.amdhsa_system_sgpr_workgroup_id_x 1
		.amdhsa_system_sgpr_workgroup_id_y 1
		.amdhsa_system_sgpr_workgroup_id_z 1
		.amdhsa_system_sgpr_workgroup_info 0
		.amdhsa_system_vgpr_workitem_id 0
		.amdhsa_next_free_vgpr 91
		.amdhsa_next_free_sgpr 53
		.amdhsa_accum_offset 92
		.amdhsa_reserve_vcc 1
		.amdhsa_reserve_flat_scratch 0
		.amdhsa_float_round_mode_32 0
		.amdhsa_float_round_mode_16_64 0
		.amdhsa_float_denorm_mode_32 3
		.amdhsa_float_denorm_mode_16_64 3
		.amdhsa_dx10_clamp 1
		.amdhsa_ieee_mode 1
		.amdhsa_fp16_overflow 0
		.amdhsa_tg_split 0
		.amdhsa_exception_fp_ieee_invalid_op 0
		.amdhsa_exception_fp_denorm_src 0
		.amdhsa_exception_fp_ieee_div_zero 0
		.amdhsa_exception_fp_ieee_overflow 0
		.amdhsa_exception_fp_ieee_underflow 0
		.amdhsa_exception_fp_ieee_inexact 0
		.amdhsa_exception_int_div_zero 0
	.end_amdhsa_kernel
	.section	.text._ZN4vllm25paged_attention_v2_kernelIttLi256ELi16ELi128ELNS_18Fp8KVCacheDataTypeE0ELb1ELi512EEEvPfS2_PT_PKS3_PKT0_S9_ifPKiSB_iPKfiiiSD_SD_iiiii,"axG",@progbits,_ZN4vllm25paged_attention_v2_kernelIttLi256ELi16ELi128ELNS_18Fp8KVCacheDataTypeE0ELb1ELi512EEEvPfS2_PT_PKS3_PKT0_S9_ifPKiSB_iPKfiiiSD_SD_iiiii,comdat
.Lfunc_end98:
	.size	_ZN4vllm25paged_attention_v2_kernelIttLi256ELi16ELi128ELNS_18Fp8KVCacheDataTypeE0ELb1ELi512EEEvPfS2_PT_PKS3_PKT0_S9_ifPKiSB_iPKfiiiSD_SD_iiiii, .Lfunc_end98-_ZN4vllm25paged_attention_v2_kernelIttLi256ELi16ELi128ELNS_18Fp8KVCacheDataTypeE0ELb1ELi512EEEvPfS2_PT_PKS3_PKT0_S9_ifPKiSB_iPKfiiiSD_SD_iiiii
                                        ; -- End function
	.section	.AMDGPU.csdata,"",@progbits
; Kernel info:
; codeLenInByte = 9932
; NumSgprs: 57
; NumVgprs: 91
; NumAgprs: 0
; TotalNumVgprs: 91
; ScratchSize: 0
; MemoryBound: 0
; FloatMode: 240
; IeeeMode: 1
; LDSByteSize: 528 bytes/workgroup (compile time only)
; SGPRBlocks: 7
; VGPRBlocks: 11
; NumSGPRsForWavesPerEU: 57
; NumVGPRsForWavesPerEU: 91
; AccumOffset: 92
; Occupancy: 5
; WaveLimiterHint : 1
; COMPUTE_PGM_RSRC2:SCRATCH_EN: 0
; COMPUTE_PGM_RSRC2:USER_SGPR: 6
; COMPUTE_PGM_RSRC2:TRAP_HANDLER: 0
; COMPUTE_PGM_RSRC2:TGID_X_EN: 1
; COMPUTE_PGM_RSRC2:TGID_Y_EN: 1
; COMPUTE_PGM_RSRC2:TGID_Z_EN: 1
; COMPUTE_PGM_RSRC2:TIDIG_COMP_CNT: 0
; COMPUTE_PGM_RSRC3_GFX90A:ACCUM_OFFSET: 22
; COMPUTE_PGM_RSRC3_GFX90A:TG_SPLIT: 0
	.section	.text._ZN4vllm25paged_attention_v2_kernelIttLi32ELi16ELi128ELNS_18Fp8KVCacheDataTypeE0ELb0ELi512EEEvPfS2_PT_PKS3_PKT0_S9_ifPKiSB_iPKfiiiSD_SD_iiiii,"axG",@progbits,_ZN4vllm25paged_attention_v2_kernelIttLi32ELi16ELi128ELNS_18Fp8KVCacheDataTypeE0ELb0ELi512EEEvPfS2_PT_PKS3_PKT0_S9_ifPKiSB_iPKfiiiSD_SD_iiiii,comdat
	.protected	_ZN4vllm25paged_attention_v2_kernelIttLi32ELi16ELi128ELNS_18Fp8KVCacheDataTypeE0ELb0ELi512EEEvPfS2_PT_PKS3_PKT0_S9_ifPKiSB_iPKfiiiSD_SD_iiiii ; -- Begin function _ZN4vllm25paged_attention_v2_kernelIttLi32ELi16ELi128ELNS_18Fp8KVCacheDataTypeE0ELb0ELi512EEEvPfS2_PT_PKS3_PKT0_S9_ifPKiSB_iPKfiiiSD_SD_iiiii
	.globl	_ZN4vllm25paged_attention_v2_kernelIttLi32ELi16ELi128ELNS_18Fp8KVCacheDataTypeE0ELb0ELi512EEEvPfS2_PT_PKS3_PKT0_S9_ifPKiSB_iPKfiiiSD_SD_iiiii
	.p2align	8
	.type	_ZN4vllm25paged_attention_v2_kernelIttLi32ELi16ELi128ELNS_18Fp8KVCacheDataTypeE0ELb0ELi512EEEvPfS2_PT_PKS3_PKT0_S9_ifPKiSB_iPKfiiiSD_SD_iiiii,@function
_ZN4vllm25paged_attention_v2_kernelIttLi32ELi16ELi128ELNS_18Fp8KVCacheDataTypeE0ELb0ELi512EEEvPfS2_PT_PKS3_PKT0_S9_ifPKiSB_iPKfiiiSD_SD_iiiii: ; @_ZN4vllm25paged_attention_v2_kernelIttLi32ELi16ELi128ELNS_18Fp8KVCacheDataTypeE0ELb0ELi512EEEvPfS2_PT_PKS3_PKT0_S9_ifPKiSB_iPKfiiiSD_SD_iiiii
; %bb.0:
	s_load_dwordx2 s[0:1], s[4:5], 0x40
	s_mov_b32 s24, s7
	s_ashr_i32 s25, s7, 31
	s_lshl_b64 s[2:3], s[24:25], 2
	s_waitcnt lgkmcnt(0)
	s_add_u32 s0, s0, s2
	s_addc_u32 s1, s1, s3
	s_load_dword s25, s[0:1], 0x0
	s_lshl_b32 s40, s8, 9
	s_waitcnt lgkmcnt(0)
	s_cmp_ge_i32 s40, s25
	s_cbranch_scc1 .LBB99_52
; %bb.1:
	s_load_dword s9, s[4:5], 0x90
	s_load_dwordx2 s[10:11], s[4:5], 0x30
	s_waitcnt lgkmcnt(0)
	s_abs_i32 s2, s9
	s_abs_i32 s0, s10
	v_cvt_f32_u32_e32 v1, s0
	s_sub_i32 s3, 0, s0
	s_xor_b32 s1, s9, s10
	s_ashr_i32 s1, s1, 31
	v_rcp_iflag_f32_e32 v1, v1
	v_mul_f32_e32 v1, 0x4f7ffffe, v1
	v_cvt_u32_f32_e32 v1, v1
	v_readfirstlane_b32 s7, v1
	s_mul_i32 s3, s3, s7
	s_mul_hi_u32 s3, s7, s3
	s_add_i32 s7, s7, s3
	s_mul_hi_u32 s3, s2, s7
	s_mul_i32 s7, s3, s0
	s_sub_i32 s2, s2, s7
	s_add_i32 s10, s3, 1
	s_sub_i32 s7, s2, s0
	s_cmp_ge_u32 s2, s0
	s_cselect_b32 s3, s10, s3
	s_cselect_b32 s2, s7, s2
	s_add_i32 s7, s3, 1
	s_cmp_ge_u32 s2, s0
	s_cselect_b32 s0, s7, s3
	s_xor_b32 s0, s0, s1
	s_sub_i32 s18, s0, s1
	s_abs_i32 s2, s18
	v_cvt_f32_u32_e32 v1, s2
	s_load_dwordx2 s[0:1], s[4:5], 0x50
	s_sub_i32 s7, 0, s2
	s_abs_i32 s3, s6
	v_rcp_iflag_f32_e32 v1, v1
	s_mov_b32 s10, 0
	v_mul_f32_e32 v1, 0x4f7ffffe, v1
	v_cvt_u32_f32_e32 v1, v1
	v_readfirstlane_b32 s12, v1
	s_mul_i32 s7, s7, s12
	s_mul_hi_u32 s7, s12, s7
	s_add_i32 s12, s12, s7
	s_waitcnt lgkmcnt(0)
	s_cmp_eq_u64 s[0:1], 0
	s_mul_hi_u32 s16, s3, s12
	s_cbranch_scc1 .LBB99_3
; %bb.2:
	s_ashr_i32 s7, s6, 31
	s_lshl_b64 s[12:13], s[6:7], 2
	s_add_u32 s0, s0, s12
	s_addc_u32 s1, s1, s13
	s_load_dword s10, s[0:1], 0x0
.LBB99_3:
	s_load_dwordx4 s[12:15], s[4:5], 0x58
	s_ashr_i32 s17, s6, 31
	s_waitcnt lgkmcnt(0)
	s_ashr_i32 s15, s18, 31
	v_and_b32_e32 v2, 3, v0
	s_lshl_b32 s20, s6, 5
	v_cmp_gt_u32_e32 vcc, 16, v0
	s_and_saveexec_b64 s[0:1], vcc
	s_cbranch_execz .LBB99_5
; %bb.4:
	s_load_dwordx2 s[18:19], s[4:5], 0x18
	s_mul_i32 s22, s24, s12
	s_ashr_i32 s23, s22, 31
	s_lshl_b64 s[22:23], s[22:23], 1
	v_lshlrev_b32_e32 v1, 2, v0
	s_waitcnt lgkmcnt(0)
	s_add_u32 s7, s18, s22
	s_addc_u32 s12, s19, s23
	s_ashr_i32 s21, s20, 31
	s_lshl_b64 s[18:19], s[20:21], 1
	s_add_u32 s18, s7, s18
	s_addc_u32 s19, s12, s19
	global_load_dword v1, v1, s[18:19]
	v_and_b32_e32 v3, 0x3fc, v0
	v_lshl_add_u32 v3, v2, 4, v3
	s_waitcnt vmcnt(0)
	ds_write_b32 v3, v1
.LBB99_5:
	s_or_b64 exec, exec, s[0:1]
	s_add_i32 s0, s25, 15
	s_ashr_i32 s1, s0, 31
	s_lshr_b32 s1, s1, 28
	s_add_i32 s0, s0, s1
	s_lshl_b32 s12, s8, 5
	s_mul_i32 s1, s16, s2
	s_ashr_i32 s7, s0, 4
	s_add_i32 s0, s12, 32
	s_sub_i32 s1, s3, s1
	s_min_i32 s33, s0, s7
	s_xor_b32 s0, s17, s15
	s_add_i32 s3, s16, 1
	s_sub_i32 s15, s1, s2
	s_cmp_ge_u32 s1, s2
	s_cselect_b32 s3, s3, s16
	s_cselect_b32 s1, s15, s1
	s_add_i32 s15, s3, 1
	s_cmp_ge_u32 s1, s2
	s_load_dwordx2 s[26:27], s[4:5], 0x38
	s_load_dword s2, s[4:5], 0x48
	v_lshrrev_b32_e32 v1, 6, v0
	s_cselect_b32 s1, s15, s3
	s_xor_b32 s1, s1, s0
	v_or_b32_e32 v6, s12, v1
	s_waitcnt lgkmcnt(0)
	s_mul_i32 s28, s24, s2
	s_sub_i32 s15, s1, s0
	s_ashr_i32 s29, s28, 31
	v_cmp_gt_i32_e64 s[0:1], s33, v6
	v_cmp_le_i32_e32 vcc, s33, v6
	v_mbcnt_lo_u32_b32 v15, -1, 0
	s_barrier
	s_waitcnt lgkmcnt(0)
                                        ; implicit-def: $sgpr36
                                        ; implicit-def: $vgpr5
                                        ; implicit-def: $vgpr8
	s_and_saveexec_b64 s[2:3], vcc
	s_xor_b64 s[2:3], exec, s[2:3]
; %bb.6:
	v_mbcnt_hi_u32_b32 v5, -1, v15
	v_and_b32_e32 v2, 64, v5
	v_add_u32_e32 v8, 64, v2
	s_mov_b32 s36, 0xff7fffff
                                        ; implicit-def: $vgpr2
                                        ; implicit-def: $vgpr15
; %bb.7:
	s_or_saveexec_b64 s[34:35], s[2:3]
	s_load_dwordx4 s[16:19], s[4:5], 0x0
	s_load_dwordx2 s[22:23], s[4:5], 0x10
	s_load_dwordx2 s[30:31], s[4:5], 0x28
	s_load_dword s21, s[4:5], 0x98
	v_mov_b32_e32 v9, s36
	s_mul_i32 s14, s15, s14
	v_ashrrev_i32_e32 v7, 31, v6
	v_lshlrev_b32_e32 v4, 4, v1
	s_xor_b64 exec, exec, s[34:35]
	s_cbranch_execz .LBB99_13
; %bb.8:
	s_load_dwordx2 s[2:3], s[4:5], 0x20
	s_ashr_i32 s15, s14, 31
	s_lshl_b64 s[4:5], s[14:15], 1
	v_bfe_u32 v3, v0, 2, 4
	v_lshlrev_b32_e32 v5, 4, v3
	s_waitcnt lgkmcnt(0)
	s_add_u32 s2, s2, s4
	s_addc_u32 s3, s3, s5
	v_mov_b32_e32 v8, s3
	v_add_co_u32_e32 v5, vcc, s2, v5
	v_lshlrev_b32_e32 v9, 2, v0
	v_addc_co_u32_e32 v8, vcc, 0, v8, vcc
	v_and_b32_e32 v9, 12, v9
	v_add_co_u32_e32 v10, vcc, v5, v9
	v_addc_co_u32_e32 v11, vcc, 0, v8, vcc
	v_lshlrev_b32_e32 v12, 4, v2
	v_cmp_eq_u32_e32 vcc, 0, v2
	s_sub_i32 s15, 1, s25
	v_lshlrev_b32_e32 v2, 2, v3
	s_lshl_b64 s[4:5], s[28:29], 2
	v_lshl_or_b32 v2, v1, 6, v2
	s_add_u32 s4, s26, s4
	v_add3_u32 v13, s40, v4, v3
	v_add_u32_e32 v14, 0x50, v2
	v_lshlrev_b64 v[2:3], 2, v[6:7]
	s_addc_u32 s5, s27, s5
	v_mov_b32_e32 v5, s5
	v_add_co_u32_e64 v2, s[4:5], s4, v2
	v_addc_co_u32_e64 v3, s[4:5], v5, v3, s[4:5]
	v_mbcnt_hi_u32_b32 v5, -1, v15
	v_and_b32_e32 v8, 64, v5
	s_mov_b32 s41, s13
	v_cmp_neq_f32_e64 s[2:3], s10, 0
	s_mov_b64 s[36:37], 0
	v_mov_b32_e32 v9, 0xff7fffff
	v_add_u32_e32 v8, 64, v8
	v_xor_b32_e32 v15, 2, v5
	v_xor_b32_e32 v16, 1, v5
	v_mov_b32_e32 v17, v6
	s_branch .LBB99_10
.LBB99_9:                               ;   in Loop: Header=BB99_10 Depth=1
	s_or_b64 exec, exec, s[38:39]
	v_add_u32_e32 v17, 2, v17
	v_cmp_le_i32_e64 s[4:5], s33, v17
	s_or_b64 s[36:37], s[4:5], s[36:37]
	v_add_co_u32_e64 v2, s[4:5], 8, v2
	v_add_u32_e32 v13, 32, v13
	v_add_u32_e32 v14, 0x80, v14
	v_addc_co_u32_e64 v3, s[4:5], 0, v3, s[4:5]
	s_andn2_b64 exec, exec, s[36:37]
	s_cbranch_execz .LBB99_12
.LBB99_10:                              ; =>This Inner Loop Header: Depth=1
	global_load_dword v18, v[2:3], off
	s_waitcnt vmcnt(0) lgkmcnt(0)
	v_mad_i64_i32 v[18:19], s[4:5], v18, s41, 0
	v_lshlrev_b64 v[18:19], 1, v[18:19]
	v_add_co_u32_e64 v18, s[4:5], v10, v18
	v_addc_co_u32_e64 v19, s[4:5], v11, v19, s[4:5]
	global_load_dword v20, v[18:19], off
	global_load_dword v21, v[18:19], off offset:256
	global_load_dword v22, v[18:19], off offset:512
	global_load_dword v23, v[18:19], off offset:768
	ds_read_b32 v18, v12
	v_cmp_lt_i32_e64 s[4:5], v15, v8
	v_cndmask_b32_e64 v19, v5, v15, s[4:5]
	v_lshlrev_b32_e32 v19, 2, v19
	v_cmp_lt_i32_e64 s[4:5], v16, v8
	s_waitcnt lgkmcnt(0)
	v_lshrrev_b32_e32 v24, 16, v18
	v_and_b32_e32 v18, 0xffff, v18
	;;#ASMSTART
	v_cvt_f32_f16 v18, v18;
	;;#ASMEND
	;;#ASMSTART
	v_cvt_f32_f16 v24, v24;
	;;#ASMEND
	s_waitcnt vmcnt(3)
	v_lshrrev_b32_e32 v25, 16, v20
	v_and_b32_e32 v20, 0xffff, v20
	;;#ASMSTART
	v_cvt_f32_f16 v20, v20;
	;;#ASMEND
	;;#ASMSTART
	v_cvt_f32_f16 v25, v25;
	;;#ASMEND
	ds_read_b32 v26, v12 offset:4
	s_waitcnt vmcnt(2)
	v_lshrrev_b32_e32 v27, 16, v21
	v_and_b32_e32 v21, 0xffff, v21
	s_waitcnt vmcnt(1)
	v_lshrrev_b32_e32 v28, 16, v22
	v_and_b32_e32 v22, 0xffff, v22
	s_waitcnt lgkmcnt(0)
	v_lshrrev_b32_e32 v29, 16, v26
	v_and_b32_e32 v26, 0xffff, v26
	;;#ASMSTART
	v_cvt_f32_f16 v26, v26;
	;;#ASMEND
	;;#ASMSTART
	v_cvt_f32_f16 v29, v29;
	;;#ASMEND
	;; [unrolled: 3-line block ×4, first 2 shown]
	ds_read_b32 v30, v12 offset:8
	v_mul_f32_e32 v21, v26, v21
	v_mul_f32_e32 v26, v29, v27
	v_fmac_f32_e32 v21, v18, v20
	v_fmac_f32_e32 v26, v24, v25
	s_waitcnt lgkmcnt(0)
	v_lshrrev_b32_e32 v27, 16, v30
	v_and_b32_e32 v29, 0xffff, v30
	;;#ASMSTART
	v_cvt_f32_f16 v29, v29;
	;;#ASMEND
	;;#ASMSTART
	v_cvt_f32_f16 v27, v27;
	;;#ASMEND
	;; [unrolled: 3-line block ×4, first 2 shown]
	ds_read_b32 v30, v12 offset:12
	s_waitcnt vmcnt(0)
	v_lshrrev_b32_e32 v31, 16, v23
	v_and_b32_e32 v23, 0xffff, v23
	v_fmac_f32_e32 v21, v29, v22
	v_fmac_f32_e32 v26, v27, v28
	s_waitcnt lgkmcnt(0)
	v_lshrrev_b32_e32 v18, 16, v30
	v_and_b32_e32 v20, 0xffff, v30
	;;#ASMSTART
	v_cvt_f32_f16 v20, v20;
	;;#ASMEND
	;;#ASMSTART
	v_cvt_f32_f16 v18, v18;
	;;#ASMEND
	;; [unrolled: 3-line block ×4, first 2 shown]
	v_fmac_f32_e32 v21, v20, v22
	v_fmac_f32_e32 v26, v18, v23
	v_add_f32_e32 v18, v21, v26
	ds_bpermute_b32 v19, v19, v18
	v_cndmask_b32_e64 v20, v5, v16, s[4:5]
	s_waitcnt lgkmcnt(0)
	v_add_f32_e32 v18, v18, v19
	v_lshlrev_b32_e32 v19, 2, v20
	ds_bpermute_b32 v19, v19, v18
	s_and_saveexec_b64 s[38:39], vcc
	s_cbranch_execz .LBB99_9
; %bb.11:                               ;   in Loop: Header=BB99_10 Depth=1
	v_add_u32_e32 v20, s15, v13
	v_cvt_f32_i32_e32 v20, v20
	s_waitcnt lgkmcnt(0)
	v_add_f32_e32 v18, v18, v19
	v_cmp_gt_i32_e64 s[4:5], s25, v13
	v_max_f32_e32 v19, v9, v9
	v_mul_f32_e32 v20, s10, v20
	v_cndmask_b32_e64 v20, 0, v20, s[2:3]
	v_fmac_f32_e32 v20, s11, v18
	v_cndmask_b32_e64 v18, 0, v20, s[4:5]
	ds_write_b32 v14, v18
	v_max_f32_e32 v18, v19, v20
	v_cndmask_b32_e64 v9, v9, v18, s[4:5]
	s_branch .LBB99_9
.LBB99_12:
	s_or_b64 exec, exec, s[36:37]
.LBB99_13:
	s_or_b64 exec, exec, s[34:35]
	v_xor_b32_e32 v2, 32, v5
	v_cmp_lt_i32_e32 vcc, v2, v8
	v_cndmask_b32_e32 v2, v5, v2, vcc
	v_lshlrev_b32_e32 v2, 2, v2
	ds_bpermute_b32 v3, v2, v9
	v_xor_b32_e32 v10, 16, v5
	v_max_f32_e32 v9, v9, v9
	v_cmp_lt_i32_e32 vcc, v10, v8
	v_xor_b32_e32 v11, 8, v5
	s_waitcnt lgkmcnt(0)
	v_max_f32_e32 v3, v3, v3
	v_max_f32_e32 v9, v9, v3
	v_cndmask_b32_e32 v3, v5, v10, vcc
	v_lshlrev_b32_e32 v3, 2, v3
	ds_bpermute_b32 v10, v3, v9
	v_cmp_lt_i32_e32 vcc, v11, v8
	v_lshlrev_b32_e32 v12, 2, v1
	s_waitcnt lgkmcnt(0)
	v_max_f32_e32 v10, v10, v10
	v_max_f32_e32 v9, v9, v10
	v_cndmask_b32_e32 v10, v5, v11, vcc
	v_lshlrev_b32_e32 v14, 2, v10
	ds_bpermute_b32 v10, v14, v9
	v_xor_b32_e32 v11, 4, v5
	v_cmp_lt_i32_e32 vcc, v11, v8
	s_waitcnt lgkmcnt(0)
	v_max_f32_e32 v10, v10, v10
	v_max_f32_e32 v9, v9, v10
	v_cndmask_b32_e32 v10, v5, v11, vcc
	v_lshlrev_b32_e32 v15, 2, v10
	ds_bpermute_b32 v11, v15, v9
	v_and_b32_e32 v10, 63, v0
	v_cmp_eq_u32_e32 vcc, 0, v10
	s_and_saveexec_b64 s[2:3], vcc
	s_cbranch_execz .LBB99_15
; %bb.14:
	s_waitcnt lgkmcnt(0)
	v_max_f32_e32 v11, v11, v11
	v_max_f32_e32 v9, v9, v9
	;; [unrolled: 1-line block ×3, first 2 shown]
	ds_write_b32 v12, v9 offset:64
.LBB99_15:
	s_or_b64 exec, exec, s[2:3]
	v_cmp_gt_u32_e64 s[2:3], 2, v10
	v_mov_b32_e32 v9, 0xff7fffff
	v_lshlrev_b32_e32 v13, 2, v10
	s_waitcnt lgkmcnt(0)
	s_barrier
	s_and_saveexec_b64 s[4:5], s[2:3]
	s_cbranch_execz .LBB99_17
; %bb.16:
	ds_read_b32 v9, v13 offset:64
.LBB99_17:
	s_or_b64 exec, exec, s[4:5]
	v_xor_b32_e32 v11, 1, v5
	v_cmp_lt_i32_e64 s[4:5], v11, v8
	v_cndmask_b32_e64 v11, v5, v11, s[4:5]
	v_lshlrev_b32_e32 v11, 2, v11
	s_waitcnt lgkmcnt(0)
	ds_bpermute_b32 v16, v11, v9
	v_max_f32_e32 v9, v9, v9
	s_sub_i32 s4, s33, s12
	s_lshl_b32 s4, s4, 4
	s_add_i32 s4, s4, s40
	s_waitcnt lgkmcnt(0)
	v_max_f32_e32 v16, v16, v16
	v_max_f32_e32 v9, v9, v16
	v_lshlrev_b32_e32 v16, 2, v5
	v_and_b32_e32 v16, 0xffffff00, v16
	ds_bpermute_b32 v9, v16, v9
	s_min_i32 s38, s4, s25
	s_sub_i32 s15, s38, s40
	v_cmp_gt_i32_e64 s[4:5], s15, v0
	v_mov_b32_e32 v17, 0
	s_and_saveexec_b64 s[34:35], s[4:5]
	s_cbranch_execz .LBB99_21
; %bb.18:
	v_mov_b32_e32 v17, 0x50
	v_lshl_add_u32 v18, v0, 2, v17
	s_mov_b64 s[36:37], 0
	v_mov_b32_e32 v17, 0
	v_mov_b32_e32 v19, v0
.LBB99_19:                              ; =>This Inner Loop Header: Depth=1
	ds_read_b32 v20, v18
	v_add_u32_e32 v19, 0x80, v19
	v_cmp_le_i32_e64 s[10:11], s15, v19
	s_or_b64 s[36:37], s[10:11], s[36:37]
	s_waitcnt lgkmcnt(0)
	v_sub_f32_e32 v20, v20, v9
	v_mul_f32_e32 v20, 0x3fb8aa3b, v20
	v_exp_f32_e32 v20, v20
	ds_write_b32 v18, v20
	v_add_f32_e32 v17, v17, v20
	v_add_u32_e32 v18, 0x200, v18
	s_andn2_b64 exec, exec, s[36:37]
	s_cbranch_execnz .LBB99_19
; %bb.20:
	s_or_b64 exec, exec, s[36:37]
.LBB99_21:
	s_or_b64 exec, exec, s[34:35]
	ds_bpermute_b32 v2, v2, v17
	s_waitcnt lgkmcnt(0)
	v_add_f32_e32 v2, v17, v2
	ds_bpermute_b32 v3, v3, v2
	s_waitcnt lgkmcnt(0)
	v_add_f32_e32 v2, v2, v3
	ds_bpermute_b32 v3, v14, v2
	v_xor_b32_e32 v14, 2, v5
	v_cmp_lt_i32_e64 s[10:11], v14, v8
	v_cndmask_b32_e64 v5, v5, v14, s[10:11]
	s_waitcnt lgkmcnt(0)
	v_add_f32_e32 v2, v2, v3
	ds_bpermute_b32 v3, v15, v2
	s_waitcnt lgkmcnt(0)
	v_add_f32_e32 v2, v2, v3
	v_lshlrev_b32_e32 v3, 2, v5
	ds_bpermute_b32 v3, v3, v2
	s_waitcnt lgkmcnt(0)
	v_add_f32_e32 v2, v2, v3
	ds_bpermute_b32 v3, v11, v2
	s_waitcnt lgkmcnt(0)
	v_add_f32_e32 v2, v2, v3
	s_and_saveexec_b64 s[10:11], vcc
	s_cbranch_execz .LBB99_23
; %bb.22:
	ds_write_b32 v12, v2 offset:72
.LBB99_23:
	s_or_b64 exec, exec, s[10:11]
	s_waitcnt lgkmcnt(0)
	s_barrier
	s_and_saveexec_b64 s[10:11], s[2:3]
	s_cbranch_execz .LBB99_25
; %bb.24:
	ds_read_b32 v2, v13 offset:72
.LBB99_25:
	s_or_b64 exec, exec, s[10:11]
	s_waitcnt lgkmcnt(0)
	ds_bpermute_b32 v3, v11, v2
	s_waitcnt lgkmcnt(0)
	v_add_f32_e32 v2, v2, v3
	ds_bpermute_b32 v5, v16, v2
	s_and_saveexec_b64 s[2:3], s[4:5]
	s_cbranch_execz .LBB99_38
; %bb.26:
	s_waitcnt lgkmcnt(0)
	v_add_f32_e32 v2, 0x358637bd, v5
	v_div_scale_f32 v3, s[4:5], v2, v2, 1.0
	v_rcp_f32_e32 v8, v3
	v_div_scale_f32 v12, vcc, 1.0, v2, 1.0
	s_movk_i32 s4, 0x7f
	v_fma_f32 v13, -v3, v8, 1.0
	v_fmac_f32_e32 v8, v13, v8
	v_mul_f32_e32 v13, v12, v8
	v_fma_f32 v14, -v3, v13, v12
	v_fmac_f32_e32 v13, v14, v8
	v_fma_f32 v3, -v3, v13, v12
	v_div_fmas_f32 v3, v3, v8, v13
	v_div_fixup_f32 v2, v3, v2, 1.0
	v_xad_u32 v3, v0, -1, s38
	v_subrev_u32_e32 v8, s40, v3
	v_cmp_lt_u32_e32 vcc, s4, v8
	s_mov_b64 s[10:11], -1
	v_mov_b32_e32 v3, v0
	s_and_saveexec_b64 s[4:5], vcc
	s_cbranch_execz .LBB99_35
; %bb.27:
	v_lshrrev_b32_e32 v8, 7, v8
	v_add_u32_e32 v13, -1, v8
	v_lshrrev_b32_e32 v12, 1, v13
	v_mov_b32_e32 v3, v2
	v_add_u32_e32 v12, 1, v12
	v_cmp_lt_u32_e32 vcc, 13, v13
	v_mov_b32_e32 v15, 0
	s_and_saveexec_b64 s[10:11], vcc
	s_cbranch_execz .LBB99_31
; %bb.28:
	v_mov_b32_e32 v14, 0x50
	v_and_b32_e32 v13, -8, v12
	v_lshl_add_u32 v14, v0, 2, v14
	s_mov_b32 s36, 0
	s_mov_b64 s[34:35], 0
.LBB99_29:                              ; =>This Inner Loop Header: Depth=1
	ds_read2st64_b32 v[16:17], v14 offset1:2
	ds_read2st64_b32 v[18:19], v14 offset0:4 offset1:6
	ds_read2st64_b32 v[20:21], v14 offset0:8 offset1:10
	;; [unrolled: 1-line block ×3, first 2 shown]
	v_add_u32_e32 v13, -8, v13
	s_waitcnt lgkmcnt(3)
	v_pk_mul_f32 v[16:17], v[2:3], v[16:17]
	s_waitcnt lgkmcnt(2)
	v_pk_mul_f32 v[18:19], v[2:3], v[18:19]
	ds_write2st64_b32 v14, v16, v17 offset1:2
	ds_write2st64_b32 v14, v18, v19 offset0:4 offset1:6
	ds_read2st64_b32 v[18:19], v14 offset0:16 offset1:18
	s_waitcnt lgkmcnt(4)
	v_pk_mul_f32 v[16:17], v[2:3], v[20:21]
	ds_write2st64_b32 v14, v16, v17 offset0:8 offset1:10
	s_waitcnt lgkmcnt(4)
	v_pk_mul_f32 v[16:17], v[2:3], v[22:23]
	ds_write2st64_b32 v14, v16, v17 offset0:12 offset1:14
	ds_read2st64_b32 v[16:17], v14 offset0:20 offset1:22
	s_waitcnt lgkmcnt(3)
	v_pk_mul_f32 v[18:19], v[2:3], v[18:19]
	ds_read2st64_b32 v[20:21], v14 offset0:24 offset1:26
	ds_write2st64_b32 v14, v18, v19 offset0:16 offset1:18
	ds_read2st64_b32 v[18:19], v14 offset0:28 offset1:30
	s_waitcnt lgkmcnt(3)
	v_pk_mul_f32 v[16:17], v[2:3], v[16:17]
	ds_write2st64_b32 v14, v16, v17 offset0:20 offset1:22
	s_waitcnt lgkmcnt(3)
	v_pk_mul_f32 v[16:17], v[2:3], v[20:21]
	ds_write2st64_b32 v14, v16, v17 offset0:24 offset1:26
	s_waitcnt lgkmcnt(2)
	v_pk_mul_f32 v[16:17], v[2:3], v[18:19]
	s_add_i32 s36, s36, 16
	v_cmp_eq_u32_e32 vcc, 0, v13
	ds_write2st64_b32 v14, v16, v17 offset0:28 offset1:30
	v_add_u32_e32 v14, 0x2000, v14
	s_or_b64 s[34:35], vcc, s[34:35]
	v_mov_b32_e32 v15, s36
	s_andn2_b64 exec, exec, s[34:35]
	s_cbranch_execnz .LBB99_29
; %bb.30:
	s_or_b64 exec, exec, s[34:35]
.LBB99_31:
	s_or_b64 exec, exec, s[10:11]
	v_and_b32_e32 v12, 7, v12
	v_cmp_ne_u32_e32 vcc, 0, v12
	s_and_saveexec_b64 s[10:11], vcc
	s_cbranch_execz .LBB99_34
; %bb.32:
	v_lshlrev_b32_e32 v13, 9, v15
	v_lshlrev_b32_e32 v14, 2, v0
	s_movk_i32 s34, 0x50
	v_add3_u32 v13, v13, v14, s34
	s_mov_b64 s[34:35], 0
.LBB99_33:                              ; =>This Inner Loop Header: Depth=1
	ds_read2st64_b32 v[14:15], v13 offset1:2
	v_add_u32_e32 v12, -1, v12
	v_cmp_eq_u32_e32 vcc, 0, v12
	s_or_b64 s[34:35], vcc, s[34:35]
	s_waitcnt lgkmcnt(0)
	v_pk_mul_f32 v[14:15], v[2:3], v[14:15]
	ds_write2st64_b32 v13, v14, v15 offset1:2
	v_add_u32_e32 v13, 0x400, v13
	s_andn2_b64 exec, exec, s[34:35]
	s_cbranch_execnz .LBB99_33
.LBB99_34:
	s_or_b64 exec, exec, s[10:11]
	v_add_u32_e32 v8, 1, v8
	v_and_b32_e32 v12, 0x3fffffe, v8
	v_cmp_ne_u32_e32 vcc, v8, v12
	v_lshl_add_u32 v3, v12, 7, v0
	s_orn2_b64 s[10:11], vcc, exec
.LBB99_35:
	s_or_b64 exec, exec, s[4:5]
	s_and_b64 exec, exec, s[10:11]
	s_cbranch_execz .LBB99_38
; %bb.36:
	v_mov_b32_e32 v8, 0x50
	v_lshl_add_u32 v8, v3, 2, v8
	s_mov_b64 s[4:5], 0
.LBB99_37:                              ; =>This Inner Loop Header: Depth=1
	ds_read_b32 v12, v8
	v_add_u32_e32 v3, 0x80, v3
	v_cmp_le_i32_e32 vcc, s15, v3
	s_or_b64 s[4:5], vcc, s[4:5]
	s_waitcnt lgkmcnt(0)
	v_mul_f32_e32 v12, v2, v12
	ds_write_b32 v8, v12
	v_add_u32_e32 v8, 0x200, v8
	s_andn2_b64 exec, exec, s[4:5]
	s_cbranch_execnz .LBB99_37
.LBB99_38:
	s_or_b64 exec, exec, s[2:3]
	s_mul_i32 s2, s21, s24
	v_cmp_eq_u32_e32 vcc, 0, v0
	s_mul_i32 s2, s2, s9
	s_waitcnt lgkmcnt(0)
	s_barrier
	s_and_saveexec_b64 s[4:5], vcc
	s_cbranch_execz .LBB99_40
; %bb.39:
	s_ashr_i32 s3, s2, 31
	s_lshl_b64 s[10:11], s[2:3], 2
	s_add_u32 s3, s18, s10
	s_mul_i32 s18, s21, s6
	s_addc_u32 s9, s19, s11
	s_ashr_i32 s19, s18, 31
	s_lshl_b64 s[18:19], s[18:19], 2
	s_add_u32 s3, s3, s18
	s_addc_u32 s6, s9, s19
	s_ashr_i32 s9, s8, 31
	s_lshl_b64 s[8:9], s[8:9], 2
	s_add_u32 s34, s3, s8
	s_addc_u32 s35, s6, s9
	s_add_u32 s3, s16, s10
	s_addc_u32 s6, s17, s11
	;; [unrolled: 2-line block ×3, first 2 shown]
	s_add_u32 s8, s3, s8
	v_mov_b32_e32 v2, 0
	s_addc_u32 s9, s6, s9
	global_store_dword v2, v9, s[34:35]
	global_store_dword v2, v5, s[8:9]
.LBB99_40:
	s_or_b64 exec, exec, s[4:5]
	v_mov_b32_e32 v12, 0
	s_and_saveexec_b64 s[4:5], s[0:1]
	s_cbranch_execz .LBB99_46
; %bb.41:
	s_ashr_i32 s15, s14, 31
	s_lshl_b64 s[0:1], s[14:15], 1
	v_lshlrev_b32_e32 v2, 3, v0
	s_add_u32 s0, s30, s0
	v_lshlrev_b32_e32 v3, 4, v0
	v_and_b32_e32 v2, 8, v2
	s_addc_u32 s1, s31, s1
	v_and_b32_e32 v3, 0x3f0, v3
	v_mov_b32_e32 v5, s1
	v_add_co_u32_e32 v13, vcc, s0, v3
	s_add_i32 s8, s7, -1
	v_add3_u32 v15, s40, v4, v2
	v_and_b32_e32 v2, 1, v0
	s_lshl_b64 s[0:1], s[28:29], 2
	v_lshlrev_b32_e32 v2, 5, v2
	s_add_u32 s0, s26, s0
	v_addc_co_u32_e32 v14, vcc, 0, v5, vcc
	v_lshl_or_b32 v1, v1, 6, v2
	v_lshlrev_b64 v[2:3], 2, v[6:7]
	s_addc_u32 s1, s27, s1
	v_mov_b32_e32 v4, s1
	v_add_co_u32_e32 v8, vcc, s0, v2
	s_mov_b32 s3, s13
	v_mov_b32_e32 v12, 0
	s_mov_b32 s9, s25
	s_mov_b32 s10, s25
	s_mov_b32 s11, s25
	s_mov_b32 s13, s25
	s_mov_b32 s14, s25
	s_mov_b32 s15, s25
	s_mov_b32 s16, s25
	v_add_u32_e32 v1, 0x50, v1
	v_addc_co_u32_e32 v9, vcc, v4, v3, vcc
	s_mov_b64 s[0:1], 0
	s_mov_b32 s17, 0x5040100
	s_branch .LBB99_43
.LBB99_42:                              ;   in Loop: Header=BB99_43 Depth=1
	s_or_b64 exec, exec, s[6:7]
	v_and_b32_e32 v7, 0xffff, v7
	v_lshl_or_b32 v7, v16, 16, v7
	v_and_b32_e32 v16, 0xffff, v17
	v_lshl_or_b32 v16, v18, 16, v16
	v_and_b32_e32 v17, 0xffff, v19
	v_and_b32_e32 v18, 0xffff, v21
	s_waitcnt vmcnt(0)
	;;#ASMSTART
	v_pk_mul_f16 v2, v7, v2;

	;;#ASMEND
	v_lshl_or_b32 v17, v20, 16, v17
	v_lshl_or_b32 v18, v22, 16, v18
	;;#ASMSTART
	v_pk_mul_f16 v3, v16, v3;

	;;#ASMEND
	;;#ASMSTART
	v_pk_mul_f16 v4, v17, v4;

	;;#ASMEND
	;; [unrolled: 4-line block ×3, first 2 shown]
	;;#ASMSTART
	v_pk_add_f16 v2, v2, v3;

	;;#ASMEND
	;;#ASMSTART
	v_pk_add_f16 v2, v2, v4;

	;;#ASMEND
	;; [unrolled: 4-line block ×3, first 2 shown]
	v_lshrrev_b32_e32 v3, 16, v2
	v_and_b32_e32 v2, 0xffff, v2
	v_add_u32_e32 v6, 2, v6
	;;#ASMSTART
	v_cvt_f32_f16 v2, v2;
	;;#ASMEND
	v_cmp_le_i32_e32 vcc, s33, v6
	;;#ASMSTART
	v_cvt_f32_f16 v3, v3;
	;;#ASMEND
	v_add_f32_e32 v2, v2, v3
	s_or_b64 s[0:1], vcc, s[0:1]
	v_add_co_u32_e32 v8, vcc, 8, v8
	v_add_f32_e32 v12, v12, v2
	v_add_u32_e32 v15, 32, v15
	v_add_u32_e32 v1, 0x80, v1
	v_addc_co_u32_e32 v9, vcc, 0, v9, vcc
	s_andn2_b64 exec, exec, s[0:1]
	s_cbranch_execz .LBB99_45
.LBB99_43:                              ; =>This Inner Loop Header: Depth=1
	global_load_dword v24, v[8:9], off
	ds_read2_b64 v[2:5], v1 offset1:1
	ds_read2_b64 v[20:23], v1 offset0:2 offset1:3
	s_waitcnt lgkmcnt(1)
	;;#ASMSTART
	v_cvt_f16_f32 v7, v2;

	;;#ASMEND
	;;#ASMSTART
	v_cvt_f16_f32 v16, v3;

	;;#ASMEND
	;; [unrolled: 4-line block ×4, first 2 shown]
	s_waitcnt lgkmcnt(0)
	;;#ASMSTART
	v_cvt_f16_f32 v19, v20;

	;;#ASMEND
	;;#ASMSTART
	v_cvt_f16_f32 v20, v21;

	;;#ASMEND
	;; [unrolled: 4-line block ×4, first 2 shown]
	s_waitcnt vmcnt(0)
	v_mad_i64_i32 v[2:3], s[6:7], v24, s3, 0
	v_lshlrev_b64 v[2:3], 1, v[2:3]
	v_add_co_u32_e32 v2, vcc, v13, v2
	v_addc_co_u32_e32 v3, vcc, v14, v3, vcc
	global_load_dwordx4 v[2:5], v[2:3], off
	v_cmp_eq_u32_e32 vcc, s8, v6
	s_and_saveexec_b64 s[6:7], vcc
	s_cbranch_execz .LBB99_42
; %bb.44:                               ;   in Loop: Header=BB99_43 Depth=1
	v_or_b32_e32 v28, 7, v15
	v_or_b32_e32 v29, 6, v15
	s_waitcnt vmcnt(0)
	v_lshrrev_b32_e32 v30, 16, v5
	v_cmp_gt_i32_e32 vcc, s16, v28
	v_cndmask_b32_e32 v28, 0, v30, vcc
	v_cmp_gt_i32_e32 vcc, s15, v29
	v_or_b32_e32 v26, 5, v15
	v_cndmask_b32_e32 v5, 0, v5, vcc
	v_or_b32_e32 v27, 4, v15
	v_perm_b32 v5, v28, v5, s17
	v_lshrrev_b32_e32 v28, 16, v4
	v_cmp_gt_i32_e32 vcc, s14, v26
	v_cndmask_b32_e32 v26, 0, v28, vcc
	v_cmp_gt_i32_e32 vcc, s13, v27
	v_or_b32_e32 v24, 3, v15
	v_cndmask_b32_e32 v4, 0, v4, vcc
	v_or_b32_e32 v25, 2, v15
	v_perm_b32 v4, v26, v4, s17
	v_lshrrev_b32_e32 v26, 16, v3
	v_cmp_gt_i32_e32 vcc, s11, v24
	v_cndmask_b32_e32 v24, 0, v26, vcc
	v_cmp_gt_i32_e32 vcc, s10, v25
	v_add_u32_e32 v23, 1, v15
	v_cndmask_b32_e32 v3, 0, v3, vcc
	v_perm_b32 v3, v24, v3, s17
	v_lshrrev_b32_e32 v24, 16, v2
	v_cmp_gt_i32_e32 vcc, s9, v23
	v_cndmask_b32_e32 v23, 0, v24, vcc
	v_cmp_gt_i32_e32 vcc, s25, v15
	v_cndmask_b32_e32 v2, 0, v2, vcc
	v_perm_b32 v2, v23, v2, s17
	s_branch .LBB99_42
.LBB99_45:
	s_or_b64 exec, exec, s[0:1]
.LBB99_46:
	s_or_b64 exec, exec, s[4:5]
	ds_bpermute_b32 v1, v11, v12
	v_and_b32_e32 v2, 0x3c1, v0
	v_cmp_eq_u32_e32 vcc, 64, v2
	s_waitcnt lgkmcnt(0)
	s_barrier
	v_add_f32_e32 v1, v12, v1
	s_and_saveexec_b64 s[0:1], vcc
	s_cbranch_execz .LBB99_48
; %bb.47:
	v_mov_b32_e32 v3, 0x50
	v_lshl_add_u32 v3, v10, 1, v3
	ds_write_b32 v3, v1
.LBB99_48:
	s_or_b64 exec, exec, s[0:1]
	v_cmp_eq_u32_e32 vcc, 0, v2
	s_waitcnt lgkmcnt(0)
	s_barrier
	s_and_saveexec_b64 s[0:1], vcc
	s_cbranch_execz .LBB99_50
; %bb.49:
	v_mov_b32_e32 v2, 0x50
	v_lshl_add_u32 v2, v0, 1, v2
	ds_read_b32 v2, v2
	s_waitcnt lgkmcnt(0)
	v_add_f32_e32 v1, v1, v2
.LBB99_50:
	s_or_b64 exec, exec, s[0:1]
	s_barrier
	s_and_saveexec_b64 s[0:1], vcc
	s_cbranch_execz .LBB99_52
; %bb.51:
	s_lshl_b32 s0, s2, 5
	s_ashr_i32 s1, s0, 31
	s_lshl_b64 s[0:1], s[0:1], 1
	s_add_u32 s2, s22, s0
	s_mul_i32 s0, s21, s20
	s_addc_u32 s3, s23, s1
	s_ashr_i32 s1, s0, 31
	s_lshl_b64 s[0:1], s[0:1], 1
	s_add_u32 s2, s2, s0
	s_addc_u32 s3, s3, s1
	s_ashr_i32 s13, s12, 31
	s_lshl_b64 s[0:1], s[12:13], 1
	s_add_u32 s0, s2, s0
	s_addc_u32 s1, s3, s1
	;;#ASMSTART
	v_cvt_f16_f32 v1, v1;

	;;#ASMEND
	global_store_short v0, v1, s[0:1]
.LBB99_52:
	s_endpgm
	.section	.rodata,"a",@progbits
	.p2align	6, 0x0
	.amdhsa_kernel _ZN4vllm25paged_attention_v2_kernelIttLi32ELi16ELi128ELNS_18Fp8KVCacheDataTypeE0ELb0ELi512EEEvPfS2_PT_PKS3_PKT0_S9_ifPKiSB_iPKfiiiSD_SD_iiiii
		.amdhsa_group_segment_fixed_size 80
		.amdhsa_private_segment_fixed_size 0
		.amdhsa_kernarg_size 400
		.amdhsa_user_sgpr_count 6
		.amdhsa_user_sgpr_private_segment_buffer 1
		.amdhsa_user_sgpr_dispatch_ptr 0
		.amdhsa_user_sgpr_queue_ptr 0
		.amdhsa_user_sgpr_kernarg_segment_ptr 1
		.amdhsa_user_sgpr_dispatch_id 0
		.amdhsa_user_sgpr_flat_scratch_init 0
		.amdhsa_user_sgpr_kernarg_preload_length 0
		.amdhsa_user_sgpr_kernarg_preload_offset 0
		.amdhsa_user_sgpr_private_segment_size 0
		.amdhsa_uses_dynamic_stack 0
		.amdhsa_system_sgpr_private_segment_wavefront_offset 0
		.amdhsa_system_sgpr_workgroup_id_x 1
		.amdhsa_system_sgpr_workgroup_id_y 1
		.amdhsa_system_sgpr_workgroup_id_z 1
		.amdhsa_system_sgpr_workgroup_info 0
		.amdhsa_system_vgpr_workitem_id 0
		.amdhsa_next_free_vgpr 32
		.amdhsa_next_free_sgpr 42
		.amdhsa_accum_offset 32
		.amdhsa_reserve_vcc 1
		.amdhsa_reserve_flat_scratch 0
		.amdhsa_float_round_mode_32 0
		.amdhsa_float_round_mode_16_64 0
		.amdhsa_float_denorm_mode_32 3
		.amdhsa_float_denorm_mode_16_64 3
		.amdhsa_dx10_clamp 1
		.amdhsa_ieee_mode 1
		.amdhsa_fp16_overflow 0
		.amdhsa_tg_split 0
		.amdhsa_exception_fp_ieee_invalid_op 0
		.amdhsa_exception_fp_denorm_src 0
		.amdhsa_exception_fp_ieee_div_zero 0
		.amdhsa_exception_fp_ieee_overflow 0
		.amdhsa_exception_fp_ieee_underflow 0
		.amdhsa_exception_fp_ieee_inexact 0
		.amdhsa_exception_int_div_zero 0
	.end_amdhsa_kernel
	.section	.text._ZN4vllm25paged_attention_v2_kernelIttLi32ELi16ELi128ELNS_18Fp8KVCacheDataTypeE0ELb0ELi512EEEvPfS2_PT_PKS3_PKT0_S9_ifPKiSB_iPKfiiiSD_SD_iiiii,"axG",@progbits,_ZN4vllm25paged_attention_v2_kernelIttLi32ELi16ELi128ELNS_18Fp8KVCacheDataTypeE0ELb0ELi512EEEvPfS2_PT_PKS3_PKT0_S9_ifPKiSB_iPKfiiiSD_SD_iiiii,comdat
.Lfunc_end99:
	.size	_ZN4vllm25paged_attention_v2_kernelIttLi32ELi16ELi128ELNS_18Fp8KVCacheDataTypeE0ELb0ELi512EEEvPfS2_PT_PKS3_PKT0_S9_ifPKiSB_iPKfiiiSD_SD_iiiii, .Lfunc_end99-_ZN4vllm25paged_attention_v2_kernelIttLi32ELi16ELi128ELNS_18Fp8KVCacheDataTypeE0ELb0ELi512EEEvPfS2_PT_PKS3_PKT0_S9_ifPKiSB_iPKfiiiSD_SD_iiiii
                                        ; -- End function
	.section	.AMDGPU.csdata,"",@progbits
; Kernel info:
; codeLenInByte = 3828
; NumSgprs: 46
; NumVgprs: 32
; NumAgprs: 0
; TotalNumVgprs: 32
; ScratchSize: 0
; MemoryBound: 0
; FloatMode: 240
; IeeeMode: 1
; LDSByteSize: 80 bytes/workgroup (compile time only)
; SGPRBlocks: 5
; VGPRBlocks: 3
; NumSGPRsForWavesPerEU: 46
; NumVGPRsForWavesPerEU: 32
; AccumOffset: 32
; Occupancy: 8
; WaveLimiterHint : 1
; COMPUTE_PGM_RSRC2:SCRATCH_EN: 0
; COMPUTE_PGM_RSRC2:USER_SGPR: 6
; COMPUTE_PGM_RSRC2:TRAP_HANDLER: 0
; COMPUTE_PGM_RSRC2:TGID_X_EN: 1
; COMPUTE_PGM_RSRC2:TGID_Y_EN: 1
; COMPUTE_PGM_RSRC2:TGID_Z_EN: 1
; COMPUTE_PGM_RSRC2:TIDIG_COMP_CNT: 0
; COMPUTE_PGM_RSRC3_GFX90A:ACCUM_OFFSET: 7
; COMPUTE_PGM_RSRC3_GFX90A:TG_SPLIT: 0
	.section	.text._ZN4vllm25paged_attention_v2_kernelIttLi64ELi16ELi128ELNS_18Fp8KVCacheDataTypeE0ELb0ELi512EEEvPfS2_PT_PKS3_PKT0_S9_ifPKiSB_iPKfiiiSD_SD_iiiii,"axG",@progbits,_ZN4vllm25paged_attention_v2_kernelIttLi64ELi16ELi128ELNS_18Fp8KVCacheDataTypeE0ELb0ELi512EEEvPfS2_PT_PKS3_PKT0_S9_ifPKiSB_iPKfiiiSD_SD_iiiii,comdat
	.protected	_ZN4vllm25paged_attention_v2_kernelIttLi64ELi16ELi128ELNS_18Fp8KVCacheDataTypeE0ELb0ELi512EEEvPfS2_PT_PKS3_PKT0_S9_ifPKiSB_iPKfiiiSD_SD_iiiii ; -- Begin function _ZN4vllm25paged_attention_v2_kernelIttLi64ELi16ELi128ELNS_18Fp8KVCacheDataTypeE0ELb0ELi512EEEvPfS2_PT_PKS3_PKT0_S9_ifPKiSB_iPKfiiiSD_SD_iiiii
	.globl	_ZN4vllm25paged_attention_v2_kernelIttLi64ELi16ELi128ELNS_18Fp8KVCacheDataTypeE0ELb0ELi512EEEvPfS2_PT_PKS3_PKT0_S9_ifPKiSB_iPKfiiiSD_SD_iiiii
	.p2align	8
	.type	_ZN4vllm25paged_attention_v2_kernelIttLi64ELi16ELi128ELNS_18Fp8KVCacheDataTypeE0ELb0ELi512EEEvPfS2_PT_PKS3_PKT0_S9_ifPKiSB_iPKfiiiSD_SD_iiiii,@function
_ZN4vllm25paged_attention_v2_kernelIttLi64ELi16ELi128ELNS_18Fp8KVCacheDataTypeE0ELb0ELi512EEEvPfS2_PT_PKS3_PKT0_S9_ifPKiSB_iPKfiiiSD_SD_iiiii: ; @_ZN4vllm25paged_attention_v2_kernelIttLi64ELi16ELi128ELNS_18Fp8KVCacheDataTypeE0ELb0ELi512EEEvPfS2_PT_PKS3_PKT0_S9_ifPKiSB_iPKfiiiSD_SD_iiiii
; %bb.0:
	s_load_dwordx2 s[0:1], s[4:5], 0x40
	s_mov_b32 s24, s7
	s_ashr_i32 s25, s7, 31
	s_lshl_b64 s[2:3], s[24:25], 2
	s_waitcnt lgkmcnt(0)
	s_add_u32 s0, s0, s2
	s_addc_u32 s1, s1, s3
	s_load_dword s25, s[0:1], 0x0
	s_lshl_b32 s33, s8, 9
	s_waitcnt lgkmcnt(0)
	s_cmp_ge_i32 s33, s25
	s_cbranch_scc1 .LBB100_58
; %bb.1:
	s_load_dword s9, s[4:5], 0x90
	s_load_dwordx2 s[10:11], s[4:5], 0x30
	s_mov_b32 s40, 0
	s_waitcnt lgkmcnt(0)
	s_abs_i32 s2, s9
	s_abs_i32 s0, s10
	v_cvt_f32_u32_e32 v1, s0
	s_sub_i32 s3, 0, s0
	s_xor_b32 s1, s9, s10
	s_ashr_i32 s1, s1, 31
	v_rcp_iflag_f32_e32 v1, v1
	v_mul_f32_e32 v1, 0x4f7ffffe, v1
	v_cvt_u32_f32_e32 v1, v1
	v_readfirstlane_b32 s7, v1
	s_mul_i32 s3, s3, s7
	s_mul_hi_u32 s3, s7, s3
	s_add_i32 s7, s7, s3
	s_mul_hi_u32 s3, s2, s7
	s_mul_i32 s7, s3, s0
	s_sub_i32 s2, s2, s7
	s_add_i32 s10, s3, 1
	s_sub_i32 s7, s2, s0
	s_cmp_ge_u32 s2, s0
	s_cselect_b32 s3, s10, s3
	s_cselect_b32 s2, s7, s2
	s_add_i32 s7, s3, 1
	s_cmp_ge_u32 s2, s0
	s_cselect_b32 s0, s7, s3
	s_xor_b32 s0, s0, s1
	s_sub_i32 s10, s0, s1
	s_abs_i32 s2, s10
	v_cvt_f32_u32_e32 v1, s2
	s_load_dwordx2 s[0:1], s[4:5], 0x50
	s_sub_i32 s7, 0, s2
	s_abs_i32 s3, s6
	v_rcp_iflag_f32_e32 v1, v1
	v_mul_f32_e32 v1, 0x4f7ffffe, v1
	v_cvt_u32_f32_e32 v1, v1
	v_readfirstlane_b32 s12, v1
	s_mul_i32 s7, s7, s12
	s_mul_hi_u32 s7, s12, s7
	s_add_i32 s12, s12, s7
	s_waitcnt lgkmcnt(0)
	s_cmp_eq_u64 s[0:1], 0
	s_mul_hi_u32 s16, s3, s12
	s_cbranch_scc1 .LBB100_3
; %bb.2:
	s_ashr_i32 s7, s6, 31
	s_lshl_b64 s[12:13], s[6:7], 2
	s_add_u32 s0, s0, s12
	s_addc_u32 s1, s1, s13
	s_load_dword s40, s[0:1], 0x0
.LBB100_3:
	s_load_dwordx4 s[12:15], s[4:5], 0x58
	s_ashr_i32 s17, s6, 31
	s_waitcnt lgkmcnt(0)
	s_ashr_i32 s15, s10, 31
	v_and_b32_e32 v2, 3, v0
	s_lshl_b32 s20, s6, 6
	v_cmp_gt_u32_e32 vcc, 32, v0
	s_and_saveexec_b64 s[0:1], vcc
	s_cbranch_execz .LBB100_5
; %bb.4:
	s_load_dwordx2 s[18:19], s[4:5], 0x18
	s_mul_i32 s22, s24, s12
	s_ashr_i32 s23, s22, 31
	s_lshl_b64 s[22:23], s[22:23], 1
	v_lshlrev_b32_e32 v1, 2, v0
	s_waitcnt lgkmcnt(0)
	s_add_u32 s7, s18, s22
	s_addc_u32 s10, s19, s23
	s_ashr_i32 s21, s20, 31
	s_lshl_b64 s[18:19], s[20:21], 1
	s_add_u32 s18, s7, s18
	s_addc_u32 s19, s10, s19
	global_load_dword v1, v1, s[18:19]
	v_and_b32_e32 v3, 0x3fc, v0
	v_lshl_add_u32 v3, v2, 5, v3
	s_waitcnt vmcnt(0)
	ds_write_b32 v3, v1
.LBB100_5:
	s_or_b64 exec, exec, s[0:1]
	s_add_i32 s0, s25, 15
	s_ashr_i32 s1, s0, 31
	s_lshr_b32 s1, s1, 28
	s_add_i32 s0, s0, s1
	s_lshl_b32 s10, s8, 5
	s_mul_i32 s1, s16, s2
	s_ashr_i32 s7, s0, 4
	s_add_i32 s0, s10, 32
	s_sub_i32 s1, s3, s1
	s_min_i32 s21, s0, s7
	s_xor_b32 s0, s17, s15
	s_add_i32 s3, s16, 1
	s_sub_i32 s12, s1, s2
	s_cmp_ge_u32 s1, s2
	s_cselect_b32 s3, s3, s16
	s_cselect_b32 s1, s12, s1
	s_add_i32 s12, s3, 1
	s_cmp_ge_u32 s1, s2
	s_load_dwordx2 s[26:27], s[4:5], 0x38
	s_load_dword s2, s[4:5], 0x48
	v_lshrrev_b32_e32 v1, 6, v0
	s_cselect_b32 s1, s12, s3
	s_xor_b32 s1, s1, s0
	v_or_b32_e32 v6, s10, v1
	s_waitcnt lgkmcnt(0)
	s_mul_i32 s28, s24, s2
	s_sub_i32 s15, s1, s0
	s_ashr_i32 s29, s28, 31
	v_cmp_gt_i32_e64 s[0:1], s21, v6
	v_cmp_le_i32_e32 vcc, s21, v6
	v_mbcnt_lo_u32_b32 v15, -1, 0
	s_barrier
	s_waitcnt lgkmcnt(0)
                                        ; implicit-def: $sgpr36
                                        ; implicit-def: $vgpr5
                                        ; implicit-def: $vgpr8
	s_and_saveexec_b64 s[2:3], vcc
	s_xor_b64 s[2:3], exec, s[2:3]
; %bb.6:
	v_mbcnt_hi_u32_b32 v5, -1, v15
	v_and_b32_e32 v2, 64, v5
	v_add_u32_e32 v8, 64, v2
	s_mov_b32 s36, 0xff7fffff
                                        ; implicit-def: $vgpr2
                                        ; implicit-def: $vgpr15
; %bb.7:
	s_or_saveexec_b64 s[34:35], s[2:3]
	s_load_dwordx4 s[16:19], s[4:5], 0x0
	s_load_dwordx2 s[22:23], s[4:5], 0x10
	s_load_dwordx2 s[30:31], s[4:5], 0x28
	s_load_dword s12, s[4:5], 0x98
	v_mov_b32_e32 v9, s36
	s_mul_i32 s14, s15, s14
	v_ashrrev_i32_e32 v7, 31, v6
	v_lshlrev_b32_e32 v4, 4, v1
	s_xor_b64 exec, exec, s[34:35]
	s_cbranch_execz .LBB100_13
; %bb.8:
	s_load_dwordx2 s[2:3], s[4:5], 0x20
	s_ashr_i32 s15, s14, 31
	s_lshl_b64 s[4:5], s[14:15], 1
	v_bfe_u32 v3, v0, 2, 4
	v_lshlrev_b32_e32 v5, 4, v3
	s_waitcnt lgkmcnt(0)
	s_add_u32 s2, s2, s4
	s_addc_u32 s3, s3, s5
	v_mov_b32_e32 v8, s3
	v_add_co_u32_e32 v5, vcc, s2, v5
	v_lshlrev_b32_e32 v9, 2, v0
	v_addc_co_u32_e32 v8, vcc, 0, v8, vcc
	v_and_b32_e32 v9, 12, v9
	v_add_co_u32_e32 v10, vcc, v5, v9
	v_addc_co_u32_e32 v11, vcc, 0, v8, vcc
	v_lshlrev_b32_e32 v12, 5, v2
	v_cmp_eq_u32_e32 vcc, 0, v2
	s_sub_i32 s15, 1, s25
	v_lshlrev_b32_e32 v2, 2, v3
	s_lshl_b64 s[4:5], s[28:29], 2
	v_lshl_or_b32 v2, v1, 6, v2
	s_add_u32 s4, s26, s4
	v_add3_u32 v13, s33, v4, v3
	v_add_u32_e32 v14, 0x90, v2
	v_lshlrev_b64 v[2:3], 2, v[6:7]
	s_addc_u32 s5, s27, s5
	v_mov_b32_e32 v5, s5
	v_add_co_u32_e64 v2, s[4:5], s4, v2
	v_addc_co_u32_e64 v3, s[4:5], v5, v3, s[4:5]
	v_mbcnt_hi_u32_b32 v5, -1, v15
	v_and_b32_e32 v8, 64, v5
	s_mov_b32 s41, s13
	v_cmp_neq_f32_e64 s[2:3], s40, 0
	s_mov_b64 s[36:37], 0
	v_mov_b32_e32 v9, 0xff7fffff
	v_add_u32_e32 v8, 64, v8
	v_xor_b32_e32 v15, 2, v5
	v_xor_b32_e32 v16, 1, v5
	v_mov_b32_e32 v17, v6
	s_branch .LBB100_10
.LBB100_9:                              ;   in Loop: Header=BB100_10 Depth=1
	s_or_b64 exec, exec, s[38:39]
	v_add_u32_e32 v17, 2, v17
	v_cmp_le_i32_e64 s[4:5], s21, v17
	s_or_b64 s[36:37], s[4:5], s[36:37]
	v_add_co_u32_e64 v2, s[4:5], 8, v2
	v_add_u32_e32 v13, 32, v13
	v_add_u32_e32 v14, 0x80, v14
	v_addc_co_u32_e64 v3, s[4:5], 0, v3, s[4:5]
	s_andn2_b64 exec, exec, s[36:37]
	s_cbranch_execz .LBB100_12
.LBB100_10:                             ; =>This Inner Loop Header: Depth=1
	global_load_dword v18, v[2:3], off
	s_waitcnt vmcnt(0) lgkmcnt(0)
	v_mad_i64_i32 v[18:19], s[4:5], v18, s41, 0
	v_lshlrev_b64 v[18:19], 1, v[18:19]
	v_add_co_u32_e64 v18, s[4:5], v10, v18
	v_addc_co_u32_e64 v19, s[4:5], v11, v19, s[4:5]
	global_load_dword v20, v[18:19], off
	global_load_dword v21, v[18:19], off offset:256
	global_load_dword v22, v[18:19], off offset:512
	;; [unrolled: 1-line block ×7, first 2 shown]
	ds_read_b32 v18, v12
	v_cmp_lt_i32_e64 s[4:5], v15, v8
	v_cndmask_b32_e64 v19, v5, v15, s[4:5]
	v_lshlrev_b32_e32 v19, 2, v19
	v_cmp_lt_i32_e64 s[4:5], v16, v8
	s_waitcnt lgkmcnt(0)
	v_lshrrev_b32_e32 v28, 16, v18
	v_and_b32_e32 v18, 0xffff, v18
	;;#ASMSTART
	v_cvt_f32_f16 v18, v18;
	;;#ASMEND
	;;#ASMSTART
	v_cvt_f32_f16 v28, v28;
	;;#ASMEND
	s_waitcnt vmcnt(7)
	v_lshrrev_b32_e32 v29, 16, v20
	v_and_b32_e32 v20, 0xffff, v20
	;;#ASMSTART
	v_cvt_f32_f16 v20, v20;
	;;#ASMEND
	;;#ASMSTART
	v_cvt_f32_f16 v29, v29;
	;;#ASMEND
	ds_read_b32 v30, v12 offset:4
	s_waitcnt vmcnt(6)
	v_lshrrev_b32_e32 v31, 16, v21
	v_and_b32_e32 v21, 0xffff, v21
	s_waitcnt vmcnt(5)
	v_lshrrev_b32_e32 v32, 16, v22
	v_and_b32_e32 v22, 0xffff, v22
	s_waitcnt lgkmcnt(0)
	v_lshrrev_b32_e32 v33, 16, v30
	v_and_b32_e32 v30, 0xffff, v30
	;;#ASMSTART
	v_cvt_f32_f16 v30, v30;
	;;#ASMEND
	;;#ASMSTART
	v_cvt_f32_f16 v33, v33;
	;;#ASMEND
	;; [unrolled: 3-line block ×4, first 2 shown]
	ds_read_b32 v34, v12 offset:8
	s_waitcnt vmcnt(4)
	v_lshrrev_b32_e32 v35, 16, v23
	v_and_b32_e32 v23, 0xffff, v23
	s_waitcnt vmcnt(3)
	v_lshrrev_b32_e32 v36, 16, v24
	v_and_b32_e32 v24, 0xffff, v24
	s_waitcnt lgkmcnt(0)
	v_lshrrev_b32_e32 v37, 16, v34
	v_and_b32_e32 v34, 0xffff, v34
	;;#ASMSTART
	v_cvt_f32_f16 v34, v34;
	;;#ASMEND
	;;#ASMSTART
	v_cvt_f32_f16 v37, v37;
	;;#ASMEND
	;; [unrolled: 3-line block ×4, first 2 shown]
	ds_read_b32 v38, v12 offset:12
	v_mul_f32_e32 v21, v30, v21
	v_mul_f32_e32 v30, v33, v31
	s_waitcnt vmcnt(2)
	v_lshrrev_b32_e32 v39, 16, v25
	v_and_b32_e32 v25, 0xffff, v25
	s_waitcnt lgkmcnt(0)
	v_lshrrev_b32_e32 v41, 16, v38
	v_and_b32_e32 v38, 0xffff, v38
	;;#ASMSTART
	v_cvt_f32_f16 v38, v38;
	;;#ASMEND
	;;#ASMSTART
	v_cvt_f32_f16 v41, v41;
	;;#ASMEND
	;; [unrolled: 3-line block ×4, first 2 shown]
	ds_read_b32 v42, v12 offset:16
	v_fmac_f32_e32 v21, v18, v20
	v_fmac_f32_e32 v30, v28, v29
	;; [unrolled: 1-line block ×4, first 2 shown]
	s_waitcnt lgkmcnt(0)
	v_lshrrev_b32_e32 v31, 16, v42
	v_and_b32_e32 v33, 0xffff, v42
	;;#ASMSTART
	v_cvt_f32_f16 v33, v33;
	;;#ASMEND
	;;#ASMSTART
	v_cvt_f32_f16 v31, v31;
	;;#ASMEND
	;; [unrolled: 3-line block ×4, first 2 shown]
	ds_read_b32 v42, v12 offset:20
	s_waitcnt vmcnt(1)
	v_lshrrev_b32_e32 v40, 16, v26
	v_and_b32_e32 v26, 0xffff, v26
	v_fmac_f32_e32 v21, v33, v24
	v_fmac_f32_e32 v30, v37, v32
	s_waitcnt lgkmcnt(0)
	v_lshrrev_b32_e32 v18, 16, v42
	v_and_b32_e32 v20, 0xffff, v42
	;;#ASMSTART
	v_cvt_f32_f16 v20, v20;
	;;#ASMEND
	;;#ASMSTART
	v_cvt_f32_f16 v18, v18;
	;;#ASMEND
	;; [unrolled: 3-line block ×4, first 2 shown]
	ds_read_b32 v28, v12 offset:24
	v_fmac_f32_e32 v30, v41, v35
	v_fmac_f32_e32 v30, v31, v36
	;; [unrolled: 1-line block ×4, first 2 shown]
	s_waitcnt lgkmcnt(0)
	v_lshrrev_b32_e32 v23, 16, v28
	v_and_b32_e32 v24, 0xffff, v28
	;;#ASMSTART
	v_cvt_f32_f16 v24, v24;
	;;#ASMEND
	;;#ASMSTART
	v_cvt_f32_f16 v23, v23;
	;;#ASMEND
	;; [unrolled: 3-line block ×4, first 2 shown]
	ds_read_b32 v29, v12 offset:28
	v_fmac_f32_e32 v21, v24, v26
	v_fmac_f32_e32 v30, v23, v28
	s_waitcnt vmcnt(0)
	v_lshrrev_b32_e32 v43, 16, v27
	v_and_b32_e32 v27, 0xffff, v27
	s_waitcnt lgkmcnt(0)
	v_lshrrev_b32_e32 v18, 16, v29
	v_and_b32_e32 v20, 0xffff, v29
	;;#ASMSTART
	v_cvt_f32_f16 v20, v20;
	;;#ASMEND
	;;#ASMSTART
	v_cvt_f32_f16 v18, v18;
	;;#ASMEND
	;; [unrolled: 3-line block ×4, first 2 shown]
	v_fmac_f32_e32 v21, v20, v22
	v_fmac_f32_e32 v30, v18, v23
	v_add_f32_e32 v18, v21, v30
	ds_bpermute_b32 v19, v19, v18
	v_cndmask_b32_e64 v20, v5, v16, s[4:5]
	s_waitcnt lgkmcnt(0)
	v_add_f32_e32 v18, v18, v19
	v_lshlrev_b32_e32 v19, 2, v20
	ds_bpermute_b32 v19, v19, v18
	s_and_saveexec_b64 s[38:39], vcc
	s_cbranch_execz .LBB100_9
; %bb.11:                               ;   in Loop: Header=BB100_10 Depth=1
	v_add_u32_e32 v20, s15, v13
	v_cvt_f32_i32_e32 v20, v20
	s_waitcnt lgkmcnt(0)
	v_add_f32_e32 v18, v18, v19
	v_cmp_gt_i32_e64 s[4:5], s25, v13
	v_max_f32_e32 v19, v9, v9
	v_mul_f32_e32 v20, s40, v20
	v_cndmask_b32_e64 v20, 0, v20, s[2:3]
	v_fmac_f32_e32 v20, s11, v18
	v_cndmask_b32_e64 v18, 0, v20, s[4:5]
	ds_write_b32 v14, v18
	v_max_f32_e32 v18, v19, v20
	v_cndmask_b32_e64 v9, v9, v18, s[4:5]
	s_branch .LBB100_9
.LBB100_12:
	s_or_b64 exec, exec, s[36:37]
.LBB100_13:
	s_or_b64 exec, exec, s[34:35]
	v_xor_b32_e32 v2, 32, v5
	v_cmp_lt_i32_e32 vcc, v2, v8
	v_cndmask_b32_e32 v2, v5, v2, vcc
	v_lshlrev_b32_e32 v2, 2, v2
	ds_bpermute_b32 v3, v2, v9
	v_xor_b32_e32 v10, 16, v5
	v_max_f32_e32 v9, v9, v9
	v_cmp_lt_i32_e32 vcc, v10, v8
	v_xor_b32_e32 v11, 8, v5
	s_waitcnt lgkmcnt(0)
	v_max_f32_e32 v3, v3, v3
	v_max_f32_e32 v9, v9, v3
	v_cndmask_b32_e32 v3, v5, v10, vcc
	v_lshlrev_b32_e32 v3, 2, v3
	ds_bpermute_b32 v10, v3, v9
	v_cmp_lt_i32_e32 vcc, v11, v8
	v_and_b32_e32 v14, 63, v0
	s_waitcnt lgkmcnt(0)
	v_max_f32_e32 v10, v10, v10
	v_max_f32_e32 v9, v9, v10
	v_cndmask_b32_e32 v10, v5, v11, vcc
	v_lshlrev_b32_e32 v12, 2, v10
	ds_bpermute_b32 v10, v12, v9
	v_xor_b32_e32 v11, 4, v5
	v_cmp_lt_i32_e32 vcc, v11, v8
	s_waitcnt lgkmcnt(0)
	v_max_f32_e32 v10, v10, v10
	v_max_f32_e32 v9, v9, v10
	v_cndmask_b32_e32 v10, v5, v11, vcc
	v_lshlrev_b32_e32 v13, 2, v10
	ds_bpermute_b32 v11, v13, v9
	v_cmp_eq_u32_e32 vcc, 0, v14
	v_lshlrev_b32_e32 v10, 2, v1
	s_and_saveexec_b64 s[2:3], vcc
	s_cbranch_execz .LBB100_15
; %bb.14:
	s_waitcnt lgkmcnt(0)
	v_max_f32_e32 v11, v11, v11
	v_max_f32_e32 v9, v9, v9
	;; [unrolled: 1-line block ×3, first 2 shown]
	ds_write_b32 v10, v9 offset:128
.LBB100_15:
	s_or_b64 exec, exec, s[2:3]
	v_cmp_gt_u32_e64 s[2:3], 2, v14
	v_mov_b32_e32 v9, 0xff7fffff
	s_waitcnt lgkmcnt(0)
	v_lshlrev_b32_e32 v11, 2, v14
	s_barrier
	s_and_saveexec_b64 s[4:5], s[2:3]
	s_cbranch_execz .LBB100_17
; %bb.16:
	ds_read_b32 v9, v11 offset:128
.LBB100_17:
	s_or_b64 exec, exec, s[4:5]
	v_xor_b32_e32 v15, 1, v5
	v_cmp_lt_i32_e64 s[4:5], v15, v8
	v_cndmask_b32_e64 v15, v5, v15, s[4:5]
	v_lshlrev_b32_e32 v15, 2, v15
	s_waitcnt lgkmcnt(0)
	ds_bpermute_b32 v16, v15, v9
	v_max_f32_e32 v9, v9, v9
	s_sub_i32 s4, s21, s10
	s_lshl_b32 s4, s4, 4
	s_add_i32 s4, s4, s33
	s_waitcnt lgkmcnt(0)
	v_max_f32_e32 v16, v16, v16
	v_max_f32_e32 v9, v9, v16
	v_lshlrev_b32_e32 v16, 2, v5
	v_and_b32_e32 v16, 0xffffff00, v16
	ds_bpermute_b32 v9, v16, v9
	s_min_i32 s38, s4, s25
	s_sub_i32 s15, s38, s33
	v_cmp_gt_i32_e64 s[4:5], s15, v0
	v_mov_b32_e32 v17, 0
	s_and_saveexec_b64 s[34:35], s[4:5]
	s_cbranch_execz .LBB100_21
; %bb.18:
	v_mov_b32_e32 v17, 0x90
	v_lshl_add_u32 v18, v0, 2, v17
	s_mov_b64 s[36:37], 0
	v_mov_b32_e32 v17, 0
	v_mov_b32_e32 v19, v0
.LBB100_19:                             ; =>This Inner Loop Header: Depth=1
	ds_read_b32 v20, v18
	v_add_u32_e32 v19, 0x80, v19
	v_cmp_le_i32_e64 s[10:11], s15, v19
	s_or_b64 s[36:37], s[10:11], s[36:37]
	s_waitcnt lgkmcnt(0)
	v_sub_f32_e32 v20, v20, v9
	v_mul_f32_e32 v20, 0x3fb8aa3b, v20
	v_exp_f32_e32 v20, v20
	ds_write_b32 v18, v20
	v_add_f32_e32 v17, v17, v20
	v_add_u32_e32 v18, 0x200, v18
	s_andn2_b64 exec, exec, s[36:37]
	s_cbranch_execnz .LBB100_19
; %bb.20:
	s_or_b64 exec, exec, s[36:37]
.LBB100_21:
	s_or_b64 exec, exec, s[34:35]
	ds_bpermute_b32 v2, v2, v17
	s_waitcnt lgkmcnt(0)
	v_add_f32_e32 v2, v17, v2
	ds_bpermute_b32 v3, v3, v2
	s_waitcnt lgkmcnt(0)
	v_add_f32_e32 v2, v2, v3
	ds_bpermute_b32 v3, v12, v2
	v_xor_b32_e32 v12, 2, v5
	v_cmp_lt_i32_e64 s[10:11], v12, v8
	v_cndmask_b32_e64 v5, v5, v12, s[10:11]
	s_waitcnt lgkmcnt(0)
	v_add_f32_e32 v2, v2, v3
	ds_bpermute_b32 v3, v13, v2
	s_waitcnt lgkmcnt(0)
	v_add_f32_e32 v2, v2, v3
	v_lshlrev_b32_e32 v3, 2, v5
	ds_bpermute_b32 v3, v3, v2
	s_waitcnt lgkmcnt(0)
	v_add_f32_e32 v2, v2, v3
	ds_bpermute_b32 v3, v15, v2
	s_waitcnt lgkmcnt(0)
	v_add_f32_e32 v2, v2, v3
	s_and_saveexec_b64 s[10:11], vcc
	s_cbranch_execz .LBB100_23
; %bb.22:
	ds_write_b32 v10, v2 offset:136
.LBB100_23:
	s_or_b64 exec, exec, s[10:11]
	s_waitcnt lgkmcnt(0)
	s_barrier
	s_and_saveexec_b64 s[10:11], s[2:3]
	s_cbranch_execz .LBB100_25
; %bb.24:
	ds_read_b32 v2, v11 offset:136
.LBB100_25:
	s_or_b64 exec, exec, s[10:11]
	s_waitcnt lgkmcnt(0)
	ds_bpermute_b32 v3, v15, v2
	s_waitcnt lgkmcnt(0)
	v_add_f32_e32 v2, v2, v3
	ds_bpermute_b32 v5, v16, v2
	s_and_saveexec_b64 s[2:3], s[4:5]
	s_cbranch_execz .LBB100_38
; %bb.26:
	s_waitcnt lgkmcnt(0)
	v_add_f32_e32 v2, 0x358637bd, v5
	v_div_scale_f32 v3, s[4:5], v2, v2, 1.0
	v_rcp_f32_e32 v8, v3
	v_div_scale_f32 v10, vcc, 1.0, v2, 1.0
	s_movk_i32 s4, 0x7f
	v_fma_f32 v11, -v3, v8, 1.0
	v_fmac_f32_e32 v8, v11, v8
	v_mul_f32_e32 v11, v10, v8
	v_fma_f32 v12, -v3, v11, v10
	v_fmac_f32_e32 v11, v12, v8
	v_fma_f32 v3, -v3, v11, v10
	v_div_fmas_f32 v3, v3, v8, v11
	v_div_fixup_f32 v2, v3, v2, 1.0
	v_xad_u32 v3, v0, -1, s38
	v_subrev_u32_e32 v8, s33, v3
	v_cmp_lt_u32_e32 vcc, s4, v8
	s_mov_b64 s[10:11], -1
	v_mov_b32_e32 v3, v0
	s_and_saveexec_b64 s[4:5], vcc
	s_cbranch_execz .LBB100_35
; %bb.27:
	v_lshrrev_b32_e32 v8, 7, v8
	v_add_u32_e32 v11, -1, v8
	v_lshrrev_b32_e32 v10, 1, v11
	v_mov_b32_e32 v3, v2
	v_add_u32_e32 v10, 1, v10
	v_cmp_lt_u32_e32 vcc, 13, v11
	v_mov_b32_e32 v13, 0
	s_and_saveexec_b64 s[10:11], vcc
	s_cbranch_execz .LBB100_31
; %bb.28:
	v_mov_b32_e32 v12, 0x90
	v_and_b32_e32 v11, -8, v10
	v_lshl_add_u32 v12, v0, 2, v12
	s_mov_b32 s36, 0
	s_mov_b64 s[34:35], 0
.LBB100_29:                             ; =>This Inner Loop Header: Depth=1
	ds_read2st64_b32 v[16:17], v12 offset1:2
	ds_read2st64_b32 v[18:19], v12 offset0:4 offset1:6
	ds_read2st64_b32 v[20:21], v12 offset0:8 offset1:10
	;; [unrolled: 1-line block ×3, first 2 shown]
	v_add_u32_e32 v11, -8, v11
	s_waitcnt lgkmcnt(3)
	v_pk_mul_f32 v[16:17], v[2:3], v[16:17]
	s_waitcnt lgkmcnt(2)
	v_pk_mul_f32 v[18:19], v[2:3], v[18:19]
	ds_write2st64_b32 v12, v16, v17 offset1:2
	ds_write2st64_b32 v12, v18, v19 offset0:4 offset1:6
	ds_read2st64_b32 v[18:19], v12 offset0:16 offset1:18
	s_waitcnt lgkmcnt(4)
	v_pk_mul_f32 v[16:17], v[2:3], v[20:21]
	ds_write2st64_b32 v12, v16, v17 offset0:8 offset1:10
	s_waitcnt lgkmcnt(4)
	v_pk_mul_f32 v[16:17], v[2:3], v[22:23]
	ds_write2st64_b32 v12, v16, v17 offset0:12 offset1:14
	ds_read2st64_b32 v[16:17], v12 offset0:20 offset1:22
	s_waitcnt lgkmcnt(3)
	v_pk_mul_f32 v[18:19], v[2:3], v[18:19]
	ds_read2st64_b32 v[20:21], v12 offset0:24 offset1:26
	ds_write2st64_b32 v12, v18, v19 offset0:16 offset1:18
	ds_read2st64_b32 v[18:19], v12 offset0:28 offset1:30
	s_waitcnt lgkmcnt(3)
	v_pk_mul_f32 v[16:17], v[2:3], v[16:17]
	ds_write2st64_b32 v12, v16, v17 offset0:20 offset1:22
	s_waitcnt lgkmcnt(3)
	v_pk_mul_f32 v[16:17], v[2:3], v[20:21]
	ds_write2st64_b32 v12, v16, v17 offset0:24 offset1:26
	s_waitcnt lgkmcnt(2)
	v_pk_mul_f32 v[16:17], v[2:3], v[18:19]
	s_add_i32 s36, s36, 16
	v_cmp_eq_u32_e32 vcc, 0, v11
	ds_write2st64_b32 v12, v16, v17 offset0:28 offset1:30
	v_add_u32_e32 v12, 0x2000, v12
	s_or_b64 s[34:35], vcc, s[34:35]
	v_mov_b32_e32 v13, s36
	s_andn2_b64 exec, exec, s[34:35]
	s_cbranch_execnz .LBB100_29
; %bb.30:
	s_or_b64 exec, exec, s[34:35]
.LBB100_31:
	s_or_b64 exec, exec, s[10:11]
	v_and_b32_e32 v10, 7, v10
	v_cmp_ne_u32_e32 vcc, 0, v10
	s_and_saveexec_b64 s[10:11], vcc
	s_cbranch_execz .LBB100_34
; %bb.32:
	v_lshlrev_b32_e32 v11, 9, v13
	v_lshlrev_b32_e32 v12, 2, v0
	s_movk_i32 s34, 0x90
	v_add3_u32 v11, v11, v12, s34
	s_mov_b64 s[34:35], 0
.LBB100_33:                             ; =>This Inner Loop Header: Depth=1
	ds_read2st64_b32 v[12:13], v11 offset1:2
	v_add_u32_e32 v10, -1, v10
	v_cmp_eq_u32_e32 vcc, 0, v10
	s_or_b64 s[34:35], vcc, s[34:35]
	s_waitcnt lgkmcnt(0)
	v_pk_mul_f32 v[12:13], v[2:3], v[12:13]
	ds_write2st64_b32 v11, v12, v13 offset1:2
	v_add_u32_e32 v11, 0x400, v11
	s_andn2_b64 exec, exec, s[34:35]
	s_cbranch_execnz .LBB100_33
.LBB100_34:
	s_or_b64 exec, exec, s[10:11]
	v_add_u32_e32 v8, 1, v8
	v_and_b32_e32 v10, 0x3fffffe, v8
	v_cmp_ne_u32_e32 vcc, v8, v10
	v_lshl_add_u32 v3, v10, 7, v0
	s_orn2_b64 s[10:11], vcc, exec
.LBB100_35:
	s_or_b64 exec, exec, s[4:5]
	s_and_b64 exec, exec, s[10:11]
	s_cbranch_execz .LBB100_38
; %bb.36:
	v_mov_b32_e32 v8, 0x90
	v_lshl_add_u32 v8, v3, 2, v8
	s_mov_b64 s[4:5], 0
.LBB100_37:                             ; =>This Inner Loop Header: Depth=1
	ds_read_b32 v10, v8
	v_add_u32_e32 v3, 0x80, v3
	v_cmp_le_i32_e32 vcc, s15, v3
	s_or_b64 s[4:5], vcc, s[4:5]
	s_waitcnt lgkmcnt(0)
	v_mul_f32_e32 v10, v2, v10
	ds_write_b32 v8, v10
	v_add_u32_e32 v8, 0x200, v8
	s_andn2_b64 exec, exec, s[4:5]
	s_cbranch_execnz .LBB100_37
.LBB100_38:
	s_or_b64 exec, exec, s[2:3]
	s_mul_i32 s2, s12, s24
	v_cmp_eq_u32_e32 vcc, 0, v0
	s_mul_i32 s2, s2, s9
	s_waitcnt lgkmcnt(0)
	s_barrier
	s_and_saveexec_b64 s[4:5], vcc
	s_cbranch_execz .LBB100_40
; %bb.39:
	s_ashr_i32 s3, s2, 31
	s_lshl_b64 s[10:11], s[2:3], 2
	s_add_u32 s3, s18, s10
	s_mul_i32 s18, s12, s6
	s_addc_u32 s9, s19, s11
	s_ashr_i32 s19, s18, 31
	s_lshl_b64 s[18:19], s[18:19], 2
	s_add_u32 s3, s3, s18
	s_addc_u32 s6, s9, s19
	s_ashr_i32 s9, s8, 31
	s_lshl_b64 s[34:35], s[8:9], 2
	s_add_u32 s36, s3, s34
	s_addc_u32 s37, s6, s35
	s_add_u32 s3, s16, s10
	s_addc_u32 s6, s17, s11
	;; [unrolled: 2-line block ×3, first 2 shown]
	s_add_u32 s10, s3, s34
	v_mov_b32_e32 v2, 0
	s_addc_u32 s11, s6, s35
	global_store_dword v2, v9, s[36:37]
	global_store_dword v2, v5, s[10:11]
.LBB100_40:
	s_or_b64 exec, exec, s[4:5]
	v_mov_b32_e32 v9, 0
	v_and_b32_e32 v16, 1, v0
	v_mov_b32_e32 v8, 0
	s_and_saveexec_b64 s[4:5], s[0:1]
	s_cbranch_execz .LBB100_48
; %bb.41:
	s_ashr_i32 s15, s14, 31
	s_lshl_b64 s[0:1], s[14:15], 1
	s_add_u32 s0, s30, s0
	v_lshlrev_b32_e32 v3, 4, v0
	v_lshlrev_b32_e32 v2, 3, v0
	s_addc_u32 s1, s31, s1
	v_and_b32_e32 v3, 0x3f0, v3
	v_and_b32_e32 v2, 8, v2
	s_add_i32 s9, s7, -1
	v_mov_b32_e32 v5, s1
	v_add_co_u32_e32 v17, vcc, s0, v3
	s_lshl_b64 s[0:1], s[28:29], 2
	v_add3_u32 v19, s33, v4, v2
	v_lshlrev_b32_e32 v2, 5, v16
	s_add_u32 s0, s26, s0
	v_addc_co_u32_e32 v18, vcc, 0, v5, vcc
	v_lshl_or_b32 v1, v1, 6, v2
	v_lshlrev_b64 v[2:3], 2, v[6:7]
	s_addc_u32 s1, s27, s1
	v_mov_b32_e32 v4, s1
	v_add_co_u32_e32 v10, vcc, s0, v2
	v_mov_b32_e32 v9, 0
	s_mov_b32 s3, s13
	s_mov_b32 s13, s25
	;; [unrolled: 1-line block ×8, first 2 shown]
	v_add_u32_e32 v1, 0x90, v1
	v_addc_co_u32_e32 v11, vcc, v4, v3, vcc
	s_mov_b64 s[6:7], 0
	s_mov_b32 s24, 0x5040100
	v_mov_b32_e32 v8, v9
	s_branch .LBB100_43
.LBB100_42:                             ;   in Loop: Header=BB100_43 Depth=1
	s_or_b64 exec, exec, s[0:1]
	s_waitcnt vmcnt(0)
	;;#ASMSTART
	v_pk_mul_f16 v2, v34, v2;

	;;#ASMEND
	;;#ASMSTART
	v_pk_mul_f16 v3, v28, v3;

	;;#ASMEND
	;; [unrolled: 4-line block ×4, first 2 shown]
	;;#ASMSTART
	v_pk_add_f16 v2, v2, v3;

	;;#ASMEND
	;;#ASMSTART
	v_pk_add_f16 v2, v2, v4;

	;;#ASMEND
	;;#ASMSTART
	v_pk_add_f16 v2, v2, v5;

	;;#ASMEND
	v_lshrrev_b32_e32 v3, 16, v2
	v_and_b32_e32 v2, 0xffff, v2
	v_add_u32_e32 v6, 2, v6
	;;#ASMSTART
	v_cvt_f32_f16 v2, v2;
	;;#ASMEND
	v_cmp_le_i32_e32 vcc, s21, v6
	v_add_f32_e32 v7, v29, v30
	;;#ASMSTART
	v_cvt_f32_f16 v3, v3;
	;;#ASMEND
	v_add_f32_e32 v2, v2, v3
	s_or_b64 s[6:7], vcc, s[6:7]
	v_add_co_u32_e32 v10, vcc, 8, v10
	v_add_f32_e32 v8, v8, v7
	v_add_f32_e32 v9, v9, v2
	v_add_u32_e32 v19, 32, v19
	v_add_u32_e32 v1, 0x80, v1
	v_addc_co_u32_e32 v11, vcc, 0, v11, vcc
	s_andn2_b64 exec, exec, s[6:7]
	s_cbranch_execz .LBB100_47
.LBB100_43:                             ; =>This Inner Loop Header: Depth=1
	global_load_dword v7, v[10:11], off
	ds_read2_b64 v[2:5], v1 offset1:1
	ds_read2_b64 v[20:23], v1 offset0:2 offset1:3
	v_or_b32_e32 v25, 7, v19
	v_or_b32_e32 v24, 6, v19
	s_waitcnt lgkmcnt(1)
	;;#ASMSTART
	v_cvt_f16_f32 v26, v2;

	;;#ASMEND
	;;#ASMSTART
	v_cvt_f16_f32 v27, v3;

	;;#ASMEND
	;; [unrolled: 4-line block ×4, first 2 shown]
	s_waitcnt lgkmcnt(0)
	;;#ASMSTART
	v_cvt_f16_f32 v30, v20;

	;;#ASMEND
	;;#ASMSTART
	v_cvt_f16_f32 v31, v21;

	;;#ASMEND
	;;#ASMSTART
	v_cvt_f16_f32 v32, v22;

	;;#ASMEND
	;;#ASMSTART
	v_cvt_f16_f32 v33, v23;

	;;#ASMEND
	v_or_b32_e32 v21, 3, v19
	v_or_b32_e32 v20, 2, v19
	v_or_b32_e32 v23, 5, v19
	v_or_b32_e32 v22, 4, v19
	s_waitcnt vmcnt(0)
	v_mad_i64_i32 v[2:3], s[0:1], v7, s3, 0
	v_lshlrev_b64 v[2:3], 1, v[2:3]
	v_add_co_u32_e32 v12, vcc, v17, v2
	v_addc_co_u32_e32 v13, vcc, v18, v3, vcc
	global_load_dwordx4 v[2:5], v[12:13], off
	v_cmp_eq_u32_e32 vcc, s9, v6
	v_add_u32_e32 v7, 1, v19
	s_and_saveexec_b64 s[10:11], vcc
	s_cbranch_execz .LBB100_45
; %bb.44:                               ;   in Loop: Header=BB100_43 Depth=1
	s_waitcnt vmcnt(0)
	v_lshrrev_b32_e32 v34, 16, v5
	v_cmp_gt_i32_e64 s[0:1], s19, v25
	v_cndmask_b32_e64 v34, 0, v34, s[0:1]
	v_cmp_gt_i32_e64 s[0:1], s18, v24
	v_cndmask_b32_e64 v5, 0, v5, s[0:1]
	v_perm_b32 v5, v34, v5, s24
	v_lshrrev_b32_e32 v34, 16, v4
	v_cmp_gt_i32_e64 s[0:1], s17, v23
	v_cndmask_b32_e64 v34, 0, v34, s[0:1]
	v_cmp_gt_i32_e64 s[0:1], s16, v22
	v_cndmask_b32_e64 v4, 0, v4, s[0:1]
	v_perm_b32 v4, v34, v4, s24
	;; [unrolled: 6-line block ×4, first 2 shown]
.LBB100_45:                             ;   in Loop: Header=BB100_43 Depth=1
	s_or_b64 exec, exec, s[10:11]
	v_and_b32_e32 v26, 0xffff, v26
	v_lshl_or_b32 v34, v27, 16, v26
	v_and_b32_e32 v26, 0xffff, v28
	v_lshl_or_b32 v28, v29, 16, v26
	;; [unrolled: 2-line block ×3, first 2 shown]
	v_and_b32_e32 v26, 0xffff, v32
	s_waitcnt vmcnt(0)
	;;#ASMSTART
	v_pk_mul_f16 v2, v34, v2;

	;;#ASMEND
	v_lshl_or_b32 v26, v33, 16, v26
	;;#ASMSTART
	v_pk_mul_f16 v3, v28, v3;

	;;#ASMEND
	;;#ASMSTART
	v_pk_mul_f16 v4, v27, v4;

	;;#ASMEND
	;; [unrolled: 4-line block ×3, first 2 shown]
	;;#ASMSTART
	v_pk_add_f16 v2, v2, v3;

	;;#ASMEND
	;;#ASMSTART
	v_pk_add_f16 v2, v2, v4;

	;;#ASMEND
	;; [unrolled: 4-line block ×3, first 2 shown]
	v_lshrrev_b32_e32 v3, 16, v2
	v_and_b32_e32 v2, 0xffff, v2
	;;#ASMSTART
	v_cvt_f32_f16 v29, v2;
	;;#ASMEND
	;;#ASMSTART
	v_cvt_f32_f16 v30, v3;
	;;#ASMEND
	global_load_dwordx4 v[2:5], v[12:13], off offset:1024
	s_and_saveexec_b64 s[0:1], vcc
	s_cbranch_execz .LBB100_42
; %bb.46:                               ;   in Loop: Header=BB100_43 Depth=1
	s_waitcnt vmcnt(0)
	v_lshrrev_b32_e32 v12, 16, v5
	v_cmp_gt_i32_e32 vcc, s19, v25
	v_cndmask_b32_e32 v12, 0, v12, vcc
	v_cmp_gt_i32_e32 vcc, s18, v24
	v_cndmask_b32_e32 v5, 0, v5, vcc
	v_perm_b32 v5, v12, v5, s24
	v_lshrrev_b32_e32 v12, 16, v4
	v_cmp_gt_i32_e32 vcc, s17, v23
	v_cndmask_b32_e32 v12, 0, v12, vcc
	v_cmp_gt_i32_e32 vcc, s16, v22
	v_cndmask_b32_e32 v4, 0, v4, vcc
	v_perm_b32 v4, v12, v4, s24
	;; [unrolled: 6-line block ×4, first 2 shown]
	s_branch .LBB100_42
.LBB100_47:
	s_or_b64 exec, exec, s[6:7]
.LBB100_48:
	s_or_b64 exec, exec, s[4:5]
	ds_bpermute_b32 v2, v15, v8
	ds_bpermute_b32 v3, v15, v9
	v_and_b32_e32 v1, 0x3c1, v0
	v_cmp_eq_u32_e32 vcc, 64, v1
	s_waitcnt lgkmcnt(0)
	s_barrier
	v_pk_add_f32 v[2:3], v[8:9], v[2:3]
	s_and_saveexec_b64 s[0:1], vcc
	s_cbranch_execz .LBB100_50
; %bb.49:
	v_mov_b32_e32 v4, 0x90
	v_lshl_add_u32 v4, v14, 1, v4
	ds_write2_b32 v4, v2, v3 offset1:32
.LBB100_50:
	s_or_b64 exec, exec, s[0:1]
	v_cmp_gt_u32_e32 vcc, 64, v0
	s_waitcnt lgkmcnt(0)
	s_barrier
	s_and_saveexec_b64 s[0:1], vcc
	s_cbranch_execz .LBB100_56
; %bb.51:
	v_cmp_eq_u32_e32 vcc, 0, v16
	v_lshrrev_b32_e32 v4, 1, v0
	s_and_saveexec_b64 s[4:5], vcc
	s_cbranch_execz .LBB100_53
; %bb.52:
	v_mov_b32_e32 v5, 0x90
	v_lshl_add_u32 v5, v4, 2, v5
	ds_read_b32 v5, v5
	s_waitcnt lgkmcnt(0)
	v_add_f32_e32 v2, v2, v5
.LBB100_53:
	s_or_b64 exec, exec, s[4:5]
	s_and_saveexec_b64 s[4:5], vcc
	s_cbranch_execz .LBB100_55
; %bb.54:
	v_mov_b32_e32 v5, 0x90
	v_lshl_add_u32 v4, v4, 2, v5
	ds_read_b32 v4, v4 offset:128
	s_waitcnt lgkmcnt(0)
	v_add_f32_e32 v3, v3, v4
.LBB100_55:
	s_or_b64 exec, exec, s[4:5]
.LBB100_56:
	s_or_b64 exec, exec, s[0:1]
	v_cmp_eq_u32_e32 vcc, 0, v1
	s_barrier
	s_and_saveexec_b64 s[0:1], vcc
	s_cbranch_execz .LBB100_58
; %bb.57:
	s_lshl_b32 s0, s2, 6
	s_ashr_i32 s1, s0, 31
	s_lshl_b64 s[0:1], s[0:1], 1
	s_add_u32 s2, s22, s0
	s_mul_i32 s0, s12, s20
	s_addc_u32 s3, s23, s1
	s_ashr_i32 s1, s0, 31
	s_lshl_b64 s[0:1], s[0:1], 1
	s_add_u32 s2, s2, s0
	s_addc_u32 s3, s3, s1
	s_lshl_b32 s0, s8, 6
	s_ashr_i32 s1, s0, 31
	s_lshl_b64 s[0:1], s[0:1], 1
	s_add_u32 s0, s2, s0
	s_addc_u32 s1, s3, s1
	;;#ASMSTART
	v_cvt_f16_f32 v1, v2;

	;;#ASMEND
	global_store_short v0, v1, s[0:1]
	;;#ASMSTART
	v_cvt_f16_f32 v1, v3;

	;;#ASMEND
	global_store_short v0, v1, s[0:1] offset:64
.LBB100_58:
	s_endpgm
	.section	.rodata,"a",@progbits
	.p2align	6, 0x0
	.amdhsa_kernel _ZN4vllm25paged_attention_v2_kernelIttLi64ELi16ELi128ELNS_18Fp8KVCacheDataTypeE0ELb0ELi512EEEvPfS2_PT_PKS3_PKT0_S9_ifPKiSB_iPKfiiiSD_SD_iiiii
		.amdhsa_group_segment_fixed_size 144
		.amdhsa_private_segment_fixed_size 0
		.amdhsa_kernarg_size 400
		.amdhsa_user_sgpr_count 6
		.amdhsa_user_sgpr_private_segment_buffer 1
		.amdhsa_user_sgpr_dispatch_ptr 0
		.amdhsa_user_sgpr_queue_ptr 0
		.amdhsa_user_sgpr_kernarg_segment_ptr 1
		.amdhsa_user_sgpr_dispatch_id 0
		.amdhsa_user_sgpr_flat_scratch_init 0
		.amdhsa_user_sgpr_kernarg_preload_length 0
		.amdhsa_user_sgpr_kernarg_preload_offset 0
		.amdhsa_user_sgpr_private_segment_size 0
		.amdhsa_uses_dynamic_stack 0
		.amdhsa_system_sgpr_private_segment_wavefront_offset 0
		.amdhsa_system_sgpr_workgroup_id_x 1
		.amdhsa_system_sgpr_workgroup_id_y 1
		.amdhsa_system_sgpr_workgroup_id_z 1
		.amdhsa_system_sgpr_workgroup_info 0
		.amdhsa_system_vgpr_workitem_id 0
		.amdhsa_next_free_vgpr 44
		.amdhsa_next_free_sgpr 42
		.amdhsa_accum_offset 44
		.amdhsa_reserve_vcc 1
		.amdhsa_reserve_flat_scratch 0
		.amdhsa_float_round_mode_32 0
		.amdhsa_float_round_mode_16_64 0
		.amdhsa_float_denorm_mode_32 3
		.amdhsa_float_denorm_mode_16_64 3
		.amdhsa_dx10_clamp 1
		.amdhsa_ieee_mode 1
		.amdhsa_fp16_overflow 0
		.amdhsa_tg_split 0
		.amdhsa_exception_fp_ieee_invalid_op 0
		.amdhsa_exception_fp_denorm_src 0
		.amdhsa_exception_fp_ieee_div_zero 0
		.amdhsa_exception_fp_ieee_overflow 0
		.amdhsa_exception_fp_ieee_underflow 0
		.amdhsa_exception_fp_ieee_inexact 0
		.amdhsa_exception_int_div_zero 0
	.end_amdhsa_kernel
	.section	.text._ZN4vllm25paged_attention_v2_kernelIttLi64ELi16ELi128ELNS_18Fp8KVCacheDataTypeE0ELb0ELi512EEEvPfS2_PT_PKS3_PKT0_S9_ifPKiSB_iPKfiiiSD_SD_iiiii,"axG",@progbits,_ZN4vllm25paged_attention_v2_kernelIttLi64ELi16ELi128ELNS_18Fp8KVCacheDataTypeE0ELb0ELi512EEEvPfS2_PT_PKS3_PKT0_S9_ifPKiSB_iPKfiiiSD_SD_iiiii,comdat
.Lfunc_end100:
	.size	_ZN4vllm25paged_attention_v2_kernelIttLi64ELi16ELi128ELNS_18Fp8KVCacheDataTypeE0ELb0ELi512EEEvPfS2_PT_PKS3_PKT0_S9_ifPKiSB_iPKfiiiSD_SD_iiiii, .Lfunc_end100-_ZN4vllm25paged_attention_v2_kernelIttLi64ELi16ELi128ELNS_18Fp8KVCacheDataTypeE0ELb0ELi512EEEvPfS2_PT_PKS3_PKT0_S9_ifPKiSB_iPKfiiiSD_SD_iiiii
                                        ; -- End function
	.section	.AMDGPU.csdata,"",@progbits
; Kernel info:
; codeLenInByte = 4584
; NumSgprs: 46
; NumVgprs: 44
; NumAgprs: 0
; TotalNumVgprs: 44
; ScratchSize: 0
; MemoryBound: 0
; FloatMode: 240
; IeeeMode: 1
; LDSByteSize: 144 bytes/workgroup (compile time only)
; SGPRBlocks: 5
; VGPRBlocks: 5
; NumSGPRsForWavesPerEU: 46
; NumVGPRsForWavesPerEU: 44
; AccumOffset: 44
; Occupancy: 8
; WaveLimiterHint : 1
; COMPUTE_PGM_RSRC2:SCRATCH_EN: 0
; COMPUTE_PGM_RSRC2:USER_SGPR: 6
; COMPUTE_PGM_RSRC2:TRAP_HANDLER: 0
; COMPUTE_PGM_RSRC2:TGID_X_EN: 1
; COMPUTE_PGM_RSRC2:TGID_Y_EN: 1
; COMPUTE_PGM_RSRC2:TGID_Z_EN: 1
; COMPUTE_PGM_RSRC2:TIDIG_COMP_CNT: 0
; COMPUTE_PGM_RSRC3_GFX90A:ACCUM_OFFSET: 10
; COMPUTE_PGM_RSRC3_GFX90A:TG_SPLIT: 0
	.section	.text._ZN4vllm25paged_attention_v2_kernelIttLi80ELi16ELi128ELNS_18Fp8KVCacheDataTypeE0ELb0ELi512EEEvPfS2_PT_PKS3_PKT0_S9_ifPKiSB_iPKfiiiSD_SD_iiiii,"axG",@progbits,_ZN4vllm25paged_attention_v2_kernelIttLi80ELi16ELi128ELNS_18Fp8KVCacheDataTypeE0ELb0ELi512EEEvPfS2_PT_PKS3_PKT0_S9_ifPKiSB_iPKfiiiSD_SD_iiiii,comdat
	.protected	_ZN4vllm25paged_attention_v2_kernelIttLi80ELi16ELi128ELNS_18Fp8KVCacheDataTypeE0ELb0ELi512EEEvPfS2_PT_PKS3_PKT0_S9_ifPKiSB_iPKfiiiSD_SD_iiiii ; -- Begin function _ZN4vllm25paged_attention_v2_kernelIttLi80ELi16ELi128ELNS_18Fp8KVCacheDataTypeE0ELb0ELi512EEEvPfS2_PT_PKS3_PKT0_S9_ifPKiSB_iPKfiiiSD_SD_iiiii
	.globl	_ZN4vllm25paged_attention_v2_kernelIttLi80ELi16ELi128ELNS_18Fp8KVCacheDataTypeE0ELb0ELi512EEEvPfS2_PT_PKS3_PKT0_S9_ifPKiSB_iPKfiiiSD_SD_iiiii
	.p2align	8
	.type	_ZN4vllm25paged_attention_v2_kernelIttLi80ELi16ELi128ELNS_18Fp8KVCacheDataTypeE0ELb0ELi512EEEvPfS2_PT_PKS3_PKT0_S9_ifPKiSB_iPKfiiiSD_SD_iiiii,@function
_ZN4vllm25paged_attention_v2_kernelIttLi80ELi16ELi128ELNS_18Fp8KVCacheDataTypeE0ELb0ELi512EEEvPfS2_PT_PKS3_PKT0_S9_ifPKiSB_iPKfiiiSD_SD_iiiii: ; @_ZN4vllm25paged_attention_v2_kernelIttLi80ELi16ELi128ELNS_18Fp8KVCacheDataTypeE0ELb0ELi512EEEvPfS2_PT_PKS3_PKT0_S9_ifPKiSB_iPKfiiiSD_SD_iiiii
; %bb.0:
	s_load_dwordx2 s[0:1], s[4:5], 0x40
	s_mov_b32 s24, s7
	s_ashr_i32 s25, s7, 31
	s_lshl_b64 s[2:3], s[24:25], 2
	s_waitcnt lgkmcnt(0)
	s_add_u32 s0, s0, s2
	s_addc_u32 s1, s1, s3
	s_load_dword s25, s[0:1], 0x0
	s_lshl_b32 s40, s8, 9
	s_waitcnt lgkmcnt(0)
	s_cmp_ge_i32 s40, s25
	s_cbranch_scc1 .LBB101_70
; %bb.1:
	s_load_dword s9, s[4:5], 0x90
	s_load_dwordx2 s[10:11], s[4:5], 0x30
	s_waitcnt lgkmcnt(0)
	s_abs_i32 s2, s9
	s_abs_i32 s0, s10
	v_cvt_f32_u32_e32 v1, s0
	s_sub_i32 s3, 0, s0
	s_xor_b32 s1, s9, s10
	s_ashr_i32 s1, s1, 31
	v_rcp_iflag_f32_e32 v1, v1
	v_mul_f32_e32 v1, 0x4f7ffffe, v1
	v_cvt_u32_f32_e32 v1, v1
	v_readfirstlane_b32 s7, v1
	s_mul_i32 s3, s3, s7
	s_mul_hi_u32 s3, s7, s3
	s_add_i32 s7, s7, s3
	s_mul_hi_u32 s3, s2, s7
	s_mul_i32 s7, s3, s0
	s_sub_i32 s2, s2, s7
	s_add_i32 s10, s3, 1
	s_sub_i32 s7, s2, s0
	s_cmp_ge_u32 s2, s0
	s_cselect_b32 s3, s10, s3
	s_cselect_b32 s2, s7, s2
	s_add_i32 s7, s3, 1
	s_cmp_ge_u32 s2, s0
	s_cselect_b32 s0, s7, s3
	s_xor_b32 s0, s0, s1
	s_sub_i32 s18, s0, s1
	s_abs_i32 s2, s18
	v_cvt_f32_u32_e32 v1, s2
	s_load_dwordx2 s[0:1], s[4:5], 0x50
	s_sub_i32 s7, 0, s2
	s_abs_i32 s3, s6
	v_rcp_iflag_f32_e32 v1, v1
	s_mov_b32 s10, 0
	v_mul_f32_e32 v1, 0x4f7ffffe, v1
	v_cvt_u32_f32_e32 v1, v1
	v_readfirstlane_b32 s12, v1
	s_mul_i32 s7, s7, s12
	s_mul_hi_u32 s7, s12, s7
	s_add_i32 s12, s12, s7
	s_waitcnt lgkmcnt(0)
	s_cmp_eq_u64 s[0:1], 0
	s_mul_hi_u32 s16, s3, s12
	s_cbranch_scc1 .LBB101_3
; %bb.2:
	s_ashr_i32 s7, s6, 31
	s_lshl_b64 s[12:13], s[6:7], 2
	s_add_u32 s0, s0, s12
	s_addc_u32 s1, s1, s13
	s_load_dword s10, s[0:1], 0x0
.LBB101_3:
	s_load_dwordx4 s[12:15], s[4:5], 0x58
	s_ashr_i32 s17, s6, 31
	s_waitcnt lgkmcnt(0)
	s_ashr_i32 s15, s18, 31
	v_and_b32_e32 v2, 3, v0
	s_mul_i32 s20, s6, 0x50
	v_cmp_gt_u32_e32 vcc, 40, v0
	s_and_saveexec_b64 s[0:1], vcc
	s_cbranch_execz .LBB101_5
; %bb.4:
	s_load_dwordx2 s[18:19], s[4:5], 0x18
	s_mul_i32 s22, s24, s12
	s_ashr_i32 s23, s22, 31
	s_lshl_b64 s[22:23], s[22:23], 1
	v_lshlrev_b32_e32 v1, 2, v0
	s_waitcnt lgkmcnt(0)
	s_add_u32 s7, s18, s22
	s_addc_u32 s12, s19, s23
	s_ashr_i32 s21, s20, 31
	s_lshl_b64 s[18:19], s[20:21], 1
	s_add_u32 s18, s7, s18
	s_addc_u32 s19, s12, s19
	global_load_dword v1, v1, s[18:19]
	v_and_b32_e32 v3, 0x3fc, v0
	v_mad_u32_u24 v3, v2, 40, v3
	s_waitcnt vmcnt(0)
	ds_write_b32 v3, v1
.LBB101_5:
	s_or_b64 exec, exec, s[0:1]
	s_add_i32 s0, s25, 15
	s_ashr_i32 s1, s0, 31
	s_lshr_b32 s1, s1, 28
	s_add_i32 s0, s0, s1
	s_lshl_b32 s7, s8, 5
	s_mul_i32 s1, s16, s2
	s_ashr_i32 s12, s0, 4
	s_add_i32 s0, s7, 32
	s_sub_i32 s1, s3, s1
	s_min_i32 s33, s0, s12
	s_xor_b32 s0, s17, s15
	s_add_i32 s3, s16, 1
	s_sub_i32 s15, s1, s2
	s_cmp_ge_u32 s1, s2
	s_cselect_b32 s3, s3, s16
	s_cselect_b32 s1, s15, s1
	s_add_i32 s15, s3, 1
	s_cmp_ge_u32 s1, s2
	s_load_dwordx2 s[26:27], s[4:5], 0x38
	s_load_dword s2, s[4:5], 0x48
	v_lshrrev_b32_e32 v1, 6, v0
	s_cselect_b32 s1, s15, s3
	s_xor_b32 s1, s1, s0
	v_or_b32_e32 v8, s7, v1
	s_waitcnt lgkmcnt(0)
	s_mul_i32 s28, s24, s2
	s_sub_i32 s15, s1, s0
	s_ashr_i32 s29, s28, 31
	v_cmp_gt_i32_e64 s[0:1], s33, v8
	v_cmp_le_i32_e32 vcc, s33, v8
	v_mbcnt_lo_u32_b32 v15, -1, 0
	s_barrier
	s_waitcnt lgkmcnt(0)
                                        ; implicit-def: $sgpr36
                                        ; implicit-def: $vgpr5
                                        ; implicit-def: $vgpr6
	s_and_saveexec_b64 s[2:3], vcc
	s_xor_b64 s[2:3], exec, s[2:3]
; %bb.6:
	v_mbcnt_hi_u32_b32 v5, -1, v15
	v_and_b32_e32 v2, 64, v5
	v_add_u32_e32 v6, 64, v2
	s_mov_b32 s36, 0xff7fffff
                                        ; implicit-def: $vgpr2
                                        ; implicit-def: $vgpr15
; %bb.7:
	s_or_saveexec_b64 s[34:35], s[2:3]
	s_load_dwordx4 s[16:19], s[4:5], 0x0
	s_load_dwordx2 s[22:23], s[4:5], 0x10
	s_load_dwordx2 s[30:31], s[4:5], 0x28
	s_load_dword s21, s[4:5], 0x98
	v_mov_b32_e32 v7, s36
	s_mul_i32 s14, s15, s14
	v_ashrrev_i32_e32 v9, 31, v8
	v_lshlrev_b32_e32 v4, 4, v1
	s_xor_b64 exec, exec, s[34:35]
	s_cbranch_execz .LBB101_13
; %bb.8:
	s_load_dwordx2 s[2:3], s[4:5], 0x20
	s_ashr_i32 s15, s14, 31
	s_lshl_b64 s[4:5], s[14:15], 1
	v_bfe_u32 v3, v0, 2, 4
	v_lshlrev_b32_e32 v5, 4, v3
	s_waitcnt lgkmcnt(0)
	s_add_u32 s2, s2, s4
	s_addc_u32 s3, s3, s5
	v_mov_b32_e32 v6, s3
	v_add_co_u32_e32 v5, vcc, s2, v5
	v_lshlrev_b32_e32 v7, 2, v0
	v_addc_co_u32_e32 v6, vcc, 0, v6, vcc
	v_and_b32_e32 v7, 12, v7
	v_add_co_u32_e32 v10, vcc, v5, v7
	v_addc_co_u32_e32 v11, vcc, 0, v6, vcc
	v_mul_u32_u24_e32 v12, 40, v2
	v_cmp_eq_u32_e32 vcc, 0, v2
	s_sub_i32 s15, 1, s25
	v_lshlrev_b32_e32 v2, 2, v3
	s_lshl_b64 s[4:5], s[28:29], 2
	v_lshl_or_b32 v2, v1, 6, v2
	s_add_u32 s4, s26, s4
	v_add3_u32 v13, s40, v4, v3
	v_add_u32_e32 v14, 0xb0, v2
	v_lshlrev_b64 v[2:3], 2, v[8:9]
	s_addc_u32 s5, s27, s5
	v_mov_b32_e32 v5, s5
	v_add_co_u32_e64 v2, s[4:5], s4, v2
	v_addc_co_u32_e64 v3, s[4:5], v5, v3, s[4:5]
	v_mbcnt_hi_u32_b32 v5, -1, v15
	v_and_b32_e32 v6, 64, v5
	s_mov_b32 s41, s13
	v_cmp_neq_f32_e64 s[2:3], s10, 0
	s_mov_b64 s[36:37], 0
	v_mov_b32_e32 v7, 0xff7fffff
	v_add_u32_e32 v6, 64, v6
	v_xor_b32_e32 v15, 2, v5
	v_xor_b32_e32 v16, 1, v5
	v_mov_b32_e32 v17, v8
	s_branch .LBB101_10
.LBB101_9:                              ;   in Loop: Header=BB101_10 Depth=1
	s_or_b64 exec, exec, s[38:39]
	v_add_u32_e32 v17, 2, v17
	v_cmp_le_i32_e64 s[4:5], s33, v17
	s_or_b64 s[36:37], s[4:5], s[36:37]
	v_add_co_u32_e64 v2, s[4:5], 8, v2
	v_add_u32_e32 v13, 32, v13
	v_add_u32_e32 v14, 0x80, v14
	v_addc_co_u32_e64 v3, s[4:5], 0, v3, s[4:5]
	s_andn2_b64 exec, exec, s[36:37]
	s_cbranch_execz .LBB101_12
.LBB101_10:                             ; =>This Inner Loop Header: Depth=1
	global_load_dword v18, v[2:3], off
	s_waitcnt vmcnt(0) lgkmcnt(0)
	v_mad_i64_i32 v[18:19], s[4:5], v18, s41, 0
	v_lshlrev_b64 v[18:19], 1, v[18:19]
	v_add_co_u32_e64 v18, s[4:5], v10, v18
	v_addc_co_u32_e64 v19, s[4:5], v11, v19, s[4:5]
	global_load_dword v20, v[18:19], off
	global_load_dword v21, v[18:19], off offset:256
	global_load_dword v22, v[18:19], off offset:512
	global_load_dword v23, v[18:19], off offset:768
	global_load_dword v24, v[18:19], off offset:1024
	global_load_dword v25, v[18:19], off offset:1280
	global_load_dword v26, v[18:19], off offset:1536
	global_load_dword v27, v[18:19], off offset:1792
	global_load_dword v28, v[18:19], off offset:2048
	global_load_dword v29, v[18:19], off offset:2304
	ds_read_b32 v18, v12
	v_cmp_lt_i32_e64 s[4:5], v15, v6
	v_cndmask_b32_e64 v19, v5, v15, s[4:5]
	v_lshlrev_b32_e32 v19, 2, v19
	v_cmp_lt_i32_e64 s[4:5], v16, v6
	s_waitcnt lgkmcnt(0)
	v_lshrrev_b32_e32 v30, 16, v18
	v_and_b32_e32 v18, 0xffff, v18
	;;#ASMSTART
	v_cvt_f32_f16 v18, v18;
	;;#ASMEND
	;;#ASMSTART
	v_cvt_f32_f16 v30, v30;
	;;#ASMEND
	s_waitcnt vmcnt(9)
	v_lshrrev_b32_e32 v31, 16, v20
	v_and_b32_e32 v20, 0xffff, v20
	;;#ASMSTART
	v_cvt_f32_f16 v20, v20;
	;;#ASMEND
	;;#ASMSTART
	v_cvt_f32_f16 v31, v31;
	;;#ASMEND
	ds_read_b32 v32, v12 offset:4
	s_waitcnt vmcnt(8)
	v_lshrrev_b32_e32 v33, 16, v21
	v_and_b32_e32 v21, 0xffff, v21
	s_waitcnt vmcnt(7)
	v_lshrrev_b32_e32 v34, 16, v22
	v_and_b32_e32 v22, 0xffff, v22
	s_waitcnt lgkmcnt(0)
	v_lshrrev_b32_e32 v35, 16, v32
	v_and_b32_e32 v32, 0xffff, v32
	;;#ASMSTART
	v_cvt_f32_f16 v32, v32;
	;;#ASMEND
	;;#ASMSTART
	v_cvt_f32_f16 v35, v35;
	;;#ASMEND
	;; [unrolled: 3-line block ×4, first 2 shown]
	ds_read_b32 v36, v12 offset:8
	s_waitcnt vmcnt(6)
	v_lshrrev_b32_e32 v37, 16, v23
	v_and_b32_e32 v23, 0xffff, v23
	s_waitcnt vmcnt(5)
	v_lshrrev_b32_e32 v38, 16, v24
	v_and_b32_e32 v24, 0xffff, v24
	s_waitcnt lgkmcnt(0)
	v_lshrrev_b32_e32 v39, 16, v36
	v_and_b32_e32 v36, 0xffff, v36
	;;#ASMSTART
	v_cvt_f32_f16 v36, v36;
	;;#ASMEND
	;;#ASMSTART
	v_cvt_f32_f16 v39, v39;
	;;#ASMEND
	;; [unrolled: 3-line block ×4, first 2 shown]
	ds_read_b32 v40, v12 offset:12
	s_waitcnt vmcnt(4)
	v_lshrrev_b32_e32 v41, 16, v25
	v_and_b32_e32 v25, 0xffff, v25
	v_mul_f32_e32 v21, v32, v21
	v_mul_f32_e32 v32, v35, v33
	s_waitcnt lgkmcnt(0)
	v_lshrrev_b32_e32 v43, 16, v40
	v_and_b32_e32 v40, 0xffff, v40
	;;#ASMSTART
	v_cvt_f32_f16 v40, v40;
	;;#ASMEND
	;;#ASMSTART
	v_cvt_f32_f16 v43, v43;
	;;#ASMEND
	;; [unrolled: 3-line block ×4, first 2 shown]
	ds_read_b32 v44, v12 offset:16
	s_waitcnt vmcnt(3)
	v_lshrrev_b32_e32 v42, 16, v26
	v_and_b32_e32 v26, 0xffff, v26
	v_fmac_f32_e32 v21, v18, v20
	v_fmac_f32_e32 v32, v30, v31
	s_waitcnt lgkmcnt(0)
	v_lshrrev_b32_e32 v47, 16, v44
	v_and_b32_e32 v44, 0xffff, v44
	;;#ASMSTART
	v_cvt_f32_f16 v44, v44;
	;;#ASMEND
	;;#ASMSTART
	v_cvt_f32_f16 v47, v47;
	;;#ASMEND
	;; [unrolled: 3-line block ×4, first 2 shown]
	ds_read_b32 v48, v12 offset:20
	v_fmac_f32_e32 v21, v36, v22
	v_fmac_f32_e32 v21, v40, v23
	s_waitcnt vmcnt(2)
	v_lshrrev_b32_e32 v45, 16, v27
	v_and_b32_e32 v27, 0xffff, v27
	s_waitcnt lgkmcnt(0)
	v_lshrrev_b32_e32 v33, 16, v48
	v_and_b32_e32 v35, 0xffff, v48
	;;#ASMSTART
	v_cvt_f32_f16 v35, v35;
	;;#ASMEND
	;;#ASMSTART
	v_cvt_f32_f16 v33, v33;
	;;#ASMEND
	;; [unrolled: 3-line block ×4, first 2 shown]
	ds_read_b32 v48, v12 offset:24
	v_fmac_f32_e32 v21, v44, v24
	v_fmac_f32_e32 v32, v39, v34
	;; [unrolled: 1-line block ×4, first 2 shown]
	s_waitcnt lgkmcnt(0)
	v_lshrrev_b32_e32 v18, 16, v48
	v_and_b32_e32 v20, 0xffff, v48
	;;#ASMSTART
	v_cvt_f32_f16 v20, v20;
	;;#ASMEND
	;;#ASMSTART
	v_cvt_f32_f16 v18, v18;
	;;#ASMEND
	;; [unrolled: 3-line block ×4, first 2 shown]
	ds_read_b32 v30, v12 offset:28
	v_fmac_f32_e32 v21, v35, v25
	v_fmac_f32_e32 v32, v33, v41
	;; [unrolled: 1-line block ×4, first 2 shown]
	s_waitcnt lgkmcnt(0)
	v_lshrrev_b32_e32 v23, 16, v30
	v_and_b32_e32 v24, 0xffff, v30
	;;#ASMSTART
	v_cvt_f32_f16 v24, v24;
	;;#ASMEND
	;;#ASMSTART
	v_cvt_f32_f16 v23, v23;
	;;#ASMEND
	;; [unrolled: 3-line block ×4, first 2 shown]
	ds_read_b32 v31, v12 offset:32
	s_waitcnt vmcnt(1)
	v_lshrrev_b32_e32 v46, 16, v28
	v_and_b32_e32 v28, 0xffff, v28
	v_fmac_f32_e32 v21, v24, v27
	v_fmac_f32_e32 v32, v23, v30
	s_waitcnt lgkmcnt(0)
	v_lshrrev_b32_e32 v18, 16, v31
	v_and_b32_e32 v20, 0xffff, v31
	;;#ASMSTART
	v_cvt_f32_f16 v20, v20;
	;;#ASMEND
	;;#ASMSTART
	v_cvt_f32_f16 v18, v18;
	;;#ASMEND
	;; [unrolled: 3-line block ×4, first 2 shown]
	ds_read_b32 v26, v12 offset:36
	v_fmac_f32_e32 v21, v20, v22
	v_fmac_f32_e32 v32, v18, v25
	s_waitcnt vmcnt(0)
	v_lshrrev_b32_e32 v49, 16, v29
	v_and_b32_e32 v29, 0xffff, v29
	s_waitcnt lgkmcnt(0)
	v_lshrrev_b32_e32 v18, 16, v26
	v_and_b32_e32 v20, 0xffff, v26
	;;#ASMSTART
	v_cvt_f32_f16 v20, v20;
	;;#ASMEND
	;;#ASMSTART
	v_cvt_f32_f16 v18, v18;
	;;#ASMEND
	;; [unrolled: 3-line block ×4, first 2 shown]
	v_fmac_f32_e32 v21, v20, v22
	v_fmac_f32_e32 v32, v18, v23
	v_add_f32_e32 v18, v21, v32
	ds_bpermute_b32 v19, v19, v18
	v_cndmask_b32_e64 v20, v5, v16, s[4:5]
	s_waitcnt lgkmcnt(0)
	v_add_f32_e32 v18, v18, v19
	v_lshlrev_b32_e32 v19, 2, v20
	ds_bpermute_b32 v19, v19, v18
	s_and_saveexec_b64 s[38:39], vcc
	s_cbranch_execz .LBB101_9
; %bb.11:                               ;   in Loop: Header=BB101_10 Depth=1
	v_add_u32_e32 v20, s15, v13
	v_cvt_f32_i32_e32 v20, v20
	s_waitcnt lgkmcnt(0)
	v_add_f32_e32 v18, v18, v19
	v_cmp_gt_i32_e64 s[4:5], s25, v13
	v_max_f32_e32 v19, v7, v7
	v_mul_f32_e32 v20, s10, v20
	v_cndmask_b32_e64 v20, 0, v20, s[2:3]
	v_fmac_f32_e32 v20, s11, v18
	v_cndmask_b32_e64 v18, 0, v20, s[4:5]
	ds_write_b32 v14, v18
	v_max_f32_e32 v18, v19, v20
	v_cndmask_b32_e64 v7, v7, v18, s[4:5]
	s_branch .LBB101_9
.LBB101_12:
	s_or_b64 exec, exec, s[36:37]
.LBB101_13:
	s_or_b64 exec, exec, s[34:35]
	v_xor_b32_e32 v2, 32, v5
	v_cmp_lt_i32_e32 vcc, v2, v6
	v_cndmask_b32_e32 v2, v5, v2, vcc
	v_lshlrev_b32_e32 v2, 2, v2
	ds_bpermute_b32 v3, v2, v7
	v_xor_b32_e32 v10, 16, v5
	v_max_f32_e32 v7, v7, v7
	v_cmp_lt_i32_e32 vcc, v10, v6
	v_xor_b32_e32 v11, 8, v5
	s_waitcnt lgkmcnt(0)
	v_max_f32_e32 v3, v3, v3
	v_max_f32_e32 v7, v7, v3
	v_cndmask_b32_e32 v3, v5, v10, vcc
	v_lshlrev_b32_e32 v3, 2, v3
	ds_bpermute_b32 v10, v3, v7
	v_cmp_lt_i32_e32 vcc, v11, v6
	v_lshlrev_b32_e32 v12, 2, v1
	s_waitcnt lgkmcnt(0)
	v_max_f32_e32 v10, v10, v10
	v_max_f32_e32 v7, v7, v10
	v_cndmask_b32_e32 v10, v5, v11, vcc
	v_lshlrev_b32_e32 v14, 2, v10
	ds_bpermute_b32 v10, v14, v7
	v_xor_b32_e32 v11, 4, v5
	v_cmp_lt_i32_e32 vcc, v11, v6
	s_waitcnt lgkmcnt(0)
	v_max_f32_e32 v10, v10, v10
	v_max_f32_e32 v7, v7, v10
	v_cndmask_b32_e32 v10, v5, v11, vcc
	v_lshlrev_b32_e32 v15, 2, v10
	ds_bpermute_b32 v11, v15, v7
	v_and_b32_e32 v10, 63, v0
	v_cmp_eq_u32_e32 vcc, 0, v10
	s_and_saveexec_b64 s[2:3], vcc
	s_cbranch_execz .LBB101_15
; %bb.14:
	s_waitcnt lgkmcnt(0)
	v_max_f32_e32 v11, v11, v11
	v_max_f32_e32 v7, v7, v7
	;; [unrolled: 1-line block ×3, first 2 shown]
	ds_write_b32 v12, v7 offset:160
.LBB101_15:
	s_or_b64 exec, exec, s[2:3]
	v_cmp_gt_u32_e64 s[2:3], 2, v10
	s_waitcnt lgkmcnt(0)
	v_mov_b32_e32 v11, 0xff7fffff
	v_lshlrev_b32_e32 v13, 2, v10
	s_barrier
	s_and_saveexec_b64 s[4:5], s[2:3]
	s_cbranch_execz .LBB101_17
; %bb.16:
	ds_read_b32 v11, v13 offset:160
.LBB101_17:
	s_or_b64 exec, exec, s[4:5]
	v_xor_b32_e32 v7, 1, v5
	v_cmp_lt_i32_e64 s[4:5], v7, v6
	v_cndmask_b32_e64 v7, v5, v7, s[4:5]
	v_lshlrev_b32_e32 v7, 2, v7
	s_waitcnt lgkmcnt(0)
	ds_bpermute_b32 v16, v7, v11
	v_max_f32_e32 v11, v11, v11
	s_sub_i32 s4, s33, s7
	s_lshl_b32 s4, s4, 4
	s_add_i32 s4, s4, s40
	s_waitcnt lgkmcnt(0)
	v_max_f32_e32 v16, v16, v16
	v_max_f32_e32 v11, v11, v16
	v_lshlrev_b32_e32 v16, 2, v5
	v_and_b32_e32 v16, 0xffffff00, v16
	ds_bpermute_b32 v11, v16, v11
	s_min_i32 s15, s4, s25
	s_sub_i32 s7, s15, s40
	v_cmp_gt_i32_e64 s[4:5], s7, v0
	v_mov_b32_e32 v17, 0
	s_and_saveexec_b64 s[34:35], s[4:5]
	s_cbranch_execz .LBB101_21
; %bb.18:
	v_mov_b32_e32 v17, 0xb0
	v_lshl_add_u32 v18, v0, 2, v17
	s_mov_b64 s[36:37], 0
	v_mov_b32_e32 v17, 0
	v_mov_b32_e32 v19, v0
.LBB101_19:                             ; =>This Inner Loop Header: Depth=1
	ds_read_b32 v20, v18
	v_add_u32_e32 v19, 0x80, v19
	v_cmp_le_i32_e64 s[10:11], s7, v19
	s_or_b64 s[36:37], s[10:11], s[36:37]
	s_waitcnt lgkmcnt(0)
	v_sub_f32_e32 v20, v20, v11
	v_mul_f32_e32 v20, 0x3fb8aa3b, v20
	v_exp_f32_e32 v20, v20
	ds_write_b32 v18, v20
	v_add_f32_e32 v17, v17, v20
	v_add_u32_e32 v18, 0x200, v18
	s_andn2_b64 exec, exec, s[36:37]
	s_cbranch_execnz .LBB101_19
; %bb.20:
	s_or_b64 exec, exec, s[36:37]
.LBB101_21:
	s_or_b64 exec, exec, s[34:35]
	ds_bpermute_b32 v2, v2, v17
	s_waitcnt lgkmcnt(0)
	v_add_f32_e32 v2, v17, v2
	ds_bpermute_b32 v3, v3, v2
	s_waitcnt lgkmcnt(0)
	v_add_f32_e32 v2, v2, v3
	ds_bpermute_b32 v3, v14, v2
	v_xor_b32_e32 v14, 2, v5
	v_cmp_lt_i32_e64 s[10:11], v14, v6
	v_cndmask_b32_e64 v5, v5, v14, s[10:11]
	s_waitcnt lgkmcnt(0)
	v_add_f32_e32 v2, v2, v3
	ds_bpermute_b32 v3, v15, v2
	s_waitcnt lgkmcnt(0)
	v_add_f32_e32 v2, v2, v3
	v_lshlrev_b32_e32 v3, 2, v5
	ds_bpermute_b32 v3, v3, v2
	s_waitcnt lgkmcnt(0)
	v_add_f32_e32 v2, v2, v3
	ds_bpermute_b32 v3, v7, v2
	s_waitcnt lgkmcnt(0)
	v_add_f32_e32 v2, v2, v3
	s_and_saveexec_b64 s[10:11], vcc
	s_cbranch_execz .LBB101_23
; %bb.22:
	ds_write_b32 v12, v2 offset:168
.LBB101_23:
	s_or_b64 exec, exec, s[10:11]
	s_waitcnt lgkmcnt(0)
	s_barrier
	s_and_saveexec_b64 s[10:11], s[2:3]
	s_cbranch_execz .LBB101_25
; %bb.24:
	ds_read_b32 v2, v13 offset:168
.LBB101_25:
	s_or_b64 exec, exec, s[10:11]
	s_waitcnt lgkmcnt(0)
	ds_bpermute_b32 v3, v7, v2
	s_waitcnt lgkmcnt(0)
	v_add_f32_e32 v2, v2, v3
	ds_bpermute_b32 v5, v16, v2
	s_and_saveexec_b64 s[2:3], s[4:5]
	s_cbranch_execz .LBB101_38
; %bb.26:
	s_waitcnt lgkmcnt(0)
	v_add_f32_e32 v2, 0x358637bd, v5
	v_div_scale_f32 v3, s[4:5], v2, v2, 1.0
	v_rcp_f32_e32 v6, v3
	v_div_scale_f32 v12, vcc, 1.0, v2, 1.0
	s_movk_i32 s4, 0x7f
	v_fma_f32 v13, -v3, v6, 1.0
	v_fmac_f32_e32 v6, v13, v6
	v_mul_f32_e32 v13, v12, v6
	v_fma_f32 v14, -v3, v13, v12
	v_fmac_f32_e32 v13, v14, v6
	v_fma_f32 v3, -v3, v13, v12
	v_div_fmas_f32 v3, v3, v6, v13
	v_div_fixup_f32 v2, v3, v2, 1.0
	v_xad_u32 v3, v0, -1, s15
	v_subrev_u32_e32 v6, s40, v3
	v_cmp_lt_u32_e32 vcc, s4, v6
	s_mov_b64 s[10:11], -1
	v_mov_b32_e32 v3, v0
	s_and_saveexec_b64 s[4:5], vcc
	s_cbranch_execz .LBB101_35
; %bb.27:
	v_lshrrev_b32_e32 v6, 7, v6
	v_add_u32_e32 v13, -1, v6
	v_lshrrev_b32_e32 v12, 1, v13
	v_mov_b32_e32 v3, v2
	v_add_u32_e32 v12, 1, v12
	v_cmp_lt_u32_e32 vcc, 13, v13
	v_mov_b32_e32 v15, 0
	s_and_saveexec_b64 s[10:11], vcc
	s_cbranch_execz .LBB101_31
; %bb.28:
	v_mov_b32_e32 v14, 0xb0
	v_and_b32_e32 v13, -8, v12
	v_lshl_add_u32 v14, v0, 2, v14
	s_mov_b32 s15, 0
	s_mov_b64 s[34:35], 0
.LBB101_29:                             ; =>This Inner Loop Header: Depth=1
	ds_read2st64_b32 v[16:17], v14 offset1:2
	ds_read2st64_b32 v[18:19], v14 offset0:4 offset1:6
	ds_read2st64_b32 v[20:21], v14 offset0:8 offset1:10
	;; [unrolled: 1-line block ×3, first 2 shown]
	v_add_u32_e32 v13, -8, v13
	s_waitcnt lgkmcnt(3)
	v_pk_mul_f32 v[16:17], v[2:3], v[16:17]
	s_waitcnt lgkmcnt(2)
	v_pk_mul_f32 v[18:19], v[2:3], v[18:19]
	ds_write2st64_b32 v14, v16, v17 offset1:2
	ds_write2st64_b32 v14, v18, v19 offset0:4 offset1:6
	ds_read2st64_b32 v[18:19], v14 offset0:16 offset1:18
	s_waitcnt lgkmcnt(4)
	v_pk_mul_f32 v[16:17], v[2:3], v[20:21]
	ds_write2st64_b32 v14, v16, v17 offset0:8 offset1:10
	s_waitcnt lgkmcnt(4)
	v_pk_mul_f32 v[16:17], v[2:3], v[22:23]
	ds_write2st64_b32 v14, v16, v17 offset0:12 offset1:14
	ds_read2st64_b32 v[16:17], v14 offset0:20 offset1:22
	s_waitcnt lgkmcnt(3)
	v_pk_mul_f32 v[18:19], v[2:3], v[18:19]
	ds_read2st64_b32 v[20:21], v14 offset0:24 offset1:26
	ds_write2st64_b32 v14, v18, v19 offset0:16 offset1:18
	ds_read2st64_b32 v[18:19], v14 offset0:28 offset1:30
	s_waitcnt lgkmcnt(3)
	v_pk_mul_f32 v[16:17], v[2:3], v[16:17]
	ds_write2st64_b32 v14, v16, v17 offset0:20 offset1:22
	s_waitcnt lgkmcnt(3)
	v_pk_mul_f32 v[16:17], v[2:3], v[20:21]
	ds_write2st64_b32 v14, v16, v17 offset0:24 offset1:26
	s_waitcnt lgkmcnt(2)
	v_pk_mul_f32 v[16:17], v[2:3], v[18:19]
	s_add_i32 s15, s15, 16
	v_cmp_eq_u32_e32 vcc, 0, v13
	ds_write2st64_b32 v14, v16, v17 offset0:28 offset1:30
	v_add_u32_e32 v14, 0x2000, v14
	s_or_b64 s[34:35], vcc, s[34:35]
	v_mov_b32_e32 v15, s15
	s_andn2_b64 exec, exec, s[34:35]
	s_cbranch_execnz .LBB101_29
; %bb.30:
	s_or_b64 exec, exec, s[34:35]
.LBB101_31:
	s_or_b64 exec, exec, s[10:11]
	v_and_b32_e32 v12, 7, v12
	v_cmp_ne_u32_e32 vcc, 0, v12
	s_and_saveexec_b64 s[10:11], vcc
	s_cbranch_execz .LBB101_34
; %bb.32:
	v_lshlrev_b32_e32 v13, 9, v15
	v_lshlrev_b32_e32 v14, 2, v0
	s_movk_i32 s15, 0xb0
	v_add3_u32 v13, v13, v14, s15
	s_mov_b64 s[34:35], 0
.LBB101_33:                             ; =>This Inner Loop Header: Depth=1
	ds_read2st64_b32 v[14:15], v13 offset1:2
	v_add_u32_e32 v12, -1, v12
	v_cmp_eq_u32_e32 vcc, 0, v12
	s_or_b64 s[34:35], vcc, s[34:35]
	s_waitcnt lgkmcnt(0)
	v_pk_mul_f32 v[14:15], v[2:3], v[14:15]
	ds_write2st64_b32 v13, v14, v15 offset1:2
	v_add_u32_e32 v13, 0x400, v13
	s_andn2_b64 exec, exec, s[34:35]
	s_cbranch_execnz .LBB101_33
.LBB101_34:
	s_or_b64 exec, exec, s[10:11]
	v_add_u32_e32 v6, 1, v6
	v_and_b32_e32 v12, 0x3fffffe, v6
	v_cmp_ne_u32_e32 vcc, v6, v12
	v_lshl_add_u32 v3, v12, 7, v0
	s_orn2_b64 s[10:11], vcc, exec
.LBB101_35:
	s_or_b64 exec, exec, s[4:5]
	s_and_b64 exec, exec, s[10:11]
	s_cbranch_execz .LBB101_38
; %bb.36:
	v_mov_b32_e32 v6, 0xb0
	v_lshl_add_u32 v6, v3, 2, v6
	s_mov_b64 s[4:5], 0
.LBB101_37:                             ; =>This Inner Loop Header: Depth=1
	ds_read_b32 v12, v6
	v_add_u32_e32 v3, 0x80, v3
	v_cmp_le_i32_e32 vcc, s7, v3
	s_or_b64 s[4:5], vcc, s[4:5]
	s_waitcnt lgkmcnt(0)
	v_mul_f32_e32 v12, v2, v12
	ds_write_b32 v6, v12
	v_add_u32_e32 v6, 0x200, v6
	s_andn2_b64 exec, exec, s[4:5]
	s_cbranch_execnz .LBB101_37
.LBB101_38:
	s_or_b64 exec, exec, s[2:3]
	s_mul_i32 s2, s21, s24
	v_cmp_eq_u32_e32 vcc, 0, v0
	s_mul_i32 s4, s2, s9
	s_waitcnt lgkmcnt(0)
	s_barrier
	s_and_saveexec_b64 s[2:3], vcc
	s_cbranch_execz .LBB101_40
; %bb.39:
	s_ashr_i32 s5, s4, 31
	s_lshl_b64 s[10:11], s[4:5], 2
	s_add_u32 s5, s18, s10
	s_mul_i32 s6, s21, s6
	s_addc_u32 s9, s19, s11
	s_ashr_i32 s7, s6, 31
	s_lshl_b64 s[6:7], s[6:7], 2
	s_add_u32 s5, s5, s6
	s_addc_u32 s15, s9, s7
	s_ashr_i32 s9, s8, 31
	s_lshl_b64 s[18:19], s[8:9], 2
	s_add_u32 s34, s5, s18
	s_addc_u32 s35, s15, s19
	s_add_u32 s5, s16, s10
	s_addc_u32 s9, s17, s11
	;; [unrolled: 2-line block ×3, first 2 shown]
	s_add_u32 s6, s5, s18
	v_mov_b32_e32 v2, 0
	s_addc_u32 s7, s7, s19
	global_store_dword v2, v11, s[34:35]
	global_store_dword v2, v5, s[6:7]
.LBB101_40:
	s_or_b64 exec, exec, s[2:3]
	v_mov_b32_e32 v6, 0
	v_lshrrev_b32_e32 v17, 1, v10
	v_and_b32_e32 v16, 1, v0
	v_mov_b32_e32 v11, v6
	v_mov_b32_e32 v10, v6
	s_and_saveexec_b64 s[6:7], s[0:1]
	s_cbranch_execz .LBB101_52
; %bb.41:
	s_ashr_i32 s15, s14, 31
	s_lshl_b64 s[0:1], s[14:15], 1
	s_add_u32 s9, s30, s0
	v_or_b32_e32 v5, 64, v17
	s_movk_i32 s0, 0x50
	v_lshlrev_b32_e32 v2, 3, v0
	s_addc_u32 s2, s31, s1
	s_add_i32 s14, s12, -1
	v_cmp_gt_u32_e32 vcc, s0, v5
	s_lshl_b64 s[0:1], s[28:29], 2
	v_and_b32_e32 v3, 8, v2
	s_add_u32 s0, s26, s0
	v_lshl_or_b32 v2, v17, 4, v3
	v_lshl_or_b32 v6, v5, 4, v3
	v_add3_u32 v18, s40, v4, v3
	v_lshlrev_b32_e32 v3, 5, v16
	v_lshlrev_b64 v[4:5], 2, v[8:9]
	s_addc_u32 s1, s27, s1
	v_mov_b32_e32 v10, 0
	v_lshl_or_b32 v1, v1, 6, v3
	v_mov_b32_e32 v3, s1
	v_add_co_u32_e64 v12, s[0:1], s0, v4
	s_mov_b32 s5, s13
	s_mov_b32 s15, s25
	;; [unrolled: 1-line block ×8, first 2 shown]
	v_add_u32_e32 v1, 0xb0, v1
	v_addc_co_u32_e64 v13, s[0:1], v3, v5, s[0:1]
	s_mov_b64 s[10:11], 0
	v_mov_b32_e32 v9, s2
	v_lshlrev_b32_e32 v19, 1, v2
	s_mov_b32 s26, 0x5040100
	v_lshlrev_b32_e32 v20, 1, v6
	v_mov_b32_e32 v11, v10
	v_mov_b32_e32 v6, v10
	s_branch .LBB101_44
.LBB101_42:                             ;   in Loop: Header=BB101_44 Depth=1
	s_or_b64 exec, exec, s[2:3]
	s_waitcnt vmcnt(0)
	;;#ASMSTART
	v_pk_mul_f16 v2, v26, v2;

	;;#ASMEND
	;;#ASMSTART
	v_pk_mul_f16 v3, v25, v3;

	;;#ASMEND
	;; [unrolled: 4-line block ×4, first 2 shown]
	;;#ASMSTART
	v_pk_add_f16 v2, v2, v3;

	;;#ASMEND
	;;#ASMSTART
	v_pk_add_f16 v2, v2, v4;

	;;#ASMEND
	;;#ASMSTART
	v_pk_add_f16 v2, v2, v5;

	;;#ASMEND
	v_lshrrev_b32_e32 v3, 16, v2
	v_and_b32_e32 v2, 0xffff, v2
	;;#ASMSTART
	v_cvt_f32_f16 v2, v2;
	;;#ASMEND
	;;#ASMSTART
	v_cvt_f32_f16 v3, v3;
	;;#ASMEND
	v_add_f32_e32 v2, v2, v3
	v_add_f32_e32 v6, v6, v2
.LBB101_43:                             ;   in Loop: Header=BB101_44 Depth=1
	s_or_b64 exec, exec, s[12:13]
	v_add_u32_e32 v8, 2, v8
	v_cmp_le_i32_e64 s[0:1], s33, v8
	s_or_b64 s[10:11], s[0:1], s[10:11]
	v_add_co_u32_e64 v12, s[0:1], 8, v12
	v_add_u32_e32 v18, 32, v18
	v_add_u32_e32 v1, 0x80, v1
	v_addc_co_u32_e64 v13, s[0:1], 0, v13, s[0:1]
	s_andn2_b64 exec, exec, s[10:11]
	s_cbranch_execz .LBB101_51
.LBB101_44:                             ; =>This Inner Loop Header: Depth=1
	global_load_dword v14, v[12:13], off
	ds_read2_b64 v[2:5], v1 offset1:1
	ds_read2_b64 v[28:31], v1 offset0:2 offset1:3
	s_waitcnt lgkmcnt(1)
	;;#ASMSTART
	v_cvt_f16_f32 v21, v2;

	;;#ASMEND
	;;#ASMSTART
	v_cvt_f16_f32 v22, v3;

	;;#ASMEND
	;; [unrolled: 4-line block ×4, first 2 shown]
	s_waitcnt lgkmcnt(0)
	;;#ASMSTART
	v_cvt_f16_f32 v28, v28;

	;;#ASMEND
	;;#ASMSTART
	v_cvt_f16_f32 v29, v29;

	;;#ASMEND
	;; [unrolled: 4-line block ×4, first 2 shown]
	s_waitcnt vmcnt(0)
	v_mad_i64_i32 v[2:3], s[0:1], v14, s5, 0
	v_lshlrev_b64 v[2:3], 1, v[2:3]
	v_add_co_u32_e64 v23, s[0:1], s9, v2
	v_addc_co_u32_e64 v24, s[0:1], v9, v3, s[0:1]
	v_add_co_u32_e64 v14, s[0:1], v23, v19
	v_addc_co_u32_e64 v15, s[0:1], 0, v24, s[0:1]
	global_load_dwordx4 v[2:5], v[14:15], off
	v_cmp_eq_u32_e64 s[0:1], s14, v8
	s_and_saveexec_b64 s[12:13], s[0:1]
	s_cbranch_execz .LBB101_46
; %bb.45:                               ;   in Loop: Header=BB101_44 Depth=1
	v_or_b32_e32 v36, 7, v18
	v_or_b32_e32 v37, 6, v18
	s_waitcnt vmcnt(0)
	v_lshrrev_b32_e32 v38, 16, v5
	v_cmp_gt_i32_e64 s[2:3], s30, v36
	v_cndmask_b32_e64 v36, 0, v38, s[2:3]
	v_cmp_gt_i32_e64 s[2:3], s24, v37
	v_or_b32_e32 v34, 5, v18
	v_cndmask_b32_e64 v5, 0, v5, s[2:3]
	v_or_b32_e32 v35, 4, v18
	v_perm_b32 v5, v36, v5, s26
	v_lshrrev_b32_e32 v36, 16, v4
	v_cmp_gt_i32_e64 s[2:3], s19, v34
	v_cndmask_b32_e64 v34, 0, v36, s[2:3]
	v_cmp_gt_i32_e64 s[2:3], s18, v35
	v_or_b32_e32 v32, 3, v18
	v_cndmask_b32_e64 v4, 0, v4, s[2:3]
	v_or_b32_e32 v33, 2, v18
	v_perm_b32 v4, v34, v4, s26
	v_lshrrev_b32_e32 v34, 16, v3
	v_cmp_gt_i32_e64 s[2:3], s17, v32
	v_cndmask_b32_e64 v32, 0, v34, s[2:3]
	v_cmp_gt_i32_e64 s[2:3], s16, v33
	v_add_u32_e32 v26, 1, v18
	v_cndmask_b32_e64 v3, 0, v3, s[2:3]
	v_perm_b32 v3, v32, v3, s26
	v_lshrrev_b32_e32 v32, 16, v2
	v_cmp_gt_i32_e64 s[2:3], s15, v26
	v_cndmask_b32_e64 v26, 0, v32, s[2:3]
	v_cmp_gt_i32_e64 s[2:3], s25, v18
	v_cndmask_b32_e64 v2, 0, v2, s[2:3]
	v_perm_b32 v2, v26, v2, s26
.LBB101_46:                             ;   in Loop: Header=BB101_44 Depth=1
	s_or_b64 exec, exec, s[12:13]
	v_and_b32_e32 v21, 0xffff, v21
	v_lshl_or_b32 v26, v22, 16, v21
	v_and_b32_e32 v21, 0xffff, v25
	v_lshl_or_b32 v25, v27, 16, v21
	;; [unrolled: 2-line block ×3, first 2 shown]
	v_and_b32_e32 v21, 0xffff, v30
	s_waitcnt vmcnt(0)
	;;#ASMSTART
	v_pk_mul_f16 v2, v26, v2;

	;;#ASMEND
	v_lshl_or_b32 v21, v31, 16, v21
	;;#ASMSTART
	v_pk_mul_f16 v3, v25, v3;

	;;#ASMEND
	;;#ASMSTART
	v_pk_mul_f16 v4, v22, v4;

	;;#ASMEND
	;; [unrolled: 4-line block ×3, first 2 shown]
	;;#ASMSTART
	v_pk_add_f16 v2, v2, v3;

	;;#ASMEND
	;;#ASMSTART
	v_pk_add_f16 v2, v2, v4;

	;;#ASMEND
	;; [unrolled: 4-line block ×3, first 2 shown]
	v_lshrrev_b32_e32 v3, 16, v2
	v_and_b32_e32 v2, 0xffff, v2
	;;#ASMSTART
	v_cvt_f32_f16 v27, v2;
	;;#ASMEND
	;;#ASMSTART
	v_cvt_f32_f16 v28, v3;
	;;#ASMEND
	global_load_dwordx4 v[2:5], v[14:15], off offset:1024
	s_and_saveexec_b64 s[12:13], s[0:1]
	s_cbranch_execz .LBB101_48
; %bb.47:                               ;   in Loop: Header=BB101_44 Depth=1
	v_or_b32_e32 v32, 7, v18
	v_or_b32_e32 v33, 6, v18
	s_waitcnt vmcnt(0)
	v_lshrrev_b32_e32 v34, 16, v5
	v_cmp_gt_i32_e64 s[2:3], s30, v32
	v_cndmask_b32_e64 v32, 0, v34, s[2:3]
	v_cmp_gt_i32_e64 s[2:3], s24, v33
	v_or_b32_e32 v30, 5, v18
	v_cndmask_b32_e64 v5, 0, v5, s[2:3]
	v_or_b32_e32 v31, 4, v18
	v_perm_b32 v5, v32, v5, s26
	v_lshrrev_b32_e32 v32, 16, v4
	v_cmp_gt_i32_e64 s[2:3], s19, v30
	v_cndmask_b32_e64 v30, 0, v32, s[2:3]
	v_cmp_gt_i32_e64 s[2:3], s18, v31
	v_or_b32_e32 v15, 3, v18
	v_cndmask_b32_e64 v4, 0, v4, s[2:3]
	v_or_b32_e32 v29, 2, v18
	v_perm_b32 v4, v30, v4, s26
	v_lshrrev_b32_e32 v30, 16, v3
	v_cmp_gt_i32_e64 s[2:3], s17, v15
	v_cndmask_b32_e64 v15, 0, v30, s[2:3]
	v_cmp_gt_i32_e64 s[2:3], s16, v29
	v_add_u32_e32 v14, 1, v18
	v_cndmask_b32_e64 v3, 0, v3, s[2:3]
	v_perm_b32 v3, v15, v3, s26
	v_lshrrev_b32_e32 v15, 16, v2
	v_cmp_gt_i32_e64 s[2:3], s15, v14
	v_cndmask_b32_e64 v14, 0, v15, s[2:3]
	v_cmp_gt_i32_e64 s[2:3], s25, v18
	v_cndmask_b32_e64 v2, 0, v2, s[2:3]
	v_perm_b32 v2, v14, v2, s26
.LBB101_48:                             ;   in Loop: Header=BB101_44 Depth=1
	s_or_b64 exec, exec, s[12:13]
	s_waitcnt vmcnt(0)
	;;#ASMSTART
	v_pk_mul_f16 v2, v26, v2;

	;;#ASMEND
	;;#ASMSTART
	v_pk_mul_f16 v3, v25, v3;

	;;#ASMEND
	;; [unrolled: 4-line block ×4, first 2 shown]
	;;#ASMSTART
	v_pk_add_f16 v2, v2, v3;

	;;#ASMEND
	;;#ASMSTART
	v_pk_add_f16 v2, v2, v4;

	;;#ASMEND
	;; [unrolled: 4-line block ×3, first 2 shown]
	v_lshrrev_b32_e32 v3, 16, v2
	v_and_b32_e32 v2, 0xffff, v2
	;;#ASMSTART
	v_cvt_f32_f16 v2, v2;
	;;#ASMEND
	v_add_f32_e32 v14, v27, v28
	;;#ASMSTART
	v_cvt_f32_f16 v3, v3;
	;;#ASMEND
	v_add_f32_e32 v2, v2, v3
	v_add_f32_e32 v10, v10, v14
	;; [unrolled: 1-line block ×3, first 2 shown]
	s_and_saveexec_b64 s[12:13], vcc
	s_cbranch_execz .LBB101_43
; %bb.49:                               ;   in Loop: Header=BB101_44 Depth=1
	v_add_co_u32_e64 v2, s[2:3], v23, v20
	v_addc_co_u32_e64 v3, s[2:3], 0, v24, s[2:3]
	global_load_dwordx4 v[2:5], v[2:3], off
	s_and_saveexec_b64 s[2:3], s[0:1]
	s_cbranch_execz .LBB101_42
; %bb.50:                               ;   in Loop: Header=BB101_44 Depth=1
	v_or_b32_e32 v28, 7, v18
	v_or_b32_e32 v29, 6, v18
	s_waitcnt vmcnt(0)
	v_lshrrev_b32_e32 v30, 16, v5
	v_cmp_gt_i32_e64 s[0:1], s30, v28
	v_cndmask_b32_e64 v28, 0, v30, s[0:1]
	v_cmp_gt_i32_e64 s[0:1], s24, v29
	v_or_b32_e32 v24, 5, v18
	v_cndmask_b32_e64 v5, 0, v5, s[0:1]
	v_or_b32_e32 v27, 4, v18
	v_perm_b32 v5, v28, v5, s26
	v_lshrrev_b32_e32 v28, 16, v4
	v_cmp_gt_i32_e64 s[0:1], s19, v24
	v_cndmask_b32_e64 v24, 0, v28, s[0:1]
	v_cmp_gt_i32_e64 s[0:1], s18, v27
	v_or_b32_e32 v15, 3, v18
	v_cndmask_b32_e64 v4, 0, v4, s[0:1]
	v_or_b32_e32 v23, 2, v18
	v_perm_b32 v4, v24, v4, s26
	v_lshrrev_b32_e32 v24, 16, v3
	v_cmp_gt_i32_e64 s[0:1], s17, v15
	v_cndmask_b32_e64 v15, 0, v24, s[0:1]
	v_cmp_gt_i32_e64 s[0:1], s16, v23
	v_add_u32_e32 v14, 1, v18
	v_cndmask_b32_e64 v3, 0, v3, s[0:1]
	v_perm_b32 v3, v15, v3, s26
	v_lshrrev_b32_e32 v15, 16, v2
	v_cmp_gt_i32_e64 s[0:1], s15, v14
	v_cndmask_b32_e64 v14, 0, v15, s[0:1]
	v_cmp_gt_i32_e64 s[0:1], s25, v18
	v_cndmask_b32_e64 v2, 0, v2, s[0:1]
	v_perm_b32 v2, v14, v2, s26
	s_branch .LBB101_42
.LBB101_51:
	s_or_b64 exec, exec, s[10:11]
.LBB101_52:
	s_or_b64 exec, exec, s[6:7]
	ds_bpermute_b32 v2, v7, v10
	ds_bpermute_b32 v3, v7, v11
	;; [unrolled: 1-line block ×3, first 2 shown]
	v_and_b32_e32 v4, 0x3c0, v0
	v_cmp_eq_u32_e32 vcc, 64, v4
	s_waitcnt lgkmcnt(0)
	v_pk_add_f32 v[2:3], v[10:11], v[2:3]
	v_add_f32_e32 v1, v6, v1
	s_barrier
	s_and_saveexec_b64 s[2:3], vcc
	s_cbranch_execz .LBB101_57
; %bb.53:
	v_cmp_eq_u32_e32 vcc, 0, v16
	s_and_saveexec_b64 s[0:1], vcc
	s_cbranch_execz .LBB101_55
; %bb.54:
	v_mov_b32_e32 v4, 0xb0
	v_lshl_add_u32 v4, v17, 2, v4
	ds_write2_b32 v4, v2, v3 offset1:32
.LBB101_55:
	s_or_b64 exec, exec, s[0:1]
	v_or_b32_e32 v4, 64, v17
	s_movk_i32 s0, 0x50
	v_cmp_gt_u32_e64 s[0:1], s0, v4
	s_and_b64 s[0:1], vcc, s[0:1]
	s_and_b64 exec, exec, s[0:1]
	s_cbranch_execz .LBB101_57
; %bb.56:
	v_mov_b32_e32 v4, 0xb0
	v_lshl_add_u32 v4, v17, 2, v4
	ds_write_b32 v4, v1 offset:256
.LBB101_57:
	s_or_b64 exec, exec, s[2:3]
	v_cmp_gt_u32_e32 vcc, 64, v0
	v_lshrrev_b32_e32 v0, 1, v0
	s_waitcnt lgkmcnt(0)
	s_barrier
	s_and_saveexec_b64 s[6:7], vcc
	s_cbranch_execz .LBB101_65
; %bb.58:
	v_cmp_eq_u32_e64 s[0:1], 0, v16
	s_and_saveexec_b64 s[2:3], s[0:1]
	s_cbranch_execz .LBB101_60
; %bb.59:
	v_mov_b32_e32 v4, 0xb0
	v_lshl_add_u32 v4, v0, 2, v4
	ds_read_b32 v4, v4
	s_waitcnt lgkmcnt(0)
	v_add_f32_e32 v2, v2, v4
.LBB101_60:
	s_or_b64 exec, exec, s[2:3]
	s_and_saveexec_b64 s[2:3], s[0:1]
	s_cbranch_execz .LBB101_62
; %bb.61:
	v_mov_b32_e32 v4, 0xb0
	v_lshl_add_u32 v4, v0, 2, v4
	ds_read_b32 v4, v4 offset:128
	s_waitcnt lgkmcnt(0)
	v_add_f32_e32 v3, v3, v4
.LBB101_62:
	s_or_b64 exec, exec, s[2:3]
	v_or_b32_e32 v4, 64, v0
	s_movk_i32 s2, 0x50
	v_cmp_gt_u32_e64 s[2:3], s2, v4
	s_and_b64 s[2:3], s[0:1], s[2:3]
	s_and_saveexec_b64 s[0:1], s[2:3]
	s_cbranch_execz .LBB101_64
; %bb.63:
	v_mov_b32_e32 v4, 0xb0
	v_lshl_add_u32 v4, v0, 2, v4
	ds_read_b32 v4, v4 offset:256
	s_waitcnt lgkmcnt(0)
	v_add_f32_e32 v1, v1, v4
.LBB101_64:
	s_or_b64 exec, exec, s[0:1]
.LBB101_65:
	s_or_b64 exec, exec, s[6:7]
	s_barrier
	s_and_saveexec_b64 s[0:1], vcc
	s_cbranch_execz .LBB101_70
; %bb.66:
	s_mul_i32 s0, s4, 0x50
	s_ashr_i32 s1, s0, 31
	s_lshl_b64 s[0:1], s[0:1], 1
	s_add_u32 s2, s22, s0
	s_mul_i32 s0, s21, s20
	s_addc_u32 s3, s23, s1
	s_ashr_i32 s1, s0, 31
	s_lshl_b64 s[0:1], s[0:1], 1
	s_add_u32 s2, s2, s0
	s_mul_i32 s0, s8, 0x50
	s_addc_u32 s3, s3, s1
	s_ashr_i32 s1, s0, 31
	s_lshl_b64 s[0:1], s[0:1], 1
	s_add_u32 s2, s2, s0
	s_movk_i32 s5, 0x50
	s_addc_u32 s3, s3, s1
	v_cmp_eq_u32_e32 vcc, 0, v16
	v_lshlrev_b32_e32 v4, 1, v0
	s_and_saveexec_b64 s[0:1], vcc
	s_cbranch_execz .LBB101_68
; %bb.67:
	;;#ASMSTART
	v_cvt_f16_f32 v2, v2;

	;;#ASMEND
	global_store_short v4, v2, s[2:3]
	;;#ASMSTART
	v_cvt_f16_f32 v2, v3;

	;;#ASMEND
	global_store_short v4, v2, s[2:3] offset:64
.LBB101_68:
	s_or_b64 exec, exec, s[0:1]
	v_or_b32_e32 v0, 64, v0
	v_cmp_gt_u32_e64 s[0:1], s5, v0
	s_and_b64 s[0:1], vcc, s[0:1]
	s_and_b64 exec, exec, s[0:1]
	s_cbranch_execz .LBB101_70
; %bb.69:
	;;#ASMSTART
	v_cvt_f16_f32 v0, v1;

	;;#ASMEND
	global_store_short v4, v0, s[2:3] offset:128
.LBB101_70:
	s_endpgm
	.section	.rodata,"a",@progbits
	.p2align	6, 0x0
	.amdhsa_kernel _ZN4vllm25paged_attention_v2_kernelIttLi80ELi16ELi128ELNS_18Fp8KVCacheDataTypeE0ELb0ELi512EEEvPfS2_PT_PKS3_PKT0_S9_ifPKiSB_iPKfiiiSD_SD_iiiii
		.amdhsa_group_segment_fixed_size 176
		.amdhsa_private_segment_fixed_size 0
		.amdhsa_kernarg_size 400
		.amdhsa_user_sgpr_count 6
		.amdhsa_user_sgpr_private_segment_buffer 1
		.amdhsa_user_sgpr_dispatch_ptr 0
		.amdhsa_user_sgpr_queue_ptr 0
		.amdhsa_user_sgpr_kernarg_segment_ptr 1
		.amdhsa_user_sgpr_dispatch_id 0
		.amdhsa_user_sgpr_flat_scratch_init 0
		.amdhsa_user_sgpr_kernarg_preload_length 0
		.amdhsa_user_sgpr_kernarg_preload_offset 0
		.amdhsa_user_sgpr_private_segment_size 0
		.amdhsa_uses_dynamic_stack 0
		.amdhsa_system_sgpr_private_segment_wavefront_offset 0
		.amdhsa_system_sgpr_workgroup_id_x 1
		.amdhsa_system_sgpr_workgroup_id_y 1
		.amdhsa_system_sgpr_workgroup_id_z 1
		.amdhsa_system_sgpr_workgroup_info 0
		.amdhsa_system_vgpr_workitem_id 0
		.amdhsa_next_free_vgpr 50
		.amdhsa_next_free_sgpr 42
		.amdhsa_accum_offset 52
		.amdhsa_reserve_vcc 1
		.amdhsa_reserve_flat_scratch 0
		.amdhsa_float_round_mode_32 0
		.amdhsa_float_round_mode_16_64 0
		.amdhsa_float_denorm_mode_32 3
		.amdhsa_float_denorm_mode_16_64 3
		.amdhsa_dx10_clamp 1
		.amdhsa_ieee_mode 1
		.amdhsa_fp16_overflow 0
		.amdhsa_tg_split 0
		.amdhsa_exception_fp_ieee_invalid_op 0
		.amdhsa_exception_fp_denorm_src 0
		.amdhsa_exception_fp_ieee_div_zero 0
		.amdhsa_exception_fp_ieee_overflow 0
		.amdhsa_exception_fp_ieee_underflow 0
		.amdhsa_exception_fp_ieee_inexact 0
		.amdhsa_exception_int_div_zero 0
	.end_amdhsa_kernel
	.section	.text._ZN4vllm25paged_attention_v2_kernelIttLi80ELi16ELi128ELNS_18Fp8KVCacheDataTypeE0ELb0ELi512EEEvPfS2_PT_PKS3_PKT0_S9_ifPKiSB_iPKfiiiSD_SD_iiiii,"axG",@progbits,_ZN4vllm25paged_attention_v2_kernelIttLi80ELi16ELi128ELNS_18Fp8KVCacheDataTypeE0ELb0ELi512EEEvPfS2_PT_PKS3_PKT0_S9_ifPKiSB_iPKfiiiSD_SD_iiiii,comdat
.Lfunc_end101:
	.size	_ZN4vllm25paged_attention_v2_kernelIttLi80ELi16ELi128ELNS_18Fp8KVCacheDataTypeE0ELb0ELi512EEEvPfS2_PT_PKS3_PKT0_S9_ifPKiSB_iPKfiiiSD_SD_iiiii, .Lfunc_end101-_ZN4vllm25paged_attention_v2_kernelIttLi80ELi16ELi128ELNS_18Fp8KVCacheDataTypeE0ELb0ELi512EEEvPfS2_PT_PKS3_PKT0_S9_ifPKiSB_iPKfiiiSD_SD_iiiii
                                        ; -- End function
	.section	.AMDGPU.csdata,"",@progbits
; Kernel info:
; codeLenInByte = 5500
; NumSgprs: 46
; NumVgprs: 50
; NumAgprs: 0
; TotalNumVgprs: 50
; ScratchSize: 0
; MemoryBound: 0
; FloatMode: 240
; IeeeMode: 1
; LDSByteSize: 176 bytes/workgroup (compile time only)
; SGPRBlocks: 5
; VGPRBlocks: 6
; NumSGPRsForWavesPerEU: 46
; NumVGPRsForWavesPerEU: 50
; AccumOffset: 52
; Occupancy: 8
; WaveLimiterHint : 1
; COMPUTE_PGM_RSRC2:SCRATCH_EN: 0
; COMPUTE_PGM_RSRC2:USER_SGPR: 6
; COMPUTE_PGM_RSRC2:TRAP_HANDLER: 0
; COMPUTE_PGM_RSRC2:TGID_X_EN: 1
; COMPUTE_PGM_RSRC2:TGID_Y_EN: 1
; COMPUTE_PGM_RSRC2:TGID_Z_EN: 1
; COMPUTE_PGM_RSRC2:TIDIG_COMP_CNT: 0
; COMPUTE_PGM_RSRC3_GFX90A:ACCUM_OFFSET: 12
; COMPUTE_PGM_RSRC3_GFX90A:TG_SPLIT: 0
	.section	.text._ZN4vllm25paged_attention_v2_kernelIttLi96ELi16ELi128ELNS_18Fp8KVCacheDataTypeE0ELb0ELi512EEEvPfS2_PT_PKS3_PKT0_S9_ifPKiSB_iPKfiiiSD_SD_iiiii,"axG",@progbits,_ZN4vllm25paged_attention_v2_kernelIttLi96ELi16ELi128ELNS_18Fp8KVCacheDataTypeE0ELb0ELi512EEEvPfS2_PT_PKS3_PKT0_S9_ifPKiSB_iPKfiiiSD_SD_iiiii,comdat
	.protected	_ZN4vllm25paged_attention_v2_kernelIttLi96ELi16ELi128ELNS_18Fp8KVCacheDataTypeE0ELb0ELi512EEEvPfS2_PT_PKS3_PKT0_S9_ifPKiSB_iPKfiiiSD_SD_iiiii ; -- Begin function _ZN4vllm25paged_attention_v2_kernelIttLi96ELi16ELi128ELNS_18Fp8KVCacheDataTypeE0ELb0ELi512EEEvPfS2_PT_PKS3_PKT0_S9_ifPKiSB_iPKfiiiSD_SD_iiiii
	.globl	_ZN4vllm25paged_attention_v2_kernelIttLi96ELi16ELi128ELNS_18Fp8KVCacheDataTypeE0ELb0ELi512EEEvPfS2_PT_PKS3_PKT0_S9_ifPKiSB_iPKfiiiSD_SD_iiiii
	.p2align	8
	.type	_ZN4vllm25paged_attention_v2_kernelIttLi96ELi16ELi128ELNS_18Fp8KVCacheDataTypeE0ELb0ELi512EEEvPfS2_PT_PKS3_PKT0_S9_ifPKiSB_iPKfiiiSD_SD_iiiii,@function
_ZN4vllm25paged_attention_v2_kernelIttLi96ELi16ELi128ELNS_18Fp8KVCacheDataTypeE0ELb0ELi512EEEvPfS2_PT_PKS3_PKT0_S9_ifPKiSB_iPKfiiiSD_SD_iiiii: ; @_ZN4vllm25paged_attention_v2_kernelIttLi96ELi16ELi128ELNS_18Fp8KVCacheDataTypeE0ELb0ELi512EEEvPfS2_PT_PKS3_PKT0_S9_ifPKiSB_iPKfiiiSD_SD_iiiii
; %bb.0:
	s_load_dwordx2 s[0:1], s[4:5], 0x40
	s_mov_b32 s24, s7
	s_ashr_i32 s25, s7, 31
	s_lshl_b64 s[2:3], s[24:25], 2
	s_waitcnt lgkmcnt(0)
	s_add_u32 s0, s0, s2
	s_addc_u32 s1, s1, s3
	s_load_dword s25, s[0:1], 0x0
	s_lshl_b32 s33, s8, 9
	s_waitcnt lgkmcnt(0)
	s_cmp_ge_i32 s33, s25
	s_cbranch_scc1 .LBB102_60
; %bb.1:
	s_load_dword s9, s[4:5], 0x90
	s_load_dwordx2 s[10:11], s[4:5], 0x30
	s_mov_b32 s40, 0
	s_waitcnt lgkmcnt(0)
	s_abs_i32 s2, s9
	s_abs_i32 s0, s10
	v_cvt_f32_u32_e32 v1, s0
	s_sub_i32 s3, 0, s0
	s_xor_b32 s1, s9, s10
	s_ashr_i32 s1, s1, 31
	v_rcp_iflag_f32_e32 v1, v1
	v_mul_f32_e32 v1, 0x4f7ffffe, v1
	v_cvt_u32_f32_e32 v1, v1
	v_readfirstlane_b32 s7, v1
	s_mul_i32 s3, s3, s7
	s_mul_hi_u32 s3, s7, s3
	s_add_i32 s7, s7, s3
	s_mul_hi_u32 s3, s2, s7
	s_mul_i32 s7, s3, s0
	s_sub_i32 s2, s2, s7
	s_add_i32 s10, s3, 1
	s_sub_i32 s7, s2, s0
	s_cmp_ge_u32 s2, s0
	s_cselect_b32 s3, s10, s3
	s_cselect_b32 s2, s7, s2
	s_add_i32 s7, s3, 1
	s_cmp_ge_u32 s2, s0
	s_cselect_b32 s0, s7, s3
	s_xor_b32 s0, s0, s1
	s_sub_i32 s10, s0, s1
	s_abs_i32 s2, s10
	v_cvt_f32_u32_e32 v1, s2
	s_load_dwordx2 s[0:1], s[4:5], 0x50
	s_sub_i32 s7, 0, s2
	s_abs_i32 s3, s6
	v_rcp_iflag_f32_e32 v1, v1
	v_mul_f32_e32 v1, 0x4f7ffffe, v1
	v_cvt_u32_f32_e32 v1, v1
	v_readfirstlane_b32 s12, v1
	s_mul_i32 s7, s7, s12
	s_mul_hi_u32 s7, s12, s7
	s_add_i32 s12, s12, s7
	s_waitcnt lgkmcnt(0)
	s_cmp_eq_u64 s[0:1], 0
	s_mul_hi_u32 s16, s3, s12
	s_cbranch_scc1 .LBB102_3
; %bb.2:
	s_ashr_i32 s7, s6, 31
	s_lshl_b64 s[12:13], s[6:7], 2
	s_add_u32 s0, s0, s12
	s_addc_u32 s1, s1, s13
	s_load_dword s40, s[0:1], 0x0
.LBB102_3:
	s_load_dwordx4 s[12:15], s[4:5], 0x58
	s_ashr_i32 s17, s6, 31
	s_waitcnt lgkmcnt(0)
	s_ashr_i32 s15, s10, 31
	v_and_b32_e32 v2, 3, v0
	s_mul_i32 s20, s6, 0x60
	v_cmp_gt_u32_e32 vcc, 48, v0
	s_and_saveexec_b64 s[0:1], vcc
	s_cbranch_execz .LBB102_5
; %bb.4:
	s_load_dwordx2 s[18:19], s[4:5], 0x18
	s_mul_i32 s22, s24, s12
	s_ashr_i32 s23, s22, 31
	s_lshl_b64 s[22:23], s[22:23], 1
	v_lshlrev_b32_e32 v1, 2, v0
	s_waitcnt lgkmcnt(0)
	s_add_u32 s7, s18, s22
	s_addc_u32 s10, s19, s23
	s_ashr_i32 s21, s20, 31
	s_lshl_b64 s[18:19], s[20:21], 1
	s_add_u32 s18, s7, s18
	s_addc_u32 s19, s10, s19
	global_load_dword v1, v1, s[18:19]
	v_and_b32_e32 v3, 0x3fc, v0
	v_mad_u32_u24 v3, v2, 48, v3
	s_waitcnt vmcnt(0)
	ds_write_b32 v3, v1
.LBB102_5:
	s_or_b64 exec, exec, s[0:1]
	s_add_i32 s0, s25, 15
	s_ashr_i32 s1, s0, 31
	s_lshr_b32 s1, s1, 28
	s_add_i32 s0, s0, s1
	s_lshl_b32 s10, s8, 5
	s_mul_i32 s1, s16, s2
	s_ashr_i32 s7, s0, 4
	s_add_i32 s0, s10, 32
	s_sub_i32 s1, s3, s1
	s_min_i32 s21, s0, s7
	s_xor_b32 s0, s17, s15
	s_add_i32 s3, s16, 1
	s_sub_i32 s12, s1, s2
	s_cmp_ge_u32 s1, s2
	s_cselect_b32 s3, s3, s16
	s_cselect_b32 s1, s12, s1
	s_add_i32 s12, s3, 1
	s_cmp_ge_u32 s1, s2
	s_load_dwordx2 s[26:27], s[4:5], 0x38
	s_load_dword s2, s[4:5], 0x48
	v_lshrrev_b32_e32 v1, 6, v0
	s_cselect_b32 s1, s12, s3
	s_xor_b32 s1, s1, s0
	v_or_b32_e32 v6, s10, v1
	s_waitcnt lgkmcnt(0)
	s_mul_i32 s28, s24, s2
	s_sub_i32 s15, s1, s0
	s_ashr_i32 s29, s28, 31
	v_cmp_gt_i32_e64 s[0:1], s21, v6
	v_cmp_le_i32_e32 vcc, s21, v6
	v_mbcnt_lo_u32_b32 v15, -1, 0
	s_barrier
	s_waitcnt lgkmcnt(0)
                                        ; implicit-def: $sgpr36
                                        ; implicit-def: $vgpr5
                                        ; implicit-def: $vgpr8
	s_and_saveexec_b64 s[2:3], vcc
	s_xor_b64 s[2:3], exec, s[2:3]
; %bb.6:
	v_mbcnt_hi_u32_b32 v5, -1, v15
	v_and_b32_e32 v2, 64, v5
	v_add_u32_e32 v8, 64, v2
	s_mov_b32 s36, 0xff7fffff
                                        ; implicit-def: $vgpr2
                                        ; implicit-def: $vgpr15
; %bb.7:
	s_or_saveexec_b64 s[34:35], s[2:3]
	s_load_dwordx4 s[16:19], s[4:5], 0x0
	s_load_dwordx2 s[22:23], s[4:5], 0x10
	s_load_dwordx2 s[30:31], s[4:5], 0x28
	s_load_dword s12, s[4:5], 0x98
	v_mov_b32_e32 v9, s36
	s_mul_i32 s14, s15, s14
	v_ashrrev_i32_e32 v7, 31, v6
	v_lshlrev_b32_e32 v4, 4, v1
	s_xor_b64 exec, exec, s[34:35]
	s_cbranch_execz .LBB102_13
; %bb.8:
	s_load_dwordx2 s[2:3], s[4:5], 0x20
	s_ashr_i32 s15, s14, 31
	s_lshl_b64 s[4:5], s[14:15], 1
	v_bfe_u32 v3, v0, 2, 4
	v_lshlrev_b32_e32 v5, 4, v3
	s_waitcnt lgkmcnt(0)
	s_add_u32 s2, s2, s4
	s_addc_u32 s3, s3, s5
	v_mov_b32_e32 v8, s3
	v_add_co_u32_e32 v5, vcc, s2, v5
	v_lshlrev_b32_e32 v9, 2, v0
	v_addc_co_u32_e32 v8, vcc, 0, v8, vcc
	v_and_b32_e32 v9, 12, v9
	v_add_co_u32_e32 v10, vcc, v5, v9
	v_addc_co_u32_e32 v11, vcc, 0, v8, vcc
	v_mul_u32_u24_e32 v12, 48, v2
	v_cmp_eq_u32_e32 vcc, 0, v2
	s_sub_i32 s15, 1, s25
	v_lshlrev_b32_e32 v2, 2, v3
	s_lshl_b64 s[4:5], s[28:29], 2
	v_lshl_or_b32 v2, v1, 6, v2
	s_add_u32 s4, s26, s4
	v_add3_u32 v13, s33, v4, v3
	v_add_u32_e32 v14, 0xd0, v2
	v_lshlrev_b64 v[2:3], 2, v[6:7]
	s_addc_u32 s5, s27, s5
	v_mov_b32_e32 v5, s5
	v_add_co_u32_e64 v2, s[4:5], s4, v2
	v_addc_co_u32_e64 v3, s[4:5], v5, v3, s[4:5]
	v_mbcnt_hi_u32_b32 v5, -1, v15
	v_and_b32_e32 v8, 64, v5
	s_mov_b32 s41, s13
	v_cmp_neq_f32_e64 s[2:3], s40, 0
	s_mov_b64 s[36:37], 0
	v_mov_b32_e32 v9, 0xff7fffff
	v_add_u32_e32 v8, 64, v8
	v_xor_b32_e32 v15, 2, v5
	v_xor_b32_e32 v16, 1, v5
	v_mov_b32_e32 v17, v6
	s_branch .LBB102_10
.LBB102_9:                              ;   in Loop: Header=BB102_10 Depth=1
	s_or_b64 exec, exec, s[38:39]
	v_add_u32_e32 v17, 2, v17
	v_cmp_le_i32_e64 s[4:5], s21, v17
	s_or_b64 s[36:37], s[4:5], s[36:37]
	v_add_co_u32_e64 v2, s[4:5], 8, v2
	v_add_u32_e32 v13, 32, v13
	v_add_u32_e32 v14, 0x80, v14
	v_addc_co_u32_e64 v3, s[4:5], 0, v3, s[4:5]
	s_andn2_b64 exec, exec, s[36:37]
	s_cbranch_execz .LBB102_12
.LBB102_10:                             ; =>This Inner Loop Header: Depth=1
	global_load_dword v18, v[2:3], off
	s_waitcnt vmcnt(0) lgkmcnt(0)
	v_mad_i64_i32 v[18:19], s[4:5], v18, s41, 0
	v_lshlrev_b64 v[18:19], 1, v[18:19]
	v_add_co_u32_e64 v18, s[4:5], v10, v18
	v_addc_co_u32_e64 v19, s[4:5], v11, v19, s[4:5]
	global_load_dword v20, v[18:19], off
	global_load_dword v21, v[18:19], off offset:256
	global_load_dword v22, v[18:19], off offset:512
	;; [unrolled: 1-line block ×11, first 2 shown]
	ds_read_b32 v18, v12
	v_cmp_lt_i32_e64 s[4:5], v15, v8
	v_cndmask_b32_e64 v19, v5, v15, s[4:5]
	v_lshlrev_b32_e32 v19, 2, v19
	v_cmp_lt_i32_e64 s[4:5], v16, v8
	s_waitcnt lgkmcnt(0)
	v_lshrrev_b32_e32 v32, 16, v18
	v_and_b32_e32 v18, 0xffff, v18
	;;#ASMSTART
	v_cvt_f32_f16 v18, v18;
	;;#ASMEND
	;;#ASMSTART
	v_cvt_f32_f16 v32, v32;
	;;#ASMEND
	s_waitcnt vmcnt(11)
	v_lshrrev_b32_e32 v33, 16, v20
	v_and_b32_e32 v20, 0xffff, v20
	;;#ASMSTART
	v_cvt_f32_f16 v20, v20;
	;;#ASMEND
	;;#ASMSTART
	v_cvt_f32_f16 v33, v33;
	;;#ASMEND
	ds_read_b32 v34, v12 offset:4
	s_waitcnt vmcnt(10)
	v_lshrrev_b32_e32 v35, 16, v21
	v_and_b32_e32 v21, 0xffff, v21
	s_waitcnt vmcnt(9)
	v_lshrrev_b32_e32 v36, 16, v22
	v_and_b32_e32 v22, 0xffff, v22
	s_waitcnt lgkmcnt(0)
	v_lshrrev_b32_e32 v37, 16, v34
	v_and_b32_e32 v34, 0xffff, v34
	;;#ASMSTART
	v_cvt_f32_f16 v34, v34;
	;;#ASMEND
	;;#ASMSTART
	v_cvt_f32_f16 v37, v37;
	;;#ASMEND
	;;#ASMSTART
	v_cvt_f32_f16 v21, v21;
	;;#ASMEND
	;;#ASMSTART
	v_cvt_f32_f16 v35, v35;
	;;#ASMEND
	ds_read_b32 v38, v12 offset:8
	s_waitcnt vmcnt(8)
	v_lshrrev_b32_e32 v39, 16, v23
	v_and_b32_e32 v23, 0xffff, v23
	s_waitcnt vmcnt(7)
	v_lshrrev_b32_e32 v40, 16, v24
	v_and_b32_e32 v24, 0xffff, v24
	s_waitcnt lgkmcnt(0)
	v_lshrrev_b32_e32 v41, 16, v38
	v_and_b32_e32 v38, 0xffff, v38
	;;#ASMSTART
	v_cvt_f32_f16 v38, v38;
	;;#ASMEND
	;;#ASMSTART
	v_cvt_f32_f16 v41, v41;
	;;#ASMEND
	;;#ASMSTART
	v_cvt_f32_f16 v22, v22;
	;;#ASMEND
	;;#ASMSTART
	v_cvt_f32_f16 v36, v36;
	;;#ASMEND
	ds_read_b32 v42, v12 offset:12
	s_waitcnt vmcnt(6)
	v_lshrrev_b32_e32 v43, 16, v25
	v_and_b32_e32 v25, 0xffff, v25
	s_waitcnt vmcnt(5)
	v_lshrrev_b32_e32 v44, 16, v26
	v_and_b32_e32 v26, 0xffff, v26
	s_waitcnt lgkmcnt(0)
	v_lshrrev_b32_e32 v45, 16, v42
	v_and_b32_e32 v42, 0xffff, v42
	;;#ASMSTART
	v_cvt_f32_f16 v42, v42;
	;;#ASMEND
	;;#ASMSTART
	v_cvt_f32_f16 v45, v45;
	;;#ASMEND
	;;#ASMSTART
	v_cvt_f32_f16 v23, v23;
	;;#ASMEND
	;;#ASMSTART
	v_cvt_f32_f16 v39, v39;
	;;#ASMEND
	ds_read_b32 v46, v12 offset:16
	v_mul_f32_e32 v21, v34, v21
	v_mul_f32_e32 v34, v37, v35
	s_waitcnt vmcnt(4)
	v_lshrrev_b32_e32 v47, 16, v27
	v_and_b32_e32 v27, 0xffff, v27
	s_waitcnt lgkmcnt(0)
	v_lshrrev_b32_e32 v49, 16, v46
	v_and_b32_e32 v46, 0xffff, v46
	;;#ASMSTART
	v_cvt_f32_f16 v46, v46;
	;;#ASMEND
	;;#ASMSTART
	v_cvt_f32_f16 v49, v49;
	;;#ASMEND
	;; [unrolled: 3-line block ×4, first 2 shown]
	ds_read_b32 v50, v12 offset:20
	v_fmac_f32_e32 v21, v18, v20
	v_fmac_f32_e32 v34, v32, v33
	;; [unrolled: 1-line block ×4, first 2 shown]
	s_waitcnt lgkmcnt(0)
	v_lshrrev_b32_e32 v53, 16, v50
	v_and_b32_e32 v50, 0xffff, v50
	;;#ASMSTART
	v_cvt_f32_f16 v50, v50;
	;;#ASMEND
	;;#ASMSTART
	v_cvt_f32_f16 v53, v53;
	;;#ASMEND
	;; [unrolled: 3-line block ×4, first 2 shown]
	ds_read_b32 v54, v12 offset:24
	s_waitcnt vmcnt(3)
	v_lshrrev_b32_e32 v48, 16, v28
	v_and_b32_e32 v28, 0xffff, v28
	v_fmac_f32_e32 v21, v46, v24
	v_fmac_f32_e32 v34, v41, v36
	s_waitcnt lgkmcnt(0)
	v_lshrrev_b32_e32 v35, 16, v54
	v_and_b32_e32 v37, 0xffff, v54
	;;#ASMSTART
	v_cvt_f32_f16 v37, v37;
	;;#ASMEND
	;;#ASMSTART
	v_cvt_f32_f16 v35, v35;
	;;#ASMEND
	;; [unrolled: 3-line block ×4, first 2 shown]
	ds_read_b32 v54, v12 offset:28
	v_fmac_f32_e32 v34, v45, v39
	v_fmac_f32_e32 v34, v49, v40
	;; [unrolled: 1-line block ×3, first 2 shown]
	s_waitcnt vmcnt(2)
	v_lshrrev_b32_e32 v51, 16, v29
	s_waitcnt lgkmcnt(0)
	v_lshrrev_b32_e32 v18, 16, v54
	v_and_b32_e32 v20, 0xffff, v54
	;;#ASMSTART
	v_cvt_f32_f16 v20, v20;
	;;#ASMEND
	;;#ASMSTART
	v_cvt_f32_f16 v18, v18;
	;;#ASMEND
	;; [unrolled: 3-line block ×4, first 2 shown]
	ds_read_b32 v32, v12 offset:32
	v_and_b32_e32 v29, 0xffff, v29
	v_fmac_f32_e32 v34, v53, v43
	v_fmac_f32_e32 v21, v37, v26
	;; [unrolled: 1-line block ×3, first 2 shown]
	s_waitcnt lgkmcnt(0)
	v_lshrrev_b32_e32 v23, 16, v32
	v_and_b32_e32 v24, 0xffff, v32
	;;#ASMSTART
	v_cvt_f32_f16 v24, v24;
	;;#ASMEND
	;;#ASMSTART
	v_cvt_f32_f16 v23, v23;
	;;#ASMEND
	;; [unrolled: 3-line block ×4, first 2 shown]
	ds_read_b32 v33, v12 offset:36
	v_fmac_f32_e32 v21, v20, v22
	v_fmac_f32_e32 v34, v18, v27
	s_waitcnt vmcnt(1)
	v_lshrrev_b32_e32 v52, 16, v30
	v_and_b32_e32 v30, 0xffff, v30
	s_waitcnt lgkmcnt(0)
	v_lshrrev_b32_e32 v25, 16, v33
	v_and_b32_e32 v26, 0xffff, v33
	;;#ASMSTART
	v_cvt_f32_f16 v26, v26;
	;;#ASMEND
	;;#ASMSTART
	v_cvt_f32_f16 v25, v25;
	;;#ASMEND
	;; [unrolled: 3-line block ×4, first 2 shown]
	ds_read_b32 v35, v12 offset:40
	v_fmac_f32_e32 v21, v24, v28
	v_fmac_f32_e32 v34, v23, v32
	;; [unrolled: 1-line block ×4, first 2 shown]
	s_waitcnt lgkmcnt(0)
	v_lshrrev_b32_e32 v18, 16, v35
	v_and_b32_e32 v20, 0xffff, v35
	;;#ASMSTART
	v_cvt_f32_f16 v20, v20;
	;;#ASMEND
	;;#ASMSTART
	v_cvt_f32_f16 v18, v18;
	;;#ASMEND
	;;#ASMSTART
	v_cvt_f32_f16 v22, v30;
	;;#ASMEND
	;;#ASMSTART
	v_cvt_f32_f16 v23, v52;
	;;#ASMEND
	ds_read_b32 v24, v12 offset:44
	v_fmac_f32_e32 v21, v20, v22
	v_fmac_f32_e32 v34, v18, v23
	s_waitcnt vmcnt(0)
	v_lshrrev_b32_e32 v55, 16, v31
	v_and_b32_e32 v31, 0xffff, v31
	s_waitcnt lgkmcnt(0)
	v_lshrrev_b32_e32 v18, 16, v24
	v_and_b32_e32 v20, 0xffff, v24
	;;#ASMSTART
	v_cvt_f32_f16 v20, v20;
	;;#ASMEND
	;;#ASMSTART
	v_cvt_f32_f16 v18, v18;
	;;#ASMEND
	;; [unrolled: 3-line block ×4, first 2 shown]
	v_fmac_f32_e32 v21, v20, v22
	v_fmac_f32_e32 v34, v18, v23
	v_add_f32_e32 v18, v21, v34
	ds_bpermute_b32 v19, v19, v18
	v_cndmask_b32_e64 v20, v5, v16, s[4:5]
	s_waitcnt lgkmcnt(0)
	v_add_f32_e32 v18, v18, v19
	v_lshlrev_b32_e32 v19, 2, v20
	ds_bpermute_b32 v19, v19, v18
	s_and_saveexec_b64 s[38:39], vcc
	s_cbranch_execz .LBB102_9
; %bb.11:                               ;   in Loop: Header=BB102_10 Depth=1
	v_add_u32_e32 v20, s15, v13
	v_cvt_f32_i32_e32 v20, v20
	s_waitcnt lgkmcnt(0)
	v_add_f32_e32 v18, v18, v19
	v_cmp_gt_i32_e64 s[4:5], s25, v13
	v_max_f32_e32 v19, v9, v9
	v_mul_f32_e32 v20, s40, v20
	v_cndmask_b32_e64 v20, 0, v20, s[2:3]
	v_fmac_f32_e32 v20, s11, v18
	v_cndmask_b32_e64 v18, 0, v20, s[4:5]
	ds_write_b32 v14, v18
	v_max_f32_e32 v18, v19, v20
	v_cndmask_b32_e64 v9, v9, v18, s[4:5]
	s_branch .LBB102_9
.LBB102_12:
	s_or_b64 exec, exec, s[36:37]
.LBB102_13:
	s_or_b64 exec, exec, s[34:35]
	v_xor_b32_e32 v2, 32, v5
	v_cmp_lt_i32_e32 vcc, v2, v8
	v_cndmask_b32_e32 v2, v5, v2, vcc
	v_lshlrev_b32_e32 v2, 2, v2
	ds_bpermute_b32 v3, v2, v9
	v_xor_b32_e32 v10, 16, v5
	v_max_f32_e32 v9, v9, v9
	v_cmp_lt_i32_e32 vcc, v10, v8
	v_xor_b32_e32 v11, 8, v5
	s_waitcnt lgkmcnt(0)
	v_max_f32_e32 v3, v3, v3
	v_max_f32_e32 v9, v9, v3
	v_cndmask_b32_e32 v3, v5, v10, vcc
	v_lshlrev_b32_e32 v3, 2, v3
	ds_bpermute_b32 v10, v3, v9
	v_cmp_lt_i32_e32 vcc, v11, v8
	v_and_b32_e32 v14, 63, v0
	s_waitcnt lgkmcnt(0)
	v_max_f32_e32 v10, v10, v10
	v_max_f32_e32 v9, v9, v10
	v_cndmask_b32_e32 v10, v5, v11, vcc
	v_lshlrev_b32_e32 v12, 2, v10
	ds_bpermute_b32 v10, v12, v9
	v_xor_b32_e32 v11, 4, v5
	v_cmp_lt_i32_e32 vcc, v11, v8
	s_waitcnt lgkmcnt(0)
	v_max_f32_e32 v10, v10, v10
	v_max_f32_e32 v9, v9, v10
	v_cndmask_b32_e32 v10, v5, v11, vcc
	v_lshlrev_b32_e32 v13, 2, v10
	ds_bpermute_b32 v11, v13, v9
	v_cmp_eq_u32_e32 vcc, 0, v14
	v_lshlrev_b32_e32 v10, 2, v1
	s_and_saveexec_b64 s[2:3], vcc
	s_cbranch_execz .LBB102_15
; %bb.14:
	s_waitcnt lgkmcnt(0)
	v_max_f32_e32 v11, v11, v11
	v_max_f32_e32 v9, v9, v9
	v_max_f32_e32 v9, v9, v11
	ds_write_b32 v10, v9 offset:192
.LBB102_15:
	s_or_b64 exec, exec, s[2:3]
	v_cmp_gt_u32_e64 s[2:3], 2, v14
	v_mov_b32_e32 v9, 0xff7fffff
	s_waitcnt lgkmcnt(0)
	v_lshlrev_b32_e32 v11, 2, v14
	s_barrier
	s_and_saveexec_b64 s[4:5], s[2:3]
	s_cbranch_execz .LBB102_17
; %bb.16:
	ds_read_b32 v9, v11 offset:192
.LBB102_17:
	s_or_b64 exec, exec, s[4:5]
	v_xor_b32_e32 v15, 1, v5
	v_cmp_lt_i32_e64 s[4:5], v15, v8
	v_cndmask_b32_e64 v15, v5, v15, s[4:5]
	v_lshlrev_b32_e32 v15, 2, v15
	s_waitcnt lgkmcnt(0)
	ds_bpermute_b32 v16, v15, v9
	v_max_f32_e32 v9, v9, v9
	s_sub_i32 s4, s21, s10
	s_lshl_b32 s4, s4, 4
	s_add_i32 s4, s4, s33
	s_waitcnt lgkmcnt(0)
	v_max_f32_e32 v16, v16, v16
	v_max_f32_e32 v9, v9, v16
	v_lshlrev_b32_e32 v16, 2, v5
	v_and_b32_e32 v16, 0xffffff00, v16
	ds_bpermute_b32 v9, v16, v9
	s_min_i32 s38, s4, s25
	s_sub_i32 s15, s38, s33
	v_cmp_gt_i32_e64 s[4:5], s15, v0
	v_mov_b32_e32 v17, 0
	s_and_saveexec_b64 s[34:35], s[4:5]
	s_cbranch_execz .LBB102_21
; %bb.18:
	v_mov_b32_e32 v17, 0xd0
	v_lshl_add_u32 v18, v0, 2, v17
	s_mov_b64 s[36:37], 0
	v_mov_b32_e32 v17, 0
	v_mov_b32_e32 v19, v0
.LBB102_19:                             ; =>This Inner Loop Header: Depth=1
	ds_read_b32 v20, v18
	v_add_u32_e32 v19, 0x80, v19
	v_cmp_le_i32_e64 s[10:11], s15, v19
	s_or_b64 s[36:37], s[10:11], s[36:37]
	s_waitcnt lgkmcnt(0)
	v_sub_f32_e32 v20, v20, v9
	v_mul_f32_e32 v20, 0x3fb8aa3b, v20
	v_exp_f32_e32 v20, v20
	ds_write_b32 v18, v20
	v_add_f32_e32 v17, v17, v20
	v_add_u32_e32 v18, 0x200, v18
	s_andn2_b64 exec, exec, s[36:37]
	s_cbranch_execnz .LBB102_19
; %bb.20:
	s_or_b64 exec, exec, s[36:37]
.LBB102_21:
	s_or_b64 exec, exec, s[34:35]
	ds_bpermute_b32 v2, v2, v17
	s_waitcnt lgkmcnt(0)
	v_add_f32_e32 v2, v17, v2
	ds_bpermute_b32 v3, v3, v2
	s_waitcnt lgkmcnt(0)
	v_add_f32_e32 v2, v2, v3
	ds_bpermute_b32 v3, v12, v2
	v_xor_b32_e32 v12, 2, v5
	v_cmp_lt_i32_e64 s[10:11], v12, v8
	v_cndmask_b32_e64 v5, v5, v12, s[10:11]
	s_waitcnt lgkmcnt(0)
	v_add_f32_e32 v2, v2, v3
	ds_bpermute_b32 v3, v13, v2
	s_waitcnt lgkmcnt(0)
	v_add_f32_e32 v2, v2, v3
	v_lshlrev_b32_e32 v3, 2, v5
	ds_bpermute_b32 v3, v3, v2
	s_waitcnt lgkmcnt(0)
	v_add_f32_e32 v2, v2, v3
	ds_bpermute_b32 v3, v15, v2
	s_waitcnt lgkmcnt(0)
	v_add_f32_e32 v2, v2, v3
	s_and_saveexec_b64 s[10:11], vcc
	s_cbranch_execz .LBB102_23
; %bb.22:
	ds_write_b32 v10, v2 offset:200
.LBB102_23:
	s_or_b64 exec, exec, s[10:11]
	s_waitcnt lgkmcnt(0)
	s_barrier
	s_and_saveexec_b64 s[10:11], s[2:3]
	s_cbranch_execz .LBB102_25
; %bb.24:
	ds_read_b32 v2, v11 offset:200
.LBB102_25:
	s_or_b64 exec, exec, s[10:11]
	s_waitcnt lgkmcnt(0)
	ds_bpermute_b32 v3, v15, v2
	s_waitcnt lgkmcnt(0)
	v_add_f32_e32 v2, v2, v3
	ds_bpermute_b32 v5, v16, v2
	s_and_saveexec_b64 s[2:3], s[4:5]
	s_cbranch_execz .LBB102_38
; %bb.26:
	s_waitcnt lgkmcnt(0)
	v_add_f32_e32 v2, 0x358637bd, v5
	v_div_scale_f32 v3, s[4:5], v2, v2, 1.0
	v_rcp_f32_e32 v8, v3
	v_div_scale_f32 v10, vcc, 1.0, v2, 1.0
	s_movk_i32 s4, 0x7f
	v_fma_f32 v11, -v3, v8, 1.0
	v_fmac_f32_e32 v8, v11, v8
	v_mul_f32_e32 v11, v10, v8
	v_fma_f32 v12, -v3, v11, v10
	v_fmac_f32_e32 v11, v12, v8
	v_fma_f32 v3, -v3, v11, v10
	v_div_fmas_f32 v3, v3, v8, v11
	v_div_fixup_f32 v2, v3, v2, 1.0
	v_xad_u32 v3, v0, -1, s38
	v_subrev_u32_e32 v8, s33, v3
	v_cmp_lt_u32_e32 vcc, s4, v8
	s_mov_b64 s[10:11], -1
	v_mov_b32_e32 v3, v0
	s_and_saveexec_b64 s[4:5], vcc
	s_cbranch_execz .LBB102_35
; %bb.27:
	v_lshrrev_b32_e32 v8, 7, v8
	v_add_u32_e32 v11, -1, v8
	v_lshrrev_b32_e32 v10, 1, v11
	v_mov_b32_e32 v3, v2
	v_add_u32_e32 v10, 1, v10
	v_cmp_lt_u32_e32 vcc, 13, v11
	v_mov_b32_e32 v13, 0
	s_and_saveexec_b64 s[10:11], vcc
	s_cbranch_execz .LBB102_31
; %bb.28:
	v_mov_b32_e32 v12, 0xd0
	v_and_b32_e32 v11, -8, v10
	v_lshl_add_u32 v12, v0, 2, v12
	s_mov_b32 s36, 0
	s_mov_b64 s[34:35], 0
.LBB102_29:                             ; =>This Inner Loop Header: Depth=1
	ds_read2st64_b32 v[16:17], v12 offset1:2
	ds_read2st64_b32 v[18:19], v12 offset0:4 offset1:6
	ds_read2st64_b32 v[20:21], v12 offset0:8 offset1:10
	;; [unrolled: 1-line block ×3, first 2 shown]
	v_add_u32_e32 v11, -8, v11
	s_waitcnt lgkmcnt(3)
	v_pk_mul_f32 v[16:17], v[2:3], v[16:17]
	s_waitcnt lgkmcnt(2)
	v_pk_mul_f32 v[18:19], v[2:3], v[18:19]
	ds_write2st64_b32 v12, v16, v17 offset1:2
	ds_write2st64_b32 v12, v18, v19 offset0:4 offset1:6
	ds_read2st64_b32 v[18:19], v12 offset0:16 offset1:18
	s_waitcnt lgkmcnt(4)
	v_pk_mul_f32 v[16:17], v[2:3], v[20:21]
	ds_write2st64_b32 v12, v16, v17 offset0:8 offset1:10
	s_waitcnt lgkmcnt(4)
	v_pk_mul_f32 v[16:17], v[2:3], v[22:23]
	ds_write2st64_b32 v12, v16, v17 offset0:12 offset1:14
	ds_read2st64_b32 v[16:17], v12 offset0:20 offset1:22
	s_waitcnt lgkmcnt(3)
	v_pk_mul_f32 v[18:19], v[2:3], v[18:19]
	ds_read2st64_b32 v[20:21], v12 offset0:24 offset1:26
	ds_write2st64_b32 v12, v18, v19 offset0:16 offset1:18
	ds_read2st64_b32 v[18:19], v12 offset0:28 offset1:30
	s_waitcnt lgkmcnt(3)
	v_pk_mul_f32 v[16:17], v[2:3], v[16:17]
	ds_write2st64_b32 v12, v16, v17 offset0:20 offset1:22
	s_waitcnt lgkmcnt(3)
	v_pk_mul_f32 v[16:17], v[2:3], v[20:21]
	ds_write2st64_b32 v12, v16, v17 offset0:24 offset1:26
	s_waitcnt lgkmcnt(2)
	v_pk_mul_f32 v[16:17], v[2:3], v[18:19]
	s_add_i32 s36, s36, 16
	v_cmp_eq_u32_e32 vcc, 0, v11
	ds_write2st64_b32 v12, v16, v17 offset0:28 offset1:30
	v_add_u32_e32 v12, 0x2000, v12
	s_or_b64 s[34:35], vcc, s[34:35]
	v_mov_b32_e32 v13, s36
	s_andn2_b64 exec, exec, s[34:35]
	s_cbranch_execnz .LBB102_29
; %bb.30:
	s_or_b64 exec, exec, s[34:35]
.LBB102_31:
	s_or_b64 exec, exec, s[10:11]
	v_and_b32_e32 v10, 7, v10
	v_cmp_ne_u32_e32 vcc, 0, v10
	s_and_saveexec_b64 s[10:11], vcc
	s_cbranch_execz .LBB102_34
; %bb.32:
	v_lshlrev_b32_e32 v11, 9, v13
	v_lshlrev_b32_e32 v12, 2, v0
	s_movk_i32 s34, 0xd0
	v_add3_u32 v11, v11, v12, s34
	s_mov_b64 s[34:35], 0
.LBB102_33:                             ; =>This Inner Loop Header: Depth=1
	ds_read2st64_b32 v[12:13], v11 offset1:2
	v_add_u32_e32 v10, -1, v10
	v_cmp_eq_u32_e32 vcc, 0, v10
	s_or_b64 s[34:35], vcc, s[34:35]
	s_waitcnt lgkmcnt(0)
	v_pk_mul_f32 v[12:13], v[2:3], v[12:13]
	ds_write2st64_b32 v11, v12, v13 offset1:2
	v_add_u32_e32 v11, 0x400, v11
	s_andn2_b64 exec, exec, s[34:35]
	s_cbranch_execnz .LBB102_33
.LBB102_34:
	s_or_b64 exec, exec, s[10:11]
	v_add_u32_e32 v8, 1, v8
	v_and_b32_e32 v10, 0x3fffffe, v8
	v_cmp_ne_u32_e32 vcc, v8, v10
	v_lshl_add_u32 v3, v10, 7, v0
	s_orn2_b64 s[10:11], vcc, exec
.LBB102_35:
	s_or_b64 exec, exec, s[4:5]
	s_and_b64 exec, exec, s[10:11]
	s_cbranch_execz .LBB102_38
; %bb.36:
	v_mov_b32_e32 v8, 0xd0
	v_lshl_add_u32 v8, v3, 2, v8
	s_mov_b64 s[4:5], 0
.LBB102_37:                             ; =>This Inner Loop Header: Depth=1
	ds_read_b32 v10, v8
	v_add_u32_e32 v3, 0x80, v3
	v_cmp_le_i32_e32 vcc, s15, v3
	s_or_b64 s[4:5], vcc, s[4:5]
	s_waitcnt lgkmcnt(0)
	v_mul_f32_e32 v10, v2, v10
	ds_write_b32 v8, v10
	v_add_u32_e32 v8, 0x200, v8
	s_andn2_b64 exec, exec, s[4:5]
	s_cbranch_execnz .LBB102_37
.LBB102_38:
	s_or_b64 exec, exec, s[2:3]
	s_mul_i32 s2, s12, s24
	v_cmp_eq_u32_e32 vcc, 0, v0
	s_mul_i32 s2, s2, s9
	s_waitcnt lgkmcnt(0)
	s_barrier
	s_and_saveexec_b64 s[4:5], vcc
	s_cbranch_execz .LBB102_40
; %bb.39:
	s_ashr_i32 s3, s2, 31
	s_lshl_b64 s[10:11], s[2:3], 2
	s_add_u32 s3, s18, s10
	s_mul_i32 s18, s12, s6
	s_addc_u32 s9, s19, s11
	s_ashr_i32 s19, s18, 31
	s_lshl_b64 s[18:19], s[18:19], 2
	s_add_u32 s3, s3, s18
	s_addc_u32 s6, s9, s19
	s_ashr_i32 s9, s8, 31
	s_lshl_b64 s[34:35], s[8:9], 2
	s_add_u32 s36, s3, s34
	s_addc_u32 s37, s6, s35
	s_add_u32 s3, s16, s10
	s_addc_u32 s6, s17, s11
	;; [unrolled: 2-line block ×3, first 2 shown]
	s_add_u32 s10, s3, s34
	v_mov_b32_e32 v2, 0
	s_addc_u32 s11, s6, s35
	global_store_dword v2, v9, s[36:37]
	global_store_dword v2, v5, s[10:11]
.LBB102_40:
	s_or_b64 exec, exec, s[4:5]
	v_mov_b32_e32 v17, 0
	v_and_b32_e32 v16, 1, v0
	v_mov_b32_e32 v9, 0
	v_mov_b32_e32 v8, 0
	s_and_saveexec_b64 s[4:5], s[0:1]
	s_cbranch_execz .LBB102_50
; %bb.41:
	s_ashr_i32 s15, s14, 31
	s_lshl_b64 s[0:1], s[14:15], 1
	s_add_u32 s0, s30, s0
	v_lshlrev_b32_e32 v3, 4, v0
	v_lshlrev_b32_e32 v2, 3, v0
	s_addc_u32 s1, s31, s1
	v_and_b32_e32 v3, 0x3f0, v3
	v_and_b32_e32 v2, 8, v2
	s_add_i32 s9, s7, -1
	v_mov_b32_e32 v5, s1
	v_add_co_u32_e32 v18, vcc, s0, v3
	s_lshl_b64 s[0:1], s[28:29], 2
	v_add3_u32 v20, s33, v4, v2
	v_lshlrev_b32_e32 v2, 5, v16
	s_add_u32 s0, s26, s0
	v_addc_co_u32_e32 v19, vcc, 0, v5, vcc
	v_lshl_or_b32 v1, v1, 6, v2
	v_lshlrev_b64 v[2:3], 2, v[6:7]
	s_addc_u32 s1, s27, s1
	v_mov_b32_e32 v4, s1
	v_add_co_u32_e32 v10, vcc, s0, v2
	v_mov_b32_e32 v8, 0
	s_mov_b32 s3, s13
	s_mov_b32 s13, s25
	;; [unrolled: 1-line block ×8, first 2 shown]
	v_add_u32_e32 v1, 0xd0, v1
	v_addc_co_u32_e32 v11, vcc, v4, v3, vcc
	s_mov_b64 s[6:7], 0
	s_mov_b32 s24, 0x5040100
	v_mov_b32_e32 v9, v8
	v_mov_b32_e32 v17, v8
	s_branch .LBB102_43
.LBB102_42:                             ;   in Loop: Header=BB102_43 Depth=1
	s_or_b64 exec, exec, s[0:1]
	s_waitcnt vmcnt(0)
	;;#ASMSTART
	v_pk_mul_f16 v2, v30, v2;

	;;#ASMEND
	;;#ASMSTART
	v_pk_mul_f16 v3, v29, v3;

	;;#ASMEND
	;; [unrolled: 4-line block ×4, first 2 shown]
	;;#ASMSTART
	v_pk_add_f16 v2, v2, v3;

	;;#ASMEND
	;;#ASMSTART
	v_pk_add_f16 v2, v2, v4;

	;;#ASMEND
	;; [unrolled: 4-line block ×3, first 2 shown]
	v_lshrrev_b32_e32 v3, 16, v2
	v_and_b32_e32 v2, 0xffff, v2
	v_add_u32_e32 v6, 2, v6
	v_add_f32_e32 v7, v31, v32
	;;#ASMSTART
	v_cvt_f32_f16 v2, v2;
	;;#ASMEND
	v_cmp_le_i32_e32 vcc, s21, v6
	v_add_f32_e32 v8, v8, v7
	v_add_f32_e32 v7, v33, v34
	;;#ASMSTART
	v_cvt_f32_f16 v3, v3;
	;;#ASMEND
	v_add_f32_e32 v2, v2, v3
	s_or_b64 s[6:7], vcc, s[6:7]
	v_add_co_u32_e32 v10, vcc, 8, v10
	v_add_f32_e32 v9, v9, v7
	v_add_f32_e32 v17, v17, v2
	v_add_u32_e32 v20, 32, v20
	v_add_u32_e32 v1, 0x80, v1
	v_addc_co_u32_e32 v11, vcc, 0, v11, vcc
	s_andn2_b64 exec, exec, s[6:7]
	s_cbranch_execz .LBB102_49
.LBB102_43:                             ; =>This Inner Loop Header: Depth=1
	global_load_dword v7, v[10:11], off
	ds_read2_b64 v[2:5], v1 offset1:1
	ds_read2_b64 v[22:25], v1 offset0:2 offset1:3
	v_or_b32_e32 v21, 2, v20
	v_or_b32_e32 v26, 7, v20
	s_waitcnt lgkmcnt(1)
	;;#ASMSTART
	v_cvt_f16_f32 v27, v2;

	;;#ASMEND
	;;#ASMSTART
	v_cvt_f16_f32 v28, v3;

	;;#ASMEND
	;; [unrolled: 4-line block ×4, first 2 shown]
	s_waitcnt lgkmcnt(0)
	;;#ASMSTART
	v_cvt_f16_f32 v32, v22;

	;;#ASMEND
	;;#ASMSTART
	v_cvt_f16_f32 v33, v23;

	;;#ASMEND
	;;#ASMSTART
	v_cvt_f16_f32 v34, v24;

	;;#ASMEND
	;;#ASMSTART
	v_cvt_f16_f32 v35, v25;

	;;#ASMEND
	v_or_b32_e32 v22, 3, v20
	v_or_b32_e32 v24, 5, v20
	;; [unrolled: 1-line block ×4, first 2 shown]
	s_waitcnt vmcnt(0)
	v_mad_i64_i32 v[2:3], s[0:1], v7, s3, 0
	v_lshlrev_b64 v[2:3], 1, v[2:3]
	v_add_co_u32_e32 v12, vcc, v18, v2
	v_addc_co_u32_e32 v13, vcc, v19, v3, vcc
	global_load_dwordx4 v[2:5], v[12:13], off
	v_cmp_eq_u32_e32 vcc, s9, v6
	v_add_u32_e32 v7, 1, v20
	s_and_saveexec_b64 s[10:11], vcc
	s_cbranch_execz .LBB102_45
; %bb.44:                               ;   in Loop: Header=BB102_43 Depth=1
	s_waitcnt vmcnt(0)
	v_lshrrev_b32_e32 v30, 16, v5
	v_cmp_gt_i32_e64 s[0:1], s19, v26
	v_cndmask_b32_e64 v30, 0, v30, s[0:1]
	v_cmp_gt_i32_e64 s[0:1], s18, v25
	v_cndmask_b32_e64 v5, 0, v5, s[0:1]
	v_perm_b32 v5, v30, v5, s24
	v_lshrrev_b32_e32 v30, 16, v4
	v_cmp_gt_i32_e64 s[0:1], s17, v24
	v_cndmask_b32_e64 v30, 0, v30, s[0:1]
	v_cmp_gt_i32_e64 s[0:1], s16, v23
	v_cndmask_b32_e64 v4, 0, v4, s[0:1]
	v_perm_b32 v4, v30, v4, s24
	;; [unrolled: 6-line block ×4, first 2 shown]
.LBB102_45:                             ;   in Loop: Header=BB102_43 Depth=1
	s_or_b64 exec, exec, s[10:11]
	v_and_b32_e32 v27, 0xffff, v27
	v_lshl_or_b32 v30, v28, 16, v27
	v_and_b32_e32 v27, 0xffff, v29
	v_lshl_or_b32 v29, v31, 16, v27
	;; [unrolled: 2-line block ×3, first 2 shown]
	v_and_b32_e32 v27, 0xffff, v34
	s_waitcnt vmcnt(0)
	;;#ASMSTART
	v_pk_mul_f16 v2, v30, v2;

	;;#ASMEND
	v_lshl_or_b32 v27, v35, 16, v27
	;;#ASMSTART
	v_pk_mul_f16 v3, v29, v3;

	;;#ASMEND
	;;#ASMSTART
	v_pk_mul_f16 v4, v28, v4;

	;;#ASMEND
	;; [unrolled: 4-line block ×3, first 2 shown]
	;;#ASMSTART
	v_pk_add_f16 v2, v2, v3;

	;;#ASMEND
	;;#ASMSTART
	v_pk_add_f16 v2, v2, v4;

	;;#ASMEND
	;; [unrolled: 4-line block ×3, first 2 shown]
	v_lshrrev_b32_e32 v3, 16, v2
	v_and_b32_e32 v2, 0xffff, v2
	;;#ASMSTART
	v_cvt_f32_f16 v31, v2;
	;;#ASMEND
	;;#ASMSTART
	v_cvt_f32_f16 v32, v3;
	;;#ASMEND
	global_load_dwordx4 v[2:5], v[12:13], off offset:1024
	s_and_saveexec_b64 s[10:11], vcc
	s_cbranch_execz .LBB102_47
; %bb.46:                               ;   in Loop: Header=BB102_43 Depth=1
	s_waitcnt vmcnt(0)
	v_lshrrev_b32_e32 v33, 16, v5
	v_cmp_gt_i32_e64 s[0:1], s19, v26
	v_cndmask_b32_e64 v33, 0, v33, s[0:1]
	v_cmp_gt_i32_e64 s[0:1], s18, v25
	v_cndmask_b32_e64 v5, 0, v5, s[0:1]
	v_perm_b32 v5, v33, v5, s24
	v_lshrrev_b32_e32 v33, 16, v4
	v_cmp_gt_i32_e64 s[0:1], s17, v24
	v_cndmask_b32_e64 v33, 0, v33, s[0:1]
	v_cmp_gt_i32_e64 s[0:1], s16, v23
	v_cndmask_b32_e64 v4, 0, v4, s[0:1]
	v_perm_b32 v4, v33, v4, s24
	;; [unrolled: 6-line block ×4, first 2 shown]
.LBB102_47:                             ;   in Loop: Header=BB102_43 Depth=1
	s_or_b64 exec, exec, s[10:11]
	s_waitcnt vmcnt(0)
	;;#ASMSTART
	v_pk_mul_f16 v2, v30, v2;

	;;#ASMEND
	;;#ASMSTART
	v_pk_mul_f16 v3, v29, v3;

	;;#ASMEND
	;; [unrolled: 4-line block ×4, first 2 shown]
	;;#ASMSTART
	v_pk_add_f16 v2, v2, v3;

	;;#ASMEND
	;;#ASMSTART
	v_pk_add_f16 v2, v2, v4;

	;;#ASMEND
	;; [unrolled: 4-line block ×3, first 2 shown]
	v_lshrrev_b32_e32 v3, 16, v2
	v_and_b32_e32 v2, 0xffff, v2
	;;#ASMSTART
	v_cvt_f32_f16 v33, v2;
	;;#ASMEND
	;;#ASMSTART
	v_cvt_f32_f16 v34, v3;
	;;#ASMEND
	global_load_dwordx4 v[2:5], v[12:13], off offset:2048
	s_and_saveexec_b64 s[0:1], vcc
	s_cbranch_execz .LBB102_42
; %bb.48:                               ;   in Loop: Header=BB102_43 Depth=1
	s_waitcnt vmcnt(0)
	v_lshrrev_b32_e32 v12, 16, v5
	v_cmp_gt_i32_e32 vcc, s19, v26
	v_cndmask_b32_e32 v12, 0, v12, vcc
	v_cmp_gt_i32_e32 vcc, s18, v25
	v_cndmask_b32_e32 v5, 0, v5, vcc
	v_perm_b32 v5, v12, v5, s24
	v_lshrrev_b32_e32 v12, 16, v4
	v_cmp_gt_i32_e32 vcc, s17, v24
	v_cndmask_b32_e32 v12, 0, v12, vcc
	v_cmp_gt_i32_e32 vcc, s16, v23
	v_cndmask_b32_e32 v4, 0, v4, vcc
	v_perm_b32 v4, v12, v4, s24
	;; [unrolled: 6-line block ×4, first 2 shown]
	s_branch .LBB102_42
.LBB102_49:
	s_or_b64 exec, exec, s[6:7]
.LBB102_50:
	s_or_b64 exec, exec, s[4:5]
	ds_bpermute_b32 v2, v15, v8
	ds_bpermute_b32 v3, v15, v9
	;; [unrolled: 1-line block ×3, first 2 shown]
	v_and_b32_e32 v4, 0x3c1, v0
	v_cmp_eq_u32_e32 vcc, 64, v4
	s_waitcnt lgkmcnt(0)
	v_pk_add_f32 v[2:3], v[8:9], v[2:3]
	v_add_f32_e32 v1, v17, v1
	s_barrier
	s_and_saveexec_b64 s[0:1], vcc
	s_cbranch_execz .LBB102_52
; %bb.51:
	v_mov_b32_e32 v5, 0xd0
	v_lshl_add_u32 v5, v14, 1, v5
	ds_write2_b32 v5, v2, v3 offset1:32
	ds_write_b32 v5, v1 offset:256
.LBB102_52:
	s_or_b64 exec, exec, s[0:1]
	v_cmp_gt_u32_e32 vcc, 64, v0
	s_waitcnt lgkmcnt(0)
	s_barrier
	s_and_saveexec_b64 s[0:1], vcc
	s_cbranch_execz .LBB102_58
; %bb.53:
	v_cmp_eq_u32_e32 vcc, 0, v16
	v_lshrrev_b32_e32 v5, 1, v0
	s_and_saveexec_b64 s[4:5], vcc
	s_cbranch_execnz .LBB102_61
; %bb.54:
	s_or_b64 exec, exec, s[4:5]
	s_and_saveexec_b64 s[4:5], vcc
	s_cbranch_execnz .LBB102_62
.LBB102_55:
	s_or_b64 exec, exec, s[4:5]
	s_and_saveexec_b64 s[4:5], vcc
	s_cbranch_execz .LBB102_57
.LBB102_56:
	v_mov_b32_e32 v6, 0xd0
	v_lshl_add_u32 v5, v5, 2, v6
	ds_read_b32 v5, v5 offset:256
	s_waitcnt lgkmcnt(0)
	v_add_f32_e32 v1, v1, v5
.LBB102_57:
	s_or_b64 exec, exec, s[4:5]
.LBB102_58:
	s_or_b64 exec, exec, s[0:1]
	v_cmp_eq_u32_e32 vcc, 0, v4
	s_barrier
	s_and_saveexec_b64 s[0:1], vcc
	s_cbranch_execz .LBB102_60
; %bb.59:
	s_mul_i32 s0, s2, 0x60
	s_ashr_i32 s1, s0, 31
	s_lshl_b64 s[0:1], s[0:1], 1
	s_add_u32 s2, s22, s0
	s_mul_i32 s0, s12, s20
	s_addc_u32 s3, s23, s1
	s_ashr_i32 s1, s0, 31
	s_lshl_b64 s[0:1], s[0:1], 1
	s_add_u32 s2, s2, s0
	s_mul_i32 s0, s8, 0x60
	s_addc_u32 s3, s3, s1
	s_ashr_i32 s1, s0, 31
	s_lshl_b64 s[0:1], s[0:1], 1
	s_add_u32 s0, s2, s0
	s_addc_u32 s1, s3, s1
	;;#ASMSTART
	v_cvt_f16_f32 v2, v2;

	;;#ASMEND
	global_store_short v0, v2, s[0:1]
	;;#ASMSTART
	v_cvt_f16_f32 v2, v3;

	;;#ASMEND
	global_store_short v0, v2, s[0:1] offset:64
	;;#ASMSTART
	v_cvt_f16_f32 v1, v1;

	;;#ASMEND
	global_store_short v0, v1, s[0:1] offset:128
.LBB102_60:
	s_endpgm
.LBB102_61:
	v_mov_b32_e32 v6, 0xd0
	v_lshl_add_u32 v6, v5, 2, v6
	ds_read_b32 v6, v6
	s_waitcnt lgkmcnt(0)
	v_add_f32_e32 v2, v2, v6
	s_or_b64 exec, exec, s[4:5]
	s_and_saveexec_b64 s[4:5], vcc
	s_cbranch_execz .LBB102_55
.LBB102_62:
	v_mov_b32_e32 v6, 0xd0
	v_lshl_add_u32 v6, v5, 2, v6
	ds_read_b32 v6, v6 offset:128
	s_waitcnt lgkmcnt(0)
	v_add_f32_e32 v3, v3, v6
	s_or_b64 exec, exec, s[4:5]
	s_and_saveexec_b64 s[4:5], vcc
	s_cbranch_execnz .LBB102_56
	s_branch .LBB102_57
	.section	.rodata,"a",@progbits
	.p2align	6, 0x0
	.amdhsa_kernel _ZN4vllm25paged_attention_v2_kernelIttLi96ELi16ELi128ELNS_18Fp8KVCacheDataTypeE0ELb0ELi512EEEvPfS2_PT_PKS3_PKT0_S9_ifPKiSB_iPKfiiiSD_SD_iiiii
		.amdhsa_group_segment_fixed_size 208
		.amdhsa_private_segment_fixed_size 0
		.amdhsa_kernarg_size 400
		.amdhsa_user_sgpr_count 6
		.amdhsa_user_sgpr_private_segment_buffer 1
		.amdhsa_user_sgpr_dispatch_ptr 0
		.amdhsa_user_sgpr_queue_ptr 0
		.amdhsa_user_sgpr_kernarg_segment_ptr 1
		.amdhsa_user_sgpr_dispatch_id 0
		.amdhsa_user_sgpr_flat_scratch_init 0
		.amdhsa_user_sgpr_kernarg_preload_length 0
		.amdhsa_user_sgpr_kernarg_preload_offset 0
		.amdhsa_user_sgpr_private_segment_size 0
		.amdhsa_uses_dynamic_stack 0
		.amdhsa_system_sgpr_private_segment_wavefront_offset 0
		.amdhsa_system_sgpr_workgroup_id_x 1
		.amdhsa_system_sgpr_workgroup_id_y 1
		.amdhsa_system_sgpr_workgroup_id_z 1
		.amdhsa_system_sgpr_workgroup_info 0
		.amdhsa_system_vgpr_workitem_id 0
		.amdhsa_next_free_vgpr 56
		.amdhsa_next_free_sgpr 42
		.amdhsa_accum_offset 56
		.amdhsa_reserve_vcc 1
		.amdhsa_reserve_flat_scratch 0
		.amdhsa_float_round_mode_32 0
		.amdhsa_float_round_mode_16_64 0
		.amdhsa_float_denorm_mode_32 3
		.amdhsa_float_denorm_mode_16_64 3
		.amdhsa_dx10_clamp 1
		.amdhsa_ieee_mode 1
		.amdhsa_fp16_overflow 0
		.amdhsa_tg_split 0
		.amdhsa_exception_fp_ieee_invalid_op 0
		.amdhsa_exception_fp_denorm_src 0
		.amdhsa_exception_fp_ieee_div_zero 0
		.amdhsa_exception_fp_ieee_overflow 0
		.amdhsa_exception_fp_ieee_underflow 0
		.amdhsa_exception_fp_ieee_inexact 0
		.amdhsa_exception_int_div_zero 0
	.end_amdhsa_kernel
	.section	.text._ZN4vllm25paged_attention_v2_kernelIttLi96ELi16ELi128ELNS_18Fp8KVCacheDataTypeE0ELb0ELi512EEEvPfS2_PT_PKS3_PKT0_S9_ifPKiSB_iPKfiiiSD_SD_iiiii,"axG",@progbits,_ZN4vllm25paged_attention_v2_kernelIttLi96ELi16ELi128ELNS_18Fp8KVCacheDataTypeE0ELb0ELi512EEEvPfS2_PT_PKS3_PKT0_S9_ifPKiSB_iPKfiiiSD_SD_iiiii,comdat
.Lfunc_end102:
	.size	_ZN4vllm25paged_attention_v2_kernelIttLi96ELi16ELi128ELNS_18Fp8KVCacheDataTypeE0ELb0ELi512EEEvPfS2_PT_PKS3_PKT0_S9_ifPKiSB_iPKfiiiSD_SD_iiiii, .Lfunc_end102-_ZN4vllm25paged_attention_v2_kernelIttLi96ELi16ELi128ELNS_18Fp8KVCacheDataTypeE0ELb0ELi512EEEvPfS2_PT_PKS3_PKT0_S9_ifPKiSB_iPKfiiiSD_SD_iiiii
                                        ; -- End function
	.section	.AMDGPU.csdata,"",@progbits
; Kernel info:
; codeLenInByte = 5360
; NumSgprs: 46
; NumVgprs: 56
; NumAgprs: 0
; TotalNumVgprs: 56
; ScratchSize: 0
; MemoryBound: 0
; FloatMode: 240
; IeeeMode: 1
; LDSByteSize: 208 bytes/workgroup (compile time only)
; SGPRBlocks: 5
; VGPRBlocks: 6
; NumSGPRsForWavesPerEU: 46
; NumVGPRsForWavesPerEU: 56
; AccumOffset: 56
; Occupancy: 8
; WaveLimiterHint : 1
; COMPUTE_PGM_RSRC2:SCRATCH_EN: 0
; COMPUTE_PGM_RSRC2:USER_SGPR: 6
; COMPUTE_PGM_RSRC2:TRAP_HANDLER: 0
; COMPUTE_PGM_RSRC2:TGID_X_EN: 1
; COMPUTE_PGM_RSRC2:TGID_Y_EN: 1
; COMPUTE_PGM_RSRC2:TGID_Z_EN: 1
; COMPUTE_PGM_RSRC2:TIDIG_COMP_CNT: 0
; COMPUTE_PGM_RSRC3_GFX90A:ACCUM_OFFSET: 13
; COMPUTE_PGM_RSRC3_GFX90A:TG_SPLIT: 0
	.section	.text._ZN4vllm25paged_attention_v2_kernelIttLi112ELi16ELi128ELNS_18Fp8KVCacheDataTypeE0ELb0ELi512EEEvPfS2_PT_PKS3_PKT0_S9_ifPKiSB_iPKfiiiSD_SD_iiiii,"axG",@progbits,_ZN4vllm25paged_attention_v2_kernelIttLi112ELi16ELi128ELNS_18Fp8KVCacheDataTypeE0ELb0ELi512EEEvPfS2_PT_PKS3_PKT0_S9_ifPKiSB_iPKfiiiSD_SD_iiiii,comdat
	.protected	_ZN4vllm25paged_attention_v2_kernelIttLi112ELi16ELi128ELNS_18Fp8KVCacheDataTypeE0ELb0ELi512EEEvPfS2_PT_PKS3_PKT0_S9_ifPKiSB_iPKfiiiSD_SD_iiiii ; -- Begin function _ZN4vllm25paged_attention_v2_kernelIttLi112ELi16ELi128ELNS_18Fp8KVCacheDataTypeE0ELb0ELi512EEEvPfS2_PT_PKS3_PKT0_S9_ifPKiSB_iPKfiiiSD_SD_iiiii
	.globl	_ZN4vllm25paged_attention_v2_kernelIttLi112ELi16ELi128ELNS_18Fp8KVCacheDataTypeE0ELb0ELi512EEEvPfS2_PT_PKS3_PKT0_S9_ifPKiSB_iPKfiiiSD_SD_iiiii
	.p2align	8
	.type	_ZN4vllm25paged_attention_v2_kernelIttLi112ELi16ELi128ELNS_18Fp8KVCacheDataTypeE0ELb0ELi512EEEvPfS2_PT_PKS3_PKT0_S9_ifPKiSB_iPKfiiiSD_SD_iiiii,@function
_ZN4vllm25paged_attention_v2_kernelIttLi112ELi16ELi128ELNS_18Fp8KVCacheDataTypeE0ELb0ELi512EEEvPfS2_PT_PKS3_PKT0_S9_ifPKiSB_iPKfiiiSD_SD_iiiii: ; @_ZN4vllm25paged_attention_v2_kernelIttLi112ELi16ELi128ELNS_18Fp8KVCacheDataTypeE0ELb0ELi512EEEvPfS2_PT_PKS3_PKT0_S9_ifPKiSB_iPKfiiiSD_SD_iiiii
; %bb.0:
	s_load_dwordx2 s[0:1], s[4:5], 0x40
	s_mov_b32 s24, s7
	s_ashr_i32 s25, s7, 31
	s_lshl_b64 s[2:3], s[24:25], 2
	s_waitcnt lgkmcnt(0)
	s_add_u32 s0, s0, s2
	s_addc_u32 s1, s1, s3
	s_load_dword s25, s[0:1], 0x0
	s_lshl_b32 s40, s8, 9
	s_waitcnt lgkmcnt(0)
	s_cmp_ge_i32 s40, s25
	s_cbranch_scc1 .LBB103_72
; %bb.1:
	s_load_dword s9, s[4:5], 0x90
	s_load_dwordx2 s[10:11], s[4:5], 0x30
	s_waitcnt lgkmcnt(0)
	s_abs_i32 s2, s9
	s_abs_i32 s0, s10
	v_cvt_f32_u32_e32 v1, s0
	s_sub_i32 s3, 0, s0
	s_xor_b32 s1, s9, s10
	s_ashr_i32 s1, s1, 31
	v_rcp_iflag_f32_e32 v1, v1
	v_mul_f32_e32 v1, 0x4f7ffffe, v1
	v_cvt_u32_f32_e32 v1, v1
	v_readfirstlane_b32 s7, v1
	s_mul_i32 s3, s3, s7
	s_mul_hi_u32 s3, s7, s3
	s_add_i32 s7, s7, s3
	s_mul_hi_u32 s3, s2, s7
	s_mul_i32 s7, s3, s0
	s_sub_i32 s2, s2, s7
	s_add_i32 s10, s3, 1
	s_sub_i32 s7, s2, s0
	s_cmp_ge_u32 s2, s0
	s_cselect_b32 s3, s10, s3
	s_cselect_b32 s2, s7, s2
	s_add_i32 s7, s3, 1
	s_cmp_ge_u32 s2, s0
	s_cselect_b32 s0, s7, s3
	s_xor_b32 s0, s0, s1
	s_sub_i32 s18, s0, s1
	s_abs_i32 s2, s18
	v_cvt_f32_u32_e32 v1, s2
	s_load_dwordx2 s[0:1], s[4:5], 0x50
	s_sub_i32 s7, 0, s2
	s_abs_i32 s3, s6
	v_rcp_iflag_f32_e32 v1, v1
	s_mov_b32 s10, 0
	v_mul_f32_e32 v1, 0x4f7ffffe, v1
	v_cvt_u32_f32_e32 v1, v1
	v_readfirstlane_b32 s12, v1
	s_mul_i32 s7, s7, s12
	s_mul_hi_u32 s7, s12, s7
	s_add_i32 s12, s12, s7
	s_waitcnt lgkmcnt(0)
	s_cmp_eq_u64 s[0:1], 0
	s_mul_hi_u32 s16, s3, s12
	s_cbranch_scc1 .LBB103_3
; %bb.2:
	s_ashr_i32 s7, s6, 31
	s_lshl_b64 s[12:13], s[6:7], 2
	s_add_u32 s0, s0, s12
	s_addc_u32 s1, s1, s13
	s_load_dword s10, s[0:1], 0x0
.LBB103_3:
	s_load_dwordx4 s[12:15], s[4:5], 0x58
	s_ashr_i32 s17, s6, 31
	s_waitcnt lgkmcnt(0)
	s_ashr_i32 s15, s18, 31
	v_and_b32_e32 v2, 3, v0
	s_mul_i32 s20, s6, 0x70
	v_cmp_gt_u32_e32 vcc, 56, v0
	s_and_saveexec_b64 s[0:1], vcc
	s_cbranch_execz .LBB103_5
; %bb.4:
	s_load_dwordx2 s[18:19], s[4:5], 0x18
	s_mul_i32 s22, s24, s12
	s_ashr_i32 s23, s22, 31
	s_lshl_b64 s[22:23], s[22:23], 1
	v_lshlrev_b32_e32 v1, 2, v0
	s_waitcnt lgkmcnt(0)
	s_add_u32 s7, s18, s22
	s_addc_u32 s12, s19, s23
	s_ashr_i32 s21, s20, 31
	s_lshl_b64 s[18:19], s[20:21], 1
	s_add_u32 s18, s7, s18
	s_addc_u32 s19, s12, s19
	global_load_dword v1, v1, s[18:19]
	v_and_b32_e32 v3, 0x3fc, v0
	v_mad_u32_u24 v3, v2, 56, v3
	s_waitcnt vmcnt(0)
	ds_write_b32 v3, v1
.LBB103_5:
	s_or_b64 exec, exec, s[0:1]
	s_add_i32 s0, s25, 15
	s_ashr_i32 s1, s0, 31
	s_lshr_b32 s1, s1, 28
	s_add_i32 s0, s0, s1
	s_lshl_b32 s7, s8, 5
	s_mul_i32 s1, s16, s2
	s_ashr_i32 s12, s0, 4
	s_add_i32 s0, s7, 32
	s_sub_i32 s1, s3, s1
	s_min_i32 s33, s0, s12
	s_xor_b32 s0, s17, s15
	s_add_i32 s3, s16, 1
	s_sub_i32 s15, s1, s2
	s_cmp_ge_u32 s1, s2
	s_cselect_b32 s3, s3, s16
	s_cselect_b32 s1, s15, s1
	s_add_i32 s15, s3, 1
	s_cmp_ge_u32 s1, s2
	s_load_dwordx2 s[26:27], s[4:5], 0x38
	s_load_dword s2, s[4:5], 0x48
	v_lshrrev_b32_e32 v1, 6, v0
	s_cselect_b32 s1, s15, s3
	s_xor_b32 s1, s1, s0
	v_or_b32_e32 v6, s7, v1
	s_waitcnt lgkmcnt(0)
	s_mul_i32 s28, s24, s2
	s_sub_i32 s15, s1, s0
	s_ashr_i32 s29, s28, 31
	v_cmp_gt_i32_e64 s[0:1], s33, v6
	v_cmp_le_i32_e32 vcc, s33, v6
	v_mbcnt_lo_u32_b32 v15, -1, 0
	s_barrier
	s_waitcnt lgkmcnt(0)
                                        ; implicit-def: $sgpr36
                                        ; implicit-def: $vgpr5
                                        ; implicit-def: $vgpr8
	s_and_saveexec_b64 s[2:3], vcc
	s_xor_b64 s[2:3], exec, s[2:3]
; %bb.6:
	v_mbcnt_hi_u32_b32 v5, -1, v15
	v_and_b32_e32 v2, 64, v5
	v_add_u32_e32 v8, 64, v2
	s_mov_b32 s36, 0xff7fffff
                                        ; implicit-def: $vgpr2
                                        ; implicit-def: $vgpr15
; %bb.7:
	s_or_saveexec_b64 s[34:35], s[2:3]
	s_load_dwordx4 s[16:19], s[4:5], 0x0
	s_load_dwordx2 s[22:23], s[4:5], 0x10
	s_load_dwordx2 s[30:31], s[4:5], 0x28
	s_load_dword s21, s[4:5], 0x98
	v_mov_b32_e32 v9, s36
	s_mul_i32 s14, s15, s14
	v_ashrrev_i32_e32 v7, 31, v6
	v_lshlrev_b32_e32 v4, 4, v1
	s_xor_b64 exec, exec, s[34:35]
	s_cbranch_execz .LBB103_13
; %bb.8:
	s_load_dwordx2 s[2:3], s[4:5], 0x20
	s_ashr_i32 s15, s14, 31
	s_lshl_b64 s[4:5], s[14:15], 1
	v_bfe_u32 v3, v0, 2, 4
	v_lshlrev_b32_e32 v5, 4, v3
	s_waitcnt lgkmcnt(0)
	s_add_u32 s2, s2, s4
	s_addc_u32 s3, s3, s5
	v_mov_b32_e32 v8, s3
	v_add_co_u32_e32 v5, vcc, s2, v5
	v_lshlrev_b32_e32 v9, 2, v0
	v_addc_co_u32_e32 v8, vcc, 0, v8, vcc
	v_and_b32_e32 v9, 12, v9
	v_add_co_u32_e32 v10, vcc, v5, v9
	v_addc_co_u32_e32 v11, vcc, 0, v8, vcc
	v_mul_u32_u24_e32 v12, 56, v2
	v_cmp_eq_u32_e32 vcc, 0, v2
	s_sub_i32 s15, 1, s25
	v_lshlrev_b32_e32 v2, 2, v3
	s_lshl_b64 s[4:5], s[28:29], 2
	v_lshl_or_b32 v2, v1, 6, v2
	s_add_u32 s4, s26, s4
	v_add3_u32 v13, s40, v4, v3
	v_add_u32_e32 v14, 0xf0, v2
	v_lshlrev_b64 v[2:3], 2, v[6:7]
	s_addc_u32 s5, s27, s5
	v_mov_b32_e32 v5, s5
	v_add_co_u32_e64 v2, s[4:5], s4, v2
	v_addc_co_u32_e64 v3, s[4:5], v5, v3, s[4:5]
	v_mbcnt_hi_u32_b32 v5, -1, v15
	v_and_b32_e32 v8, 64, v5
	s_mov_b32 s41, s13
	v_cmp_neq_f32_e64 s[2:3], s10, 0
	s_mov_b64 s[36:37], 0
	v_mov_b32_e32 v9, 0xff7fffff
	v_add_u32_e32 v8, 64, v8
	v_xor_b32_e32 v15, 2, v5
	v_xor_b32_e32 v16, 1, v5
	v_mov_b32_e32 v17, v6
	s_branch .LBB103_10
.LBB103_9:                              ;   in Loop: Header=BB103_10 Depth=1
	s_or_b64 exec, exec, s[38:39]
	v_add_u32_e32 v17, 2, v17
	v_cmp_le_i32_e64 s[4:5], s33, v17
	s_or_b64 s[36:37], s[4:5], s[36:37]
	v_add_co_u32_e64 v2, s[4:5], 8, v2
	v_add_u32_e32 v13, 32, v13
	v_add_u32_e32 v14, 0x80, v14
	v_addc_co_u32_e64 v3, s[4:5], 0, v3, s[4:5]
	s_andn2_b64 exec, exec, s[36:37]
	s_cbranch_execz .LBB103_12
.LBB103_10:                             ; =>This Inner Loop Header: Depth=1
	global_load_dword v18, v[2:3], off
	s_waitcnt vmcnt(0) lgkmcnt(0)
	v_mad_i64_i32 v[18:19], s[4:5], v18, s41, 0
	v_lshlrev_b64 v[18:19], 1, v[18:19]
	v_add_co_u32_e64 v18, s[4:5], v10, v18
	v_addc_co_u32_e64 v19, s[4:5], v11, v19, s[4:5]
	global_load_dword v20, v[18:19], off
	global_load_dword v21, v[18:19], off offset:256
	global_load_dword v22, v[18:19], off offset:512
	global_load_dword v23, v[18:19], off offset:768
	global_load_dword v24, v[18:19], off offset:1024
	global_load_dword v25, v[18:19], off offset:1280
	global_load_dword v26, v[18:19], off offset:1536
	global_load_dword v27, v[18:19], off offset:1792
	global_load_dword v28, v[18:19], off offset:2048
	global_load_dword v29, v[18:19], off offset:2304
	global_load_dword v30, v[18:19], off offset:2560
	global_load_dword v31, v[18:19], off offset:2816
	global_load_dword v32, v[18:19], off offset:3072
	ds_read_b32 v33, v12
	global_load_dword v18, v[18:19], off offset:3328
	v_cmp_lt_i32_e64 s[4:5], v15, v8
	v_cndmask_b32_e64 v19, v5, v15, s[4:5]
	v_lshlrev_b32_e32 v19, 2, v19
	s_waitcnt lgkmcnt(0)
	v_lshrrev_b32_e32 v34, 16, v33
	v_and_b32_e32 v33, 0xffff, v33
	;;#ASMSTART
	v_cvt_f32_f16 v33, v33;
	;;#ASMEND
	;;#ASMSTART
	v_cvt_f32_f16 v34, v34;
	;;#ASMEND
	v_cmp_lt_i32_e64 s[4:5], v16, v8
	s_waitcnt vmcnt(13)
	v_lshrrev_b32_e32 v35, 16, v20
	v_and_b32_e32 v20, 0xffff, v20
	;;#ASMSTART
	v_cvt_f32_f16 v20, v20;
	;;#ASMEND
	;;#ASMSTART
	v_cvt_f32_f16 v35, v35;
	;;#ASMEND
	ds_read_b32 v36, v12 offset:4
	s_waitcnt vmcnt(12)
	v_lshrrev_b32_e32 v37, 16, v21
	v_and_b32_e32 v21, 0xffff, v21
	s_waitcnt vmcnt(11)
	v_lshrrev_b32_e32 v38, 16, v22
	v_and_b32_e32 v22, 0xffff, v22
	s_waitcnt lgkmcnt(0)
	v_lshrrev_b32_e32 v39, 16, v36
	v_and_b32_e32 v36, 0xffff, v36
	;;#ASMSTART
	v_cvt_f32_f16 v36, v36;
	;;#ASMEND
	;;#ASMSTART
	v_cvt_f32_f16 v39, v39;
	;;#ASMEND
	;;#ASMSTART
	v_cvt_f32_f16 v21, v21;
	;;#ASMEND
	;;#ASMSTART
	v_cvt_f32_f16 v37, v37;
	;;#ASMEND
	ds_read_b32 v40, v12 offset:8
	s_waitcnt vmcnt(10)
	v_lshrrev_b32_e32 v41, 16, v23
	v_and_b32_e32 v23, 0xffff, v23
	s_waitcnt vmcnt(9)
	v_lshrrev_b32_e32 v42, 16, v24
	v_and_b32_e32 v24, 0xffff, v24
	s_waitcnt lgkmcnt(0)
	v_lshrrev_b32_e32 v43, 16, v40
	v_and_b32_e32 v40, 0xffff, v40
	;;#ASMSTART
	v_cvt_f32_f16 v40, v40;
	;;#ASMEND
	;;#ASMSTART
	v_cvt_f32_f16 v43, v43;
	;;#ASMEND
	;; [unrolled: 22-line block ×3, first 2 shown]
	;;#ASMSTART
	v_cvt_f32_f16 v23, v23;
	;;#ASMEND
	;;#ASMSTART
	v_cvt_f32_f16 v41, v41;
	;;#ASMEND
	ds_read_b32 v48, v12 offset:16
	s_waitcnt vmcnt(6)
	v_lshrrev_b32_e32 v49, 16, v27
	v_and_b32_e32 v27, 0xffff, v27
	v_mul_f32_e32 v21, v36, v21
	v_mul_f32_e32 v36, v39, v37
	s_waitcnt lgkmcnt(0)
	v_lshrrev_b32_e32 v51, 16, v48
	v_and_b32_e32 v48, 0xffff, v48
	;;#ASMSTART
	v_cvt_f32_f16 v48, v48;
	;;#ASMEND
	;;#ASMSTART
	v_cvt_f32_f16 v51, v51;
	;;#ASMEND
	;; [unrolled: 3-line block ×4, first 2 shown]
	ds_read_b32 v52, v12 offset:20
	v_fmac_f32_e32 v21, v33, v20
	s_waitcnt vmcnt(5)
	v_lshrrev_b32_e32 v50, 16, v28
	v_and_b32_e32 v28, 0xffff, v28
	v_fmac_f32_e32 v21, v40, v22
	s_waitcnt lgkmcnt(0)
	v_lshrrev_b32_e32 v55, 16, v52
	v_and_b32_e32 v52, 0xffff, v52
	;;#ASMSTART
	v_cvt_f32_f16 v52, v52;
	;;#ASMEND
	;;#ASMSTART
	v_cvt_f32_f16 v55, v55;
	;;#ASMEND
	;; [unrolled: 3-line block ×4, first 2 shown]
	ds_read_b32 v56, v12 offset:24
	v_fmac_f32_e32 v36, v34, v35
	v_fmac_f32_e32 v21, v44, v23
	s_waitcnt vmcnt(4)
	v_lshrrev_b32_e32 v53, 16, v29
	v_and_b32_e32 v29, 0xffff, v29
	s_waitcnt lgkmcnt(0)
	v_lshrrev_b32_e32 v59, 16, v56
	v_and_b32_e32 v56, 0xffff, v56
	;;#ASMSTART
	v_cvt_f32_f16 v56, v56;
	;;#ASMEND
	;;#ASMSTART
	v_cvt_f32_f16 v59, v59;
	;;#ASMEND
	;; [unrolled: 3-line block ×4, first 2 shown]
	ds_read_b32 v60, v12 offset:28
	v_fmac_f32_e32 v21, v48, v24
	v_fmac_f32_e32 v21, v52, v25
	s_waitcnt vmcnt(3)
	v_lshrrev_b32_e32 v54, 16, v30
	v_and_b32_e32 v30, 0xffff, v30
	s_waitcnt lgkmcnt(0)
	v_lshrrev_b32_e32 v37, 16, v60
	v_and_b32_e32 v39, 0xffff, v60
	;;#ASMSTART
	v_cvt_f32_f16 v39, v39;
	;;#ASMEND
	;;#ASMSTART
	v_cvt_f32_f16 v37, v37;
	;;#ASMEND
	;; [unrolled: 3-line block ×4, first 2 shown]
	ds_read_b32 v60, v12 offset:32
	v_fmac_f32_e32 v36, v43, v38
	v_fmac_f32_e32 v21, v56, v26
	;; [unrolled: 1-line block ×4, first 2 shown]
	s_waitcnt lgkmcnt(0)
	v_lshrrev_b32_e32 v20, 16, v60
	v_and_b32_e32 v22, 0xffff, v60
	;;#ASMSTART
	v_cvt_f32_f16 v22, v22;
	;;#ASMEND
	;;#ASMSTART
	v_cvt_f32_f16 v20, v20;
	;;#ASMEND
	;; [unrolled: 3-line block ×4, first 2 shown]
	ds_read_b32 v34, v12 offset:36
	v_fmac_f32_e32 v36, v55, v45
	v_fmac_f32_e32 v36, v59, v46
	;; [unrolled: 1-line block ×4, first 2 shown]
	s_waitcnt lgkmcnt(0)
	v_lshrrev_b32_e32 v23, 16, v34
	v_and_b32_e32 v24, 0xffff, v34
	;;#ASMSTART
	v_cvt_f32_f16 v24, v24;
	;;#ASMEND
	;;#ASMSTART
	v_cvt_f32_f16 v23, v23;
	;;#ASMEND
	;; [unrolled: 3-line block ×4, first 2 shown]
	ds_read_b32 v35, v12 offset:40
	s_waitcnt vmcnt(2)
	v_lshrrev_b32_e32 v57, 16, v31
	v_and_b32_e32 v31, 0xffff, v31
	v_fmac_f32_e32 v21, v22, v28
	v_fmac_f32_e32 v36, v20, v33
	s_waitcnt lgkmcnt(0)
	v_lshrrev_b32_e32 v25, 16, v35
	v_and_b32_e32 v26, 0xffff, v35
	;;#ASMSTART
	v_cvt_f32_f16 v26, v26;
	;;#ASMEND
	;;#ASMSTART
	v_cvt_f32_f16 v25, v25;
	;;#ASMEND
	;; [unrolled: 3-line block ×4, first 2 shown]
	ds_read_b32 v38, v12 offset:44
	v_fmac_f32_e32 v21, v24, v29
	v_fmac_f32_e32 v36, v23, v34
	s_waitcnt vmcnt(1)
	v_lshrrev_b32_e32 v58, 16, v32
	v_and_b32_e32 v32, 0xffff, v32
	s_waitcnt lgkmcnt(0)
	v_lshrrev_b32_e32 v20, 16, v38
	v_and_b32_e32 v22, 0xffff, v38
	;;#ASMSTART
	v_cvt_f32_f16 v22, v22;
	;;#ASMEND
	;;#ASMSTART
	v_cvt_f32_f16 v20, v20;
	;;#ASMEND
	;; [unrolled: 3-line block ×4, first 2 shown]
	ds_read_b32 v31, v12 offset:48
	v_fmac_f32_e32 v21, v26, v30
	v_fmac_f32_e32 v36, v25, v35
	;; [unrolled: 1-line block ×4, first 2 shown]
	s_waitcnt lgkmcnt(0)
	v_lshrrev_b32_e32 v23, 16, v31
	v_and_b32_e32 v24, 0xffff, v31
	;;#ASMSTART
	v_cvt_f32_f16 v24, v24;
	;;#ASMEND
	;;#ASMSTART
	v_cvt_f32_f16 v23, v23;
	;;#ASMEND
	;;#ASMSTART
	v_cvt_f32_f16 v25, v32;
	;;#ASMEND
	;;#ASMSTART
	v_cvt_f32_f16 v26, v58;
	;;#ASMEND
	ds_read_b32 v29, v12 offset:52
	s_waitcnt vmcnt(0)
	v_lshrrev_b32_e32 v61, 16, v18
	v_and_b32_e32 v18, 0xffff, v18
	v_fmac_f32_e32 v21, v24, v25
	v_fmac_f32_e32 v36, v23, v26
	s_waitcnt lgkmcnt(0)
	v_lshrrev_b32_e32 v20, 16, v29
	v_and_b32_e32 v22, 0xffff, v29
	;;#ASMSTART
	v_cvt_f32_f16 v22, v22;
	;;#ASMEND
	;;#ASMSTART
	v_cvt_f32_f16 v20, v20;
	;;#ASMEND
	;; [unrolled: 3-line block ×4, first 2 shown]
	v_fmac_f32_e32 v21, v22, v18
	v_fmac_f32_e32 v36, v20, v23
	v_add_f32_e32 v18, v21, v36
	ds_bpermute_b32 v19, v19, v18
	v_cndmask_b32_e64 v20, v5, v16, s[4:5]
	s_waitcnt lgkmcnt(0)
	v_add_f32_e32 v18, v18, v19
	v_lshlrev_b32_e32 v19, 2, v20
	ds_bpermute_b32 v19, v19, v18
	s_and_saveexec_b64 s[38:39], vcc
	s_cbranch_execz .LBB103_9
; %bb.11:                               ;   in Loop: Header=BB103_10 Depth=1
	v_add_u32_e32 v20, s15, v13
	v_cvt_f32_i32_e32 v20, v20
	s_waitcnt lgkmcnt(0)
	v_add_f32_e32 v18, v18, v19
	v_cmp_gt_i32_e64 s[4:5], s25, v13
	v_max_f32_e32 v19, v9, v9
	v_mul_f32_e32 v20, s10, v20
	v_cndmask_b32_e64 v20, 0, v20, s[2:3]
	v_fmac_f32_e32 v20, s11, v18
	v_cndmask_b32_e64 v18, 0, v20, s[4:5]
	ds_write_b32 v14, v18
	v_max_f32_e32 v18, v19, v20
	v_cndmask_b32_e64 v9, v9, v18, s[4:5]
	s_branch .LBB103_9
.LBB103_12:
	s_or_b64 exec, exec, s[36:37]
.LBB103_13:
	s_or_b64 exec, exec, s[34:35]
	v_xor_b32_e32 v2, 32, v5
	v_cmp_lt_i32_e32 vcc, v2, v8
	v_cndmask_b32_e32 v2, v5, v2, vcc
	v_lshlrev_b32_e32 v2, 2, v2
	ds_bpermute_b32 v3, v2, v9
	v_xor_b32_e32 v10, 16, v5
	v_max_f32_e32 v9, v9, v9
	v_cmp_lt_i32_e32 vcc, v10, v8
	v_xor_b32_e32 v11, 8, v5
	s_waitcnt lgkmcnt(0)
	v_max_f32_e32 v3, v3, v3
	v_max_f32_e32 v9, v9, v3
	v_cndmask_b32_e32 v3, v5, v10, vcc
	v_lshlrev_b32_e32 v3, 2, v3
	ds_bpermute_b32 v10, v3, v9
	v_cmp_lt_i32_e32 vcc, v11, v8
	s_waitcnt lgkmcnt(0)
	v_max_f32_e32 v10, v10, v10
	v_max_f32_e32 v9, v9, v10
	v_cndmask_b32_e32 v10, v5, v11, vcc
	v_lshlrev_b32_e32 v13, 2, v10
	ds_bpermute_b32 v10, v13, v9
	v_xor_b32_e32 v11, 4, v5
	v_cmp_lt_i32_e32 vcc, v11, v8
	s_waitcnt lgkmcnt(0)
	v_max_f32_e32 v10, v10, v10
	v_max_f32_e32 v10, v9, v10
	v_cndmask_b32_e32 v9, v5, v11, vcc
	v_lshlrev_b32_e32 v14, 2, v9
	ds_bpermute_b32 v12, v14, v10
	v_and_b32_e32 v9, 63, v0
	v_cmp_eq_u32_e32 vcc, 0, v9
	v_lshlrev_b32_e32 v11, 2, v1
	s_and_saveexec_b64 s[2:3], vcc
	s_cbranch_execz .LBB103_15
; %bb.14:
	s_waitcnt lgkmcnt(0)
	v_max_f32_e32 v12, v12, v12
	v_max_f32_e32 v10, v10, v10
	;; [unrolled: 1-line block ×3, first 2 shown]
	ds_write_b32 v11, v10 offset:224
.LBB103_15:
	s_or_b64 exec, exec, s[2:3]
	v_cmp_gt_u32_e64 s[2:3], 2, v9
	v_mov_b32_e32 v10, 0xff7fffff
	s_waitcnt lgkmcnt(0)
	v_lshlrev_b32_e32 v12, 2, v9
	s_barrier
	s_and_saveexec_b64 s[4:5], s[2:3]
	s_cbranch_execz .LBB103_17
; %bb.16:
	ds_read_b32 v10, v12 offset:224
.LBB103_17:
	s_or_b64 exec, exec, s[4:5]
	v_xor_b32_e32 v15, 1, v5
	v_cmp_lt_i32_e64 s[4:5], v15, v8
	v_cndmask_b32_e64 v15, v5, v15, s[4:5]
	v_lshlrev_b32_e32 v16, 2, v15
	s_waitcnt lgkmcnt(0)
	ds_bpermute_b32 v15, v16, v10
	v_max_f32_e32 v10, v10, v10
	s_sub_i32 s4, s33, s7
	s_lshl_b32 s4, s4, 4
	s_add_i32 s4, s4, s40
	s_waitcnt lgkmcnt(0)
	v_max_f32_e32 v15, v15, v15
	v_max_f32_e32 v10, v10, v15
	v_lshlrev_b32_e32 v15, 2, v5
	v_and_b32_e32 v15, 0xffffff00, v15
	ds_bpermute_b32 v10, v15, v10
	s_min_i32 s15, s4, s25
	s_sub_i32 s7, s15, s40
	v_cmp_gt_i32_e64 s[4:5], s7, v0
	v_mov_b32_e32 v17, 0
	s_and_saveexec_b64 s[34:35], s[4:5]
	s_cbranch_execz .LBB103_21
; %bb.18:
	v_mov_b32_e32 v17, 0xf0
	v_lshl_add_u32 v18, v0, 2, v17
	s_mov_b64 s[36:37], 0
	v_mov_b32_e32 v17, 0
	v_mov_b32_e32 v19, v0
.LBB103_19:                             ; =>This Inner Loop Header: Depth=1
	ds_read_b32 v20, v18
	v_add_u32_e32 v19, 0x80, v19
	v_cmp_le_i32_e64 s[10:11], s7, v19
	s_or_b64 s[36:37], s[10:11], s[36:37]
	s_waitcnt lgkmcnt(0)
	v_sub_f32_e32 v20, v20, v10
	v_mul_f32_e32 v20, 0x3fb8aa3b, v20
	v_exp_f32_e32 v20, v20
	ds_write_b32 v18, v20
	v_add_f32_e32 v17, v17, v20
	v_add_u32_e32 v18, 0x200, v18
	s_andn2_b64 exec, exec, s[36:37]
	s_cbranch_execnz .LBB103_19
; %bb.20:
	s_or_b64 exec, exec, s[36:37]
.LBB103_21:
	s_or_b64 exec, exec, s[34:35]
	ds_bpermute_b32 v2, v2, v17
	s_waitcnt lgkmcnt(0)
	v_add_f32_e32 v2, v17, v2
	ds_bpermute_b32 v3, v3, v2
	s_waitcnt lgkmcnt(0)
	v_add_f32_e32 v2, v2, v3
	ds_bpermute_b32 v3, v13, v2
	v_xor_b32_e32 v13, 2, v5
	v_cmp_lt_i32_e64 s[10:11], v13, v8
	v_cndmask_b32_e64 v5, v5, v13, s[10:11]
	s_waitcnt lgkmcnt(0)
	v_add_f32_e32 v2, v2, v3
	ds_bpermute_b32 v3, v14, v2
	s_waitcnt lgkmcnt(0)
	v_add_f32_e32 v2, v2, v3
	v_lshlrev_b32_e32 v3, 2, v5
	ds_bpermute_b32 v3, v3, v2
	s_waitcnt lgkmcnt(0)
	v_add_f32_e32 v2, v2, v3
	ds_bpermute_b32 v3, v16, v2
	s_waitcnt lgkmcnt(0)
	v_add_f32_e32 v2, v2, v3
	s_and_saveexec_b64 s[10:11], vcc
	s_cbranch_execz .LBB103_23
; %bb.22:
	ds_write_b32 v11, v2 offset:232
.LBB103_23:
	s_or_b64 exec, exec, s[10:11]
	s_waitcnt lgkmcnt(0)
	s_barrier
	s_and_saveexec_b64 s[10:11], s[2:3]
	s_cbranch_execz .LBB103_25
; %bb.24:
	ds_read_b32 v2, v12 offset:232
.LBB103_25:
	s_or_b64 exec, exec, s[10:11]
	s_waitcnt lgkmcnt(0)
	ds_bpermute_b32 v3, v16, v2
	s_waitcnt lgkmcnt(0)
	v_add_f32_e32 v2, v2, v3
	ds_bpermute_b32 v5, v15, v2
	s_and_saveexec_b64 s[2:3], s[4:5]
	s_cbranch_execz .LBB103_38
; %bb.26:
	s_waitcnt lgkmcnt(0)
	v_add_f32_e32 v2, 0x358637bd, v5
	v_div_scale_f32 v3, s[4:5], v2, v2, 1.0
	v_rcp_f32_e32 v8, v3
	v_div_scale_f32 v11, vcc, 1.0, v2, 1.0
	s_movk_i32 s4, 0x7f
	v_fma_f32 v12, -v3, v8, 1.0
	v_fmac_f32_e32 v8, v12, v8
	v_mul_f32_e32 v12, v11, v8
	v_fma_f32 v13, -v3, v12, v11
	v_fmac_f32_e32 v12, v13, v8
	v_fma_f32 v3, -v3, v12, v11
	v_div_fmas_f32 v3, v3, v8, v12
	v_div_fixup_f32 v2, v3, v2, 1.0
	v_xad_u32 v3, v0, -1, s15
	v_subrev_u32_e32 v8, s40, v3
	v_cmp_lt_u32_e32 vcc, s4, v8
	s_mov_b64 s[10:11], -1
	v_mov_b32_e32 v3, v0
	s_and_saveexec_b64 s[4:5], vcc
	s_cbranch_execz .LBB103_35
; %bb.27:
	v_lshrrev_b32_e32 v8, 7, v8
	v_add_u32_e32 v12, -1, v8
	v_lshrrev_b32_e32 v11, 1, v12
	v_mov_b32_e32 v3, v2
	v_add_u32_e32 v11, 1, v11
	v_cmp_lt_u32_e32 vcc, 13, v12
	v_mov_b32_e32 v14, 0
	s_and_saveexec_b64 s[10:11], vcc
	s_cbranch_execz .LBB103_31
; %bb.28:
	v_mov_b32_e32 v13, 0xf0
	v_and_b32_e32 v12, -8, v11
	v_lshl_add_u32 v13, v0, 2, v13
	s_mov_b32 s15, 0
	s_mov_b64 s[34:35], 0
.LBB103_29:                             ; =>This Inner Loop Header: Depth=1
	ds_read2st64_b32 v[14:15], v13 offset1:2
	ds_read2st64_b32 v[18:19], v13 offset0:4 offset1:6
	ds_read2st64_b32 v[20:21], v13 offset0:8 offset1:10
	;; [unrolled: 1-line block ×3, first 2 shown]
	v_add_u32_e32 v12, -8, v12
	s_waitcnt lgkmcnt(3)
	v_pk_mul_f32 v[14:15], v[2:3], v[14:15]
	s_waitcnt lgkmcnt(2)
	v_pk_mul_f32 v[18:19], v[2:3], v[18:19]
	ds_write2st64_b32 v13, v14, v15 offset1:2
	ds_write2st64_b32 v13, v18, v19 offset0:4 offset1:6
	ds_read2st64_b32 v[18:19], v13 offset0:16 offset1:18
	s_waitcnt lgkmcnt(4)
	v_pk_mul_f32 v[14:15], v[2:3], v[20:21]
	ds_write2st64_b32 v13, v14, v15 offset0:8 offset1:10
	s_waitcnt lgkmcnt(4)
	v_pk_mul_f32 v[14:15], v[2:3], v[22:23]
	ds_write2st64_b32 v13, v14, v15 offset0:12 offset1:14
	ds_read2st64_b32 v[14:15], v13 offset0:20 offset1:22
	s_waitcnt lgkmcnt(3)
	v_pk_mul_f32 v[18:19], v[2:3], v[18:19]
	ds_read2st64_b32 v[20:21], v13 offset0:24 offset1:26
	ds_write2st64_b32 v13, v18, v19 offset0:16 offset1:18
	ds_read2st64_b32 v[18:19], v13 offset0:28 offset1:30
	s_waitcnt lgkmcnt(3)
	v_pk_mul_f32 v[14:15], v[2:3], v[14:15]
	ds_write2st64_b32 v13, v14, v15 offset0:20 offset1:22
	s_waitcnt lgkmcnt(3)
	v_pk_mul_f32 v[14:15], v[2:3], v[20:21]
	ds_write2st64_b32 v13, v14, v15 offset0:24 offset1:26
	s_waitcnt lgkmcnt(2)
	v_pk_mul_f32 v[14:15], v[2:3], v[18:19]
	s_add_i32 s15, s15, 16
	v_cmp_eq_u32_e32 vcc, 0, v12
	ds_write2st64_b32 v13, v14, v15 offset0:28 offset1:30
	v_add_u32_e32 v13, 0x2000, v13
	s_or_b64 s[34:35], vcc, s[34:35]
	v_mov_b32_e32 v14, s15
	s_andn2_b64 exec, exec, s[34:35]
	s_cbranch_execnz .LBB103_29
; %bb.30:
	s_or_b64 exec, exec, s[34:35]
.LBB103_31:
	s_or_b64 exec, exec, s[10:11]
	v_and_b32_e32 v11, 7, v11
	v_cmp_ne_u32_e32 vcc, 0, v11
	s_and_saveexec_b64 s[10:11], vcc
	s_cbranch_execz .LBB103_34
; %bb.32:
	v_lshlrev_b32_e32 v12, 9, v14
	v_lshlrev_b32_e32 v13, 2, v0
	s_movk_i32 s15, 0xf0
	v_add3_u32 v12, v12, v13, s15
	s_mov_b64 s[34:35], 0
.LBB103_33:                             ; =>This Inner Loop Header: Depth=1
	ds_read2st64_b32 v[14:15], v12 offset1:2
	v_add_u32_e32 v11, -1, v11
	v_cmp_eq_u32_e32 vcc, 0, v11
	s_or_b64 s[34:35], vcc, s[34:35]
	s_waitcnt lgkmcnt(0)
	v_pk_mul_f32 v[14:15], v[2:3], v[14:15]
	ds_write2st64_b32 v12, v14, v15 offset1:2
	v_add_u32_e32 v12, 0x400, v12
	s_andn2_b64 exec, exec, s[34:35]
	s_cbranch_execnz .LBB103_33
.LBB103_34:
	s_or_b64 exec, exec, s[10:11]
	v_add_u32_e32 v8, 1, v8
	v_and_b32_e32 v11, 0x3fffffe, v8
	v_cmp_ne_u32_e32 vcc, v8, v11
	v_lshl_add_u32 v3, v11, 7, v0
	s_orn2_b64 s[10:11], vcc, exec
.LBB103_35:
	s_or_b64 exec, exec, s[4:5]
	s_and_b64 exec, exec, s[10:11]
	s_cbranch_execz .LBB103_38
; %bb.36:
	v_mov_b32_e32 v8, 0xf0
	v_lshl_add_u32 v8, v3, 2, v8
	s_mov_b64 s[4:5], 0
.LBB103_37:                             ; =>This Inner Loop Header: Depth=1
	ds_read_b32 v11, v8
	v_add_u32_e32 v3, 0x80, v3
	v_cmp_le_i32_e32 vcc, s7, v3
	s_or_b64 s[4:5], vcc, s[4:5]
	s_waitcnt lgkmcnt(0)
	v_mul_f32_e32 v11, v2, v11
	ds_write_b32 v8, v11
	v_add_u32_e32 v8, 0x200, v8
	s_andn2_b64 exec, exec, s[4:5]
	s_cbranch_execnz .LBB103_37
.LBB103_38:
	s_or_b64 exec, exec, s[2:3]
	s_mul_i32 s2, s21, s24
	v_cmp_eq_u32_e32 vcc, 0, v0
	s_mul_i32 s4, s2, s9
	s_waitcnt lgkmcnt(0)
	s_barrier
	s_and_saveexec_b64 s[2:3], vcc
	s_cbranch_execz .LBB103_40
; %bb.39:
	s_ashr_i32 s5, s4, 31
	s_lshl_b64 s[10:11], s[4:5], 2
	s_add_u32 s5, s18, s10
	s_mul_i32 s6, s21, s6
	s_addc_u32 s9, s19, s11
	s_ashr_i32 s7, s6, 31
	s_lshl_b64 s[6:7], s[6:7], 2
	s_add_u32 s5, s5, s6
	s_addc_u32 s15, s9, s7
	s_ashr_i32 s9, s8, 31
	s_lshl_b64 s[18:19], s[8:9], 2
	s_add_u32 s34, s5, s18
	s_addc_u32 s35, s15, s19
	s_add_u32 s5, s16, s10
	s_addc_u32 s9, s17, s11
	;; [unrolled: 2-line block ×3, first 2 shown]
	s_add_u32 s6, s5, s18
	v_mov_b32_e32 v2, 0
	s_addc_u32 s7, s7, s19
	global_store_dword v2, v10, s[34:35]
	global_store_dword v2, v5, s[6:7]
.LBB103_40:
	s_or_b64 exec, exec, s[2:3]
	v_mov_b32_e32 v11, 0
	v_lshrrev_b32_e32 v18, 1, v9
	v_and_b32_e32 v17, 1, v0
	v_mov_b32_e32 v10, v11
	v_mov_b32_e32 v9, v11
	;; [unrolled: 1-line block ×3, first 2 shown]
	s_and_saveexec_b64 s[6:7], s[0:1]
	s_cbranch_execz .LBB103_54
; %bb.41:
	s_ashr_i32 s15, s14, 31
	s_lshl_b64 s[0:1], s[14:15], 1
	s_add_u32 s9, s30, s0
	v_or_b32_e32 v5, 0x60, v18
	s_movk_i32 s0, 0x70
	v_lshlrev_b32_e32 v2, 3, v0
	s_addc_u32 s2, s31, s1
	s_add_i32 s14, s12, -1
	v_cmp_gt_u32_e32 vcc, s0, v5
	s_lshl_b64 s[0:1], s[28:29], 2
	v_and_b32_e32 v3, 8, v2
	s_add_u32 s0, s26, s0
	v_lshl_or_b32 v2, v18, 4, v3
	v_lshl_or_b32 v10, v5, 4, v3
	v_add3_u32 v19, s40, v4, v3
	v_lshlrev_b32_e32 v3, 5, v17
	v_lshlrev_b64 v[4:5], 2, v[6:7]
	s_addc_u32 s1, s27, s1
	v_mov_b32_e32 v8, 0
	v_lshl_or_b32 v1, v1, 6, v3
	v_mov_b32_e32 v3, s1
	v_add_co_u32_e64 v12, s[0:1], s0, v4
	s_mov_b32 s5, s13
	s_mov_b32 s15, s25
	;; [unrolled: 1-line block ×8, first 2 shown]
	v_add_u32_e32 v1, 0xf0, v1
	v_addc_co_u32_e64 v13, s[0:1], v3, v5, s[0:1]
	s_mov_b64 s[10:11], 0
	v_mov_b32_e32 v7, s2
	v_lshlrev_b32_e32 v20, 1, v2
	s_mov_b32 s26, 0x5040100
	v_lshlrev_b32_e32 v21, 1, v10
	v_mov_b32_e32 v9, v8
	v_mov_b32_e32 v10, v8
	;; [unrolled: 1-line block ×3, first 2 shown]
	s_branch .LBB103_44
.LBB103_42:                             ;   in Loop: Header=BB103_44 Depth=1
	s_or_b64 exec, exec, s[2:3]
	s_waitcnt vmcnt(0)
	;;#ASMSTART
	v_pk_mul_f16 v2, v27, v2;

	;;#ASMEND
	;;#ASMSTART
	v_pk_mul_f16 v3, v26, v3;

	;;#ASMEND
	;; [unrolled: 4-line block ×4, first 2 shown]
	;;#ASMSTART
	v_pk_add_f16 v2, v2, v3;

	;;#ASMEND
	;;#ASMSTART
	v_pk_add_f16 v2, v2, v4;

	;;#ASMEND
	;; [unrolled: 4-line block ×3, first 2 shown]
	v_lshrrev_b32_e32 v3, 16, v2
	v_and_b32_e32 v2, 0xffff, v2
	;;#ASMSTART
	v_cvt_f32_f16 v2, v2;
	;;#ASMEND
	;;#ASMSTART
	v_cvt_f32_f16 v3, v3;
	;;#ASMEND
	v_add_f32_e32 v2, v2, v3
	v_add_f32_e32 v11, v11, v2
.LBB103_43:                             ;   in Loop: Header=BB103_44 Depth=1
	s_or_b64 exec, exec, s[12:13]
	v_add_u32_e32 v6, 2, v6
	v_cmp_le_i32_e64 s[0:1], s33, v6
	s_or_b64 s[10:11], s[0:1], s[10:11]
	v_add_co_u32_e64 v12, s[0:1], 8, v12
	v_add_u32_e32 v19, 32, v19
	v_add_u32_e32 v1, 0x80, v1
	v_addc_co_u32_e64 v13, s[0:1], 0, v13, s[0:1]
	s_andn2_b64 exec, exec, s[10:11]
	s_cbranch_execz .LBB103_53
.LBB103_44:                             ; =>This Inner Loop Header: Depth=1
	global_load_dword v14, v[12:13], off
	ds_read2_b64 v[2:5], v1 offset1:1
	ds_read2_b64 v[30:33], v1 offset0:2 offset1:3
	s_waitcnt lgkmcnt(1)
	;;#ASMSTART
	v_cvt_f16_f32 v22, v2;

	;;#ASMEND
	;;#ASMSTART
	v_cvt_f16_f32 v23, v3;

	;;#ASMEND
	;; [unrolled: 4-line block ×4, first 2 shown]
	s_waitcnt lgkmcnt(0)
	;;#ASMSTART
	v_cvt_f16_f32 v29, v30;

	;;#ASMEND
	;;#ASMSTART
	v_cvt_f16_f32 v30, v31;

	;;#ASMEND
	;; [unrolled: 4-line block ×4, first 2 shown]
	s_waitcnt vmcnt(0)
	v_mad_i64_i32 v[2:3], s[0:1], v14, s5, 0
	v_lshlrev_b64 v[2:3], 1, v[2:3]
	v_add_co_u32_e64 v24, s[0:1], s9, v2
	v_addc_co_u32_e64 v25, s[0:1], v7, v3, s[0:1]
	v_add_co_u32_e64 v14, s[0:1], v24, v20
	v_addc_co_u32_e64 v15, s[0:1], 0, v25, s[0:1]
	global_load_dwordx4 v[2:5], v[14:15], off
	v_cmp_eq_u32_e64 s[0:1], s14, v6
	s_and_saveexec_b64 s[12:13], s[0:1]
	s_cbranch_execz .LBB103_46
; %bb.45:                               ;   in Loop: Header=BB103_44 Depth=1
	v_or_b32_e32 v37, 7, v19
	v_or_b32_e32 v38, 6, v19
	s_waitcnt vmcnt(0)
	v_lshrrev_b32_e32 v39, 16, v5
	v_cmp_gt_i32_e64 s[2:3], s30, v37
	v_cndmask_b32_e64 v37, 0, v39, s[2:3]
	v_cmp_gt_i32_e64 s[2:3], s24, v38
	v_or_b32_e32 v35, 5, v19
	v_cndmask_b32_e64 v5, 0, v5, s[2:3]
	v_or_b32_e32 v36, 4, v19
	v_perm_b32 v5, v37, v5, s26
	v_lshrrev_b32_e32 v37, 16, v4
	v_cmp_gt_i32_e64 s[2:3], s19, v35
	v_cndmask_b32_e64 v35, 0, v37, s[2:3]
	v_cmp_gt_i32_e64 s[2:3], s18, v36
	v_or_b32_e32 v33, 3, v19
	v_cndmask_b32_e64 v4, 0, v4, s[2:3]
	v_or_b32_e32 v34, 2, v19
	v_perm_b32 v4, v35, v4, s26
	v_lshrrev_b32_e32 v35, 16, v3
	v_cmp_gt_i32_e64 s[2:3], s17, v33
	v_cndmask_b32_e64 v33, 0, v35, s[2:3]
	v_cmp_gt_i32_e64 s[2:3], s16, v34
	v_add_u32_e32 v27, 1, v19
	v_cndmask_b32_e64 v3, 0, v3, s[2:3]
	v_perm_b32 v3, v33, v3, s26
	v_lshrrev_b32_e32 v33, 16, v2
	v_cmp_gt_i32_e64 s[2:3], s15, v27
	v_cndmask_b32_e64 v27, 0, v33, s[2:3]
	v_cmp_gt_i32_e64 s[2:3], s25, v19
	v_cndmask_b32_e64 v2, 0, v2, s[2:3]
	v_perm_b32 v2, v27, v2, s26
.LBB103_46:                             ;   in Loop: Header=BB103_44 Depth=1
	s_or_b64 exec, exec, s[12:13]
	v_and_b32_e32 v22, 0xffff, v22
	v_lshl_or_b32 v27, v23, 16, v22
	v_and_b32_e32 v22, 0xffff, v26
	v_lshl_or_b32 v26, v28, 16, v22
	;; [unrolled: 2-line block ×3, first 2 shown]
	v_and_b32_e32 v22, 0xffff, v31
	s_waitcnt vmcnt(0)
	;;#ASMSTART
	v_pk_mul_f16 v2, v27, v2;

	;;#ASMEND
	v_lshl_or_b32 v22, v32, 16, v22
	;;#ASMSTART
	v_pk_mul_f16 v3, v26, v3;

	;;#ASMEND
	;;#ASMSTART
	v_pk_mul_f16 v4, v23, v4;

	;;#ASMEND
	;; [unrolled: 4-line block ×3, first 2 shown]
	;;#ASMSTART
	v_pk_add_f16 v2, v2, v3;

	;;#ASMEND
	;;#ASMSTART
	v_pk_add_f16 v2, v2, v4;

	;;#ASMEND
	;; [unrolled: 4-line block ×3, first 2 shown]
	v_lshrrev_b32_e32 v3, 16, v2
	v_and_b32_e32 v2, 0xffff, v2
	;;#ASMSTART
	v_cvt_f32_f16 v28, v2;
	;;#ASMEND
	;;#ASMSTART
	v_cvt_f32_f16 v29, v3;
	;;#ASMEND
	global_load_dwordx4 v[2:5], v[14:15], off offset:1024
	s_and_saveexec_b64 s[12:13], s[0:1]
	s_cbranch_execz .LBB103_48
; %bb.47:                               ;   in Loop: Header=BB103_44 Depth=1
	v_or_b32_e32 v35, 7, v19
	v_or_b32_e32 v36, 6, v19
	s_waitcnt vmcnt(0)
	v_lshrrev_b32_e32 v37, 16, v5
	v_cmp_gt_i32_e64 s[2:3], s30, v35
	v_cndmask_b32_e64 v35, 0, v37, s[2:3]
	v_cmp_gt_i32_e64 s[2:3], s24, v36
	v_or_b32_e32 v33, 5, v19
	v_cndmask_b32_e64 v5, 0, v5, s[2:3]
	v_or_b32_e32 v34, 4, v19
	v_perm_b32 v5, v35, v5, s26
	v_lshrrev_b32_e32 v35, 16, v4
	v_cmp_gt_i32_e64 s[2:3], s19, v33
	v_cndmask_b32_e64 v33, 0, v35, s[2:3]
	v_cmp_gt_i32_e64 s[2:3], s18, v34
	v_or_b32_e32 v31, 3, v19
	v_cndmask_b32_e64 v4, 0, v4, s[2:3]
	v_or_b32_e32 v32, 2, v19
	v_perm_b32 v4, v33, v4, s26
	v_lshrrev_b32_e32 v33, 16, v3
	v_cmp_gt_i32_e64 s[2:3], s17, v31
	v_cndmask_b32_e64 v31, 0, v33, s[2:3]
	v_cmp_gt_i32_e64 s[2:3], s16, v32
	v_add_u32_e32 v30, 1, v19
	v_cndmask_b32_e64 v3, 0, v3, s[2:3]
	v_perm_b32 v3, v31, v3, s26
	v_lshrrev_b32_e32 v31, 16, v2
	v_cmp_gt_i32_e64 s[2:3], s15, v30
	v_cndmask_b32_e64 v30, 0, v31, s[2:3]
	v_cmp_gt_i32_e64 s[2:3], s25, v19
	v_cndmask_b32_e64 v2, 0, v2, s[2:3]
	v_perm_b32 v2, v30, v2, s26
.LBB103_48:                             ;   in Loop: Header=BB103_44 Depth=1
	s_or_b64 exec, exec, s[12:13]
	s_waitcnt vmcnt(0)
	;;#ASMSTART
	v_pk_mul_f16 v2, v27, v2;

	;;#ASMEND
	;;#ASMSTART
	v_pk_mul_f16 v3, v26, v3;

	;;#ASMEND
	;; [unrolled: 4-line block ×4, first 2 shown]
	;;#ASMSTART
	v_pk_add_f16 v2, v2, v3;

	;;#ASMEND
	;;#ASMSTART
	v_pk_add_f16 v2, v2, v4;

	;;#ASMEND
	;; [unrolled: 4-line block ×3, first 2 shown]
	v_lshrrev_b32_e32 v3, 16, v2
	v_and_b32_e32 v2, 0xffff, v2
	;;#ASMSTART
	v_cvt_f32_f16 v30, v2;
	;;#ASMEND
	;;#ASMSTART
	v_cvt_f32_f16 v31, v3;
	;;#ASMEND
	global_load_dwordx4 v[2:5], v[14:15], off offset:2048
	s_and_saveexec_b64 s[12:13], s[0:1]
	s_cbranch_execz .LBB103_50
; %bb.49:                               ;   in Loop: Header=BB103_44 Depth=1
	v_or_b32_e32 v35, 7, v19
	v_or_b32_e32 v36, 6, v19
	s_waitcnt vmcnt(0)
	v_lshrrev_b32_e32 v37, 16, v5
	v_cmp_gt_i32_e64 s[2:3], s30, v35
	v_cndmask_b32_e64 v35, 0, v37, s[2:3]
	v_cmp_gt_i32_e64 s[2:3], s24, v36
	v_or_b32_e32 v33, 5, v19
	v_cndmask_b32_e64 v5, 0, v5, s[2:3]
	v_or_b32_e32 v34, 4, v19
	v_perm_b32 v5, v35, v5, s26
	v_lshrrev_b32_e32 v35, 16, v4
	v_cmp_gt_i32_e64 s[2:3], s19, v33
	v_cndmask_b32_e64 v33, 0, v35, s[2:3]
	v_cmp_gt_i32_e64 s[2:3], s18, v34
	v_or_b32_e32 v15, 3, v19
	v_cndmask_b32_e64 v4, 0, v4, s[2:3]
	v_or_b32_e32 v32, 2, v19
	v_perm_b32 v4, v33, v4, s26
	v_lshrrev_b32_e32 v33, 16, v3
	v_cmp_gt_i32_e64 s[2:3], s17, v15
	v_cndmask_b32_e64 v15, 0, v33, s[2:3]
	v_cmp_gt_i32_e64 s[2:3], s16, v32
	v_add_u32_e32 v14, 1, v19
	v_cndmask_b32_e64 v3, 0, v3, s[2:3]
	v_perm_b32 v3, v15, v3, s26
	v_lshrrev_b32_e32 v15, 16, v2
	v_cmp_gt_i32_e64 s[2:3], s15, v14
	v_cndmask_b32_e64 v14, 0, v15, s[2:3]
	v_cmp_gt_i32_e64 s[2:3], s25, v19
	v_cndmask_b32_e64 v2, 0, v2, s[2:3]
	v_perm_b32 v2, v14, v2, s26
.LBB103_50:                             ;   in Loop: Header=BB103_44 Depth=1
	s_or_b64 exec, exec, s[12:13]
	s_waitcnt vmcnt(0)
	;;#ASMSTART
	v_pk_mul_f16 v2, v27, v2;

	;;#ASMEND
	;;#ASMSTART
	v_pk_mul_f16 v3, v26, v3;

	;;#ASMEND
	;; [unrolled: 4-line block ×4, first 2 shown]
	;;#ASMSTART
	v_pk_add_f16 v2, v2, v3;

	;;#ASMEND
	;;#ASMSTART
	v_pk_add_f16 v2, v2, v4;

	;;#ASMEND
	;; [unrolled: 4-line block ×3, first 2 shown]
	v_lshrrev_b32_e32 v3, 16, v2
	v_and_b32_e32 v2, 0xffff, v2
	v_add_f32_e32 v14, v28, v29
	;;#ASMSTART
	v_cvt_f32_f16 v2, v2;
	;;#ASMEND
	v_add_f32_e32 v8, v8, v14
	v_add_f32_e32 v14, v30, v31
	;;#ASMSTART
	v_cvt_f32_f16 v3, v3;
	;;#ASMEND
	v_add_f32_e32 v2, v2, v3
	v_add_f32_e32 v9, v9, v14
	;; [unrolled: 1-line block ×3, first 2 shown]
	s_and_saveexec_b64 s[12:13], vcc
	s_cbranch_execz .LBB103_43
; %bb.51:                               ;   in Loop: Header=BB103_44 Depth=1
	v_add_co_u32_e64 v2, s[2:3], v24, v21
	v_addc_co_u32_e64 v3, s[2:3], 0, v25, s[2:3]
	global_load_dwordx4 v[2:5], v[2:3], off
	s_and_saveexec_b64 s[2:3], s[0:1]
	s_cbranch_execz .LBB103_42
; %bb.52:                               ;   in Loop: Header=BB103_44 Depth=1
	v_or_b32_e32 v29, 7, v19
	v_or_b32_e32 v30, 6, v19
	s_waitcnt vmcnt(0)
	v_lshrrev_b32_e32 v31, 16, v5
	v_cmp_gt_i32_e64 s[0:1], s30, v29
	v_cndmask_b32_e64 v29, 0, v31, s[0:1]
	v_cmp_gt_i32_e64 s[0:1], s24, v30
	v_or_b32_e32 v25, 5, v19
	v_cndmask_b32_e64 v5, 0, v5, s[0:1]
	v_or_b32_e32 v28, 4, v19
	v_perm_b32 v5, v29, v5, s26
	v_lshrrev_b32_e32 v29, 16, v4
	v_cmp_gt_i32_e64 s[0:1], s19, v25
	v_cndmask_b32_e64 v25, 0, v29, s[0:1]
	v_cmp_gt_i32_e64 s[0:1], s18, v28
	v_or_b32_e32 v15, 3, v19
	v_cndmask_b32_e64 v4, 0, v4, s[0:1]
	v_or_b32_e32 v24, 2, v19
	v_perm_b32 v4, v25, v4, s26
	v_lshrrev_b32_e32 v25, 16, v3
	v_cmp_gt_i32_e64 s[0:1], s17, v15
	v_cndmask_b32_e64 v15, 0, v25, s[0:1]
	v_cmp_gt_i32_e64 s[0:1], s16, v24
	v_add_u32_e32 v14, 1, v19
	v_cndmask_b32_e64 v3, 0, v3, s[0:1]
	v_perm_b32 v3, v15, v3, s26
	v_lshrrev_b32_e32 v15, 16, v2
	v_cmp_gt_i32_e64 s[0:1], s15, v14
	v_cndmask_b32_e64 v14, 0, v15, s[0:1]
	v_cmp_gt_i32_e64 s[0:1], s25, v19
	v_cndmask_b32_e64 v2, 0, v2, s[0:1]
	v_perm_b32 v2, v14, v2, s26
	s_branch .LBB103_42
.LBB103_53:
	s_or_b64 exec, exec, s[10:11]
.LBB103_54:
	s_or_b64 exec, exec, s[6:7]
	ds_bpermute_b32 v2, v16, v8
	ds_bpermute_b32 v3, v16, v9
	;; [unrolled: 1-line block ×4, first 2 shown]
	v_and_b32_e32 v1, 0x3c0, v0
	v_cmp_eq_u32_e32 vcc, 64, v1
	s_waitcnt lgkmcnt(2)
	v_pk_add_f32 v[4:5], v[8:9], v[2:3]
	s_waitcnt lgkmcnt(0)
	v_pk_add_f32 v[2:3], v[10:11], v[6:7]
	s_barrier
	s_and_saveexec_b64 s[2:3], vcc
	s_cbranch_execz .LBB103_59
; %bb.55:
	v_cmp_eq_u32_e32 vcc, 0, v17
	s_and_saveexec_b64 s[0:1], vcc
	s_cbranch_execz .LBB103_57
; %bb.56:
	v_mov_b32_e32 v1, 0xf0
	v_lshl_add_u32 v1, v18, 2, v1
	ds_write2_b32 v1, v4, v5 offset1:32
	ds_write_b32 v1, v2 offset:256
.LBB103_57:
	s_or_b64 exec, exec, s[0:1]
	v_or_b32_e32 v1, 0x60, v18
	s_movk_i32 s0, 0x70
	v_cmp_gt_u32_e64 s[0:1], s0, v1
	s_and_b64 s[0:1], vcc, s[0:1]
	s_and_b64 exec, exec, s[0:1]
	s_cbranch_execz .LBB103_59
; %bb.58:
	v_mov_b32_e32 v1, 0xf0
	v_lshl_add_u32 v1, v18, 2, v1
	ds_write_b32 v1, v3 offset:384
.LBB103_59:
	s_or_b64 exec, exec, s[2:3]
	v_cmp_gt_u32_e32 vcc, 64, v0
	v_lshrrev_b32_e32 v0, 1, v0
	s_waitcnt lgkmcnt(0)
	s_barrier
	s_and_saveexec_b64 s[6:7], vcc
	s_cbranch_execz .LBB103_67
; %bb.60:
	v_cmp_eq_u32_e64 s[0:1], 0, v17
	s_and_saveexec_b64 s[2:3], s[0:1]
	s_cbranch_execnz .LBB103_73
; %bb.61:
	s_or_b64 exec, exec, s[2:3]
	s_and_saveexec_b64 s[2:3], s[0:1]
	s_cbranch_execnz .LBB103_74
.LBB103_62:
	s_or_b64 exec, exec, s[2:3]
	s_and_saveexec_b64 s[2:3], s[0:1]
	s_cbranch_execz .LBB103_64
.LBB103_63:
	v_mov_b32_e32 v1, 0xf0
	v_lshl_add_u32 v1, v0, 2, v1
	ds_read_b32 v1, v1 offset:256
	s_waitcnt lgkmcnt(0)
	v_add_f32_e32 v2, v2, v1
.LBB103_64:
	s_or_b64 exec, exec, s[2:3]
	v_or_b32_e32 v1, 0x60, v0
	s_movk_i32 s2, 0x70
	v_cmp_gt_u32_e64 s[2:3], s2, v1
	s_and_b64 s[2:3], s[0:1], s[2:3]
	s_and_saveexec_b64 s[0:1], s[2:3]
	s_cbranch_execz .LBB103_66
; %bb.65:
	v_mov_b32_e32 v1, 0xf0
	v_lshl_add_u32 v1, v0, 2, v1
	ds_read_b32 v1, v1 offset:384
	s_waitcnt lgkmcnt(0)
	v_add_f32_e32 v3, v3, v1
.LBB103_66:
	s_or_b64 exec, exec, s[0:1]
.LBB103_67:
	s_or_b64 exec, exec, s[6:7]
	s_barrier
	s_and_saveexec_b64 s[0:1], vcc
	s_cbranch_execz .LBB103_72
; %bb.68:
	s_mul_i32 s0, s4, 0x70
	s_ashr_i32 s1, s0, 31
	s_lshl_b64 s[0:1], s[0:1], 1
	s_add_u32 s2, s22, s0
	s_mul_i32 s0, s21, s20
	s_addc_u32 s3, s23, s1
	s_ashr_i32 s1, s0, 31
	s_lshl_b64 s[0:1], s[0:1], 1
	s_add_u32 s2, s2, s0
	s_mul_i32 s0, s8, 0x70
	s_addc_u32 s3, s3, s1
	s_ashr_i32 s1, s0, 31
	s_lshl_b64 s[0:1], s[0:1], 1
	s_add_u32 s2, s2, s0
	s_movk_i32 s5, 0x70
	s_addc_u32 s3, s3, s1
	v_cmp_eq_u32_e32 vcc, 0, v17
	v_lshlrev_b32_e32 v1, 1, v0
	s_and_saveexec_b64 s[0:1], vcc
	s_cbranch_execz .LBB103_70
; %bb.69:
	;;#ASMSTART
	v_cvt_f16_f32 v4, v4;

	;;#ASMEND
	global_store_short v1, v4, s[2:3]
	;;#ASMSTART
	v_cvt_f16_f32 v4, v5;

	;;#ASMEND
	global_store_short v1, v4, s[2:3] offset:64
	;;#ASMSTART
	v_cvt_f16_f32 v2, v2;

	;;#ASMEND
	global_store_short v1, v2, s[2:3] offset:128
.LBB103_70:
	s_or_b64 exec, exec, s[0:1]
	v_or_b32_e32 v0, 0x60, v0
	v_cmp_gt_u32_e64 s[0:1], s5, v0
	s_and_b64 s[0:1], vcc, s[0:1]
	s_and_b64 exec, exec, s[0:1]
	s_cbranch_execz .LBB103_72
; %bb.71:
	;;#ASMSTART
	v_cvt_f16_f32 v0, v3;

	;;#ASMEND
	global_store_short v1, v0, s[2:3] offset:192
.LBB103_72:
	s_endpgm
.LBB103_73:
	v_mov_b32_e32 v1, 0xf0
	v_lshl_add_u32 v1, v0, 2, v1
	ds_read_b32 v1, v1
	s_waitcnt lgkmcnt(0)
	v_add_f32_e32 v4, v4, v1
	s_or_b64 exec, exec, s[2:3]
	s_and_saveexec_b64 s[2:3], s[0:1]
	s_cbranch_execz .LBB103_62
.LBB103_74:
	v_mov_b32_e32 v1, 0xf0
	v_lshl_add_u32 v1, v0, 2, v1
	ds_read_b32 v1, v1 offset:128
	s_waitcnt lgkmcnt(0)
	v_add_f32_e32 v5, v5, v1
	s_or_b64 exec, exec, s[2:3]
	s_and_saveexec_b64 s[2:3], s[0:1]
	s_cbranch_execnz .LBB103_63
	s_branch .LBB103_64
	.section	.rodata,"a",@progbits
	.p2align	6, 0x0
	.amdhsa_kernel _ZN4vllm25paged_attention_v2_kernelIttLi112ELi16ELi128ELNS_18Fp8KVCacheDataTypeE0ELb0ELi512EEEvPfS2_PT_PKS3_PKT0_S9_ifPKiSB_iPKfiiiSD_SD_iiiii
		.amdhsa_group_segment_fixed_size 240
		.amdhsa_private_segment_fixed_size 0
		.amdhsa_kernarg_size 400
		.amdhsa_user_sgpr_count 6
		.amdhsa_user_sgpr_private_segment_buffer 1
		.amdhsa_user_sgpr_dispatch_ptr 0
		.amdhsa_user_sgpr_queue_ptr 0
		.amdhsa_user_sgpr_kernarg_segment_ptr 1
		.amdhsa_user_sgpr_dispatch_id 0
		.amdhsa_user_sgpr_flat_scratch_init 0
		.amdhsa_user_sgpr_kernarg_preload_length 0
		.amdhsa_user_sgpr_kernarg_preload_offset 0
		.amdhsa_user_sgpr_private_segment_size 0
		.amdhsa_uses_dynamic_stack 0
		.amdhsa_system_sgpr_private_segment_wavefront_offset 0
		.amdhsa_system_sgpr_workgroup_id_x 1
		.amdhsa_system_sgpr_workgroup_id_y 1
		.amdhsa_system_sgpr_workgroup_id_z 1
		.amdhsa_system_sgpr_workgroup_info 0
		.amdhsa_system_vgpr_workitem_id 0
		.amdhsa_next_free_vgpr 62
		.amdhsa_next_free_sgpr 42
		.amdhsa_accum_offset 64
		.amdhsa_reserve_vcc 1
		.amdhsa_reserve_flat_scratch 0
		.amdhsa_float_round_mode_32 0
		.amdhsa_float_round_mode_16_64 0
		.amdhsa_float_denorm_mode_32 3
		.amdhsa_float_denorm_mode_16_64 3
		.amdhsa_dx10_clamp 1
		.amdhsa_ieee_mode 1
		.amdhsa_fp16_overflow 0
		.amdhsa_tg_split 0
		.amdhsa_exception_fp_ieee_invalid_op 0
		.amdhsa_exception_fp_denorm_src 0
		.amdhsa_exception_fp_ieee_div_zero 0
		.amdhsa_exception_fp_ieee_overflow 0
		.amdhsa_exception_fp_ieee_underflow 0
		.amdhsa_exception_fp_ieee_inexact 0
		.amdhsa_exception_int_div_zero 0
	.end_amdhsa_kernel
	.section	.text._ZN4vllm25paged_attention_v2_kernelIttLi112ELi16ELi128ELNS_18Fp8KVCacheDataTypeE0ELb0ELi512EEEvPfS2_PT_PKS3_PKT0_S9_ifPKiSB_iPKfiiiSD_SD_iiiii,"axG",@progbits,_ZN4vllm25paged_attention_v2_kernelIttLi112ELi16ELi128ELNS_18Fp8KVCacheDataTypeE0ELb0ELi512EEEvPfS2_PT_PKS3_PKT0_S9_ifPKiSB_iPKfiiiSD_SD_iiiii,comdat
.Lfunc_end103:
	.size	_ZN4vllm25paged_attention_v2_kernelIttLi112ELi16ELi128ELNS_18Fp8KVCacheDataTypeE0ELb0ELi512EEEvPfS2_PT_PKS3_PKT0_S9_ifPKiSB_iPKfiiiSD_SD_iiiii, .Lfunc_end103-_ZN4vllm25paged_attention_v2_kernelIttLi112ELi16ELi128ELNS_18Fp8KVCacheDataTypeE0ELb0ELi512EEEvPfS2_PT_PKS3_PKT0_S9_ifPKiSB_iPKfiiiSD_SD_iiiii
                                        ; -- End function
	.section	.AMDGPU.csdata,"",@progbits
; Kernel info:
; codeLenInByte = 6312
; NumSgprs: 46
; NumVgprs: 62
; NumAgprs: 0
; TotalNumVgprs: 62
; ScratchSize: 0
; MemoryBound: 0
; FloatMode: 240
; IeeeMode: 1
; LDSByteSize: 240 bytes/workgroup (compile time only)
; SGPRBlocks: 5
; VGPRBlocks: 7
; NumSGPRsForWavesPerEU: 46
; NumVGPRsForWavesPerEU: 62
; AccumOffset: 64
; Occupancy: 8
; WaveLimiterHint : 1
; COMPUTE_PGM_RSRC2:SCRATCH_EN: 0
; COMPUTE_PGM_RSRC2:USER_SGPR: 6
; COMPUTE_PGM_RSRC2:TRAP_HANDLER: 0
; COMPUTE_PGM_RSRC2:TGID_X_EN: 1
; COMPUTE_PGM_RSRC2:TGID_Y_EN: 1
; COMPUTE_PGM_RSRC2:TGID_Z_EN: 1
; COMPUTE_PGM_RSRC2:TIDIG_COMP_CNT: 0
; COMPUTE_PGM_RSRC3_GFX90A:ACCUM_OFFSET: 15
; COMPUTE_PGM_RSRC3_GFX90A:TG_SPLIT: 0
	.section	.text._ZN4vllm25paged_attention_v2_kernelIttLi120ELi16ELi128ELNS_18Fp8KVCacheDataTypeE0ELb0ELi512EEEvPfS2_PT_PKS3_PKT0_S9_ifPKiSB_iPKfiiiSD_SD_iiiii,"axG",@progbits,_ZN4vllm25paged_attention_v2_kernelIttLi120ELi16ELi128ELNS_18Fp8KVCacheDataTypeE0ELb0ELi512EEEvPfS2_PT_PKS3_PKT0_S9_ifPKiSB_iPKfiiiSD_SD_iiiii,comdat
	.protected	_ZN4vllm25paged_attention_v2_kernelIttLi120ELi16ELi128ELNS_18Fp8KVCacheDataTypeE0ELb0ELi512EEEvPfS2_PT_PKS3_PKT0_S9_ifPKiSB_iPKfiiiSD_SD_iiiii ; -- Begin function _ZN4vllm25paged_attention_v2_kernelIttLi120ELi16ELi128ELNS_18Fp8KVCacheDataTypeE0ELb0ELi512EEEvPfS2_PT_PKS3_PKT0_S9_ifPKiSB_iPKfiiiSD_SD_iiiii
	.globl	_ZN4vllm25paged_attention_v2_kernelIttLi120ELi16ELi128ELNS_18Fp8KVCacheDataTypeE0ELb0ELi512EEEvPfS2_PT_PKS3_PKT0_S9_ifPKiSB_iPKfiiiSD_SD_iiiii
	.p2align	8
	.type	_ZN4vllm25paged_attention_v2_kernelIttLi120ELi16ELi128ELNS_18Fp8KVCacheDataTypeE0ELb0ELi512EEEvPfS2_PT_PKS3_PKT0_S9_ifPKiSB_iPKfiiiSD_SD_iiiii,@function
_ZN4vllm25paged_attention_v2_kernelIttLi120ELi16ELi128ELNS_18Fp8KVCacheDataTypeE0ELb0ELi512EEEvPfS2_PT_PKS3_PKT0_S9_ifPKiSB_iPKfiiiSD_SD_iiiii: ; @_ZN4vllm25paged_attention_v2_kernelIttLi120ELi16ELi128ELNS_18Fp8KVCacheDataTypeE0ELb0ELi512EEEvPfS2_PT_PKS3_PKT0_S9_ifPKiSB_iPKfiiiSD_SD_iiiii
; %bb.0:
	s_load_dwordx2 s[0:1], s[4:5], 0x40
	s_mov_b32 s24, s7
	s_ashr_i32 s25, s7, 31
	s_lshl_b64 s[2:3], s[24:25], 2
	s_waitcnt lgkmcnt(0)
	s_add_u32 s0, s0, s2
	s_addc_u32 s1, s1, s3
	s_load_dword s25, s[0:1], 0x0
	s_lshl_b32 s40, s8, 9
	s_waitcnt lgkmcnt(0)
	s_cmp_ge_i32 s40, s25
	s_cbranch_scc1 .LBB104_72
; %bb.1:
	s_load_dword s9, s[4:5], 0x90
	s_load_dwordx2 s[10:11], s[4:5], 0x30
	s_waitcnt lgkmcnt(0)
	s_abs_i32 s2, s9
	s_abs_i32 s0, s10
	v_cvt_f32_u32_e32 v1, s0
	s_sub_i32 s3, 0, s0
	s_xor_b32 s1, s9, s10
	s_ashr_i32 s1, s1, 31
	v_rcp_iflag_f32_e32 v1, v1
	v_mul_f32_e32 v1, 0x4f7ffffe, v1
	v_cvt_u32_f32_e32 v1, v1
	v_readfirstlane_b32 s7, v1
	s_mul_i32 s3, s3, s7
	s_mul_hi_u32 s3, s7, s3
	s_add_i32 s7, s7, s3
	s_mul_hi_u32 s3, s2, s7
	s_mul_i32 s7, s3, s0
	s_sub_i32 s2, s2, s7
	s_add_i32 s10, s3, 1
	s_sub_i32 s7, s2, s0
	s_cmp_ge_u32 s2, s0
	s_cselect_b32 s3, s10, s3
	s_cselect_b32 s2, s7, s2
	s_add_i32 s7, s3, 1
	s_cmp_ge_u32 s2, s0
	s_cselect_b32 s0, s7, s3
	s_xor_b32 s0, s0, s1
	s_sub_i32 s18, s0, s1
	s_abs_i32 s2, s18
	v_cvt_f32_u32_e32 v1, s2
	s_load_dwordx2 s[0:1], s[4:5], 0x50
	s_sub_i32 s7, 0, s2
	s_abs_i32 s3, s6
	v_rcp_iflag_f32_e32 v1, v1
	s_mov_b32 s10, 0
	v_mul_f32_e32 v1, 0x4f7ffffe, v1
	v_cvt_u32_f32_e32 v1, v1
	v_readfirstlane_b32 s12, v1
	s_mul_i32 s7, s7, s12
	s_mul_hi_u32 s7, s12, s7
	s_add_i32 s12, s12, s7
	s_waitcnt lgkmcnt(0)
	s_cmp_eq_u64 s[0:1], 0
	s_mul_hi_u32 s16, s3, s12
	s_cbranch_scc1 .LBB104_3
; %bb.2:
	s_ashr_i32 s7, s6, 31
	s_lshl_b64 s[12:13], s[6:7], 2
	s_add_u32 s0, s0, s12
	s_addc_u32 s1, s1, s13
	s_load_dword s10, s[0:1], 0x0
.LBB104_3:
	s_load_dwordx4 s[12:15], s[4:5], 0x58
	s_ashr_i32 s17, s6, 31
	s_waitcnt lgkmcnt(0)
	s_ashr_i32 s15, s18, 31
	v_and_b32_e32 v2, 3, v0
	s_mul_i32 s20, s6, 0x78
	v_cmp_gt_u32_e32 vcc, 60, v0
	s_and_saveexec_b64 s[0:1], vcc
	s_cbranch_execz .LBB104_5
; %bb.4:
	s_load_dwordx2 s[18:19], s[4:5], 0x18
	s_mul_i32 s22, s24, s12
	s_ashr_i32 s23, s22, 31
	s_lshl_b64 s[22:23], s[22:23], 1
	v_lshlrev_b32_e32 v1, 2, v0
	s_waitcnt lgkmcnt(0)
	s_add_u32 s7, s18, s22
	s_addc_u32 s12, s19, s23
	s_ashr_i32 s21, s20, 31
	s_lshl_b64 s[18:19], s[20:21], 1
	s_add_u32 s18, s7, s18
	s_addc_u32 s19, s12, s19
	global_load_dword v1, v1, s[18:19]
	v_and_b32_e32 v3, 0x3fc, v0
	v_mad_u32_u24 v3, v2, 60, v3
	s_waitcnt vmcnt(0)
	ds_write_b32 v3, v1
.LBB104_5:
	s_or_b64 exec, exec, s[0:1]
	s_add_i32 s0, s25, 15
	s_ashr_i32 s1, s0, 31
	s_lshr_b32 s1, s1, 28
	s_add_i32 s0, s0, s1
	s_lshl_b32 s7, s8, 5
	s_mul_i32 s1, s16, s2
	s_ashr_i32 s12, s0, 4
	s_add_i32 s0, s7, 32
	s_sub_i32 s1, s3, s1
	s_min_i32 s33, s0, s12
	s_xor_b32 s0, s17, s15
	s_add_i32 s3, s16, 1
	s_sub_i32 s15, s1, s2
	s_cmp_ge_u32 s1, s2
	s_cselect_b32 s3, s3, s16
	s_cselect_b32 s1, s15, s1
	s_add_i32 s15, s3, 1
	s_cmp_ge_u32 s1, s2
	s_load_dwordx2 s[26:27], s[4:5], 0x38
	s_load_dword s2, s[4:5], 0x48
	v_lshrrev_b32_e32 v1, 6, v0
	s_cselect_b32 s1, s15, s3
	s_xor_b32 s1, s1, s0
	v_or_b32_e32 v6, s7, v1
	s_waitcnt lgkmcnt(0)
	s_mul_i32 s28, s24, s2
	s_sub_i32 s15, s1, s0
	s_ashr_i32 s29, s28, 31
	v_cmp_gt_i32_e64 s[0:1], s33, v6
	v_cmp_le_i32_e32 vcc, s33, v6
	v_mbcnt_lo_u32_b32 v15, -1, 0
	s_barrier
	s_waitcnt lgkmcnt(0)
                                        ; implicit-def: $sgpr36
                                        ; implicit-def: $vgpr5
                                        ; implicit-def: $vgpr8
	s_and_saveexec_b64 s[2:3], vcc
	s_xor_b64 s[2:3], exec, s[2:3]
; %bb.6:
	v_mbcnt_hi_u32_b32 v5, -1, v15
	v_and_b32_e32 v2, 64, v5
	v_add_u32_e32 v8, 64, v2
	s_mov_b32 s36, 0xff7fffff
                                        ; implicit-def: $vgpr2
                                        ; implicit-def: $vgpr15
; %bb.7:
	s_or_saveexec_b64 s[34:35], s[2:3]
	s_load_dwordx4 s[16:19], s[4:5], 0x0
	s_load_dwordx2 s[22:23], s[4:5], 0x10
	s_load_dwordx2 s[30:31], s[4:5], 0x28
	s_load_dword s21, s[4:5], 0x98
	v_mov_b32_e32 v9, s36
	s_mul_i32 s14, s15, s14
	v_ashrrev_i32_e32 v7, 31, v6
	v_lshlrev_b32_e32 v4, 4, v1
	s_xor_b64 exec, exec, s[34:35]
	s_cbranch_execz .LBB104_13
; %bb.8:
	s_load_dwordx2 s[2:3], s[4:5], 0x20
	s_ashr_i32 s15, s14, 31
	s_lshl_b64 s[4:5], s[14:15], 1
	v_bfe_u32 v3, v0, 2, 4
	v_lshlrev_b32_e32 v5, 4, v3
	s_waitcnt lgkmcnt(0)
	s_add_u32 s2, s2, s4
	s_addc_u32 s3, s3, s5
	v_mov_b32_e32 v8, s3
	v_add_co_u32_e32 v5, vcc, s2, v5
	v_lshlrev_b32_e32 v9, 2, v0
	v_addc_co_u32_e32 v8, vcc, 0, v8, vcc
	v_and_b32_e32 v9, 12, v9
	v_add_co_u32_e32 v10, vcc, v5, v9
	v_addc_co_u32_e32 v11, vcc, 0, v8, vcc
	v_mul_u32_u24_e32 v12, 60, v2
	v_cmp_eq_u32_e32 vcc, 0, v2
	s_sub_i32 s15, 1, s25
	v_lshlrev_b32_e32 v2, 2, v3
	s_lshl_b64 s[4:5], s[28:29], 2
	v_lshl_or_b32 v2, v1, 6, v2
	s_add_u32 s4, s26, s4
	v_add3_u32 v13, s40, v4, v3
	v_add_u32_e32 v14, 0x100, v2
	v_lshlrev_b64 v[2:3], 2, v[6:7]
	s_addc_u32 s5, s27, s5
	v_mov_b32_e32 v5, s5
	v_add_co_u32_e64 v2, s[4:5], s4, v2
	v_addc_co_u32_e64 v3, s[4:5], v5, v3, s[4:5]
	v_mbcnt_hi_u32_b32 v5, -1, v15
	v_and_b32_e32 v8, 64, v5
	s_mov_b32 s41, s13
	v_cmp_neq_f32_e64 s[2:3], s10, 0
	s_mov_b64 s[36:37], 0
	v_mov_b32_e32 v9, 0xff7fffff
	v_add_u32_e32 v8, 64, v8
	v_xor_b32_e32 v15, 2, v5
	v_xor_b32_e32 v16, 1, v5
	v_mov_b32_e32 v17, v6
	s_branch .LBB104_10
.LBB104_9:                              ;   in Loop: Header=BB104_10 Depth=1
	s_or_b64 exec, exec, s[38:39]
	v_add_u32_e32 v17, 2, v17
	v_cmp_le_i32_e64 s[4:5], s33, v17
	s_or_b64 s[36:37], s[4:5], s[36:37]
	v_add_co_u32_e64 v2, s[4:5], 8, v2
	v_add_u32_e32 v13, 32, v13
	v_add_u32_e32 v14, 0x80, v14
	v_addc_co_u32_e64 v3, s[4:5], 0, v3, s[4:5]
	s_andn2_b64 exec, exec, s[36:37]
	s_cbranch_execz .LBB104_12
.LBB104_10:                             ; =>This Inner Loop Header: Depth=1
	global_load_dword v18, v[2:3], off
	s_waitcnt vmcnt(0) lgkmcnt(0)
	v_mad_i64_i32 v[18:19], s[4:5], v18, s41, 0
	v_lshlrev_b64 v[18:19], 1, v[18:19]
	v_add_co_u32_e64 v24, s[4:5], v10, v18
	v_addc_co_u32_e64 v25, s[4:5], v11, v19, s[4:5]
	global_load_dword v26, v[24:25], off
	global_load_dword v27, v[24:25], off offset:256
	global_load_dword v28, v[24:25], off offset:512
	;; [unrolled: 1-line block ×12, first 2 shown]
	ds_read_b32 v35, v12
	global_load_dword v19, v[24:25], off offset:3328
	global_load_dword v18, v[24:25], off offset:3584
	v_cmp_lt_i32_e64 s[4:5], v15, v8
	v_cndmask_b32_e64 v24, v5, v15, s[4:5]
	v_lshlrev_b32_e32 v24, 2, v24
	s_waitcnt lgkmcnt(0)
	v_lshrrev_b32_e32 v25, 16, v35
	v_and_b32_e32 v35, 0xffff, v35
	;;#ASMSTART
	v_cvt_f32_f16 v35, v35;
	;;#ASMEND
	;;#ASMSTART
	v_cvt_f32_f16 v25, v25;
	;;#ASMEND
	v_cmp_lt_i32_e64 s[4:5], v16, v8
	s_waitcnt vmcnt(14)
	v_lshrrev_b32_e32 v36, 16, v26
	v_and_b32_e32 v26, 0xffff, v26
	;;#ASMSTART
	v_cvt_f32_f16 v26, v26;
	;;#ASMEND
	;;#ASMSTART
	v_cvt_f32_f16 v36, v36;
	;;#ASMEND
	ds_read_b32 v37, v12 offset:4
	s_waitcnt vmcnt(13)
	v_lshrrev_b32_e32 v38, 16, v27
	v_and_b32_e32 v27, 0xffff, v27
	s_waitcnt vmcnt(12)
	v_lshrrev_b32_e32 v39, 16, v28
	v_and_b32_e32 v28, 0xffff, v28
	s_waitcnt lgkmcnt(0)
	v_lshrrev_b32_e32 v40, 16, v37
	v_and_b32_e32 v37, 0xffff, v37
	;;#ASMSTART
	v_cvt_f32_f16 v37, v37;
	;;#ASMEND
	;;#ASMSTART
	v_cvt_f32_f16 v40, v40;
	;;#ASMEND
	;;#ASMSTART
	v_cvt_f32_f16 v27, v27;
	;;#ASMEND
	;;#ASMSTART
	v_cvt_f32_f16 v38, v38;
	;;#ASMEND
	ds_read_b32 v41, v12 offset:8
	s_waitcnt vmcnt(11)
	v_lshrrev_b32_e32 v42, 16, v29
	v_and_b32_e32 v29, 0xffff, v29
	s_waitcnt vmcnt(10)
	v_lshrrev_b32_e32 v43, 16, v30
	v_and_b32_e32 v30, 0xffff, v30
	s_waitcnt lgkmcnt(0)
	v_lshrrev_b32_e32 v44, 16, v41
	v_and_b32_e32 v41, 0xffff, v41
	;;#ASMSTART
	v_cvt_f32_f16 v41, v41;
	;;#ASMEND
	;;#ASMSTART
	v_cvt_f32_f16 v44, v44;
	;;#ASMEND
	;;#ASMSTART
	v_cvt_f32_f16 v28, v28;
	;;#ASMEND
	;;#ASMSTART
	v_cvt_f32_f16 v39, v39;
	;;#ASMEND
	ds_read_b32 v45, v12 offset:12
	s_waitcnt vmcnt(9)
	v_lshrrev_b32_e32 v46, 16, v31
	v_and_b32_e32 v31, 0xffff, v31
	s_waitcnt vmcnt(8)
	v_lshrrev_b32_e32 v47, 16, v32
	v_and_b32_e32 v32, 0xffff, v32
	s_waitcnt lgkmcnt(0)
	v_lshrrev_b32_e32 v48, 16, v45
	v_and_b32_e32 v45, 0xffff, v45
	;;#ASMSTART
	v_cvt_f32_f16 v45, v45;
	;;#ASMEND
	;;#ASMSTART
	v_cvt_f32_f16 v48, v48;
	;;#ASMEND
	;;#ASMSTART
	v_cvt_f32_f16 v29, v29;
	;;#ASMEND
	;;#ASMSTART
	v_cvt_f32_f16 v42, v42;
	;;#ASMEND
	ds_read_b32 v49, v12 offset:16
	s_waitcnt vmcnt(7)
	v_lshrrev_b32_e32 v50, 16, v33
	v_and_b32_e32 v33, 0xffff, v33
	v_mul_f32_e32 v27, v37, v27
	v_mul_f32_e32 v37, v40, v38
	s_waitcnt lgkmcnt(0)
	v_lshrrev_b32_e32 v52, 16, v49
	v_and_b32_e32 v49, 0xffff, v49
	;;#ASMSTART
	v_cvt_f32_f16 v49, v49;
	;;#ASMEND
	;;#ASMSTART
	v_cvt_f32_f16 v52, v52;
	;;#ASMEND
	;; [unrolled: 3-line block ×4, first 2 shown]
	ds_read_b32 v53, v12 offset:20
	s_waitcnt vmcnt(6)
	v_lshrrev_b32_e32 v51, 16, v34
	v_and_b32_e32 v34, 0xffff, v34
	v_fmac_f32_e32 v27, v35, v26
	v_fmac_f32_e32 v37, v25, v36
	s_waitcnt lgkmcnt(0)
	v_lshrrev_b32_e32 v56, 16, v53
	v_and_b32_e32 v53, 0xffff, v53
	;;#ASMSTART
	v_cvt_f32_f16 v53, v53;
	;;#ASMEND
	;;#ASMSTART
	v_cvt_f32_f16 v56, v56;
	;;#ASMEND
	;; [unrolled: 3-line block ×4, first 2 shown]
	ds_read_b32 v57, v12 offset:24
	v_fmac_f32_e32 v27, v41, v28
	s_waitcnt vmcnt(5)
	v_lshrrev_b32_e32 v54, 16, v23
	v_and_b32_e32 v23, 0xffff, v23
	v_fmac_f32_e32 v27, v45, v29
	s_waitcnt lgkmcnt(0)
	v_lshrrev_b32_e32 v60, 16, v57
	v_and_b32_e32 v57, 0xffff, v57
	;;#ASMSTART
	v_cvt_f32_f16 v57, v57;
	;;#ASMEND
	;;#ASMSTART
	v_cvt_f32_f16 v60, v60;
	;;#ASMEND
	;; [unrolled: 3-line block ×4, first 2 shown]
	ds_read_b32 v61, v12 offset:28
	v_fmac_f32_e32 v27, v49, v30
	s_waitcnt vmcnt(4)
	v_lshrrev_b32_e32 v55, 16, v22
	v_and_b32_e32 v22, 0xffff, v22
	v_fmac_f32_e32 v27, v53, v31
	s_waitcnt lgkmcnt(0)
	v_lshrrev_b32_e32 v64, 16, v61
	v_and_b32_e32 v61, 0xffff, v61
	;;#ASMSTART
	v_cvt_f32_f16 v61, v61;
	;;#ASMEND
	;;#ASMSTART
	v_cvt_f32_f16 v64, v64;
	;;#ASMEND
	;; [unrolled: 3-line block ×4, first 2 shown]
	ds_read_b32 v65, v12 offset:32
	v_fmac_f32_e32 v37, v44, v39
	v_fmac_f32_e32 v27, v57, v32
	s_waitcnt vmcnt(3)
	v_lshrrev_b32_e32 v58, 16, v21
	v_and_b32_e32 v21, 0xffff, v21
	s_waitcnt lgkmcnt(0)
	v_lshrrev_b32_e32 v25, 16, v65
	v_and_b32_e32 v26, 0xffff, v65
	;;#ASMSTART
	v_cvt_f32_f16 v26, v26;
	;;#ASMEND
	;;#ASMSTART
	v_cvt_f32_f16 v25, v25;
	;;#ASMEND
	;; [unrolled: 3-line block ×4, first 2 shown]
	ds_read_b32 v36, v12 offset:36
	v_fmac_f32_e32 v27, v61, v33
	v_fmac_f32_e32 v37, v48, v42
	;; [unrolled: 1-line block ×4, first 2 shown]
	s_waitcnt lgkmcnt(0)
	v_lshrrev_b32_e32 v28, 16, v36
	v_and_b32_e32 v29, 0xffff, v36
	;;#ASMSTART
	v_cvt_f32_f16 v29, v29;
	;;#ASMEND
	;;#ASMSTART
	v_cvt_f32_f16 v28, v28;
	;;#ASMEND
	;; [unrolled: 3-line block ×4, first 2 shown]
	ds_read_b32 v38, v12 offset:40
	v_fmac_f32_e32 v37, v60, v47
	v_fmac_f32_e32 v37, v64, v50
	;; [unrolled: 1-line block ×3, first 2 shown]
	s_waitcnt vmcnt(2)
	v_lshrrev_b32_e32 v59, 16, v20
	s_waitcnt lgkmcnt(0)
	v_lshrrev_b32_e32 v30, 16, v38
	v_and_b32_e32 v31, 0xffff, v38
	;;#ASMSTART
	v_cvt_f32_f16 v31, v31;
	;;#ASMEND
	;;#ASMSTART
	v_cvt_f32_f16 v30, v30;
	;;#ASMEND
	;; [unrolled: 3-line block ×4, first 2 shown]
	ds_read_b32 v39, v12 offset:44
	v_and_b32_e32 v20, 0xffff, v20
	v_fmac_f32_e32 v37, v25, v35
	v_fmac_f32_e32 v27, v29, v23
	;; [unrolled: 1-line block ×3, first 2 shown]
	s_waitcnt lgkmcnt(0)
	v_lshrrev_b32_e32 v32, 16, v39
	v_and_b32_e32 v33, 0xffff, v39
	;;#ASMSTART
	v_cvt_f32_f16 v33, v33;
	;;#ASMEND
	;;#ASMSTART
	v_cvt_f32_f16 v32, v32;
	;;#ASMEND
	;; [unrolled: 3-line block ×4, first 2 shown]
	ds_read_b32 v40, v12 offset:48
	v_fmac_f32_e32 v27, v31, v22
	s_waitcnt vmcnt(1)
	v_lshrrev_b32_e32 v62, 16, v19
	v_and_b32_e32 v19, 0xffff, v19
	v_fmac_f32_e32 v27, v33, v21
	s_waitcnt lgkmcnt(0)
	v_lshrrev_b32_e32 v23, 16, v40
	v_and_b32_e32 v25, 0xffff, v40
	;;#ASMSTART
	v_cvt_f32_f16 v25, v25;
	;;#ASMEND
	;;#ASMSTART
	v_cvt_f32_f16 v23, v23;
	;;#ASMEND
	;; [unrolled: 3-line block ×4, first 2 shown]
	ds_read_b32 v28, v12 offset:52
	v_fmac_f32_e32 v37, v30, v38
	v_fmac_f32_e32 v37, v32, v39
	;; [unrolled: 1-line block ×4, first 2 shown]
	s_waitcnt lgkmcnt(0)
	v_lshrrev_b32_e32 v21, 16, v28
	v_and_b32_e32 v22, 0xffff, v28
	;;#ASMSTART
	v_cvt_f32_f16 v22, v22;
	;;#ASMEND
	;;#ASMSTART
	v_cvt_f32_f16 v21, v21;
	;;#ASMEND
	;; [unrolled: 3-line block ×4, first 2 shown]
	ds_read_b32 v29, v12 offset:56
	s_waitcnt vmcnt(0)
	v_lshrrev_b32_e32 v63, 16, v18
	v_and_b32_e32 v18, 0xffff, v18
	v_fmac_f32_e32 v27, v22, v19
	v_fmac_f32_e32 v37, v21, v28
	s_waitcnt lgkmcnt(0)
	v_lshrrev_b32_e32 v19, 16, v29
	v_and_b32_e32 v20, 0xffff, v29
	;;#ASMSTART
	v_cvt_f32_f16 v20, v20;
	;;#ASMEND
	;;#ASMSTART
	v_cvt_f32_f16 v19, v19;
	;;#ASMEND
	;; [unrolled: 3-line block ×4, first 2 shown]
	v_fmac_f32_e32 v27, v20, v18
	v_fmac_f32_e32 v37, v19, v21
	v_add_f32_e32 v18, v27, v37
	ds_bpermute_b32 v19, v24, v18
	v_cndmask_b32_e64 v20, v5, v16, s[4:5]
	s_waitcnt lgkmcnt(0)
	v_add_f32_e32 v18, v18, v19
	v_lshlrev_b32_e32 v19, 2, v20
	ds_bpermute_b32 v19, v19, v18
	s_and_saveexec_b64 s[38:39], vcc
	s_cbranch_execz .LBB104_9
; %bb.11:                               ;   in Loop: Header=BB104_10 Depth=1
	v_add_u32_e32 v20, s15, v13
	v_cvt_f32_i32_e32 v20, v20
	s_waitcnt lgkmcnt(0)
	v_add_f32_e32 v18, v18, v19
	v_cmp_gt_i32_e64 s[4:5], s25, v13
	v_max_f32_e32 v19, v9, v9
	v_mul_f32_e32 v20, s10, v20
	v_cndmask_b32_e64 v20, 0, v20, s[2:3]
	v_fmac_f32_e32 v20, s11, v18
	v_cndmask_b32_e64 v18, 0, v20, s[4:5]
	ds_write_b32 v14, v18
	v_max_f32_e32 v18, v19, v20
	v_cndmask_b32_e64 v9, v9, v18, s[4:5]
	s_branch .LBB104_9
.LBB104_12:
	s_or_b64 exec, exec, s[36:37]
.LBB104_13:
	s_or_b64 exec, exec, s[34:35]
	v_xor_b32_e32 v2, 32, v5
	v_cmp_lt_i32_e32 vcc, v2, v8
	v_cndmask_b32_e32 v2, v5, v2, vcc
	v_lshlrev_b32_e32 v2, 2, v2
	ds_bpermute_b32 v3, v2, v9
	v_xor_b32_e32 v10, 16, v5
	v_max_f32_e32 v9, v9, v9
	v_cmp_lt_i32_e32 vcc, v10, v8
	v_xor_b32_e32 v11, 8, v5
	s_waitcnt lgkmcnt(0)
	v_max_f32_e32 v3, v3, v3
	v_max_f32_e32 v9, v9, v3
	v_cndmask_b32_e32 v3, v5, v10, vcc
	v_lshlrev_b32_e32 v3, 2, v3
	ds_bpermute_b32 v10, v3, v9
	v_cmp_lt_i32_e32 vcc, v11, v8
	s_waitcnt lgkmcnt(0)
	v_max_f32_e32 v10, v10, v10
	v_max_f32_e32 v9, v9, v10
	v_cndmask_b32_e32 v10, v5, v11, vcc
	v_lshlrev_b32_e32 v13, 2, v10
	ds_bpermute_b32 v10, v13, v9
	v_xor_b32_e32 v11, 4, v5
	v_cmp_lt_i32_e32 vcc, v11, v8
	s_waitcnt lgkmcnt(0)
	v_max_f32_e32 v10, v10, v10
	v_max_f32_e32 v10, v9, v10
	v_cndmask_b32_e32 v9, v5, v11, vcc
	v_lshlrev_b32_e32 v14, 2, v9
	ds_bpermute_b32 v12, v14, v10
	v_and_b32_e32 v9, 63, v0
	v_cmp_eq_u32_e32 vcc, 0, v9
	v_lshlrev_b32_e32 v11, 2, v1
	s_and_saveexec_b64 s[2:3], vcc
	s_cbranch_execz .LBB104_15
; %bb.14:
	s_waitcnt lgkmcnt(0)
	v_max_f32_e32 v12, v12, v12
	v_max_f32_e32 v10, v10, v10
	;; [unrolled: 1-line block ×3, first 2 shown]
	ds_write_b32 v11, v10 offset:240
.LBB104_15:
	s_or_b64 exec, exec, s[2:3]
	v_cmp_gt_u32_e64 s[2:3], 2, v9
	v_mov_b32_e32 v10, 0xff7fffff
	s_waitcnt lgkmcnt(0)
	v_lshlrev_b32_e32 v12, 2, v9
	s_barrier
	s_and_saveexec_b64 s[4:5], s[2:3]
	s_cbranch_execz .LBB104_17
; %bb.16:
	ds_read_b32 v10, v12 offset:240
.LBB104_17:
	s_or_b64 exec, exec, s[4:5]
	v_xor_b32_e32 v15, 1, v5
	v_cmp_lt_i32_e64 s[4:5], v15, v8
	v_cndmask_b32_e64 v15, v5, v15, s[4:5]
	v_lshlrev_b32_e32 v16, 2, v15
	s_waitcnt lgkmcnt(0)
	ds_bpermute_b32 v15, v16, v10
	v_max_f32_e32 v10, v10, v10
	s_sub_i32 s4, s33, s7
	s_lshl_b32 s4, s4, 4
	s_add_i32 s4, s4, s40
	s_waitcnt lgkmcnt(0)
	v_max_f32_e32 v15, v15, v15
	v_max_f32_e32 v10, v10, v15
	v_lshlrev_b32_e32 v15, 2, v5
	v_and_b32_e32 v15, 0xffffff00, v15
	ds_bpermute_b32 v10, v15, v10
	s_min_i32 s15, s4, s25
	s_sub_i32 s7, s15, s40
	v_cmp_gt_i32_e64 s[4:5], s7, v0
	v_mov_b32_e32 v17, 0
	s_and_saveexec_b64 s[34:35], s[4:5]
	s_cbranch_execz .LBB104_21
; %bb.18:
	v_mov_b32_e32 v17, 0x100
	v_lshl_add_u32 v18, v0, 2, v17
	s_mov_b64 s[36:37], 0
	v_mov_b32_e32 v17, 0
	v_mov_b32_e32 v19, v0
.LBB104_19:                             ; =>This Inner Loop Header: Depth=1
	ds_read_b32 v20, v18
	v_add_u32_e32 v19, 0x80, v19
	v_cmp_le_i32_e64 s[10:11], s7, v19
	s_or_b64 s[36:37], s[10:11], s[36:37]
	s_waitcnt lgkmcnt(0)
	v_sub_f32_e32 v20, v20, v10
	v_mul_f32_e32 v20, 0x3fb8aa3b, v20
	v_exp_f32_e32 v20, v20
	ds_write_b32 v18, v20
	v_add_f32_e32 v17, v17, v20
	v_add_u32_e32 v18, 0x200, v18
	s_andn2_b64 exec, exec, s[36:37]
	s_cbranch_execnz .LBB104_19
; %bb.20:
	s_or_b64 exec, exec, s[36:37]
.LBB104_21:
	s_or_b64 exec, exec, s[34:35]
	ds_bpermute_b32 v2, v2, v17
	s_waitcnt lgkmcnt(0)
	v_add_f32_e32 v2, v17, v2
	ds_bpermute_b32 v3, v3, v2
	s_waitcnt lgkmcnt(0)
	v_add_f32_e32 v2, v2, v3
	ds_bpermute_b32 v3, v13, v2
	v_xor_b32_e32 v13, 2, v5
	v_cmp_lt_i32_e64 s[10:11], v13, v8
	v_cndmask_b32_e64 v5, v5, v13, s[10:11]
	s_waitcnt lgkmcnt(0)
	v_add_f32_e32 v2, v2, v3
	ds_bpermute_b32 v3, v14, v2
	s_waitcnt lgkmcnt(0)
	v_add_f32_e32 v2, v2, v3
	v_lshlrev_b32_e32 v3, 2, v5
	ds_bpermute_b32 v3, v3, v2
	s_waitcnt lgkmcnt(0)
	v_add_f32_e32 v2, v2, v3
	ds_bpermute_b32 v3, v16, v2
	s_waitcnt lgkmcnt(0)
	v_add_f32_e32 v2, v2, v3
	s_and_saveexec_b64 s[10:11], vcc
	s_cbranch_execz .LBB104_23
; %bb.22:
	ds_write_b32 v11, v2 offset:248
.LBB104_23:
	s_or_b64 exec, exec, s[10:11]
	s_waitcnt lgkmcnt(0)
	s_barrier
	s_and_saveexec_b64 s[10:11], s[2:3]
	s_cbranch_execz .LBB104_25
; %bb.24:
	ds_read_b32 v2, v12 offset:248
.LBB104_25:
	s_or_b64 exec, exec, s[10:11]
	s_waitcnt lgkmcnt(0)
	ds_bpermute_b32 v3, v16, v2
	s_waitcnt lgkmcnt(0)
	v_add_f32_e32 v2, v2, v3
	ds_bpermute_b32 v5, v15, v2
	s_and_saveexec_b64 s[2:3], s[4:5]
	s_cbranch_execz .LBB104_38
; %bb.26:
	s_waitcnt lgkmcnt(0)
	v_add_f32_e32 v2, 0x358637bd, v5
	v_div_scale_f32 v3, s[4:5], v2, v2, 1.0
	v_rcp_f32_e32 v8, v3
	v_div_scale_f32 v11, vcc, 1.0, v2, 1.0
	s_movk_i32 s4, 0x7f
	v_fma_f32 v12, -v3, v8, 1.0
	v_fmac_f32_e32 v8, v12, v8
	v_mul_f32_e32 v12, v11, v8
	v_fma_f32 v13, -v3, v12, v11
	v_fmac_f32_e32 v12, v13, v8
	v_fma_f32 v3, -v3, v12, v11
	v_div_fmas_f32 v3, v3, v8, v12
	v_div_fixup_f32 v2, v3, v2, 1.0
	v_xad_u32 v3, v0, -1, s15
	v_subrev_u32_e32 v8, s40, v3
	v_cmp_lt_u32_e32 vcc, s4, v8
	s_mov_b64 s[10:11], -1
	v_mov_b32_e32 v3, v0
	s_and_saveexec_b64 s[4:5], vcc
	s_cbranch_execz .LBB104_35
; %bb.27:
	v_lshrrev_b32_e32 v8, 7, v8
	v_add_u32_e32 v12, -1, v8
	v_lshrrev_b32_e32 v11, 1, v12
	v_mov_b32_e32 v3, v2
	v_add_u32_e32 v11, 1, v11
	v_cmp_lt_u32_e32 vcc, 13, v12
	v_mov_b32_e32 v14, 0
	s_and_saveexec_b64 s[10:11], vcc
	s_cbranch_execz .LBB104_31
; %bb.28:
	v_mov_b32_e32 v13, 0x100
	v_and_b32_e32 v12, -8, v11
	v_lshl_add_u32 v13, v0, 2, v13
	s_mov_b32 s15, 0
	s_mov_b64 s[34:35], 0
.LBB104_29:                             ; =>This Inner Loop Header: Depth=1
	ds_read2st64_b32 v[14:15], v13 offset1:2
	ds_read2st64_b32 v[18:19], v13 offset0:4 offset1:6
	ds_read2st64_b32 v[20:21], v13 offset0:8 offset1:10
	;; [unrolled: 1-line block ×3, first 2 shown]
	v_add_u32_e32 v12, -8, v12
	s_waitcnt lgkmcnt(3)
	v_pk_mul_f32 v[14:15], v[2:3], v[14:15]
	s_waitcnt lgkmcnt(2)
	v_pk_mul_f32 v[18:19], v[2:3], v[18:19]
	ds_write2st64_b32 v13, v14, v15 offset1:2
	ds_write2st64_b32 v13, v18, v19 offset0:4 offset1:6
	ds_read2st64_b32 v[18:19], v13 offset0:16 offset1:18
	s_waitcnt lgkmcnt(4)
	v_pk_mul_f32 v[14:15], v[2:3], v[20:21]
	ds_write2st64_b32 v13, v14, v15 offset0:8 offset1:10
	s_waitcnt lgkmcnt(4)
	v_pk_mul_f32 v[14:15], v[2:3], v[22:23]
	ds_write2st64_b32 v13, v14, v15 offset0:12 offset1:14
	ds_read2st64_b32 v[14:15], v13 offset0:20 offset1:22
	s_waitcnt lgkmcnt(3)
	v_pk_mul_f32 v[18:19], v[2:3], v[18:19]
	ds_read2st64_b32 v[20:21], v13 offset0:24 offset1:26
	ds_write2st64_b32 v13, v18, v19 offset0:16 offset1:18
	ds_read2st64_b32 v[18:19], v13 offset0:28 offset1:30
	s_waitcnt lgkmcnt(3)
	v_pk_mul_f32 v[14:15], v[2:3], v[14:15]
	ds_write2st64_b32 v13, v14, v15 offset0:20 offset1:22
	s_waitcnt lgkmcnt(3)
	v_pk_mul_f32 v[14:15], v[2:3], v[20:21]
	ds_write2st64_b32 v13, v14, v15 offset0:24 offset1:26
	s_waitcnt lgkmcnt(2)
	v_pk_mul_f32 v[14:15], v[2:3], v[18:19]
	s_add_i32 s15, s15, 16
	v_cmp_eq_u32_e32 vcc, 0, v12
	ds_write2st64_b32 v13, v14, v15 offset0:28 offset1:30
	v_add_u32_e32 v13, 0x2000, v13
	s_or_b64 s[34:35], vcc, s[34:35]
	v_mov_b32_e32 v14, s15
	s_andn2_b64 exec, exec, s[34:35]
	s_cbranch_execnz .LBB104_29
; %bb.30:
	s_or_b64 exec, exec, s[34:35]
.LBB104_31:
	s_or_b64 exec, exec, s[10:11]
	v_and_b32_e32 v11, 7, v11
	v_cmp_ne_u32_e32 vcc, 0, v11
	s_and_saveexec_b64 s[10:11], vcc
	s_cbranch_execz .LBB104_34
; %bb.32:
	v_lshlrev_b32_e32 v12, 9, v14
	v_lshlrev_b32_e32 v13, 2, v0
	s_movk_i32 s15, 0x100
	v_add3_u32 v12, v12, v13, s15
	s_mov_b64 s[34:35], 0
.LBB104_33:                             ; =>This Inner Loop Header: Depth=1
	ds_read2st64_b32 v[14:15], v12 offset1:2
	v_add_u32_e32 v11, -1, v11
	v_cmp_eq_u32_e32 vcc, 0, v11
	s_or_b64 s[34:35], vcc, s[34:35]
	s_waitcnt lgkmcnt(0)
	v_pk_mul_f32 v[14:15], v[2:3], v[14:15]
	ds_write2st64_b32 v12, v14, v15 offset1:2
	v_add_u32_e32 v12, 0x400, v12
	s_andn2_b64 exec, exec, s[34:35]
	s_cbranch_execnz .LBB104_33
.LBB104_34:
	s_or_b64 exec, exec, s[10:11]
	v_add_u32_e32 v8, 1, v8
	v_and_b32_e32 v11, 0x3fffffe, v8
	v_cmp_ne_u32_e32 vcc, v8, v11
	v_lshl_add_u32 v3, v11, 7, v0
	s_orn2_b64 s[10:11], vcc, exec
.LBB104_35:
	s_or_b64 exec, exec, s[4:5]
	s_and_b64 exec, exec, s[10:11]
	s_cbranch_execz .LBB104_38
; %bb.36:
	v_mov_b32_e32 v8, 0x100
	v_lshl_add_u32 v8, v3, 2, v8
	s_mov_b64 s[4:5], 0
.LBB104_37:                             ; =>This Inner Loop Header: Depth=1
	ds_read_b32 v11, v8
	v_add_u32_e32 v3, 0x80, v3
	v_cmp_le_i32_e32 vcc, s7, v3
	s_or_b64 s[4:5], vcc, s[4:5]
	s_waitcnt lgkmcnt(0)
	v_mul_f32_e32 v11, v2, v11
	ds_write_b32 v8, v11
	v_add_u32_e32 v8, 0x200, v8
	s_andn2_b64 exec, exec, s[4:5]
	s_cbranch_execnz .LBB104_37
.LBB104_38:
	s_or_b64 exec, exec, s[2:3]
	s_mul_i32 s2, s21, s24
	v_cmp_eq_u32_e32 vcc, 0, v0
	s_mul_i32 s4, s2, s9
	s_waitcnt lgkmcnt(0)
	s_barrier
	s_and_saveexec_b64 s[2:3], vcc
	s_cbranch_execz .LBB104_40
; %bb.39:
	s_ashr_i32 s5, s4, 31
	s_lshl_b64 s[10:11], s[4:5], 2
	s_add_u32 s5, s18, s10
	s_mul_i32 s6, s21, s6
	s_addc_u32 s9, s19, s11
	s_ashr_i32 s7, s6, 31
	s_lshl_b64 s[6:7], s[6:7], 2
	s_add_u32 s5, s5, s6
	s_addc_u32 s15, s9, s7
	s_ashr_i32 s9, s8, 31
	s_lshl_b64 s[18:19], s[8:9], 2
	s_add_u32 s34, s5, s18
	s_addc_u32 s35, s15, s19
	s_add_u32 s5, s16, s10
	s_addc_u32 s9, s17, s11
	s_add_u32 s5, s5, s6
	s_addc_u32 s7, s9, s7
	s_add_u32 s6, s5, s18
	v_mov_b32_e32 v2, 0
	s_addc_u32 s7, s7, s19
	global_store_dword v2, v10, s[34:35]
	global_store_dword v2, v5, s[6:7]
.LBB104_40:
	s_or_b64 exec, exec, s[2:3]
	v_mov_b32_e32 v11, 0
	v_lshrrev_b32_e32 v18, 1, v9
	v_and_b32_e32 v17, 1, v0
	v_mov_b32_e32 v10, v11
	v_mov_b32_e32 v9, v11
	;; [unrolled: 1-line block ×3, first 2 shown]
	s_and_saveexec_b64 s[6:7], s[0:1]
	s_cbranch_execz .LBB104_54
; %bb.41:
	s_ashr_i32 s15, s14, 31
	s_lshl_b64 s[0:1], s[14:15], 1
	s_add_u32 s9, s30, s0
	v_or_b32_e32 v5, 0x60, v18
	s_movk_i32 s0, 0x78
	v_lshlrev_b32_e32 v2, 3, v0
	s_addc_u32 s2, s31, s1
	s_add_i32 s14, s12, -1
	v_cmp_gt_u32_e32 vcc, s0, v5
	s_lshl_b64 s[0:1], s[28:29], 2
	v_and_b32_e32 v3, 8, v2
	s_add_u32 s0, s26, s0
	v_lshl_or_b32 v2, v18, 4, v3
	v_lshl_or_b32 v10, v5, 4, v3
	v_add3_u32 v19, s40, v4, v3
	v_lshlrev_b32_e32 v3, 5, v17
	v_lshlrev_b64 v[4:5], 2, v[6:7]
	s_addc_u32 s1, s27, s1
	v_mov_b32_e32 v8, 0
	v_lshl_or_b32 v1, v1, 6, v3
	v_mov_b32_e32 v3, s1
	v_add_co_u32_e64 v12, s[0:1], s0, v4
	s_mov_b32 s5, s13
	s_mov_b32 s15, s25
	;; [unrolled: 1-line block ×8, first 2 shown]
	v_add_u32_e32 v1, 0x100, v1
	v_addc_co_u32_e64 v13, s[0:1], v3, v5, s[0:1]
	s_mov_b64 s[10:11], 0
	v_mov_b32_e32 v7, s2
	v_lshlrev_b32_e32 v20, 1, v2
	s_mov_b32 s26, 0x5040100
	v_lshlrev_b32_e32 v21, 1, v10
	v_mov_b32_e32 v9, v8
	v_mov_b32_e32 v10, v8
	v_mov_b32_e32 v11, v8
	s_branch .LBB104_44
.LBB104_42:                             ;   in Loop: Header=BB104_44 Depth=1
	s_or_b64 exec, exec, s[2:3]
	s_waitcnt vmcnt(0)
	;;#ASMSTART
	v_pk_mul_f16 v2, v27, v2;

	;;#ASMEND
	;;#ASMSTART
	v_pk_mul_f16 v3, v26, v3;

	;;#ASMEND
	;;#ASMSTART
	v_pk_mul_f16 v4, v23, v4;

	;;#ASMEND
	;;#ASMSTART
	v_pk_mul_f16 v5, v22, v5;

	;;#ASMEND
	;;#ASMSTART
	v_pk_add_f16 v2, v2, v3;

	;;#ASMEND
	;;#ASMSTART
	v_pk_add_f16 v2, v2, v4;

	;;#ASMEND
	;; [unrolled: 4-line block ×3, first 2 shown]
	v_lshrrev_b32_e32 v3, 16, v2
	v_and_b32_e32 v2, 0xffff, v2
	;;#ASMSTART
	v_cvt_f32_f16 v2, v2;
	;;#ASMEND
	;;#ASMSTART
	v_cvt_f32_f16 v3, v3;
	;;#ASMEND
	v_add_f32_e32 v2, v2, v3
	v_add_f32_e32 v11, v11, v2
.LBB104_43:                             ;   in Loop: Header=BB104_44 Depth=1
	s_or_b64 exec, exec, s[12:13]
	v_add_u32_e32 v6, 2, v6
	v_cmp_le_i32_e64 s[0:1], s33, v6
	s_or_b64 s[10:11], s[0:1], s[10:11]
	v_add_co_u32_e64 v12, s[0:1], 8, v12
	v_add_u32_e32 v19, 32, v19
	v_add_u32_e32 v1, 0x80, v1
	v_addc_co_u32_e64 v13, s[0:1], 0, v13, s[0:1]
	s_andn2_b64 exec, exec, s[10:11]
	s_cbranch_execz .LBB104_53
.LBB104_44:                             ; =>This Inner Loop Header: Depth=1
	global_load_dword v14, v[12:13], off
	ds_read2_b64 v[2:5], v1 offset1:1
	ds_read2_b64 v[30:33], v1 offset0:2 offset1:3
	s_waitcnt lgkmcnt(1)
	;;#ASMSTART
	v_cvt_f16_f32 v22, v2;

	;;#ASMEND
	;;#ASMSTART
	v_cvt_f16_f32 v23, v3;

	;;#ASMEND
	;; [unrolled: 4-line block ×4, first 2 shown]
	s_waitcnt lgkmcnt(0)
	;;#ASMSTART
	v_cvt_f16_f32 v29, v30;

	;;#ASMEND
	;;#ASMSTART
	v_cvt_f16_f32 v30, v31;

	;;#ASMEND
	;; [unrolled: 4-line block ×4, first 2 shown]
	s_waitcnt vmcnt(0)
	v_mad_i64_i32 v[2:3], s[0:1], v14, s5, 0
	v_lshlrev_b64 v[2:3], 1, v[2:3]
	v_add_co_u32_e64 v24, s[0:1], s9, v2
	v_addc_co_u32_e64 v25, s[0:1], v7, v3, s[0:1]
	v_add_co_u32_e64 v14, s[0:1], v24, v20
	v_addc_co_u32_e64 v15, s[0:1], 0, v25, s[0:1]
	global_load_dwordx4 v[2:5], v[14:15], off
	v_cmp_eq_u32_e64 s[0:1], s14, v6
	s_and_saveexec_b64 s[12:13], s[0:1]
	s_cbranch_execz .LBB104_46
; %bb.45:                               ;   in Loop: Header=BB104_44 Depth=1
	v_or_b32_e32 v37, 7, v19
	v_or_b32_e32 v38, 6, v19
	s_waitcnt vmcnt(0)
	v_lshrrev_b32_e32 v39, 16, v5
	v_cmp_gt_i32_e64 s[2:3], s30, v37
	v_cndmask_b32_e64 v37, 0, v39, s[2:3]
	v_cmp_gt_i32_e64 s[2:3], s24, v38
	v_or_b32_e32 v35, 5, v19
	v_cndmask_b32_e64 v5, 0, v5, s[2:3]
	v_or_b32_e32 v36, 4, v19
	v_perm_b32 v5, v37, v5, s26
	v_lshrrev_b32_e32 v37, 16, v4
	v_cmp_gt_i32_e64 s[2:3], s19, v35
	v_cndmask_b32_e64 v35, 0, v37, s[2:3]
	v_cmp_gt_i32_e64 s[2:3], s18, v36
	v_or_b32_e32 v33, 3, v19
	v_cndmask_b32_e64 v4, 0, v4, s[2:3]
	v_or_b32_e32 v34, 2, v19
	v_perm_b32 v4, v35, v4, s26
	v_lshrrev_b32_e32 v35, 16, v3
	v_cmp_gt_i32_e64 s[2:3], s17, v33
	v_cndmask_b32_e64 v33, 0, v35, s[2:3]
	v_cmp_gt_i32_e64 s[2:3], s16, v34
	v_add_u32_e32 v27, 1, v19
	v_cndmask_b32_e64 v3, 0, v3, s[2:3]
	v_perm_b32 v3, v33, v3, s26
	v_lshrrev_b32_e32 v33, 16, v2
	v_cmp_gt_i32_e64 s[2:3], s15, v27
	v_cndmask_b32_e64 v27, 0, v33, s[2:3]
	v_cmp_gt_i32_e64 s[2:3], s25, v19
	v_cndmask_b32_e64 v2, 0, v2, s[2:3]
	v_perm_b32 v2, v27, v2, s26
.LBB104_46:                             ;   in Loop: Header=BB104_44 Depth=1
	s_or_b64 exec, exec, s[12:13]
	v_and_b32_e32 v22, 0xffff, v22
	v_lshl_or_b32 v27, v23, 16, v22
	v_and_b32_e32 v22, 0xffff, v26
	v_lshl_or_b32 v26, v28, 16, v22
	;; [unrolled: 2-line block ×3, first 2 shown]
	v_and_b32_e32 v22, 0xffff, v31
	s_waitcnt vmcnt(0)
	;;#ASMSTART
	v_pk_mul_f16 v2, v27, v2;

	;;#ASMEND
	v_lshl_or_b32 v22, v32, 16, v22
	;;#ASMSTART
	v_pk_mul_f16 v3, v26, v3;

	;;#ASMEND
	;;#ASMSTART
	v_pk_mul_f16 v4, v23, v4;

	;;#ASMEND
	;; [unrolled: 4-line block ×3, first 2 shown]
	;;#ASMSTART
	v_pk_add_f16 v2, v2, v3;

	;;#ASMEND
	;;#ASMSTART
	v_pk_add_f16 v2, v2, v4;

	;;#ASMEND
	;; [unrolled: 4-line block ×3, first 2 shown]
	v_lshrrev_b32_e32 v3, 16, v2
	v_and_b32_e32 v2, 0xffff, v2
	;;#ASMSTART
	v_cvt_f32_f16 v28, v2;
	;;#ASMEND
	;;#ASMSTART
	v_cvt_f32_f16 v29, v3;
	;;#ASMEND
	global_load_dwordx4 v[2:5], v[14:15], off offset:1024
	s_and_saveexec_b64 s[12:13], s[0:1]
	s_cbranch_execz .LBB104_48
; %bb.47:                               ;   in Loop: Header=BB104_44 Depth=1
	v_or_b32_e32 v35, 7, v19
	v_or_b32_e32 v36, 6, v19
	s_waitcnt vmcnt(0)
	v_lshrrev_b32_e32 v37, 16, v5
	v_cmp_gt_i32_e64 s[2:3], s30, v35
	v_cndmask_b32_e64 v35, 0, v37, s[2:3]
	v_cmp_gt_i32_e64 s[2:3], s24, v36
	v_or_b32_e32 v33, 5, v19
	v_cndmask_b32_e64 v5, 0, v5, s[2:3]
	v_or_b32_e32 v34, 4, v19
	v_perm_b32 v5, v35, v5, s26
	v_lshrrev_b32_e32 v35, 16, v4
	v_cmp_gt_i32_e64 s[2:3], s19, v33
	v_cndmask_b32_e64 v33, 0, v35, s[2:3]
	v_cmp_gt_i32_e64 s[2:3], s18, v34
	v_or_b32_e32 v31, 3, v19
	v_cndmask_b32_e64 v4, 0, v4, s[2:3]
	v_or_b32_e32 v32, 2, v19
	v_perm_b32 v4, v33, v4, s26
	v_lshrrev_b32_e32 v33, 16, v3
	v_cmp_gt_i32_e64 s[2:3], s17, v31
	v_cndmask_b32_e64 v31, 0, v33, s[2:3]
	v_cmp_gt_i32_e64 s[2:3], s16, v32
	v_add_u32_e32 v30, 1, v19
	v_cndmask_b32_e64 v3, 0, v3, s[2:3]
	v_perm_b32 v3, v31, v3, s26
	v_lshrrev_b32_e32 v31, 16, v2
	v_cmp_gt_i32_e64 s[2:3], s15, v30
	v_cndmask_b32_e64 v30, 0, v31, s[2:3]
	v_cmp_gt_i32_e64 s[2:3], s25, v19
	v_cndmask_b32_e64 v2, 0, v2, s[2:3]
	v_perm_b32 v2, v30, v2, s26
.LBB104_48:                             ;   in Loop: Header=BB104_44 Depth=1
	s_or_b64 exec, exec, s[12:13]
	s_waitcnt vmcnt(0)
	;;#ASMSTART
	v_pk_mul_f16 v2, v27, v2;

	;;#ASMEND
	;;#ASMSTART
	v_pk_mul_f16 v3, v26, v3;

	;;#ASMEND
	;; [unrolled: 4-line block ×4, first 2 shown]
	;;#ASMSTART
	v_pk_add_f16 v2, v2, v3;

	;;#ASMEND
	;;#ASMSTART
	v_pk_add_f16 v2, v2, v4;

	;;#ASMEND
	;; [unrolled: 4-line block ×3, first 2 shown]
	v_lshrrev_b32_e32 v3, 16, v2
	v_and_b32_e32 v2, 0xffff, v2
	;;#ASMSTART
	v_cvt_f32_f16 v30, v2;
	;;#ASMEND
	;;#ASMSTART
	v_cvt_f32_f16 v31, v3;
	;;#ASMEND
	global_load_dwordx4 v[2:5], v[14:15], off offset:2048
	s_and_saveexec_b64 s[12:13], s[0:1]
	s_cbranch_execz .LBB104_50
; %bb.49:                               ;   in Loop: Header=BB104_44 Depth=1
	v_or_b32_e32 v35, 7, v19
	v_or_b32_e32 v36, 6, v19
	s_waitcnt vmcnt(0)
	v_lshrrev_b32_e32 v37, 16, v5
	v_cmp_gt_i32_e64 s[2:3], s30, v35
	v_cndmask_b32_e64 v35, 0, v37, s[2:3]
	v_cmp_gt_i32_e64 s[2:3], s24, v36
	v_or_b32_e32 v33, 5, v19
	v_cndmask_b32_e64 v5, 0, v5, s[2:3]
	v_or_b32_e32 v34, 4, v19
	v_perm_b32 v5, v35, v5, s26
	v_lshrrev_b32_e32 v35, 16, v4
	v_cmp_gt_i32_e64 s[2:3], s19, v33
	v_cndmask_b32_e64 v33, 0, v35, s[2:3]
	v_cmp_gt_i32_e64 s[2:3], s18, v34
	v_or_b32_e32 v15, 3, v19
	v_cndmask_b32_e64 v4, 0, v4, s[2:3]
	v_or_b32_e32 v32, 2, v19
	v_perm_b32 v4, v33, v4, s26
	v_lshrrev_b32_e32 v33, 16, v3
	v_cmp_gt_i32_e64 s[2:3], s17, v15
	v_cndmask_b32_e64 v15, 0, v33, s[2:3]
	v_cmp_gt_i32_e64 s[2:3], s16, v32
	v_add_u32_e32 v14, 1, v19
	v_cndmask_b32_e64 v3, 0, v3, s[2:3]
	v_perm_b32 v3, v15, v3, s26
	v_lshrrev_b32_e32 v15, 16, v2
	v_cmp_gt_i32_e64 s[2:3], s15, v14
	v_cndmask_b32_e64 v14, 0, v15, s[2:3]
	v_cmp_gt_i32_e64 s[2:3], s25, v19
	v_cndmask_b32_e64 v2, 0, v2, s[2:3]
	v_perm_b32 v2, v14, v2, s26
.LBB104_50:                             ;   in Loop: Header=BB104_44 Depth=1
	s_or_b64 exec, exec, s[12:13]
	s_waitcnt vmcnt(0)
	;;#ASMSTART
	v_pk_mul_f16 v2, v27, v2;

	;;#ASMEND
	;;#ASMSTART
	v_pk_mul_f16 v3, v26, v3;

	;;#ASMEND
	;; [unrolled: 4-line block ×4, first 2 shown]
	;;#ASMSTART
	v_pk_add_f16 v2, v2, v3;

	;;#ASMEND
	;;#ASMSTART
	v_pk_add_f16 v2, v2, v4;

	;;#ASMEND
	;; [unrolled: 4-line block ×3, first 2 shown]
	v_lshrrev_b32_e32 v3, 16, v2
	v_and_b32_e32 v2, 0xffff, v2
	v_add_f32_e32 v14, v28, v29
	;;#ASMSTART
	v_cvt_f32_f16 v2, v2;
	;;#ASMEND
	v_add_f32_e32 v8, v8, v14
	v_add_f32_e32 v14, v30, v31
	;;#ASMSTART
	v_cvt_f32_f16 v3, v3;
	;;#ASMEND
	v_add_f32_e32 v2, v2, v3
	v_add_f32_e32 v9, v9, v14
	;; [unrolled: 1-line block ×3, first 2 shown]
	s_and_saveexec_b64 s[12:13], vcc
	s_cbranch_execz .LBB104_43
; %bb.51:                               ;   in Loop: Header=BB104_44 Depth=1
	v_add_co_u32_e64 v2, s[2:3], v24, v21
	v_addc_co_u32_e64 v3, s[2:3], 0, v25, s[2:3]
	global_load_dwordx4 v[2:5], v[2:3], off
	s_and_saveexec_b64 s[2:3], s[0:1]
	s_cbranch_execz .LBB104_42
; %bb.52:                               ;   in Loop: Header=BB104_44 Depth=1
	v_or_b32_e32 v29, 7, v19
	v_or_b32_e32 v30, 6, v19
	s_waitcnt vmcnt(0)
	v_lshrrev_b32_e32 v31, 16, v5
	v_cmp_gt_i32_e64 s[0:1], s30, v29
	v_cndmask_b32_e64 v29, 0, v31, s[0:1]
	v_cmp_gt_i32_e64 s[0:1], s24, v30
	v_or_b32_e32 v25, 5, v19
	v_cndmask_b32_e64 v5, 0, v5, s[0:1]
	v_or_b32_e32 v28, 4, v19
	v_perm_b32 v5, v29, v5, s26
	v_lshrrev_b32_e32 v29, 16, v4
	v_cmp_gt_i32_e64 s[0:1], s19, v25
	v_cndmask_b32_e64 v25, 0, v29, s[0:1]
	v_cmp_gt_i32_e64 s[0:1], s18, v28
	v_or_b32_e32 v15, 3, v19
	v_cndmask_b32_e64 v4, 0, v4, s[0:1]
	v_or_b32_e32 v24, 2, v19
	v_perm_b32 v4, v25, v4, s26
	v_lshrrev_b32_e32 v25, 16, v3
	v_cmp_gt_i32_e64 s[0:1], s17, v15
	v_cndmask_b32_e64 v15, 0, v25, s[0:1]
	v_cmp_gt_i32_e64 s[0:1], s16, v24
	v_add_u32_e32 v14, 1, v19
	v_cndmask_b32_e64 v3, 0, v3, s[0:1]
	v_perm_b32 v3, v15, v3, s26
	v_lshrrev_b32_e32 v15, 16, v2
	v_cmp_gt_i32_e64 s[0:1], s15, v14
	v_cndmask_b32_e64 v14, 0, v15, s[0:1]
	v_cmp_gt_i32_e64 s[0:1], s25, v19
	v_cndmask_b32_e64 v2, 0, v2, s[0:1]
	v_perm_b32 v2, v14, v2, s26
	s_branch .LBB104_42
.LBB104_53:
	s_or_b64 exec, exec, s[10:11]
.LBB104_54:
	s_or_b64 exec, exec, s[6:7]
	ds_bpermute_b32 v2, v16, v8
	ds_bpermute_b32 v3, v16, v9
	;; [unrolled: 1-line block ×4, first 2 shown]
	v_and_b32_e32 v1, 0x3c0, v0
	v_cmp_eq_u32_e32 vcc, 64, v1
	s_waitcnt lgkmcnt(2)
	v_pk_add_f32 v[4:5], v[8:9], v[2:3]
	s_waitcnt lgkmcnt(0)
	v_pk_add_f32 v[2:3], v[10:11], v[6:7]
	s_barrier
	s_and_saveexec_b64 s[2:3], vcc
	s_cbranch_execz .LBB104_59
; %bb.55:
	v_cmp_eq_u32_e32 vcc, 0, v17
	s_and_saveexec_b64 s[0:1], vcc
	s_cbranch_execz .LBB104_57
; %bb.56:
	v_mov_b32_e32 v1, 0x100
	v_lshl_add_u32 v1, v18, 2, v1
	ds_write2_b32 v1, v4, v5 offset1:32
	ds_write_b32 v1, v2 offset:256
.LBB104_57:
	s_or_b64 exec, exec, s[0:1]
	v_or_b32_e32 v1, 0x60, v18
	s_movk_i32 s0, 0x78
	v_cmp_gt_u32_e64 s[0:1], s0, v1
	s_and_b64 s[0:1], vcc, s[0:1]
	s_and_b64 exec, exec, s[0:1]
	s_cbranch_execz .LBB104_59
; %bb.58:
	v_mov_b32_e32 v1, 0x100
	v_lshl_add_u32 v1, v18, 2, v1
	ds_write_b32 v1, v3 offset:384
.LBB104_59:
	s_or_b64 exec, exec, s[2:3]
	v_cmp_gt_u32_e32 vcc, 64, v0
	v_lshrrev_b32_e32 v0, 1, v0
	s_waitcnt lgkmcnt(0)
	s_barrier
	s_and_saveexec_b64 s[6:7], vcc
	s_cbranch_execz .LBB104_67
; %bb.60:
	v_cmp_eq_u32_e64 s[0:1], 0, v17
	s_and_saveexec_b64 s[2:3], s[0:1]
	s_cbranch_execnz .LBB104_73
; %bb.61:
	s_or_b64 exec, exec, s[2:3]
	s_and_saveexec_b64 s[2:3], s[0:1]
	s_cbranch_execnz .LBB104_74
.LBB104_62:
	s_or_b64 exec, exec, s[2:3]
	s_and_saveexec_b64 s[2:3], s[0:1]
	s_cbranch_execz .LBB104_64
.LBB104_63:
	v_mov_b32_e32 v1, 0x100
	v_lshl_add_u32 v1, v0, 2, v1
	ds_read_b32 v1, v1 offset:256
	s_waitcnt lgkmcnt(0)
	v_add_f32_e32 v2, v2, v1
.LBB104_64:
	s_or_b64 exec, exec, s[2:3]
	v_or_b32_e32 v1, 0x60, v0
	s_movk_i32 s2, 0x78
	v_cmp_gt_u32_e64 s[2:3], s2, v1
	s_and_b64 s[2:3], s[0:1], s[2:3]
	s_and_saveexec_b64 s[0:1], s[2:3]
	s_cbranch_execz .LBB104_66
; %bb.65:
	v_mov_b32_e32 v1, 0x100
	v_lshl_add_u32 v1, v0, 2, v1
	ds_read_b32 v1, v1 offset:384
	s_waitcnt lgkmcnt(0)
	v_add_f32_e32 v3, v3, v1
.LBB104_66:
	s_or_b64 exec, exec, s[0:1]
.LBB104_67:
	s_or_b64 exec, exec, s[6:7]
	s_barrier
	s_and_saveexec_b64 s[0:1], vcc
	s_cbranch_execz .LBB104_72
; %bb.68:
	s_mul_i32 s0, s4, 0x78
	s_ashr_i32 s1, s0, 31
	s_lshl_b64 s[0:1], s[0:1], 1
	s_add_u32 s2, s22, s0
	s_mul_i32 s0, s21, s20
	s_addc_u32 s3, s23, s1
	s_ashr_i32 s1, s0, 31
	s_lshl_b64 s[0:1], s[0:1], 1
	s_add_u32 s2, s2, s0
	s_mul_i32 s0, s8, 0x78
	s_addc_u32 s3, s3, s1
	s_ashr_i32 s1, s0, 31
	s_lshl_b64 s[0:1], s[0:1], 1
	s_add_u32 s2, s2, s0
	s_movk_i32 s5, 0x78
	s_addc_u32 s3, s3, s1
	v_cmp_eq_u32_e32 vcc, 0, v17
	v_lshlrev_b32_e32 v1, 1, v0
	s_and_saveexec_b64 s[0:1], vcc
	s_cbranch_execz .LBB104_70
; %bb.69:
	;;#ASMSTART
	v_cvt_f16_f32 v4, v4;

	;;#ASMEND
	global_store_short v1, v4, s[2:3]
	;;#ASMSTART
	v_cvt_f16_f32 v4, v5;

	;;#ASMEND
	global_store_short v1, v4, s[2:3] offset:64
	;;#ASMSTART
	v_cvt_f16_f32 v2, v2;

	;;#ASMEND
	global_store_short v1, v2, s[2:3] offset:128
.LBB104_70:
	s_or_b64 exec, exec, s[0:1]
	v_or_b32_e32 v0, 0x60, v0
	v_cmp_gt_u32_e64 s[0:1], s5, v0
	s_and_b64 s[0:1], vcc, s[0:1]
	s_and_b64 exec, exec, s[0:1]
	s_cbranch_execz .LBB104_72
; %bb.71:
	;;#ASMSTART
	v_cvt_f16_f32 v0, v3;

	;;#ASMEND
	global_store_short v1, v0, s[2:3] offset:192
.LBB104_72:
	s_endpgm
.LBB104_73:
	v_mov_b32_e32 v1, 0x100
	v_lshl_add_u32 v1, v0, 2, v1
	ds_read_b32 v1, v1
	s_waitcnt lgkmcnt(0)
	v_add_f32_e32 v4, v4, v1
	s_or_b64 exec, exec, s[2:3]
	s_and_saveexec_b64 s[2:3], s[0:1]
	s_cbranch_execz .LBB104_62
.LBB104_74:
	v_mov_b32_e32 v1, 0x100
	v_lshl_add_u32 v1, v0, 2, v1
	ds_read_b32 v1, v1 offset:128
	s_waitcnt lgkmcnt(0)
	v_add_f32_e32 v5, v5, v1
	s_or_b64 exec, exec, s[2:3]
	s_and_saveexec_b64 s[2:3], s[0:1]
	s_cbranch_execnz .LBB104_63
	s_branch .LBB104_64
	.section	.rodata,"a",@progbits
	.p2align	6, 0x0
	.amdhsa_kernel _ZN4vllm25paged_attention_v2_kernelIttLi120ELi16ELi128ELNS_18Fp8KVCacheDataTypeE0ELb0ELi512EEEvPfS2_PT_PKS3_PKT0_S9_ifPKiSB_iPKfiiiSD_SD_iiiii
		.amdhsa_group_segment_fixed_size 256
		.amdhsa_private_segment_fixed_size 0
		.amdhsa_kernarg_size 400
		.amdhsa_user_sgpr_count 6
		.amdhsa_user_sgpr_private_segment_buffer 1
		.amdhsa_user_sgpr_dispatch_ptr 0
		.amdhsa_user_sgpr_queue_ptr 0
		.amdhsa_user_sgpr_kernarg_segment_ptr 1
		.amdhsa_user_sgpr_dispatch_id 0
		.amdhsa_user_sgpr_flat_scratch_init 0
		.amdhsa_user_sgpr_kernarg_preload_length 0
		.amdhsa_user_sgpr_kernarg_preload_offset 0
		.amdhsa_user_sgpr_private_segment_size 0
		.amdhsa_uses_dynamic_stack 0
		.amdhsa_system_sgpr_private_segment_wavefront_offset 0
		.amdhsa_system_sgpr_workgroup_id_x 1
		.amdhsa_system_sgpr_workgroup_id_y 1
		.amdhsa_system_sgpr_workgroup_id_z 1
		.amdhsa_system_sgpr_workgroup_info 0
		.amdhsa_system_vgpr_workitem_id 0
		.amdhsa_next_free_vgpr 66
		.amdhsa_next_free_sgpr 42
		.amdhsa_accum_offset 68
		.amdhsa_reserve_vcc 1
		.amdhsa_reserve_flat_scratch 0
		.amdhsa_float_round_mode_32 0
		.amdhsa_float_round_mode_16_64 0
		.amdhsa_float_denorm_mode_32 3
		.amdhsa_float_denorm_mode_16_64 3
		.amdhsa_dx10_clamp 1
		.amdhsa_ieee_mode 1
		.amdhsa_fp16_overflow 0
		.amdhsa_tg_split 0
		.amdhsa_exception_fp_ieee_invalid_op 0
		.amdhsa_exception_fp_denorm_src 0
		.amdhsa_exception_fp_ieee_div_zero 0
		.amdhsa_exception_fp_ieee_overflow 0
		.amdhsa_exception_fp_ieee_underflow 0
		.amdhsa_exception_fp_ieee_inexact 0
		.amdhsa_exception_int_div_zero 0
	.end_amdhsa_kernel
	.section	.text._ZN4vllm25paged_attention_v2_kernelIttLi120ELi16ELi128ELNS_18Fp8KVCacheDataTypeE0ELb0ELi512EEEvPfS2_PT_PKS3_PKT0_S9_ifPKiSB_iPKfiiiSD_SD_iiiii,"axG",@progbits,_ZN4vllm25paged_attention_v2_kernelIttLi120ELi16ELi128ELNS_18Fp8KVCacheDataTypeE0ELb0ELi512EEEvPfS2_PT_PKS3_PKT0_S9_ifPKiSB_iPKfiiiSD_SD_iiiii,comdat
.Lfunc_end104:
	.size	_ZN4vllm25paged_attention_v2_kernelIttLi120ELi16ELi128ELNS_18Fp8KVCacheDataTypeE0ELb0ELi512EEEvPfS2_PT_PKS3_PKT0_S9_ifPKiSB_iPKfiiiSD_SD_iiiii, .Lfunc_end104-_ZN4vllm25paged_attention_v2_kernelIttLi120ELi16ELi128ELNS_18Fp8KVCacheDataTypeE0ELb0ELi512EEEvPfS2_PT_PKS3_PKT0_S9_ifPKiSB_iPKfiiiSD_SD_iiiii
                                        ; -- End function
	.section	.AMDGPU.csdata,"",@progbits
; Kernel info:
; codeLenInByte = 6400
; NumSgprs: 46
; NumVgprs: 66
; NumAgprs: 0
; TotalNumVgprs: 66
; ScratchSize: 0
; MemoryBound: 0
; FloatMode: 240
; IeeeMode: 1
; LDSByteSize: 256 bytes/workgroup (compile time only)
; SGPRBlocks: 5
; VGPRBlocks: 8
; NumSGPRsForWavesPerEU: 46
; NumVGPRsForWavesPerEU: 66
; AccumOffset: 68
; Occupancy: 7
; WaveLimiterHint : 1
; COMPUTE_PGM_RSRC2:SCRATCH_EN: 0
; COMPUTE_PGM_RSRC2:USER_SGPR: 6
; COMPUTE_PGM_RSRC2:TRAP_HANDLER: 0
; COMPUTE_PGM_RSRC2:TGID_X_EN: 1
; COMPUTE_PGM_RSRC2:TGID_Y_EN: 1
; COMPUTE_PGM_RSRC2:TGID_Z_EN: 1
; COMPUTE_PGM_RSRC2:TIDIG_COMP_CNT: 0
; COMPUTE_PGM_RSRC3_GFX90A:ACCUM_OFFSET: 16
; COMPUTE_PGM_RSRC3_GFX90A:TG_SPLIT: 0
	.section	.text._ZN4vllm25paged_attention_v2_kernelIttLi128ELi16ELi128ELNS_18Fp8KVCacheDataTypeE0ELb0ELi512EEEvPfS2_PT_PKS3_PKT0_S9_ifPKiSB_iPKfiiiSD_SD_iiiii,"axG",@progbits,_ZN4vllm25paged_attention_v2_kernelIttLi128ELi16ELi128ELNS_18Fp8KVCacheDataTypeE0ELb0ELi512EEEvPfS2_PT_PKS3_PKT0_S9_ifPKiSB_iPKfiiiSD_SD_iiiii,comdat
	.protected	_ZN4vllm25paged_attention_v2_kernelIttLi128ELi16ELi128ELNS_18Fp8KVCacheDataTypeE0ELb0ELi512EEEvPfS2_PT_PKS3_PKT0_S9_ifPKiSB_iPKfiiiSD_SD_iiiii ; -- Begin function _ZN4vllm25paged_attention_v2_kernelIttLi128ELi16ELi128ELNS_18Fp8KVCacheDataTypeE0ELb0ELi512EEEvPfS2_PT_PKS3_PKT0_S9_ifPKiSB_iPKfiiiSD_SD_iiiii
	.globl	_ZN4vllm25paged_attention_v2_kernelIttLi128ELi16ELi128ELNS_18Fp8KVCacheDataTypeE0ELb0ELi512EEEvPfS2_PT_PKS3_PKT0_S9_ifPKiSB_iPKfiiiSD_SD_iiiii
	.p2align	8
	.type	_ZN4vllm25paged_attention_v2_kernelIttLi128ELi16ELi128ELNS_18Fp8KVCacheDataTypeE0ELb0ELi512EEEvPfS2_PT_PKS3_PKT0_S9_ifPKiSB_iPKfiiiSD_SD_iiiii,@function
_ZN4vllm25paged_attention_v2_kernelIttLi128ELi16ELi128ELNS_18Fp8KVCacheDataTypeE0ELb0ELi512EEEvPfS2_PT_PKS3_PKT0_S9_ifPKiSB_iPKfiiiSD_SD_iiiii: ; @_ZN4vllm25paged_attention_v2_kernelIttLi128ELi16ELi128ELNS_18Fp8KVCacheDataTypeE0ELb0ELi512EEEvPfS2_PT_PKS3_PKT0_S9_ifPKiSB_iPKfiiiSD_SD_iiiii
; %bb.0:
	s_load_dwordx2 s[0:1], s[4:5], 0x40
	s_mov_b32 s26, s7
	s_ashr_i32 s27, s7, 31
	s_lshl_b64 s[2:3], s[26:27], 2
	s_waitcnt lgkmcnt(0)
	s_add_u32 s0, s0, s2
	s_addc_u32 s1, s1, s3
	s_load_dword s27, s[0:1], 0x0
	s_lshl_b32 s33, s8, 9
	s_waitcnt lgkmcnt(0)
	s_cmp_ge_i32 s33, s27
	s_cbranch_scc1 .LBB105_63
; %bb.1:
	s_load_dword s9, s[4:5], 0x90
	s_load_dwordx2 s[12:13], s[4:5], 0x30
	s_waitcnt lgkmcnt(0)
	s_abs_i32 s2, s9
	s_abs_i32 s0, s12
	v_cvt_f32_u32_e32 v1, s0
	s_sub_i32 s3, 0, s0
	s_xor_b32 s1, s9, s12
	s_ashr_i32 s1, s1, 31
	v_rcp_iflag_f32_e32 v1, v1
	s_mov_b32 s12, 0
	v_mul_f32_e32 v1, 0x4f7ffffe, v1
	v_cvt_u32_f32_e32 v1, v1
	v_readfirstlane_b32 s7, v1
	s_mul_i32 s3, s3, s7
	s_mul_hi_u32 s3, s7, s3
	s_add_i32 s7, s7, s3
	s_mul_hi_u32 s3, s2, s7
	s_mul_i32 s7, s3, s0
	s_sub_i32 s2, s2, s7
	s_add_i32 s10, s3, 1
	s_sub_i32 s7, s2, s0
	s_cmp_ge_u32 s2, s0
	s_cselect_b32 s3, s10, s3
	s_cselect_b32 s2, s7, s2
	s_add_i32 s7, s3, 1
	s_cmp_ge_u32 s2, s0
	s_cselect_b32 s0, s7, s3
	s_xor_b32 s0, s0, s1
	s_sub_i32 s2, s0, s1
	s_abs_i32 s10, s2
	v_cvt_f32_u32_e32 v1, s10
	s_load_dwordx2 s[0:1], s[4:5], 0x50
	s_sub_i32 s3, 0, s10
	s_abs_i32 s11, s6
	v_rcp_iflag_f32_e32 v1, v1
	v_mul_f32_e32 v1, 0x4f7ffffe, v1
	v_cvt_u32_f32_e32 v1, v1
	v_readfirstlane_b32 s7, v1
	s_mul_i32 s3, s3, s7
	s_mul_hi_u32 s3, s7, s3
	s_add_i32 s7, s7, s3
	s_waitcnt lgkmcnt(0)
	s_cmp_eq_u64 s[0:1], 0
	s_mul_hi_u32 s20, s11, s7
	s_cbranch_scc1 .LBB105_3
; %bb.2:
	s_ashr_i32 s7, s6, 31
	s_lshl_b64 s[14:15], s[6:7], 2
	s_add_u32 s0, s0, s14
	s_addc_u32 s1, s1, s15
	s_load_dword s12, s[0:1], 0x0
.LBB105_3:
	s_load_dwordx4 s[16:19], s[4:5], 0x58
	s_ashr_i32 s21, s6, 31
	s_waitcnt lgkmcnt(0)
	s_ashr_i32 s19, s2, 31
	v_and_b32_e32 v2, 3, v0
	s_lshl_b32 s14, s6, 7
	v_cmp_gt_u32_e64 s[0:1], 64, v0
	s_and_saveexec_b64 s[2:3], s[0:1]
	s_cbranch_execz .LBB105_5
; %bb.4:
	s_load_dwordx2 s[22:23], s[4:5], 0x18
	s_mul_i32 s24, s26, s16
	s_ashr_i32 s25, s24, 31
	s_lshl_b64 s[24:25], s[24:25], 1
	v_lshlrev_b32_e32 v1, 2, v0
	s_waitcnt lgkmcnt(0)
	s_add_u32 s7, s22, s24
	s_addc_u32 s16, s23, s25
	s_ashr_i32 s15, s14, 31
	s_lshl_b64 s[22:23], s[14:15], 1
	s_add_u32 s22, s7, s22
	s_addc_u32 s23, s16, s23
	global_load_dword v1, v1, s[22:23]
	v_and_b32_e32 v3, 0x3fc, v0
	v_lshl_add_u32 v3, v2, 6, v3
	s_waitcnt vmcnt(0)
	ds_write_b32 v3, v1
.LBB105_5:
	s_or_b64 exec, exec, s[2:3]
	s_add_i32 s2, s27, 15
	s_ashr_i32 s3, s2, 31
	s_lshr_b32 s3, s3, 28
	s_add_i32 s2, s2, s3
	s_lshl_b32 s7, s8, 5
	s_mul_i32 s3, s20, s10
	s_ashr_i32 s42, s2, 4
	s_add_i32 s2, s7, 32
	s_sub_i32 s3, s11, s3
	s_min_i32 s16, s2, s42
	s_xor_b32 s2, s21, s19
	s_add_i32 s11, s20, 1
	s_sub_i32 s15, s3, s10
	s_cmp_ge_u32 s3, s10
	s_cselect_b32 s11, s11, s20
	s_cselect_b32 s3, s15, s3
	s_add_i32 s15, s11, 1
	s_cmp_ge_u32 s3, s10
	s_load_dwordx2 s[28:29], s[4:5], 0x38
	s_load_dword s10, s[4:5], 0x48
	v_lshrrev_b32_e32 v1, 6, v0
	s_cselect_b32 s3, s15, s11
	s_xor_b32 s3, s3, s2
	v_or_b32_e32 v6, s7, v1
	s_waitcnt lgkmcnt(0)
	s_mul_i32 s30, s26, s10
	s_sub_i32 s19, s3, s2
	s_ashr_i32 s31, s30, 31
	v_cmp_gt_i32_e64 s[2:3], s16, v6
	v_cmp_le_i32_e32 vcc, s16, v6
	v_mbcnt_lo_u32_b32 v4, -1, 0
	s_barrier
	s_waitcnt lgkmcnt(0)
                                        ; implicit-def: $sgpr38
                                        ; implicit-def: $vgpr8
                                        ; implicit-def: $vgpr9
	s_and_saveexec_b64 s[10:11], vcc
	s_xor_b64 s[10:11], exec, s[10:11]
; %bb.6:
	v_mbcnt_hi_u32_b32 v8, -1, v4
	v_and_b32_e32 v2, 64, v8
	v_add_u32_e32 v9, 64, v2
	s_mov_b32 s38, 0xff7fffff
                                        ; implicit-def: $vgpr2
                                        ; implicit-def: $vgpr4
; %bb.7:
	s_or_saveexec_b64 s[36:37], s[10:11]
	s_load_dwordx4 s[20:23], s[4:5], 0x0
	s_load_dwordx2 s[24:25], s[4:5], 0x10
	s_load_dwordx2 s[34:35], s[4:5], 0x28
	s_load_dword s15, s[4:5], 0x98
	v_mov_b32_e32 v10, s38
	s_mul_i32 s18, s19, s18
	v_ashrrev_i32_e32 v7, 31, v6
	v_lshlrev_b32_e32 v12, 4, v1
	s_xor_b64 exec, exec, s[36:37]
	s_cbranch_execz .LBB105_13
; %bb.8:
	s_load_dwordx2 s[4:5], s[4:5], 0x20
	s_ashr_i32 s19, s18, 31
	s_lshl_b64 s[10:11], s[18:19], 1
	v_bfe_u32 v3, v0, 2, 4
	v_lshlrev_b32_e32 v5, 4, v3
	s_waitcnt lgkmcnt(0)
	s_add_u32 s4, s4, s10
	s_addc_u32 s5, s5, s11
	v_mov_b32_e32 v8, s5
	v_add_co_u32_e32 v5, vcc, s4, v5
	v_lshlrev_b32_e32 v9, 2, v0
	v_addc_co_u32_e32 v8, vcc, 0, v8, vcc
	v_and_b32_e32 v9, 12, v9
	v_add_co_u32_e32 v11, vcc, v5, v9
	v_addc_co_u32_e32 v13, vcc, 0, v8, vcc
	v_lshlrev_b32_e32 v14, 6, v2
	v_cmp_eq_u32_e32 vcc, 0, v2
	s_sub_i32 s19, 1, s27
	v_lshlrev_b32_e32 v2, 2, v3
	s_lshl_b64 s[10:11], s[30:31], 2
	v_lshl_or_b32 v2, v1, 6, v2
	s_add_u32 s10, s28, s10
	v_add3_u32 v15, s33, v12, v3
	v_add_u32_e32 v16, 0x110, v2
	v_lshlrev_b64 v[2:3], 2, v[6:7]
	s_addc_u32 s11, s29, s11
	v_mbcnt_hi_u32_b32 v8, -1, v4
	v_mov_b32_e32 v5, s11
	v_add_co_u32_e64 v2, s[10:11], s10, v2
	v_and_b32_e32 v4, 64, v8
	s_mov_b32 s43, s17
	v_cmp_neq_f32_e64 s[4:5], s12, 0
	v_addc_co_u32_e64 v3, s[10:11], v5, v3, s[10:11]
	s_mov_b64 s[38:39], 0
	v_mov_b32_e32 v10, 0xff7fffff
	v_add_u32_e32 v9, 64, v4
	v_xor_b32_e32 v17, 2, v8
	v_xor_b32_e32 v18, 1, v8
	v_mov_b32_e32 v19, v6
	s_branch .LBB105_10
.LBB105_9:                              ;   in Loop: Header=BB105_10 Depth=1
	s_or_b64 exec, exec, s[40:41]
	v_add_u32_e32 v19, 2, v19
	v_cmp_le_i32_e64 s[10:11], s16, v19
	s_or_b64 s[38:39], s[10:11], s[38:39]
	v_add_co_u32_e64 v2, s[10:11], 8, v2
	v_add_u32_e32 v15, 32, v15
	v_add_u32_e32 v16, 0x80, v16
	v_addc_co_u32_e64 v3, s[10:11], 0, v3, s[10:11]
	s_andn2_b64 exec, exec, s[38:39]
	s_cbranch_execz .LBB105_12
.LBB105_10:                             ; =>This Inner Loop Header: Depth=1
	global_load_dword v4, v[2:3], off
	s_waitcnt vmcnt(0) lgkmcnt(0)
	v_mad_i64_i32 v[4:5], s[10:11], v4, s43, 0
	v_lshlrev_b64 v[4:5], 1, v[4:5]
	v_add_co_u32_e64 v4, s[10:11], v11, v4
	v_addc_co_u32_e64 v5, s[10:11], v13, v5, s[10:11]
	global_load_dword v28, v[4:5], off
	global_load_dword v29, v[4:5], off offset:256
	global_load_dword v30, v[4:5], off offset:512
	;; [unrolled: 1-line block ×12, first 2 shown]
	ds_read_b32 v34, v14
	global_load_dword v20, v[4:5], off offset:3328
	global_load_dword v36, v[4:5], off offset:3584
	v_cmp_lt_i32_e64 s[10:11], v17, v9
	global_load_dword v4, v[4:5], off offset:3840
	s_waitcnt lgkmcnt(0)
	v_lshrrev_b32_e32 v37, 16, v34
	v_and_b32_e32 v34, 0xffff, v34
	;;#ASMSTART
	v_cvt_f32_f16 v5, v34;
	;;#ASMEND
	;;#ASMSTART
	v_cvt_f32_f16 v34, v37;
	;;#ASMEND
	v_cndmask_b32_e64 v35, v8, v17, s[10:11]
	v_lshlrev_b32_e32 v35, 2, v35
	v_cmp_lt_i32_e64 s[10:11], v18, v9
	s_waitcnt vmcnt(15)
	v_lshrrev_b32_e32 v37, 16, v28
	v_and_b32_e32 v28, 0xffff, v28
	;;#ASMSTART
	v_cvt_f32_f16 v28, v28;
	;;#ASMEND
	;;#ASMSTART
	v_cvt_f32_f16 v37, v37;
	;;#ASMEND
	ds_read_b32 v38, v14 offset:4
	s_waitcnt vmcnt(14)
	v_lshrrev_b32_e32 v39, 16, v29
	v_and_b32_e32 v29, 0xffff, v29
	s_waitcnt vmcnt(13)
	v_lshrrev_b32_e32 v40, 16, v30
	v_and_b32_e32 v30, 0xffff, v30
	s_waitcnt lgkmcnt(0)
	v_lshrrev_b32_e32 v41, 16, v38
	v_and_b32_e32 v38, 0xffff, v38
	;;#ASMSTART
	v_cvt_f32_f16 v38, v38;
	;;#ASMEND
	;;#ASMSTART
	v_cvt_f32_f16 v41, v41;
	;;#ASMEND
	;;#ASMSTART
	v_cvt_f32_f16 v29, v29;
	;;#ASMEND
	;;#ASMSTART
	v_cvt_f32_f16 v39, v39;
	;;#ASMEND
	ds_read_b32 v42, v14 offset:8
	s_waitcnt vmcnt(12)
	v_lshrrev_b32_e32 v43, 16, v31
	v_and_b32_e32 v31, 0xffff, v31
	s_waitcnt vmcnt(11)
	v_lshrrev_b32_e32 v44, 16, v32
	v_and_b32_e32 v32, 0xffff, v32
	s_waitcnt lgkmcnt(0)
	v_lshrrev_b32_e32 v45, 16, v42
	v_and_b32_e32 v42, 0xffff, v42
	;;#ASMSTART
	v_cvt_f32_f16 v42, v42;
	;;#ASMEND
	;;#ASMSTART
	v_cvt_f32_f16 v45, v45;
	;;#ASMEND
	;; [unrolled: 22-line block ×4, first 2 shown]
	;;#ASMSTART
	v_cvt_f32_f16 v32, v32;
	;;#ASMEND
	;;#ASMSTART
	v_cvt_f32_f16 v44, v44;
	;;#ASMEND
	ds_read_b32 v54, v14 offset:20
	v_mul_f32_e32 v29, v38, v29
	v_mul_f32_e32 v38, v41, v39
	s_waitcnt vmcnt(6)
	v_lshrrev_b32_e32 v55, 16, v24
	v_and_b32_e32 v24, 0xffff, v24
	s_waitcnt lgkmcnt(0)
	v_lshrrev_b32_e32 v57, 16, v54
	v_and_b32_e32 v54, 0xffff, v54
	;;#ASMSTART
	v_cvt_f32_f16 v54, v54;
	;;#ASMEND
	;;#ASMSTART
	v_cvt_f32_f16 v57, v57;
	;;#ASMEND
	;; [unrolled: 3-line block ×4, first 2 shown]
	ds_read_b32 v58, v14 offset:24
	v_fmac_f32_e32 v29, v5, v28
	v_fmac_f32_e32 v38, v34, v37
	;; [unrolled: 1-line block ×4, first 2 shown]
	s_waitcnt lgkmcnt(0)
	v_lshrrev_b32_e32 v61, 16, v58
	v_and_b32_e32 v58, 0xffff, v58
	;;#ASMSTART
	v_cvt_f32_f16 v58, v58;
	;;#ASMEND
	;;#ASMSTART
	v_cvt_f32_f16 v61, v61;
	;;#ASMEND
	;; [unrolled: 3-line block ×4, first 2 shown]
	ds_read_b32 v62, v14 offset:28
	s_waitcnt vmcnt(5)
	v_lshrrev_b32_e32 v56, 16, v23
	v_and_b32_e32 v23, 0xffff, v23
	v_fmac_f32_e32 v29, v50, v32
	v_fmac_f32_e32 v29, v54, v33
	s_waitcnt lgkmcnt(0)
	v_lshrrev_b32_e32 v65, 16, v62
	v_and_b32_e32 v62, 0xffff, v62
	;;#ASMSTART
	v_cvt_f32_f16 v62, v62;
	;;#ASMEND
	;;#ASMSTART
	v_cvt_f32_f16 v65, v65;
	;;#ASMEND
	;;#ASMSTART
	v_cvt_f32_f16 v26, v26;
	;;#ASMEND
	;;#ASMSTART
	v_cvt_f32_f16 v51, v51;
	;;#ASMEND
	ds_read_b32 v66, v14 offset:32
	s_waitcnt vmcnt(4)
	v_lshrrev_b32_e32 v59, 16, v22
	v_and_b32_e32 v22, 0xffff, v22
	v_fmac_f32_e32 v29, v58, v27
	v_fmac_f32_e32 v38, v45, v40
	s_waitcnt lgkmcnt(0)
	v_lshrrev_b32_e32 v39, 16, v66
	v_and_b32_e32 v41, 0xffff, v66
	;;#ASMSTART
	v_cvt_f32_f16 v41, v41;
	;;#ASMEND
	;;#ASMSTART
	v_cvt_f32_f16 v39, v39;
	;;#ASMEND
	;; [unrolled: 3-line block ×4, first 2 shown]
	ds_read_b32 v66, v14 offset:36
	v_fmac_f32_e32 v38, v49, v43
	v_fmac_f32_e32 v38, v53, v44
	v_fmac_f32_e32 v38, v57, v47
	v_fmac_f32_e32 v38, v61, v48
	s_waitcnt lgkmcnt(0)
	v_lshrrev_b32_e32 v5, 16, v66
	v_and_b32_e32 v28, 0xffff, v66
	;;#ASMSTART
	v_cvt_f32_f16 v28, v28;
	;;#ASMEND
	;;#ASMSTART
	v_cvt_f32_f16 v5, v5;
	;;#ASMEND
	;; [unrolled: 3-line block ×4, first 2 shown]
	ds_read_b32 v34, v14 offset:40
	v_fmac_f32_e32 v29, v62, v26
	s_waitcnt vmcnt(3)
	v_lshrrev_b32_e32 v60, 16, v21
	v_and_b32_e32 v21, 0xffff, v21
	v_fmac_f32_e32 v38, v65, v51
	s_waitcnt lgkmcnt(0)
	v_lshrrev_b32_e32 v31, 16, v34
	v_and_b32_e32 v32, 0xffff, v34
	;;#ASMSTART
	v_cvt_f32_f16 v32, v32;
	;;#ASMEND
	;;#ASMSTART
	v_cvt_f32_f16 v31, v31;
	;;#ASMEND
	;; [unrolled: 3-line block ×4, first 2 shown]
	ds_read_b32 v37, v14 offset:44
	v_fmac_f32_e32 v29, v41, v25
	v_fmac_f32_e32 v38, v39, v52
	;; [unrolled: 1-line block ×3, first 2 shown]
	s_waitcnt vmcnt(2)
	v_lshrrev_b32_e32 v63, 16, v20
	s_waitcnt lgkmcnt(0)
	v_lshrrev_b32_e32 v27, 16, v37
	v_and_b32_e32 v33, 0xffff, v37
	;;#ASMSTART
	v_cvt_f32_f16 v33, v33;
	;;#ASMEND
	;;#ASMSTART
	v_cvt_f32_f16 v27, v27;
	;;#ASMEND
	;; [unrolled: 3-line block ×4, first 2 shown]
	ds_read_b32 v40, v14 offset:48
	v_and_b32_e32 v20, 0xffff, v20
	v_fmac_f32_e32 v38, v5, v30
	v_fmac_f32_e32 v29, v32, v23
	;; [unrolled: 1-line block ×3, first 2 shown]
	s_waitcnt lgkmcnt(0)
	v_lshrrev_b32_e32 v25, 16, v40
	v_and_b32_e32 v26, 0xffff, v40
	;;#ASMSTART
	v_cvt_f32_f16 v26, v26;
	;;#ASMEND
	;;#ASMSTART
	v_cvt_f32_f16 v25, v25;
	;;#ASMEND
	;; [unrolled: 3-line block ×4, first 2 shown]
	ds_read_b32 v40, v14 offset:52
	v_fmac_f32_e32 v29, v33, v22
	v_fmac_f32_e32 v38, v27, v37
	;; [unrolled: 1-line block ×3, first 2 shown]
	s_waitcnt vmcnt(1)
	v_lshrrev_b32_e32 v64, 16, v36
	s_waitcnt lgkmcnt(0)
	v_lshrrev_b32_e32 v5, 16, v40
	v_and_b32_e32 v23, 0xffff, v40
	;;#ASMSTART
	v_cvt_f32_f16 v23, v23;
	;;#ASMEND
	;;#ASMSTART
	v_cvt_f32_f16 v5, v5;
	;;#ASMEND
	;; [unrolled: 3-line block ×4, first 2 shown]
	ds_read_b32 v28, v14 offset:56
	v_and_b32_e32 v36, 0xffff, v36
	v_fmac_f32_e32 v38, v25, v39
	v_fmac_f32_e32 v29, v23, v20
	;; [unrolled: 1-line block ×3, first 2 shown]
	s_waitcnt lgkmcnt(0)
	v_lshrrev_b32_e32 v21, 16, v28
	v_and_b32_e32 v22, 0xffff, v28
	;;#ASMSTART
	v_cvt_f32_f16 v22, v22;
	;;#ASMEND
	;;#ASMSTART
	v_cvt_f32_f16 v21, v21;
	;;#ASMEND
	;; [unrolled: 3-line block ×4, first 2 shown]
	ds_read_b32 v27, v14 offset:60
	s_waitcnt vmcnt(0)
	v_lshrrev_b32_e32 v67, 16, v4
	v_and_b32_e32 v4, 0xffff, v4
	v_fmac_f32_e32 v29, v22, v25
	v_fmac_f32_e32 v38, v21, v26
	s_waitcnt lgkmcnt(0)
	v_lshrrev_b32_e32 v5, 16, v27
	v_and_b32_e32 v20, 0xffff, v27
	;;#ASMSTART
	v_cvt_f32_f16 v20, v20;
	;;#ASMEND
	;;#ASMSTART
	v_cvt_f32_f16 v5, v5;
	;;#ASMEND
	;; [unrolled: 3-line block ×4, first 2 shown]
	v_fmac_f32_e32 v29, v20, v4
	v_fmac_f32_e32 v38, v5, v21
	v_add_f32_e32 v4, v29, v38
	ds_bpermute_b32 v5, v35, v4
	v_cndmask_b32_e64 v20, v8, v18, s[10:11]
	s_waitcnt lgkmcnt(0)
	v_add_f32_e32 v4, v4, v5
	v_lshlrev_b32_e32 v5, 2, v20
	ds_bpermute_b32 v5, v5, v4
	s_and_saveexec_b64 s[40:41], vcc
	s_cbranch_execz .LBB105_9
; %bb.11:                               ;   in Loop: Header=BB105_10 Depth=1
	v_add_u32_e32 v20, s19, v15
	v_cvt_f32_i32_e32 v20, v20
	s_waitcnt lgkmcnt(0)
	v_add_f32_e32 v4, v4, v5
	v_cmp_gt_i32_e64 s[10:11], s27, v15
	v_max_f32_e32 v5, v10, v10
	v_mul_f32_e32 v20, s12, v20
	v_cndmask_b32_e64 v20, 0, v20, s[4:5]
	v_fmac_f32_e32 v20, s13, v4
	v_cndmask_b32_e64 v4, 0, v20, s[10:11]
	ds_write_b32 v16, v4
	v_max_f32_e32 v4, v5, v20
	v_cndmask_b32_e64 v10, v10, v4, s[10:11]
	s_branch .LBB105_9
.LBB105_12:
	s_or_b64 exec, exec, s[38:39]
.LBB105_13:
	s_or_b64 exec, exec, s[36:37]
	v_xor_b32_e32 v2, 32, v8
	v_cmp_lt_i32_e32 vcc, v2, v9
	v_cndmask_b32_e32 v2, v8, v2, vcc
	v_lshlrev_b32_e32 v2, 2, v2
	ds_bpermute_b32 v3, v2, v10
	s_waitcnt lgkmcnt(0)
	v_xor_b32_e32 v5, 16, v8
	v_max_f32_e32 v4, v10, v10
	v_cmp_lt_i32_e32 vcc, v5, v9
	v_xor_b32_e32 v10, 8, v8
	v_max_f32_e32 v3, v3, v3
	v_max_f32_e32 v4, v4, v3
	v_cndmask_b32_e32 v3, v8, v5, vcc
	v_lshlrev_b32_e32 v3, 2, v3
	ds_bpermute_b32 v5, v3, v4
	v_cmp_lt_i32_e32 vcc, v10, v9
	v_and_b32_e32 v16, 63, v0
	s_waitcnt lgkmcnt(0)
	v_max_f32_e32 v5, v5, v5
	v_max_f32_e32 v4, v4, v5
	v_cndmask_b32_e32 v5, v8, v10, vcc
	v_lshlrev_b32_e32 v11, 2, v5
	ds_bpermute_b32 v5, v11, v4
	v_xor_b32_e32 v10, 4, v8
	v_cmp_lt_i32_e32 vcc, v10, v9
	s_waitcnt lgkmcnt(0)
	v_max_f32_e32 v5, v5, v5
	v_max_f32_e32 v4, v4, v5
	v_cndmask_b32_e32 v5, v8, v10, vcc
	v_lshlrev_b32_e32 v13, 2, v5
	ds_bpermute_b32 v10, v13, v4
	v_cmp_eq_u32_e32 vcc, 0, v16
	v_lshlrev_b32_e32 v5, 2, v1
	s_and_saveexec_b64 s[4:5], vcc
	s_cbranch_execz .LBB105_15
; %bb.14:
	s_waitcnt lgkmcnt(0)
	v_max_f32_e32 v10, v10, v10
	v_max_f32_e32 v4, v4, v4
	;; [unrolled: 1-line block ×3, first 2 shown]
	ds_write_b32 v5, v4 offset:256
.LBB105_15:
	s_or_b64 exec, exec, s[4:5]
	v_cmp_gt_u32_e64 s[4:5], 2, v16
	v_mov_b32_e32 v4, 0xff7fffff
	s_waitcnt lgkmcnt(0)
	v_lshlrev_b32_e32 v10, 2, v16
	s_barrier
	s_and_saveexec_b64 s[10:11], s[4:5]
	s_cbranch_execz .LBB105_17
; %bb.16:
	ds_read_b32 v4, v10 offset:256
.LBB105_17:
	s_or_b64 exec, exec, s[10:11]
	v_xor_b32_e32 v14, 1, v8
	v_cmp_lt_i32_e64 s[10:11], v14, v9
	v_cndmask_b32_e64 v14, v8, v14, s[10:11]
	v_lshlrev_b32_e32 v17, 2, v14
	s_waitcnt lgkmcnt(0)
	ds_bpermute_b32 v14, v17, v4
	v_max_f32_e32 v4, v4, v4
	s_sub_i32 s7, s16, s7
	s_lshl_b32 s7, s7, 4
	s_add_i32 s7, s7, s33
	s_waitcnt lgkmcnt(0)
	v_max_f32_e32 v14, v14, v14
	v_max_f32_e32 v4, v4, v14
	v_lshlrev_b32_e32 v14, 2, v8
	v_and_b32_e32 v14, 0xffffff00, v14
	ds_bpermute_b32 v4, v14, v4
	s_min_i32 s19, s7, s27
	s_sub_i32 s7, s19, s33
	v_cmp_gt_i32_e64 s[10:11], s7, v0
	v_mov_b32_e32 v15, 0
	s_and_saveexec_b64 s[36:37], s[10:11]
	s_cbranch_execz .LBB105_21
; %bb.18:
	v_mov_b32_e32 v15, 0x110
	v_lshl_add_u32 v18, v0, 2, v15
	s_mov_b64 s[38:39], 0
	v_mov_b32_e32 v15, 0
	v_mov_b32_e32 v19, v0
.LBB105_19:                             ; =>This Inner Loop Header: Depth=1
	ds_read_b32 v20, v18
	v_add_u32_e32 v19, 0x80, v19
	v_cmp_le_i32_e64 s[12:13], s7, v19
	s_or_b64 s[38:39], s[12:13], s[38:39]
	s_waitcnt lgkmcnt(0)
	v_sub_f32_e32 v20, v20, v4
	v_mul_f32_e32 v20, 0x3fb8aa3b, v20
	v_exp_f32_e32 v20, v20
	ds_write_b32 v18, v20
	v_add_f32_e32 v15, v15, v20
	v_add_u32_e32 v18, 0x200, v18
	s_andn2_b64 exec, exec, s[38:39]
	s_cbranch_execnz .LBB105_19
; %bb.20:
	s_or_b64 exec, exec, s[38:39]
.LBB105_21:
	s_or_b64 exec, exec, s[36:37]
	ds_bpermute_b32 v2, v2, v15
	s_waitcnt lgkmcnt(0)
	v_add_f32_e32 v2, v15, v2
	ds_bpermute_b32 v3, v3, v2
	s_waitcnt lgkmcnt(0)
	v_add_f32_e32 v2, v2, v3
	ds_bpermute_b32 v3, v11, v2
	v_xor_b32_e32 v11, 2, v8
	v_cmp_lt_i32_e64 s[12:13], v11, v9
	v_cndmask_b32_e64 v8, v8, v11, s[12:13]
	s_waitcnt lgkmcnt(0)
	v_add_f32_e32 v2, v2, v3
	ds_bpermute_b32 v3, v13, v2
	s_waitcnt lgkmcnt(0)
	v_add_f32_e32 v2, v2, v3
	v_lshlrev_b32_e32 v3, 2, v8
	ds_bpermute_b32 v3, v3, v2
	s_waitcnt lgkmcnt(0)
	v_add_f32_e32 v2, v2, v3
	ds_bpermute_b32 v3, v17, v2
	s_waitcnt lgkmcnt(0)
	v_add_f32_e32 v2, v2, v3
	s_and_saveexec_b64 s[12:13], vcc
	s_cbranch_execz .LBB105_23
; %bb.22:
	ds_write_b32 v5, v2 offset:264
.LBB105_23:
	s_or_b64 exec, exec, s[12:13]
	s_waitcnt lgkmcnt(0)
	s_barrier
	s_and_saveexec_b64 s[12:13], s[4:5]
	s_cbranch_execz .LBB105_25
; %bb.24:
	ds_read_b32 v2, v10 offset:264
.LBB105_25:
	s_or_b64 exec, exec, s[12:13]
	s_waitcnt lgkmcnt(0)
	ds_bpermute_b32 v3, v17, v2
	s_waitcnt lgkmcnt(0)
	v_add_f32_e32 v2, v2, v3
	ds_bpermute_b32 v5, v14, v2
	s_and_saveexec_b64 s[4:5], s[10:11]
	s_cbranch_execz .LBB105_38
; %bb.26:
	s_waitcnt lgkmcnt(0)
	v_add_f32_e32 v2, 0x358637bd, v5
	v_div_scale_f32 v3, s[10:11], v2, v2, 1.0
	v_rcp_f32_e32 v8, v3
	v_div_scale_f32 v9, vcc, 1.0, v2, 1.0
	s_movk_i32 s10, 0x7f
	v_fma_f32 v10, -v3, v8, 1.0
	v_fmac_f32_e32 v8, v10, v8
	v_mul_f32_e32 v10, v9, v8
	v_fma_f32 v11, -v3, v10, v9
	v_fmac_f32_e32 v10, v11, v8
	v_fma_f32 v3, -v3, v10, v9
	v_div_fmas_f32 v3, v3, v8, v10
	v_div_fixup_f32 v2, v3, v2, 1.0
	v_xad_u32 v3, v0, -1, s19
	v_subrev_u32_e32 v8, s33, v3
	v_cmp_lt_u32_e32 vcc, s10, v8
	s_mov_b64 s[12:13], -1
	v_mov_b32_e32 v3, v0
	s_and_saveexec_b64 s[10:11], vcc
	s_cbranch_execz .LBB105_35
; %bb.27:
	v_lshrrev_b32_e32 v8, 7, v8
	v_add_u32_e32 v10, -1, v8
	v_lshrrev_b32_e32 v9, 1, v10
	v_mov_b32_e32 v3, v2
	v_add_u32_e32 v9, 1, v9
	v_cmp_lt_u32_e32 vcc, 13, v10
	v_mov_b32_e32 v13, 0
	s_and_saveexec_b64 s[12:13], vcc
	s_cbranch_execz .LBB105_31
; %bb.28:
	v_mov_b32_e32 v11, 0x110
	v_and_b32_e32 v10, -8, v9
	v_lshl_add_u32 v11, v0, 2, v11
	s_mov_b32 s19, 0
	s_mov_b64 s[36:37], 0
.LBB105_29:                             ; =>This Inner Loop Header: Depth=1
	ds_read2st64_b32 v[14:15], v11 offset1:2
	ds_read2st64_b32 v[18:19], v11 offset0:4 offset1:6
	ds_read2st64_b32 v[20:21], v11 offset0:8 offset1:10
	ds_read2st64_b32 v[22:23], v11 offset0:12 offset1:14
	v_add_u32_e32 v10, -8, v10
	s_waitcnt lgkmcnt(3)
	v_pk_mul_f32 v[14:15], v[2:3], v[14:15]
	s_waitcnt lgkmcnt(2)
	v_pk_mul_f32 v[18:19], v[2:3], v[18:19]
	ds_write2st64_b32 v11, v14, v15 offset1:2
	ds_write2st64_b32 v11, v18, v19 offset0:4 offset1:6
	ds_read2st64_b32 v[18:19], v11 offset0:16 offset1:18
	s_waitcnt lgkmcnt(4)
	v_pk_mul_f32 v[14:15], v[2:3], v[20:21]
	ds_write2st64_b32 v11, v14, v15 offset0:8 offset1:10
	s_waitcnt lgkmcnt(4)
	v_pk_mul_f32 v[14:15], v[2:3], v[22:23]
	ds_write2st64_b32 v11, v14, v15 offset0:12 offset1:14
	ds_read2st64_b32 v[14:15], v11 offset0:20 offset1:22
	s_waitcnt lgkmcnt(3)
	v_pk_mul_f32 v[18:19], v[2:3], v[18:19]
	ds_read2st64_b32 v[20:21], v11 offset0:24 offset1:26
	ds_write2st64_b32 v11, v18, v19 offset0:16 offset1:18
	ds_read2st64_b32 v[18:19], v11 offset0:28 offset1:30
	s_waitcnt lgkmcnt(3)
	v_pk_mul_f32 v[14:15], v[2:3], v[14:15]
	ds_write2st64_b32 v11, v14, v15 offset0:20 offset1:22
	s_waitcnt lgkmcnt(3)
	v_pk_mul_f32 v[14:15], v[2:3], v[20:21]
	ds_write2st64_b32 v11, v14, v15 offset0:24 offset1:26
	s_waitcnt lgkmcnt(2)
	v_pk_mul_f32 v[14:15], v[2:3], v[18:19]
	s_add_i32 s19, s19, 16
	v_cmp_eq_u32_e32 vcc, 0, v10
	ds_write2st64_b32 v11, v14, v15 offset0:28 offset1:30
	v_add_u32_e32 v11, 0x2000, v11
	s_or_b64 s[36:37], vcc, s[36:37]
	v_mov_b32_e32 v13, s19
	s_andn2_b64 exec, exec, s[36:37]
	s_cbranch_execnz .LBB105_29
; %bb.30:
	s_or_b64 exec, exec, s[36:37]
.LBB105_31:
	s_or_b64 exec, exec, s[12:13]
	v_and_b32_e32 v9, 7, v9
	v_cmp_ne_u32_e32 vcc, 0, v9
	s_and_saveexec_b64 s[12:13], vcc
	s_cbranch_execz .LBB105_34
; %bb.32:
	v_lshlrev_b32_e32 v10, 9, v13
	v_lshlrev_b32_e32 v11, 2, v0
	s_movk_i32 s19, 0x110
	v_add3_u32 v10, v10, v11, s19
	s_mov_b64 s[36:37], 0
.LBB105_33:                             ; =>This Inner Loop Header: Depth=1
	ds_read2st64_b32 v[14:15], v10 offset1:2
	v_add_u32_e32 v9, -1, v9
	v_cmp_eq_u32_e32 vcc, 0, v9
	s_or_b64 s[36:37], vcc, s[36:37]
	s_waitcnt lgkmcnt(0)
	v_pk_mul_f32 v[14:15], v[2:3], v[14:15]
	ds_write2st64_b32 v10, v14, v15 offset1:2
	v_add_u32_e32 v10, 0x400, v10
	s_andn2_b64 exec, exec, s[36:37]
	s_cbranch_execnz .LBB105_33
.LBB105_34:
	s_or_b64 exec, exec, s[12:13]
	v_add_u32_e32 v8, 1, v8
	v_and_b32_e32 v9, 0x3fffffe, v8
	v_cmp_ne_u32_e32 vcc, v8, v9
	v_lshl_add_u32 v3, v9, 7, v0
	s_orn2_b64 s[12:13], vcc, exec
.LBB105_35:
	s_or_b64 exec, exec, s[10:11]
	s_and_b64 exec, exec, s[12:13]
	s_cbranch_execz .LBB105_38
; %bb.36:
	v_mov_b32_e32 v8, 0x110
	v_lshl_add_u32 v8, v3, 2, v8
	s_mov_b64 s[10:11], 0
.LBB105_37:                             ; =>This Inner Loop Header: Depth=1
	ds_read_b32 v9, v8
	v_add_u32_e32 v3, 0x80, v3
	v_cmp_le_i32_e32 vcc, s7, v3
	s_or_b64 s[10:11], vcc, s[10:11]
	s_waitcnt lgkmcnt(0)
	v_mul_f32_e32 v9, v2, v9
	ds_write_b32 v8, v9
	v_add_u32_e32 v8, 0x200, v8
	s_andn2_b64 exec, exec, s[10:11]
	s_cbranch_execnz .LBB105_37
.LBB105_38:
	s_or_b64 exec, exec, s[4:5]
	s_mul_i32 s4, s15, s26
	v_cmp_eq_u32_e32 vcc, 0, v0
	s_mul_i32 s4, s4, s9
	s_waitcnt lgkmcnt(0)
	s_barrier
	s_and_saveexec_b64 s[10:11], vcc
	s_cbranch_execz .LBB105_40
; %bb.39:
	s_ashr_i32 s5, s4, 31
	s_lshl_b64 s[12:13], s[4:5], 2
	s_add_u32 s5, s22, s12
	s_mul_i32 s6, s15, s6
	s_addc_u32 s9, s23, s13
	s_ashr_i32 s7, s6, 31
	s_lshl_b64 s[6:7], s[6:7], 2
	s_add_u32 s5, s5, s6
	s_addc_u32 s19, s9, s7
	s_ashr_i32 s9, s8, 31
	s_lshl_b64 s[22:23], s[8:9], 2
	s_add_u32 s36, s5, s22
	s_addc_u32 s37, s19, s23
	s_add_u32 s5, s20, s12
	s_addc_u32 s9, s21, s13
	;; [unrolled: 2-line block ×3, first 2 shown]
	s_add_u32 s6, s5, s22
	v_mov_b32_e32 v2, 0
	s_addc_u32 s7, s7, s23
	global_store_dword v2, v4, s[36:37]
	global_store_dword v2, v5, s[6:7]
.LBB105_40:
	s_or_b64 exec, exec, s[10:11]
	v_mov_b32_e32 v9, 0
	v_and_b32_e32 v18, 1, v0
	v_mov_b32_e32 v8, 0
	v_mov_b32_e32 v11, 0
	;; [unrolled: 1-line block ×3, first 2 shown]
	s_and_saveexec_b64 s[6:7], s[2:3]
	s_cbranch_execz .LBB105_52
; %bb.41:
	s_ashr_i32 s19, s18, 31
	s_lshl_b64 s[2:3], s[18:19], 1
	s_add_u32 s2, s34, s2
	v_lshlrev_b32_e32 v3, 4, v0
	v_lshlrev_b32_e32 v2, 3, v0
	s_addc_u32 s3, s35, s3
	v_and_b32_e32 v3, 0x3f0, v3
	v_and_b32_e32 v2, 8, v2
	s_add_i32 s42, s42, -1
	v_mov_b32_e32 v4, s3
	v_add_co_u32_e32 v19, vcc, s2, v3
	s_lshl_b64 s[2:3], s[30:31], 2
	v_add3_u32 v21, s33, v12, v2
	v_lshlrev_b32_e32 v2, 5, v18
	s_add_u32 s2, s28, s2
	v_addc_co_u32_e32 v20, vcc, 0, v4, vcc
	v_lshl_or_b32 v1, v1, 6, v2
	v_lshlrev_b64 v[2:3], 2, v[6:7]
	s_addc_u32 s3, s29, s3
	v_mov_b32_e32 v4, s3
	v_add_co_u32_e32 v12, vcc, s2, v2
	v_mov_b32_e32 v10, 0
	s_mov_b32 s5, s17
	s_mov_b32 s9, s27
	;; [unrolled: 1-line block ×8, first 2 shown]
	v_add_u32_e32 v1, 0x110, v1
	v_addc_co_u32_e32 v13, vcc, v4, v3, vcc
	s_mov_b64 s[10:11], 0
	s_mov_b32 s23, 0x5040100
	v_mov_b32_e32 v11, v10
	v_mov_b32_e32 v8, v10
	;; [unrolled: 1-line block ×3, first 2 shown]
	s_branch .LBB105_43
.LBB105_42:                             ;   in Loop: Header=BB105_43 Depth=1
	s_or_b64 exec, exec, s[2:3]
	s_waitcnt vmcnt(0)
	;;#ASMSTART
	v_pk_mul_f16 v2, v31, v2;

	;;#ASMEND
	;;#ASMSTART
	v_pk_mul_f16 v3, v30, v3;

	;;#ASMEND
	;; [unrolled: 4-line block ×4, first 2 shown]
	;;#ASMSTART
	v_pk_add_f16 v2, v2, v3;

	;;#ASMEND
	;;#ASMSTART
	v_pk_add_f16 v2, v2, v4;

	;;#ASMEND
	;; [unrolled: 4-line block ×3, first 2 shown]
	v_add_f32_e32 v7, v32, v33
	v_lshrrev_b32_e32 v3, 16, v2
	v_and_b32_e32 v2, 0xffff, v2
	v_add_u32_e32 v6, 2, v6
	v_add_f32_e32 v10, v10, v7
	v_add_f32_e32 v7, v34, v35
	;;#ASMSTART
	v_cvt_f32_f16 v2, v2;
	;;#ASMEND
	v_cmp_le_i32_e32 vcc, s16, v6
	v_add_f32_e32 v11, v11, v7
	v_add_f32_e32 v7, v36, v37
	;;#ASMSTART
	v_cvt_f32_f16 v3, v3;
	;;#ASMEND
	v_add_f32_e32 v2, v2, v3
	s_or_b64 s[10:11], vcc, s[10:11]
	v_add_co_u32_e32 v12, vcc, 8, v12
	v_add_f32_e32 v8, v8, v7
	v_add_f32_e32 v9, v9, v2
	v_add_u32_e32 v21, 32, v21
	v_add_u32_e32 v1, 0x80, v1
	v_addc_co_u32_e32 v13, vcc, 0, v13, vcc
	s_andn2_b64 exec, exec, s[10:11]
	s_cbranch_execz .LBB105_51
.LBB105_43:                             ; =>This Inner Loop Header: Depth=1
	global_load_dword v7, v[12:13], off
	ds_read2_b64 v[2:5], v1 offset1:1
	ds_read2_b64 v[22:25], v1 offset0:2 offset1:3
	v_or_b32_e32 v27, 7, v21
	v_or_b32_e32 v26, 6, v21
	s_waitcnt lgkmcnt(1)
	;;#ASMSTART
	v_cvt_f16_f32 v28, v2;

	;;#ASMEND
	;;#ASMSTART
	v_cvt_f16_f32 v29, v3;

	;;#ASMEND
	;; [unrolled: 4-line block ×4, first 2 shown]
	s_waitcnt lgkmcnt(0)
	;;#ASMSTART
	v_cvt_f16_f32 v33, v22;

	;;#ASMEND
	;;#ASMSTART
	v_cvt_f16_f32 v34, v23;

	;;#ASMEND
	;; [unrolled: 4-line block ×4, first 2 shown]
	v_or_b32_e32 v23, 3, v21
	v_or_b32_e32 v22, 2, v21
	v_or_b32_e32 v25, 5, v21
	v_or_b32_e32 v24, 4, v21
	s_waitcnt vmcnt(0)
	v_mad_i64_i32 v[2:3], s[2:3], v7, s5, 0
	v_lshlrev_b64 v[2:3], 1, v[2:3]
	v_add_co_u32_e32 v14, vcc, v19, v2
	v_addc_co_u32_e32 v15, vcc, v20, v3, vcc
	global_load_dwordx4 v[2:5], v[14:15], off
	v_cmp_eq_u32_e32 vcc, s42, v6
	v_add_u32_e32 v7, 1, v21
	s_and_saveexec_b64 s[12:13], vcc
	s_cbranch_execz .LBB105_45
; %bb.44:                               ;   in Loop: Header=BB105_43 Depth=1
	s_waitcnt vmcnt(0)
	v_lshrrev_b32_e32 v31, 16, v5
	v_cmp_gt_i32_e64 s[2:3], s22, v27
	v_cndmask_b32_e64 v31, 0, v31, s[2:3]
	v_cmp_gt_i32_e64 s[2:3], s21, v26
	v_cndmask_b32_e64 v5, 0, v5, s[2:3]
	v_perm_b32 v5, v31, v5, s23
	v_lshrrev_b32_e32 v31, 16, v4
	v_cmp_gt_i32_e64 s[2:3], s20, v25
	v_cndmask_b32_e64 v31, 0, v31, s[2:3]
	v_cmp_gt_i32_e64 s[2:3], s19, v24
	v_cndmask_b32_e64 v4, 0, v4, s[2:3]
	v_perm_b32 v4, v31, v4, s23
	;; [unrolled: 6-line block ×4, first 2 shown]
.LBB105_45:                             ;   in Loop: Header=BB105_43 Depth=1
	s_or_b64 exec, exec, s[12:13]
	v_and_b32_e32 v28, 0xffff, v28
	v_lshl_or_b32 v31, v29, 16, v28
	v_and_b32_e32 v28, 0xffff, v30
	v_lshl_or_b32 v30, v32, 16, v28
	;; [unrolled: 2-line block ×3, first 2 shown]
	v_and_b32_e32 v28, 0xffff, v35
	s_waitcnt vmcnt(0)
	;;#ASMSTART
	v_pk_mul_f16 v2, v31, v2;

	;;#ASMEND
	v_lshl_or_b32 v28, v36, 16, v28
	;;#ASMSTART
	v_pk_mul_f16 v3, v30, v3;

	;;#ASMEND
	;;#ASMSTART
	v_pk_mul_f16 v4, v29, v4;

	;;#ASMEND
	;; [unrolled: 4-line block ×3, first 2 shown]
	;;#ASMSTART
	v_pk_add_f16 v2, v2, v3;

	;;#ASMEND
	;;#ASMSTART
	v_pk_add_f16 v2, v2, v4;

	;;#ASMEND
	;;#ASMSTART
	v_pk_add_f16 v2, v2, v5;

	;;#ASMEND
	v_lshrrev_b32_e32 v3, 16, v2
	v_and_b32_e32 v2, 0xffff, v2
	;;#ASMSTART
	v_cvt_f32_f16 v32, v2;
	;;#ASMEND
	;;#ASMSTART
	v_cvt_f32_f16 v33, v3;
	;;#ASMEND
	global_load_dwordx4 v[2:5], v[14:15], off offset:1024
	s_and_saveexec_b64 s[12:13], vcc
	s_cbranch_execz .LBB105_47
; %bb.46:                               ;   in Loop: Header=BB105_43 Depth=1
	s_waitcnt vmcnt(0)
	v_lshrrev_b32_e32 v34, 16, v5
	v_cmp_gt_i32_e64 s[2:3], s22, v27
	v_cndmask_b32_e64 v34, 0, v34, s[2:3]
	v_cmp_gt_i32_e64 s[2:3], s21, v26
	v_cndmask_b32_e64 v5, 0, v5, s[2:3]
	v_perm_b32 v5, v34, v5, s23
	v_lshrrev_b32_e32 v34, 16, v4
	v_cmp_gt_i32_e64 s[2:3], s20, v25
	v_cndmask_b32_e64 v34, 0, v34, s[2:3]
	v_cmp_gt_i32_e64 s[2:3], s19, v24
	v_cndmask_b32_e64 v4, 0, v4, s[2:3]
	v_perm_b32 v4, v34, v4, s23
	v_lshrrev_b32_e32 v34, 16, v3
	v_cmp_gt_i32_e64 s[2:3], s18, v23
	v_cndmask_b32_e64 v34, 0, v34, s[2:3]
	v_cmp_gt_i32_e64 s[2:3], s17, v22
	v_cndmask_b32_e64 v3, 0, v3, s[2:3]
	v_perm_b32 v3, v34, v3, s23
	v_lshrrev_b32_e32 v34, 16, v2
	v_cmp_gt_i32_e64 s[2:3], s9, v7
	v_cndmask_b32_e64 v34, 0, v34, s[2:3]
	v_cmp_gt_i32_e64 s[2:3], s27, v21
	v_cndmask_b32_e64 v2, 0, v2, s[2:3]
	v_perm_b32 v2, v34, v2, s23
.LBB105_47:                             ;   in Loop: Header=BB105_43 Depth=1
	s_or_b64 exec, exec, s[12:13]
	s_waitcnt vmcnt(0)
	;;#ASMSTART
	v_pk_mul_f16 v2, v31, v2;

	;;#ASMEND
	;;#ASMSTART
	v_pk_mul_f16 v3, v30, v3;

	;;#ASMEND
	;; [unrolled: 4-line block ×4, first 2 shown]
	;;#ASMSTART
	v_pk_add_f16 v2, v2, v3;

	;;#ASMEND
	;;#ASMSTART
	v_pk_add_f16 v2, v2, v4;

	;;#ASMEND
	;; [unrolled: 4-line block ×3, first 2 shown]
	v_lshrrev_b32_e32 v3, 16, v2
	v_and_b32_e32 v2, 0xffff, v2
	;;#ASMSTART
	v_cvt_f32_f16 v34, v2;
	;;#ASMEND
	;;#ASMSTART
	v_cvt_f32_f16 v35, v3;
	;;#ASMEND
	global_load_dwordx4 v[2:5], v[14:15], off offset:2048
	s_and_saveexec_b64 s[12:13], vcc
	s_cbranch_execz .LBB105_49
; %bb.48:                               ;   in Loop: Header=BB105_43 Depth=1
	s_waitcnt vmcnt(0)
	v_lshrrev_b32_e32 v36, 16, v5
	v_cmp_gt_i32_e64 s[2:3], s22, v27
	v_cndmask_b32_e64 v36, 0, v36, s[2:3]
	v_cmp_gt_i32_e64 s[2:3], s21, v26
	v_cndmask_b32_e64 v5, 0, v5, s[2:3]
	v_perm_b32 v5, v36, v5, s23
	v_lshrrev_b32_e32 v36, 16, v4
	v_cmp_gt_i32_e64 s[2:3], s20, v25
	v_cndmask_b32_e64 v36, 0, v36, s[2:3]
	v_cmp_gt_i32_e64 s[2:3], s19, v24
	v_cndmask_b32_e64 v4, 0, v4, s[2:3]
	v_perm_b32 v4, v36, v4, s23
	;; [unrolled: 6-line block ×4, first 2 shown]
.LBB105_49:                             ;   in Loop: Header=BB105_43 Depth=1
	s_or_b64 exec, exec, s[12:13]
	s_waitcnt vmcnt(0)
	;;#ASMSTART
	v_pk_mul_f16 v2, v31, v2;

	;;#ASMEND
	;;#ASMSTART
	v_pk_mul_f16 v3, v30, v3;

	;;#ASMEND
	;; [unrolled: 4-line block ×4, first 2 shown]
	;;#ASMSTART
	v_pk_add_f16 v2, v2, v3;

	;;#ASMEND
	;;#ASMSTART
	v_pk_add_f16 v2, v2, v4;

	;;#ASMEND
	;; [unrolled: 4-line block ×3, first 2 shown]
	v_lshrrev_b32_e32 v3, 16, v2
	v_and_b32_e32 v2, 0xffff, v2
	;;#ASMSTART
	v_cvt_f32_f16 v36, v2;
	;;#ASMEND
	;;#ASMSTART
	v_cvt_f32_f16 v37, v3;
	;;#ASMEND
	global_load_dwordx4 v[2:5], v[14:15], off offset:3072
	s_and_saveexec_b64 s[2:3], vcc
	s_cbranch_execz .LBB105_42
; %bb.50:                               ;   in Loop: Header=BB105_43 Depth=1
	s_waitcnt vmcnt(0)
	v_lshrrev_b32_e32 v14, 16, v5
	v_cmp_gt_i32_e32 vcc, s22, v27
	v_cndmask_b32_e32 v14, 0, v14, vcc
	v_cmp_gt_i32_e32 vcc, s21, v26
	v_cndmask_b32_e32 v5, 0, v5, vcc
	v_perm_b32 v5, v14, v5, s23
	v_lshrrev_b32_e32 v14, 16, v4
	v_cmp_gt_i32_e32 vcc, s20, v25
	v_cndmask_b32_e32 v14, 0, v14, vcc
	v_cmp_gt_i32_e32 vcc, s19, v24
	v_cndmask_b32_e32 v4, 0, v4, vcc
	v_perm_b32 v4, v14, v4, s23
	;; [unrolled: 6-line block ×4, first 2 shown]
	s_branch .LBB105_42
.LBB105_51:
	s_or_b64 exec, exec, s[10:11]
.LBB105_52:
	s_or_b64 exec, exec, s[6:7]
	ds_bpermute_b32 v2, v17, v10
	ds_bpermute_b32 v3, v17, v11
	;; [unrolled: 1-line block ×4, first 2 shown]
	v_and_b32_e32 v1, 0x3c1, v0
	v_cmp_eq_u32_e32 vcc, 64, v1
	s_waitcnt lgkmcnt(2)
	v_pk_add_f32 v[4:5], v[10:11], v[2:3]
	s_waitcnt lgkmcnt(0)
	v_pk_add_f32 v[2:3], v[8:9], v[6:7]
	s_barrier
	s_and_saveexec_b64 s[2:3], vcc
	s_cbranch_execz .LBB105_54
; %bb.53:
	v_mov_b32_e32 v6, 0x110
	v_lshl_add_u32 v6, v16, 1, v6
	ds_write2_b32 v6, v4, v5 offset1:32
	ds_write2_b32 v6, v2, v3 offset0:64 offset1:96
.LBB105_54:
	s_or_b64 exec, exec, s[2:3]
	s_waitcnt lgkmcnt(0)
	s_barrier
	s_and_saveexec_b64 s[2:3], s[0:1]
	s_cbranch_execz .LBB105_61
; %bb.55:
	v_cmp_eq_u32_e32 vcc, 0, v18
	v_lshrrev_b32_e32 v6, 1, v0
	s_and_saveexec_b64 s[0:1], vcc
	s_cbranch_execnz .LBB105_64
; %bb.56:
	s_or_b64 exec, exec, s[0:1]
	s_and_saveexec_b64 s[0:1], vcc
	s_cbranch_execnz .LBB105_65
.LBB105_57:
	s_or_b64 exec, exec, s[0:1]
	s_and_saveexec_b64 s[0:1], vcc
	s_cbranch_execnz .LBB105_66
.LBB105_58:
	s_or_b64 exec, exec, s[0:1]
	s_and_saveexec_b64 s[0:1], vcc
	s_cbranch_execz .LBB105_60
.LBB105_59:
	v_mov_b32_e32 v7, 0x110
	v_lshl_add_u32 v6, v6, 2, v7
	ds_read_b32 v6, v6 offset:384
	s_waitcnt lgkmcnt(0)
	v_add_f32_e32 v3, v3, v6
.LBB105_60:
	s_or_b64 exec, exec, s[0:1]
.LBB105_61:
	s_or_b64 exec, exec, s[2:3]
	v_cmp_eq_u32_e32 vcc, 0, v1
	s_barrier
	s_and_saveexec_b64 s[0:1], vcc
	s_cbranch_execz .LBB105_63
; %bb.62:
	s_lshl_b32 s0, s4, 7
	s_ashr_i32 s1, s0, 31
	s_lshl_b64 s[0:1], s[0:1], 1
	s_add_u32 s2, s24, s0
	s_mul_i32 s0, s15, s14
	s_addc_u32 s3, s25, s1
	s_ashr_i32 s1, s0, 31
	s_lshl_b64 s[0:1], s[0:1], 1
	s_add_u32 s2, s2, s0
	s_addc_u32 s3, s3, s1
	s_lshl_b32 s0, s8, 7
	s_ashr_i32 s1, s0, 31
	s_lshl_b64 s[0:1], s[0:1], 1
	s_add_u32 s0, s2, s0
	s_addc_u32 s1, s3, s1
	;;#ASMSTART
	v_cvt_f16_f32 v1, v4;

	;;#ASMEND
	global_store_short v0, v1, s[0:1]
	;;#ASMSTART
	v_cvt_f16_f32 v1, v5;

	;;#ASMEND
	global_store_short v0, v1, s[0:1] offset:64
	;;#ASMSTART
	v_cvt_f16_f32 v1, v2;

	;;#ASMEND
	global_store_short v0, v1, s[0:1] offset:128
	;; [unrolled: 5-line block ×3, first 2 shown]
.LBB105_63:
	s_endpgm
.LBB105_64:
	v_mov_b32_e32 v7, 0x110
	v_lshl_add_u32 v7, v6, 2, v7
	ds_read_b32 v7, v7
	s_waitcnt lgkmcnt(0)
	v_add_f32_e32 v4, v4, v7
	s_or_b64 exec, exec, s[0:1]
	s_and_saveexec_b64 s[0:1], vcc
	s_cbranch_execz .LBB105_57
.LBB105_65:
	v_mov_b32_e32 v7, 0x110
	v_lshl_add_u32 v7, v6, 2, v7
	ds_read_b32 v7, v7 offset:128
	s_waitcnt lgkmcnt(0)
	v_add_f32_e32 v5, v5, v7
	s_or_b64 exec, exec, s[0:1]
	s_and_saveexec_b64 s[0:1], vcc
	s_cbranch_execz .LBB105_58
.LBB105_66:
	v_mov_b32_e32 v7, 0x110
	v_lshl_add_u32 v7, v6, 2, v7
	ds_read_b32 v7, v7 offset:256
	s_waitcnt lgkmcnt(0)
	v_add_f32_e32 v2, v2, v7
	s_or_b64 exec, exec, s[0:1]
	s_and_saveexec_b64 s[0:1], vcc
	s_cbranch_execnz .LBB105_59
	s_branch .LBB105_60
	.section	.rodata,"a",@progbits
	.p2align	6, 0x0
	.amdhsa_kernel _ZN4vllm25paged_attention_v2_kernelIttLi128ELi16ELi128ELNS_18Fp8KVCacheDataTypeE0ELb0ELi512EEEvPfS2_PT_PKS3_PKT0_S9_ifPKiSB_iPKfiiiSD_SD_iiiii
		.amdhsa_group_segment_fixed_size 272
		.amdhsa_private_segment_fixed_size 0
		.amdhsa_kernarg_size 400
		.amdhsa_user_sgpr_count 6
		.amdhsa_user_sgpr_private_segment_buffer 1
		.amdhsa_user_sgpr_dispatch_ptr 0
		.amdhsa_user_sgpr_queue_ptr 0
		.amdhsa_user_sgpr_kernarg_segment_ptr 1
		.amdhsa_user_sgpr_dispatch_id 0
		.amdhsa_user_sgpr_flat_scratch_init 0
		.amdhsa_user_sgpr_kernarg_preload_length 0
		.amdhsa_user_sgpr_kernarg_preload_offset 0
		.amdhsa_user_sgpr_private_segment_size 0
		.amdhsa_uses_dynamic_stack 0
		.amdhsa_system_sgpr_private_segment_wavefront_offset 0
		.amdhsa_system_sgpr_workgroup_id_x 1
		.amdhsa_system_sgpr_workgroup_id_y 1
		.amdhsa_system_sgpr_workgroup_id_z 1
		.amdhsa_system_sgpr_workgroup_info 0
		.amdhsa_system_vgpr_workitem_id 0
		.amdhsa_next_free_vgpr 68
		.amdhsa_next_free_sgpr 44
		.amdhsa_accum_offset 68
		.amdhsa_reserve_vcc 1
		.amdhsa_reserve_flat_scratch 0
		.amdhsa_float_round_mode_32 0
		.amdhsa_float_round_mode_16_64 0
		.amdhsa_float_denorm_mode_32 3
		.amdhsa_float_denorm_mode_16_64 3
		.amdhsa_dx10_clamp 1
		.amdhsa_ieee_mode 1
		.amdhsa_fp16_overflow 0
		.amdhsa_tg_split 0
		.amdhsa_exception_fp_ieee_invalid_op 0
		.amdhsa_exception_fp_denorm_src 0
		.amdhsa_exception_fp_ieee_div_zero 0
		.amdhsa_exception_fp_ieee_overflow 0
		.amdhsa_exception_fp_ieee_underflow 0
		.amdhsa_exception_fp_ieee_inexact 0
		.amdhsa_exception_int_div_zero 0
	.end_amdhsa_kernel
	.section	.text._ZN4vllm25paged_attention_v2_kernelIttLi128ELi16ELi128ELNS_18Fp8KVCacheDataTypeE0ELb0ELi512EEEvPfS2_PT_PKS3_PKT0_S9_ifPKiSB_iPKfiiiSD_SD_iiiii,"axG",@progbits,_ZN4vllm25paged_attention_v2_kernelIttLi128ELi16ELi128ELNS_18Fp8KVCacheDataTypeE0ELb0ELi512EEEvPfS2_PT_PKS3_PKT0_S9_ifPKiSB_iPKfiiiSD_SD_iiiii,comdat
.Lfunc_end105:
	.size	_ZN4vllm25paged_attention_v2_kernelIttLi128ELi16ELi128ELNS_18Fp8KVCacheDataTypeE0ELb0ELi512EEEvPfS2_PT_PKS3_PKT0_S9_ifPKiSB_iPKfiiiSD_SD_iiiii, .Lfunc_end105-_ZN4vllm25paged_attention_v2_kernelIttLi128ELi16ELi128ELNS_18Fp8KVCacheDataTypeE0ELb0ELi512EEEvPfS2_PT_PKS3_PKT0_S9_ifPKiSB_iPKfiiiSD_SD_iiiii
                                        ; -- End function
	.section	.AMDGPU.csdata,"",@progbits
; Kernel info:
; codeLenInByte = 6092
; NumSgprs: 48
; NumVgprs: 68
; NumAgprs: 0
; TotalNumVgprs: 68
; ScratchSize: 0
; MemoryBound: 0
; FloatMode: 240
; IeeeMode: 1
; LDSByteSize: 272 bytes/workgroup (compile time only)
; SGPRBlocks: 5
; VGPRBlocks: 8
; NumSGPRsForWavesPerEU: 48
; NumVGPRsForWavesPerEU: 68
; AccumOffset: 68
; Occupancy: 7
; WaveLimiterHint : 1
; COMPUTE_PGM_RSRC2:SCRATCH_EN: 0
; COMPUTE_PGM_RSRC2:USER_SGPR: 6
; COMPUTE_PGM_RSRC2:TRAP_HANDLER: 0
; COMPUTE_PGM_RSRC2:TGID_X_EN: 1
; COMPUTE_PGM_RSRC2:TGID_Y_EN: 1
; COMPUTE_PGM_RSRC2:TGID_Z_EN: 1
; COMPUTE_PGM_RSRC2:TIDIG_COMP_CNT: 0
; COMPUTE_PGM_RSRC3_GFX90A:ACCUM_OFFSET: 16
; COMPUTE_PGM_RSRC3_GFX90A:TG_SPLIT: 0
	.section	.text._ZN4vllm25paged_attention_v2_kernelIttLi192ELi16ELi128ELNS_18Fp8KVCacheDataTypeE0ELb0ELi512EEEvPfS2_PT_PKS3_PKT0_S9_ifPKiSB_iPKfiiiSD_SD_iiiii,"axG",@progbits,_ZN4vllm25paged_attention_v2_kernelIttLi192ELi16ELi128ELNS_18Fp8KVCacheDataTypeE0ELb0ELi512EEEvPfS2_PT_PKS3_PKT0_S9_ifPKiSB_iPKfiiiSD_SD_iiiii,comdat
	.protected	_ZN4vllm25paged_attention_v2_kernelIttLi192ELi16ELi128ELNS_18Fp8KVCacheDataTypeE0ELb0ELi512EEEvPfS2_PT_PKS3_PKT0_S9_ifPKiSB_iPKfiiiSD_SD_iiiii ; -- Begin function _ZN4vllm25paged_attention_v2_kernelIttLi192ELi16ELi128ELNS_18Fp8KVCacheDataTypeE0ELb0ELi512EEEvPfS2_PT_PKS3_PKT0_S9_ifPKiSB_iPKfiiiSD_SD_iiiii
	.globl	_ZN4vllm25paged_attention_v2_kernelIttLi192ELi16ELi128ELNS_18Fp8KVCacheDataTypeE0ELb0ELi512EEEvPfS2_PT_PKS3_PKT0_S9_ifPKiSB_iPKfiiiSD_SD_iiiii
	.p2align	8
	.type	_ZN4vllm25paged_attention_v2_kernelIttLi192ELi16ELi128ELNS_18Fp8KVCacheDataTypeE0ELb0ELi512EEEvPfS2_PT_PKS3_PKT0_S9_ifPKiSB_iPKfiiiSD_SD_iiiii,@function
_ZN4vllm25paged_attention_v2_kernelIttLi192ELi16ELi128ELNS_18Fp8KVCacheDataTypeE0ELb0ELi512EEEvPfS2_PT_PKS3_PKT0_S9_ifPKiSB_iPKfiiiSD_SD_iiiii: ; @_ZN4vllm25paged_attention_v2_kernelIttLi192ELi16ELi128ELNS_18Fp8KVCacheDataTypeE0ELb0ELi512EEEvPfS2_PT_PKS3_PKT0_S9_ifPKiSB_iPKfiiiSD_SD_iiiii
; %bb.0:
	s_load_dwordx2 s[0:1], s[4:5], 0x40
	s_mov_b32 s24, s7
	s_ashr_i32 s25, s7, 31
	s_lshl_b64 s[2:3], s[24:25], 2
	s_waitcnt lgkmcnt(0)
	s_add_u32 s0, s0, s2
	s_addc_u32 s1, s1, s3
	s_load_dword s25, s[0:1], 0x0
	s_lshl_b32 s33, s8, 9
	s_waitcnt lgkmcnt(0)
	s_cmp_ge_i32 s33, s25
	s_cbranch_scc1 .LBB106_69
; %bb.1:
	s_load_dword s9, s[4:5], 0x90
	s_load_dwordx2 s[10:11], s[4:5], 0x30
	s_mov_b32 s40, 0
	s_waitcnt lgkmcnt(0)
	s_abs_i32 s2, s9
	s_abs_i32 s0, s10
	v_cvt_f32_u32_e32 v1, s0
	s_sub_i32 s3, 0, s0
	s_xor_b32 s1, s9, s10
	s_ashr_i32 s1, s1, 31
	v_rcp_iflag_f32_e32 v1, v1
	v_mul_f32_e32 v1, 0x4f7ffffe, v1
	v_cvt_u32_f32_e32 v1, v1
	v_readfirstlane_b32 s7, v1
	s_mul_i32 s3, s3, s7
	s_mul_hi_u32 s3, s7, s3
	s_add_i32 s7, s7, s3
	s_mul_hi_u32 s3, s2, s7
	s_mul_i32 s7, s3, s0
	s_sub_i32 s2, s2, s7
	s_add_i32 s10, s3, 1
	s_sub_i32 s7, s2, s0
	s_cmp_ge_u32 s2, s0
	s_cselect_b32 s3, s10, s3
	s_cselect_b32 s2, s7, s2
	s_add_i32 s7, s3, 1
	s_cmp_ge_u32 s2, s0
	s_cselect_b32 s0, s7, s3
	s_xor_b32 s0, s0, s1
	s_sub_i32 s10, s0, s1
	s_abs_i32 s2, s10
	v_cvt_f32_u32_e32 v1, s2
	s_load_dwordx2 s[0:1], s[4:5], 0x50
	s_sub_i32 s7, 0, s2
	s_abs_i32 s3, s6
	v_rcp_iflag_f32_e32 v1, v1
	v_mul_f32_e32 v1, 0x4f7ffffe, v1
	v_cvt_u32_f32_e32 v1, v1
	v_readfirstlane_b32 s12, v1
	s_mul_i32 s7, s7, s12
	s_mul_hi_u32 s7, s12, s7
	s_add_i32 s12, s12, s7
	s_waitcnt lgkmcnt(0)
	s_cmp_eq_u64 s[0:1], 0
	s_mul_hi_u32 s16, s3, s12
	s_cbranch_scc1 .LBB106_3
; %bb.2:
	s_ashr_i32 s7, s6, 31
	s_lshl_b64 s[12:13], s[6:7], 2
	s_add_u32 s0, s0, s12
	s_addc_u32 s1, s1, s13
	s_load_dword s40, s[0:1], 0x0
.LBB106_3:
	s_load_dwordx4 s[12:15], s[4:5], 0x58
	s_movk_i32 s7, 0x60
	s_ashr_i32 s17, s6, 31
	s_ashr_i32 s18, s10, 31
	v_and_b32_e32 v2, 3, v0
	s_mul_i32 s20, s6, 0xc0
	v_cmp_gt_u32_e32 vcc, s7, v0
	s_and_saveexec_b64 s[0:1], vcc
	s_cbranch_execz .LBB106_5
; %bb.4:
	s_load_dwordx2 s[22:23], s[4:5], 0x18
	s_waitcnt lgkmcnt(0)
	s_mul_i32 s26, s24, s12
	s_ashr_i32 s27, s26, 31
	s_lshl_b64 s[26:27], s[26:27], 1
	v_lshlrev_b32_e32 v1, 2, v0
	s_add_u32 s10, s22, s26
	s_addc_u32 s12, s23, s27
	s_ashr_i32 s21, s20, 31
	s_lshl_b64 s[22:23], s[20:21], 1
	s_add_u32 s22, s10, s22
	s_addc_u32 s23, s12, s23
	global_load_dword v1, v1, s[22:23]
	v_and_b32_e32 v3, 0x3fc, v0
	v_mad_u32_u24 v3, v2, s7, v3
	s_waitcnt vmcnt(0)
	ds_write_b32 v3, v1
.LBB106_5:
	s_or_b64 exec, exec, s[0:1]
	s_add_i32 s0, s25, 15
	s_ashr_i32 s1, s0, 31
	s_lshr_b32 s1, s1, 28
	s_add_i32 s0, s0, s1
	s_lshl_b32 s10, s8, 5
	s_mul_i32 s1, s16, s2
	s_ashr_i32 s7, s0, 4
	s_add_i32 s0, s10, 32
	s_sub_i32 s1, s3, s1
	s_min_i32 s21, s0, s7
	s_xor_b32 s0, s17, s18
	s_add_i32 s3, s16, 1
	s_waitcnt lgkmcnt(0)
	s_sub_i32 s12, s1, s2
	s_cmp_ge_u32 s1, s2
	s_cselect_b32 s3, s3, s16
	s_cselect_b32 s1, s12, s1
	s_add_i32 s12, s3, 1
	s_cmp_ge_u32 s1, s2
	s_load_dwordx2 s[26:27], s[4:5], 0x38
	s_load_dword s2, s[4:5], 0x48
	v_lshrrev_b32_e32 v1, 6, v0
	s_cselect_b32 s1, s12, s3
	s_xor_b32 s1, s1, s0
	v_or_b32_e32 v6, s10, v1
	s_waitcnt lgkmcnt(0)
	s_mul_i32 s28, s24, s2
	s_sub_i32 s15, s1, s0
	s_ashr_i32 s29, s28, 31
	v_cmp_gt_i32_e64 s[0:1], s21, v6
	v_cmp_le_i32_e32 vcc, s21, v6
	v_mbcnt_lo_u32_b32 v4, -1, 0
	s_barrier
	s_waitcnt lgkmcnt(0)
                                        ; implicit-def: $sgpr36
                                        ; implicit-def: $vgpr8
                                        ; implicit-def: $vgpr9
	s_and_saveexec_b64 s[2:3], vcc
	s_xor_b64 s[2:3], exec, s[2:3]
; %bb.6:
	v_mbcnt_hi_u32_b32 v8, -1, v4
	v_and_b32_e32 v2, 64, v8
	v_add_u32_e32 v9, 64, v2
	s_mov_b32 s36, 0xff7fffff
                                        ; implicit-def: $vgpr2
                                        ; implicit-def: $vgpr4
; %bb.7:
	s_or_saveexec_b64 s[34:35], s[2:3]
	s_load_dwordx4 s[16:19], s[4:5], 0x0
	s_load_dwordx2 s[22:23], s[4:5], 0x10
	s_load_dwordx2 s[30:31], s[4:5], 0x28
	s_load_dword s12, s[4:5], 0x98
	v_mov_b32_e32 v10, s36
	s_mul_i32 s14, s15, s14
	v_ashrrev_i32_e32 v7, 31, v6
	v_lshlrev_b32_e32 v14, 4, v1
	s_xor_b64 exec, exec, s[34:35]
	s_cbranch_execz .LBB106_13
; %bb.8:
	s_load_dwordx2 s[2:3], s[4:5], 0x20
	s_ashr_i32 s15, s14, 31
	s_lshl_b64 s[4:5], s[14:15], 1
	v_bfe_u32 v3, v0, 2, 4
	v_lshlrev_b32_e32 v5, 4, v3
	s_waitcnt lgkmcnt(0)
	s_add_u32 s2, s2, s4
	s_addc_u32 s3, s3, s5
	v_mov_b32_e32 v8, s3
	v_add_co_u32_e32 v5, vcc, s2, v5
	v_lshlrev_b32_e32 v9, 2, v0
	v_addc_co_u32_e32 v8, vcc, 0, v8, vcc
	v_and_b32_e32 v9, 12, v9
	v_add_co_u32_e32 v11, vcc, v5, v9
	v_addc_co_u32_e32 v12, vcc, 0, v8, vcc
	v_mul_u32_u24_e32 v13, 0x60, v2
	v_cmp_eq_u32_e32 vcc, 0, v2
	s_sub_i32 s15, 1, s25
	v_lshlrev_b32_e32 v2, 2, v3
	s_lshl_b64 s[4:5], s[28:29], 2
	v_lshl_or_b32 v2, v1, 6, v2
	s_add_u32 s4, s26, s4
	v_add3_u32 v15, s33, v14, v3
	v_add_u32_e32 v16, 0x190, v2
	v_lshlrev_b64 v[2:3], 2, v[6:7]
	s_addc_u32 s5, s27, s5
	v_mbcnt_hi_u32_b32 v8, -1, v4
	v_mov_b32_e32 v5, s5
	v_add_co_u32_e64 v2, s[4:5], s4, v2
	v_and_b32_e32 v4, 64, v8
	s_mov_b32 s41, s13
	v_cmp_neq_f32_e64 s[2:3], s40, 0
	v_addc_co_u32_e64 v3, s[4:5], v5, v3, s[4:5]
	s_mov_b64 s[36:37], 0
	v_mov_b32_e32 v10, 0xff7fffff
	s_movk_i32 s42, 0x1000
	v_add_u32_e32 v9, 64, v4
	v_xor_b32_e32 v17, 2, v8
	v_xor_b32_e32 v18, 1, v8
	v_mov_b32_e32 v19, v6
	s_branch .LBB106_10
.LBB106_9:                              ;   in Loop: Header=BB106_10 Depth=1
	s_or_b64 exec, exec, s[38:39]
	v_add_u32_e32 v19, 2, v19
	v_cmp_le_i32_e64 s[4:5], s21, v19
	s_or_b64 s[36:37], s[4:5], s[36:37]
	v_add_co_u32_e64 v2, s[4:5], 8, v2
	v_add_u32_e32 v15, 32, v15
	v_add_u32_e32 v16, 0x80, v16
	v_addc_co_u32_e64 v3, s[4:5], 0, v3, s[4:5]
	s_andn2_b64 exec, exec, s[36:37]
	s_cbranch_execz .LBB106_12
.LBB106_10:                             ; =>This Inner Loop Header: Depth=1
	global_load_dword v4, v[2:3], off
	s_waitcnt vmcnt(0) lgkmcnt(0)
	v_mad_i64_i32 v[4:5], s[4:5], v4, s41, 0
	v_lshlrev_b64 v[4:5], 1, v[4:5]
	v_add_co_u32_e64 v4, s[4:5], v11, v4
	v_addc_co_u32_e64 v5, s[4:5], v12, v5, s[4:5]
	global_load_dword v30, v[4:5], off
	global_load_dword v29, v[4:5], off offset:256
	global_load_dword v28, v[4:5], off offset:512
	;; [unrolled: 1-line block ×9, first 2 shown]
	ds_read_b32 v31, v13
	global_load_dword v40, v[4:5], off offset:2560
	global_load_dword v41, v[4:5], off offset:2816
	;; [unrolled: 1-line block ×6, first 2 shown]
	v_cmp_lt_i32_e64 s[4:5], v17, v9
	v_cndmask_b32_e64 v22, v8, v17, s[4:5]
	v_add_co_u32_e64 v36, s[4:5], s42, v4
	s_waitcnt lgkmcnt(0)
	v_lshrrev_b32_e32 v38, 16, v31
	v_addc_co_u32_e64 v37, s[4:5], 0, v5, s[4:5]
	v_and_b32_e32 v39, 0xffff, v31
	global_load_dword v46, v[36:37], off
	global_load_dword v47, v[36:37], off offset:256
	global_load_dword v48, v[36:37], off offset:512
	;; [unrolled: 1-line block ×7, first 2 shown]
	;;#ASMSTART
	v_cvt_f32_f16 v36, v39;
	;;#ASMEND
	;;#ASMSTART
	v_cvt_f32_f16 v37, v38;
	;;#ASMEND
	v_lshlrev_b32_e32 v22, 2, v22
	v_cmp_lt_i32_e64 s[4:5], v18, v9
	s_waitcnt vmcnt(23)
	v_lshrrev_b32_e32 v4, 16, v30
	v_and_b32_e32 v5, 0xffff, v30
	;;#ASMSTART
	v_cvt_f32_f16 v30, v5;
	;;#ASMEND
	;;#ASMSTART
	v_cvt_f32_f16 v38, v4;
	;;#ASMEND
	ds_read_b32 v4, v13 offset:4
	s_waitcnt vmcnt(22)
	v_lshrrev_b32_e32 v5, 16, v29
	v_and_b32_e32 v29, 0xffff, v29
	s_waitcnt vmcnt(21)
	v_lshrrev_b32_e32 v39, 16, v28
	v_and_b32_e32 v28, 0xffff, v28
	s_waitcnt lgkmcnt(0)
	v_lshrrev_b32_e32 v49, 16, v4
	v_and_b32_e32 v4, 0xffff, v4
	;;#ASMSTART
	v_cvt_f32_f16 v4, v4;
	;;#ASMEND
	;;#ASMSTART
	v_cvt_f32_f16 v49, v49;
	;;#ASMEND
	;; [unrolled: 3-line block ×4, first 2 shown]
	ds_read_b32 v50, v13 offset:8
	s_waitcnt vmcnt(20)
	v_lshrrev_b32_e32 v51, 16, v27
	v_and_b32_e32 v27, 0xffff, v27
	s_waitcnt vmcnt(19)
	v_lshrrev_b32_e32 v52, 16, v26
	v_and_b32_e32 v26, 0xffff, v26
	s_waitcnt lgkmcnt(0)
	v_lshrrev_b32_e32 v53, 16, v50
	v_and_b32_e32 v50, 0xffff, v50
	;;#ASMSTART
	v_cvt_f32_f16 v50, v50;
	;;#ASMEND
	;;#ASMSTART
	v_cvt_f32_f16 v53, v53;
	;;#ASMEND
	;;#ASMSTART
	v_cvt_f32_f16 v28, v28;
	;;#ASMEND
	;;#ASMSTART
	v_cvt_f32_f16 v39, v39;
	;;#ASMEND
	ds_read_b32 v54, v13 offset:12
	v_mul_f32_e32 v4, v4, v29
	s_waitcnt vmcnt(18)
	v_lshrrev_b32_e32 v55, 16, v25
	v_and_b32_e32 v25, 0xffff, v25
	v_fmac_f32_e32 v4, v36, v30
	s_waitcnt lgkmcnt(0)
	v_lshrrev_b32_e32 v57, 16, v54
	v_and_b32_e32 v54, 0xffff, v54
	;;#ASMSTART
	v_cvt_f32_f16 v54, v54;
	;;#ASMEND
	;;#ASMSTART
	v_cvt_f32_f16 v57, v57;
	;;#ASMEND
	;; [unrolled: 3-line block ×4, first 2 shown]
	ds_read_b32 v58, v13 offset:16
	v_mul_f32_e32 v5, v49, v5
	s_waitcnt vmcnt(17)
	v_lshrrev_b32_e32 v56, 16, v24
	v_and_b32_e32 v24, 0xffff, v24
	v_fmac_f32_e32 v5, v37, v38
	s_waitcnt lgkmcnt(0)
	v_lshrrev_b32_e32 v29, 16, v58
	v_and_b32_e32 v58, 0xffff, v58
	;;#ASMSTART
	v_cvt_f32_f16 v58, v58;
	;;#ASMEND
	;;#ASMSTART
	v_cvt_f32_f16 v29, v29;
	;;#ASMEND
	;; [unrolled: 3-line block ×4, first 2 shown]
	ds_read_b32 v61, v13 offset:20
	v_fmac_f32_e32 v4, v50, v28
	s_waitcnt vmcnt(16)
	v_lshrrev_b32_e32 v59, 16, v23
	v_and_b32_e32 v23, 0xffff, v23
	v_fmac_f32_e32 v5, v53, v39
	s_waitcnt lgkmcnt(0)
	v_lshrrev_b32_e32 v30, 16, v61
	v_and_b32_e32 v36, 0xffff, v61
	;;#ASMSTART
	v_cvt_f32_f16 v36, v36;
	;;#ASMEND
	;;#ASMSTART
	v_cvt_f32_f16 v30, v30;
	;;#ASMEND
	;;#ASMSTART
	v_cvt_f32_f16 v25, v25;
	;;#ASMEND
	;;#ASMSTART
	v_cvt_f32_f16 v55, v55;
	;;#ASMEND
	ds_read_b32 v61, v13 offset:24
	s_waitcnt vmcnt(15)
	v_lshrrev_b32_e32 v60, 16, v21
	v_and_b32_e32 v21, 0xffff, v21
	v_fmac_f32_e32 v4, v54, v27
	v_fmac_f32_e32 v5, v57, v51
	s_waitcnt lgkmcnt(0)
	v_lshrrev_b32_e32 v28, 16, v61
	v_and_b32_e32 v38, 0xffff, v61
	;;#ASMSTART
	v_cvt_f32_f16 v38, v38;
	;;#ASMEND
	;;#ASMSTART
	v_cvt_f32_f16 v28, v28;
	;;#ASMEND
	;;#ASMSTART
	v_cvt_f32_f16 v24, v24;
	;;#ASMEND
	;;#ASMSTART
	v_cvt_f32_f16 v50, v56;
	;;#ASMEND
	ds_read_b32 v56, v13 offset:28
	s_waitcnt vmcnt(14)
	v_lshrrev_b32_e32 v49, 16, v20
	v_and_b32_e32 v20, 0xffff, v20
	v_fmac_f32_e32 v4, v58, v26
	;; [unrolled: 21-line block ×3, first 2 shown]
	s_waitcnt vmcnt(12)
	v_lshrrev_b32_e32 v61, 16, v41
	s_waitcnt lgkmcnt(0)
	v_lshrrev_b32_e32 v51, 16, v59
	v_and_b32_e32 v54, 0xffff, v59
	;;#ASMSTART
	v_cvt_f32_f16 v54, v54;
	;;#ASMEND
	;;#ASMSTART
	v_cvt_f32_f16 v51, v51;
	;;#ASMEND
	;; [unrolled: 3-line block ×4, first 2 shown]
	ds_read_b32 v59, v13 offset:36
	v_and_b32_e32 v41, 0xffff, v41
	v_fmac_f32_e32 v4, v38, v24
	v_fmac_f32_e32 v5, v30, v55
	s_waitcnt vmcnt(11)
	v_lshrrev_b32_e32 v27, 16, v42
	s_waitcnt lgkmcnt(0)
	v_lshrrev_b32_e32 v26, 16, v59
	v_and_b32_e32 v29, 0xffff, v59
	;;#ASMSTART
	v_cvt_f32_f16 v29, v29;
	;;#ASMEND
	;;#ASMSTART
	v_cvt_f32_f16 v26, v26;
	;;#ASMEND
	;; [unrolled: 3-line block ×4, first 2 shown]
	ds_read_b32 v52, v13 offset:40
	v_and_b32_e32 v42, 0xffff, v42
	v_fmac_f32_e32 v5, v28, v50
	s_waitcnt vmcnt(10)
	v_lshrrev_b32_e32 v60, 16, v43
	v_and_b32_e32 v43, 0xffff, v43
	s_waitcnt lgkmcnt(0)
	v_lshrrev_b32_e32 v25, 16, v52
	v_and_b32_e32 v36, 0xffff, v52
	;;#ASMSTART
	v_cvt_f32_f16 v36, v36;
	;;#ASMEND
	;;#ASMSTART
	v_cvt_f32_f16 v25, v25;
	;;#ASMEND
	;;#ASMSTART
	v_cvt_f32_f16 v40, v40;
	;;#ASMEND
	;;#ASMSTART
	v_cvt_f32_f16 v37, v37;
	;;#ASMEND
	ds_read_b32 v52, v13 offset:44
	v_fmac_f32_e32 v4, v53, v23
	v_fmac_f32_e32 v5, v39, v56
	s_waitcnt vmcnt(9)
	v_lshrrev_b32_e32 v58, 16, v44
	v_and_b32_e32 v44, 0xffff, v44
	s_waitcnt lgkmcnt(0)
	v_lshrrev_b32_e32 v24, 16, v52
	v_and_b32_e32 v38, 0xffff, v52
	;;#ASMSTART
	v_cvt_f32_f16 v38, v38;
	;;#ASMEND
	;;#ASMSTART
	v_cvt_f32_f16 v24, v24;
	;;#ASMEND
	;;#ASMSTART
	v_cvt_f32_f16 v41, v41;
	;;#ASMEND
	;;#ASMSTART
	v_cvt_f32_f16 v52, v61;
	;;#ASMEND
	ds_read_b32 v55, v13 offset:48
	v_fmac_f32_e32 v4, v54, v21
	;; [unrolled: 21-line block ×3, first 2 shown]
	s_waitcnt vmcnt(7)
	v_lshrrev_b32_e32 v30, 16, v46
	v_and_b32_e32 v46, 0xffff, v46
	v_fmac_f32_e32 v4, v36, v40
	s_waitcnt lgkmcnt(0)
	v_lshrrev_b32_e32 v39, 16, v55
	v_and_b32_e32 v53, 0xffff, v55
	;;#ASMSTART
	v_cvt_f32_f16 v53, v53;
	;;#ASMEND
	;;#ASMSTART
	v_cvt_f32_f16 v39, v39;
	;;#ASMEND
	;; [unrolled: 3-line block ×4, first 2 shown]
	ds_read_b32 v56, v13 offset:56
	v_fmac_f32_e32 v5, v26, v49
	s_waitcnt vmcnt(6)
	v_lshrrev_b32_e32 v61, 16, v47
	v_and_b32_e32 v47, 0xffff, v47
	v_fmac_f32_e32 v5, v25, v37
	s_waitcnt lgkmcnt(0)
	v_lshrrev_b32_e32 v21, 16, v56
	v_and_b32_e32 v51, 0xffff, v56
	;;#ASMSTART
	v_cvt_f32_f16 v51, v51;
	;;#ASMEND
	;;#ASMSTART
	v_cvt_f32_f16 v21, v21;
	;;#ASMEND
	;; [unrolled: 3-line block ×4, first 2 shown]
	ds_read_b32 v56, v13 offset:60
	v_fmac_f32_e32 v5, v24, v52
	s_waitcnt vmcnt(5)
	v_lshrrev_b32_e32 v23, 16, v48
	v_fmac_f32_e32 v5, v28, v27
	v_and_b32_e32 v48, 0xffff, v48
	s_waitcnt lgkmcnt(0)
	v_lshrrev_b32_e32 v20, 16, v56
	v_and_b32_e32 v29, 0xffff, v56
	;;#ASMSTART
	v_cvt_f32_f16 v29, v29;
	;;#ASMEND
	;;#ASMSTART
	v_cvt_f32_f16 v20, v20;
	;;#ASMEND
	;; [unrolled: 3-line block ×4, first 2 shown]
	ds_read_b32 v59, v13 offset:64
	v_fmac_f32_e32 v4, v38, v41
	v_fmac_f32_e32 v5, v39, v55
	s_waitcnt vmcnt(4)
	v_lshrrev_b32_e32 v60, 16, v35
	v_and_b32_e32 v35, 0xffff, v35
	s_waitcnt lgkmcnt(0)
	v_lshrrev_b32_e32 v36, 16, v59
	v_and_b32_e32 v40, 0xffff, v59
	;;#ASMSTART
	v_cvt_f32_f16 v40, v40;
	;;#ASMEND
	;;#ASMSTART
	v_cvt_f32_f16 v36, v36;
	;;#ASMEND
	;; [unrolled: 3-line block ×4, first 2 shown]
	ds_read_b32 v49, v13 offset:68
	v_fmac_f32_e32 v5, v21, v54
	v_fmac_f32_e32 v4, v50, v42
	;; [unrolled: 1-line block ×4, first 2 shown]
	s_waitcnt lgkmcnt(0)
	v_lshrrev_b32_e32 v25, 16, v49
	v_and_b32_e32 v37, 0xffff, v49
	;;#ASMSTART
	v_cvt_f32_f16 v37, v37;
	;;#ASMEND
	;;#ASMSTART
	v_cvt_f32_f16 v25, v25;
	;;#ASMEND
	;; [unrolled: 3-line block ×4, first 2 shown]
	ds_read_b32 v61, v13 offset:72
	s_waitcnt vmcnt(3)
	v_lshrrev_b32_e32 v57, 16, v34
	v_and_b32_e32 v34, 0xffff, v34
	v_fmac_f32_e32 v4, v29, v45
	v_fmac_f32_e32 v5, v20, v56
	s_waitcnt lgkmcnt(0)
	v_lshrrev_b32_e32 v24, 16, v61
	v_and_b32_e32 v27, 0xffff, v61
	;;#ASMSTART
	v_cvt_f32_f16 v27, v27;
	;;#ASMEND
	;;#ASMSTART
	v_cvt_f32_f16 v24, v24;
	;;#ASMEND
	;; [unrolled: 3-line block ×4, first 2 shown]
	ds_read_b32 v38, v13 offset:76
	v_fmac_f32_e32 v5, v36, v30
	v_fmac_f32_e32 v4, v40, v46
	;; [unrolled: 1-line block ×4, first 2 shown]
	s_waitcnt lgkmcnt(0)
	v_lshrrev_b32_e32 v21, 16, v38
	v_and_b32_e32 v38, 0xffff, v38
	;;#ASMSTART
	v_cvt_f32_f16 v38, v38;
	;;#ASMEND
	;;#ASMSTART
	v_cvt_f32_f16 v21, v21;
	;;#ASMEND
	;; [unrolled: 3-line block ×4, first 2 shown]
	ds_read_b32 v41, v13 offset:80
	v_fmac_f32_e32 v5, v24, v23
	s_waitcnt vmcnt(2)
	v_lshrrev_b32_e32 v58, 16, v33
	v_and_b32_e32 v33, 0xffff, v33
	v_fmac_f32_e32 v4, v27, v28
	s_waitcnt lgkmcnt(0)
	v_lshrrev_b32_e32 v20, 16, v41
	v_and_b32_e32 v29, 0xffff, v41
	;;#ASMSTART
	v_cvt_f32_f16 v29, v29;
	;;#ASMEND
	;;#ASMSTART
	v_cvt_f32_f16 v20, v20;
	;;#ASMEND
	;;#ASMSTART
	v_cvt_f32_f16 v30, v34;
	;;#ASMEND
	;;#ASMSTART
	v_cvt_f32_f16 v34, v57;
	;;#ASMEND
	ds_read_b32 v36, v13 offset:84
	v_fmac_f32_e32 v5, v21, v39
	s_waitcnt vmcnt(1)
	v_lshrrev_b32_e32 v26, 16, v32
	v_fmac_f32_e32 v4, v38, v35
	v_fmac_f32_e32 v5, v20, v34
	s_waitcnt lgkmcnt(0)
	v_lshrrev_b32_e32 v23, 16, v36
	v_and_b32_e32 v24, 0xffff, v36
	;;#ASMSTART
	v_cvt_f32_f16 v24, v24;
	;;#ASMEND
	;;#ASMSTART
	v_cvt_f32_f16 v23, v23;
	;;#ASMEND
	;; [unrolled: 3-line block ×4, first 2 shown]
	ds_read_b32 v28, v13 offset:88
	v_and_b32_e32 v32, 0xffff, v32
	v_fmac_f32_e32 v4, v29, v30
	v_fmac_f32_e32 v4, v24, v25
	;; [unrolled: 1-line block ×3, first 2 shown]
	s_waitcnt lgkmcnt(0)
	v_lshrrev_b32_e32 v20, 16, v28
	v_and_b32_e32 v21, 0xffff, v28
	;;#ASMSTART
	v_cvt_f32_f16 v21, v21;
	;;#ASMEND
	;;#ASMSTART
	v_cvt_f32_f16 v20, v20;
	;;#ASMEND
	;; [unrolled: 3-line block ×4, first 2 shown]
	ds_read_b32 v29, v13 offset:92
	v_fmac_f32_e32 v4, v21, v28
	v_fmac_f32_e32 v5, v20, v26
	s_waitcnt vmcnt(0)
	v_lshrrev_b32_e32 v59, 16, v31
	v_and_b32_e32 v31, 0xffff, v31
	s_waitcnt lgkmcnt(0)
	v_lshrrev_b32_e32 v20, 16, v29
	v_and_b32_e32 v21, 0xffff, v29
	;;#ASMSTART
	v_cvt_f32_f16 v21, v21;
	;;#ASMEND
	;;#ASMSTART
	v_cvt_f32_f16 v20, v20;
	;;#ASMEND
	;; [unrolled: 3-line block ×4, first 2 shown]
	v_fmac_f32_e32 v4, v21, v23
	v_fmac_f32_e32 v5, v20, v24
	v_add_f32_e32 v4, v4, v5
	ds_bpermute_b32 v5, v22, v4
	v_cndmask_b32_e64 v20, v8, v18, s[4:5]
	s_waitcnt lgkmcnt(0)
	v_add_f32_e32 v4, v4, v5
	v_lshlrev_b32_e32 v5, 2, v20
	ds_bpermute_b32 v5, v5, v4
	s_and_saveexec_b64 s[38:39], vcc
	s_cbranch_execz .LBB106_9
; %bb.11:                               ;   in Loop: Header=BB106_10 Depth=1
	v_add_u32_e32 v20, s15, v15
	v_cvt_f32_i32_e32 v20, v20
	s_waitcnt lgkmcnt(0)
	v_add_f32_e32 v4, v4, v5
	v_cmp_gt_i32_e64 s[4:5], s25, v15
	v_max_f32_e32 v5, v10, v10
	v_mul_f32_e32 v20, s40, v20
	v_cndmask_b32_e64 v20, 0, v20, s[2:3]
	v_fmac_f32_e32 v20, s11, v4
	v_cndmask_b32_e64 v4, 0, v20, s[4:5]
	ds_write_b32 v16, v4
	v_max_f32_e32 v4, v5, v20
	v_cndmask_b32_e64 v10, v10, v4, s[4:5]
	s_branch .LBB106_9
.LBB106_12:
	s_or_b64 exec, exec, s[36:37]
.LBB106_13:
	s_or_b64 exec, exec, s[34:35]
	v_xor_b32_e32 v2, 32, v8
	v_cmp_lt_i32_e32 vcc, v2, v9
	v_cndmask_b32_e32 v2, v8, v2, vcc
	v_lshlrev_b32_e32 v2, 2, v2
	ds_bpermute_b32 v3, v2, v10
	s_waitcnt lgkmcnt(0)
	v_xor_b32_e32 v5, 16, v8
	v_max_f32_e32 v4, v10, v10
	v_cmp_lt_i32_e32 vcc, v5, v9
	v_xor_b32_e32 v10, 8, v8
	v_max_f32_e32 v3, v3, v3
	v_max_f32_e32 v4, v4, v3
	v_cndmask_b32_e32 v3, v8, v5, vcc
	v_lshlrev_b32_e32 v3, 2, v3
	ds_bpermute_b32 v5, v3, v4
	v_cmp_lt_i32_e32 vcc, v10, v9
	v_and_b32_e32 v18, 63, v0
	s_waitcnt lgkmcnt(0)
	v_max_f32_e32 v5, v5, v5
	v_max_f32_e32 v4, v4, v5
	v_cndmask_b32_e32 v5, v8, v10, vcc
	v_lshlrev_b32_e32 v11, 2, v5
	ds_bpermute_b32 v5, v11, v4
	v_xor_b32_e32 v10, 4, v8
	v_cmp_lt_i32_e32 vcc, v10, v9
	s_waitcnt lgkmcnt(0)
	v_max_f32_e32 v5, v5, v5
	v_max_f32_e32 v4, v4, v5
	v_cndmask_b32_e32 v5, v8, v10, vcc
	v_lshlrev_b32_e32 v12, 2, v5
	ds_bpermute_b32 v10, v12, v4
	v_cmp_eq_u32_e32 vcc, 0, v18
	v_lshlrev_b32_e32 v5, 2, v1
	s_and_saveexec_b64 s[2:3], vcc
	s_cbranch_execz .LBB106_15
; %bb.14:
	s_waitcnt lgkmcnt(0)
	v_max_f32_e32 v10, v10, v10
	v_max_f32_e32 v4, v4, v4
	;; [unrolled: 1-line block ×3, first 2 shown]
	ds_write_b32 v5, v4 offset:384
.LBB106_15:
	s_or_b64 exec, exec, s[2:3]
	v_cmp_gt_u32_e64 s[2:3], 2, v18
	v_mov_b32_e32 v4, 0xff7fffff
	s_waitcnt lgkmcnt(0)
	v_lshlrev_b32_e32 v10, 2, v18
	s_barrier
	s_and_saveexec_b64 s[4:5], s[2:3]
	s_cbranch_execz .LBB106_17
; %bb.16:
	ds_read_b32 v4, v10 offset:384
.LBB106_17:
	s_or_b64 exec, exec, s[4:5]
	v_xor_b32_e32 v13, 1, v8
	v_cmp_lt_i32_e64 s[4:5], v13, v9
	v_cndmask_b32_e64 v13, v8, v13, s[4:5]
	v_lshlrev_b32_e32 v19, 2, v13
	s_waitcnt lgkmcnt(0)
	ds_bpermute_b32 v13, v19, v4
	v_max_f32_e32 v4, v4, v4
	s_sub_i32 s4, s21, s10
	s_lshl_b32 s4, s4, 4
	s_add_i32 s4, s4, s33
	s_waitcnt lgkmcnt(0)
	v_max_f32_e32 v13, v13, v13
	v_max_f32_e32 v4, v4, v13
	v_lshlrev_b32_e32 v13, 2, v8
	v_and_b32_e32 v13, 0xffffff00, v13
	ds_bpermute_b32 v4, v13, v4
	s_min_i32 s38, s4, s25
	s_sub_i32 s15, s38, s33
	v_cmp_gt_i32_e64 s[4:5], s15, v0
	v_mov_b32_e32 v15, 0
	s_and_saveexec_b64 s[34:35], s[4:5]
	s_cbranch_execz .LBB106_21
; %bb.18:
	v_mov_b32_e32 v15, 0x190
	v_lshl_add_u32 v16, v0, 2, v15
	s_mov_b64 s[36:37], 0
	v_mov_b32_e32 v15, 0
	v_mov_b32_e32 v17, v0
.LBB106_19:                             ; =>This Inner Loop Header: Depth=1
	ds_read_b32 v20, v16
	v_add_u32_e32 v17, 0x80, v17
	v_cmp_le_i32_e64 s[10:11], s15, v17
	s_or_b64 s[36:37], s[10:11], s[36:37]
	s_waitcnt lgkmcnt(0)
	v_sub_f32_e32 v20, v20, v4
	v_mul_f32_e32 v20, 0x3fb8aa3b, v20
	v_exp_f32_e32 v20, v20
	ds_write_b32 v16, v20
	v_add_f32_e32 v15, v15, v20
	v_add_u32_e32 v16, 0x200, v16
	s_andn2_b64 exec, exec, s[36:37]
	s_cbranch_execnz .LBB106_19
; %bb.20:
	s_or_b64 exec, exec, s[36:37]
.LBB106_21:
	s_or_b64 exec, exec, s[34:35]
	ds_bpermute_b32 v2, v2, v15
	s_waitcnt lgkmcnt(0)
	v_add_f32_e32 v2, v15, v2
	ds_bpermute_b32 v3, v3, v2
	s_waitcnt lgkmcnt(0)
	v_add_f32_e32 v2, v2, v3
	ds_bpermute_b32 v3, v11, v2
	v_xor_b32_e32 v11, 2, v8
	v_cmp_lt_i32_e64 s[10:11], v11, v9
	v_cndmask_b32_e64 v8, v8, v11, s[10:11]
	s_waitcnt lgkmcnt(0)
	v_add_f32_e32 v2, v2, v3
	ds_bpermute_b32 v3, v12, v2
	s_waitcnt lgkmcnt(0)
	v_add_f32_e32 v2, v2, v3
	v_lshlrev_b32_e32 v3, 2, v8
	ds_bpermute_b32 v3, v3, v2
	s_waitcnt lgkmcnt(0)
	v_add_f32_e32 v2, v2, v3
	ds_bpermute_b32 v3, v19, v2
	s_waitcnt lgkmcnt(0)
	v_add_f32_e32 v2, v2, v3
	s_and_saveexec_b64 s[10:11], vcc
	s_cbranch_execz .LBB106_23
; %bb.22:
	ds_write_b32 v5, v2 offset:392
.LBB106_23:
	s_or_b64 exec, exec, s[10:11]
	s_waitcnt lgkmcnt(0)
	s_barrier
	s_and_saveexec_b64 s[10:11], s[2:3]
	s_cbranch_execz .LBB106_25
; %bb.24:
	ds_read_b32 v2, v10 offset:392
.LBB106_25:
	s_or_b64 exec, exec, s[10:11]
	s_waitcnt lgkmcnt(0)
	ds_bpermute_b32 v3, v19, v2
	s_waitcnt lgkmcnt(0)
	v_add_f32_e32 v2, v2, v3
	ds_bpermute_b32 v5, v13, v2
	s_and_saveexec_b64 s[2:3], s[4:5]
	s_cbranch_execz .LBB106_38
; %bb.26:
	s_waitcnt lgkmcnt(0)
	v_add_f32_e32 v2, 0x358637bd, v5
	v_div_scale_f32 v3, s[4:5], v2, v2, 1.0
	v_rcp_f32_e32 v8, v3
	v_div_scale_f32 v9, vcc, 1.0, v2, 1.0
	s_movk_i32 s4, 0x7f
	v_fma_f32 v10, -v3, v8, 1.0
	v_fmac_f32_e32 v8, v10, v8
	v_mul_f32_e32 v10, v9, v8
	v_fma_f32 v11, -v3, v10, v9
	v_fmac_f32_e32 v10, v11, v8
	v_fma_f32 v3, -v3, v10, v9
	v_div_fmas_f32 v3, v3, v8, v10
	v_div_fixup_f32 v2, v3, v2, 1.0
	v_xad_u32 v3, v0, -1, s38
	v_subrev_u32_e32 v8, s33, v3
	v_cmp_lt_u32_e32 vcc, s4, v8
	s_mov_b64 s[10:11], -1
	v_mov_b32_e32 v3, v0
	s_and_saveexec_b64 s[4:5], vcc
	s_cbranch_execz .LBB106_35
; %bb.27:
	v_lshrrev_b32_e32 v8, 7, v8
	v_add_u32_e32 v10, -1, v8
	v_lshrrev_b32_e32 v9, 1, v10
	v_mov_b32_e32 v3, v2
	v_add_u32_e32 v9, 1, v9
	v_cmp_lt_u32_e32 vcc, 13, v10
	v_mov_b32_e32 v12, 0
	s_and_saveexec_b64 s[10:11], vcc
	s_cbranch_execz .LBB106_31
; %bb.28:
	v_mov_b32_e32 v11, 0x190
	v_and_b32_e32 v10, -8, v9
	v_lshl_add_u32 v11, v0, 2, v11
	s_mov_b32 s36, 0
	s_mov_b64 s[34:35], 0
.LBB106_29:                             ; =>This Inner Loop Header: Depth=1
	ds_read2st64_b32 v[12:13], v11 offset1:2
	ds_read2st64_b32 v[16:17], v11 offset0:4 offset1:6
	ds_read2st64_b32 v[20:21], v11 offset0:8 offset1:10
	;; [unrolled: 1-line block ×3, first 2 shown]
	v_add_u32_e32 v10, -8, v10
	s_waitcnt lgkmcnt(3)
	v_pk_mul_f32 v[12:13], v[2:3], v[12:13]
	s_waitcnt lgkmcnt(2)
	v_pk_mul_f32 v[16:17], v[2:3], v[16:17]
	ds_write2st64_b32 v11, v12, v13 offset1:2
	ds_write2st64_b32 v11, v16, v17 offset0:4 offset1:6
	ds_read2st64_b32 v[16:17], v11 offset0:16 offset1:18
	s_waitcnt lgkmcnt(4)
	v_pk_mul_f32 v[12:13], v[2:3], v[20:21]
	ds_write2st64_b32 v11, v12, v13 offset0:8 offset1:10
	s_waitcnt lgkmcnt(4)
	v_pk_mul_f32 v[12:13], v[2:3], v[22:23]
	ds_write2st64_b32 v11, v12, v13 offset0:12 offset1:14
	ds_read2st64_b32 v[12:13], v11 offset0:20 offset1:22
	s_waitcnt lgkmcnt(3)
	v_pk_mul_f32 v[16:17], v[2:3], v[16:17]
	ds_read2st64_b32 v[20:21], v11 offset0:24 offset1:26
	ds_write2st64_b32 v11, v16, v17 offset0:16 offset1:18
	ds_read2st64_b32 v[16:17], v11 offset0:28 offset1:30
	s_waitcnt lgkmcnt(3)
	v_pk_mul_f32 v[12:13], v[2:3], v[12:13]
	ds_write2st64_b32 v11, v12, v13 offset0:20 offset1:22
	s_waitcnt lgkmcnt(3)
	v_pk_mul_f32 v[12:13], v[2:3], v[20:21]
	ds_write2st64_b32 v11, v12, v13 offset0:24 offset1:26
	s_waitcnt lgkmcnt(2)
	v_pk_mul_f32 v[12:13], v[2:3], v[16:17]
	s_add_i32 s36, s36, 16
	v_cmp_eq_u32_e32 vcc, 0, v10
	ds_write2st64_b32 v11, v12, v13 offset0:28 offset1:30
	v_add_u32_e32 v11, 0x2000, v11
	s_or_b64 s[34:35], vcc, s[34:35]
	v_mov_b32_e32 v12, s36
	s_andn2_b64 exec, exec, s[34:35]
	s_cbranch_execnz .LBB106_29
; %bb.30:
	s_or_b64 exec, exec, s[34:35]
.LBB106_31:
	s_or_b64 exec, exec, s[10:11]
	v_and_b32_e32 v9, 7, v9
	v_cmp_ne_u32_e32 vcc, 0, v9
	s_and_saveexec_b64 s[10:11], vcc
	s_cbranch_execz .LBB106_34
; %bb.32:
	v_lshlrev_b32_e32 v10, 9, v12
	v_lshlrev_b32_e32 v11, 2, v0
	s_movk_i32 s34, 0x190
	v_add3_u32 v10, v10, v11, s34
	s_mov_b64 s[34:35], 0
.LBB106_33:                             ; =>This Inner Loop Header: Depth=1
	ds_read2st64_b32 v[12:13], v10 offset1:2
	v_add_u32_e32 v9, -1, v9
	v_cmp_eq_u32_e32 vcc, 0, v9
	s_or_b64 s[34:35], vcc, s[34:35]
	s_waitcnt lgkmcnt(0)
	v_pk_mul_f32 v[12:13], v[2:3], v[12:13]
	ds_write2st64_b32 v10, v12, v13 offset1:2
	v_add_u32_e32 v10, 0x400, v10
	s_andn2_b64 exec, exec, s[34:35]
	s_cbranch_execnz .LBB106_33
.LBB106_34:
	s_or_b64 exec, exec, s[10:11]
	v_add_u32_e32 v8, 1, v8
	v_and_b32_e32 v9, 0x3fffffe, v8
	v_cmp_ne_u32_e32 vcc, v8, v9
	v_lshl_add_u32 v3, v9, 7, v0
	s_orn2_b64 s[10:11], vcc, exec
.LBB106_35:
	s_or_b64 exec, exec, s[4:5]
	s_and_b64 exec, exec, s[10:11]
	s_cbranch_execz .LBB106_38
; %bb.36:
	v_mov_b32_e32 v8, 0x190
	v_lshl_add_u32 v8, v3, 2, v8
	s_mov_b64 s[4:5], 0
.LBB106_37:                             ; =>This Inner Loop Header: Depth=1
	ds_read_b32 v9, v8
	v_add_u32_e32 v3, 0x80, v3
	v_cmp_le_i32_e32 vcc, s15, v3
	s_or_b64 s[4:5], vcc, s[4:5]
	s_waitcnt lgkmcnt(0)
	v_mul_f32_e32 v9, v2, v9
	ds_write_b32 v8, v9
	v_add_u32_e32 v8, 0x200, v8
	s_andn2_b64 exec, exec, s[4:5]
	s_cbranch_execnz .LBB106_37
.LBB106_38:
	s_or_b64 exec, exec, s[2:3]
	s_mul_i32 s2, s12, s24
	v_cmp_eq_u32_e32 vcc, 0, v0
	s_mul_i32 s2, s2, s9
	s_waitcnt lgkmcnt(0)
	s_barrier
	s_and_saveexec_b64 s[4:5], vcc
	s_cbranch_execz .LBB106_40
; %bb.39:
	s_ashr_i32 s3, s2, 31
	s_lshl_b64 s[10:11], s[2:3], 2
	s_add_u32 s3, s18, s10
	s_mul_i32 s18, s12, s6
	s_addc_u32 s9, s19, s11
	s_ashr_i32 s19, s18, 31
	s_lshl_b64 s[18:19], s[18:19], 2
	s_add_u32 s3, s3, s18
	s_addc_u32 s6, s9, s19
	s_ashr_i32 s9, s8, 31
	s_lshl_b64 s[34:35], s[8:9], 2
	s_add_u32 s36, s3, s34
	s_addc_u32 s37, s6, s35
	s_add_u32 s3, s16, s10
	s_addc_u32 s6, s17, s11
	;; [unrolled: 2-line block ×3, first 2 shown]
	s_add_u32 s10, s3, s34
	v_mov_b32_e32 v2, 0
	s_addc_u32 s11, s6, s35
	global_store_dword v2, v4, s[36:37]
	global_store_dword v2, v5, s[10:11]
.LBB106_40:
	s_or_b64 exec, exec, s[4:5]
	v_mov_b32_e32 v11, 0
	v_and_b32_e32 v20, 1, v0
	v_mov_b32_e32 v10, 0
	v_mov_b32_e32 v13, 0
	;; [unrolled: 1-line block ×5, first 2 shown]
	s_and_saveexec_b64 s[4:5], s[0:1]
	s_cbranch_execz .LBB106_56
; %bb.41:
	s_ashr_i32 s15, s14, 31
	s_lshl_b64 s[0:1], s[14:15], 1
	s_add_u32 s9, s30, s0
	v_lshlrev_b32_e32 v2, 3, v0
	s_mov_b32 s3, s13
	s_addc_u32 s10, s31, s1
	s_add_i32 s13, s7, -1
	s_lshl_b64 s[0:1], s[28:29], 2
	v_and_b32_e32 v3, 8, v2
	s_add_u32 s0, s26, s0
	v_and_b32_e32 v2, 0x1f8, v2
	v_add3_u32 v21, s33, v14, v3
	v_lshlrev_b32_e32 v3, 5, v20
	v_lshlrev_b64 v[12:13], 2, v[6:7]
	s_addc_u32 s1, s27, s1
	v_mov_b32_e32 v8, 0
	v_or_b32_e32 v4, 0x800, v2
	v_or_b32_e32 v10, 0xa00, v2
	v_lshl_or_b32 v1, v1, 6, v3
	v_mov_b32_e32 v3, s1
	v_add_co_u32_e32 v14, vcc, s0, v12
	s_mov_b32 s14, s25
	s_mov_b32 s15, s25
	;; [unrolled: 1-line block ×7, first 2 shown]
	v_add_u32_e32 v1, 0x190, v1
	v_addc_co_u32_e32 v15, vcc, v3, v13, vcc
	s_mov_b64 s[6:7], 0
	v_mov_b32_e32 v7, s10
	v_lshlrev_b32_e32 v22, 1, v2
	s_mov_b32 s26, 0x5040100
	v_lshlrev_b32_e32 v23, 1, v4
	v_lshlrev_b32_e32 v24, 1, v10
	v_mov_b32_e32 v9, v8
	v_mov_b32_e32 v12, v8
	;; [unrolled: 1-line block ×5, first 2 shown]
	s_branch .LBB106_43
.LBB106_42:                             ;   in Loop: Header=BB106_43 Depth=1
	s_or_b64 exec, exec, s[0:1]
	s_waitcnt vmcnt(0)
	;;#ASMSTART
	v_pk_mul_f16 v2, v35, v2;

	;;#ASMEND
	;;#ASMSTART
	v_pk_mul_f16 v3, v34, v3;

	;;#ASMEND
	;;#ASMSTART
	v_pk_mul_f16 v4, v32, v4;

	;;#ASMEND
	;;#ASMSTART
	v_pk_mul_f16 v5, v30, v5;

	;;#ASMEND
	;;#ASMSTART
	v_pk_add_f16 v2, v2, v3;

	;;#ASMEND
	;;#ASMSTART
	v_pk_add_f16 v2, v2, v4;

	;;#ASMEND
	;; [unrolled: 4-line block ×3, first 2 shown]
	v_add_f32_e32 v25, v38, v39
	v_lshrrev_b32_e32 v3, 16, v2
	v_and_b32_e32 v2, 0xffff, v2
	v_add_u32_e32 v6, 2, v6
	v_add_f32_e32 v8, v8, v25
	v_add_f32_e32 v25, v40, v41
	;; [unrolled: 1-line block ×3, first 2 shown]
	;;#ASMSTART
	v_cvt_f32_f16 v2, v2;
	;;#ASMEND
	v_cmp_le_i32_e32 vcc, s21, v6
	v_add_f32_e32 v9, v9, v25
	v_add_f32_e32 v25, v42, v43
	;; [unrolled: 1-line block ×4, first 2 shown]
	;;#ASMSTART
	v_cvt_f32_f16 v3, v3;
	;;#ASMEND
	v_add_f32_e32 v2, v2, v3
	s_or_b64 s[6:7], vcc, s[6:7]
	v_add_co_u32_e32 v14, vcc, 8, v14
	v_add_f32_e32 v12, v12, v25
	v_add_f32_e32 v10, v10, v16
	;; [unrolled: 1-line block ×3, first 2 shown]
	v_add_u32_e32 v21, 32, v21
	v_add_u32_e32 v1, 0x80, v1
	v_addc_co_u32_e32 v15, vcc, 0, v15, vcc
	s_andn2_b64 exec, exec, s[6:7]
	s_cbranch_execz .LBB106_55
.LBB106_43:                             ; =>This Inner Loop Header: Depth=1
	global_load_dword v16, v[14:15], off
	ds_read2_b64 v[2:5], v1 offset1:1
	ds_read2_b64 v[26:29], v1 offset0:2 offset1:3
	v_add_u32_e32 v25, 1, v21
	v_or_b32_e32 v33, 7, v21
	s_waitcnt lgkmcnt(1)
	;;#ASMSTART
	v_cvt_f16_f32 v30, v2;

	;;#ASMEND
	;;#ASMSTART
	v_cvt_f16_f32 v32, v3;

	;;#ASMEND
	;; [unrolled: 4-line block ×4, first 2 shown]
	s_waitcnt lgkmcnt(0)
	;;#ASMSTART
	v_cvt_f16_f32 v39, v26;

	;;#ASMEND
	;;#ASMSTART
	v_cvt_f16_f32 v40, v27;

	;;#ASMEND
	;; [unrolled: 4-line block ×4, first 2 shown]
	v_or_b32_e32 v27, 3, v21
	v_or_b32_e32 v26, 2, v21
	;; [unrolled: 1-line block ×5, first 2 shown]
	s_waitcnt vmcnt(0)
	v_mad_i64_i32 v[2:3], s[0:1], v16, s3, 0
	v_lshlrev_b64 v[2:3], 1, v[2:3]
	v_add_co_u32_e32 v36, vcc, s9, v2
	v_addc_co_u32_e32 v37, vcc, v7, v3, vcc
	v_add_co_u32_e32 v16, vcc, v36, v22
	v_addc_co_u32_e32 v17, vcc, 0, v37, vcc
	global_load_dwordx4 v[2:5], v[16:17], off
	v_cmp_eq_u32_e32 vcc, s13, v6
	s_and_saveexec_b64 s[10:11], vcc
	s_cbranch_execz .LBB106_45
; %bb.44:                               ;   in Loop: Header=BB106_43 Depth=1
	s_waitcnt vmcnt(0)
	v_lshrrev_b32_e32 v35, 16, v5
	v_cmp_gt_i32_e64 s[0:1], s24, v33
	v_cndmask_b32_e64 v35, 0, v35, s[0:1]
	v_cmp_gt_i32_e64 s[0:1], s19, v31
	v_cndmask_b32_e64 v5, 0, v5, s[0:1]
	v_perm_b32 v5, v35, v5, s26
	v_lshrrev_b32_e32 v35, 16, v4
	v_cmp_gt_i32_e64 s[0:1], s18, v29
	v_cndmask_b32_e64 v35, 0, v35, s[0:1]
	v_cmp_gt_i32_e64 s[0:1], s17, v28
	v_cndmask_b32_e64 v4, 0, v4, s[0:1]
	v_perm_b32 v4, v35, v4, s26
	v_lshrrev_b32_e32 v35, 16, v3
	v_cmp_gt_i32_e64 s[0:1], s16, v27
	v_cndmask_b32_e64 v35, 0, v35, s[0:1]
	v_cmp_gt_i32_e64 s[0:1], s15, v26
	v_cndmask_b32_e64 v3, 0, v3, s[0:1]
	v_perm_b32 v3, v35, v3, s26
	v_lshrrev_b32_e32 v35, 16, v2
	v_cmp_gt_i32_e64 s[0:1], s14, v25
	v_cndmask_b32_e64 v35, 0, v35, s[0:1]
	v_cmp_gt_i32_e64 s[0:1], s25, v21
	v_cndmask_b32_e64 v2, 0, v2, s[0:1]
	v_perm_b32 v2, v35, v2, s26
.LBB106_45:                             ;   in Loop: Header=BB106_43 Depth=1
	s_or_b64 exec, exec, s[10:11]
	v_and_b32_e32 v30, 0xffff, v30
	v_lshl_or_b32 v35, v32, 16, v30
	v_and_b32_e32 v30, 0xffff, v34
	v_lshl_or_b32 v34, v38, 16, v30
	;; [unrolled: 2-line block ×3, first 2 shown]
	v_and_b32_e32 v30, 0xffff, v41
	s_waitcnt vmcnt(0)
	;;#ASMSTART
	v_pk_mul_f16 v2, v35, v2;

	;;#ASMEND
	v_lshl_or_b32 v30, v42, 16, v30
	;;#ASMSTART
	v_pk_mul_f16 v3, v34, v3;

	;;#ASMEND
	;;#ASMSTART
	v_pk_mul_f16 v4, v32, v4;

	;;#ASMEND
	;; [unrolled: 4-line block ×3, first 2 shown]
	;;#ASMSTART
	v_pk_add_f16 v2, v2, v3;

	;;#ASMEND
	;;#ASMSTART
	v_pk_add_f16 v2, v2, v4;

	;;#ASMEND
	;; [unrolled: 4-line block ×3, first 2 shown]
	v_lshrrev_b32_e32 v3, 16, v2
	v_and_b32_e32 v2, 0xffff, v2
	;;#ASMSTART
	v_cvt_f32_f16 v38, v2;
	;;#ASMEND
	;;#ASMSTART
	v_cvt_f32_f16 v39, v3;
	;;#ASMEND
	global_load_dwordx4 v[2:5], v[16:17], off offset:1024
	s_and_saveexec_b64 s[10:11], vcc
	s_cbranch_execz .LBB106_47
; %bb.46:                               ;   in Loop: Header=BB106_43 Depth=1
	s_waitcnt vmcnt(0)
	v_lshrrev_b32_e32 v40, 16, v5
	v_cmp_gt_i32_e64 s[0:1], s24, v33
	v_cndmask_b32_e64 v40, 0, v40, s[0:1]
	v_cmp_gt_i32_e64 s[0:1], s19, v31
	v_cndmask_b32_e64 v5, 0, v5, s[0:1]
	v_perm_b32 v5, v40, v5, s26
	v_lshrrev_b32_e32 v40, 16, v4
	v_cmp_gt_i32_e64 s[0:1], s18, v29
	v_cndmask_b32_e64 v40, 0, v40, s[0:1]
	v_cmp_gt_i32_e64 s[0:1], s17, v28
	v_cndmask_b32_e64 v4, 0, v4, s[0:1]
	v_perm_b32 v4, v40, v4, s26
	;; [unrolled: 6-line block ×4, first 2 shown]
.LBB106_47:                             ;   in Loop: Header=BB106_43 Depth=1
	s_or_b64 exec, exec, s[10:11]
	s_waitcnt vmcnt(0)
	;;#ASMSTART
	v_pk_mul_f16 v2, v35, v2;

	;;#ASMEND
	;;#ASMSTART
	v_pk_mul_f16 v3, v34, v3;

	;;#ASMEND
	;;#ASMSTART
	v_pk_mul_f16 v4, v32, v4;

	;;#ASMEND
	;;#ASMSTART
	v_pk_mul_f16 v5, v30, v5;

	;;#ASMEND
	;;#ASMSTART
	v_pk_add_f16 v2, v2, v3;

	;;#ASMEND
	;;#ASMSTART
	v_pk_add_f16 v2, v2, v4;

	;;#ASMEND
	;; [unrolled: 4-line block ×3, first 2 shown]
	v_lshrrev_b32_e32 v3, 16, v2
	v_and_b32_e32 v2, 0xffff, v2
	;;#ASMSTART
	v_cvt_f32_f16 v40, v2;
	;;#ASMEND
	;;#ASMSTART
	v_cvt_f32_f16 v41, v3;
	;;#ASMEND
	global_load_dwordx4 v[2:5], v[16:17], off offset:2048
	s_and_saveexec_b64 s[10:11], vcc
	s_cbranch_execz .LBB106_49
; %bb.48:                               ;   in Loop: Header=BB106_43 Depth=1
	s_waitcnt vmcnt(0)
	v_lshrrev_b32_e32 v42, 16, v5
	v_cmp_gt_i32_e64 s[0:1], s24, v33
	v_cndmask_b32_e64 v42, 0, v42, s[0:1]
	v_cmp_gt_i32_e64 s[0:1], s19, v31
	v_cndmask_b32_e64 v5, 0, v5, s[0:1]
	v_perm_b32 v5, v42, v5, s26
	v_lshrrev_b32_e32 v42, 16, v4
	v_cmp_gt_i32_e64 s[0:1], s18, v29
	v_cndmask_b32_e64 v42, 0, v42, s[0:1]
	v_cmp_gt_i32_e64 s[0:1], s17, v28
	v_cndmask_b32_e64 v4, 0, v4, s[0:1]
	v_perm_b32 v4, v42, v4, s26
	;; [unrolled: 6-line block ×4, first 2 shown]
.LBB106_49:                             ;   in Loop: Header=BB106_43 Depth=1
	s_or_b64 exec, exec, s[10:11]
	s_waitcnt vmcnt(0)
	;;#ASMSTART
	v_pk_mul_f16 v2, v35, v2;

	;;#ASMEND
	;;#ASMSTART
	v_pk_mul_f16 v3, v34, v3;

	;;#ASMEND
	;; [unrolled: 4-line block ×4, first 2 shown]
	;;#ASMSTART
	v_pk_add_f16 v2, v2, v3;

	;;#ASMEND
	;;#ASMSTART
	v_pk_add_f16 v2, v2, v4;

	;;#ASMEND
	;; [unrolled: 4-line block ×3, first 2 shown]
	v_lshrrev_b32_e32 v3, 16, v2
	v_and_b32_e32 v2, 0xffff, v2
	;;#ASMSTART
	v_cvt_f32_f16 v42, v2;
	;;#ASMEND
	;;#ASMSTART
	v_cvt_f32_f16 v43, v3;
	;;#ASMEND
	global_load_dwordx4 v[2:5], v[16:17], off offset:3072
	s_and_saveexec_b64 s[10:11], vcc
	s_cbranch_execz .LBB106_51
; %bb.50:                               ;   in Loop: Header=BB106_43 Depth=1
	s_waitcnt vmcnt(0)
	v_lshrrev_b32_e32 v16, 16, v5
	v_cmp_gt_i32_e64 s[0:1], s24, v33
	v_cndmask_b32_e64 v16, 0, v16, s[0:1]
	v_cmp_gt_i32_e64 s[0:1], s19, v31
	v_cndmask_b32_e64 v5, 0, v5, s[0:1]
	v_perm_b32 v5, v16, v5, s26
	v_lshrrev_b32_e32 v16, 16, v4
	v_cmp_gt_i32_e64 s[0:1], s18, v29
	v_cndmask_b32_e64 v16, 0, v16, s[0:1]
	v_cmp_gt_i32_e64 s[0:1], s17, v28
	v_cndmask_b32_e64 v4, 0, v4, s[0:1]
	v_perm_b32 v4, v16, v4, s26
	;; [unrolled: 6-line block ×4, first 2 shown]
.LBB106_51:                             ;   in Loop: Header=BB106_43 Depth=1
	s_or_b64 exec, exec, s[10:11]
	s_waitcnt vmcnt(0)
	;;#ASMSTART
	v_pk_mul_f16 v2, v35, v2;

	;;#ASMEND
	;;#ASMSTART
	v_pk_mul_f16 v3, v34, v3;

	;;#ASMEND
	;; [unrolled: 4-line block ×4, first 2 shown]
	;;#ASMSTART
	v_pk_add_f16 v2, v2, v3;

	;;#ASMEND
	;;#ASMSTART
	v_pk_add_f16 v2, v2, v4;

	;;#ASMEND
	;; [unrolled: 4-line block ×3, first 2 shown]
	v_lshrrev_b32_e32 v3, 16, v2
	v_and_b32_e32 v2, 0xffff, v2
	;;#ASMSTART
	v_cvt_f32_f16 v16, v2;
	;;#ASMEND
	v_add_co_u32_e64 v2, s[0:1], v36, v23
	;;#ASMSTART
	v_cvt_f32_f16 v17, v3;
	;;#ASMEND
	v_addc_co_u32_e64 v3, s[0:1], 0, v37, s[0:1]
	global_load_dwordx4 v[2:5], v[2:3], off
	s_and_saveexec_b64 s[10:11], vcc
	s_cbranch_execz .LBB106_53
; %bb.52:                               ;   in Loop: Header=BB106_43 Depth=1
	s_waitcnt vmcnt(0)
	v_lshrrev_b32_e32 v44, 16, v5
	v_cmp_gt_i32_e64 s[0:1], s24, v33
	v_cndmask_b32_e64 v44, 0, v44, s[0:1]
	v_cmp_gt_i32_e64 s[0:1], s19, v31
	v_cndmask_b32_e64 v5, 0, v5, s[0:1]
	v_perm_b32 v5, v44, v5, s26
	v_lshrrev_b32_e32 v44, 16, v4
	v_cmp_gt_i32_e64 s[0:1], s18, v29
	v_cndmask_b32_e64 v44, 0, v44, s[0:1]
	v_cmp_gt_i32_e64 s[0:1], s17, v28
	v_cndmask_b32_e64 v4, 0, v4, s[0:1]
	v_perm_b32 v4, v44, v4, s26
	;; [unrolled: 6-line block ×4, first 2 shown]
.LBB106_53:                             ;   in Loop: Header=BB106_43 Depth=1
	s_or_b64 exec, exec, s[10:11]
	s_waitcnt vmcnt(0)
	;;#ASMSTART
	v_pk_mul_f16 v2, v35, v2;

	;;#ASMEND
	;;#ASMSTART
	v_pk_mul_f16 v3, v34, v3;

	;;#ASMEND
	;; [unrolled: 4-line block ×4, first 2 shown]
	;;#ASMSTART
	v_pk_add_f16 v2, v2, v3;

	;;#ASMEND
	;;#ASMSTART
	v_pk_add_f16 v2, v2, v4;

	;;#ASMEND
	;; [unrolled: 4-line block ×3, first 2 shown]
	v_lshrrev_b32_e32 v3, 16, v2
	v_and_b32_e32 v2, 0xffff, v2
	;;#ASMSTART
	v_cvt_f32_f16 v44, v2;
	;;#ASMEND
	v_add_co_u32_e64 v2, s[0:1], v36, v24
	;;#ASMSTART
	v_cvt_f32_f16 v45, v3;
	;;#ASMEND
	v_addc_co_u32_e64 v3, s[0:1], 0, v37, s[0:1]
	global_load_dwordx4 v[2:5], v[2:3], off
	s_and_saveexec_b64 s[0:1], vcc
	s_cbranch_execz .LBB106_42
; %bb.54:                               ;   in Loop: Header=BB106_43 Depth=1
	s_waitcnt vmcnt(0)
	v_lshrrev_b32_e32 v36, 16, v5
	v_cmp_gt_i32_e32 vcc, s24, v33
	v_cndmask_b32_e32 v33, 0, v36, vcc
	v_cmp_gt_i32_e32 vcc, s19, v31
	v_cndmask_b32_e32 v5, 0, v5, vcc
	v_lshrrev_b32_e32 v31, 16, v4
	v_cmp_gt_i32_e32 vcc, s18, v29
	v_cndmask_b32_e32 v29, 0, v31, vcc
	v_cmp_gt_i32_e32 vcc, s17, v28
	v_cndmask_b32_e32 v4, 0, v4, vcc
	;; [unrolled: 5-line block ×4, first 2 shown]
	v_perm_b32 v5, v33, v5, s26
	v_perm_b32 v4, v29, v4, s26
	;; [unrolled: 1-line block ×4, first 2 shown]
	s_branch .LBB106_42
.LBB106_55:
	s_or_b64 exec, exec, s[6:7]
.LBB106_56:
	s_or_b64 exec, exec, s[4:5]
	ds_bpermute_b32 v2, v19, v8
	ds_bpermute_b32 v3, v19, v9
	;; [unrolled: 1-line block ×6, first 2 shown]
	v_and_b32_e32 v1, 0x3c1, v0
	s_waitcnt lgkmcnt(4)
	v_pk_add_f32 v[6:7], v[8:9], v[2:3]
	s_waitcnt lgkmcnt(2)
	v_pk_add_f32 v[4:5], v[12:13], v[4:5]
	v_cmp_eq_u32_e32 vcc, 64, v1
	s_waitcnt lgkmcnt(0)
	v_pk_add_f32 v[2:3], v[10:11], v[14:15]
	s_barrier
	s_and_saveexec_b64 s[0:1], vcc
	s_cbranch_execz .LBB106_58
; %bb.57:
	v_mov_b32_e32 v8, 0x190
	v_lshl_add_u32 v8, v18, 1, v8
	ds_write2_b32 v8, v6, v7 offset1:32
	ds_write2_b32 v8, v4, v5 offset0:64 offset1:96
	ds_write2_b32 v8, v2, v3 offset0:128 offset1:160
.LBB106_58:
	s_or_b64 exec, exec, s[0:1]
	v_cmp_gt_u32_e32 vcc, 64, v0
	s_waitcnt lgkmcnt(0)
	s_barrier
	s_and_saveexec_b64 s[0:1], vcc
	s_cbranch_execz .LBB106_67
; %bb.59:
	v_cmp_eq_u32_e32 vcc, 0, v20
	v_lshrrev_b32_e32 v8, 1, v0
	s_and_saveexec_b64 s[4:5], vcc
	s_cbranch_execnz .LBB106_70
; %bb.60:
	s_or_b64 exec, exec, s[4:5]
	s_and_saveexec_b64 s[4:5], vcc
	s_cbranch_execnz .LBB106_71
.LBB106_61:
	s_or_b64 exec, exec, s[4:5]
	s_and_saveexec_b64 s[4:5], vcc
	s_cbranch_execnz .LBB106_72
.LBB106_62:
	s_or_b64 exec, exec, s[4:5]
	s_and_saveexec_b64 s[4:5], vcc
	s_cbranch_execnz .LBB106_73
.LBB106_63:
	s_or_b64 exec, exec, s[4:5]
	s_and_saveexec_b64 s[4:5], vcc
	s_cbranch_execnz .LBB106_74
.LBB106_64:
	s_or_b64 exec, exec, s[4:5]
	s_and_saveexec_b64 s[4:5], vcc
	s_cbranch_execz .LBB106_66
.LBB106_65:
	v_mov_b32_e32 v9, 0x190
	v_lshl_add_u32 v8, v8, 2, v9
	ds_read_b32 v8, v8 offset:640
	s_waitcnt lgkmcnt(0)
	v_add_f32_e32 v3, v3, v8
.LBB106_66:
	s_or_b64 exec, exec, s[4:5]
.LBB106_67:
	s_or_b64 exec, exec, s[0:1]
	v_cmp_eq_u32_e32 vcc, 0, v1
	s_barrier
	s_and_saveexec_b64 s[0:1], vcc
	s_cbranch_execz .LBB106_69
; %bb.68:
	s_mul_i32 s0, s2, 0xc0
	s_ashr_i32 s1, s0, 31
	s_lshl_b64 s[0:1], s[0:1], 1
	s_add_u32 s2, s22, s0
	s_mul_i32 s0, s12, s20
	s_addc_u32 s3, s23, s1
	s_ashr_i32 s1, s0, 31
	s_lshl_b64 s[0:1], s[0:1], 1
	s_add_u32 s2, s2, s0
	s_mul_i32 s0, s8, 0xc0
	s_addc_u32 s3, s3, s1
	s_ashr_i32 s1, s0, 31
	s_lshl_b64 s[0:1], s[0:1], 1
	s_add_u32 s0, s2, s0
	s_addc_u32 s1, s3, s1
	;;#ASMSTART
	v_cvt_f16_f32 v1, v6;

	;;#ASMEND
	global_store_short v0, v1, s[0:1]
	;;#ASMSTART
	v_cvt_f16_f32 v1, v7;

	;;#ASMEND
	global_store_short v0, v1, s[0:1] offset:64
	;;#ASMSTART
	v_cvt_f16_f32 v1, v4;

	;;#ASMEND
	global_store_short v0, v1, s[0:1] offset:128
	;; [unrolled: 5-line block ×5, first 2 shown]
.LBB106_69:
	s_endpgm
.LBB106_70:
	v_mov_b32_e32 v9, 0x190
	v_lshl_add_u32 v9, v8, 2, v9
	ds_read_b32 v9, v9
	s_waitcnt lgkmcnt(0)
	v_add_f32_e32 v6, v6, v9
	s_or_b64 exec, exec, s[4:5]
	s_and_saveexec_b64 s[4:5], vcc
	s_cbranch_execz .LBB106_61
.LBB106_71:
	v_mov_b32_e32 v9, 0x190
	v_lshl_add_u32 v9, v8, 2, v9
	ds_read_b32 v9, v9 offset:128
	s_waitcnt lgkmcnt(0)
	v_add_f32_e32 v7, v7, v9
	s_or_b64 exec, exec, s[4:5]
	s_and_saveexec_b64 s[4:5], vcc
	s_cbranch_execz .LBB106_62
.LBB106_72:
	v_mov_b32_e32 v9, 0x190
	v_lshl_add_u32 v9, v8, 2, v9
	ds_read_b32 v9, v9 offset:256
	s_waitcnt lgkmcnt(0)
	v_add_f32_e32 v4, v4, v9
	s_or_b64 exec, exec, s[4:5]
	s_and_saveexec_b64 s[4:5], vcc
	s_cbranch_execz .LBB106_63
.LBB106_73:
	v_mov_b32_e32 v9, 0x190
	v_lshl_add_u32 v9, v8, 2, v9
	ds_read_b32 v9, v9 offset:384
	s_waitcnt lgkmcnt(0)
	v_add_f32_e32 v5, v5, v9
	s_or_b64 exec, exec, s[4:5]
	s_and_saveexec_b64 s[4:5], vcc
	s_cbranch_execz .LBB106_64
.LBB106_74:
	v_mov_b32_e32 v9, 0x190
	v_lshl_add_u32 v9, v8, 2, v9
	ds_read_b32 v9, v9 offset:512
	s_waitcnt lgkmcnt(0)
	v_add_f32_e32 v2, v2, v9
	s_or_b64 exec, exec, s[4:5]
	s_and_saveexec_b64 s[4:5], vcc
	s_cbranch_execnz .LBB106_65
	s_branch .LBB106_66
	.section	.rodata,"a",@progbits
	.p2align	6, 0x0
	.amdhsa_kernel _ZN4vllm25paged_attention_v2_kernelIttLi192ELi16ELi128ELNS_18Fp8KVCacheDataTypeE0ELb0ELi512EEEvPfS2_PT_PKS3_PKT0_S9_ifPKiSB_iPKfiiiSD_SD_iiiii
		.amdhsa_group_segment_fixed_size 400
		.amdhsa_private_segment_fixed_size 0
		.amdhsa_kernarg_size 400
		.amdhsa_user_sgpr_count 6
		.amdhsa_user_sgpr_private_segment_buffer 1
		.amdhsa_user_sgpr_dispatch_ptr 0
		.amdhsa_user_sgpr_queue_ptr 0
		.amdhsa_user_sgpr_kernarg_segment_ptr 1
		.amdhsa_user_sgpr_dispatch_id 0
		.amdhsa_user_sgpr_flat_scratch_init 0
		.amdhsa_user_sgpr_kernarg_preload_length 0
		.amdhsa_user_sgpr_kernarg_preload_offset 0
		.amdhsa_user_sgpr_private_segment_size 0
		.amdhsa_uses_dynamic_stack 0
		.amdhsa_system_sgpr_private_segment_wavefront_offset 0
		.amdhsa_system_sgpr_workgroup_id_x 1
		.amdhsa_system_sgpr_workgroup_id_y 1
		.amdhsa_system_sgpr_workgroup_id_z 1
		.amdhsa_system_sgpr_workgroup_info 0
		.amdhsa_system_vgpr_workitem_id 0
		.amdhsa_next_free_vgpr 62
		.amdhsa_next_free_sgpr 43
		.amdhsa_accum_offset 64
		.amdhsa_reserve_vcc 1
		.amdhsa_reserve_flat_scratch 0
		.amdhsa_float_round_mode_32 0
		.amdhsa_float_round_mode_16_64 0
		.amdhsa_float_denorm_mode_32 3
		.amdhsa_float_denorm_mode_16_64 3
		.amdhsa_dx10_clamp 1
		.amdhsa_ieee_mode 1
		.amdhsa_fp16_overflow 0
		.amdhsa_tg_split 0
		.amdhsa_exception_fp_ieee_invalid_op 0
		.amdhsa_exception_fp_denorm_src 0
		.amdhsa_exception_fp_ieee_div_zero 0
		.amdhsa_exception_fp_ieee_overflow 0
		.amdhsa_exception_fp_ieee_underflow 0
		.amdhsa_exception_fp_ieee_inexact 0
		.amdhsa_exception_int_div_zero 0
	.end_amdhsa_kernel
	.section	.text._ZN4vllm25paged_attention_v2_kernelIttLi192ELi16ELi128ELNS_18Fp8KVCacheDataTypeE0ELb0ELi512EEEvPfS2_PT_PKS3_PKT0_S9_ifPKiSB_iPKfiiiSD_SD_iiiii,"axG",@progbits,_ZN4vllm25paged_attention_v2_kernelIttLi192ELi16ELi128ELNS_18Fp8KVCacheDataTypeE0ELb0ELi512EEEvPfS2_PT_PKS3_PKT0_S9_ifPKiSB_iPKfiiiSD_SD_iiiii,comdat
.Lfunc_end106:
	.size	_ZN4vllm25paged_attention_v2_kernelIttLi192ELi16ELi128ELNS_18Fp8KVCacheDataTypeE0ELb0ELi512EEEvPfS2_PT_PKS3_PKT0_S9_ifPKiSB_iPKfiiiSD_SD_iiiii, .Lfunc_end106-_ZN4vllm25paged_attention_v2_kernelIttLi192ELi16ELi128ELNS_18Fp8KVCacheDataTypeE0ELb0ELi512EEEvPfS2_PT_PKS3_PKT0_S9_ifPKiSB_iPKfiiiSD_SD_iiiii
                                        ; -- End function
	.section	.AMDGPU.csdata,"",@progbits
; Kernel info:
; codeLenInByte = 7680
; NumSgprs: 47
; NumVgprs: 62
; NumAgprs: 0
; TotalNumVgprs: 62
; ScratchSize: 0
; MemoryBound: 0
; FloatMode: 240
; IeeeMode: 1
; LDSByteSize: 400 bytes/workgroup (compile time only)
; SGPRBlocks: 5
; VGPRBlocks: 7
; NumSGPRsForWavesPerEU: 47
; NumVGPRsForWavesPerEU: 62
; AccumOffset: 64
; Occupancy: 8
; WaveLimiterHint : 1
; COMPUTE_PGM_RSRC2:SCRATCH_EN: 0
; COMPUTE_PGM_RSRC2:USER_SGPR: 6
; COMPUTE_PGM_RSRC2:TRAP_HANDLER: 0
; COMPUTE_PGM_RSRC2:TGID_X_EN: 1
; COMPUTE_PGM_RSRC2:TGID_Y_EN: 1
; COMPUTE_PGM_RSRC2:TGID_Z_EN: 1
; COMPUTE_PGM_RSRC2:TIDIG_COMP_CNT: 0
; COMPUTE_PGM_RSRC3_GFX90A:ACCUM_OFFSET: 15
; COMPUTE_PGM_RSRC3_GFX90A:TG_SPLIT: 0
	.section	.text._ZN4vllm25paged_attention_v2_kernelIttLi256ELi16ELi128ELNS_18Fp8KVCacheDataTypeE0ELb0ELi512EEEvPfS2_PT_PKS3_PKT0_S9_ifPKiSB_iPKfiiiSD_SD_iiiii,"axG",@progbits,_ZN4vllm25paged_attention_v2_kernelIttLi256ELi16ELi128ELNS_18Fp8KVCacheDataTypeE0ELb0ELi512EEEvPfS2_PT_PKS3_PKT0_S9_ifPKiSB_iPKfiiiSD_SD_iiiii,comdat
	.protected	_ZN4vllm25paged_attention_v2_kernelIttLi256ELi16ELi128ELNS_18Fp8KVCacheDataTypeE0ELb0ELi512EEEvPfS2_PT_PKS3_PKT0_S9_ifPKiSB_iPKfiiiSD_SD_iiiii ; -- Begin function _ZN4vllm25paged_attention_v2_kernelIttLi256ELi16ELi128ELNS_18Fp8KVCacheDataTypeE0ELb0ELi512EEEvPfS2_PT_PKS3_PKT0_S9_ifPKiSB_iPKfiiiSD_SD_iiiii
	.globl	_ZN4vllm25paged_attention_v2_kernelIttLi256ELi16ELi128ELNS_18Fp8KVCacheDataTypeE0ELb0ELi512EEEvPfS2_PT_PKS3_PKT0_S9_ifPKiSB_iPKfiiiSD_SD_iiiii
	.p2align	8
	.type	_ZN4vllm25paged_attention_v2_kernelIttLi256ELi16ELi128ELNS_18Fp8KVCacheDataTypeE0ELb0ELi512EEEvPfS2_PT_PKS3_PKT0_S9_ifPKiSB_iPKfiiiSD_SD_iiiii,@function
_ZN4vllm25paged_attention_v2_kernelIttLi256ELi16ELi128ELNS_18Fp8KVCacheDataTypeE0ELb0ELi512EEEvPfS2_PT_PKS3_PKT0_S9_ifPKiSB_iPKfiiiSD_SD_iiiii: ; @_ZN4vllm25paged_attention_v2_kernelIttLi256ELi16ELi128ELNS_18Fp8KVCacheDataTypeE0ELb0ELi512EEEvPfS2_PT_PKS3_PKT0_S9_ifPKiSB_iPKfiiiSD_SD_iiiii
; %bb.0:
	s_load_dwordx2 s[0:1], s[4:5], 0x40
	s_mov_b32 s24, s7
	s_ashr_i32 s25, s7, 31
	s_lshl_b64 s[2:3], s[24:25], 2
	s_waitcnt lgkmcnt(0)
	s_add_u32 s0, s0, s2
	s_addc_u32 s1, s1, s3
	s_load_dword s25, s[0:1], 0x0
	s_lshl_b32 s33, s8, 9
	s_waitcnt lgkmcnt(0)
	s_cmp_ge_i32 s33, s25
	s_cbranch_scc1 .LBB107_75
; %bb.1:
	s_load_dword s9, s[4:5], 0x90
	s_load_dwordx2 s[10:11], s[4:5], 0x30
	s_mov_b32 s40, 0
	s_waitcnt lgkmcnt(0)
	s_abs_i32 s2, s9
	s_abs_i32 s0, s10
	v_cvt_f32_u32_e32 v1, s0
	s_sub_i32 s3, 0, s0
	s_xor_b32 s1, s9, s10
	s_ashr_i32 s1, s1, 31
	v_rcp_iflag_f32_e32 v1, v1
	v_mul_f32_e32 v1, 0x4f7ffffe, v1
	v_cvt_u32_f32_e32 v1, v1
	v_readfirstlane_b32 s7, v1
	s_mul_i32 s3, s3, s7
	s_mul_hi_u32 s3, s7, s3
	s_add_i32 s7, s7, s3
	s_mul_hi_u32 s3, s2, s7
	s_mul_i32 s7, s3, s0
	s_sub_i32 s2, s2, s7
	s_add_i32 s10, s3, 1
	s_sub_i32 s7, s2, s0
	s_cmp_ge_u32 s2, s0
	s_cselect_b32 s3, s10, s3
	s_cselect_b32 s2, s7, s2
	s_add_i32 s7, s3, 1
	s_cmp_ge_u32 s2, s0
	s_cselect_b32 s0, s7, s3
	s_xor_b32 s0, s0, s1
	s_sub_i32 s10, s0, s1
	s_abs_i32 s2, s10
	v_cvt_f32_u32_e32 v1, s2
	s_load_dwordx2 s[0:1], s[4:5], 0x50
	s_sub_i32 s7, 0, s2
	s_abs_i32 s3, s6
	v_rcp_iflag_f32_e32 v1, v1
	v_mul_f32_e32 v1, 0x4f7ffffe, v1
	v_cvt_u32_f32_e32 v1, v1
	v_readfirstlane_b32 s12, v1
	s_mul_i32 s7, s7, s12
	s_mul_hi_u32 s7, s12, s7
	s_add_i32 s12, s12, s7
	s_waitcnt lgkmcnt(0)
	s_cmp_eq_u64 s[0:1], 0
	s_mul_hi_u32 s16, s3, s12
	s_cbranch_scc1 .LBB107_3
; %bb.2:
	s_ashr_i32 s7, s6, 31
	s_lshl_b64 s[12:13], s[6:7], 2
	s_add_u32 s0, s0, s12
	s_addc_u32 s1, s1, s13
	s_load_dword s40, s[0:1], 0x0
.LBB107_3:
	s_load_dwordx4 s[12:15], s[4:5], 0x58
	s_movk_i32 s0, 0x80
	s_ashr_i32 s17, s6, 31
	s_ashr_i32 s18, s10, 31
	v_and_b32_e32 v2, 3, v0
	s_lshl_b32 s20, s6, 8
	v_cmp_gt_u32_e32 vcc, s0, v0
	s_and_saveexec_b64 s[0:1], vcc
	s_cbranch_execz .LBB107_5
; %bb.4:
	s_load_dwordx2 s[22:23], s[4:5], 0x18
	s_waitcnt lgkmcnt(0)
	s_mul_i32 s26, s24, s12
	s_ashr_i32 s27, s26, 31
	s_lshl_b64 s[26:27], s[26:27], 1
	v_lshlrev_b32_e32 v1, 2, v0
	s_add_u32 s7, s22, s26
	s_addc_u32 s10, s23, s27
	s_ashr_i32 s21, s20, 31
	s_lshl_b64 s[22:23], s[20:21], 1
	s_add_u32 s22, s7, s22
	s_addc_u32 s23, s10, s23
	global_load_dword v1, v1, s[22:23]
	v_and_b32_e32 v3, 0x3fc, v0
	v_lshl_add_u32 v3, v2, 7, v3
	s_waitcnt vmcnt(0)
	ds_write_b32 v3, v1
.LBB107_5:
	s_or_b64 exec, exec, s[0:1]
	s_add_i32 s0, s25, 15
	s_ashr_i32 s1, s0, 31
	s_lshr_b32 s1, s1, 28
	s_add_i32 s0, s0, s1
	s_lshl_b32 s10, s8, 5
	s_mul_i32 s1, s16, s2
	s_ashr_i32 s7, s0, 4
	s_add_i32 s0, s10, 32
	s_sub_i32 s1, s3, s1
	s_min_i32 s21, s0, s7
	s_xor_b32 s0, s17, s18
	s_add_i32 s3, s16, 1
	s_waitcnt lgkmcnt(0)
	s_sub_i32 s12, s1, s2
	s_cmp_ge_u32 s1, s2
	s_cselect_b32 s3, s3, s16
	s_cselect_b32 s1, s12, s1
	s_add_i32 s12, s3, 1
	s_cmp_ge_u32 s1, s2
	s_load_dwordx2 s[26:27], s[4:5], 0x38
	s_load_dword s2, s[4:5], 0x48
	v_lshrrev_b32_e32 v1, 6, v0
	s_cselect_b32 s1, s12, s3
	s_xor_b32 s1, s1, s0
	v_or_b32_e32 v6, s10, v1
	s_waitcnt lgkmcnt(0)
	s_mul_i32 s28, s24, s2
	s_sub_i32 s15, s1, s0
	s_ashr_i32 s29, s28, 31
	v_cmp_gt_i32_e64 s[0:1], s21, v6
	v_cmp_le_i32_e32 vcc, s21, v6
	v_mbcnt_lo_u32_b32 v15, -1, 0
	s_barrier
	s_waitcnt lgkmcnt(0)
                                        ; implicit-def: $sgpr36
                                        ; implicit-def: $vgpr5
                                        ; implicit-def: $vgpr8
	s_and_saveexec_b64 s[2:3], vcc
	s_xor_b64 s[2:3], exec, s[2:3]
; %bb.6:
	v_mbcnt_hi_u32_b32 v5, -1, v15
	v_and_b32_e32 v2, 64, v5
	v_add_u32_e32 v8, 64, v2
	s_mov_b32 s36, 0xff7fffff
                                        ; implicit-def: $vgpr2
                                        ; implicit-def: $vgpr15
; %bb.7:
	s_or_saveexec_b64 s[34:35], s[2:3]
	s_load_dwordx4 s[16:19], s[4:5], 0x0
	s_load_dwordx2 s[22:23], s[4:5], 0x10
	s_load_dwordx2 s[30:31], s[4:5], 0x28
	s_load_dword s12, s[4:5], 0x98
	v_mov_b32_e32 v9, s36
	s_mul_i32 s14, s15, s14
	v_ashrrev_i32_e32 v7, 31, v6
	v_lshlrev_b32_e32 v4, 4, v1
	s_xor_b64 exec, exec, s[34:35]
	s_cbranch_execz .LBB107_13
; %bb.8:
	s_load_dwordx2 s[2:3], s[4:5], 0x20
	s_ashr_i32 s15, s14, 31
	s_lshl_b64 s[4:5], s[14:15], 1
	v_bfe_u32 v3, v0, 2, 4
	v_lshlrev_b32_e32 v5, 4, v3
	s_waitcnt lgkmcnt(0)
	s_add_u32 s2, s2, s4
	s_addc_u32 s3, s3, s5
	v_mov_b32_e32 v8, s3
	v_add_co_u32_e32 v5, vcc, s2, v5
	v_lshlrev_b32_e32 v9, 2, v0
	v_addc_co_u32_e32 v8, vcc, 0, v8, vcc
	v_and_b32_e32 v9, 12, v9
	v_add_co_u32_e32 v10, vcc, v5, v9
	v_addc_co_u32_e32 v11, vcc, 0, v8, vcc
	v_lshlrev_b32_e32 v12, 7, v2
	v_cmp_eq_u32_e32 vcc, 0, v2
	s_sub_i32 s15, 1, s25
	v_lshlrev_b32_e32 v2, 2, v3
	s_lshl_b64 s[4:5], s[28:29], 2
	v_lshl_or_b32 v2, v1, 6, v2
	s_add_u32 s4, s26, s4
	v_add3_u32 v13, s33, v4, v3
	v_add_u32_e32 v14, 0x210, v2
	v_lshlrev_b64 v[2:3], 2, v[6:7]
	s_addc_u32 s5, s27, s5
	v_mov_b32_e32 v5, s5
	v_add_co_u32_e64 v2, s[4:5], s4, v2
	v_addc_co_u32_e64 v3, s[4:5], v5, v3, s[4:5]
	v_mbcnt_hi_u32_b32 v5, -1, v15
	v_and_b32_e32 v8, 64, v5
	s_mov_b32 s41, s13
	v_cmp_neq_f32_e64 s[2:3], s40, 0
	s_mov_b64 s[36:37], 0
	v_mov_b32_e32 v9, 0xff7fffff
	s_movk_i32 s42, 0x1000
	v_add_u32_e32 v8, 64, v8
	v_xor_b32_e32 v15, 2, v5
	v_xor_b32_e32 v16, 1, v5
	v_mov_b32_e32 v17, v6
	s_branch .LBB107_10
.LBB107_9:                              ;   in Loop: Header=BB107_10 Depth=1
	s_or_b64 exec, exec, s[38:39]
	v_add_u32_e32 v17, 2, v17
	v_cmp_le_i32_e64 s[4:5], s21, v17
	s_or_b64 s[36:37], s[4:5], s[36:37]
	v_add_co_u32_e64 v2, s[4:5], 8, v2
	v_add_u32_e32 v13, 32, v13
	v_add_u32_e32 v14, 0x80, v14
	v_addc_co_u32_e64 v3, s[4:5], 0, v3, s[4:5]
	s_andn2_b64 exec, exec, s[36:37]
	s_cbranch_execz .LBB107_12
.LBB107_10:                             ; =>This Inner Loop Header: Depth=1
	global_load_dword v18, v[2:3], off
	s_waitcnt vmcnt(0) lgkmcnt(0)
	v_mad_i64_i32 v[18:19], s[4:5], v18, s41, 0
	v_lshlrev_b64 v[18:19], 1, v[18:19]
	v_add_co_u32_e64 v18, s[4:5], v10, v18
	v_addc_co_u32_e64 v19, s[4:5], v11, v19, s[4:5]
	global_load_dword v24, v[18:19], off
	global_load_dword v26, v[18:19], off offset:256
	global_load_dword v43, v[18:19], off offset:512
	;; [unrolled: 1-line block ×4, first 2 shown]
	ds_read_b32 v20, v12
	global_load_dword v50, v[18:19], off offset:1280
	global_load_dword v51, v[18:19], off offset:1536
	;; [unrolled: 1-line block ×11, first 2 shown]
	v_add_co_u32_e64 v44, s[4:5], s42, v18
	v_addc_co_u32_e64 v45, s[4:5], 0, v19, s[4:5]
	s_waitcnt lgkmcnt(0)
	v_lshrrev_b32_e32 v48, 16, v20
	v_and_b32_e32 v49, 0xffff, v20
	global_load_dword v35, v[44:45], off
	global_load_dword v34, v[44:45], off offset:256
	global_load_dword v33, v[44:45], off offset:512
	;; [unrolled: 1-line block ×15, first 2 shown]
	;;#ASMSTART
	v_cvt_f32_f16 v44, v49;
	;;#ASMEND
	;;#ASMSTART
	v_cvt_f32_f16 v45, v48;
	;;#ASMEND
	v_cmp_lt_i32_e64 s[4:5], v15, v8
	s_waitcnt vmcnt(31)
	v_lshrrev_b32_e32 v48, 16, v24
	v_and_b32_e32 v24, 0xffff, v24
	;;#ASMSTART
	v_cvt_f32_f16 v49, v24;
	;;#ASMEND
	;;#ASMSTART
	v_cvt_f32_f16 v48, v48;
	;;#ASMEND
	ds_read_b32 v24, v12 offset:4
	s_waitcnt vmcnt(30)
	v_lshrrev_b32_e32 v54, 16, v26
	v_and_b32_e32 v26, 0xffff, v26
	s_waitcnt vmcnt(29)
	v_lshrrev_b32_e32 v57, 16, v43
	v_and_b32_e32 v43, 0xffff, v43
	s_waitcnt lgkmcnt(0)
	v_lshrrev_b32_e32 v55, 16, v24
	v_and_b32_e32 v24, 0xffff, v24
	;;#ASMSTART
	v_cvt_f32_f16 v24, v24;
	;;#ASMEND
	;;#ASMSTART
	v_cvt_f32_f16 v55, v55;
	;;#ASMEND
	;; [unrolled: 3-line block ×4, first 2 shown]
	ds_read_b32 v56, v12 offset:8
	s_waitcnt vmcnt(28)
	v_lshrrev_b32_e32 v60, 16, v46
	v_and_b32_e32 v46, 0xffff, v46
	v_mul_f32_e32 v24, v24, v26
	v_fmac_f32_e32 v24, v44, v49
	s_waitcnt lgkmcnt(0)
	v_lshrrev_b32_e32 v58, 16, v56
	v_and_b32_e32 v56, 0xffff, v56
	;;#ASMSTART
	v_cvt_f32_f16 v56, v56;
	;;#ASMEND
	;;#ASMSTART
	v_cvt_f32_f16 v58, v58;
	;;#ASMEND
	;; [unrolled: 3-line block ×4, first 2 shown]
	ds_read_b32 v59, v12 offset:12
	v_fmac_f32_e32 v24, v56, v43
	s_waitcnt vmcnt(25)
	v_lshrrev_b32_e32 v56, 16, v51
	v_and_b32_e32 v51, 0xffff, v51
	s_waitcnt lgkmcnt(0)
	v_lshrrev_b32_e32 v26, 16, v59
	v_and_b32_e32 v59, 0xffff, v59
	;;#ASMSTART
	v_cvt_f32_f16 v59, v59;
	;;#ASMEND
	;;#ASMSTART
	v_cvt_f32_f16 v61, v26;
	;;#ASMEND
	;; [unrolled: 3-line block ×4, first 2 shown]
	ds_read_b32 v62, v12 offset:16
	v_mul_f32_e32 v26, v55, v54
	v_lshrrev_b32_e32 v54, 16, v47
	v_and_b32_e32 v47, 0xffff, v47
	v_fmac_f32_e32 v26, v45, v48
	s_waitcnt lgkmcnt(0)
	v_lshrrev_b32_e32 v44, 16, v62
	v_and_b32_e32 v49, 0xffff, v62
	;;#ASMSTART
	v_cvt_f32_f16 v49, v49;
	;;#ASMEND
	;;#ASMSTART
	v_cvt_f32_f16 v44, v44;
	;;#ASMEND
	;; [unrolled: 3-line block ×4, first 2 shown]
	ds_read_b32 v55, v12 offset:20
	v_lshrrev_b32_e32 v45, 16, v50
	v_and_b32_e32 v48, 0xffff, v50
	v_fmac_f32_e32 v26, v58, v57
	v_fmac_f32_e32 v24, v59, v46
	s_waitcnt lgkmcnt(0)
	v_lshrrev_b32_e32 v43, 16, v55
	v_and_b32_e32 v50, 0xffff, v55
	;;#ASMSTART
	v_cvt_f32_f16 v50, v50;
	;;#ASMEND
	;;#ASMSTART
	v_cvt_f32_f16 v43, v43;
	;;#ASMEND
	;; [unrolled: 3-line block ×4, first 2 shown]
	ds_read_b32 v55, v12 offset:24
	s_waitcnt vmcnt(24)
	v_lshrrev_b32_e32 v46, 16, v52
	v_and_b32_e32 v52, 0xffff, v52
	v_fmac_f32_e32 v26, v61, v60
	s_waitcnt vmcnt(23)
	v_lshrrev_b32_e32 v61, 16, v53
	s_waitcnt lgkmcnt(0)
	v_lshrrev_b32_e32 v57, 16, v55
	v_and_b32_e32 v55, 0xffff, v55
	;;#ASMSTART
	v_cvt_f32_f16 v55, v55;
	;;#ASMEND
	;;#ASMSTART
	v_cvt_f32_f16 v57, v57;
	;;#ASMEND
	;; [unrolled: 3-line block ×4, first 2 shown]
	ds_read_b32 v58, v12 offset:28
	v_and_b32_e32 v53, 0xffff, v53
	v_fmac_f32_e32 v24, v49, v47
	v_fmac_f32_e32 v26, v44, v54
	s_waitcnt vmcnt(22)
	v_lshrrev_b32_e32 v44, 16, v42
	s_waitcnt lgkmcnt(0)
	v_lshrrev_b32_e32 v59, 16, v58
	v_and_b32_e32 v58, 0xffff, v58
	;;#ASMSTART
	v_cvt_f32_f16 v58, v58;
	;;#ASMEND
	;;#ASMSTART
	v_cvt_f32_f16 v59, v59;
	;;#ASMEND
	;;#ASMSTART
	v_cvt_f32_f16 v52, v52;
	;;#ASMEND
	;;#ASMSTART
	v_cvt_f32_f16 v46, v46;
	;;#ASMEND
	ds_read_b32 v60, v12 offset:32
	v_and_b32_e32 v42, 0xffff, v42
	v_fmac_f32_e32 v24, v50, v48
	v_fmac_f32_e32 v26, v43, v45
	;; [unrolled: 1-line block ×3, first 2 shown]
	s_waitcnt lgkmcnt(0)
	v_lshrrev_b32_e32 v47, 16, v60
	v_and_b32_e32 v49, 0xffff, v60
	;;#ASMSTART
	v_cvt_f32_f16 v49, v49;
	;;#ASMEND
	;;#ASMSTART
	v_cvt_f32_f16 v47, v47;
	;;#ASMEND
	;; [unrolled: 3-line block ×4, first 2 shown]
	ds_read_b32 v61, v12 offset:36
	s_waitcnt vmcnt(20)
	v_lshrrev_b32_e32 v51, 16, v40
	v_and_b32_e32 v40, 0xffff, v40
	v_fmac_f32_e32 v26, v57, v56
	v_fmac_f32_e32 v24, v58, v52
	s_waitcnt lgkmcnt(0)
	v_lshrrev_b32_e32 v48, 16, v61
	v_and_b32_e32 v50, 0xffff, v61
	;;#ASMSTART
	v_cvt_f32_f16 v50, v50;
	;;#ASMEND
	;;#ASMSTART
	v_cvt_f32_f16 v48, v48;
	;;#ASMEND
	;; [unrolled: 3-line block ×4, first 2 shown]
	ds_read_b32 v54, v12 offset:40
	v_lshrrev_b32_e32 v61, 16, v41
	v_and_b32_e32 v41, 0xffff, v41
	v_fmac_f32_e32 v26, v59, v46
	s_waitcnt vmcnt(18)
	v_lshrrev_b32_e32 v46, 16, v38
	s_waitcnt lgkmcnt(0)
	v_lshrrev_b32_e32 v43, 16, v54
	v_and_b32_e32 v45, 0xffff, v54
	;;#ASMSTART
	v_cvt_f32_f16 v45, v45;
	;;#ASMEND
	;;#ASMSTART
	v_cvt_f32_f16 v43, v43;
	;;#ASMEND
	;;#ASMSTART
	v_cvt_f32_f16 v41, v41;
	;;#ASMEND
	;;#ASMSTART
	v_cvt_f32_f16 v54, v61;
	;;#ASMEND
	ds_read_b32 v61, v12 offset:44
	v_and_b32_e32 v38, 0xffff, v38
	v_fmac_f32_e32 v24, v49, v53
	v_fmac_f32_e32 v26, v47, v60
	;; [unrolled: 1-line block ×3, first 2 shown]
	s_waitcnt lgkmcnt(0)
	v_lshrrev_b32_e32 v55, 16, v61
	v_and_b32_e32 v56, 0xffff, v61
	;;#ASMSTART
	v_cvt_f32_f16 v56, v56;
	;;#ASMEND
	;;#ASMSTART
	v_cvt_f32_f16 v55, v55;
	;;#ASMEND
	;; [unrolled: 3-line block ×4, first 2 shown]
	ds_read_b32 v57, v12 offset:48
	v_lshrrev_b32_e32 v61, 16, v39
	v_and_b32_e32 v39, 0xffff, v39
	s_waitcnt vmcnt(16)
	v_lshrrev_b32_e32 v42, 16, v36
	v_and_b32_e32 v36, 0xffff, v36
	s_waitcnt lgkmcnt(0)
	v_lshrrev_b32_e32 v52, 16, v57
	v_and_b32_e32 v57, 0xffff, v57
	;;#ASMSTART
	v_cvt_f32_f16 v57, v57;
	;;#ASMEND
	;;#ASMSTART
	v_cvt_f32_f16 v52, v52;
	;;#ASMEND
	;; [unrolled: 3-line block ×4, first 2 shown]
	ds_read_b32 v61, v12 offset:52
	v_fmac_f32_e32 v26, v48, v44
	v_fmac_f32_e32 v24, v45, v41
	;; [unrolled: 1-line block ×3, first 2 shown]
	s_waitcnt vmcnt(14)
	v_lshrrev_b32_e32 v43, 16, v34
	s_waitcnt lgkmcnt(0)
	v_lshrrev_b32_e32 v49, 16, v61
	v_and_b32_e32 v53, 0xffff, v61
	;;#ASMSTART
	v_cvt_f32_f16 v53, v53;
	;;#ASMEND
	;;#ASMSTART
	v_cvt_f32_f16 v49, v49;
	;;#ASMEND
	;; [unrolled: 3-line block ×4, first 2 shown]
	ds_read_b32 v59, v12 offset:56
	v_lshrrev_b32_e32 v61, 16, v37
	v_and_b32_e32 v37, 0xffff, v37
	v_and_b32_e32 v34, 0xffff, v34
	v_fmac_f32_e32 v24, v56, v40
	s_waitcnt lgkmcnt(0)
	v_lshrrev_b32_e32 v47, 16, v59
	v_and_b32_e32 v59, 0xffff, v59
	;;#ASMSTART
	v_cvt_f32_f16 v59, v59;
	;;#ASMEND
	;;#ASMSTART
	v_cvt_f32_f16 v47, v47;
	;;#ASMEND
	;; [unrolled: 3-line block ×4, first 2 shown]
	ds_read_b32 v61, v12 offset:60
	v_fmac_f32_e32 v26, v55, v51
	v_fmac_f32_e32 v24, v57, v39
	s_waitcnt vmcnt(12)
	v_lshrrev_b32_e32 v39, 16, v32
	v_and_b32_e32 v32, 0xffff, v32
	s_waitcnt lgkmcnt(0)
	v_lshrrev_b32_e32 v44, 16, v61
	v_and_b32_e32 v48, 0xffff, v61
	;;#ASMSTART
	v_cvt_f32_f16 v48, v48;
	;;#ASMEND
	;;#ASMSTART
	v_cvt_f32_f16 v44, v44;
	;;#ASMEND
	;;#ASMSTART
	v_cvt_f32_f16 v36, v36;
	;;#ASMEND
	;;#ASMSTART
	v_cvt_f32_f16 v42, v42;
	;;#ASMEND
	ds_read_b32 v50, v12 offset:64
	v_lshrrev_b32_e32 v61, 16, v35
	v_and_b32_e32 v35, 0xffff, v35
	v_fmac_f32_e32 v26, v52, v58
	v_fmac_f32_e32 v24, v53, v38
	s_waitcnt lgkmcnt(0)
	v_lshrrev_b32_e32 v41, 16, v50
	v_and_b32_e32 v45, 0xffff, v50
	;;#ASMSTART
	v_cvt_f32_f16 v45, v45;
	;;#ASMEND
	;;#ASMSTART
	v_cvt_f32_f16 v41, v41;
	;;#ASMEND
	;;#ASMSTART
	v_cvt_f32_f16 v35, v35;
	;;#ASMEND
	;;#ASMSTART
	v_cvt_f32_f16 v50, v61;
	;;#ASMEND
	ds_read_b32 v61, v12 offset:68
	v_fmac_f32_e32 v26, v49, v46
	v_fmac_f32_e32 v24, v59, v37
	;; [unrolled: 1-line block ×4, first 2 shown]
	s_waitcnt lgkmcnt(0)
	v_lshrrev_b32_e32 v40, 16, v61
	v_and_b32_e32 v54, 0xffff, v61
	;;#ASMSTART
	v_cvt_f32_f16 v54, v54;
	;;#ASMEND
	;;#ASMSTART
	v_cvt_f32_f16 v40, v40;
	;;#ASMEND
	;;#ASMSTART
	v_cvt_f32_f16 v34, v34;
	;;#ASMEND
	;;#ASMSTART
	v_cvt_f32_f16 v43, v43;
	;;#ASMEND
	ds_read_b32 v56, v12 offset:72
	v_lshrrev_b32_e32 v61, 16, v33
	v_and_b32_e32 v33, 0xffff, v33
	s_waitcnt vmcnt(8)
	v_lshrrev_b32_e32 v47, 16, v28
	v_and_b32_e32 v28, 0xffff, v28
	s_waitcnt lgkmcnt(0)
	v_lshrrev_b32_e32 v51, 16, v56
	v_and_b32_e32 v55, 0xffff, v56
	;;#ASMSTART
	v_cvt_f32_f16 v55, v55;
	;;#ASMEND
	;;#ASMSTART
	v_cvt_f32_f16 v51, v51;
	;;#ASMEND
	;; [unrolled: 3-line block ×4, first 2 shown]
	ds_read_b32 v61, v12 offset:76
	v_fmac_f32_e32 v26, v44, v42
	v_fmac_f32_e32 v24, v45, v35
	;; [unrolled: 1-line block ×4, first 2 shown]
	s_waitcnt lgkmcnt(0)
	v_lshrrev_b32_e32 v52, 16, v61
	v_and_b32_e32 v57, 0xffff, v61
	;;#ASMSTART
	v_cvt_f32_f16 v57, v57;
	;;#ASMEND
	;;#ASMSTART
	v_cvt_f32_f16 v52, v52;
	;;#ASMEND
	;; [unrolled: 3-line block ×4, first 2 shown]
	ds_read_b32 v58, v12 offset:80
	v_lshrrev_b32_e32 v61, 16, v31
	v_and_b32_e32 v31, 0xffff, v31
	s_waitcnt vmcnt(6)
	v_lshrrev_b32_e32 v35, 16, v25
	v_and_b32_e32 v25, 0xffff, v25
	s_waitcnt lgkmcnt(0)
	v_lshrrev_b32_e32 v38, 16, v58
	v_and_b32_e32 v46, 0xffff, v58
	;;#ASMSTART
	v_cvt_f32_f16 v46, v46;
	;;#ASMEND
	;;#ASMSTART
	v_cvt_f32_f16 v38, v38;
	;;#ASMEND
	;; [unrolled: 3-line block ×4, first 2 shown]
	ds_read_b32 v53, v12 offset:84
	v_lshrrev_b32_e32 v58, 16, v30
	v_and_b32_e32 v30, 0xffff, v30
	v_lshrrev_b32_e32 v61, 16, v29
	v_and_b32_e32 v29, 0xffff, v29
	s_waitcnt lgkmcnt(0)
	v_lshrrev_b32_e32 v37, 16, v53
	v_and_b32_e32 v53, 0xffff, v53
	;;#ASMSTART
	v_cvt_f32_f16 v53, v53;
	;;#ASMEND
	;;#ASMSTART
	v_cvt_f32_f16 v37, v37;
	;;#ASMEND
	;; [unrolled: 3-line block ×4, first 2 shown]
	ds_read_b32 v59, v12 offset:88
	v_fmac_f32_e32 v24, v55, v33
	v_fmac_f32_e32 v26, v40, v43
	;; [unrolled: 1-line block ×4, first 2 shown]
	s_waitcnt lgkmcnt(0)
	v_lshrrev_b32_e32 v36, 16, v59
	v_and_b32_e32 v48, 0xffff, v59
	;;#ASMSTART
	v_cvt_f32_f16 v48, v48;
	;;#ASMEND
	;;#ASMSTART
	v_cvt_f32_f16 v36, v36;
	;;#ASMEND
	;; [unrolled: 3-line block ×4, first 2 shown]
	ds_read_b32 v60, v12 offset:92
	v_lshrrev_b32_e32 v61, 16, v27
	v_and_b32_e32 v27, 0xffff, v27
	v_fmac_f32_e32 v26, v52, v39
	v_fmac_f32_e32 v24, v46, v31
	s_waitcnt lgkmcnt(0)
	v_lshrrev_b32_e32 v42, 16, v60
	v_and_b32_e32 v44, 0xffff, v60
	;;#ASMSTART
	v_cvt_f32_f16 v44, v44;
	;;#ASMEND
	;;#ASMSTART
	v_cvt_f32_f16 v42, v42;
	;;#ASMEND
	;; [unrolled: 3-line block ×4, first 2 shown]
	ds_read_b32 v60, v12 offset:96
	v_fmac_f32_e32 v26, v38, v49
	s_waitcnt vmcnt(5)
	v_lshrrev_b32_e32 v38, 16, v23
	v_and_b32_e32 v23, 0xffff, v23
	v_fmac_f32_e32 v24, v53, v30
	s_waitcnt lgkmcnt(0)
	v_lshrrev_b32_e32 v41, 16, v60
	v_and_b32_e32 v45, 0xffff, v60
	;;#ASMSTART
	v_cvt_f32_f16 v45, v45;
	;;#ASMEND
	;;#ASMSTART
	v_cvt_f32_f16 v41, v41;
	;;#ASMEND
	;; [unrolled: 3-line block ×4, first 2 shown]
	ds_read_b32 v60, v12 offset:100
	v_fmac_f32_e32 v26, v37, v58
	v_fmac_f32_e32 v24, v48, v29
	;; [unrolled: 1-line block ×3, first 2 shown]
	s_waitcnt vmcnt(4)
	v_lshrrev_b32_e32 v36, 16, v22
	s_waitcnt lgkmcnt(0)
	v_lshrrev_b32_e32 v33, 16, v60
	v_and_b32_e32 v34, 0xffff, v60
	;;#ASMSTART
	v_cvt_f32_f16 v34, v34;
	;;#ASMEND
	;;#ASMSTART
	v_cvt_f32_f16 v33, v33;
	;;#ASMEND
	;; [unrolled: 3-line block ×4, first 2 shown]
	ds_read_b32 v40, v12 offset:104
	v_and_b32_e32 v22, 0xffff, v22
	v_fmac_f32_e32 v24, v44, v28
	v_fmac_f32_e32 v24, v45, v27
	;; [unrolled: 1-line block ×3, first 2 shown]
	s_waitcnt lgkmcnt(0)
	v_lshrrev_b32_e32 v31, 16, v40
	v_and_b32_e32 v32, 0xffff, v40
	;;#ASMSTART
	v_cvt_f32_f16 v32, v32;
	;;#ASMEND
	;;#ASMSTART
	v_cvt_f32_f16 v31, v31;
	;;#ASMEND
	;; [unrolled: 3-line block ×4, first 2 shown]
	ds_read_b32 v39, v12 offset:108
	v_fmac_f32_e32 v26, v41, v50
	v_fmac_f32_e32 v24, v34, v25
	;; [unrolled: 1-line block ×4, first 2 shown]
	s_waitcnt lgkmcnt(0)
	v_lshrrev_b32_e32 v29, 16, v39
	v_and_b32_e32 v30, 0xffff, v39
	;;#ASMSTART
	v_cvt_f32_f16 v30, v30;
	;;#ASMEND
	;;#ASMSTART
	v_cvt_f32_f16 v29, v29;
	;;#ASMEND
	;; [unrolled: 3-line block ×4, first 2 shown]
	ds_read_b32 v37, v12 offset:112
	v_fmac_f32_e32 v26, v31, v38
	s_waitcnt vmcnt(2)
	v_lshrrev_b32_e32 v31, 16, v20
	v_and_b32_e32 v20, 0xffff, v20
	v_fmac_f32_e32 v24, v30, v22
	s_waitcnt lgkmcnt(0)
	v_lshrrev_b32_e32 v27, 16, v37
	v_and_b32_e32 v28, 0xffff, v37
	v_lshrrev_b32_e32 v37, 16, v21
	v_and_b32_e32 v21, 0xffff, v21
	;;#ASMSTART
	v_cvt_f32_f16 v28, v28;
	;;#ASMEND
	;;#ASMSTART
	v_cvt_f32_f16 v27, v27;
	;;#ASMEND
	;; [unrolled: 3-line block ×4, first 2 shown]
	ds_read_b32 v39, v12 offset:116
	v_fmac_f32_e32 v26, v29, v36
	v_fmac_f32_e32 v24, v28, v21
	;; [unrolled: 1-line block ×3, first 2 shown]
	s_waitcnt vmcnt(1)
	v_lshrrev_b32_e32 v27, 16, v19
	s_waitcnt lgkmcnt(0)
	v_lshrrev_b32_e32 v23, 16, v39
	v_and_b32_e32 v25, 0xffff, v39
	;;#ASMSTART
	v_cvt_f32_f16 v25, v25;
	;;#ASMEND
	;;#ASMSTART
	v_cvt_f32_f16 v23, v23;
	;;#ASMEND
	;; [unrolled: 3-line block ×4, first 2 shown]
	ds_read_b32 v32, v12 offset:120
	v_and_b32_e32 v19, 0xffff, v19
	v_fmac_f32_e32 v24, v25, v20
	v_fmac_f32_e32 v26, v23, v31
	s_waitcnt lgkmcnt(0)
	v_lshrrev_b32_e32 v21, 16, v32
	v_and_b32_e32 v22, 0xffff, v32
	;;#ASMSTART
	v_cvt_f32_f16 v22, v22;
	;;#ASMEND
	;;#ASMSTART
	v_cvt_f32_f16 v21, v21;
	;;#ASMEND
	;; [unrolled: 3-line block ×4, first 2 shown]
	ds_read_b32 v28, v12 offset:124
	v_fmac_f32_e32 v24, v22, v19
	v_fmac_f32_e32 v26, v21, v27
	s_waitcnt vmcnt(0)
	v_lshrrev_b32_e32 v21, 16, v18
	v_and_b32_e32 v18, 0xffff, v18
	s_waitcnt lgkmcnt(0)
	v_lshrrev_b32_e32 v19, 16, v28
	v_and_b32_e32 v20, 0xffff, v28
	;;#ASMSTART
	v_cvt_f32_f16 v20, v20;
	;;#ASMEND
	;;#ASMSTART
	v_cvt_f32_f16 v19, v19;
	;;#ASMEND
	;;#ASMSTART
	v_cvt_f32_f16 v18, v18;
	;;#ASMEND
	;;#ASMSTART
	v_cvt_f32_f16 v21, v21;
	;;#ASMEND
	v_fmac_f32_e32 v24, v20, v18
	v_fmac_f32_e32 v26, v19, v21
	v_cndmask_b32_e64 v19, v5, v15, s[4:5]
	v_add_f32_e32 v18, v24, v26
	v_lshlrev_b32_e32 v19, 2, v19
	ds_bpermute_b32 v19, v19, v18
	v_cmp_lt_i32_e64 s[4:5], v16, v8
	s_waitcnt lgkmcnt(0)
	v_add_f32_e32 v18, v18, v19
	v_cndmask_b32_e64 v19, v5, v16, s[4:5]
	v_lshlrev_b32_e32 v19, 2, v19
	ds_bpermute_b32 v19, v19, v18
	s_and_saveexec_b64 s[38:39], vcc
	s_cbranch_execz .LBB107_9
; %bb.11:                               ;   in Loop: Header=BB107_10 Depth=1
	v_add_u32_e32 v20, s15, v13
	v_cvt_f32_i32_e32 v20, v20
	s_waitcnt lgkmcnt(0)
	v_add_f32_e32 v18, v18, v19
	v_cmp_gt_i32_e64 s[4:5], s25, v13
	v_max_f32_e32 v19, v9, v9
	v_mul_f32_e32 v20, s40, v20
	v_cndmask_b32_e64 v20, 0, v20, s[2:3]
	v_fmac_f32_e32 v20, s11, v18
	v_cndmask_b32_e64 v18, 0, v20, s[4:5]
	ds_write_b32 v14, v18
	v_max_f32_e32 v18, v19, v20
	v_cndmask_b32_e64 v9, v9, v18, s[4:5]
	s_branch .LBB107_9
.LBB107_12:
	s_or_b64 exec, exec, s[36:37]
.LBB107_13:
	s_or_b64 exec, exec, s[34:35]
	v_xor_b32_e32 v2, 32, v5
	v_cmp_lt_i32_e32 vcc, v2, v8
	v_cndmask_b32_e32 v2, v5, v2, vcc
	v_lshlrev_b32_e32 v2, 2, v2
	ds_bpermute_b32 v3, v2, v9
	v_xor_b32_e32 v10, 16, v5
	v_max_f32_e32 v9, v9, v9
	v_cmp_lt_i32_e32 vcc, v10, v8
	v_xor_b32_e32 v11, 8, v5
	s_waitcnt lgkmcnt(0)
	v_max_f32_e32 v3, v3, v3
	v_max_f32_e32 v9, v9, v3
	v_cndmask_b32_e32 v3, v5, v10, vcc
	v_lshlrev_b32_e32 v3, 2, v3
	ds_bpermute_b32 v10, v3, v9
	v_cmp_lt_i32_e32 vcc, v11, v8
	v_and_b32_e32 v20, 63, v0
	s_waitcnt lgkmcnt(0)
	v_max_f32_e32 v10, v10, v10
	v_max_f32_e32 v9, v9, v10
	v_cndmask_b32_e32 v10, v5, v11, vcc
	v_lshlrev_b32_e32 v12, 2, v10
	ds_bpermute_b32 v10, v12, v9
	v_xor_b32_e32 v11, 4, v5
	v_cmp_lt_i32_e32 vcc, v11, v8
	s_waitcnt lgkmcnt(0)
	v_max_f32_e32 v10, v10, v10
	v_max_f32_e32 v9, v9, v10
	v_cndmask_b32_e32 v10, v5, v11, vcc
	v_lshlrev_b32_e32 v13, 2, v10
	ds_bpermute_b32 v11, v13, v9
	v_cmp_eq_u32_e32 vcc, 0, v20
	v_lshlrev_b32_e32 v10, 2, v1
	s_and_saveexec_b64 s[2:3], vcc
	s_cbranch_execz .LBB107_15
; %bb.14:
	s_waitcnt lgkmcnt(0)
	v_max_f32_e32 v11, v11, v11
	v_max_f32_e32 v9, v9, v9
	;; [unrolled: 1-line block ×3, first 2 shown]
	ds_write_b32 v10, v9 offset:512
.LBB107_15:
	s_or_b64 exec, exec, s[2:3]
	v_cmp_gt_u32_e64 s[2:3], 2, v20
	v_mov_b32_e32 v9, 0xff7fffff
	s_waitcnt lgkmcnt(0)
	v_lshlrev_b32_e32 v11, 2, v20
	s_barrier
	s_and_saveexec_b64 s[4:5], s[2:3]
	s_cbranch_execz .LBB107_17
; %bb.16:
	ds_read_b32 v9, v11 offset:512
.LBB107_17:
	s_or_b64 exec, exec, s[4:5]
	v_xor_b32_e32 v14, 1, v5
	v_cmp_lt_i32_e64 s[4:5], v14, v8
	v_cndmask_b32_e64 v14, v5, v14, s[4:5]
	v_lshlrev_b32_e32 v21, 2, v14
	s_waitcnt lgkmcnt(0)
	ds_bpermute_b32 v14, v21, v9
	v_max_f32_e32 v9, v9, v9
	s_sub_i32 s4, s21, s10
	s_lshl_b32 s4, s4, 4
	s_add_i32 s4, s4, s33
	s_waitcnt lgkmcnt(0)
	v_max_f32_e32 v14, v14, v14
	v_max_f32_e32 v9, v9, v14
	v_lshlrev_b32_e32 v14, 2, v5
	v_and_b32_e32 v14, 0xffffff00, v14
	ds_bpermute_b32 v9, v14, v9
	s_min_i32 s38, s4, s25
	s_sub_i32 s15, s38, s33
	v_cmp_gt_i32_e64 s[4:5], s15, v0
	v_mov_b32_e32 v15, 0
	s_and_saveexec_b64 s[34:35], s[4:5]
	s_cbranch_execz .LBB107_21
; %bb.18:
	v_mov_b32_e32 v15, 0x210
	v_lshl_add_u32 v16, v0, 2, v15
	s_mov_b64 s[36:37], 0
	v_mov_b32_e32 v15, 0
	v_mov_b32_e32 v17, v0
.LBB107_19:                             ; =>This Inner Loop Header: Depth=1
	ds_read_b32 v18, v16
	v_add_u32_e32 v17, 0x80, v17
	v_cmp_le_i32_e64 s[10:11], s15, v17
	s_or_b64 s[36:37], s[10:11], s[36:37]
	s_waitcnt lgkmcnt(0)
	v_sub_f32_e32 v18, v18, v9
	v_mul_f32_e32 v18, 0x3fb8aa3b, v18
	v_exp_f32_e32 v18, v18
	ds_write_b32 v16, v18
	v_add_f32_e32 v15, v15, v18
	v_add_u32_e32 v16, 0x200, v16
	s_andn2_b64 exec, exec, s[36:37]
	s_cbranch_execnz .LBB107_19
; %bb.20:
	s_or_b64 exec, exec, s[36:37]
.LBB107_21:
	s_or_b64 exec, exec, s[34:35]
	ds_bpermute_b32 v2, v2, v15
	s_waitcnt lgkmcnt(0)
	v_add_f32_e32 v2, v15, v2
	ds_bpermute_b32 v3, v3, v2
	s_waitcnt lgkmcnt(0)
	v_add_f32_e32 v2, v2, v3
	ds_bpermute_b32 v3, v12, v2
	v_xor_b32_e32 v12, 2, v5
	v_cmp_lt_i32_e64 s[10:11], v12, v8
	v_cndmask_b32_e64 v5, v5, v12, s[10:11]
	s_waitcnt lgkmcnt(0)
	v_add_f32_e32 v2, v2, v3
	ds_bpermute_b32 v3, v13, v2
	s_waitcnt lgkmcnt(0)
	v_add_f32_e32 v2, v2, v3
	v_lshlrev_b32_e32 v3, 2, v5
	ds_bpermute_b32 v3, v3, v2
	s_waitcnt lgkmcnt(0)
	v_add_f32_e32 v2, v2, v3
	ds_bpermute_b32 v3, v21, v2
	s_waitcnt lgkmcnt(0)
	v_add_f32_e32 v2, v2, v3
	s_and_saveexec_b64 s[10:11], vcc
	s_cbranch_execz .LBB107_23
; %bb.22:
	ds_write_b32 v10, v2 offset:520
.LBB107_23:
	s_or_b64 exec, exec, s[10:11]
	s_waitcnt lgkmcnt(0)
	s_barrier
	s_and_saveexec_b64 s[10:11], s[2:3]
	s_cbranch_execz .LBB107_25
; %bb.24:
	ds_read_b32 v2, v11 offset:520
.LBB107_25:
	s_or_b64 exec, exec, s[10:11]
	s_waitcnt lgkmcnt(0)
	ds_bpermute_b32 v3, v21, v2
	s_waitcnt lgkmcnt(0)
	v_add_f32_e32 v2, v2, v3
	ds_bpermute_b32 v5, v14, v2
	s_and_saveexec_b64 s[2:3], s[4:5]
	s_cbranch_execz .LBB107_38
; %bb.26:
	s_waitcnt lgkmcnt(0)
	v_add_f32_e32 v2, 0x358637bd, v5
	v_div_scale_f32 v3, s[4:5], v2, v2, 1.0
	v_rcp_f32_e32 v8, v3
	v_div_scale_f32 v10, vcc, 1.0, v2, 1.0
	s_movk_i32 s4, 0x7f
	v_fma_f32 v11, -v3, v8, 1.0
	v_fmac_f32_e32 v8, v11, v8
	v_mul_f32_e32 v11, v10, v8
	v_fma_f32 v12, -v3, v11, v10
	v_fmac_f32_e32 v11, v12, v8
	v_fma_f32 v3, -v3, v11, v10
	v_div_fmas_f32 v3, v3, v8, v11
	v_div_fixup_f32 v2, v3, v2, 1.0
	v_xad_u32 v3, v0, -1, s38
	v_subrev_u32_e32 v8, s33, v3
	v_cmp_lt_u32_e32 vcc, s4, v8
	s_mov_b64 s[10:11], -1
	v_mov_b32_e32 v3, v0
	s_and_saveexec_b64 s[4:5], vcc
	s_cbranch_execz .LBB107_35
; %bb.27:
	v_lshrrev_b32_e32 v8, 7, v8
	v_add_u32_e32 v11, -1, v8
	v_lshrrev_b32_e32 v10, 1, v11
	v_mov_b32_e32 v3, v2
	v_add_u32_e32 v10, 1, v10
	v_cmp_lt_u32_e32 vcc, 13, v11
	v_mov_b32_e32 v13, 0
	s_and_saveexec_b64 s[10:11], vcc
	s_cbranch_execz .LBB107_31
; %bb.28:
	v_mov_b32_e32 v12, 0x210
	v_and_b32_e32 v11, -8, v10
	v_lshl_add_u32 v12, v0, 2, v12
	s_mov_b32 s36, 0
	s_mov_b64 s[34:35], 0
.LBB107_29:                             ; =>This Inner Loop Header: Depth=1
	ds_read2st64_b32 v[14:15], v12 offset1:2
	ds_read2st64_b32 v[16:17], v12 offset0:4 offset1:6
	ds_read2st64_b32 v[18:19], v12 offset0:8 offset1:10
	;; [unrolled: 1-line block ×3, first 2 shown]
	v_add_u32_e32 v11, -8, v11
	s_waitcnt lgkmcnt(3)
	v_pk_mul_f32 v[14:15], v[2:3], v[14:15]
	s_waitcnt lgkmcnt(2)
	v_pk_mul_f32 v[16:17], v[2:3], v[16:17]
	ds_write2st64_b32 v12, v14, v15 offset1:2
	ds_write2st64_b32 v12, v16, v17 offset0:4 offset1:6
	ds_read2st64_b32 v[16:17], v12 offset0:16 offset1:18
	s_waitcnt lgkmcnt(4)
	v_pk_mul_f32 v[14:15], v[2:3], v[18:19]
	ds_write2st64_b32 v12, v14, v15 offset0:8 offset1:10
	s_waitcnt lgkmcnt(4)
	v_pk_mul_f32 v[14:15], v[2:3], v[22:23]
	ds_write2st64_b32 v12, v14, v15 offset0:12 offset1:14
	ds_read2st64_b32 v[14:15], v12 offset0:20 offset1:22
	s_waitcnt lgkmcnt(3)
	v_pk_mul_f32 v[16:17], v[2:3], v[16:17]
	ds_read2st64_b32 v[18:19], v12 offset0:24 offset1:26
	ds_write2st64_b32 v12, v16, v17 offset0:16 offset1:18
	ds_read2st64_b32 v[16:17], v12 offset0:28 offset1:30
	s_waitcnt lgkmcnt(3)
	v_pk_mul_f32 v[14:15], v[2:3], v[14:15]
	ds_write2st64_b32 v12, v14, v15 offset0:20 offset1:22
	s_waitcnt lgkmcnt(3)
	v_pk_mul_f32 v[14:15], v[2:3], v[18:19]
	ds_write2st64_b32 v12, v14, v15 offset0:24 offset1:26
	s_waitcnt lgkmcnt(2)
	v_pk_mul_f32 v[14:15], v[2:3], v[16:17]
	s_add_i32 s36, s36, 16
	v_cmp_eq_u32_e32 vcc, 0, v11
	ds_write2st64_b32 v12, v14, v15 offset0:28 offset1:30
	v_add_u32_e32 v12, 0x2000, v12
	s_or_b64 s[34:35], vcc, s[34:35]
	v_mov_b32_e32 v13, s36
	s_andn2_b64 exec, exec, s[34:35]
	s_cbranch_execnz .LBB107_29
; %bb.30:
	s_or_b64 exec, exec, s[34:35]
.LBB107_31:
	s_or_b64 exec, exec, s[10:11]
	v_and_b32_e32 v10, 7, v10
	v_cmp_ne_u32_e32 vcc, 0, v10
	s_and_saveexec_b64 s[10:11], vcc
	s_cbranch_execz .LBB107_34
; %bb.32:
	v_lshlrev_b32_e32 v11, 9, v13
	v_lshlrev_b32_e32 v12, 2, v0
	s_movk_i32 s34, 0x210
	v_add3_u32 v11, v11, v12, s34
	s_mov_b64 s[34:35], 0
.LBB107_33:                             ; =>This Inner Loop Header: Depth=1
	ds_read2st64_b32 v[12:13], v11 offset1:2
	v_add_u32_e32 v10, -1, v10
	v_cmp_eq_u32_e32 vcc, 0, v10
	s_or_b64 s[34:35], vcc, s[34:35]
	s_waitcnt lgkmcnt(0)
	v_pk_mul_f32 v[12:13], v[2:3], v[12:13]
	ds_write2st64_b32 v11, v12, v13 offset1:2
	v_add_u32_e32 v11, 0x400, v11
	s_andn2_b64 exec, exec, s[34:35]
	s_cbranch_execnz .LBB107_33
.LBB107_34:
	s_or_b64 exec, exec, s[10:11]
	v_add_u32_e32 v8, 1, v8
	v_and_b32_e32 v10, 0x3fffffe, v8
	v_cmp_ne_u32_e32 vcc, v8, v10
	v_lshl_add_u32 v3, v10, 7, v0
	s_orn2_b64 s[10:11], vcc, exec
.LBB107_35:
	s_or_b64 exec, exec, s[4:5]
	s_and_b64 exec, exec, s[10:11]
	s_cbranch_execz .LBB107_38
; %bb.36:
	v_mov_b32_e32 v8, 0x210
	v_lshl_add_u32 v8, v3, 2, v8
	s_mov_b64 s[4:5], 0
.LBB107_37:                             ; =>This Inner Loop Header: Depth=1
	ds_read_b32 v10, v8
	v_add_u32_e32 v3, 0x80, v3
	v_cmp_le_i32_e32 vcc, s15, v3
	s_or_b64 s[4:5], vcc, s[4:5]
	s_waitcnt lgkmcnt(0)
	v_mul_f32_e32 v10, v2, v10
	ds_write_b32 v8, v10
	v_add_u32_e32 v8, 0x200, v8
	s_andn2_b64 exec, exec, s[4:5]
	s_cbranch_execnz .LBB107_37
.LBB107_38:
	s_or_b64 exec, exec, s[2:3]
	s_mul_i32 s2, s12, s24
	v_cmp_eq_u32_e32 vcc, 0, v0
	s_mul_i32 s2, s2, s9
	s_waitcnt lgkmcnt(0)
	s_barrier
	s_and_saveexec_b64 s[4:5], vcc
	s_cbranch_execz .LBB107_40
; %bb.39:
	s_ashr_i32 s3, s2, 31
	s_lshl_b64 s[10:11], s[2:3], 2
	s_add_u32 s3, s18, s10
	s_mul_i32 s18, s12, s6
	s_addc_u32 s9, s19, s11
	s_ashr_i32 s19, s18, 31
	s_lshl_b64 s[18:19], s[18:19], 2
	s_add_u32 s3, s3, s18
	s_addc_u32 s6, s9, s19
	s_ashr_i32 s9, s8, 31
	s_lshl_b64 s[34:35], s[8:9], 2
	s_add_u32 s36, s3, s34
	s_addc_u32 s37, s6, s35
	s_add_u32 s3, s16, s10
	s_addc_u32 s6, s17, s11
	;; [unrolled: 2-line block ×3, first 2 shown]
	s_add_u32 s10, s3, s34
	v_mov_b32_e32 v2, 0
	s_addc_u32 s11, s6, s35
	global_store_dword v2, v9, s[36:37]
	global_store_dword v2, v5, s[10:11]
.LBB107_40:
	s_or_b64 exec, exec, s[4:5]
	v_mov_b32_e32 v11, 0
	v_and_b32_e32 v22, 1, v0
	v_mov_b32_e32 v10, 0
	v_mov_b32_e32 v13, 0
	;; [unrolled: 1-line block ×7, first 2 shown]
	s_and_saveexec_b64 s[4:5], s[0:1]
	s_cbranch_execz .LBB107_60
; %bb.41:
	s_ashr_i32 s15, s14, 31
	s_lshl_b64 s[0:1], s[14:15], 1
	s_add_u32 s9, s30, s0
	v_lshlrev_b32_e32 v2, 3, v0
	s_mov_b32 s3, s13
	s_addc_u32 s10, s31, s1
	s_add_i32 s13, s7, -1
	s_lshl_b64 s[0:1], s[28:29], 2
	v_and_b32_e32 v3, 8, v2
	s_add_u32 s0, s26, s0
	v_and_b32_e32 v2, 0x1f8, v2
	v_add3_u32 v23, s33, v4, v3
	v_lshlrev_b32_e32 v3, 5, v22
	v_lshlrev_b64 v[4:5], 2, v[6:7]
	s_addc_u32 s1, s27, s1
	v_mov_b32_e32 v8, 0
	v_or_b32_e32 v10, 0x800, v2
	v_or_b32_e32 v12, 0xa00, v2
	;; [unrolled: 1-line block ×4, first 2 shown]
	v_lshl_or_b32 v1, v1, 6, v3
	v_mov_b32_e32 v3, s1
	v_add_co_u32_e32 v16, vcc, s0, v4
	s_mov_b32 s14, s25
	s_mov_b32 s15, s25
	;; [unrolled: 1-line block ×7, first 2 shown]
	v_add_u32_e32 v1, 0x210, v1
	v_addc_co_u32_e32 v17, vcc, v3, v5, vcc
	s_mov_b64 s[6:7], 0
	v_mov_b32_e32 v7, s10
	v_lshlrev_b32_e32 v24, 1, v2
	s_mov_b32 s26, 0x5040100
	v_lshlrev_b32_e32 v25, 1, v10
	v_lshlrev_b32_e32 v26, 1, v12
	v_lshlrev_b32_e32 v27, 1, v14
	v_lshlrev_b32_e32 v28, 1, v18
	v_mov_b32_e32 v9, v8
	v_mov_b32_e32 v14, v8
	;; [unrolled: 1-line block ×7, first 2 shown]
	s_branch .LBB107_43
.LBB107_42:                             ;   in Loop: Header=BB107_43 Depth=1
	s_or_b64 exec, exec, s[0:1]
	s_waitcnt vmcnt(0)
	;;#ASMSTART
	v_pk_mul_f16 v2, v37, v2;

	;;#ASMEND
	;;#ASMSTART
	v_pk_mul_f16 v3, v36, v3;

	;;#ASMEND
	;; [unrolled: 4-line block ×4, first 2 shown]
	;;#ASMSTART
	v_pk_add_f16 v2, v2, v3;

	;;#ASMEND
	;;#ASMSTART
	v_pk_add_f16 v2, v2, v4;

	;;#ASMEND
	v_add_f32_e32 v18, v18, v19
	;;#ASMSTART
	v_pk_add_f16 v2, v2, v5;

	;;#ASMEND
	v_add_f32_e32 v29, v42, v43
	v_add_f32_e32 v15, v15, v18
	;; [unrolled: 1-line block ×3, first 2 shown]
	v_lshrrev_b32_e32 v3, 16, v2
	v_and_b32_e32 v2, 0xffff, v2
	v_add_u32_e32 v6, 2, v6
	v_add_f32_e32 v8, v8, v29
	v_add_f32_e32 v29, v44, v45
	;; [unrolled: 1-line block ×4, first 2 shown]
	;;#ASMSTART
	v_cvt_f32_f16 v2, v2;
	;;#ASMEND
	v_cmp_le_i32_e32 vcc, s21, v6
	v_add_f32_e32 v9, v9, v29
	v_add_f32_e32 v29, v46, v47
	;; [unrolled: 1-line block ×4, first 2 shown]
	;;#ASMSTART
	v_cvt_f32_f16 v3, v3;
	;;#ASMEND
	v_add_f32_e32 v2, v2, v3
	s_or_b64 s[6:7], vcc, s[6:7]
	v_add_co_u32_e32 v16, vcc, 8, v16
	v_add_f32_e32 v14, v14, v29
	v_add_f32_e32 v10, v10, v18
	;; [unrolled: 1-line block ×3, first 2 shown]
	v_add_u32_e32 v23, 32, v23
	v_add_u32_e32 v1, 0x80, v1
	v_addc_co_u32_e32 v17, vcc, 0, v17, vcc
	s_andn2_b64 exec, exec, s[6:7]
	s_cbranch_execz .LBB107_59
.LBB107_43:                             ; =>This Inner Loop Header: Depth=1
	global_load_dword v18, v[16:17], off
	ds_read2_b64 v[2:5], v1 offset1:1
	ds_read2_b64 v[30:33], v1 offset0:2 offset1:3
	v_add_u32_e32 v29, 1, v23
	v_or_b32_e32 v39, 7, v23
	s_waitcnt lgkmcnt(1)
	;;#ASMSTART
	v_cvt_f16_f32 v34, v2;

	;;#ASMEND
	;;#ASMSTART
	v_cvt_f16_f32 v35, v3;

	;;#ASMEND
	;; [unrolled: 4-line block ×4, first 2 shown]
	s_waitcnt lgkmcnt(0)
	;;#ASMSTART
	v_cvt_f16_f32 v43, v30;

	;;#ASMEND
	;;#ASMSTART
	v_cvt_f16_f32 v44, v31;

	;;#ASMEND
	;; [unrolled: 4-line block ×4, first 2 shown]
	v_or_b32_e32 v31, 3, v23
	v_or_b32_e32 v30, 2, v23
	;; [unrolled: 1-line block ×5, first 2 shown]
	s_waitcnt vmcnt(0)
	v_mad_i64_i32 v[2:3], s[0:1], v18, s3, 0
	v_lshlrev_b64 v[2:3], 1, v[2:3]
	v_add_co_u32_e32 v40, vcc, s9, v2
	v_addc_co_u32_e32 v41, vcc, v7, v3, vcc
	v_add_co_u32_e32 v18, vcc, v40, v24
	v_addc_co_u32_e32 v19, vcc, 0, v41, vcc
	global_load_dwordx4 v[2:5], v[18:19], off
	v_cmp_eq_u32_e32 vcc, s13, v6
	s_and_saveexec_b64 s[10:11], vcc
	s_cbranch_execz .LBB107_45
; %bb.44:                               ;   in Loop: Header=BB107_43 Depth=1
	s_waitcnt vmcnt(0)
	v_lshrrev_b32_e32 v37, 16, v5
	v_cmp_gt_i32_e64 s[0:1], s24, v39
	v_cndmask_b32_e64 v37, 0, v37, s[0:1]
	v_cmp_gt_i32_e64 s[0:1], s19, v38
	v_cndmask_b32_e64 v5, 0, v5, s[0:1]
	v_perm_b32 v5, v37, v5, s26
	v_lshrrev_b32_e32 v37, 16, v4
	v_cmp_gt_i32_e64 s[0:1], s18, v33
	v_cndmask_b32_e64 v37, 0, v37, s[0:1]
	v_cmp_gt_i32_e64 s[0:1], s17, v32
	v_cndmask_b32_e64 v4, 0, v4, s[0:1]
	v_perm_b32 v4, v37, v4, s26
	;; [unrolled: 6-line block ×4, first 2 shown]
.LBB107_45:                             ;   in Loop: Header=BB107_43 Depth=1
	s_or_b64 exec, exec, s[10:11]
	v_and_b32_e32 v34, 0xffff, v34
	v_lshl_or_b32 v37, v35, 16, v34
	v_and_b32_e32 v34, 0xffff, v36
	v_lshl_or_b32 v36, v42, 16, v34
	;; [unrolled: 2-line block ×3, first 2 shown]
	v_and_b32_e32 v34, 0xffff, v45
	s_waitcnt vmcnt(0)
	;;#ASMSTART
	v_pk_mul_f16 v2, v37, v2;

	;;#ASMEND
	v_lshl_or_b32 v34, v46, 16, v34
	;;#ASMSTART
	v_pk_mul_f16 v3, v36, v3;

	;;#ASMEND
	;;#ASMSTART
	v_pk_mul_f16 v4, v35, v4;

	;;#ASMEND
	;; [unrolled: 4-line block ×3, first 2 shown]
	;;#ASMSTART
	v_pk_add_f16 v2, v2, v3;

	;;#ASMEND
	;;#ASMSTART
	v_pk_add_f16 v2, v2, v4;

	;;#ASMEND
	;; [unrolled: 4-line block ×3, first 2 shown]
	v_lshrrev_b32_e32 v3, 16, v2
	v_and_b32_e32 v2, 0xffff, v2
	;;#ASMSTART
	v_cvt_f32_f16 v42, v2;
	;;#ASMEND
	;;#ASMSTART
	v_cvt_f32_f16 v43, v3;
	;;#ASMEND
	global_load_dwordx4 v[2:5], v[18:19], off offset:1024
	s_and_saveexec_b64 s[10:11], vcc
	s_cbranch_execz .LBB107_47
; %bb.46:                               ;   in Loop: Header=BB107_43 Depth=1
	s_waitcnt vmcnt(0)
	v_lshrrev_b32_e32 v44, 16, v5
	v_cmp_gt_i32_e64 s[0:1], s24, v39
	v_cndmask_b32_e64 v44, 0, v44, s[0:1]
	v_cmp_gt_i32_e64 s[0:1], s19, v38
	v_cndmask_b32_e64 v5, 0, v5, s[0:1]
	v_perm_b32 v5, v44, v5, s26
	v_lshrrev_b32_e32 v44, 16, v4
	v_cmp_gt_i32_e64 s[0:1], s18, v33
	v_cndmask_b32_e64 v44, 0, v44, s[0:1]
	v_cmp_gt_i32_e64 s[0:1], s17, v32
	v_cndmask_b32_e64 v4, 0, v4, s[0:1]
	v_perm_b32 v4, v44, v4, s26
	;; [unrolled: 6-line block ×4, first 2 shown]
.LBB107_47:                             ;   in Loop: Header=BB107_43 Depth=1
	s_or_b64 exec, exec, s[10:11]
	s_waitcnt vmcnt(0)
	;;#ASMSTART
	v_pk_mul_f16 v2, v37, v2;

	;;#ASMEND
	;;#ASMSTART
	v_pk_mul_f16 v3, v36, v3;

	;;#ASMEND
	;; [unrolled: 4-line block ×4, first 2 shown]
	;;#ASMSTART
	v_pk_add_f16 v2, v2, v3;

	;;#ASMEND
	;;#ASMSTART
	v_pk_add_f16 v2, v2, v4;

	;;#ASMEND
	;; [unrolled: 4-line block ×3, first 2 shown]
	v_lshrrev_b32_e32 v3, 16, v2
	v_and_b32_e32 v2, 0xffff, v2
	;;#ASMSTART
	v_cvt_f32_f16 v44, v2;
	;;#ASMEND
	;;#ASMSTART
	v_cvt_f32_f16 v45, v3;
	;;#ASMEND
	global_load_dwordx4 v[2:5], v[18:19], off offset:2048
	s_and_saveexec_b64 s[10:11], vcc
	s_cbranch_execz .LBB107_49
; %bb.48:                               ;   in Loop: Header=BB107_43 Depth=1
	s_waitcnt vmcnt(0)
	v_lshrrev_b32_e32 v46, 16, v5
	v_cmp_gt_i32_e64 s[0:1], s24, v39
	v_cndmask_b32_e64 v46, 0, v46, s[0:1]
	v_cmp_gt_i32_e64 s[0:1], s19, v38
	v_cndmask_b32_e64 v5, 0, v5, s[0:1]
	v_perm_b32 v5, v46, v5, s26
	v_lshrrev_b32_e32 v46, 16, v4
	v_cmp_gt_i32_e64 s[0:1], s18, v33
	v_cndmask_b32_e64 v46, 0, v46, s[0:1]
	v_cmp_gt_i32_e64 s[0:1], s17, v32
	v_cndmask_b32_e64 v4, 0, v4, s[0:1]
	v_perm_b32 v4, v46, v4, s26
	v_lshrrev_b32_e32 v46, 16, v3
	v_cmp_gt_i32_e64 s[0:1], s16, v31
	v_cndmask_b32_e64 v46, 0, v46, s[0:1]
	v_cmp_gt_i32_e64 s[0:1], s15, v30
	v_cndmask_b32_e64 v3, 0, v3, s[0:1]
	v_perm_b32 v3, v46, v3, s26
	v_lshrrev_b32_e32 v46, 16, v2
	v_cmp_gt_i32_e64 s[0:1], s14, v29
	v_cndmask_b32_e64 v46, 0, v46, s[0:1]
	v_cmp_gt_i32_e64 s[0:1], s25, v23
	v_cndmask_b32_e64 v2, 0, v2, s[0:1]
	v_perm_b32 v2, v46, v2, s26
.LBB107_49:                             ;   in Loop: Header=BB107_43 Depth=1
	s_or_b64 exec, exec, s[10:11]
	s_waitcnt vmcnt(0)
	;;#ASMSTART
	v_pk_mul_f16 v2, v37, v2;

	;;#ASMEND
	;;#ASMSTART
	v_pk_mul_f16 v3, v36, v3;

	;;#ASMEND
	;; [unrolled: 4-line block ×4, first 2 shown]
	;;#ASMSTART
	v_pk_add_f16 v2, v2, v3;

	;;#ASMEND
	;;#ASMSTART
	v_pk_add_f16 v2, v2, v4;

	;;#ASMEND
	;; [unrolled: 4-line block ×3, first 2 shown]
	v_lshrrev_b32_e32 v3, 16, v2
	v_and_b32_e32 v2, 0xffff, v2
	;;#ASMSTART
	v_cvt_f32_f16 v46, v2;
	;;#ASMEND
	;;#ASMSTART
	v_cvt_f32_f16 v47, v3;
	;;#ASMEND
	global_load_dwordx4 v[2:5], v[18:19], off offset:3072
	s_and_saveexec_b64 s[10:11], vcc
	s_cbranch_execz .LBB107_51
; %bb.50:                               ;   in Loop: Header=BB107_43 Depth=1
	s_waitcnt vmcnt(0)
	v_lshrrev_b32_e32 v18, 16, v5
	v_cmp_gt_i32_e64 s[0:1], s24, v39
	v_cndmask_b32_e64 v18, 0, v18, s[0:1]
	v_cmp_gt_i32_e64 s[0:1], s19, v38
	v_cndmask_b32_e64 v5, 0, v5, s[0:1]
	v_perm_b32 v5, v18, v5, s26
	v_lshrrev_b32_e32 v18, 16, v4
	v_cmp_gt_i32_e64 s[0:1], s18, v33
	v_cndmask_b32_e64 v18, 0, v18, s[0:1]
	v_cmp_gt_i32_e64 s[0:1], s17, v32
	v_cndmask_b32_e64 v4, 0, v4, s[0:1]
	v_perm_b32 v4, v18, v4, s26
	;; [unrolled: 6-line block ×4, first 2 shown]
.LBB107_51:                             ;   in Loop: Header=BB107_43 Depth=1
	s_or_b64 exec, exec, s[10:11]
	s_waitcnt vmcnt(0)
	;;#ASMSTART
	v_pk_mul_f16 v2, v37, v2;

	;;#ASMEND
	;;#ASMSTART
	v_pk_mul_f16 v3, v36, v3;

	;;#ASMEND
	;; [unrolled: 4-line block ×4, first 2 shown]
	;;#ASMSTART
	v_pk_add_f16 v2, v2, v3;

	;;#ASMEND
	;;#ASMSTART
	v_pk_add_f16 v2, v2, v4;

	;;#ASMEND
	;; [unrolled: 4-line block ×3, first 2 shown]
	v_lshrrev_b32_e32 v3, 16, v2
	v_and_b32_e32 v2, 0xffff, v2
	;;#ASMSTART
	v_cvt_f32_f16 v18, v2;
	;;#ASMEND
	v_add_co_u32_e64 v2, s[0:1], v40, v25
	;;#ASMSTART
	v_cvt_f32_f16 v19, v3;
	;;#ASMEND
	v_addc_co_u32_e64 v3, s[0:1], 0, v41, s[0:1]
	global_load_dwordx4 v[2:5], v[2:3], off
	s_and_saveexec_b64 s[10:11], vcc
	s_cbranch_execz .LBB107_53
; %bb.52:                               ;   in Loop: Header=BB107_43 Depth=1
	s_waitcnt vmcnt(0)
	v_lshrrev_b32_e32 v48, 16, v5
	v_cmp_gt_i32_e64 s[0:1], s24, v39
	v_cndmask_b32_e64 v48, 0, v48, s[0:1]
	v_cmp_gt_i32_e64 s[0:1], s19, v38
	v_cndmask_b32_e64 v5, 0, v5, s[0:1]
	v_perm_b32 v5, v48, v5, s26
	v_lshrrev_b32_e32 v48, 16, v4
	v_cmp_gt_i32_e64 s[0:1], s18, v33
	v_cndmask_b32_e64 v48, 0, v48, s[0:1]
	v_cmp_gt_i32_e64 s[0:1], s17, v32
	v_cndmask_b32_e64 v4, 0, v4, s[0:1]
	v_perm_b32 v4, v48, v4, s26
	;; [unrolled: 6-line block ×4, first 2 shown]
.LBB107_53:                             ;   in Loop: Header=BB107_43 Depth=1
	s_or_b64 exec, exec, s[10:11]
	s_waitcnt vmcnt(0)
	;;#ASMSTART
	v_pk_mul_f16 v2, v37, v2;

	;;#ASMEND
	;;#ASMSTART
	v_pk_mul_f16 v3, v36, v3;

	;;#ASMEND
	;;#ASMSTART
	v_pk_mul_f16 v4, v35, v4;

	;;#ASMEND
	;;#ASMSTART
	v_pk_mul_f16 v5, v34, v5;

	;;#ASMEND
	;;#ASMSTART
	v_pk_add_f16 v2, v2, v3;

	;;#ASMEND
	;;#ASMSTART
	v_pk_add_f16 v2, v2, v4;

	;;#ASMEND
	;; [unrolled: 4-line block ×3, first 2 shown]
	v_lshrrev_b32_e32 v3, 16, v2
	v_and_b32_e32 v2, 0xffff, v2
	;;#ASMSTART
	v_cvt_f32_f16 v48, v2;
	;;#ASMEND
	v_add_co_u32_e64 v2, s[0:1], v40, v26
	;;#ASMSTART
	v_cvt_f32_f16 v49, v3;
	;;#ASMEND
	v_addc_co_u32_e64 v3, s[0:1], 0, v41, s[0:1]
	global_load_dwordx4 v[2:5], v[2:3], off
	s_and_saveexec_b64 s[10:11], vcc
	s_cbranch_execz .LBB107_55
; %bb.54:                               ;   in Loop: Header=BB107_43 Depth=1
	s_waitcnt vmcnt(0)
	v_lshrrev_b32_e32 v50, 16, v5
	v_cmp_gt_i32_e64 s[0:1], s24, v39
	v_cndmask_b32_e64 v50, 0, v50, s[0:1]
	v_cmp_gt_i32_e64 s[0:1], s19, v38
	v_cndmask_b32_e64 v5, 0, v5, s[0:1]
	v_perm_b32 v5, v50, v5, s26
	v_lshrrev_b32_e32 v50, 16, v4
	v_cmp_gt_i32_e64 s[0:1], s18, v33
	v_cndmask_b32_e64 v50, 0, v50, s[0:1]
	v_cmp_gt_i32_e64 s[0:1], s17, v32
	v_cndmask_b32_e64 v4, 0, v4, s[0:1]
	v_perm_b32 v4, v50, v4, s26
	;; [unrolled: 6-line block ×4, first 2 shown]
.LBB107_55:                             ;   in Loop: Header=BB107_43 Depth=1
	s_or_b64 exec, exec, s[10:11]
	s_waitcnt vmcnt(0)
	;;#ASMSTART
	v_pk_mul_f16 v2, v37, v2;

	;;#ASMEND
	;;#ASMSTART
	v_pk_mul_f16 v3, v36, v3;

	;;#ASMEND
	;; [unrolled: 4-line block ×4, first 2 shown]
	;;#ASMSTART
	v_pk_add_f16 v2, v2, v3;

	;;#ASMEND
	;;#ASMSTART
	v_pk_add_f16 v2, v2, v4;

	;;#ASMEND
	;; [unrolled: 4-line block ×3, first 2 shown]
	v_lshrrev_b32_e32 v3, 16, v2
	v_and_b32_e32 v2, 0xffff, v2
	;;#ASMSTART
	v_cvt_f32_f16 v50, v2;
	;;#ASMEND
	v_add_co_u32_e64 v2, s[0:1], v40, v27
	;;#ASMSTART
	v_cvt_f32_f16 v51, v3;
	;;#ASMEND
	v_addc_co_u32_e64 v3, s[0:1], 0, v41, s[0:1]
	global_load_dwordx4 v[2:5], v[2:3], off
	s_and_saveexec_b64 s[10:11], vcc
	s_cbranch_execz .LBB107_57
; %bb.56:                               ;   in Loop: Header=BB107_43 Depth=1
	s_waitcnt vmcnt(0)
	v_lshrrev_b32_e32 v52, 16, v5
	v_cmp_gt_i32_e64 s[0:1], s24, v39
	v_cndmask_b32_e64 v52, 0, v52, s[0:1]
	v_cmp_gt_i32_e64 s[0:1], s19, v38
	v_cndmask_b32_e64 v5, 0, v5, s[0:1]
	v_perm_b32 v5, v52, v5, s26
	v_lshrrev_b32_e32 v52, 16, v4
	v_cmp_gt_i32_e64 s[0:1], s18, v33
	v_cndmask_b32_e64 v52, 0, v52, s[0:1]
	v_cmp_gt_i32_e64 s[0:1], s17, v32
	v_cndmask_b32_e64 v4, 0, v4, s[0:1]
	v_perm_b32 v4, v52, v4, s26
	v_lshrrev_b32_e32 v52, 16, v3
	v_cmp_gt_i32_e64 s[0:1], s16, v31
	v_cndmask_b32_e64 v52, 0, v52, s[0:1]
	v_cmp_gt_i32_e64 s[0:1], s15, v30
	v_cndmask_b32_e64 v3, 0, v3, s[0:1]
	v_perm_b32 v3, v52, v3, s26
	v_lshrrev_b32_e32 v52, 16, v2
	v_cmp_gt_i32_e64 s[0:1], s14, v29
	v_cndmask_b32_e64 v52, 0, v52, s[0:1]
	v_cmp_gt_i32_e64 s[0:1], s25, v23
	v_cndmask_b32_e64 v2, 0, v2, s[0:1]
	v_perm_b32 v2, v52, v2, s26
.LBB107_57:                             ;   in Loop: Header=BB107_43 Depth=1
	s_or_b64 exec, exec, s[10:11]
	s_waitcnt vmcnt(0)
	;;#ASMSTART
	v_pk_mul_f16 v2, v37, v2;

	;;#ASMEND
	;;#ASMSTART
	v_pk_mul_f16 v3, v36, v3;

	;;#ASMEND
	;; [unrolled: 4-line block ×4, first 2 shown]
	;;#ASMSTART
	v_pk_add_f16 v2, v2, v3;

	;;#ASMEND
	;;#ASMSTART
	v_pk_add_f16 v2, v2, v4;

	;;#ASMEND
	;; [unrolled: 4-line block ×3, first 2 shown]
	v_lshrrev_b32_e32 v3, 16, v2
	v_and_b32_e32 v2, 0xffff, v2
	;;#ASMSTART
	v_cvt_f32_f16 v52, v2;
	;;#ASMEND
	v_add_co_u32_e64 v2, s[0:1], v40, v28
	;;#ASMSTART
	v_cvt_f32_f16 v53, v3;
	;;#ASMEND
	v_addc_co_u32_e64 v3, s[0:1], 0, v41, s[0:1]
	global_load_dwordx4 v[2:5], v[2:3], off
	s_and_saveexec_b64 s[0:1], vcc
	s_cbranch_execz .LBB107_42
; %bb.58:                               ;   in Loop: Header=BB107_43 Depth=1
	s_waitcnt vmcnt(0)
	v_lshrrev_b32_e32 v40, 16, v5
	v_cmp_gt_i32_e32 vcc, s24, v39
	v_cndmask_b32_e32 v39, 0, v40, vcc
	v_cmp_gt_i32_e32 vcc, s19, v38
	v_cndmask_b32_e32 v5, 0, v5, vcc
	v_lshrrev_b32_e32 v38, 16, v4
	v_cmp_gt_i32_e32 vcc, s18, v33
	v_cndmask_b32_e32 v33, 0, v38, vcc
	v_cmp_gt_i32_e32 vcc, s17, v32
	v_cndmask_b32_e32 v4, 0, v4, vcc
	;; [unrolled: 5-line block ×4, first 2 shown]
	v_perm_b32 v5, v39, v5, s26
	v_perm_b32 v4, v33, v4, s26
	;; [unrolled: 1-line block ×4, first 2 shown]
	s_branch .LBB107_42
.LBB107_59:
	s_or_b64 exec, exec, s[6:7]
.LBB107_60:
	s_or_b64 exec, exec, s[4:5]
	ds_bpermute_b32 v2, v21, v8
	ds_bpermute_b32 v3, v21, v9
	;; [unrolled: 1-line block ×8, first 2 shown]
	v_and_b32_e32 v1, 0x3c1, v0
	s_waitcnt lgkmcnt(6)
	v_pk_add_f32 v[8:9], v[8:9], v[2:3]
	s_waitcnt lgkmcnt(4)
	v_pk_add_f32 v[6:7], v[14:15], v[4:5]
	;; [unrolled: 2-line block ×4, first 2 shown]
	v_cmp_eq_u32_e32 vcc, 64, v1
	s_barrier
	s_and_saveexec_b64 s[0:1], vcc
	s_cbranch_execz .LBB107_62
; %bb.61:
	v_mov_b32_e32 v10, 0x210
	v_lshl_add_u32 v10, v20, 1, v10
	ds_write2_b32 v10, v8, v9 offset1:32
	ds_write2_b32 v10, v6, v7 offset0:64 offset1:96
	ds_write2_b32 v10, v4, v5 offset0:128 offset1:160
	;; [unrolled: 1-line block ×3, first 2 shown]
.LBB107_62:
	s_or_b64 exec, exec, s[0:1]
	v_cmp_gt_u32_e32 vcc, 64, v0
	s_waitcnt lgkmcnt(0)
	s_barrier
	s_and_saveexec_b64 s[0:1], vcc
	s_cbranch_execz .LBB107_73
; %bb.63:
	v_cmp_eq_u32_e32 vcc, 0, v22
	v_lshrrev_b32_e32 v10, 1, v0
	s_and_saveexec_b64 s[4:5], vcc
	s_cbranch_execnz .LBB107_76
; %bb.64:
	s_or_b64 exec, exec, s[4:5]
	s_and_saveexec_b64 s[4:5], vcc
	s_cbranch_execnz .LBB107_77
.LBB107_65:
	s_or_b64 exec, exec, s[4:5]
	s_and_saveexec_b64 s[4:5], vcc
	s_cbranch_execnz .LBB107_78
.LBB107_66:
	s_or_b64 exec, exec, s[4:5]
	s_and_saveexec_b64 s[4:5], vcc
	s_cbranch_execnz .LBB107_79
.LBB107_67:
	s_or_b64 exec, exec, s[4:5]
	s_and_saveexec_b64 s[4:5], vcc
	s_cbranch_execnz .LBB107_80
.LBB107_68:
	s_or_b64 exec, exec, s[4:5]
	s_and_saveexec_b64 s[4:5], vcc
	s_cbranch_execnz .LBB107_81
.LBB107_69:
	s_or_b64 exec, exec, s[4:5]
	s_and_saveexec_b64 s[4:5], vcc
	s_cbranch_execnz .LBB107_82
.LBB107_70:
	s_or_b64 exec, exec, s[4:5]
	s_and_saveexec_b64 s[4:5], vcc
	s_cbranch_execz .LBB107_72
.LBB107_71:
	v_mov_b32_e32 v11, 0x210
	v_lshl_add_u32 v10, v10, 2, v11
	ds_read_b32 v10, v10 offset:896
	s_waitcnt lgkmcnt(0)
	v_add_f32_e32 v3, v3, v10
.LBB107_72:
	s_or_b64 exec, exec, s[4:5]
.LBB107_73:
	s_or_b64 exec, exec, s[0:1]
	v_cmp_eq_u32_e32 vcc, 0, v1
	s_barrier
	s_and_saveexec_b64 s[0:1], vcc
	s_cbranch_execz .LBB107_75
; %bb.74:
	s_lshl_b32 s0, s2, 8
	s_ashr_i32 s1, s0, 31
	s_lshl_b64 s[0:1], s[0:1], 1
	s_add_u32 s2, s22, s0
	s_mul_i32 s0, s12, s20
	s_addc_u32 s3, s23, s1
	s_ashr_i32 s1, s0, 31
	s_lshl_b64 s[0:1], s[0:1], 1
	s_add_u32 s2, s2, s0
	s_addc_u32 s3, s3, s1
	s_lshl_b32 s0, s8, 8
	s_ashr_i32 s1, s0, 31
	s_lshl_b64 s[0:1], s[0:1], 1
	s_add_u32 s0, s2, s0
	s_addc_u32 s1, s3, s1
	;;#ASMSTART
	v_cvt_f16_f32 v1, v8;

	;;#ASMEND
	global_store_short v0, v1, s[0:1]
	;;#ASMSTART
	v_cvt_f16_f32 v1, v9;

	;;#ASMEND
	global_store_short v0, v1, s[0:1] offset:64
	;;#ASMSTART
	v_cvt_f16_f32 v1, v6;

	;;#ASMEND
	global_store_short v0, v1, s[0:1] offset:128
	;; [unrolled: 5-line block ×7, first 2 shown]
.LBB107_75:
	s_endpgm
.LBB107_76:
	v_mov_b32_e32 v11, 0x210
	v_lshl_add_u32 v11, v10, 2, v11
	ds_read_b32 v11, v11
	s_waitcnt lgkmcnt(0)
	v_add_f32_e32 v8, v8, v11
	s_or_b64 exec, exec, s[4:5]
	s_and_saveexec_b64 s[4:5], vcc
	s_cbranch_execz .LBB107_65
.LBB107_77:
	v_mov_b32_e32 v11, 0x210
	v_lshl_add_u32 v11, v10, 2, v11
	ds_read_b32 v11, v11 offset:128
	s_waitcnt lgkmcnt(0)
	v_add_f32_e32 v9, v9, v11
	s_or_b64 exec, exec, s[4:5]
	s_and_saveexec_b64 s[4:5], vcc
	s_cbranch_execz .LBB107_66
.LBB107_78:
	v_mov_b32_e32 v11, 0x210
	v_lshl_add_u32 v11, v10, 2, v11
	ds_read_b32 v11, v11 offset:256
	s_waitcnt lgkmcnt(0)
	v_add_f32_e32 v6, v6, v11
	s_or_b64 exec, exec, s[4:5]
	s_and_saveexec_b64 s[4:5], vcc
	s_cbranch_execz .LBB107_67
.LBB107_79:
	v_mov_b32_e32 v11, 0x210
	v_lshl_add_u32 v11, v10, 2, v11
	ds_read_b32 v11, v11 offset:384
	s_waitcnt lgkmcnt(0)
	v_add_f32_e32 v7, v7, v11
	s_or_b64 exec, exec, s[4:5]
	s_and_saveexec_b64 s[4:5], vcc
	s_cbranch_execz .LBB107_68
.LBB107_80:
	v_mov_b32_e32 v11, 0x210
	v_lshl_add_u32 v11, v10, 2, v11
	ds_read_b32 v11, v11 offset:512
	s_waitcnt lgkmcnt(0)
	v_add_f32_e32 v4, v4, v11
	s_or_b64 exec, exec, s[4:5]
	s_and_saveexec_b64 s[4:5], vcc
	s_cbranch_execz .LBB107_69
.LBB107_81:
	v_mov_b32_e32 v11, 0x210
	v_lshl_add_u32 v11, v10, 2, v11
	ds_read_b32 v11, v11 offset:640
	s_waitcnt lgkmcnt(0)
	v_add_f32_e32 v5, v5, v11
	s_or_b64 exec, exec, s[4:5]
	s_and_saveexec_b64 s[4:5], vcc
	s_cbranch_execz .LBB107_70
.LBB107_82:
	v_mov_b32_e32 v11, 0x210
	v_lshl_add_u32 v11, v10, 2, v11
	ds_read_b32 v11, v11 offset:768
	s_waitcnt lgkmcnt(0)
	v_add_f32_e32 v2, v2, v11
	s_or_b64 exec, exec, s[4:5]
	s_and_saveexec_b64 s[4:5], vcc
	s_cbranch_execnz .LBB107_71
	s_branch .LBB107_72
	.section	.rodata,"a",@progbits
	.p2align	6, 0x0
	.amdhsa_kernel _ZN4vllm25paged_attention_v2_kernelIttLi256ELi16ELi128ELNS_18Fp8KVCacheDataTypeE0ELb0ELi512EEEvPfS2_PT_PKS3_PKT0_S9_ifPKiSB_iPKfiiiSD_SD_iiiii
		.amdhsa_group_segment_fixed_size 528
		.amdhsa_private_segment_fixed_size 0
		.amdhsa_kernarg_size 400
		.amdhsa_user_sgpr_count 6
		.amdhsa_user_sgpr_private_segment_buffer 1
		.amdhsa_user_sgpr_dispatch_ptr 0
		.amdhsa_user_sgpr_queue_ptr 0
		.amdhsa_user_sgpr_kernarg_segment_ptr 1
		.amdhsa_user_sgpr_dispatch_id 0
		.amdhsa_user_sgpr_flat_scratch_init 0
		.amdhsa_user_sgpr_kernarg_preload_length 0
		.amdhsa_user_sgpr_kernarg_preload_offset 0
		.amdhsa_user_sgpr_private_segment_size 0
		.amdhsa_uses_dynamic_stack 0
		.amdhsa_system_sgpr_private_segment_wavefront_offset 0
		.amdhsa_system_sgpr_workgroup_id_x 1
		.amdhsa_system_sgpr_workgroup_id_y 1
		.amdhsa_system_sgpr_workgroup_id_z 1
		.amdhsa_system_sgpr_workgroup_info 0
		.amdhsa_system_vgpr_workitem_id 0
		.amdhsa_next_free_vgpr 63
		.amdhsa_next_free_sgpr 43
		.amdhsa_accum_offset 64
		.amdhsa_reserve_vcc 1
		.amdhsa_reserve_flat_scratch 0
		.amdhsa_float_round_mode_32 0
		.amdhsa_float_round_mode_16_64 0
		.amdhsa_float_denorm_mode_32 3
		.amdhsa_float_denorm_mode_16_64 3
		.amdhsa_dx10_clamp 1
		.amdhsa_ieee_mode 1
		.amdhsa_fp16_overflow 0
		.amdhsa_tg_split 0
		.amdhsa_exception_fp_ieee_invalid_op 0
		.amdhsa_exception_fp_denorm_src 0
		.amdhsa_exception_fp_ieee_div_zero 0
		.amdhsa_exception_fp_ieee_overflow 0
		.amdhsa_exception_fp_ieee_underflow 0
		.amdhsa_exception_fp_ieee_inexact 0
		.amdhsa_exception_int_div_zero 0
	.end_amdhsa_kernel
	.section	.text._ZN4vllm25paged_attention_v2_kernelIttLi256ELi16ELi128ELNS_18Fp8KVCacheDataTypeE0ELb0ELi512EEEvPfS2_PT_PKS3_PKT0_S9_ifPKiSB_iPKfiiiSD_SD_iiiii,"axG",@progbits,_ZN4vllm25paged_attention_v2_kernelIttLi256ELi16ELi128ELNS_18Fp8KVCacheDataTypeE0ELb0ELi512EEEvPfS2_PT_PKS3_PKT0_S9_ifPKiSB_iPKfiiiSD_SD_iiiii,comdat
.Lfunc_end107:
	.size	_ZN4vllm25paged_attention_v2_kernelIttLi256ELi16ELi128ELNS_18Fp8KVCacheDataTypeE0ELb0ELi512EEEvPfS2_PT_PKS3_PKT0_S9_ifPKiSB_iPKfiiiSD_SD_iiiii, .Lfunc_end107-_ZN4vllm25paged_attention_v2_kernelIttLi256ELi16ELi128ELNS_18Fp8KVCacheDataTypeE0ELb0ELi512EEEvPfS2_PT_PKS3_PKT0_S9_ifPKiSB_iPKfiiiSD_SD_iiiii
                                        ; -- End function
	.section	.AMDGPU.csdata,"",@progbits
; Kernel info:
; codeLenInByte = 9164
; NumSgprs: 47
; NumVgprs: 63
; NumAgprs: 0
; TotalNumVgprs: 63
; ScratchSize: 0
; MemoryBound: 0
; FloatMode: 240
; IeeeMode: 1
; LDSByteSize: 528 bytes/workgroup (compile time only)
; SGPRBlocks: 5
; VGPRBlocks: 7
; NumSGPRsForWavesPerEU: 47
; NumVGPRsForWavesPerEU: 63
; AccumOffset: 64
; Occupancy: 8
; WaveLimiterHint : 1
; COMPUTE_PGM_RSRC2:SCRATCH_EN: 0
; COMPUTE_PGM_RSRC2:USER_SGPR: 6
; COMPUTE_PGM_RSRC2:TRAP_HANDLER: 0
; COMPUTE_PGM_RSRC2:TGID_X_EN: 1
; COMPUTE_PGM_RSRC2:TGID_Y_EN: 1
; COMPUTE_PGM_RSRC2:TGID_Z_EN: 1
; COMPUTE_PGM_RSRC2:TIDIG_COMP_CNT: 0
; COMPUTE_PGM_RSRC3_GFX90A:ACCUM_OFFSET: 15
; COMPUTE_PGM_RSRC3_GFX90A:TG_SPLIT: 0
	.section	.text._ZN4vllm25paged_attention_v2_kernelIttLi32ELi32ELi128ELNS_18Fp8KVCacheDataTypeE0ELb1ELi512EEEvPfS2_PT_PKS3_PKT0_S9_ifPKiSB_iPKfiiiSD_SD_iiiii,"axG",@progbits,_ZN4vllm25paged_attention_v2_kernelIttLi32ELi32ELi128ELNS_18Fp8KVCacheDataTypeE0ELb1ELi512EEEvPfS2_PT_PKS3_PKT0_S9_ifPKiSB_iPKfiiiSD_SD_iiiii,comdat
	.protected	_ZN4vllm25paged_attention_v2_kernelIttLi32ELi32ELi128ELNS_18Fp8KVCacheDataTypeE0ELb1ELi512EEEvPfS2_PT_PKS3_PKT0_S9_ifPKiSB_iPKfiiiSD_SD_iiiii ; -- Begin function _ZN4vllm25paged_attention_v2_kernelIttLi32ELi32ELi128ELNS_18Fp8KVCacheDataTypeE0ELb1ELi512EEEvPfS2_PT_PKS3_PKT0_S9_ifPKiSB_iPKfiiiSD_SD_iiiii
	.globl	_ZN4vllm25paged_attention_v2_kernelIttLi32ELi32ELi128ELNS_18Fp8KVCacheDataTypeE0ELb1ELi512EEEvPfS2_PT_PKS3_PKT0_S9_ifPKiSB_iPKfiiiSD_SD_iiiii
	.p2align	8
	.type	_ZN4vllm25paged_attention_v2_kernelIttLi32ELi32ELi128ELNS_18Fp8KVCacheDataTypeE0ELb1ELi512EEEvPfS2_PT_PKS3_PKT0_S9_ifPKiSB_iPKfiiiSD_SD_iiiii,@function
_ZN4vllm25paged_attention_v2_kernelIttLi32ELi32ELi128ELNS_18Fp8KVCacheDataTypeE0ELb1ELi512EEEvPfS2_PT_PKS3_PKT0_S9_ifPKiSB_iPKfiiiSD_SD_iiiii: ; @_ZN4vllm25paged_attention_v2_kernelIttLi32ELi32ELi128ELNS_18Fp8KVCacheDataTypeE0ELb1ELi512EEEvPfS2_PT_PKS3_PKT0_S9_ifPKiSB_iPKfiiiSD_SD_iiiii
; %bb.0:
	s_load_dwordx2 s[0:1], s[4:5], 0x40
	s_mov_b32 s28, s7
	s_ashr_i32 s29, s7, 31
	s_lshl_b64 s[2:3], s[28:29], 2
	s_waitcnt lgkmcnt(0)
	s_add_u32 s0, s0, s2
	s_addc_u32 s1, s1, s3
	s_load_dword s29, s[0:1], 0x0
	s_lshl_b32 s48, s8, 9
	s_waitcnt lgkmcnt(0)
	s_cmp_ge_i32 s48, s29
	s_cbranch_scc1 .LBB108_67
; %bb.1:
	s_load_dword s9, s[4:5], 0x90
	s_load_dwordx2 s[38:39], s[4:5], 0x30
	s_mov_b32 s49, 0
	s_waitcnt lgkmcnt(0)
	s_abs_i32 s2, s9
	s_abs_i32 s0, s38
	v_cvt_f32_u32_e32 v1, s0
	s_sub_i32 s3, 0, s0
	s_xor_b32 s1, s9, s38
	s_ashr_i32 s1, s1, 31
	v_rcp_iflag_f32_e32 v1, v1
	v_mul_f32_e32 v1, 0x4f7ffffe, v1
	v_cvt_u32_f32_e32 v1, v1
	v_readfirstlane_b32 s7, v1
	s_mul_i32 s3, s3, s7
	s_mul_hi_u32 s3, s7, s3
	s_add_i32 s7, s7, s3
	s_mul_hi_u32 s3, s2, s7
	s_mul_i32 s7, s3, s0
	s_sub_i32 s2, s2, s7
	s_add_i32 s10, s3, 1
	s_sub_i32 s7, s2, s0
	s_cmp_ge_u32 s2, s0
	s_cselect_b32 s3, s10, s3
	s_cselect_b32 s2, s7, s2
	s_add_i32 s7, s3, 1
	s_cmp_ge_u32 s2, s0
	s_cselect_b32 s0, s7, s3
	s_xor_b32 s0, s0, s1
	s_sub_i32 s11, s0, s1
	s_abs_i32 s2, s11
	v_cvt_f32_u32_e32 v1, s2
	s_load_dwordx2 s[0:1], s[4:5], 0x50
	s_sub_i32 s7, 0, s2
	s_abs_i32 s3, s6
	v_rcp_iflag_f32_e32 v1, v1
	v_mul_f32_e32 v1, 0x4f7ffffe, v1
	v_cvt_u32_f32_e32 v1, v1
	v_readfirstlane_b32 s10, v1
	s_mul_i32 s7, s7, s10
	s_mul_hi_u32 s7, s10, s7
	s_add_i32 s10, s10, s7
	s_waitcnt lgkmcnt(0)
	s_cmp_eq_u64 s[0:1], 0
	s_mul_hi_u32 s10, s3, s10
	s_cbranch_scc1 .LBB108_3
; %bb.2:
	s_ashr_i32 s7, s6, 31
	s_lshl_b64 s[12:13], s[6:7], 2
	s_add_u32 s0, s0, s12
	s_addc_u32 s1, s1, s13
	s_load_dword s49, s[0:1], 0x0
.LBB108_3:
	s_load_dwordx4 s[12:15], s[4:5], 0x58
	s_ashr_i32 s7, s6, 31
	s_ashr_i32 s11, s11, 31
	v_and_b32_e32 v2, 1, v0
	s_lshl_b32 s24, s6, 5
	v_cmp_gt_u32_e32 vcc, 8, v0
	v_lshlrev_b32_e32 v10, 3, v0
	s_and_saveexec_b64 s[0:1], vcc
	s_cbranch_execz .LBB108_5
; %bb.4:
	s_load_dwordx2 s[16:17], s[4:5], 0x18
	s_waitcnt lgkmcnt(0)
	s_mul_i32 s18, s28, s12
	s_ashr_i32 s19, s18, 31
	s_lshl_b64 s[18:19], s[18:19], 1
	v_lshlrev_b32_e32 v1, 2, v0
	s_add_u32 s12, s16, s18
	s_addc_u32 s15, s17, s19
	s_ashr_i32 s25, s24, 31
	s_lshl_b64 s[16:17], s[24:25], 1
	s_add_u32 s16, s12, s16
	s_addc_u32 s17, s15, s17
	global_load_dwordx2 v[4:5], v10, s[16:17]
	v_and_b32_e32 v1, 0xff8, v1
	v_lshl_add_u32 v1, v2, 5, v1
	s_waitcnt vmcnt(0)
	ds_write_b64 v1, v[4:5]
.LBB108_5:
	s_or_b64 exec, exec, s[0:1]
	s_mul_i32 s1, s10, s2
	s_sub_i32 s1, s3, s1
	s_xor_b32 s0, s7, s11
	s_add_i32 s3, s10, 1
	s_sub_i32 s7, s1, s2
	s_load_dwordx4 s[16:19], s[4:5], 0x78
	s_cmp_ge_u32 s1, s2
	s_cselect_b32 s3, s3, s10
	s_load_dword s10, s[4:5], 0x88
	s_cselect_b32 s1, s7, s1
	s_add_i32 s7, s3, 1
	s_cmp_ge_u32 s1, s2
	s_cselect_b32 s1, s7, s3
	s_waitcnt lgkmcnt(0)
	s_abs_i32 s25, s19
	v_cvt_f32_u32_e32 v1, s25
	s_xor_b32 s1, s1, s0
	s_sub_i32 s2, s1, s0
	s_sub_i32 s0, 0, s25
	v_rcp_iflag_f32_e32 v1, v1
	s_add_i32 s11, s29, -1
	s_abs_i32 s3, s11
	v_mul_f32_e32 v1, 0x4f7ffffe, v1
	v_cvt_u32_f32_e32 v1, v1
	s_barrier
	v_readfirstlane_b32 s33, v1
	s_mul_i32 s0, s0, s33
	s_mul_hi_u32 s0, s33, s0
	s_add_i32 s33, s33, s0
	s_cmp_lt_i32 s10, 0
	s_mul_hi_u32 s7, s3, s33
	s_cbranch_scc0 .LBB108_7
; %bb.6:
	s_mul_i32 s0, s16, s38
	s_add_i32 s0, s2, s0
	s_mul_i32 s0, s0, s10
	s_sub_i32 s46, 1, s0
	s_mov_b64 s[0:1], 0
	s_branch .LBB108_8
.LBB108_7:
	s_mov_b64 s[0:1], -1
                                        ; implicit-def: $sgpr46
.LBB108_8:
	s_load_dwordx2 s[30:31], s[4:5], 0x38
	s_ashr_i32 s11, s11, 31
	s_andn2_b64 vcc, exec, s[0:1]
	s_ashr_i32 s19, s19, 31
	s_cbranch_vccnz .LBB108_10
; %bb.9:
	s_mul_i32 s0, s9, s16
	s_add_i32 s0, s0, s6
	s_mul_i32 s0, s0, s10
	s_add_i32 s46, s0, 1
.LBB108_10:
	s_load_dword s0, s[4:5], 0x48
	s_load_dwordx2 s[36:37], s[4:5], 0x28
	s_load_dword s16, s[4:5], 0x98
	s_load_dwordx4 s[20:23], s[4:5], 0x0
	s_load_dwordx2 s[26:27], s[4:5], 0x10
	s_mul_i32 s1, s7, s25
	s_waitcnt lgkmcnt(0)
	s_mul_i32 s34, s28, s0
	s_sub_i32 s1, s3, s1
	s_ashr_i32 s35, s34, 31
	s_xor_b32 s0, s11, s19
	s_add_i32 s3, s7, 1
	s_sub_i32 s10, s1, s25
	s_cmp_ge_u32 s1, s25
	s_cselect_b32 s3, s3, s7
	s_cselect_b32 s1, s10, s1
	s_add_i32 s7, s3, 1
	s_cmp_ge_u32 s1, s25
	s_cselect_b32 s1, s7, s3
	s_xor_b32 s1, s1, s0
	s_sub_i32 s12, s1, s0
	s_add_i32 s0, s29, 31
	s_ashr_i32 s1, s0, 31
	s_lshr_b32 s1, s1, 27
	s_add_i32 s0, s0, s1
	s_lshl_b32 s38, s8, 4
	s_ashr_i32 s7, s0, 5
	s_add_i32 s0, s38, 16
	v_lshrrev_b32_e32 v12, 6, v0
	s_min_i32 s47, s0, s7
	v_or_b32_e32 v6, s38, v12
	v_cmp_gt_i32_e64 s[0:1], s47, v6
	v_mov_b32_e32 v15, 0xff7fffff
	s_mul_i32 s14, s2, s14
	v_ashrrev_i32_e32 v7, 31, v6
	v_lshl_add_u32 v1, v12, 5, s48
	v_mbcnt_lo_u32_b32 v8, -1, 0
	s_and_saveexec_b64 s[40:41], s[0:1]
	s_cbranch_execz .LBB108_20
; %bb.11:
	s_load_dwordx2 s[2:3], s[4:5], 0x20
	s_ashr_i32 s15, s14, 31
	s_sub_i32 s50, s12, s17
	s_lshl_b64 s[4:5], s[14:15], 1
	v_bfe_u32 v9, v0, 1, 5
	s_waitcnt lgkmcnt(0)
	s_add_u32 s2, s2, s4
	s_addc_u32 s3, s3, s5
	s_abs_i32 s15, s18
	v_cvt_f32_u32_e32 v5, s15
	v_lshlrev_b32_e32 v3, 4, v9
	v_mov_b32_e32 v4, s3
	v_add_co_u32_e64 v3, s[2:3], s2, v3
	v_rcp_iflag_f32_e32 v5, v5
	v_addc_co_u32_e64 v4, s[2:3], 0, v4, s[2:3]
	v_and_b32_e32 v11, 8, v10
	v_add_co_u32_e64 v11, s[2:3], v3, v11
	v_mul_f32_e32 v3, 0x4f7ffffe, v5
	v_cvt_u32_f32_e32 v3, v3
	s_sub_i32 s4, 0, s15
	v_cmp_eq_u32_e32 vcc, 0, v2
	v_lshlrev_b32_e32 v14, 5, v2
	v_mul_lo_u32 v2, s4, v3
	s_lshl_b64 s[4:5], s[34:35], 2
	v_mul_hi_u32 v2, v3, v2
	s_add_u32 s4, s30, s4
	v_add_u32_e32 v16, v3, v2
	v_lshlrev_b64 v[2:3], 2, v[6:7]
	s_addc_u32 s5, s31, s5
	v_addc_co_u32_e64 v13, s[2:3], 0, v4, s[2:3]
	v_mov_b32_e32 v4, s5
	v_add_co_u32_e64 v2, s[4:5], s4, v2
	v_addc_co_u32_e64 v3, s[4:5], v4, v3, s[4:5]
	v_lshlrev_b32_e32 v4, 2, v9
	v_lshl_or_b32 v4, v12, 7, v4
	v_add_u32_e32 v18, 0x50, v4
	v_subrev_u32_e32 v4, s29, v9
	v_mbcnt_hi_u32_b32 v21, -1, v8
	v_add_u32_e32 v19, 1, v4
	v_and_b32_e32 v4, 64, v21
	s_mov_b32 s51, s13
	v_cmp_neq_f32_e64 s[2:3], s49, 0
	v_lshl_add_u32 v17, v12, 5, s48
	s_mov_b64 s[42:43], 0
	v_mov_b32_e32 v20, 0xff7fffff
	v_xor_b32_e32 v22, 1, v21
	v_add_u32_e32 v23, 64, v4
	v_mov_b32_e32 v15, 0xff7fffff
	v_mov_b32_e32 v24, v6
	s_branch .LBB108_14
.LBB108_12:                             ;   in Loop: Header=BB108_14 Depth=1
	s_or_b64 exec, exec, s[44:45]
.LBB108_13:                             ;   in Loop: Header=BB108_14 Depth=1
	s_or_b64 exec, exec, s[10:11]
	v_add_co_u32_e64 v2, s[4:5], 8, v2
	v_add_u32_e32 v24, 2, v24
	v_addc_co_u32_e64 v3, s[4:5], 0, v3, s[4:5]
	v_cmp_le_i32_e64 s[4:5], s47, v24
	v_add_u32_e32 v17, 64, v17
	s_or_b64 s[42:43], s[4:5], s[42:43]
	v_add_u32_e32 v18, 0x100, v18
	s_andn2_b64 exec, exec, s[42:43]
	s_cbranch_execz .LBB108_19
.LBB108_14:                             ; =>This Inner Loop Header: Depth=1
	s_waitcnt lgkmcnt(0)
	v_sub_u32_e32 v5, 0, v17
	v_max_i32_e32 v5, v17, v5
	v_mul_hi_u32 v25, v5, s33
	v_mul_lo_u32 v26, v25, s25
	v_sub_u32_e32 v5, v5, v26
	v_add_u32_e32 v26, 1, v25
	v_cmp_le_u32_e64 s[4:5], s25, v5
	v_cndmask_b32_e64 v25, v25, v26, s[4:5]
	v_subrev_u32_e32 v26, s25, v5
	v_cndmask_b32_e64 v5, v5, v26, s[4:5]
	v_ashrrev_i32_e32 v4, 31, v17
	v_add_u32_e32 v26, 1, v25
	v_cmp_le_u32_e64 s[4:5], s25, v5
	v_xor_b32_e32 v4, s19, v4
	v_cndmask_b32_e64 v5, v25, v26, s[4:5]
	v_xor_b32_e32 v5, v5, v4
	v_sub_u32_e32 v4, v5, v4
	v_add_u32_e32 v5, s46, v4
	v_sub_u32_e32 v26, 0, v5
	v_ashrrev_i32_e32 v25, 31, v5
	v_max_i32_e32 v5, v5, v26
	v_mul_hi_u32 v26, v5, v16
	v_mul_lo_u32 v26, v26, s15
	v_sub_u32_e32 v5, v5, v26
	v_subrev_u32_e32 v26, s15, v5
	v_cmp_le_u32_e64 s[4:5], s15, v5
	v_cndmask_b32_e64 v5, v5, v26, s[4:5]
	v_subrev_u32_e32 v26, s15, v5
	v_cmp_le_u32_e64 s[4:5], s15, v5
	v_cndmask_b32_e64 v5, v5, v26, s[4:5]
	v_xor_b32_e32 v5, v5, v25
	v_sub_u32_e32 v5, v5, v25
	v_cmp_ne_u32_e64 s[4:5], 0, v5
	v_cmp_ge_i32_e64 s[10:11], s50, v4
	s_and_b64 s[4:5], s[4:5], s[10:11]
	s_and_b64 s[44:45], vcc, s[4:5]
	s_and_saveexec_b64 s[10:11], s[44:45]
	s_cbranch_execz .LBB108_16
; %bb.15:                               ;   in Loop: Header=BB108_14 Depth=1
	ds_write_b32 v18, v20
.LBB108_16:                             ;   in Loop: Header=BB108_14 Depth=1
	s_or_b64 exec, exec, s[10:11]
	s_xor_b64 s[4:5], s[4:5], -1
	s_and_saveexec_b64 s[10:11], s[4:5]
	s_cbranch_execz .LBB108_13
; %bb.17:                               ;   in Loop: Header=BB108_14 Depth=1
	global_load_dword v4, v[2:3], off
	s_waitcnt vmcnt(0)
	v_mad_i64_i32 v[4:5], s[4:5], v4, s51, 0
	v_lshlrev_b64 v[4:5], 1, v[4:5]
	v_add_co_u32_e64 v4, s[4:5], v11, v4
	v_addc_co_u32_e64 v5, s[4:5], v13, v5, s[4:5]
	global_load_dwordx2 v[26:27], v[4:5], off
	global_load_dwordx2 v[28:29], v[4:5], off offset:512
	global_load_dwordx2 v[30:31], v[4:5], off offset:1024
	s_nop 0
	global_load_dwordx2 v[4:5], v[4:5], off offset:1536
	ds_read_b64 v[32:33], v14
	v_cmp_lt_i32_e64 s[4:5], v22, v23
	v_cndmask_b32_e64 v25, v21, v22, s[4:5]
	s_waitcnt lgkmcnt(0)
	v_lshrrev_b32_e32 v34, 16, v32
	v_and_b32_e32 v32, 0xffff, v32
	v_lshrrev_b32_e32 v35, 16, v33
	v_and_b32_e32 v33, 0xffff, v33
	;;#ASMSTART
	v_cvt_f32_f16 v32, v32;
	;;#ASMEND
	;;#ASMSTART
	v_cvt_f32_f16 v34, v34;
	;;#ASMEND
	s_waitcnt vmcnt(3)
	v_lshrrev_b32_e32 v36, 16, v26
	v_and_b32_e32 v26, 0xffff, v26
	v_lshrrev_b32_e32 v37, 16, v27
	v_and_b32_e32 v27, 0xffff, v27
	;;#ASMSTART
	v_cvt_f32_f16 v42, v26;
	;;#ASMEND
	;;#ASMSTART
	v_cvt_f32_f16 v36, v36;
	;;#ASMEND
	;; [unrolled: 3-line block ×6, first 2 shown]
	ds_read_b64 v[26:27], v14 offset:8
	s_waitcnt vmcnt(2)
	v_lshrrev_b32_e32 v38, 16, v28
	v_and_b32_e32 v28, 0xffff, v28
	v_lshrrev_b32_e32 v39, 16, v29
	v_and_b32_e32 v29, 0xffff, v29
	s_waitcnt vmcnt(0)
	v_lshrrev_b32_e32 v44, 16, v4
	v_and_b32_e32 v45, 0xffff, v4
	v_lshrrev_b32_e32 v46, 16, v5
	v_and_b32_e32 v47, 0xffff, v5
	s_waitcnt lgkmcnt(0)
	v_lshrrev_b32_e32 v4, 16, v26
	v_and_b32_e32 v5, 0xffff, v26
	v_lshrrev_b32_e32 v26, 16, v27
	v_and_b32_e32 v27, 0xffff, v27
	;;#ASMSTART
	v_cvt_f32_f16 v48, v5;
	;;#ASMEND
	;;#ASMSTART
	v_cvt_f32_f16 v49, v4;
	;;#ASMEND
	;; [unrolled: 3-line block ×8, first 2 shown]
	ds_read_b64 v[4:5], v14 offset:16
	v_mul_f32_e32 v28, v48, v28
	v_lshrrev_b32_e32 v40, 16, v30
	v_and_b32_e32 v30, 0xffff, v30
	v_lshrrev_b32_e32 v41, 16, v31
	v_and_b32_e32 v31, 0xffff, v31
	v_mul_f32_e32 v38, v49, v38
	v_mul_f32_e32 v27, v27, v29
	;; [unrolled: 1-line block ×3, first 2 shown]
	v_fmac_f32_e32 v28, v32, v42
	s_waitcnt lgkmcnt(0)
	v_lshrrev_b32_e32 v29, 16, v4
	v_and_b32_e32 v4, 0xffff, v4
	v_lshrrev_b32_e32 v32, 16, v5
	v_and_b32_e32 v5, 0xffff, v5
	v_fmac_f32_e32 v38, v34, v36
	v_fmac_f32_e32 v27, v33, v43
	;; [unrolled: 1-line block ×3, first 2 shown]
	;;#ASMSTART
	v_cvt_f32_f16 v33, v4;
	;;#ASMEND
	;;#ASMSTART
	v_cvt_f32_f16 v29, v29;
	;;#ASMEND
	;; [unrolled: 3-line block ×8, first 2 shown]
	ds_read_b64 v[4:5], v14 offset:24
	v_fmac_f32_e32 v28, v33, v30
	v_fmac_f32_e32 v38, v29, v34
	;; [unrolled: 1-line block ×4, first 2 shown]
	s_waitcnt lgkmcnt(0)
	v_lshrrev_b32_e32 v29, 16, v4
	v_and_b32_e32 v4, 0xffff, v4
	v_lshrrev_b32_e32 v30, 16, v5
	v_and_b32_e32 v5, 0xffff, v5
	;;#ASMSTART
	v_cvt_f32_f16 v4, v4;
	;;#ASMEND
	;;#ASMSTART
	v_cvt_f32_f16 v29, v29;
	;;#ASMEND
	;; [unrolled: 3-line block ×4, first 2 shown]
	v_fmac_f32_e32 v28, v4, v31
	v_fmac_f32_e32 v38, v29, v32
	;;#ASMSTART
	v_cvt_f32_f16 v5, v5;
	;;#ASMEND
	;;#ASMSTART
	v_cvt_f32_f16 v30, v30;
	;;#ASMEND
	;; [unrolled: 3-line block ×3, first 2 shown]
	v_fmac_f32_e32 v27, v5, v33
	v_add_f32_e32 v4, v28, v38
	;;#ASMSTART
	v_cvt_f32_f16 v34, v46;
	;;#ASMEND
	v_fmac_f32_e32 v26, v30, v34
	v_add_f32_e32 v4, v4, v27
	v_add_f32_e32 v4, v26, v4
	v_lshlrev_b32_e32 v5, 2, v25
	ds_bpermute_b32 v5, v5, v4
	s_and_saveexec_b64 s[44:45], vcc
	s_cbranch_execz .LBB108_12
; %bb.18:                               ;   in Loop: Header=BB108_14 Depth=1
	v_add_u32_e32 v25, v19, v17
	v_cvt_f32_i32_e32 v25, v25
	s_waitcnt lgkmcnt(0)
	v_add_f32_e32 v4, v4, v5
	v_add_u32_e32 v26, v9, v17
	v_cmp_gt_i32_e64 s[4:5], s29, v26
	v_mul_f32_e32 v5, s49, v25
	v_cndmask_b32_e64 v5, 0, v5, s[2:3]
	v_fmac_f32_e32 v5, s39, v4
	v_cndmask_b32_e64 v4, 0, v5, s[4:5]
	ds_write_b32 v18, v4
	v_max_f32_e32 v4, v15, v15
	v_max_f32_e32 v4, v4, v5
	v_cndmask_b32_e64 v15, v15, v4, s[4:5]
	s_branch .LBB108_12
.LBB108_19:
	s_or_b64 exec, exec, s[42:43]
.LBB108_20:
	s_or_b64 exec, exec, s[40:41]
	v_mbcnt_hi_u32_b32 v4, -1, v8
	v_and_b32_e32 v2, 64, v4
	v_add_u32_e32 v13, 64, v2
	v_xor_b32_e32 v2, 32, v4
	v_cmp_lt_i32_e32 vcc, v2, v13
	v_cndmask_b32_e32 v2, v4, v2, vcc
	v_lshlrev_b32_e32 v2, 2, v2
	ds_bpermute_b32 v3, v2, v15
	v_xor_b32_e32 v8, 16, v4
	s_waitcnt lgkmcnt(1)
	v_max_f32_e32 v5, v15, v15
	v_cmp_lt_i32_e32 vcc, v8, v13
	v_xor_b32_e32 v9, 8, v4
	s_waitcnt lgkmcnt(0)
	v_max_f32_e32 v3, v3, v3
	v_max_f32_e32 v5, v5, v3
	v_cndmask_b32_e32 v3, v4, v8, vcc
	v_lshlrev_b32_e32 v3, 2, v3
	ds_bpermute_b32 v8, v3, v5
	v_cmp_lt_i32_e32 vcc, v9, v13
	v_xor_b32_e32 v11, 4, v4
	v_xor_b32_e32 v14, 2, v4
	s_waitcnt lgkmcnt(0)
	v_max_f32_e32 v8, v8, v8
	v_max_f32_e32 v8, v5, v8
	v_cndmask_b32_e32 v5, v4, v9, vcc
	v_lshlrev_b32_e32 v5, 2, v5
	ds_bpermute_b32 v9, v5, v8
	v_cmp_lt_i32_e32 vcc, v11, v13
	s_waitcnt lgkmcnt(0)
	v_max_f32_e32 v9, v9, v9
	v_max_f32_e32 v9, v8, v9
	v_cndmask_b32_e32 v8, v4, v11, vcc
	v_lshlrev_b32_e32 v8, 2, v8
	ds_bpermute_b32 v11, v8, v9
	v_cmp_lt_i32_e32 vcc, v14, v13
	s_waitcnt lgkmcnt(0)
	v_max_f32_e32 v11, v11, v11
	v_max_f32_e32 v11, v9, v11
	v_cndmask_b32_e32 v9, v4, v14, vcc
	v_lshlrev_b32_e32 v15, 2, v9
	ds_bpermute_b32 v16, v15, v11
	v_and_b32_e32 v14, 63, v0
	v_cmp_eq_u32_e32 vcc, 0, v14
	v_lshlrev_b32_e32 v9, 2, v12
	s_and_saveexec_b64 s[2:3], vcc
	s_cbranch_execz .LBB108_22
; %bb.21:
	s_waitcnt lgkmcnt(0)
	v_max_f32_e32 v16, v16, v16
	v_max_f32_e32 v11, v11, v11
	;; [unrolled: 1-line block ×3, first 2 shown]
	ds_write_b32 v9, v11 offset:64
.LBB108_22:
	s_or_b64 exec, exec, s[2:3]
	v_cmp_gt_u32_e64 s[2:3], 2, v14
	v_mov_b32_e32 v17, 0xff7fffff
	v_lshlrev_b32_e32 v11, 2, v14
	s_waitcnt lgkmcnt(0)
	s_barrier
	s_and_saveexec_b64 s[4:5], s[2:3]
	s_cbranch_execz .LBB108_24
; %bb.23:
	ds_read_b32 v17, v11 offset:64
.LBB108_24:
	s_or_b64 exec, exec, s[4:5]
	v_xor_b32_e32 v16, 1, v4
	v_cmp_lt_i32_e64 s[4:5], v16, v13
	v_cndmask_b32_e64 v13, v4, v16, s[4:5]
	v_lshlrev_b32_e32 v16, 2, v13
	s_waitcnt lgkmcnt(0)
	ds_bpermute_b32 v13, v16, v17
	v_max_f32_e32 v17, v17, v17
	v_lshlrev_b32_e32 v4, 2, v4
	s_sub_i32 s4, s47, s38
	s_lshl_b32 s4, s4, 5
	s_waitcnt lgkmcnt(0)
	v_max_f32_e32 v13, v13, v13
	v_max_f32_e32 v17, v17, v13
	v_and_b32_e32 v13, 0x100, v4
	ds_bpermute_b32 v4, v13, v17
	s_add_i32 s4, s4, s48
	s_min_i32 s42, s4, s29
	s_sub_i32 s15, s42, s48
	v_cmp_gt_i32_e64 s[4:5], s15, v0
	v_mov_b32_e32 v17, 0
	s_and_saveexec_b64 s[38:39], s[4:5]
	s_cbranch_execz .LBB108_28
; %bb.25:
	v_mov_b32_e32 v17, 0x50
	v_lshl_add_u32 v18, v0, 2, v17
	s_mov_b64 s[40:41], 0
	v_mov_b32_e32 v17, 0
	v_mov_b32_e32 v19, v0
.LBB108_26:                             ; =>This Inner Loop Header: Depth=1
	ds_read_b32 v20, v18
	v_add_u32_e32 v19, 0x80, v19
	v_cmp_le_i32_e64 s[10:11], s15, v19
	s_or_b64 s[40:41], s[10:11], s[40:41]
	s_waitcnt lgkmcnt(0)
	v_sub_f32_e32 v20, v20, v4
	v_mul_f32_e32 v20, 0x3fb8aa3b, v20
	v_exp_f32_e32 v20, v20
	ds_write_b32 v18, v20
	v_add_f32_e32 v17, v17, v20
	v_add_u32_e32 v18, 0x200, v18
	s_andn2_b64 exec, exec, s[40:41]
	s_cbranch_execnz .LBB108_26
; %bb.27:
	s_or_b64 exec, exec, s[40:41]
.LBB108_28:
	s_or_b64 exec, exec, s[38:39]
	ds_bpermute_b32 v2, v2, v17
	s_waitcnt lgkmcnt(0)
	v_add_f32_e32 v2, v17, v2
	ds_bpermute_b32 v3, v3, v2
	s_waitcnt lgkmcnt(0)
	v_add_f32_e32 v2, v2, v3
	;; [unrolled: 3-line block ×6, first 2 shown]
	s_and_saveexec_b64 s[10:11], vcc
	s_cbranch_execz .LBB108_30
; %bb.29:
	ds_write_b32 v9, v2 offset:72
.LBB108_30:
	s_or_b64 exec, exec, s[10:11]
	s_waitcnt lgkmcnt(0)
	s_barrier
	s_and_saveexec_b64 s[10:11], s[2:3]
	s_cbranch_execz .LBB108_32
; %bb.31:
	ds_read_b32 v2, v11 offset:72
.LBB108_32:
	s_or_b64 exec, exec, s[10:11]
	s_waitcnt lgkmcnt(0)
	ds_bpermute_b32 v3, v16, v2
	s_waitcnt lgkmcnt(0)
	v_add_f32_e32 v2, v2, v3
	ds_bpermute_b32 v5, v13, v2
	s_and_saveexec_b64 s[2:3], s[4:5]
	s_cbranch_execz .LBB108_45
; %bb.33:
	s_waitcnt lgkmcnt(0)
	v_add_f32_e32 v2, 0x358637bd, v5
	v_div_scale_f32 v3, s[4:5], v2, v2, 1.0
	v_rcp_f32_e32 v8, v3
	v_div_scale_f32 v9, vcc, 1.0, v2, 1.0
	s_movk_i32 s4, 0x7f
	v_fma_f32 v11, -v3, v8, 1.0
	v_fmac_f32_e32 v8, v11, v8
	v_mul_f32_e32 v11, v9, v8
	v_fma_f32 v13, -v3, v11, v9
	v_fmac_f32_e32 v11, v13, v8
	v_fma_f32 v3, -v3, v11, v9
	v_div_fmas_f32 v3, v3, v8, v11
	v_div_fixup_f32 v2, v3, v2, 1.0
	v_xad_u32 v3, v0, -1, s42
	v_subrev_u32_e32 v8, s48, v3
	v_cmp_lt_u32_e32 vcc, s4, v8
	s_mov_b64 s[10:11], -1
	v_mov_b32_e32 v3, v0
	s_and_saveexec_b64 s[4:5], vcc
	s_cbranch_execz .LBB108_42
; %bb.34:
	v_lshrrev_b32_e32 v8, 7, v8
	v_add_u32_e32 v11, -1, v8
	v_lshrrev_b32_e32 v9, 1, v11
	v_mov_b32_e32 v3, v2
	v_add_u32_e32 v9, 1, v9
	v_cmp_lt_u32_e32 vcc, 13, v11
	v_mov_b32_e32 v17, 0
	s_and_saveexec_b64 s[10:11], vcc
	s_cbranch_execz .LBB108_38
; %bb.35:
	v_mov_b32_e32 v13, 0x50
	v_and_b32_e32 v11, -8, v9
	v_lshl_add_u32 v13, v0, 2, v13
	s_mov_b32 s40, 0
	s_mov_b64 s[38:39], 0
.LBB108_36:                             ; =>This Inner Loop Header: Depth=1
	ds_read2st64_b32 v[18:19], v13 offset1:2
	ds_read2st64_b32 v[20:21], v13 offset0:4 offset1:6
	ds_read2st64_b32 v[22:23], v13 offset0:8 offset1:10
	;; [unrolled: 1-line block ×3, first 2 shown]
	v_add_u32_e32 v11, -8, v11
	s_waitcnt lgkmcnt(3)
	v_pk_mul_f32 v[18:19], v[2:3], v[18:19]
	s_waitcnt lgkmcnt(2)
	v_pk_mul_f32 v[20:21], v[2:3], v[20:21]
	ds_write2st64_b32 v13, v18, v19 offset1:2
	ds_write2st64_b32 v13, v20, v21 offset0:4 offset1:6
	ds_read2st64_b32 v[20:21], v13 offset0:16 offset1:18
	s_waitcnt lgkmcnt(4)
	v_pk_mul_f32 v[18:19], v[2:3], v[22:23]
	ds_write2st64_b32 v13, v18, v19 offset0:8 offset1:10
	s_waitcnt lgkmcnt(4)
	v_pk_mul_f32 v[18:19], v[2:3], v[24:25]
	ds_write2st64_b32 v13, v18, v19 offset0:12 offset1:14
	ds_read2st64_b32 v[18:19], v13 offset0:20 offset1:22
	s_waitcnt lgkmcnt(3)
	v_pk_mul_f32 v[20:21], v[2:3], v[20:21]
	ds_read2st64_b32 v[22:23], v13 offset0:24 offset1:26
	ds_write2st64_b32 v13, v20, v21 offset0:16 offset1:18
	ds_read2st64_b32 v[20:21], v13 offset0:28 offset1:30
	s_waitcnt lgkmcnt(3)
	v_pk_mul_f32 v[18:19], v[2:3], v[18:19]
	ds_write2st64_b32 v13, v18, v19 offset0:20 offset1:22
	s_waitcnt lgkmcnt(3)
	v_pk_mul_f32 v[18:19], v[2:3], v[22:23]
	ds_write2st64_b32 v13, v18, v19 offset0:24 offset1:26
	s_waitcnt lgkmcnt(2)
	v_pk_mul_f32 v[18:19], v[2:3], v[20:21]
	s_add_i32 s40, s40, 16
	v_cmp_eq_u32_e32 vcc, 0, v11
	ds_write2st64_b32 v13, v18, v19 offset0:28 offset1:30
	v_add_u32_e32 v13, 0x2000, v13
	s_or_b64 s[38:39], vcc, s[38:39]
	v_mov_b32_e32 v17, s40
	s_andn2_b64 exec, exec, s[38:39]
	s_cbranch_execnz .LBB108_36
; %bb.37:
	s_or_b64 exec, exec, s[38:39]
.LBB108_38:
	s_or_b64 exec, exec, s[10:11]
	v_and_b32_e32 v9, 7, v9
	v_cmp_ne_u32_e32 vcc, 0, v9
	s_and_saveexec_b64 s[10:11], vcc
	s_cbranch_execz .LBB108_41
; %bb.39:
	v_lshlrev_b32_e32 v11, 9, v17
	v_lshlrev_b32_e32 v13, 2, v0
	s_movk_i32 s38, 0x50
	v_add3_u32 v11, v11, v13, s38
	s_mov_b64 s[38:39], 0
.LBB108_40:                             ; =>This Inner Loop Header: Depth=1
	ds_read2st64_b32 v[18:19], v11 offset1:2
	v_add_u32_e32 v9, -1, v9
	v_cmp_eq_u32_e32 vcc, 0, v9
	s_or_b64 s[38:39], vcc, s[38:39]
	s_waitcnt lgkmcnt(0)
	v_pk_mul_f32 v[18:19], v[2:3], v[18:19]
	ds_write2st64_b32 v11, v18, v19 offset1:2
	v_add_u32_e32 v11, 0x400, v11
	s_andn2_b64 exec, exec, s[38:39]
	s_cbranch_execnz .LBB108_40
.LBB108_41:
	s_or_b64 exec, exec, s[10:11]
	v_add_u32_e32 v8, 1, v8
	v_and_b32_e32 v9, 0x3fffffe, v8
	v_cmp_ne_u32_e32 vcc, v8, v9
	v_lshl_add_u32 v3, v9, 7, v0
	s_orn2_b64 s[10:11], vcc, exec
.LBB108_42:
	s_or_b64 exec, exec, s[4:5]
	s_and_b64 exec, exec, s[10:11]
	s_cbranch_execz .LBB108_45
; %bb.43:
	v_mov_b32_e32 v8, 0x50
	v_lshl_add_u32 v8, v3, 2, v8
	s_mov_b64 s[4:5], 0
.LBB108_44:                             ; =>This Inner Loop Header: Depth=1
	ds_read_b32 v9, v8
	v_add_u32_e32 v3, 0x80, v3
	v_cmp_le_i32_e32 vcc, s15, v3
	s_or_b64 s[4:5], vcc, s[4:5]
	s_waitcnt lgkmcnt(0)
	v_mul_f32_e32 v9, v2, v9
	ds_write_b32 v8, v9
	v_add_u32_e32 v8, 0x200, v8
	s_andn2_b64 exec, exec, s[4:5]
	s_cbranch_execnz .LBB108_44
.LBB108_45:
	s_or_b64 exec, exec, s[2:3]
	s_mul_i32 s2, s16, s28
	v_cmp_eq_u32_e32 vcc, 0, v0
	s_mul_i32 s2, s2, s9
	s_waitcnt lgkmcnt(0)
	s_barrier
	s_and_saveexec_b64 s[4:5], vcc
	s_cbranch_execz .LBB108_47
; %bb.46:
	s_ashr_i32 s3, s2, 31
	s_lshl_b64 s[10:11], s[2:3], 2
	s_add_u32 s3, s22, s10
	s_mul_i32 s22, s16, s6
	s_addc_u32 s9, s23, s11
	s_ashr_i32 s23, s22, 31
	s_lshl_b64 s[22:23], s[22:23], 2
	s_add_u32 s3, s3, s22
	s_addc_u32 s6, s9, s23
	s_ashr_i32 s9, s8, 31
	s_lshl_b64 s[38:39], s[8:9], 2
	s_add_u32 s40, s3, s38
	s_addc_u32 s41, s6, s39
	s_add_u32 s3, s20, s10
	s_addc_u32 s6, s21, s11
	;; [unrolled: 2-line block ×3, first 2 shown]
	s_add_u32 s10, s3, s38
	v_mov_b32_e32 v2, 0
	s_addc_u32 s11, s6, s39
	global_store_dword v2, v4, s[40:41]
	global_store_dword v2, v5, s[10:11]
.LBB108_47:
	s_or_b64 exec, exec, s[4:5]
	v_mov_b32_e32 v9, 0
	v_and_b32_e32 v17, 3, v0
	v_mov_b32_e32 v8, 0
	s_and_saveexec_b64 s[4:5], s[0:1]
	s_cbranch_execz .LBB108_57
; %bb.48:
	s_ashr_i32 s15, s14, 31
	s_sub_i32 s3, s12, s17
	s_lshl_b64 s[0:1], s[14:15], 1
	s_add_u32 s6, s36, s0
	s_addc_u32 s1, s37, s1
	s_abs_i32 s14, s18
	v_cvt_f32_u32_e32 v2, s14
	s_sub_i32 s0, 0, s14
	s_add_i32 s15, s7, -1
	v_and_b32_e32 v18, 24, v10
	v_rcp_iflag_f32_e32 v2, v2
	s_mov_b32 s9, s13
	s_mov_b32 s17, s29
	;; [unrolled: 1-line block ×3, first 2 shown]
	v_mul_f32_e32 v2, 0x4f7ffffe, v2
	v_cvt_u32_f32_e32 v2, v2
	s_mov_b32 s20, s29
	s_mov_b32 s21, s29
	;; [unrolled: 1-line block ×3, first 2 shown]
	v_mul_lo_u32 v3, s0, v2
	v_mul_hi_u32 v3, v2, v3
	v_add_u32_e32 v19, v2, v3
	v_lshlrev_b32_e32 v2, 4, v0
	v_and_b32_e32 v2, 0x3f0, v2
	v_mov_b32_e32 v3, s1
	v_add_co_u32_e32 v20, vcc, s6, v2
	s_lshl_b64 s[6:7], s[34:35], 2
	v_addc_co_u32_e32 v21, vcc, 0, v3, vcc
	v_lshlrev_b64 v[2:3], 2, v[6:7]
	s_add_u32 s1, s30, s6
	s_mov_b32 s0, 0
	s_addc_u32 s6, s31, s7
	v_add_co_u32_e32 v10, vcc, s1, v2
	v_lshlrev_b32_e32 v2, 5, v17
	v_mov_b32_e32 v4, s6
	v_lshl_or_b32 v2, v12, 7, v2
	s_mov_b32 s1, s0
	s_mov_b32 s23, s29
	;; [unrolled: 1-line block ×3, first 2 shown]
	v_addc_co_u32_e32 v11, vcc, v4, v3, vcc
	v_add_u32_e32 v7, 0x50, v2
	s_mov_b64 s[6:7], 0
	v_pk_mov_b32 v[8:9], s[0:1], s[0:1] op_sel:[0,1]
	s_mov_b32 s30, 0x5040100
	s_branch .LBB108_51
.LBB108_49:                             ;   in Loop: Header=BB108_51 Depth=1
	s_or_b64 exec, exec, s[0:1]
	s_waitcnt vmcnt(0)
	;;#ASMSTART
	v_pk_mul_f16 v2, v38, v2;

	;;#ASMEND
	;;#ASMSTART
	v_pk_mul_f16 v3, v32, v3;

	;;#ASMEND
	;;#ASMSTART
	v_pk_mul_f16 v4, v31, v4;

	;;#ASMEND
	;;#ASMSTART
	v_pk_mul_f16 v5, v30, v5;

	;;#ASMEND
	;;#ASMSTART
	v_pk_add_f16 v2, v2, v3;

	;;#ASMEND
	;;#ASMSTART
	v_pk_add_f16 v2, v2, v4;

	;;#ASMEND
	;; [unrolled: 4-line block ×3, first 2 shown]
	v_lshrrev_b32_e32 v3, 16, v2
	v_and_b32_e32 v2, 0xffff, v2
	;;#ASMSTART
	v_cvt_f32_f16 v2, v2;
	;;#ASMEND
	v_add_f32_e32 v12, v33, v34
	;;#ASMSTART
	v_cvt_f32_f16 v3, v3;
	;;#ASMEND
	v_add_f32_e32 v2, v2, v3
	v_add_f32_e32 v8, v8, v12
	v_add_f32_e32 v9, v9, v2
.LBB108_50:                             ;   in Loop: Header=BB108_51 Depth=1
	s_or_b64 exec, exec, s[10:11]
	v_add_co_u32_e32 v10, vcc, 8, v10
	v_add_u32_e32 v6, 2, v6
	v_addc_co_u32_e32 v11, vcc, 0, v11, vcc
	v_cmp_le_i32_e32 vcc, s47, v6
	v_add_u32_e32 v1, 64, v1
	s_or_b64 s[6:7], vcc, s[6:7]
	v_add_u32_e32 v7, 0x100, v7
	s_andn2_b64 exec, exec, s[6:7]
	s_cbranch_execz .LBB108_56
.LBB108_51:                             ; =>This Inner Loop Header: Depth=1
	v_sub_u32_e32 v3, 0, v1
	v_max_i32_e32 v3, v1, v3
	v_mul_hi_u32 v4, v3, s33
	v_mul_lo_u32 v5, v4, s25
	v_sub_u32_e32 v3, v3, v5
	v_add_u32_e32 v5, 1, v4
	v_cmp_le_u32_e32 vcc, s25, v3
	v_cndmask_b32_e32 v4, v4, v5, vcc
	v_subrev_u32_e32 v5, s25, v3
	v_cndmask_b32_e32 v3, v3, v5, vcc
	v_ashrrev_i32_e32 v2, 31, v1
	v_add_u32_e32 v5, 1, v4
	v_cmp_le_u32_e32 vcc, s25, v3
	v_xor_b32_e32 v2, s19, v2
	v_cndmask_b32_e32 v3, v4, v5, vcc
	v_xor_b32_e32 v3, v3, v2
	v_sub_u32_e32 v2, v3, v2
	v_add_u32_e32 v3, s46, v2
	v_sub_u32_e32 v5, 0, v3
	v_ashrrev_i32_e32 v4, 31, v3
	v_max_i32_e32 v3, v3, v5
	v_mul_hi_u32 v5, v3, v19
	v_mul_lo_u32 v5, v5, s14
	v_sub_u32_e32 v3, v3, v5
	v_subrev_u32_e32 v5, s14, v3
	v_cmp_le_u32_e32 vcc, s14, v3
	v_cndmask_b32_e32 v3, v3, v5, vcc
	v_subrev_u32_e32 v5, s14, v3
	v_cmp_le_u32_e32 vcc, s14, v3
	v_cndmask_b32_e32 v3, v3, v5, vcc
	v_xor_b32_e32 v3, v3, v4
	v_sub_u32_e32 v3, v3, v4
	v_cmp_eq_u32_e32 vcc, 0, v3
	v_cmp_lt_i32_e64 s[0:1], s3, v2
	s_or_b64 s[0:1], vcc, s[0:1]
	s_and_saveexec_b64 s[10:11], s[0:1]
	s_cbranch_execz .LBB108_50
; %bb.52:                               ;   in Loop: Header=BB108_51 Depth=1
	global_load_dword v12, v[10:11], off
	ds_read2_b64 v[2:5], v7 offset1:1
	ds_read2_b64 v[22:25], v7 offset0:2 offset1:3
	s_waitcnt lgkmcnt(1)
	;;#ASMSTART
	v_cvt_f16_f32 v30, v2;

	;;#ASMEND
	;;#ASMSTART
	v_cvt_f16_f32 v31, v3;

	;;#ASMEND
	;; [unrolled: 4-line block ×4, first 2 shown]
	s_waitcnt lgkmcnt(0)
	;;#ASMSTART
	v_cvt_f16_f32 v34, v22;

	;;#ASMEND
	;;#ASMSTART
	v_cvt_f16_f32 v35, v23;

	;;#ASMEND
	;; [unrolled: 4-line block ×4, first 2 shown]
	v_add_u32_e32 v22, v18, v1
	v_add_u32_e32 v23, 1, v22
	v_or_b32_e32 v25, 3, v22
	v_or_b32_e32 v24, 2, v22
	;; [unrolled: 1-line block ×6, first 2 shown]
	s_waitcnt vmcnt(0)
	v_mad_i64_i32 v[2:3], s[0:1], v12, s9, 0
	v_lshlrev_b64 v[2:3], 1, v[2:3]
	v_add_co_u32_e32 v12, vcc, v20, v2
	v_addc_co_u32_e32 v13, vcc, v21, v3, vcc
	global_load_dwordx4 v[2:5], v[12:13], off
	v_cmp_eq_u32_e32 vcc, s15, v6
	s_and_saveexec_b64 s[12:13], vcc
	s_cbranch_execz .LBB108_54
; %bb.53:                               ;   in Loop: Header=BB108_51 Depth=1
	s_waitcnt vmcnt(0)
	v_lshrrev_b32_e32 v38, 16, v5
	v_cmp_gt_i32_e64 s[0:1], s28, v29
	v_cndmask_b32_e64 v38, 0, v38, s[0:1]
	v_cmp_gt_i32_e64 s[0:1], s23, v28
	v_cndmask_b32_e64 v5, 0, v5, s[0:1]
	v_perm_b32 v5, v38, v5, s30
	v_lshrrev_b32_e32 v38, 16, v4
	v_cmp_gt_i32_e64 s[0:1], s22, v27
	v_cndmask_b32_e64 v38, 0, v38, s[0:1]
	v_cmp_gt_i32_e64 s[0:1], s21, v26
	v_cndmask_b32_e64 v4, 0, v4, s[0:1]
	v_perm_b32 v4, v38, v4, s30
	;; [unrolled: 6-line block ×4, first 2 shown]
.LBB108_54:                             ;   in Loop: Header=BB108_51 Depth=1
	s_or_b64 exec, exec, s[12:13]
	v_and_b32_e32 v30, 0xffff, v30
	v_lshl_or_b32 v38, v31, 16, v30
	v_and_b32_e32 v30, 0xffff, v32
	v_lshl_or_b32 v32, v33, 16, v30
	;; [unrolled: 2-line block ×3, first 2 shown]
	v_and_b32_e32 v30, 0xffff, v36
	s_waitcnt vmcnt(0)
	;;#ASMSTART
	v_pk_mul_f16 v2, v38, v2;

	;;#ASMEND
	v_lshl_or_b32 v30, v37, 16, v30
	;;#ASMSTART
	v_pk_mul_f16 v3, v32, v3;

	;;#ASMEND
	;;#ASMSTART
	v_pk_mul_f16 v4, v31, v4;

	;;#ASMEND
	;; [unrolled: 4-line block ×3, first 2 shown]
	;;#ASMSTART
	v_pk_add_f16 v2, v2, v3;

	;;#ASMEND
	;;#ASMSTART
	v_pk_add_f16 v2, v2, v4;

	;;#ASMEND
	;; [unrolled: 4-line block ×3, first 2 shown]
	v_lshrrev_b32_e32 v3, 16, v2
	v_and_b32_e32 v2, 0xffff, v2
	;;#ASMSTART
	v_cvt_f32_f16 v33, v2;
	;;#ASMEND
	;;#ASMSTART
	v_cvt_f32_f16 v34, v3;
	;;#ASMEND
	global_load_dwordx4 v[2:5], v[12:13], off offset:1024
	s_and_saveexec_b64 s[0:1], vcc
	s_cbranch_execz .LBB108_49
; %bb.55:                               ;   in Loop: Header=BB108_51 Depth=1
	s_waitcnt vmcnt(0)
	v_lshrrev_b32_e32 v12, 16, v5
	v_cmp_gt_i32_e32 vcc, s28, v29
	v_cndmask_b32_e32 v12, 0, v12, vcc
	v_cmp_gt_i32_e32 vcc, s23, v28
	v_cndmask_b32_e32 v5, 0, v5, vcc
	v_perm_b32 v5, v12, v5, s30
	v_lshrrev_b32_e32 v12, 16, v4
	v_cmp_gt_i32_e32 vcc, s22, v27
	v_cndmask_b32_e32 v12, 0, v12, vcc
	v_cmp_gt_i32_e32 vcc, s21, v26
	v_cndmask_b32_e32 v4, 0, v4, vcc
	v_perm_b32 v4, v12, v4, s30
	;; [unrolled: 6-line block ×4, first 2 shown]
	s_branch .LBB108_49
.LBB108_56:
	s_or_b64 exec, exec, s[6:7]
.LBB108_57:
	s_or_b64 exec, exec, s[4:5]
	ds_bpermute_b32 v2, v15, v8
	ds_bpermute_b32 v3, v15, v9
	v_and_b32_e32 v1, 0x3c3, v0
	v_cmp_eq_u32_e32 vcc, 64, v1
	s_waitcnt lgkmcnt(0)
	s_barrier
	v_pk_add_f32 v[2:3], v[8:9], v[2:3]
	ds_bpermute_b32 v4, v16, v2
	ds_bpermute_b32 v5, v16, v3
	s_waitcnt lgkmcnt(0)
	v_pk_add_f32 v[2:3], v[2:3], v[4:5]
	s_and_saveexec_b64 s[0:1], vcc
	s_cbranch_execz .LBB108_59
; %bb.58:
	v_add_u32_e32 v5, 0x50, v14
	v_add_u32_e32 v4, 0x50, v0
	ds_write_b32 v5, v2
	ds_write_b32 v4, v3
.LBB108_59:
	s_or_b64 exec, exec, s[0:1]
	v_cmp_gt_u32_e32 vcc, 64, v0
	s_waitcnt lgkmcnt(0)
	s_barrier
	s_and_saveexec_b64 s[0:1], vcc
	s_cbranch_execz .LBB108_65
; %bb.60:
	v_cmp_eq_u32_e32 vcc, 0, v17
	v_lshrrev_b32_e32 v4, 2, v0
	s_and_saveexec_b64 s[4:5], vcc
	s_cbranch_execz .LBB108_62
; %bb.61:
	v_mov_b32_e32 v5, 0x50
	v_lshl_add_u32 v5, v4, 2, v5
	ds_read_b32 v5, v5
	s_waitcnt lgkmcnt(0)
	v_add_f32_e32 v2, v2, v5
.LBB108_62:
	s_or_b64 exec, exec, s[4:5]
	s_and_saveexec_b64 s[4:5], vcc
	s_cbranch_execz .LBB108_64
; %bb.63:
	v_mov_b32_e32 v5, 0x50
	v_lshl_add_u32 v4, v4, 2, v5
	ds_read_b32 v4, v4 offset:64
	s_waitcnt lgkmcnt(0)
	v_add_f32_e32 v3, v3, v4
.LBB108_64:
	s_or_b64 exec, exec, s[4:5]
.LBB108_65:
	s_or_b64 exec, exec, s[0:1]
	v_cmp_eq_u32_e32 vcc, 0, v1
	s_barrier
	s_and_saveexec_b64 s[0:1], vcc
	s_cbranch_execz .LBB108_67
; %bb.66:
	s_lshl_b32 s0, s2, 5
	s_ashr_i32 s1, s0, 31
	s_lshl_b64 s[0:1], s[0:1], 1
	s_add_u32 s2, s26, s0
	s_mul_i32 s0, s16, s24
	s_addc_u32 s3, s27, s1
	s_ashr_i32 s1, s0, 31
	s_lshl_b64 s[0:1], s[0:1], 1
	s_add_u32 s2, s2, s0
	s_addc_u32 s3, s3, s1
	s_lshl_b32 s0, s8, 5
	s_ashr_i32 s1, s0, 31
	s_lshl_b64 s[0:1], s[0:1], 1
	s_add_u32 s0, s2, s0
	s_addc_u32 s1, s3, s1
	v_lshrrev_b32_e32 v0, 1, v0
	;;#ASMSTART
	v_cvt_f16_f32 v1, v2;

	;;#ASMEND
	global_store_short v0, v1, s[0:1]
	;;#ASMSTART
	v_cvt_f16_f32 v1, v3;

	;;#ASMEND
	global_store_short v0, v1, s[0:1] offset:32
.LBB108_67:
	s_endpgm
	.section	.rodata,"a",@progbits
	.p2align	6, 0x0
	.amdhsa_kernel _ZN4vllm25paged_attention_v2_kernelIttLi32ELi32ELi128ELNS_18Fp8KVCacheDataTypeE0ELb1ELi512EEEvPfS2_PT_PKS3_PKT0_S9_ifPKiSB_iPKfiiiSD_SD_iiiii
		.amdhsa_group_segment_fixed_size 80
		.amdhsa_private_segment_fixed_size 0
		.amdhsa_kernarg_size 400
		.amdhsa_user_sgpr_count 6
		.amdhsa_user_sgpr_private_segment_buffer 1
		.amdhsa_user_sgpr_dispatch_ptr 0
		.amdhsa_user_sgpr_queue_ptr 0
		.amdhsa_user_sgpr_kernarg_segment_ptr 1
		.amdhsa_user_sgpr_dispatch_id 0
		.amdhsa_user_sgpr_flat_scratch_init 0
		.amdhsa_user_sgpr_kernarg_preload_length 0
		.amdhsa_user_sgpr_kernarg_preload_offset 0
		.amdhsa_user_sgpr_private_segment_size 0
		.amdhsa_uses_dynamic_stack 0
		.amdhsa_system_sgpr_private_segment_wavefront_offset 0
		.amdhsa_system_sgpr_workgroup_id_x 1
		.amdhsa_system_sgpr_workgroup_id_y 1
		.amdhsa_system_sgpr_workgroup_id_z 1
		.amdhsa_system_sgpr_workgroup_info 0
		.amdhsa_system_vgpr_workitem_id 0
		.amdhsa_next_free_vgpr 50
		.amdhsa_next_free_sgpr 52
		.amdhsa_accum_offset 52
		.amdhsa_reserve_vcc 1
		.amdhsa_reserve_flat_scratch 0
		.amdhsa_float_round_mode_32 0
		.amdhsa_float_round_mode_16_64 0
		.amdhsa_float_denorm_mode_32 3
		.amdhsa_float_denorm_mode_16_64 3
		.amdhsa_dx10_clamp 1
		.amdhsa_ieee_mode 1
		.amdhsa_fp16_overflow 0
		.amdhsa_tg_split 0
		.amdhsa_exception_fp_ieee_invalid_op 0
		.amdhsa_exception_fp_denorm_src 0
		.amdhsa_exception_fp_ieee_div_zero 0
		.amdhsa_exception_fp_ieee_overflow 0
		.amdhsa_exception_fp_ieee_underflow 0
		.amdhsa_exception_fp_ieee_inexact 0
		.amdhsa_exception_int_div_zero 0
	.end_amdhsa_kernel
	.section	.text._ZN4vllm25paged_attention_v2_kernelIttLi32ELi32ELi128ELNS_18Fp8KVCacheDataTypeE0ELb1ELi512EEEvPfS2_PT_PKS3_PKT0_S9_ifPKiSB_iPKfiiiSD_SD_iiiii,"axG",@progbits,_ZN4vllm25paged_attention_v2_kernelIttLi32ELi32ELi128ELNS_18Fp8KVCacheDataTypeE0ELb1ELi512EEEvPfS2_PT_PKS3_PKT0_S9_ifPKiSB_iPKfiiiSD_SD_iiiii,comdat
.Lfunc_end108:
	.size	_ZN4vllm25paged_attention_v2_kernelIttLi32ELi32ELi128ELNS_18Fp8KVCacheDataTypeE0ELb1ELi512EEEvPfS2_PT_PKS3_PKT0_S9_ifPKiSB_iPKfiiiSD_SD_iiiii, .Lfunc_end108-_ZN4vllm25paged_attention_v2_kernelIttLi32ELi32ELi128ELNS_18Fp8KVCacheDataTypeE0ELb1ELi512EEEvPfS2_PT_PKS3_PKT0_S9_ifPKiSB_iPKfiiiSD_SD_iiiii
                                        ; -- End function
	.section	.AMDGPU.csdata,"",@progbits
; Kernel info:
; codeLenInByte = 5236
; NumSgprs: 56
; NumVgprs: 50
; NumAgprs: 0
; TotalNumVgprs: 50
; ScratchSize: 0
; MemoryBound: 0
; FloatMode: 240
; IeeeMode: 1
; LDSByteSize: 80 bytes/workgroup (compile time only)
; SGPRBlocks: 6
; VGPRBlocks: 6
; NumSGPRsForWavesPerEU: 56
; NumVGPRsForWavesPerEU: 50
; AccumOffset: 52
; Occupancy: 8
; WaveLimiterHint : 1
; COMPUTE_PGM_RSRC2:SCRATCH_EN: 0
; COMPUTE_PGM_RSRC2:USER_SGPR: 6
; COMPUTE_PGM_RSRC2:TRAP_HANDLER: 0
; COMPUTE_PGM_RSRC2:TGID_X_EN: 1
; COMPUTE_PGM_RSRC2:TGID_Y_EN: 1
; COMPUTE_PGM_RSRC2:TGID_Z_EN: 1
; COMPUTE_PGM_RSRC2:TIDIG_COMP_CNT: 0
; COMPUTE_PGM_RSRC3_GFX90A:ACCUM_OFFSET: 12
; COMPUTE_PGM_RSRC3_GFX90A:TG_SPLIT: 0
	.section	.text._ZN4vllm25paged_attention_v2_kernelIttLi64ELi32ELi128ELNS_18Fp8KVCacheDataTypeE0ELb1ELi512EEEvPfS2_PT_PKS3_PKT0_S9_ifPKiSB_iPKfiiiSD_SD_iiiii,"axG",@progbits,_ZN4vllm25paged_attention_v2_kernelIttLi64ELi32ELi128ELNS_18Fp8KVCacheDataTypeE0ELb1ELi512EEEvPfS2_PT_PKS3_PKT0_S9_ifPKiSB_iPKfiiiSD_SD_iiiii,comdat
	.protected	_ZN4vllm25paged_attention_v2_kernelIttLi64ELi32ELi128ELNS_18Fp8KVCacheDataTypeE0ELb1ELi512EEEvPfS2_PT_PKS3_PKT0_S9_ifPKiSB_iPKfiiiSD_SD_iiiii ; -- Begin function _ZN4vllm25paged_attention_v2_kernelIttLi64ELi32ELi128ELNS_18Fp8KVCacheDataTypeE0ELb1ELi512EEEvPfS2_PT_PKS3_PKT0_S9_ifPKiSB_iPKfiiiSD_SD_iiiii
	.globl	_ZN4vllm25paged_attention_v2_kernelIttLi64ELi32ELi128ELNS_18Fp8KVCacheDataTypeE0ELb1ELi512EEEvPfS2_PT_PKS3_PKT0_S9_ifPKiSB_iPKfiiiSD_SD_iiiii
	.p2align	8
	.type	_ZN4vllm25paged_attention_v2_kernelIttLi64ELi32ELi128ELNS_18Fp8KVCacheDataTypeE0ELb1ELi512EEEvPfS2_PT_PKS3_PKT0_S9_ifPKiSB_iPKfiiiSD_SD_iiiii,@function
_ZN4vllm25paged_attention_v2_kernelIttLi64ELi32ELi128ELNS_18Fp8KVCacheDataTypeE0ELb1ELi512EEEvPfS2_PT_PKS3_PKT0_S9_ifPKiSB_iPKfiiiSD_SD_iiiii: ; @_ZN4vllm25paged_attention_v2_kernelIttLi64ELi32ELi128ELNS_18Fp8KVCacheDataTypeE0ELb1ELi512EEEvPfS2_PT_PKS3_PKT0_S9_ifPKiSB_iPKfiiiSD_SD_iiiii
; %bb.0:
	s_load_dwordx2 s[0:1], s[4:5], 0x40
	s_mov_b32 s28, s7
	s_ashr_i32 s29, s7, 31
	s_lshl_b64 s[2:3], s[28:29], 2
	s_waitcnt lgkmcnt(0)
	s_add_u32 s0, s0, s2
	s_addc_u32 s1, s1, s3
	s_load_dword s29, s[0:1], 0x0
	s_lshl_b32 s48, s8, 9
	s_waitcnt lgkmcnt(0)
	s_cmp_ge_i32 s48, s29
	s_cbranch_scc1 .LBB109_72
; %bb.1:
	s_load_dword s9, s[4:5], 0x90
	s_load_dwordx2 s[38:39], s[4:5], 0x30
	s_mov_b32 s49, 0
	s_waitcnt lgkmcnt(0)
	s_abs_i32 s2, s9
	s_abs_i32 s0, s38
	v_cvt_f32_u32_e32 v1, s0
	s_sub_i32 s3, 0, s0
	s_xor_b32 s1, s9, s38
	s_ashr_i32 s1, s1, 31
	v_rcp_iflag_f32_e32 v1, v1
	v_mul_f32_e32 v1, 0x4f7ffffe, v1
	v_cvt_u32_f32_e32 v1, v1
	v_readfirstlane_b32 s7, v1
	s_mul_i32 s3, s3, s7
	s_mul_hi_u32 s3, s7, s3
	s_add_i32 s7, s7, s3
	s_mul_hi_u32 s3, s2, s7
	s_mul_i32 s7, s3, s0
	s_sub_i32 s2, s2, s7
	s_add_i32 s10, s3, 1
	s_sub_i32 s7, s2, s0
	s_cmp_ge_u32 s2, s0
	s_cselect_b32 s3, s10, s3
	s_cselect_b32 s2, s7, s2
	s_add_i32 s7, s3, 1
	s_cmp_ge_u32 s2, s0
	s_cselect_b32 s0, s7, s3
	s_xor_b32 s0, s0, s1
	s_sub_i32 s11, s0, s1
	s_abs_i32 s2, s11
	v_cvt_f32_u32_e32 v1, s2
	s_load_dwordx2 s[0:1], s[4:5], 0x50
	s_sub_i32 s7, 0, s2
	s_abs_i32 s3, s6
	v_rcp_iflag_f32_e32 v1, v1
	v_mul_f32_e32 v1, 0x4f7ffffe, v1
	v_cvt_u32_f32_e32 v1, v1
	v_readfirstlane_b32 s10, v1
	s_mul_i32 s7, s7, s10
	s_mul_hi_u32 s7, s10, s7
	s_add_i32 s10, s10, s7
	s_waitcnt lgkmcnt(0)
	s_cmp_eq_u64 s[0:1], 0
	s_mul_hi_u32 s10, s3, s10
	s_cbranch_scc1 .LBB109_3
; %bb.2:
	s_ashr_i32 s7, s6, 31
	s_lshl_b64 s[12:13], s[6:7], 2
	s_add_u32 s0, s0, s12
	s_addc_u32 s1, s1, s13
	s_load_dword s49, s[0:1], 0x0
.LBB109_3:
	s_load_dwordx4 s[12:15], s[4:5], 0x58
	s_ashr_i32 s7, s6, 31
	s_ashr_i32 s11, s11, 31
	v_and_b32_e32 v2, 1, v0
	s_lshl_b32 s24, s6, 6
	v_cmp_gt_u32_e32 vcc, 16, v0
	v_lshlrev_b32_e32 v24, 3, v0
	s_and_saveexec_b64 s[0:1], vcc
	s_cbranch_execz .LBB109_5
; %bb.4:
	s_load_dwordx2 s[16:17], s[4:5], 0x18
	s_waitcnt lgkmcnt(0)
	s_mul_i32 s18, s28, s12
	s_ashr_i32 s19, s18, 31
	s_lshl_b64 s[18:19], s[18:19], 1
	v_lshlrev_b32_e32 v1, 2, v0
	s_add_u32 s12, s16, s18
	s_addc_u32 s15, s17, s19
	s_ashr_i32 s25, s24, 31
	s_lshl_b64 s[16:17], s[24:25], 1
	s_add_u32 s16, s12, s16
	s_addc_u32 s17, s15, s17
	global_load_dwordx2 v[4:5], v24, s[16:17]
	v_and_b32_e32 v1, 0xff8, v1
	v_lshl_add_u32 v1, v2, 6, v1
	s_waitcnt vmcnt(0)
	ds_write_b64 v1, v[4:5]
.LBB109_5:
	s_or_b64 exec, exec, s[0:1]
	s_mul_i32 s1, s10, s2
	s_sub_i32 s1, s3, s1
	s_xor_b32 s0, s7, s11
	s_add_i32 s3, s10, 1
	s_sub_i32 s7, s1, s2
	s_load_dwordx4 s[16:19], s[4:5], 0x78
	s_cmp_ge_u32 s1, s2
	s_cselect_b32 s3, s3, s10
	s_load_dword s10, s[4:5], 0x88
	s_cselect_b32 s1, s7, s1
	s_add_i32 s7, s3, 1
	s_cmp_ge_u32 s1, s2
	s_cselect_b32 s1, s7, s3
	s_waitcnt lgkmcnt(0)
	s_abs_i32 s25, s19
	v_cvt_f32_u32_e32 v1, s25
	s_xor_b32 s1, s1, s0
	s_sub_i32 s2, s1, s0
	s_sub_i32 s0, 0, s25
	v_rcp_iflag_f32_e32 v1, v1
	s_add_i32 s11, s29, -1
	s_abs_i32 s3, s11
	v_mul_f32_e32 v1, 0x4f7ffffe, v1
	v_cvt_u32_f32_e32 v1, v1
	s_barrier
	v_readfirstlane_b32 s33, v1
	s_mul_i32 s0, s0, s33
	s_mul_hi_u32 s0, s33, s0
	s_add_i32 s33, s33, s0
	s_cmp_lt_i32 s10, 0
	s_mul_hi_u32 s7, s3, s33
	s_cbranch_scc0 .LBB109_7
; %bb.6:
	s_mul_i32 s0, s16, s38
	s_add_i32 s0, s2, s0
	s_mul_i32 s0, s0, s10
	s_sub_i32 s46, 1, s0
	s_mov_b64 s[0:1], 0
	s_branch .LBB109_8
.LBB109_7:
	s_mov_b64 s[0:1], -1
                                        ; implicit-def: $sgpr46
.LBB109_8:
	s_load_dwordx2 s[30:31], s[4:5], 0x38
	s_ashr_i32 s11, s11, 31
	s_andn2_b64 vcc, exec, s[0:1]
	s_ashr_i32 s19, s19, 31
	s_cbranch_vccnz .LBB109_10
; %bb.9:
	s_mul_i32 s0, s9, s16
	s_add_i32 s0, s0, s6
	s_mul_i32 s0, s0, s10
	s_add_i32 s46, s0, 1
.LBB109_10:
	s_load_dword s0, s[4:5], 0x48
	s_load_dwordx2 s[36:37], s[4:5], 0x28
	s_load_dword s16, s[4:5], 0x98
	s_load_dwordx4 s[20:23], s[4:5], 0x0
	s_load_dwordx2 s[26:27], s[4:5], 0x10
	s_mul_i32 s1, s7, s25
	s_waitcnt lgkmcnt(0)
	s_mul_i32 s34, s28, s0
	s_sub_i32 s1, s3, s1
	s_ashr_i32 s35, s34, 31
	s_xor_b32 s0, s11, s19
	s_add_i32 s3, s7, 1
	s_sub_i32 s10, s1, s25
	s_cmp_ge_u32 s1, s25
	s_cselect_b32 s3, s3, s7
	s_cselect_b32 s1, s10, s1
	s_add_i32 s7, s3, 1
	s_cmp_ge_u32 s1, s25
	s_cselect_b32 s1, s7, s3
	s_xor_b32 s1, s1, s0
	s_sub_i32 s12, s1, s0
	s_add_i32 s0, s29, 31
	s_ashr_i32 s1, s0, 31
	s_lshr_b32 s1, s1, 27
	s_add_i32 s0, s0, s1
	s_lshl_b32 s38, s8, 4
	s_ashr_i32 s7, s0, 5
	s_add_i32 s0, s38, 16
	v_lshrrev_b32_e32 v25, 6, v0
	s_min_i32 s47, s0, s7
	v_or_b32_e32 v10, s38, v25
	v_cmp_gt_i32_e64 s[0:1], s47, v10
	v_mov_b32_e32 v31, 0xff7fffff
	s_mul_i32 s14, s2, s14
	v_ashrrev_i32_e32 v11, 31, v10
	v_lshl_add_u32 v1, v25, 5, s48
	v_mbcnt_lo_u32_b32 v26, -1, 0
	s_and_saveexec_b64 s[40:41], s[0:1]
	s_cbranch_execz .LBB109_20
; %bb.11:
	s_load_dwordx2 s[2:3], s[4:5], 0x20
	s_ashr_i32 s15, s14, 31
	s_sub_i32 s50, s12, s17
	s_lshl_b64 s[4:5], s[14:15], 1
	v_bfe_u32 v27, v0, 1, 5
	s_waitcnt lgkmcnt(0)
	s_add_u32 s2, s2, s4
	s_addc_u32 s3, s3, s5
	s_abs_i32 s15, s18
	v_cvt_f32_u32_e32 v5, s15
	v_lshlrev_b32_e32 v3, 4, v27
	v_mov_b32_e32 v4, s3
	v_add_co_u32_e64 v3, s[2:3], s2, v3
	v_rcp_iflag_f32_e32 v5, v5
	v_addc_co_u32_e64 v4, s[2:3], 0, v4, s[2:3]
	v_and_b32_e32 v6, 8, v24
	v_add_co_u32_e64 v28, s[2:3], v3, v6
	v_mul_f32_e32 v3, 0x4f7ffffe, v5
	v_cvt_u32_f32_e32 v3, v3
	s_sub_i32 s4, 0, s15
	v_cmp_eq_u32_e32 vcc, 0, v2
	v_lshlrev_b32_e32 v30, 6, v2
	v_mul_lo_u32 v2, s4, v3
	s_lshl_b64 s[4:5], s[34:35], 2
	v_mul_hi_u32 v2, v3, v2
	s_add_u32 s4, s30, s4
	v_add_u32_e32 v32, v3, v2
	v_lshlrev_b64 v[2:3], 2, v[10:11]
	s_addc_u32 s5, s31, s5
	v_addc_co_u32_e64 v29, s[2:3], 0, v4, s[2:3]
	v_mov_b32_e32 v4, s5
	v_add_co_u32_e64 v2, s[4:5], s4, v2
	v_addc_co_u32_e64 v3, s[4:5], v4, v3, s[4:5]
	v_lshlrev_b32_e32 v4, 2, v27
	v_lshl_or_b32 v4, v25, 7, v4
	v_add_u32_e32 v34, 0x90, v4
	v_subrev_u32_e32 v4, s29, v27
	v_mbcnt_hi_u32_b32 v37, -1, v26
	v_add_u32_e32 v35, 1, v4
	v_and_b32_e32 v4, 64, v37
	s_mov_b32 s51, s13
	v_cmp_neq_f32_e64 s[2:3], s49, 0
	v_lshl_add_u32 v33, v25, 5, s48
	s_mov_b64 s[42:43], 0
	v_mov_b32_e32 v36, 0xff7fffff
	v_xor_b32_e32 v38, 1, v37
	v_add_u32_e32 v39, 64, v4
	v_mov_b32_e32 v31, 0xff7fffff
	v_mov_b32_e32 v40, v10
	s_branch .LBB109_14
.LBB109_12:                             ;   in Loop: Header=BB109_14 Depth=1
	s_or_b64 exec, exec, s[44:45]
.LBB109_13:                             ;   in Loop: Header=BB109_14 Depth=1
	s_or_b64 exec, exec, s[10:11]
	v_add_co_u32_e64 v2, s[4:5], 8, v2
	v_add_u32_e32 v40, 2, v40
	v_addc_co_u32_e64 v3, s[4:5], 0, v3, s[4:5]
	v_cmp_le_i32_e64 s[4:5], s47, v40
	v_add_u32_e32 v33, 64, v33
	s_or_b64 s[42:43], s[4:5], s[42:43]
	v_add_u32_e32 v34, 0x100, v34
	s_andn2_b64 exec, exec, s[42:43]
	s_cbranch_execz .LBB109_19
.LBB109_14:                             ; =>This Inner Loop Header: Depth=1
	s_waitcnt lgkmcnt(0)
	v_sub_u32_e32 v5, 0, v33
	v_max_i32_e32 v5, v33, v5
	v_mul_hi_u32 v6, v5, s33
	v_mul_lo_u32 v7, v6, s25
	v_sub_u32_e32 v5, v5, v7
	v_add_u32_e32 v7, 1, v6
	v_cmp_le_u32_e64 s[4:5], s25, v5
	v_cndmask_b32_e64 v6, v6, v7, s[4:5]
	v_subrev_u32_e32 v7, s25, v5
	v_cndmask_b32_e64 v5, v5, v7, s[4:5]
	v_ashrrev_i32_e32 v4, 31, v33
	v_add_u32_e32 v7, 1, v6
	v_cmp_le_u32_e64 s[4:5], s25, v5
	v_xor_b32_e32 v4, s19, v4
	v_cndmask_b32_e64 v5, v6, v7, s[4:5]
	v_xor_b32_e32 v5, v5, v4
	v_sub_u32_e32 v4, v5, v4
	v_add_u32_e32 v5, s46, v4
	v_sub_u32_e32 v7, 0, v5
	v_ashrrev_i32_e32 v6, 31, v5
	v_max_i32_e32 v5, v5, v7
	v_mul_hi_u32 v7, v5, v32
	v_mul_lo_u32 v7, v7, s15
	v_sub_u32_e32 v5, v5, v7
	v_subrev_u32_e32 v7, s15, v5
	v_cmp_le_u32_e64 s[4:5], s15, v5
	v_cndmask_b32_e64 v5, v5, v7, s[4:5]
	v_subrev_u32_e32 v7, s15, v5
	v_cmp_le_u32_e64 s[4:5], s15, v5
	v_cndmask_b32_e64 v5, v5, v7, s[4:5]
	v_xor_b32_e32 v5, v5, v6
	v_sub_u32_e32 v5, v5, v6
	v_cmp_ne_u32_e64 s[4:5], 0, v5
	v_cmp_ge_i32_e64 s[10:11], s50, v4
	s_and_b64 s[4:5], s[4:5], s[10:11]
	s_and_b64 s[44:45], vcc, s[4:5]
	s_and_saveexec_b64 s[10:11], s[44:45]
	s_cbranch_execz .LBB109_16
; %bb.15:                               ;   in Loop: Header=BB109_14 Depth=1
	ds_write_b32 v34, v36
.LBB109_16:                             ;   in Loop: Header=BB109_14 Depth=1
	s_or_b64 exec, exec, s[10:11]
	s_xor_b64 s[4:5], s[4:5], -1
	s_and_saveexec_b64 s[10:11], s[4:5]
	s_cbranch_execz .LBB109_13
; %bb.17:                               ;   in Loop: Header=BB109_14 Depth=1
	global_load_dword v4, v[2:3], off
	s_waitcnt vmcnt(0)
	v_mad_i64_i32 v[4:5], s[4:5], v4, s51, 0
	v_lshlrev_b64 v[4:5], 1, v[4:5]
	v_add_co_u32_e64 v4, s[4:5], v28, v4
	v_addc_co_u32_e64 v5, s[4:5], v29, v5, s[4:5]
	global_load_dwordx2 v[20:21], v[4:5], off
	global_load_dwordx2 v[18:19], v[4:5], off offset:512
	global_load_dwordx2 v[16:17], v[4:5], off offset:1024
	;; [unrolled: 1-line block ×6, first 2 shown]
	s_nop 0
	global_load_dwordx2 v[4:5], v[4:5], off offset:3584
	ds_read_b64 v[22:23], v30
	v_cmp_lt_i32_e64 s[4:5], v38, v39
	v_cndmask_b32_e64 v41, v37, v38, s[4:5]
	s_waitcnt lgkmcnt(0)
	v_lshrrev_b32_e32 v42, 16, v22
	v_and_b32_e32 v22, 0xffff, v22
	v_lshrrev_b32_e32 v43, 16, v23
	v_and_b32_e32 v23, 0xffff, v23
	;;#ASMSTART
	v_cvt_f32_f16 v22, v22;
	;;#ASMEND
	;;#ASMSTART
	v_cvt_f32_f16 v42, v42;
	;;#ASMEND
	s_waitcnt vmcnt(7)
	v_lshrrev_b32_e32 v44, 16, v20
	v_and_b32_e32 v20, 0xffff, v20
	v_lshrrev_b32_e32 v45, 16, v21
	v_and_b32_e32 v21, 0xffff, v21
	;;#ASMSTART
	v_cvt_f32_f16 v20, v20;
	;;#ASMEND
	;;#ASMSTART
	v_cvt_f32_f16 v44, v44;
	;;#ASMEND
	s_waitcnt vmcnt(1)
	v_lshrrev_b32_e32 v56, 16, v6
	v_and_b32_e32 v57, 0xffff, v6
	v_lshrrev_b32_e32 v58, 16, v7
	v_and_b32_e32 v59, 0xffff, v7
	;;#ASMSTART
	v_cvt_f32_f16 v23, v23;
	;;#ASMEND
	;;#ASMSTART
	v_cvt_f32_f16 v43, v43;
	;;#ASMEND
	;; [unrolled: 3-line block ×4, first 2 shown]
	ds_read_b64 v[6:7], v30 offset:8
	v_lshrrev_b32_e32 v46, 16, v18
	v_and_b32_e32 v18, 0xffff, v18
	v_lshrrev_b32_e32 v47, 16, v19
	v_and_b32_e32 v19, 0xffff, v19
	s_waitcnt vmcnt(0)
	v_lshrrev_b32_e32 v60, 16, v4
	v_and_b32_e32 v61, 0xffff, v4
	v_lshrrev_b32_e32 v62, 16, v5
	v_and_b32_e32 v63, 0xffff, v5
	s_waitcnt lgkmcnt(0)
	v_lshrrev_b32_e32 v4, 16, v6
	v_and_b32_e32 v5, 0xffff, v6
	v_lshrrev_b32_e32 v6, 16, v7
	v_and_b32_e32 v7, 0xffff, v7
	;;#ASMSTART
	v_cvt_f32_f16 v64, v5;
	;;#ASMEND
	;;#ASMSTART
	v_cvt_f32_f16 v65, v4;
	;;#ASMEND
	;; [unrolled: 3-line block ×8, first 2 shown]
	ds_read_b64 v[4:5], v30 offset:16
	v_mul_f32_e32 v18, v64, v18
	v_lshrrev_b32_e32 v48, 16, v16
	v_and_b32_e32 v16, 0xffff, v16
	v_lshrrev_b32_e32 v49, 16, v17
	v_and_b32_e32 v17, 0xffff, v17
	v_mul_f32_e32 v46, v65, v46
	v_mul_f32_e32 v7, v7, v19
	v_fmac_f32_e32 v18, v22, v20
	s_waitcnt lgkmcnt(0)
	v_lshrrev_b32_e32 v19, 16, v4
	v_and_b32_e32 v4, 0xffff, v4
	v_lshrrev_b32_e32 v20, 16, v5
	v_and_b32_e32 v5, 0xffff, v5
	v_fmac_f32_e32 v46, v42, v44
	v_fmac_f32_e32 v7, v23, v21
	;;#ASMSTART
	v_cvt_f32_f16 v21, v4;
	;;#ASMEND
	;;#ASMSTART
	v_cvt_f32_f16 v19, v19;
	;;#ASMEND
	;; [unrolled: 3-line block ×8, first 2 shown]
	ds_read_b64 v[4:5], v30 offset:24
	v_mul_f32_e32 v6, v6, v47
	v_lshrrev_b32_e32 v50, 16, v14
	v_and_b32_e32 v14, 0xffff, v14
	v_lshrrev_b32_e32 v51, 16, v15
	v_and_b32_e32 v15, 0xffff, v15
	v_fmac_f32_e32 v6, v43, v45
	v_fmac_f32_e32 v18, v21, v16
	;; [unrolled: 1-line block ×3, first 2 shown]
	s_waitcnt lgkmcnt(0)
	v_lshrrev_b32_e32 v16, 16, v4
	v_and_b32_e32 v4, 0xffff, v4
	v_lshrrev_b32_e32 v17, 16, v5
	v_and_b32_e32 v5, 0xffff, v5
	v_fmac_f32_e32 v46, v19, v22
	v_fmac_f32_e32 v6, v20, v42
	;;#ASMSTART
	v_cvt_f32_f16 v19, v4;
	;;#ASMEND
	;;#ASMSTART
	v_cvt_f32_f16 v16, v16;
	;;#ASMEND
	;;#ASMSTART
	v_cvt_f32_f16 v14, v14;
	;;#ASMEND
	;;#ASMSTART
	v_cvt_f32_f16 v20, v50;
	;;#ASMEND
	;;#ASMSTART
	v_cvt_f32_f16 v21, v5;
	;;#ASMEND
	;;#ASMSTART
	v_cvt_f32_f16 v17, v17;
	;;#ASMEND
	;;#ASMSTART
	v_cvt_f32_f16 v15, v15;
	;;#ASMEND
	;;#ASMSTART
	v_cvt_f32_f16 v22, v51;
	;;#ASMEND
	ds_read_b64 v[4:5], v30 offset:32
	v_lshrrev_b32_e32 v52, 16, v12
	v_and_b32_e32 v12, 0xffff, v12
	v_lshrrev_b32_e32 v53, 16, v13
	v_and_b32_e32 v13, 0xffff, v13
	v_fmac_f32_e32 v18, v19, v14
	v_fmac_f32_e32 v7, v21, v15
	s_waitcnt lgkmcnt(0)
	v_lshrrev_b32_e32 v14, 16, v4
	v_and_b32_e32 v4, 0xffff, v4
	v_lshrrev_b32_e32 v15, 16, v5
	v_and_b32_e32 v5, 0xffff, v5
	v_fmac_f32_e32 v46, v16, v20
	v_fmac_f32_e32 v6, v17, v22
	;;#ASMSTART
	v_cvt_f32_f16 v16, v4;
	;;#ASMEND
	;;#ASMSTART
	v_cvt_f32_f16 v14, v14;
	;;#ASMEND
	;; [unrolled: 3-line block ×8, first 2 shown]
	ds_read_b64 v[4:5], v30 offset:40
	v_lshrrev_b32_e32 v54, 16, v8
	v_and_b32_e32 v8, 0xffff, v8
	v_lshrrev_b32_e32 v55, 16, v9
	v_and_b32_e32 v9, 0xffff, v9
	v_fmac_f32_e32 v18, v16, v12
	v_fmac_f32_e32 v7, v19, v13
	s_waitcnt lgkmcnt(0)
	v_lshrrev_b32_e32 v12, 16, v4
	v_and_b32_e32 v4, 0xffff, v4
	v_lshrrev_b32_e32 v13, 16, v5
	v_and_b32_e32 v5, 0xffff, v5
	v_fmac_f32_e32 v46, v14, v17
	v_fmac_f32_e32 v6, v15, v20
	;;#ASMSTART
	v_cvt_f32_f16 v14, v4;
	;;#ASMEND
	;;#ASMSTART
	v_cvt_f32_f16 v12, v12;
	;;#ASMEND
	;; [unrolled: 3-line block ×8, first 2 shown]
	ds_read_b64 v[4:5], v30 offset:48
	v_fmac_f32_e32 v18, v14, v8
	v_fmac_f32_e32 v7, v16, v9
	;; [unrolled: 1-line block ×4, first 2 shown]
	s_waitcnt lgkmcnt(0)
	v_lshrrev_b32_e32 v8, 16, v4
	v_and_b32_e32 v4, 0xffff, v4
	v_lshrrev_b32_e32 v9, 16, v5
	v_and_b32_e32 v5, 0xffff, v5
	;;#ASMSTART
	v_cvt_f32_f16 v12, v4;
	;;#ASMEND
	;;#ASMSTART
	v_cvt_f32_f16 v8, v8;
	;;#ASMEND
	;; [unrolled: 3-line block ×8, first 2 shown]
	ds_read_b64 v[4:5], v30 offset:56
	v_fmac_f32_e32 v18, v12, v13
	v_fmac_f32_e32 v46, v8, v14
	;; [unrolled: 1-line block ×4, first 2 shown]
	s_waitcnt lgkmcnt(0)
	v_lshrrev_b32_e32 v8, 16, v4
	v_and_b32_e32 v4, 0xffff, v4
	v_lshrrev_b32_e32 v9, 16, v5
	v_and_b32_e32 v5, 0xffff, v5
	;;#ASMSTART
	v_cvt_f32_f16 v4, v4;
	;;#ASMEND
	;;#ASMSTART
	v_cvt_f32_f16 v8, v8;
	;;#ASMEND
	;; [unrolled: 3-line block ×4, first 2 shown]
	v_fmac_f32_e32 v18, v4, v12
	v_fmac_f32_e32 v46, v8, v13
	;;#ASMSTART
	v_cvt_f32_f16 v5, v5;
	;;#ASMEND
	;;#ASMSTART
	v_cvt_f32_f16 v9, v9;
	;;#ASMEND
	;; [unrolled: 3-line block ×3, first 2 shown]
	v_fmac_f32_e32 v7, v5, v14
	v_add_f32_e32 v4, v18, v46
	;;#ASMSTART
	v_cvt_f32_f16 v15, v62;
	;;#ASMEND
	v_fmac_f32_e32 v6, v9, v15
	v_add_f32_e32 v4, v4, v7
	v_add_f32_e32 v4, v6, v4
	v_lshlrev_b32_e32 v5, 2, v41
	ds_bpermute_b32 v5, v5, v4
	s_and_saveexec_b64 s[44:45], vcc
	s_cbranch_execz .LBB109_12
; %bb.18:                               ;   in Loop: Header=BB109_14 Depth=1
	v_add_u32_e32 v6, v35, v33
	v_cvt_f32_i32_e32 v6, v6
	s_waitcnt lgkmcnt(0)
	v_add_f32_e32 v4, v4, v5
	v_add_u32_e32 v7, v27, v33
	v_cmp_gt_i32_e64 s[4:5], s29, v7
	v_mul_f32_e32 v5, s49, v6
	v_cndmask_b32_e64 v5, 0, v5, s[2:3]
	v_fmac_f32_e32 v5, s39, v4
	v_cndmask_b32_e64 v4, 0, v5, s[4:5]
	ds_write_b32 v34, v4
	v_max_f32_e32 v4, v31, v31
	v_max_f32_e32 v4, v4, v5
	v_cndmask_b32_e64 v31, v31, v4, s[4:5]
	s_branch .LBB109_12
.LBB109_19:
	s_or_b64 exec, exec, s[42:43]
.LBB109_20:
	s_or_b64 exec, exec, s[40:41]
	v_mbcnt_hi_u32_b32 v4, -1, v26
	v_and_b32_e32 v2, 64, v4
	v_add_u32_e32 v9, 64, v2
	v_xor_b32_e32 v2, 32, v4
	v_cmp_lt_i32_e32 vcc, v2, v9
	v_cndmask_b32_e32 v2, v4, v2, vcc
	v_lshlrev_b32_e32 v2, 2, v2
	ds_bpermute_b32 v3, v2, v31
	v_xor_b32_e32 v6, 16, v4
	s_waitcnt lgkmcnt(1)
	v_max_f32_e32 v5, v31, v31
	v_cmp_lt_i32_e32 vcc, v6, v9
	v_xor_b32_e32 v7, 8, v4
	s_waitcnt lgkmcnt(0)
	v_max_f32_e32 v3, v3, v3
	v_max_f32_e32 v5, v5, v3
	v_cndmask_b32_e32 v3, v4, v6, vcc
	v_lshlrev_b32_e32 v3, 2, v3
	ds_bpermute_b32 v6, v3, v5
	v_cmp_lt_i32_e32 vcc, v7, v9
	v_xor_b32_e32 v8, 4, v4
	v_xor_b32_e32 v12, 2, v4
	v_and_b32_e32 v16, 63, v0
	s_waitcnt lgkmcnt(0)
	v_max_f32_e32 v6, v6, v6
	v_max_f32_e32 v6, v5, v6
	v_cndmask_b32_e32 v5, v4, v7, vcc
	v_lshlrev_b32_e32 v5, 2, v5
	ds_bpermute_b32 v7, v5, v6
	v_cmp_lt_i32_e32 vcc, v8, v9
	s_waitcnt lgkmcnt(0)
	v_max_f32_e32 v7, v7, v7
	v_max_f32_e32 v7, v6, v7
	v_cndmask_b32_e32 v6, v4, v8, vcc
	v_lshlrev_b32_e32 v6, 2, v6
	ds_bpermute_b32 v8, v6, v7
	v_cmp_lt_i32_e32 vcc, v12, v9
	s_waitcnt lgkmcnt(0)
	v_max_f32_e32 v8, v8, v8
	v_max_f32_e32 v8, v7, v8
	v_cndmask_b32_e32 v7, v4, v12, vcc
	v_lshlrev_b32_e32 v17, 2, v7
	ds_bpermute_b32 v12, v17, v8
	v_cmp_eq_u32_e32 vcc, 0, v16
	v_lshlrev_b32_e32 v7, 2, v25
	s_and_saveexec_b64 s[2:3], vcc
	s_cbranch_execz .LBB109_22
; %bb.21:
	s_waitcnt lgkmcnt(0)
	v_max_f32_e32 v12, v12, v12
	v_max_f32_e32 v8, v8, v8
	;; [unrolled: 1-line block ×3, first 2 shown]
	ds_write_b32 v7, v8 offset:128
.LBB109_22:
	s_or_b64 exec, exec, s[2:3]
	v_cmp_gt_u32_e64 s[2:3], 2, v16
	s_waitcnt lgkmcnt(0)
	v_mov_b32_e32 v12, 0xff7fffff
	v_lshlrev_b32_e32 v8, 2, v16
	s_barrier
	s_and_saveexec_b64 s[4:5], s[2:3]
	s_cbranch_execz .LBB109_24
; %bb.23:
	ds_read_b32 v12, v8 offset:128
.LBB109_24:
	s_or_b64 exec, exec, s[4:5]
	v_xor_b32_e32 v13, 1, v4
	v_cmp_lt_i32_e64 s[4:5], v13, v9
	v_cndmask_b32_e64 v9, v4, v13, s[4:5]
	v_lshlrev_b32_e32 v18, 2, v9
	s_waitcnt lgkmcnt(0)
	ds_bpermute_b32 v9, v18, v12
	v_max_f32_e32 v12, v12, v12
	v_lshlrev_b32_e32 v4, 2, v4
	s_sub_i32 s4, s47, s38
	s_lshl_b32 s4, s4, 5
	s_waitcnt lgkmcnt(0)
	v_max_f32_e32 v9, v9, v9
	v_max_f32_e32 v12, v12, v9
	v_and_b32_e32 v9, 0x100, v4
	ds_bpermute_b32 v4, v9, v12
	s_add_i32 s4, s4, s48
	s_min_i32 s42, s4, s29
	s_sub_i32 s15, s42, s48
	v_cmp_gt_i32_e64 s[4:5], s15, v0
	v_mov_b32_e32 v12, 0
	s_and_saveexec_b64 s[38:39], s[4:5]
	s_cbranch_execz .LBB109_28
; %bb.25:
	v_mov_b32_e32 v12, 0x90
	v_lshl_add_u32 v13, v0, 2, v12
	s_mov_b64 s[40:41], 0
	v_mov_b32_e32 v12, 0
	v_mov_b32_e32 v14, v0
.LBB109_26:                             ; =>This Inner Loop Header: Depth=1
	ds_read_b32 v15, v13
	v_add_u32_e32 v14, 0x80, v14
	v_cmp_le_i32_e64 s[10:11], s15, v14
	s_or_b64 s[40:41], s[10:11], s[40:41]
	s_waitcnt lgkmcnt(0)
	v_sub_f32_e32 v15, v15, v4
	v_mul_f32_e32 v15, 0x3fb8aa3b, v15
	v_exp_f32_e32 v15, v15
	ds_write_b32 v13, v15
	v_add_f32_e32 v12, v12, v15
	v_add_u32_e32 v13, 0x200, v13
	s_andn2_b64 exec, exec, s[40:41]
	s_cbranch_execnz .LBB109_26
; %bb.27:
	s_or_b64 exec, exec, s[40:41]
.LBB109_28:
	s_or_b64 exec, exec, s[38:39]
	ds_bpermute_b32 v2, v2, v12
	s_waitcnt lgkmcnt(0)
	v_add_f32_e32 v2, v12, v2
	ds_bpermute_b32 v3, v3, v2
	s_waitcnt lgkmcnt(0)
	v_add_f32_e32 v2, v2, v3
	;; [unrolled: 3-line block ×6, first 2 shown]
	s_and_saveexec_b64 s[10:11], vcc
	s_cbranch_execz .LBB109_30
; %bb.29:
	ds_write_b32 v7, v2 offset:136
.LBB109_30:
	s_or_b64 exec, exec, s[10:11]
	s_waitcnt lgkmcnt(0)
	s_barrier
	s_and_saveexec_b64 s[10:11], s[2:3]
	s_cbranch_execz .LBB109_32
; %bb.31:
	ds_read_b32 v2, v8 offset:136
.LBB109_32:
	s_or_b64 exec, exec, s[10:11]
	s_waitcnt lgkmcnt(0)
	ds_bpermute_b32 v3, v18, v2
	s_waitcnt lgkmcnt(0)
	v_add_f32_e32 v2, v2, v3
	ds_bpermute_b32 v5, v9, v2
	s_and_saveexec_b64 s[2:3], s[4:5]
	s_cbranch_execz .LBB109_45
; %bb.33:
	s_waitcnt lgkmcnt(0)
	v_add_f32_e32 v2, 0x358637bd, v5
	v_div_scale_f32 v3, s[4:5], v2, v2, 1.0
	v_rcp_f32_e32 v6, v3
	v_div_scale_f32 v7, vcc, 1.0, v2, 1.0
	s_movk_i32 s4, 0x7f
	v_fma_f32 v8, -v3, v6, 1.0
	v_fmac_f32_e32 v6, v8, v6
	v_mul_f32_e32 v8, v7, v6
	v_fma_f32 v9, -v3, v8, v7
	v_fmac_f32_e32 v8, v9, v6
	v_fma_f32 v3, -v3, v8, v7
	v_div_fmas_f32 v3, v3, v6, v8
	v_div_fixup_f32 v2, v3, v2, 1.0
	v_xad_u32 v3, v0, -1, s42
	v_subrev_u32_e32 v6, s48, v3
	v_cmp_lt_u32_e32 vcc, s4, v6
	s_mov_b64 s[10:11], -1
	v_mov_b32_e32 v3, v0
	s_and_saveexec_b64 s[4:5], vcc
	s_cbranch_execz .LBB109_42
; %bb.34:
	v_lshrrev_b32_e32 v6, 7, v6
	v_add_u32_e32 v8, -1, v6
	v_lshrrev_b32_e32 v7, 1, v8
	v_mov_b32_e32 v3, v2
	v_add_u32_e32 v7, 1, v7
	v_cmp_lt_u32_e32 vcc, 13, v8
	v_mov_b32_e32 v12, 0
	s_and_saveexec_b64 s[10:11], vcc
	s_cbranch_execz .LBB109_38
; %bb.35:
	v_mov_b32_e32 v9, 0x90
	v_and_b32_e32 v8, -8, v7
	v_lshl_add_u32 v9, v0, 2, v9
	s_mov_b32 s40, 0
	s_mov_b64 s[38:39], 0
.LBB109_36:                             ; =>This Inner Loop Header: Depth=1
	ds_read2st64_b32 v[12:13], v9 offset1:2
	ds_read2st64_b32 v[14:15], v9 offset0:4 offset1:6
	ds_read2st64_b32 v[20:21], v9 offset0:8 offset1:10
	;; [unrolled: 1-line block ×3, first 2 shown]
	v_add_u32_e32 v8, -8, v8
	s_waitcnt lgkmcnt(3)
	v_pk_mul_f32 v[12:13], v[2:3], v[12:13]
	s_waitcnt lgkmcnt(2)
	v_pk_mul_f32 v[14:15], v[2:3], v[14:15]
	ds_write2st64_b32 v9, v12, v13 offset1:2
	ds_write2st64_b32 v9, v14, v15 offset0:4 offset1:6
	ds_read2st64_b32 v[14:15], v9 offset0:16 offset1:18
	s_waitcnt lgkmcnt(4)
	v_pk_mul_f32 v[12:13], v[2:3], v[20:21]
	ds_write2st64_b32 v9, v12, v13 offset0:8 offset1:10
	s_waitcnt lgkmcnt(4)
	v_pk_mul_f32 v[12:13], v[2:3], v[22:23]
	ds_write2st64_b32 v9, v12, v13 offset0:12 offset1:14
	ds_read2st64_b32 v[12:13], v9 offset0:20 offset1:22
	s_waitcnt lgkmcnt(3)
	v_pk_mul_f32 v[14:15], v[2:3], v[14:15]
	ds_read2st64_b32 v[20:21], v9 offset0:24 offset1:26
	ds_write2st64_b32 v9, v14, v15 offset0:16 offset1:18
	ds_read2st64_b32 v[14:15], v9 offset0:28 offset1:30
	s_waitcnt lgkmcnt(3)
	v_pk_mul_f32 v[12:13], v[2:3], v[12:13]
	ds_write2st64_b32 v9, v12, v13 offset0:20 offset1:22
	s_waitcnt lgkmcnt(3)
	v_pk_mul_f32 v[12:13], v[2:3], v[20:21]
	ds_write2st64_b32 v9, v12, v13 offset0:24 offset1:26
	s_waitcnt lgkmcnt(2)
	v_pk_mul_f32 v[12:13], v[2:3], v[14:15]
	s_add_i32 s40, s40, 16
	v_cmp_eq_u32_e32 vcc, 0, v8
	ds_write2st64_b32 v9, v12, v13 offset0:28 offset1:30
	v_add_u32_e32 v9, 0x2000, v9
	s_or_b64 s[38:39], vcc, s[38:39]
	v_mov_b32_e32 v12, s40
	s_andn2_b64 exec, exec, s[38:39]
	s_cbranch_execnz .LBB109_36
; %bb.37:
	s_or_b64 exec, exec, s[38:39]
.LBB109_38:
	s_or_b64 exec, exec, s[10:11]
	v_and_b32_e32 v7, 7, v7
	v_cmp_ne_u32_e32 vcc, 0, v7
	s_and_saveexec_b64 s[10:11], vcc
	s_cbranch_execz .LBB109_41
; %bb.39:
	v_lshlrev_b32_e32 v8, 9, v12
	v_lshlrev_b32_e32 v9, 2, v0
	s_movk_i32 s38, 0x90
	v_add3_u32 v8, v8, v9, s38
	s_mov_b64 s[38:39], 0
.LBB109_40:                             ; =>This Inner Loop Header: Depth=1
	ds_read2st64_b32 v[12:13], v8 offset1:2
	v_add_u32_e32 v7, -1, v7
	v_cmp_eq_u32_e32 vcc, 0, v7
	s_or_b64 s[38:39], vcc, s[38:39]
	s_waitcnt lgkmcnt(0)
	v_pk_mul_f32 v[12:13], v[2:3], v[12:13]
	ds_write2st64_b32 v8, v12, v13 offset1:2
	v_add_u32_e32 v8, 0x400, v8
	s_andn2_b64 exec, exec, s[38:39]
	s_cbranch_execnz .LBB109_40
.LBB109_41:
	s_or_b64 exec, exec, s[10:11]
	v_add_u32_e32 v6, 1, v6
	v_and_b32_e32 v7, 0x3fffffe, v6
	v_cmp_ne_u32_e32 vcc, v6, v7
	v_lshl_add_u32 v3, v7, 7, v0
	s_orn2_b64 s[10:11], vcc, exec
.LBB109_42:
	s_or_b64 exec, exec, s[4:5]
	s_and_b64 exec, exec, s[10:11]
	s_cbranch_execz .LBB109_45
; %bb.43:
	v_mov_b32_e32 v6, 0x90
	v_lshl_add_u32 v6, v3, 2, v6
	s_mov_b64 s[4:5], 0
.LBB109_44:                             ; =>This Inner Loop Header: Depth=1
	ds_read_b32 v7, v6
	v_add_u32_e32 v3, 0x80, v3
	v_cmp_le_i32_e32 vcc, s15, v3
	s_or_b64 s[4:5], vcc, s[4:5]
	s_waitcnt lgkmcnt(0)
	v_mul_f32_e32 v7, v2, v7
	ds_write_b32 v6, v7
	v_add_u32_e32 v6, 0x200, v6
	s_andn2_b64 exec, exec, s[4:5]
	s_cbranch_execnz .LBB109_44
.LBB109_45:
	s_or_b64 exec, exec, s[2:3]
	s_mul_i32 s2, s16, s28
	v_cmp_eq_u32_e32 vcc, 0, v0
	s_mul_i32 s2, s2, s9
	s_waitcnt lgkmcnt(0)
	s_barrier
	s_and_saveexec_b64 s[4:5], vcc
	s_cbranch_execz .LBB109_47
; %bb.46:
	s_ashr_i32 s3, s2, 31
	s_lshl_b64 s[10:11], s[2:3], 2
	s_add_u32 s3, s22, s10
	s_mul_i32 s22, s16, s6
	s_addc_u32 s9, s23, s11
	s_ashr_i32 s23, s22, 31
	s_lshl_b64 s[22:23], s[22:23], 2
	s_add_u32 s3, s3, s22
	s_addc_u32 s6, s9, s23
	s_ashr_i32 s9, s8, 31
	s_lshl_b64 s[38:39], s[8:9], 2
	s_add_u32 s40, s3, s38
	s_addc_u32 s41, s6, s39
	s_add_u32 s3, s20, s10
	s_addc_u32 s6, s21, s11
	;; [unrolled: 2-line block ×3, first 2 shown]
	s_add_u32 s10, s3, s38
	v_mov_b32_e32 v2, 0
	s_addc_u32 s11, s6, s39
	global_store_dword v2, v4, s[40:41]
	global_store_dword v2, v5, s[10:11]
.LBB109_47:
	s_or_b64 exec, exec, s[4:5]
	v_mov_b32_e32 v5, 0
	v_and_b32_e32 v19, 3, v0
	v_mov_b32_e32 v4, 0
	v_mov_b32_e32 v3, 0
	;; [unrolled: 1-line block ×3, first 2 shown]
	s_and_saveexec_b64 s[4:5], s[0:1]
	s_cbranch_execz .LBB109_61
; %bb.48:
	s_ashr_i32 s15, s14, 31
	s_sub_i32 s3, s12, s17
	s_lshl_b64 s[0:1], s[14:15], 1
	s_add_u32 s0, s36, s0
	s_addc_u32 s1, s37, s1
	s_abs_i32 s14, s18
	v_cvt_f32_u32_e32 v2, s14
	s_sub_i32 s6, 0, s14
	s_add_i32 s15, s7, -1
	s_mov_b32 s36, 0
	v_rcp_iflag_f32_e32 v2, v2
	s_mov_b32 s37, s36
	s_mov_b32 s38, s36
	;; [unrolled: 1-line block ×3, first 2 shown]
	v_mul_f32_e32 v2, 0x4f7ffffe, v2
	v_cvt_u32_f32_e32 v2, v2
	v_and_b32_e32 v20, 24, v24
	s_mov_b32 s9, s13
	s_mov_b32 s17, s29
	v_mul_lo_u32 v3, s6, v2
	v_mul_hi_u32 v3, v2, v3
	v_add_u32_e32 v21, v2, v3
	v_lshlrev_b32_e32 v2, 4, v0
	v_and_b32_e32 v2, 0x3f0, v2
	v_mov_b32_e32 v3, s1
	v_add_co_u32_e32 v22, vcc, s0, v2
	s_lshl_b64 s[0:1], s[34:35], 2
	v_addc_co_u32_e32 v23, vcc, 0, v3, vcc
	v_lshlrev_b64 v[2:3], 2, v[10:11]
	s_add_u32 s0, s30, s0
	s_addc_u32 s1, s31, s1
	v_add_co_u32_e32 v12, vcc, s0, v2
	v_lshlrev_b32_e32 v2, 5, v19
	v_mov_b32_e32 v4, s1
	v_lshl_or_b32 v2, v25, 7, v2
	v_addc_co_u32_e32 v13, vcc, v4, v3, vcc
	v_add_u32_e32 v11, 0x90, v2
	v_pk_mov_b32 v[2:3], s[36:37], s[36:37] op_sel:[0,1]
	s_mov_b32 s18, s29
	s_mov_b32 s20, s29
	;; [unrolled: 1-line block ×6, first 2 shown]
	s_mov_b64 s[6:7], 0
	v_pk_mov_b32 v[4:5], s[38:39], s[38:39] op_sel:[0,1]
	s_mov_b32 s30, 0x5040100
	s_branch .LBB109_51
.LBB109_49:                             ;   in Loop: Header=BB109_51 Depth=1
	s_or_b64 exec, exec, s[0:1]
	s_waitcnt vmcnt(0)
	;;#ASMSTART
	v_pk_mul_f16 v6, v35, v6;

	;;#ASMEND
	;;#ASMSTART
	v_pk_mul_f16 v7, v34, v7;

	;;#ASMEND
	;;#ASMSTART
	v_pk_mul_f16 v8, v33, v8;

	;;#ASMEND
	;;#ASMSTART
	v_pk_mul_f16 v9, v32, v9;

	;;#ASMEND
	;;#ASMSTART
	v_pk_add_f16 v6, v6, v7;

	;;#ASMEND
	;;#ASMSTART
	v_pk_add_f16 v6, v6, v8;

	;;#ASMEND
	;; [unrolled: 4-line block ×3, first 2 shown]
	v_add_f32_e32 v14, v36, v37
	v_lshrrev_b32_e32 v7, 16, v6
	v_and_b32_e32 v6, 0xffff, v6
	v_add_f32_e32 v2, v2, v14
	v_add_f32_e32 v14, v38, v39
	;;#ASMSTART
	v_cvt_f32_f16 v6, v6;
	;;#ASMEND
	v_add_f32_e32 v3, v3, v14
	v_add_f32_e32 v14, v40, v41
	;;#ASMSTART
	v_cvt_f32_f16 v7, v7;
	;;#ASMEND
	v_add_f32_e32 v6, v6, v7
	v_add_f32_e32 v4, v4, v14
	;; [unrolled: 1-line block ×3, first 2 shown]
.LBB109_50:                             ;   in Loop: Header=BB109_51 Depth=1
	s_or_b64 exec, exec, s[10:11]
	v_add_co_u32_e32 v12, vcc, 8, v12
	v_add_u32_e32 v10, 2, v10
	v_addc_co_u32_e32 v13, vcc, 0, v13, vcc
	v_cmp_le_i32_e32 vcc, s47, v10
	v_add_u32_e32 v1, 64, v1
	s_or_b64 s[6:7], vcc, s[6:7]
	v_add_u32_e32 v11, 0x100, v11
	s_andn2_b64 exec, exec, s[6:7]
	s_cbranch_execz .LBB109_60
.LBB109_51:                             ; =>This Inner Loop Header: Depth=1
	v_sub_u32_e32 v7, 0, v1
	v_max_i32_e32 v7, v1, v7
	v_mul_hi_u32 v8, v7, s33
	v_mul_lo_u32 v9, v8, s25
	v_sub_u32_e32 v7, v7, v9
	v_add_u32_e32 v9, 1, v8
	v_cmp_le_u32_e32 vcc, s25, v7
	v_cndmask_b32_e32 v8, v8, v9, vcc
	v_subrev_u32_e32 v9, s25, v7
	v_cndmask_b32_e32 v7, v7, v9, vcc
	v_ashrrev_i32_e32 v6, 31, v1
	v_add_u32_e32 v9, 1, v8
	v_cmp_le_u32_e32 vcc, s25, v7
	v_xor_b32_e32 v6, s19, v6
	v_cndmask_b32_e32 v7, v8, v9, vcc
	v_xor_b32_e32 v7, v7, v6
	v_sub_u32_e32 v6, v7, v6
	v_add_u32_e32 v7, s46, v6
	v_sub_u32_e32 v9, 0, v7
	v_ashrrev_i32_e32 v8, 31, v7
	v_max_i32_e32 v7, v7, v9
	v_mul_hi_u32 v9, v7, v21
	v_mul_lo_u32 v9, v9, s14
	v_sub_u32_e32 v7, v7, v9
	v_subrev_u32_e32 v9, s14, v7
	v_cmp_le_u32_e32 vcc, s14, v7
	v_cndmask_b32_e32 v7, v7, v9, vcc
	v_subrev_u32_e32 v9, s14, v7
	v_cmp_le_u32_e32 vcc, s14, v7
	v_cndmask_b32_e32 v7, v7, v9, vcc
	v_xor_b32_e32 v7, v7, v8
	v_sub_u32_e32 v7, v7, v8
	v_cmp_eq_u32_e32 vcc, 0, v7
	v_cmp_lt_i32_e64 s[0:1], s3, v6
	s_or_b64 s[0:1], vcc, s[0:1]
	s_and_saveexec_b64 s[10:11], s[0:1]
	s_cbranch_execz .LBB109_50
; %bb.52:                               ;   in Loop: Header=BB109_51 Depth=1
	global_load_dword v14, v[12:13], off
	ds_read2_b64 v[6:9], v11 offset1:1
	ds_read2_b64 v[24:27], v11 offset0:2 offset1:3
	s_waitcnt lgkmcnt(1)
	;;#ASMSTART
	v_cvt_f16_f32 v32, v6;

	;;#ASMEND
	;;#ASMSTART
	v_cvt_f16_f32 v33, v7;

	;;#ASMEND
	;; [unrolled: 4-line block ×4, first 2 shown]
	s_waitcnt lgkmcnt(0)
	;;#ASMSTART
	v_cvt_f16_f32 v37, v24;

	;;#ASMEND
	;;#ASMSTART
	v_cvt_f16_f32 v38, v25;

	;;#ASMEND
	;; [unrolled: 4-line block ×4, first 2 shown]
	v_add_u32_e32 v24, v20, v1
	v_add_u32_e32 v25, 1, v24
	v_or_b32_e32 v27, 3, v24
	v_or_b32_e32 v26, 2, v24
	;; [unrolled: 1-line block ×6, first 2 shown]
	s_waitcnt vmcnt(0)
	v_mad_i64_i32 v[6:7], s[0:1], v14, s9, 0
	v_lshlrev_b64 v[6:7], 1, v[6:7]
	v_add_co_u32_e32 v14, vcc, v22, v6
	v_addc_co_u32_e32 v15, vcc, v23, v7, vcc
	global_load_dwordx4 v[6:9], v[14:15], off
	v_cmp_eq_u32_e32 vcc, s15, v10
	s_and_saveexec_b64 s[12:13], vcc
	s_cbranch_execz .LBB109_54
; %bb.53:                               ;   in Loop: Header=BB109_51 Depth=1
	s_waitcnt vmcnt(0)
	v_lshrrev_b32_e32 v35, 16, v9
	v_cmp_gt_i32_e64 s[0:1], s28, v31
	v_cndmask_b32_e64 v35, 0, v35, s[0:1]
	v_cmp_gt_i32_e64 s[0:1], s23, v30
	v_cndmask_b32_e64 v9, 0, v9, s[0:1]
	v_perm_b32 v9, v35, v9, s30
	v_lshrrev_b32_e32 v35, 16, v8
	v_cmp_gt_i32_e64 s[0:1], s22, v29
	v_cndmask_b32_e64 v35, 0, v35, s[0:1]
	v_cmp_gt_i32_e64 s[0:1], s21, v28
	v_cndmask_b32_e64 v8, 0, v8, s[0:1]
	v_perm_b32 v8, v35, v8, s30
	;; [unrolled: 6-line block ×4, first 2 shown]
.LBB109_54:                             ;   in Loop: Header=BB109_51 Depth=1
	s_or_b64 exec, exec, s[12:13]
	v_and_b32_e32 v32, 0xffff, v32
	v_lshl_or_b32 v35, v33, 16, v32
	v_and_b32_e32 v32, 0xffff, v34
	v_lshl_or_b32 v34, v36, 16, v32
	v_and_b32_e32 v32, 0xffff, v37
	v_lshl_or_b32 v33, v38, 16, v32
	v_and_b32_e32 v32, 0xffff, v39
	s_waitcnt vmcnt(0)
	;;#ASMSTART
	v_pk_mul_f16 v6, v35, v6;

	;;#ASMEND
	v_lshl_or_b32 v32, v40, 16, v32
	;;#ASMSTART
	v_pk_mul_f16 v7, v34, v7;

	;;#ASMEND
	;;#ASMSTART
	v_pk_mul_f16 v8, v33, v8;

	;;#ASMEND
	;; [unrolled: 4-line block ×3, first 2 shown]
	;;#ASMSTART
	v_pk_add_f16 v6, v6, v7;

	;;#ASMEND
	;;#ASMSTART
	v_pk_add_f16 v6, v6, v8;

	;;#ASMEND
	;; [unrolled: 4-line block ×3, first 2 shown]
	v_lshrrev_b32_e32 v7, 16, v6
	v_and_b32_e32 v6, 0xffff, v6
	;;#ASMSTART
	v_cvt_f32_f16 v36, v6;
	;;#ASMEND
	;;#ASMSTART
	v_cvt_f32_f16 v37, v7;
	;;#ASMEND
	global_load_dwordx4 v[6:9], v[14:15], off offset:1024
	s_and_saveexec_b64 s[12:13], vcc
	s_cbranch_execz .LBB109_56
; %bb.55:                               ;   in Loop: Header=BB109_51 Depth=1
	s_waitcnt vmcnt(0)
	v_lshrrev_b32_e32 v38, 16, v9
	v_cmp_gt_i32_e64 s[0:1], s28, v31
	v_cndmask_b32_e64 v38, 0, v38, s[0:1]
	v_cmp_gt_i32_e64 s[0:1], s23, v30
	v_cndmask_b32_e64 v9, 0, v9, s[0:1]
	v_perm_b32 v9, v38, v9, s30
	v_lshrrev_b32_e32 v38, 16, v8
	v_cmp_gt_i32_e64 s[0:1], s22, v29
	v_cndmask_b32_e64 v38, 0, v38, s[0:1]
	v_cmp_gt_i32_e64 s[0:1], s21, v28
	v_cndmask_b32_e64 v8, 0, v8, s[0:1]
	v_perm_b32 v8, v38, v8, s30
	;; [unrolled: 6-line block ×4, first 2 shown]
.LBB109_56:                             ;   in Loop: Header=BB109_51 Depth=1
	s_or_b64 exec, exec, s[12:13]
	s_waitcnt vmcnt(0)
	;;#ASMSTART
	v_pk_mul_f16 v6, v35, v6;

	;;#ASMEND
	;;#ASMSTART
	v_pk_mul_f16 v7, v34, v7;

	;;#ASMEND
	;; [unrolled: 4-line block ×4, first 2 shown]
	;;#ASMSTART
	v_pk_add_f16 v6, v6, v7;

	;;#ASMEND
	;;#ASMSTART
	v_pk_add_f16 v6, v6, v8;

	;;#ASMEND
	;; [unrolled: 4-line block ×3, first 2 shown]
	v_lshrrev_b32_e32 v7, 16, v6
	v_and_b32_e32 v6, 0xffff, v6
	;;#ASMSTART
	v_cvt_f32_f16 v38, v6;
	;;#ASMEND
	;;#ASMSTART
	v_cvt_f32_f16 v39, v7;
	;;#ASMEND
	global_load_dwordx4 v[6:9], v[14:15], off offset:2048
	s_and_saveexec_b64 s[12:13], vcc
	s_cbranch_execz .LBB109_58
; %bb.57:                               ;   in Loop: Header=BB109_51 Depth=1
	s_waitcnt vmcnt(0)
	v_lshrrev_b32_e32 v40, 16, v9
	v_cmp_gt_i32_e64 s[0:1], s28, v31
	v_cndmask_b32_e64 v40, 0, v40, s[0:1]
	v_cmp_gt_i32_e64 s[0:1], s23, v30
	v_cndmask_b32_e64 v9, 0, v9, s[0:1]
	v_perm_b32 v9, v40, v9, s30
	v_lshrrev_b32_e32 v40, 16, v8
	v_cmp_gt_i32_e64 s[0:1], s22, v29
	v_cndmask_b32_e64 v40, 0, v40, s[0:1]
	v_cmp_gt_i32_e64 s[0:1], s21, v28
	v_cndmask_b32_e64 v8, 0, v8, s[0:1]
	v_perm_b32 v8, v40, v8, s30
	;; [unrolled: 6-line block ×4, first 2 shown]
.LBB109_58:                             ;   in Loop: Header=BB109_51 Depth=1
	s_or_b64 exec, exec, s[12:13]
	s_waitcnt vmcnt(0)
	;;#ASMSTART
	v_pk_mul_f16 v6, v35, v6;

	;;#ASMEND
	;;#ASMSTART
	v_pk_mul_f16 v7, v34, v7;

	;;#ASMEND
	;; [unrolled: 4-line block ×4, first 2 shown]
	;;#ASMSTART
	v_pk_add_f16 v6, v6, v7;

	;;#ASMEND
	;;#ASMSTART
	v_pk_add_f16 v6, v6, v8;

	;;#ASMEND
	;; [unrolled: 4-line block ×3, first 2 shown]
	v_lshrrev_b32_e32 v7, 16, v6
	v_and_b32_e32 v6, 0xffff, v6
	;;#ASMSTART
	v_cvt_f32_f16 v40, v6;
	;;#ASMEND
	;;#ASMSTART
	v_cvt_f32_f16 v41, v7;
	;;#ASMEND
	global_load_dwordx4 v[6:9], v[14:15], off offset:3072
	s_and_saveexec_b64 s[0:1], vcc
	s_cbranch_execz .LBB109_49
; %bb.59:                               ;   in Loop: Header=BB109_51 Depth=1
	s_waitcnt vmcnt(0)
	v_lshrrev_b32_e32 v14, 16, v9
	v_cmp_gt_i32_e32 vcc, s28, v31
	v_cndmask_b32_e32 v14, 0, v14, vcc
	v_cmp_gt_i32_e32 vcc, s23, v30
	v_cndmask_b32_e32 v9, 0, v9, vcc
	v_perm_b32 v9, v14, v9, s30
	v_lshrrev_b32_e32 v14, 16, v8
	v_cmp_gt_i32_e32 vcc, s22, v29
	v_cndmask_b32_e32 v14, 0, v14, vcc
	v_cmp_gt_i32_e32 vcc, s21, v28
	v_cndmask_b32_e32 v8, 0, v8, vcc
	v_perm_b32 v8, v14, v8, s30
	;; [unrolled: 6-line block ×4, first 2 shown]
	s_branch .LBB109_49
.LBB109_60:
	s_or_b64 exec, exec, s[6:7]
.LBB109_61:
	s_or_b64 exec, exec, s[4:5]
	ds_bpermute_b32 v6, v17, v2
	ds_bpermute_b32 v7, v17, v3
	;; [unrolled: 1-line block ×4, first 2 shown]
	v_and_b32_e32 v1, 0x3c3, v0
	v_cmp_eq_u32_e32 vcc, 64, v1
	s_waitcnt lgkmcnt(2)
	v_pk_add_f32 v[2:3], v[2:3], v[6:7]
	ds_bpermute_b32 v6, v18, v2
	s_waitcnt lgkmcnt(1)
	v_pk_add_f32 v[8:9], v[4:5], v[8:9]
	ds_bpermute_b32 v7, v18, v3
	ds_bpermute_b32 v10, v18, v8
	;; [unrolled: 1-line block ×3, first 2 shown]
	s_waitcnt lgkmcnt(0)
	s_barrier
	v_pk_add_f32 v[4:5], v[2:3], v[6:7]
	v_pk_add_f32 v[2:3], v[8:9], v[10:11]
	s_and_saveexec_b64 s[0:1], vcc
	s_cbranch_execz .LBB109_63
; %bb.62:
	v_add_u32_e32 v6, 0x90, v16
	ds_write2_b32 v6, v4, v5 offset1:16
	ds_write2_b32 v6, v2, v3 offset0:32 offset1:48
.LBB109_63:
	s_or_b64 exec, exec, s[0:1]
	v_cmp_gt_u32_e32 vcc, 64, v0
	s_waitcnt lgkmcnt(0)
	s_barrier
	s_and_saveexec_b64 s[0:1], vcc
	s_cbranch_execz .LBB109_70
; %bb.64:
	v_cmp_eq_u32_e32 vcc, 0, v19
	v_lshrrev_b32_e32 v6, 2, v0
	s_and_saveexec_b64 s[4:5], vcc
	s_cbranch_execnz .LBB109_73
; %bb.65:
	s_or_b64 exec, exec, s[4:5]
	s_and_saveexec_b64 s[4:5], vcc
	s_cbranch_execnz .LBB109_74
.LBB109_66:
	s_or_b64 exec, exec, s[4:5]
	s_and_saveexec_b64 s[4:5], vcc
	s_cbranch_execnz .LBB109_75
.LBB109_67:
	s_or_b64 exec, exec, s[4:5]
	s_and_saveexec_b64 s[4:5], vcc
	s_cbranch_execz .LBB109_69
.LBB109_68:
	v_mov_b32_e32 v7, 0x90
	v_lshl_add_u32 v6, v6, 2, v7
	ds_read_b32 v6, v6 offset:192
	s_waitcnt lgkmcnt(0)
	v_add_f32_e32 v3, v3, v6
.LBB109_69:
	s_or_b64 exec, exec, s[4:5]
.LBB109_70:
	s_or_b64 exec, exec, s[0:1]
	v_cmp_eq_u32_e32 vcc, 0, v1
	s_barrier
	s_and_saveexec_b64 s[0:1], vcc
	s_cbranch_execz .LBB109_72
; %bb.71:
	s_lshl_b32 s0, s2, 6
	s_ashr_i32 s1, s0, 31
	s_lshl_b64 s[0:1], s[0:1], 1
	s_add_u32 s2, s26, s0
	s_mul_i32 s0, s16, s24
	s_addc_u32 s3, s27, s1
	s_ashr_i32 s1, s0, 31
	s_lshl_b64 s[0:1], s[0:1], 1
	s_add_u32 s2, s2, s0
	s_addc_u32 s3, s3, s1
	s_lshl_b32 s0, s8, 6
	s_ashr_i32 s1, s0, 31
	s_lshl_b64 s[0:1], s[0:1], 1
	s_add_u32 s0, s2, s0
	s_addc_u32 s1, s3, s1
	v_lshrrev_b32_e32 v0, 1, v0
	;;#ASMSTART
	v_cvt_f16_f32 v1, v4;

	;;#ASMEND
	global_store_short v0, v1, s[0:1]
	;;#ASMSTART
	v_cvt_f16_f32 v1, v5;

	;;#ASMEND
	global_store_short v0, v1, s[0:1] offset:32
	;;#ASMSTART
	v_cvt_f16_f32 v1, v2;

	;;#ASMEND
	global_store_short v0, v1, s[0:1] offset:64
	;; [unrolled: 5-line block ×3, first 2 shown]
.LBB109_72:
	s_endpgm
.LBB109_73:
	v_mov_b32_e32 v7, 0x90
	v_lshl_add_u32 v7, v6, 2, v7
	ds_read_b32 v7, v7
	s_waitcnt lgkmcnt(0)
	v_add_f32_e32 v4, v4, v7
	s_or_b64 exec, exec, s[4:5]
	s_and_saveexec_b64 s[4:5], vcc
	s_cbranch_execz .LBB109_66
.LBB109_74:
	v_mov_b32_e32 v7, 0x90
	v_lshl_add_u32 v7, v6, 2, v7
	ds_read_b32 v7, v7 offset:64
	s_waitcnt lgkmcnt(0)
	v_add_f32_e32 v5, v5, v7
	s_or_b64 exec, exec, s[4:5]
	s_and_saveexec_b64 s[4:5], vcc
	s_cbranch_execz .LBB109_67
.LBB109_75:
	v_mov_b32_e32 v7, 0x90
	v_lshl_add_u32 v7, v6, 2, v7
	ds_read_b32 v7, v7 offset:128
	s_waitcnt lgkmcnt(0)
	v_add_f32_e32 v2, v2, v7
	s_or_b64 exec, exec, s[4:5]
	s_and_saveexec_b64 s[4:5], vcc
	s_cbranch_execnz .LBB109_68
	s_branch .LBB109_69
	.section	.rodata,"a",@progbits
	.p2align	6, 0x0
	.amdhsa_kernel _ZN4vllm25paged_attention_v2_kernelIttLi64ELi32ELi128ELNS_18Fp8KVCacheDataTypeE0ELb1ELi512EEEvPfS2_PT_PKS3_PKT0_S9_ifPKiSB_iPKfiiiSD_SD_iiiii
		.amdhsa_group_segment_fixed_size 144
		.amdhsa_private_segment_fixed_size 0
		.amdhsa_kernarg_size 400
		.amdhsa_user_sgpr_count 6
		.amdhsa_user_sgpr_private_segment_buffer 1
		.amdhsa_user_sgpr_dispatch_ptr 0
		.amdhsa_user_sgpr_queue_ptr 0
		.amdhsa_user_sgpr_kernarg_segment_ptr 1
		.amdhsa_user_sgpr_dispatch_id 0
		.amdhsa_user_sgpr_flat_scratch_init 0
		.amdhsa_user_sgpr_kernarg_preload_length 0
		.amdhsa_user_sgpr_kernarg_preload_offset 0
		.amdhsa_user_sgpr_private_segment_size 0
		.amdhsa_uses_dynamic_stack 0
		.amdhsa_system_sgpr_private_segment_wavefront_offset 0
		.amdhsa_system_sgpr_workgroup_id_x 1
		.amdhsa_system_sgpr_workgroup_id_y 1
		.amdhsa_system_sgpr_workgroup_id_z 1
		.amdhsa_system_sgpr_workgroup_info 0
		.amdhsa_system_vgpr_workitem_id 0
		.amdhsa_next_free_vgpr 66
		.amdhsa_next_free_sgpr 52
		.amdhsa_accum_offset 68
		.amdhsa_reserve_vcc 1
		.amdhsa_reserve_flat_scratch 0
		.amdhsa_float_round_mode_32 0
		.amdhsa_float_round_mode_16_64 0
		.amdhsa_float_denorm_mode_32 3
		.amdhsa_float_denorm_mode_16_64 3
		.amdhsa_dx10_clamp 1
		.amdhsa_ieee_mode 1
		.amdhsa_fp16_overflow 0
		.amdhsa_tg_split 0
		.amdhsa_exception_fp_ieee_invalid_op 0
		.amdhsa_exception_fp_denorm_src 0
		.amdhsa_exception_fp_ieee_div_zero 0
		.amdhsa_exception_fp_ieee_overflow 0
		.amdhsa_exception_fp_ieee_underflow 0
		.amdhsa_exception_fp_ieee_inexact 0
		.amdhsa_exception_int_div_zero 0
	.end_amdhsa_kernel
	.section	.text._ZN4vllm25paged_attention_v2_kernelIttLi64ELi32ELi128ELNS_18Fp8KVCacheDataTypeE0ELb1ELi512EEEvPfS2_PT_PKS3_PKT0_S9_ifPKiSB_iPKfiiiSD_SD_iiiii,"axG",@progbits,_ZN4vllm25paged_attention_v2_kernelIttLi64ELi32ELi128ELNS_18Fp8KVCacheDataTypeE0ELb1ELi512EEEvPfS2_PT_PKS3_PKT0_S9_ifPKiSB_iPKfiiiSD_SD_iiiii,comdat
.Lfunc_end109:
	.size	_ZN4vllm25paged_attention_v2_kernelIttLi64ELi32ELi128ELNS_18Fp8KVCacheDataTypeE0ELb1ELi512EEEvPfS2_PT_PKS3_PKT0_S9_ifPKiSB_iPKfiiiSD_SD_iiiii, .Lfunc_end109-_ZN4vllm25paged_attention_v2_kernelIttLi64ELi32ELi128ELNS_18Fp8KVCacheDataTypeE0ELb1ELi512EEEvPfS2_PT_PKS3_PKT0_S9_ifPKiSB_iPKfiiiSD_SD_iiiii
                                        ; -- End function
	.section	.AMDGPU.csdata,"",@progbits
; Kernel info:
; codeLenInByte = 6648
; NumSgprs: 56
; NumVgprs: 66
; NumAgprs: 0
; TotalNumVgprs: 66
; ScratchSize: 0
; MemoryBound: 0
; FloatMode: 240
; IeeeMode: 1
; LDSByteSize: 144 bytes/workgroup (compile time only)
; SGPRBlocks: 6
; VGPRBlocks: 8
; NumSGPRsForWavesPerEU: 56
; NumVGPRsForWavesPerEU: 66
; AccumOffset: 68
; Occupancy: 7
; WaveLimiterHint : 1
; COMPUTE_PGM_RSRC2:SCRATCH_EN: 0
; COMPUTE_PGM_RSRC2:USER_SGPR: 6
; COMPUTE_PGM_RSRC2:TRAP_HANDLER: 0
; COMPUTE_PGM_RSRC2:TGID_X_EN: 1
; COMPUTE_PGM_RSRC2:TGID_Y_EN: 1
; COMPUTE_PGM_RSRC2:TGID_Z_EN: 1
; COMPUTE_PGM_RSRC2:TIDIG_COMP_CNT: 0
; COMPUTE_PGM_RSRC3_GFX90A:ACCUM_OFFSET: 16
; COMPUTE_PGM_RSRC3_GFX90A:TG_SPLIT: 0
	.section	.text._ZN4vllm25paged_attention_v2_kernelIttLi80ELi32ELi128ELNS_18Fp8KVCacheDataTypeE0ELb1ELi512EEEvPfS2_PT_PKS3_PKT0_S9_ifPKiSB_iPKfiiiSD_SD_iiiii,"axG",@progbits,_ZN4vllm25paged_attention_v2_kernelIttLi80ELi32ELi128ELNS_18Fp8KVCacheDataTypeE0ELb1ELi512EEEvPfS2_PT_PKS3_PKT0_S9_ifPKiSB_iPKfiiiSD_SD_iiiii,comdat
	.protected	_ZN4vllm25paged_attention_v2_kernelIttLi80ELi32ELi128ELNS_18Fp8KVCacheDataTypeE0ELb1ELi512EEEvPfS2_PT_PKS3_PKT0_S9_ifPKiSB_iPKfiiiSD_SD_iiiii ; -- Begin function _ZN4vllm25paged_attention_v2_kernelIttLi80ELi32ELi128ELNS_18Fp8KVCacheDataTypeE0ELb1ELi512EEEvPfS2_PT_PKS3_PKT0_S9_ifPKiSB_iPKfiiiSD_SD_iiiii
	.globl	_ZN4vllm25paged_attention_v2_kernelIttLi80ELi32ELi128ELNS_18Fp8KVCacheDataTypeE0ELb1ELi512EEEvPfS2_PT_PKS3_PKT0_S9_ifPKiSB_iPKfiiiSD_SD_iiiii
	.p2align	8
	.type	_ZN4vllm25paged_attention_v2_kernelIttLi80ELi32ELi128ELNS_18Fp8KVCacheDataTypeE0ELb1ELi512EEEvPfS2_PT_PKS3_PKT0_S9_ifPKiSB_iPKfiiiSD_SD_iiiii,@function
_ZN4vllm25paged_attention_v2_kernelIttLi80ELi32ELi128ELNS_18Fp8KVCacheDataTypeE0ELb1ELi512EEEvPfS2_PT_PKS3_PKT0_S9_ifPKiSB_iPKfiiiSD_SD_iiiii: ; @_ZN4vllm25paged_attention_v2_kernelIttLi80ELi32ELi128ELNS_18Fp8KVCacheDataTypeE0ELb1ELi512EEEvPfS2_PT_PKS3_PKT0_S9_ifPKiSB_iPKfiiiSD_SD_iiiii
; %bb.0:
	s_load_dwordx2 s[0:1], s[4:5], 0x40
	s_mov_b32 s28, s7
	s_ashr_i32 s29, s7, 31
	s_lshl_b64 s[2:3], s[28:29], 2
	s_waitcnt lgkmcnt(0)
	s_add_u32 s0, s0, s2
	s_addc_u32 s1, s1, s3
	s_load_dword s29, s[0:1], 0x0
	s_lshl_b32 s49, s8, 9
	s_waitcnt lgkmcnt(0)
	s_cmp_ge_i32 s49, s29
	s_cbranch_scc1 .LBB110_75
; %bb.1:
	s_load_dword s9, s[4:5], 0x90
	s_load_dwordx2 s[38:39], s[4:5], 0x30
	s_mov_b32 s50, 0
	s_waitcnt lgkmcnt(0)
	s_abs_i32 s2, s9
	s_abs_i32 s0, s38
	v_cvt_f32_u32_e32 v1, s0
	s_sub_i32 s3, 0, s0
	s_xor_b32 s1, s9, s38
	s_ashr_i32 s1, s1, 31
	v_rcp_iflag_f32_e32 v1, v1
	v_mul_f32_e32 v1, 0x4f7ffffe, v1
	v_cvt_u32_f32_e32 v1, v1
	v_readfirstlane_b32 s7, v1
	s_mul_i32 s3, s3, s7
	s_mul_hi_u32 s3, s7, s3
	s_add_i32 s7, s7, s3
	s_mul_hi_u32 s3, s2, s7
	s_mul_i32 s7, s3, s0
	s_sub_i32 s2, s2, s7
	s_add_i32 s10, s3, 1
	s_sub_i32 s7, s2, s0
	s_cmp_ge_u32 s2, s0
	s_cselect_b32 s3, s10, s3
	s_cselect_b32 s2, s7, s2
	s_add_i32 s7, s3, 1
	s_cmp_ge_u32 s2, s0
	s_cselect_b32 s0, s7, s3
	s_xor_b32 s0, s0, s1
	s_sub_i32 s11, s0, s1
	s_abs_i32 s2, s11
	v_cvt_f32_u32_e32 v1, s2
	s_load_dwordx2 s[0:1], s[4:5], 0x50
	s_sub_i32 s7, 0, s2
	s_abs_i32 s3, s6
	v_rcp_iflag_f32_e32 v1, v1
	v_mul_f32_e32 v1, 0x4f7ffffe, v1
	v_cvt_u32_f32_e32 v1, v1
	v_readfirstlane_b32 s10, v1
	s_mul_i32 s7, s7, s10
	s_mul_hi_u32 s7, s10, s7
	s_add_i32 s10, s10, s7
	s_waitcnt lgkmcnt(0)
	s_cmp_eq_u64 s[0:1], 0
	s_mul_hi_u32 s10, s3, s10
	s_cbranch_scc1 .LBB110_3
; %bb.2:
	s_ashr_i32 s7, s6, 31
	s_lshl_b64 s[12:13], s[6:7], 2
	s_add_u32 s0, s0, s12
	s_addc_u32 s1, s1, s13
	s_load_dword s50, s[0:1], 0x0
.LBB110_3:
	s_load_dwordx4 s[12:15], s[4:5], 0x58
	s_ashr_i32 s7, s6, 31
	s_ashr_i32 s11, s11, 31
	v_and_b32_e32 v2, 1, v0
	s_waitcnt lgkmcnt(0)
	s_movk_i32 s15, 0x50
	s_mul_i32 s24, s6, 0x50
	v_cmp_gt_u32_e32 vcc, 20, v0
	v_lshlrev_b32_e32 v18, 3, v0
	s_and_saveexec_b64 s[0:1], vcc
	s_cbranch_execz .LBB110_5
; %bb.4:
	s_load_dwordx2 s[16:17], s[4:5], 0x18
	s_mul_i32 s18, s28, s12
	s_ashr_i32 s19, s18, 31
	s_lshl_b64 s[18:19], s[18:19], 1
	v_lshlrev_b32_e32 v1, 2, v0
	s_waitcnt lgkmcnt(0)
	s_add_u32 s12, s16, s18
	s_addc_u32 s18, s17, s19
	s_ashr_i32 s25, s24, 31
	s_lshl_b64 s[16:17], s[24:25], 1
	s_add_u32 s16, s12, s16
	s_addc_u32 s17, s18, s17
	global_load_dwordx2 v[4:5], v18, s[16:17]
	v_and_b32_e32 v1, 0xff8, v1
	v_mad_u32_u24 v1, v2, s15, v1
	s_waitcnt vmcnt(0)
	ds_write_b64 v1, v[4:5]
.LBB110_5:
	s_or_b64 exec, exec, s[0:1]
	s_mul_i32 s1, s10, s2
	s_sub_i32 s1, s3, s1
	s_xor_b32 s0, s7, s11
	s_add_i32 s3, s10, 1
	s_sub_i32 s7, s1, s2
	s_load_dwordx4 s[16:19], s[4:5], 0x78
	s_cmp_ge_u32 s1, s2
	s_cselect_b32 s3, s3, s10
	s_load_dword s10, s[4:5], 0x88
	s_cselect_b32 s1, s7, s1
	s_add_i32 s7, s3, 1
	s_cmp_ge_u32 s1, s2
	s_cselect_b32 s1, s7, s3
	s_waitcnt lgkmcnt(0)
	s_abs_i32 s25, s19
	v_cvt_f32_u32_e32 v1, s25
	s_xor_b32 s1, s1, s0
	s_sub_i32 s2, s1, s0
	s_sub_i32 s0, 0, s25
	v_rcp_iflag_f32_e32 v1, v1
	s_add_i32 s11, s29, -1
	s_abs_i32 s3, s11
	v_mul_f32_e32 v1, 0x4f7ffffe, v1
	v_cvt_u32_f32_e32 v1, v1
	s_barrier
	v_readfirstlane_b32 s33, v1
	s_mul_i32 s0, s0, s33
	s_mul_hi_u32 s0, s33, s0
	s_add_i32 s33, s33, s0
	s_cmp_lt_i32 s10, 0
	s_mul_hi_u32 s7, s3, s33
	s_cbranch_scc0 .LBB110_7
; %bb.6:
	s_mul_i32 s0, s16, s38
	s_add_i32 s0, s2, s0
	s_mul_i32 s0, s0, s10
	s_sub_i32 s46, 1, s0
	s_mov_b64 s[0:1], 0
	s_branch .LBB110_8
.LBB110_7:
	s_mov_b64 s[0:1], -1
                                        ; implicit-def: $sgpr46
.LBB110_8:
	s_load_dwordx2 s[30:31], s[4:5], 0x38
	s_ashr_i32 s11, s11, 31
	s_andn2_b64 vcc, exec, s[0:1]
	s_ashr_i32 s47, s19, 31
	s_cbranch_vccnz .LBB110_10
; %bb.9:
	s_mul_i32 s0, s9, s16
	s_add_i32 s0, s0, s6
	s_mul_i32 s0, s0, s10
	s_add_i32 s46, s0, 1
.LBB110_10:
	s_load_dword s0, s[4:5], 0x48
	s_load_dwordx2 s[36:37], s[4:5], 0x28
	s_load_dword s19, s[4:5], 0x98
	s_load_dwordx4 s[20:23], s[4:5], 0x0
	s_load_dwordx2 s[26:27], s[4:5], 0x10
	s_mul_i32 s1, s7, s25
	s_waitcnt lgkmcnt(0)
	s_mul_i32 s34, s28, s0
	s_sub_i32 s1, s3, s1
	s_ashr_i32 s35, s34, 31
	s_xor_b32 s0, s11, s47
	s_add_i32 s3, s7, 1
	s_sub_i32 s10, s1, s25
	s_cmp_ge_u32 s1, s25
	s_cselect_b32 s3, s3, s7
	s_cselect_b32 s1, s10, s1
	s_add_i32 s7, s3, 1
	s_cmp_ge_u32 s1, s25
	s_cselect_b32 s1, s7, s3
	s_xor_b32 s1, s1, s0
	s_sub_i32 s16, s1, s0
	s_add_i32 s0, s29, 31
	s_ashr_i32 s1, s0, 31
	s_lshr_b32 s1, s1, 27
	s_add_i32 s0, s0, s1
	s_lshl_b32 s12, s8, 4
	s_ashr_i32 s7, s0, 5
	s_add_i32 s0, s12, 16
	v_lshrrev_b32_e32 v19, 6, v0
	s_min_i32 s48, s0, s7
	v_or_b32_e32 v12, s12, v19
	v_cmp_gt_i32_e64 s[0:1], s48, v12
	v_mov_b32_e32 v25, 0xff7fffff
	s_mul_i32 s14, s2, s14
	v_ashrrev_i32_e32 v13, 31, v12
	v_lshl_add_u32 v1, v19, 5, s49
	v_mbcnt_lo_u32_b32 v20, -1, 0
	s_and_saveexec_b64 s[40:41], s[0:1]
	s_cbranch_execz .LBB110_20
; %bb.11:
	s_load_dwordx2 s[4:5], s[4:5], 0x20
	s_ashr_i32 s15, s14, 31
	s_sub_i32 s38, s16, s17
	s_lshl_b64 s[10:11], s[14:15], 1
	v_bfe_u32 v21, v0, 1, 5
	s_waitcnt lgkmcnt(0)
	s_add_u32 s4, s4, s10
	s_addc_u32 s5, s5, s11
	s_abs_i32 s15, s18
	v_cvt_f32_u32_e32 v5, s15
	v_lshlrev_b32_e32 v3, 4, v21
	v_mov_b32_e32 v4, s5
	v_add_co_u32_e32 v3, vcc, s4, v3
	v_rcp_iflag_f32_e32 v5, v5
	v_addc_co_u32_e32 v4, vcc, 0, v4, vcc
	v_and_b32_e32 v6, 8, v18
	v_add_co_u32_e32 v22, vcc, v3, v6
	v_mul_f32_e32 v3, 0x4f7ffffe, v5
	v_cvt_u32_f32_e32 v3, v3
	s_sub_i32 s10, 0, s15
	v_cmp_eq_u32_e64 s[2:3], 0, v2
	v_mul_u32_u24_e32 v24, 0x50, v2
	v_mul_lo_u32 v2, s10, v3
	s_lshl_b64 s[10:11], s[34:35], 2
	v_mul_hi_u32 v2, v3, v2
	s_add_u32 s10, s30, s10
	v_addc_co_u32_e32 v23, vcc, 0, v4, vcc
	v_add_u32_e32 v26, v3, v2
	v_lshlrev_b64 v[2:3], 2, v[12:13]
	s_addc_u32 s11, s31, s11
	v_mov_b32_e32 v4, s11
	v_add_co_u32_e32 v2, vcc, s10, v2
	v_addc_co_u32_e32 v3, vcc, v4, v3, vcc
	v_lshlrev_b32_e32 v4, 2, v21
	v_lshl_or_b32 v4, v19, 7, v4
	v_add_u32_e32 v28, 0xb0, v4
	v_subrev_u32_e32 v4, s29, v21
	v_mbcnt_hi_u32_b32 v30, -1, v20
	v_add_u32_e32 v29, 1, v4
	v_and_b32_e32 v4, 64, v30
	s_mov_b32 s51, s13
	v_cmp_neq_f32_e64 s[4:5], s50, 0
	v_lshl_add_u32 v27, v19, 5, s49
	s_mov_b64 s[42:43], 0
	s_movk_i32 s52, 0x1000
	v_xor_b32_e32 v31, 1, v30
	v_add_u32_e32 v32, 64, v4
	v_mov_b32_e32 v25, 0xff7fffff
	v_mov_b32_e32 v33, v12
	s_branch .LBB110_14
.LBB110_12:                             ;   in Loop: Header=BB110_14 Depth=1
	s_or_b64 exec, exec, s[44:45]
.LBB110_13:                             ;   in Loop: Header=BB110_14 Depth=1
	s_or_b64 exec, exec, s[10:11]
	v_add_co_u32_e32 v2, vcc, 8, v2
	v_add_u32_e32 v33, 2, v33
	v_addc_co_u32_e32 v3, vcc, 0, v3, vcc
	v_cmp_le_i32_e32 vcc, s48, v33
	v_add_u32_e32 v27, 64, v27
	s_or_b64 s[42:43], vcc, s[42:43]
	v_add_u32_e32 v28, 0x100, v28
	s_andn2_b64 exec, exec, s[42:43]
	s_cbranch_execz .LBB110_19
.LBB110_14:                             ; =>This Inner Loop Header: Depth=1
	s_waitcnt lgkmcnt(0)
	v_sub_u32_e32 v5, 0, v27
	v_max_i32_e32 v5, v27, v5
	v_mul_hi_u32 v6, v5, s33
	v_mul_lo_u32 v7, v6, s25
	v_sub_u32_e32 v5, v5, v7
	v_add_u32_e32 v7, 1, v6
	v_cmp_le_u32_e32 vcc, s25, v5
	v_cndmask_b32_e32 v6, v6, v7, vcc
	v_subrev_u32_e32 v7, s25, v5
	v_cndmask_b32_e32 v5, v5, v7, vcc
	v_ashrrev_i32_e32 v4, 31, v27
	v_add_u32_e32 v7, 1, v6
	v_cmp_le_u32_e32 vcc, s25, v5
	v_xor_b32_e32 v4, s47, v4
	v_cndmask_b32_e32 v5, v6, v7, vcc
	v_xor_b32_e32 v5, v5, v4
	v_sub_u32_e32 v4, v5, v4
	v_add_u32_e32 v5, s46, v4
	v_sub_u32_e32 v7, 0, v5
	v_ashrrev_i32_e32 v6, 31, v5
	v_max_i32_e32 v5, v5, v7
	v_mul_hi_u32 v7, v5, v26
	v_mul_lo_u32 v7, v7, s15
	v_sub_u32_e32 v5, v5, v7
	v_subrev_u32_e32 v7, s15, v5
	v_cmp_le_u32_e32 vcc, s15, v5
	v_cndmask_b32_e32 v5, v5, v7, vcc
	v_subrev_u32_e32 v7, s15, v5
	v_cmp_le_u32_e32 vcc, s15, v5
	v_cndmask_b32_e32 v5, v5, v7, vcc
	v_xor_b32_e32 v5, v5, v6
	v_sub_u32_e32 v5, v5, v6
	v_cmp_ne_u32_e32 vcc, 0, v5
	v_cmp_ge_i32_e64 s[10:11], s38, v4
	s_and_b64 s[10:11], vcc, s[10:11]
	s_and_b64 s[54:55], s[2:3], s[10:11]
	s_and_saveexec_b64 s[44:45], s[54:55]
	s_cbranch_execz .LBB110_16
; %bb.15:                               ;   in Loop: Header=BB110_14 Depth=1
	v_mov_b32_e32 v4, 0xff7fffff
	ds_write_b32 v28, v4
.LBB110_16:                             ;   in Loop: Header=BB110_14 Depth=1
	s_or_b64 exec, exec, s[44:45]
	s_xor_b64 s[44:45], s[10:11], -1
	s_and_saveexec_b64 s[10:11], s[44:45]
	s_cbranch_execz .LBB110_13
; %bb.17:                               ;   in Loop: Header=BB110_14 Depth=1
	global_load_dword v4, v[2:3], off
	s_waitcnt vmcnt(0)
	v_mad_i64_i32 v[4:5], s[44:45], v4, s51, 0
	v_lshlrev_b64 v[4:5], 1, v[4:5]
	v_add_co_u32_e32 v4, vcc, v22, v4
	v_addc_co_u32_e32 v5, vcc, v23, v5, vcc
	global_load_dwordx2 v[34:35], v[4:5], off
	global_load_dwordx2 v[36:37], v[4:5], off offset:512
	global_load_dwordx2 v[38:39], v[4:5], off offset:1024
	;; [unrolled: 1-line block ×7, first 2 shown]
	v_add_co_u32_e32 v4, vcc, s52, v4
	v_addc_co_u32_e32 v5, vcc, 0, v5, vcc
	global_load_dwordx2 v[6:7], v[4:5], off
	s_nop 0
	global_load_dwordx2 v[4:5], v[4:5], off offset:512
	ds_read_b64 v[42:43], v24
	v_cmp_lt_i32_e32 vcc, v31, v32
	s_waitcnt lgkmcnt(0)
	v_lshrrev_b32_e32 v44, 16, v42
	v_and_b32_e32 v42, 0xffff, v42
	v_lshrrev_b32_e32 v45, 16, v43
	v_and_b32_e32 v43, 0xffff, v43
	;;#ASMSTART
	v_cvt_f32_f16 v42, v42;
	;;#ASMEND
	;;#ASMSTART
	v_cvt_f32_f16 v44, v44;
	;;#ASMEND
	s_waitcnt vmcnt(9)
	v_lshrrev_b32_e32 v46, 16, v34
	v_and_b32_e32 v34, 0xffff, v34
	v_lshrrev_b32_e32 v47, 16, v35
	v_and_b32_e32 v35, 0xffff, v35
	;;#ASMSTART
	v_cvt_f32_f16 v34, v34;
	;;#ASMEND
	;;#ASMSTART
	v_cvt_f32_f16 v46, v46;
	;;#ASMEND
	;; [unrolled: 3-line block ×3, first 2 shown]
	s_waitcnt vmcnt(2)
	v_lshrrev_b32_e32 v60, 16, v8
	v_and_b32_e32 v61, 0xffff, v8
	v_lshrrev_b32_e32 v62, 16, v9
	v_and_b32_e32 v63, 0xffff, v9
	;;#ASMSTART
	v_cvt_f32_f16 v45, v45;
	;;#ASMEND
	;;#ASMSTART
	v_cvt_f32_f16 v35, v35;
	;;#ASMEND
	;; [unrolled: 3-line block ×3, first 2 shown]
	ds_read_b64 v[8:9], v24 offset:8
	v_lshrrev_b32_e32 v48, 16, v36
	v_and_b32_e32 v36, 0xffff, v36
	v_lshrrev_b32_e32 v49, 16, v37
	v_and_b32_e32 v37, 0xffff, v37
	s_waitcnt vmcnt(1)
	v_lshrrev_b32_e32 v64, 16, v6
	v_and_b32_e32 v65, 0xffff, v6
	v_lshrrev_b32_e32 v66, 16, v7
	v_and_b32_e32 v67, 0xffff, v7
	s_waitcnt lgkmcnt(0)
	v_lshrrev_b32_e32 v6, 16, v8
	v_and_b32_e32 v7, 0xffff, v8
	v_lshrrev_b32_e32 v8, 16, v9
	v_and_b32_e32 v9, 0xffff, v9
	;;#ASMSTART
	v_cvt_f32_f16 v69, v7;
	;;#ASMEND
	;;#ASMSTART
	v_cvt_f32_f16 v70, v6;
	;;#ASMEND
	;; [unrolled: 3-line block ×8, first 2 shown]
	ds_read_b64 v[6:7], v24 offset:16
	v_mul_f32_e32 v36, v69, v36
	v_mul_f32_e32 v9, v9, v37
	v_lshrrev_b32_e32 v50, 16, v38
	v_and_b32_e32 v38, 0xffff, v38
	v_lshrrev_b32_e32 v51, 16, v39
	v_and_b32_e32 v39, 0xffff, v39
	v_mul_f32_e32 v48, v70, v48
	v_fmac_f32_e32 v36, v42, v34
	v_fmac_f32_e32 v9, v43, v35
	s_waitcnt lgkmcnt(0)
	v_lshrrev_b32_e32 v34, 16, v6
	v_and_b32_e32 v6, 0xffff, v6
	v_lshrrev_b32_e32 v35, 16, v7
	v_and_b32_e32 v7, 0xffff, v7
	v_fmac_f32_e32 v48, v44, v46
	;;#ASMSTART
	v_cvt_f32_f16 v37, v6;
	;;#ASMEND
	;;#ASMSTART
	v_cvt_f32_f16 v34, v34;
	;;#ASMEND
	;;#ASMSTART
	v_cvt_f32_f16 v38, v38;
	;;#ASMEND
	;;#ASMSTART
	v_cvt_f32_f16 v42, v50;
	;;#ASMEND
	;;#ASMSTART
	v_cvt_f32_f16 v43, v7;
	;;#ASMEND
	;;#ASMSTART
	v_cvt_f32_f16 v35, v35;
	;;#ASMEND
	;;#ASMSTART
	v_cvt_f32_f16 v39, v39;
	;;#ASMEND
	;;#ASMSTART
	v_cvt_f32_f16 v44, v51;
	;;#ASMEND
	ds_read_b64 v[6:7], v24 offset:24
	v_mul_f32_e32 v8, v8, v49
	v_fmac_f32_e32 v8, v45, v47
	v_lshrrev_b32_e32 v52, 16, v40
	v_and_b32_e32 v40, 0xffff, v40
	v_lshrrev_b32_e32 v53, 16, v41
	v_and_b32_e32 v41, 0xffff, v41
	v_fmac_f32_e32 v48, v34, v42
	v_fmac_f32_e32 v8, v35, v44
	s_waitcnt lgkmcnt(0)
	v_lshrrev_b32_e32 v34, 16, v6
	v_and_b32_e32 v6, 0xffff, v6
	v_lshrrev_b32_e32 v35, 16, v7
	v_and_b32_e32 v7, 0xffff, v7
	v_fmac_f32_e32 v36, v37, v38
	v_fmac_f32_e32 v9, v43, v39
	;;#ASMSTART
	v_cvt_f32_f16 v37, v6;
	;;#ASMEND
	;;#ASMSTART
	v_cvt_f32_f16 v34, v34;
	;;#ASMEND
	;;#ASMSTART
	v_cvt_f32_f16 v38, v40;
	;;#ASMEND
	;;#ASMSTART
	v_cvt_f32_f16 v39, v52;
	;;#ASMEND
	;;#ASMSTART
	v_cvt_f32_f16 v40, v7;
	;;#ASMEND
	;;#ASMSTART
	v_cvt_f32_f16 v35, v35;
	;;#ASMEND
	;;#ASMSTART
	v_cvt_f32_f16 v41, v41;
	;;#ASMEND
	;;#ASMSTART
	v_cvt_f32_f16 v42, v53;
	;;#ASMEND
	ds_read_b64 v[6:7], v24 offset:32
	v_lshrrev_b32_e32 v54, 16, v16
	v_and_b32_e32 v16, 0xffff, v16
	v_lshrrev_b32_e32 v55, 16, v17
	v_and_b32_e32 v17, 0xffff, v17
	v_fmac_f32_e32 v48, v34, v39
	v_fmac_f32_e32 v8, v35, v42
	s_waitcnt lgkmcnt(0)
	v_lshrrev_b32_e32 v34, 16, v6
	v_and_b32_e32 v6, 0xffff, v6
	v_lshrrev_b32_e32 v35, 16, v7
	v_and_b32_e32 v7, 0xffff, v7
	v_fmac_f32_e32 v36, v37, v38
	v_fmac_f32_e32 v9, v40, v41
	;;#ASMSTART
	v_cvt_f32_f16 v37, v6;
	;;#ASMEND
	;;#ASMSTART
	v_cvt_f32_f16 v34, v34;
	;;#ASMEND
	;;#ASMSTART
	v_cvt_f32_f16 v16, v16;
	;;#ASMEND
	;;#ASMSTART
	v_cvt_f32_f16 v38, v54;
	;;#ASMEND
	;;#ASMSTART
	v_cvt_f32_f16 v39, v7;
	;;#ASMEND
	;;#ASMSTART
	v_cvt_f32_f16 v35, v35;
	;;#ASMEND
	;;#ASMSTART
	v_cvt_f32_f16 v17, v17;
	;;#ASMEND
	;;#ASMSTART
	v_cvt_f32_f16 v40, v55;
	;;#ASMEND
	ds_read_b64 v[6:7], v24 offset:40
	;; [unrolled: 38-line block ×4, first 2 shown]
	v_fmac_f32_e32 v36, v16, v10
	v_fmac_f32_e32 v9, v34, v11
	;; [unrolled: 1-line block ×4, first 2 shown]
	s_waitcnt lgkmcnt(0)
	v_lshrrev_b32_e32 v10, 16, v6
	v_and_b32_e32 v6, 0xffff, v6
	v_lshrrev_b32_e32 v11, 16, v7
	v_and_b32_e32 v7, 0xffff, v7
	;;#ASMSTART
	v_cvt_f32_f16 v14, v6;
	;;#ASMEND
	;;#ASMSTART
	v_cvt_f32_f16 v10, v10;
	;;#ASMEND
	;; [unrolled: 3-line block ×8, first 2 shown]
	ds_read_b64 v[6:7], v24 offset:64
	v_fmac_f32_e32 v48, v10, v16
	v_fmac_f32_e32 v8, v11, v35
	;; [unrolled: 1-line block ×4, first 2 shown]
	s_waitcnt lgkmcnt(0)
	v_lshrrev_b32_e32 v10, 16, v6
	v_and_b32_e32 v6, 0xffff, v6
	v_lshrrev_b32_e32 v11, 16, v7
	v_and_b32_e32 v7, 0xffff, v7
	;;#ASMSTART
	v_cvt_f32_f16 v14, v6;
	;;#ASMEND
	;;#ASMSTART
	v_cvt_f32_f16 v10, v10;
	;;#ASMEND
	;; [unrolled: 3-line block ×8, first 2 shown]
	ds_read_b64 v[6:7], v24 offset:72
	s_waitcnt vmcnt(0)
	v_lshrrev_b32_e32 v68, 16, v4
	v_and_b32_e32 v4, 0xffff, v4
	v_fmac_f32_e32 v48, v10, v16
	v_fmac_f32_e32 v36, v14, v15
	s_waitcnt lgkmcnt(0)
	v_lshrrev_b32_e32 v10, 16, v6
	v_and_b32_e32 v6, 0xffff, v6
	;;#ASMSTART
	v_cvt_f32_f16 v6, v6;
	;;#ASMEND
	;;#ASMSTART
	v_cvt_f32_f16 v10, v10;
	;;#ASMEND
	;; [unrolled: 3-line block ×3, first 2 shown]
	v_fmac_f32_e32 v36, v6, v4
	v_lshrrev_b32_e32 v4, 16, v7
	v_and_b32_e32 v6, 0xffff, v7
	v_fmac_f32_e32 v9, v17, v34
	v_fmac_f32_e32 v8, v11, v35
	;;#ASMSTART
	v_cvt_f32_f16 v11, v68;
	;;#ASMEND
	v_fmac_f32_e32 v48, v10, v11
	;;#ASMSTART
	v_cvt_f32_f16 v6, v6;
	;;#ASMEND
	;;#ASMSTART
	v_cvt_f32_f16 v4, v4;
	;;#ASMEND
	v_lshrrev_b32_e32 v7, 16, v5
	v_and_b32_e32 v5, 0xffff, v5
	;;#ASMSTART
	v_cvt_f32_f16 v5, v5;
	;;#ASMEND
	;;#ASMSTART
	v_cvt_f32_f16 v7, v7;
	;;#ASMEND
	v_fmac_f32_e32 v9, v6, v5
	v_fmac_f32_e32 v8, v4, v7
	v_add_f32_e32 v4, v36, v48
	v_add_f32_e32 v4, v4, v9
	v_cndmask_b32_e32 v5, v30, v31, vcc
	v_add_f32_e32 v4, v8, v4
	v_lshlrev_b32_e32 v5, 2, v5
	ds_bpermute_b32 v5, v5, v4
	s_and_saveexec_b64 s[44:45], s[2:3]
	s_cbranch_execz .LBB110_12
; %bb.18:                               ;   in Loop: Header=BB110_14 Depth=1
	v_add_u32_e32 v6, v29, v27
	v_cvt_f32_i32_e32 v6, v6
	s_waitcnt lgkmcnt(0)
	v_add_f32_e32 v4, v4, v5
	v_add_u32_e32 v7, v21, v27
	v_cmp_gt_i32_e32 vcc, s29, v7
	v_mul_f32_e32 v5, s50, v6
	v_cndmask_b32_e64 v5, 0, v5, s[4:5]
	v_fmac_f32_e32 v5, s39, v4
	v_cndmask_b32_e32 v4, 0, v5, vcc
	ds_write_b32 v28, v4
	v_max_f32_e32 v4, v25, v25
	v_max_f32_e32 v4, v4, v5
	v_cndmask_b32_e32 v25, v25, v4, vcc
	s_branch .LBB110_12
.LBB110_19:
	s_or_b64 exec, exec, s[42:43]
.LBB110_20:
	s_or_b64 exec, exec, s[40:41]
	v_mbcnt_hi_u32_b32 v4, -1, v20
	v_and_b32_e32 v2, 64, v4
	v_add_u32_e32 v10, 64, v2
	v_xor_b32_e32 v2, 32, v4
	v_cmp_lt_i32_e32 vcc, v2, v10
	v_cndmask_b32_e32 v2, v4, v2, vcc
	v_lshlrev_b32_e32 v2, 2, v2
	ds_bpermute_b32 v3, v2, v25
	v_xor_b32_e32 v6, 16, v4
	s_waitcnt lgkmcnt(1)
	v_max_f32_e32 v5, v25, v25
	v_cmp_lt_i32_e32 vcc, v6, v10
	v_xor_b32_e32 v7, 8, v4
	s_waitcnt lgkmcnt(0)
	v_max_f32_e32 v3, v3, v3
	v_max_f32_e32 v5, v5, v3
	v_cndmask_b32_e32 v3, v4, v6, vcc
	v_lshlrev_b32_e32 v3, 2, v3
	ds_bpermute_b32 v6, v3, v5
	v_cmp_lt_i32_e32 vcc, v7, v10
	v_xor_b32_e32 v8, 4, v4
	v_xor_b32_e32 v11, 2, v4
	v_and_b32_e32 v20, 63, v0
	s_waitcnt lgkmcnt(0)
	v_max_f32_e32 v6, v6, v6
	v_max_f32_e32 v6, v5, v6
	v_cndmask_b32_e32 v5, v4, v7, vcc
	v_lshlrev_b32_e32 v5, 2, v5
	ds_bpermute_b32 v7, v5, v6
	v_cmp_lt_i32_e32 vcc, v8, v10
	s_waitcnt lgkmcnt(0)
	v_max_f32_e32 v7, v7, v7
	v_max_f32_e32 v7, v6, v7
	v_cndmask_b32_e32 v6, v4, v8, vcc
	v_lshlrev_b32_e32 v6, 2, v6
	ds_bpermute_b32 v8, v6, v7
	v_cmp_lt_i32_e32 vcc, v11, v10
	s_waitcnt lgkmcnt(0)
	v_max_f32_e32 v8, v8, v8
	v_max_f32_e32 v9, v7, v8
	v_cndmask_b32_e32 v7, v4, v11, vcc
	v_lshlrev_b32_e32 v7, 2, v7
	ds_bpermute_b32 v11, v7, v9
	v_cmp_eq_u32_e32 vcc, 0, v20
	v_lshlrev_b32_e32 v8, 2, v19
	s_and_saveexec_b64 s[2:3], vcc
	s_cbranch_execz .LBB110_22
; %bb.21:
	s_waitcnt lgkmcnt(0)
	v_max_f32_e32 v11, v11, v11
	v_max_f32_e32 v9, v9, v9
	;; [unrolled: 1-line block ×3, first 2 shown]
	ds_write_b32 v8, v9 offset:160
.LBB110_22:
	s_or_b64 exec, exec, s[2:3]
	v_cmp_gt_u32_e64 s[2:3], 2, v20
	s_waitcnt lgkmcnt(0)
	v_mov_b32_e32 v11, 0xff7fffff
	v_lshlrev_b32_e32 v9, 2, v20
	s_barrier
	s_and_saveexec_b64 s[4:5], s[2:3]
	s_cbranch_execz .LBB110_24
; %bb.23:
	ds_read_b32 v11, v9 offset:160
.LBB110_24:
	s_or_b64 exec, exec, s[4:5]
	v_xor_b32_e32 v14, 1, v4
	v_cmp_lt_i32_e64 s[4:5], v14, v10
	v_cndmask_b32_e64 v10, v4, v14, s[4:5]
	v_lshlrev_b32_e32 v21, 2, v10
	s_waitcnt lgkmcnt(0)
	ds_bpermute_b32 v10, v21, v11
	v_max_f32_e32 v11, v11, v11
	v_lshlrev_b32_e32 v4, 2, v4
	s_sub_i32 s4, s48, s12
	s_lshl_b32 s4, s4, 5
	s_waitcnt lgkmcnt(0)
	v_max_f32_e32 v10, v10, v10
	v_max_f32_e32 v11, v11, v10
	v_and_b32_e32 v10, 0x100, v4
	ds_bpermute_b32 v4, v10, v11
	s_add_i32 s4, s4, s49
	s_min_i32 s15, s4, s29
	s_sub_i32 s12, s15, s49
	v_cmp_gt_i32_e64 s[4:5], s12, v0
	v_mov_b32_e32 v11, 0
	s_and_saveexec_b64 s[38:39], s[4:5]
	s_cbranch_execz .LBB110_28
; %bb.25:
	v_mov_b32_e32 v11, 0xb0
	v_lshl_add_u32 v14, v0, 2, v11
	s_mov_b64 s[40:41], 0
	v_mov_b32_e32 v11, 0
	v_mov_b32_e32 v15, v0
.LBB110_26:                             ; =>This Inner Loop Header: Depth=1
	ds_read_b32 v16, v14
	v_add_u32_e32 v15, 0x80, v15
	v_cmp_le_i32_e64 s[10:11], s12, v15
	s_or_b64 s[40:41], s[10:11], s[40:41]
	s_waitcnt lgkmcnt(0)
	v_sub_f32_e32 v16, v16, v4
	v_mul_f32_e32 v16, 0x3fb8aa3b, v16
	v_exp_f32_e32 v16, v16
	ds_write_b32 v14, v16
	v_add_f32_e32 v11, v11, v16
	v_add_u32_e32 v14, 0x200, v14
	s_andn2_b64 exec, exec, s[40:41]
	s_cbranch_execnz .LBB110_26
; %bb.27:
	s_or_b64 exec, exec, s[40:41]
.LBB110_28:
	s_or_b64 exec, exec, s[38:39]
	ds_bpermute_b32 v2, v2, v11
	s_waitcnt lgkmcnt(0)
	v_add_f32_e32 v2, v11, v2
	ds_bpermute_b32 v3, v3, v2
	s_waitcnt lgkmcnt(0)
	v_add_f32_e32 v2, v2, v3
	;; [unrolled: 3-line block ×6, first 2 shown]
	s_and_saveexec_b64 s[10:11], vcc
	s_cbranch_execz .LBB110_30
; %bb.29:
	ds_write_b32 v8, v2 offset:168
.LBB110_30:
	s_or_b64 exec, exec, s[10:11]
	s_waitcnt lgkmcnt(0)
	s_barrier
	s_and_saveexec_b64 s[10:11], s[2:3]
	s_cbranch_execz .LBB110_32
; %bb.31:
	ds_read_b32 v2, v9 offset:168
.LBB110_32:
	s_or_b64 exec, exec, s[10:11]
	s_waitcnt lgkmcnt(0)
	ds_bpermute_b32 v3, v21, v2
	s_waitcnt lgkmcnt(0)
	v_add_f32_e32 v2, v2, v3
	ds_bpermute_b32 v5, v10, v2
	s_and_saveexec_b64 s[2:3], s[4:5]
	s_cbranch_execz .LBB110_45
; %bb.33:
	s_waitcnt lgkmcnt(0)
	v_add_f32_e32 v2, 0x358637bd, v5
	v_div_scale_f32 v3, s[4:5], v2, v2, 1.0
	v_rcp_f32_e32 v6, v3
	v_div_scale_f32 v8, vcc, 1.0, v2, 1.0
	s_movk_i32 s4, 0x7f
	v_fma_f32 v9, -v3, v6, 1.0
	v_fmac_f32_e32 v6, v9, v6
	v_mul_f32_e32 v9, v8, v6
	v_fma_f32 v10, -v3, v9, v8
	v_fmac_f32_e32 v9, v10, v6
	v_fma_f32 v3, -v3, v9, v8
	v_div_fmas_f32 v3, v3, v6, v9
	v_div_fixup_f32 v2, v3, v2, 1.0
	v_xad_u32 v3, v0, -1, s15
	v_subrev_u32_e32 v6, s49, v3
	v_cmp_lt_u32_e32 vcc, s4, v6
	s_mov_b64 s[10:11], -1
	v_mov_b32_e32 v3, v0
	s_and_saveexec_b64 s[4:5], vcc
	s_cbranch_execz .LBB110_42
; %bb.34:
	v_lshrrev_b32_e32 v6, 7, v6
	v_add_u32_e32 v9, -1, v6
	v_lshrrev_b32_e32 v8, 1, v9
	v_mov_b32_e32 v3, v2
	v_add_u32_e32 v8, 1, v8
	v_cmp_lt_u32_e32 vcc, 13, v9
	v_mov_b32_e32 v11, 0
	s_and_saveexec_b64 s[10:11], vcc
	s_cbranch_execz .LBB110_38
; %bb.35:
	v_mov_b32_e32 v10, 0xb0
	v_and_b32_e32 v9, -8, v8
	v_lshl_add_u32 v10, v0, 2, v10
	s_mov_b32 s15, 0
	s_mov_b64 s[38:39], 0
.LBB110_36:                             ; =>This Inner Loop Header: Depth=1
	ds_read2st64_b32 v[14:15], v10 offset1:2
	ds_read2st64_b32 v[16:17], v10 offset0:4 offset1:6
	ds_read2st64_b32 v[22:23], v10 offset0:8 offset1:10
	ds_read2st64_b32 v[24:25], v10 offset0:12 offset1:14
	v_add_u32_e32 v9, -8, v9
	s_waitcnt lgkmcnt(3)
	v_pk_mul_f32 v[14:15], v[2:3], v[14:15]
	s_waitcnt lgkmcnt(2)
	v_pk_mul_f32 v[16:17], v[2:3], v[16:17]
	ds_write2st64_b32 v10, v14, v15 offset1:2
	ds_write2st64_b32 v10, v16, v17 offset0:4 offset1:6
	ds_read2st64_b32 v[16:17], v10 offset0:16 offset1:18
	s_waitcnt lgkmcnt(4)
	v_pk_mul_f32 v[14:15], v[2:3], v[22:23]
	ds_write2st64_b32 v10, v14, v15 offset0:8 offset1:10
	s_waitcnt lgkmcnt(4)
	v_pk_mul_f32 v[14:15], v[2:3], v[24:25]
	ds_write2st64_b32 v10, v14, v15 offset0:12 offset1:14
	ds_read2st64_b32 v[14:15], v10 offset0:20 offset1:22
	s_waitcnt lgkmcnt(3)
	v_pk_mul_f32 v[16:17], v[2:3], v[16:17]
	ds_read2st64_b32 v[22:23], v10 offset0:24 offset1:26
	ds_write2st64_b32 v10, v16, v17 offset0:16 offset1:18
	ds_read2st64_b32 v[16:17], v10 offset0:28 offset1:30
	s_waitcnt lgkmcnt(3)
	v_pk_mul_f32 v[14:15], v[2:3], v[14:15]
	ds_write2st64_b32 v10, v14, v15 offset0:20 offset1:22
	s_waitcnt lgkmcnt(3)
	v_pk_mul_f32 v[14:15], v[2:3], v[22:23]
	ds_write2st64_b32 v10, v14, v15 offset0:24 offset1:26
	s_waitcnt lgkmcnt(2)
	v_pk_mul_f32 v[14:15], v[2:3], v[16:17]
	s_add_i32 s15, s15, 16
	v_cmp_eq_u32_e32 vcc, 0, v9
	ds_write2st64_b32 v10, v14, v15 offset0:28 offset1:30
	v_add_u32_e32 v10, 0x2000, v10
	s_or_b64 s[38:39], vcc, s[38:39]
	v_mov_b32_e32 v11, s15
	s_andn2_b64 exec, exec, s[38:39]
	s_cbranch_execnz .LBB110_36
; %bb.37:
	s_or_b64 exec, exec, s[38:39]
.LBB110_38:
	s_or_b64 exec, exec, s[10:11]
	v_and_b32_e32 v8, 7, v8
	v_cmp_ne_u32_e32 vcc, 0, v8
	s_and_saveexec_b64 s[10:11], vcc
	s_cbranch_execz .LBB110_41
; %bb.39:
	v_lshlrev_b32_e32 v9, 9, v11
	v_lshlrev_b32_e32 v10, 2, v0
	s_movk_i32 s15, 0xb0
	v_add3_u32 v9, v9, v10, s15
	s_mov_b64 s[38:39], 0
.LBB110_40:                             ; =>This Inner Loop Header: Depth=1
	ds_read2st64_b32 v[10:11], v9 offset1:2
	v_add_u32_e32 v8, -1, v8
	v_cmp_eq_u32_e32 vcc, 0, v8
	s_or_b64 s[38:39], vcc, s[38:39]
	s_waitcnt lgkmcnt(0)
	v_pk_mul_f32 v[10:11], v[2:3], v[10:11]
	ds_write2st64_b32 v9, v10, v11 offset1:2
	v_add_u32_e32 v9, 0x400, v9
	s_andn2_b64 exec, exec, s[38:39]
	s_cbranch_execnz .LBB110_40
.LBB110_41:
	s_or_b64 exec, exec, s[10:11]
	v_add_u32_e32 v6, 1, v6
	v_and_b32_e32 v8, 0x3fffffe, v6
	v_cmp_ne_u32_e32 vcc, v6, v8
	v_lshl_add_u32 v3, v8, 7, v0
	s_orn2_b64 s[10:11], vcc, exec
.LBB110_42:
	s_or_b64 exec, exec, s[4:5]
	s_and_b64 exec, exec, s[10:11]
	s_cbranch_execz .LBB110_45
; %bb.43:
	v_mov_b32_e32 v6, 0xb0
	v_lshl_add_u32 v6, v3, 2, v6
	s_mov_b64 s[4:5], 0
.LBB110_44:                             ; =>This Inner Loop Header: Depth=1
	ds_read_b32 v8, v6
	v_add_u32_e32 v3, 0x80, v3
	v_cmp_le_i32_e32 vcc, s12, v3
	s_or_b64 s[4:5], vcc, s[4:5]
	s_waitcnt lgkmcnt(0)
	v_mul_f32_e32 v8, v2, v8
	ds_write_b32 v6, v8
	v_add_u32_e32 v6, 0x200, v6
	s_andn2_b64 exec, exec, s[4:5]
	s_cbranch_execnz .LBB110_44
.LBB110_45:
	s_or_b64 exec, exec, s[2:3]
	s_mul_i32 s2, s19, s28
	v_cmp_eq_u32_e32 vcc, 0, v0
	s_mul_i32 s2, s2, s9
	s_waitcnt lgkmcnt(0)
	s_barrier
	s_and_saveexec_b64 s[4:5], vcc
	s_cbranch_execz .LBB110_47
; %bb.46:
	s_ashr_i32 s3, s2, 31
	s_lshl_b64 s[10:11], s[2:3], 2
	s_add_u32 s3, s22, s10
	s_mul_i32 s22, s19, s6
	s_addc_u32 s9, s23, s11
	s_ashr_i32 s23, s22, 31
	s_lshl_b64 s[22:23], s[22:23], 2
	s_add_u32 s3, s3, s22
	s_addc_u32 s6, s9, s23
	s_ashr_i32 s9, s8, 31
	s_lshl_b64 s[38:39], s[8:9], 2
	s_add_u32 s40, s3, s38
	s_addc_u32 s41, s6, s39
	s_add_u32 s3, s20, s10
	s_addc_u32 s6, s21, s11
	;; [unrolled: 2-line block ×3, first 2 shown]
	s_add_u32 s10, s3, s38
	v_mov_b32_e32 v2, 0
	s_addc_u32 s11, s6, s39
	global_store_dword v2, v4, s[40:41]
	global_store_dword v2, v5, s[10:11]
.LBB110_47:
	s_or_b64 exec, exec, s[4:5]
	s_mov_b32 s12, 0
	v_mov_b32_e32 v6, 0
	v_and_b32_e32 v22, 3, v0
	v_mov_b32_e32 v5, 0
	v_mov_b32_e32 v4, 0
	;; [unrolled: 1-line block ×4, first 2 shown]
	s_and_saveexec_b64 s[4:5], s[0:1]
	s_cbranch_execz .LBB110_63
; %bb.48:
	s_ashr_i32 s15, s14, 31
	s_sub_i32 s3, s16, s17
	s_lshl_b64 s[0:1], s[14:15], 1
	s_add_u32 s17, s36, s0
	s_addc_u32 s20, s37, s1
	s_abs_i32 s18, s18
	v_cvt_f32_u32_e32 v2, s18
	s_sub_i32 s0, 0, s18
	s_add_i32 s21, s7, -1
	v_and_b32_e32 v23, 24, v18
	v_rcp_iflag_f32_e32 v2, v2
	v_and_b32_e32 v8, 0x1f8, v18
	s_mov_b32 s9, s13
	v_or_b32_e32 v10, 0x800, v8
	v_mul_f32_e32 v2, 0x4f7ffffe, v2
	v_cvt_u32_f32_e32 v2, v2
	s_mov_b32 s13, s12
	s_mov_b32 s14, s12
	;; [unrolled: 1-line block ×3, first 2 shown]
	v_mul_lo_u32 v3, s0, v2
	v_mul_hi_u32 v3, v2, v3
	s_lshl_b64 s[0:1], s[34:35], 2
	v_add_u32_e32 v18, v2, v3
	v_lshlrev_b64 v[2:3], 2, v[12:13]
	s_add_u32 s0, s30, s0
	s_addc_u32 s1, s31, s1
	v_add_co_u32_e32 v14, vcc, s0, v2
	v_lshlrev_b32_e32 v2, 5, v22
	v_mov_b32_e32 v4, s1
	v_lshl_or_b32 v2, v19, 7, v2
	v_addc_co_u32_e32 v15, vcc, v4, v3, vcc
	v_add_u32_e32 v13, 0xb0, v2
	s_mov_b32 s16, s12
	v_mov_b32_e32 v2, s12
	s_mov_b32 s22, s29
	s_mov_b32 s23, s29
	;; [unrolled: 1-line block ×7, first 2 shown]
	s_mov_b64 s[6:7], 0
	v_mov_b32_e32 v3, s13
	v_mov_b32_e32 v4, s14
	;; [unrolled: 1-line block ×4, first 2 shown]
	v_lshlrev_b32_e32 v19, 1, v8
	s_mov_b32 s14, 0x5040100
	v_lshlrev_b32_e32 v24, 1, v10
	s_branch .LBB110_51
.LBB110_49:                             ;   in Loop: Header=BB110_51 Depth=1
	s_or_b64 exec, exec, s[0:1]
	s_waitcnt vmcnt(0)
	;;#ASMSTART
	v_pk_mul_f16 v8, v38, v8;

	;;#ASMEND
	;;#ASMSTART
	v_pk_mul_f16 v9, v37, v9;

	;;#ASMEND
	;; [unrolled: 4-line block ×4, first 2 shown]
	;;#ASMSTART
	v_pk_add_f16 v8, v8, v9;

	;;#ASMEND
	;;#ASMSTART
	v_pk_add_f16 v8, v8, v10;

	;;#ASMEND
	;; [unrolled: 4-line block ×3, first 2 shown]
	v_add_f32_e32 v25, v39, v40
	v_lshrrev_b32_e32 v9, 16, v8
	v_and_b32_e32 v8, 0xffff, v8
	v_add_f32_e32 v2, v2, v25
	v_add_f32_e32 v25, v41, v42
	;;#ASMSTART
	v_cvt_f32_f16 v8, v8;
	;;#ASMEND
	v_add_f32_e32 v3, v3, v25
	v_add_f32_e32 v25, v43, v44
	;; [unrolled: 1-line block ×3, first 2 shown]
	;;#ASMSTART
	v_cvt_f32_f16 v9, v9;
	;;#ASMEND
	v_add_f32_e32 v8, v8, v9
	v_add_f32_e32 v4, v4, v25
	v_add_f32_e32 v5, v5, v16
	v_add_f32_e32 v6, v6, v8
.LBB110_50:                             ;   in Loop: Header=BB110_51 Depth=1
	s_or_b64 exec, exec, s[10:11]
	v_add_co_u32_e32 v14, vcc, 8, v14
	v_add_u32_e32 v12, 2, v12
	v_addc_co_u32_e32 v15, vcc, 0, v15, vcc
	v_cmp_le_i32_e32 vcc, s48, v12
	v_add_u32_e32 v1, 64, v1
	s_or_b64 s[6:7], vcc, s[6:7]
	v_add_u32_e32 v13, 0x100, v13
	s_andn2_b64 exec, exec, s[6:7]
	s_cbranch_execz .LBB110_62
.LBB110_51:                             ; =>This Inner Loop Header: Depth=1
	v_sub_u32_e32 v9, 0, v1
	v_max_i32_e32 v9, v1, v9
	v_mul_hi_u32 v10, v9, s33
	v_mul_lo_u32 v11, v10, s25
	v_sub_u32_e32 v9, v9, v11
	v_add_u32_e32 v11, 1, v10
	v_cmp_le_u32_e32 vcc, s25, v9
	v_cndmask_b32_e32 v10, v10, v11, vcc
	v_subrev_u32_e32 v11, s25, v9
	v_cndmask_b32_e32 v9, v9, v11, vcc
	v_ashrrev_i32_e32 v8, 31, v1
	v_add_u32_e32 v11, 1, v10
	v_cmp_le_u32_e32 vcc, s25, v9
	v_xor_b32_e32 v8, s47, v8
	v_cndmask_b32_e32 v9, v10, v11, vcc
	v_xor_b32_e32 v9, v9, v8
	v_sub_u32_e32 v8, v9, v8
	v_add_u32_e32 v9, s46, v8
	v_sub_u32_e32 v11, 0, v9
	v_ashrrev_i32_e32 v10, 31, v9
	v_max_i32_e32 v9, v9, v11
	v_mul_hi_u32 v11, v9, v18
	v_mul_lo_u32 v11, v11, s18
	v_sub_u32_e32 v9, v9, v11
	v_subrev_u32_e32 v11, s18, v9
	v_cmp_le_u32_e32 vcc, s18, v9
	v_cndmask_b32_e32 v9, v9, v11, vcc
	v_subrev_u32_e32 v11, s18, v9
	v_cmp_le_u32_e32 vcc, s18, v9
	v_cndmask_b32_e32 v9, v9, v11, vcc
	v_xor_b32_e32 v9, v9, v10
	v_sub_u32_e32 v9, v9, v10
	v_cmp_eq_u32_e32 vcc, 0, v9
	v_cmp_lt_i32_e64 s[0:1], s3, v8
	s_or_b64 s[0:1], vcc, s[0:1]
	s_and_saveexec_b64 s[10:11], s[0:1]
	s_cbranch_execz .LBB110_50
; %bb.52:                               ;   in Loop: Header=BB110_51 Depth=1
	global_load_dword v16, v[14:15], off
	ds_read2_b64 v[8:11], v13 offset1:1
	ds_read2_b64 v[26:29], v13 offset0:2 offset1:3
	v_mov_b32_e32 v17, s20
	v_add_u32_e32 v25, v23, v1
	s_waitcnt lgkmcnt(1)
	;;#ASMSTART
	v_cvt_f16_f32 v35, v8;

	;;#ASMEND
	;;#ASMSTART
	v_cvt_f16_f32 v36, v9;

	;;#ASMEND
	;; [unrolled: 4-line block ×4, first 2 shown]
	s_waitcnt lgkmcnt(0)
	;;#ASMSTART
	v_cvt_f16_f32 v40, v26;

	;;#ASMEND
	;;#ASMSTART
	v_cvt_f16_f32 v41, v27;

	;;#ASMEND
	;; [unrolled: 4-line block ×4, first 2 shown]
	v_add_u32_e32 v26, 1, v25
	v_or_b32_e32 v28, 3, v25
	v_or_b32_e32 v27, 2, v25
	;; [unrolled: 1-line block ×6, first 2 shown]
	s_waitcnt vmcnt(0)
	v_mad_i64_i32 v[8:9], s[0:1], v16, s9, 0
	v_lshlrev_b64 v[8:9], 1, v[8:9]
	v_add_co_u32_e32 v33, vcc, s17, v8
	v_addc_co_u32_e32 v34, vcc, v17, v9, vcc
	v_add_co_u32_e32 v16, vcc, v33, v19
	v_addc_co_u32_e32 v17, vcc, 0, v34, vcc
	global_load_dwordx4 v[8:11], v[16:17], off
	v_cmp_eq_u32_e32 vcc, s21, v12
	s_and_saveexec_b64 s[12:13], vcc
	s_cbranch_execz .LBB110_54
; %bb.53:                               ;   in Loop: Header=BB110_51 Depth=1
	s_waitcnt vmcnt(0)
	v_lshrrev_b32_e32 v38, 16, v11
	v_cmp_gt_i32_e64 s[0:1], s39, v32
	v_cndmask_b32_e64 v38, 0, v38, s[0:1]
	v_cmp_gt_i32_e64 s[0:1], s38, v31
	v_cndmask_b32_e64 v11, 0, v11, s[0:1]
	v_perm_b32 v11, v38, v11, s14
	v_lshrrev_b32_e32 v38, 16, v10
	v_cmp_gt_i32_e64 s[0:1], s37, v30
	v_cndmask_b32_e64 v38, 0, v38, s[0:1]
	v_cmp_gt_i32_e64 s[0:1], s36, v29
	v_cndmask_b32_e64 v10, 0, v10, s[0:1]
	v_perm_b32 v10, v38, v10, s14
	;; [unrolled: 6-line block ×4, first 2 shown]
.LBB110_54:                             ;   in Loop: Header=BB110_51 Depth=1
	s_or_b64 exec, exec, s[12:13]
	v_and_b32_e32 v35, 0xffff, v35
	v_lshl_or_b32 v38, v36, 16, v35
	v_and_b32_e32 v35, 0xffff, v37
	v_lshl_or_b32 v37, v39, 16, v35
	;; [unrolled: 2-line block ×3, first 2 shown]
	v_and_b32_e32 v35, 0xffff, v42
	s_waitcnt vmcnt(0)
	;;#ASMSTART
	v_pk_mul_f16 v8, v38, v8;

	;;#ASMEND
	v_lshl_or_b32 v35, v43, 16, v35
	;;#ASMSTART
	v_pk_mul_f16 v9, v37, v9;

	;;#ASMEND
	;;#ASMSTART
	v_pk_mul_f16 v10, v36, v10;

	;;#ASMEND
	;; [unrolled: 4-line block ×3, first 2 shown]
	;;#ASMSTART
	v_pk_add_f16 v8, v8, v9;

	;;#ASMEND
	;;#ASMSTART
	v_pk_add_f16 v8, v8, v10;

	;;#ASMEND
	;; [unrolled: 4-line block ×3, first 2 shown]
	v_lshrrev_b32_e32 v9, 16, v8
	v_and_b32_e32 v8, 0xffff, v8
	;;#ASMSTART
	v_cvt_f32_f16 v39, v8;
	;;#ASMEND
	;;#ASMSTART
	v_cvt_f32_f16 v40, v9;
	;;#ASMEND
	global_load_dwordx4 v[8:11], v[16:17], off offset:1024
	s_and_saveexec_b64 s[12:13], vcc
	s_cbranch_execz .LBB110_56
; %bb.55:                               ;   in Loop: Header=BB110_51 Depth=1
	s_waitcnt vmcnt(0)
	v_lshrrev_b32_e32 v41, 16, v11
	v_cmp_gt_i32_e64 s[0:1], s39, v32
	v_cndmask_b32_e64 v41, 0, v41, s[0:1]
	v_cmp_gt_i32_e64 s[0:1], s38, v31
	v_cndmask_b32_e64 v11, 0, v11, s[0:1]
	v_perm_b32 v11, v41, v11, s14
	v_lshrrev_b32_e32 v41, 16, v10
	v_cmp_gt_i32_e64 s[0:1], s37, v30
	v_cndmask_b32_e64 v41, 0, v41, s[0:1]
	v_cmp_gt_i32_e64 s[0:1], s36, v29
	v_cndmask_b32_e64 v10, 0, v10, s[0:1]
	v_perm_b32 v10, v41, v10, s14
	;; [unrolled: 6-line block ×4, first 2 shown]
.LBB110_56:                             ;   in Loop: Header=BB110_51 Depth=1
	s_or_b64 exec, exec, s[12:13]
	s_waitcnt vmcnt(0)
	;;#ASMSTART
	v_pk_mul_f16 v8, v38, v8;

	;;#ASMEND
	;;#ASMSTART
	v_pk_mul_f16 v9, v37, v9;

	;;#ASMEND
	;; [unrolled: 4-line block ×4, first 2 shown]
	;;#ASMSTART
	v_pk_add_f16 v8, v8, v9;

	;;#ASMEND
	;;#ASMSTART
	v_pk_add_f16 v8, v8, v10;

	;;#ASMEND
	;; [unrolled: 4-line block ×3, first 2 shown]
	v_lshrrev_b32_e32 v9, 16, v8
	v_and_b32_e32 v8, 0xffff, v8
	;;#ASMSTART
	v_cvt_f32_f16 v41, v8;
	;;#ASMEND
	;;#ASMSTART
	v_cvt_f32_f16 v42, v9;
	;;#ASMEND
	global_load_dwordx4 v[8:11], v[16:17], off offset:2048
	s_and_saveexec_b64 s[12:13], vcc
	s_cbranch_execz .LBB110_58
; %bb.57:                               ;   in Loop: Header=BB110_51 Depth=1
	s_waitcnt vmcnt(0)
	v_lshrrev_b32_e32 v43, 16, v11
	v_cmp_gt_i32_e64 s[0:1], s39, v32
	v_cndmask_b32_e64 v43, 0, v43, s[0:1]
	v_cmp_gt_i32_e64 s[0:1], s38, v31
	v_cndmask_b32_e64 v11, 0, v11, s[0:1]
	v_perm_b32 v11, v43, v11, s14
	v_lshrrev_b32_e32 v43, 16, v10
	v_cmp_gt_i32_e64 s[0:1], s37, v30
	v_cndmask_b32_e64 v43, 0, v43, s[0:1]
	v_cmp_gt_i32_e64 s[0:1], s36, v29
	v_cndmask_b32_e64 v10, 0, v10, s[0:1]
	v_perm_b32 v10, v43, v10, s14
	;; [unrolled: 6-line block ×4, first 2 shown]
.LBB110_58:                             ;   in Loop: Header=BB110_51 Depth=1
	s_or_b64 exec, exec, s[12:13]
	s_waitcnt vmcnt(0)
	;;#ASMSTART
	v_pk_mul_f16 v8, v38, v8;

	;;#ASMEND
	;;#ASMSTART
	v_pk_mul_f16 v9, v37, v9;

	;;#ASMEND
	;; [unrolled: 4-line block ×4, first 2 shown]
	;;#ASMSTART
	v_pk_add_f16 v8, v8, v9;

	;;#ASMEND
	;;#ASMSTART
	v_pk_add_f16 v8, v8, v10;

	;;#ASMEND
	;; [unrolled: 4-line block ×3, first 2 shown]
	v_lshrrev_b32_e32 v9, 16, v8
	v_and_b32_e32 v8, 0xffff, v8
	;;#ASMSTART
	v_cvt_f32_f16 v43, v8;
	;;#ASMEND
	;;#ASMSTART
	v_cvt_f32_f16 v44, v9;
	;;#ASMEND
	global_load_dwordx4 v[8:11], v[16:17], off offset:3072
	s_and_saveexec_b64 s[12:13], vcc
	s_cbranch_execz .LBB110_60
; %bb.59:                               ;   in Loop: Header=BB110_51 Depth=1
	s_waitcnt vmcnt(0)
	v_lshrrev_b32_e32 v16, 16, v11
	v_cmp_gt_i32_e64 s[0:1], s39, v32
	v_cndmask_b32_e64 v16, 0, v16, s[0:1]
	v_cmp_gt_i32_e64 s[0:1], s38, v31
	v_cndmask_b32_e64 v11, 0, v11, s[0:1]
	v_perm_b32 v11, v16, v11, s14
	v_lshrrev_b32_e32 v16, 16, v10
	v_cmp_gt_i32_e64 s[0:1], s37, v30
	v_cndmask_b32_e64 v16, 0, v16, s[0:1]
	v_cmp_gt_i32_e64 s[0:1], s36, v29
	v_cndmask_b32_e64 v10, 0, v10, s[0:1]
	v_perm_b32 v10, v16, v10, s14
	;; [unrolled: 6-line block ×4, first 2 shown]
.LBB110_60:                             ;   in Loop: Header=BB110_51 Depth=1
	s_or_b64 exec, exec, s[12:13]
	s_waitcnt vmcnt(0)
	;;#ASMSTART
	v_pk_mul_f16 v8, v38, v8;

	;;#ASMEND
	;;#ASMSTART
	v_pk_mul_f16 v9, v37, v9;

	;;#ASMEND
	;; [unrolled: 4-line block ×4, first 2 shown]
	;;#ASMSTART
	v_pk_add_f16 v8, v8, v9;

	;;#ASMEND
	;;#ASMSTART
	v_pk_add_f16 v8, v8, v10;

	;;#ASMEND
	;; [unrolled: 4-line block ×3, first 2 shown]
	v_lshrrev_b32_e32 v9, 16, v8
	v_and_b32_e32 v8, 0xffff, v8
	;;#ASMSTART
	v_cvt_f32_f16 v16, v8;
	;;#ASMEND
	v_add_co_u32_e64 v8, s[0:1], v33, v24
	;;#ASMSTART
	v_cvt_f32_f16 v17, v9;
	;;#ASMEND
	v_addc_co_u32_e64 v9, s[0:1], 0, v34, s[0:1]
	global_load_dwordx4 v[8:11], v[8:9], off
	s_and_saveexec_b64 s[0:1], vcc
	s_cbranch_execz .LBB110_49
; %bb.61:                               ;   in Loop: Header=BB110_51 Depth=1
	s_waitcnt vmcnt(0)
	v_lshrrev_b32_e32 v33, 16, v11
	v_cmp_gt_i32_e32 vcc, s39, v32
	v_cndmask_b32_e32 v32, 0, v33, vcc
	v_cmp_gt_i32_e32 vcc, s38, v31
	v_cndmask_b32_e32 v11, 0, v11, vcc
	v_lshrrev_b32_e32 v31, 16, v10
	v_cmp_gt_i32_e32 vcc, s37, v30
	v_cndmask_b32_e32 v30, 0, v31, vcc
	v_cmp_gt_i32_e32 vcc, s36, v29
	v_cndmask_b32_e32 v10, 0, v10, vcc
	v_lshrrev_b32_e32 v29, 16, v9
	v_cmp_gt_i32_e32 vcc, s28, v28
	v_cndmask_b32_e32 v28, 0, v29, vcc
	v_cmp_gt_i32_e32 vcc, s23, v27
	v_cndmask_b32_e32 v9, 0, v9, vcc
	v_lshrrev_b32_e32 v27, 16, v8
	v_cmp_gt_i32_e32 vcc, s22, v26
	v_cndmask_b32_e32 v26, 0, v27, vcc
	v_cmp_gt_i32_e32 vcc, s29, v25
	v_cndmask_b32_e32 v8, 0, v8, vcc
	v_perm_b32 v11, v32, v11, s14
	v_perm_b32 v10, v30, v10, s14
	;; [unrolled: 1-line block ×4, first 2 shown]
	s_branch .LBB110_49
.LBB110_62:
	s_or_b64 exec, exec, s[6:7]
.LBB110_63:
	s_or_b64 exec, exec, s[4:5]
	ds_bpermute_b32 v8, v7, v2
	ds_bpermute_b32 v9, v7, v3
	;; [unrolled: 1-line block ×5, first 2 shown]
	s_waitcnt lgkmcnt(0)
	v_pk_add_f32 v[2:3], v[2:3], v[8:9]
	ds_bpermute_b32 v8, v21, v2
	v_pk_add_f32 v[4:5], v[4:5], v[10:11]
	v_add_f32_e32 v1, v6, v1
	ds_bpermute_b32 v9, v21, v3
	ds_bpermute_b32 v10, v21, v4
	;; [unrolled: 1-line block ×4, first 2 shown]
	s_barrier
	s_waitcnt lgkmcnt(3)
	v_pk_add_f32 v[6:7], v[2:3], v[8:9]
	s_waitcnt lgkmcnt(0)
	v_pk_add_f32 v[2:3], v[4:5], v[10:11]
	v_add_f32_e32 v4, v1, v12
	v_and_b32_e32 v1, 0x3c3, v0
	v_cmp_eq_u32_e32 vcc, 64, v1
	s_and_saveexec_b64 s[0:1], vcc
	s_cbranch_execz .LBB110_65
; %bb.64:
	v_add_u32_e32 v5, 0xb0, v20
	ds_write2_b32 v5, v6, v7 offset1:16
	ds_write2_b32 v5, v2, v3 offset0:32 offset1:48
	ds_write_b32 v5, v4 offset:256
.LBB110_65:
	s_or_b64 exec, exec, s[0:1]
	v_cmp_gt_u32_e32 vcc, 64, v0
	s_waitcnt lgkmcnt(0)
	s_barrier
	s_and_saveexec_b64 s[0:1], vcc
	s_cbranch_execz .LBB110_73
; %bb.66:
	v_cmp_eq_u32_e32 vcc, 0, v22
	v_lshrrev_b32_e32 v5, 2, v0
	s_and_saveexec_b64 s[4:5], vcc
	s_cbranch_execnz .LBB110_76
; %bb.67:
	s_or_b64 exec, exec, s[4:5]
	s_and_saveexec_b64 s[4:5], vcc
	s_cbranch_execnz .LBB110_77
.LBB110_68:
	s_or_b64 exec, exec, s[4:5]
	s_and_saveexec_b64 s[4:5], vcc
	s_cbranch_execnz .LBB110_78
.LBB110_69:
	s_or_b64 exec, exec, s[4:5]
	s_and_saveexec_b64 s[4:5], vcc
	s_cbranch_execnz .LBB110_79
.LBB110_70:
	s_or_b64 exec, exec, s[4:5]
	s_and_saveexec_b64 s[4:5], vcc
	s_cbranch_execz .LBB110_72
.LBB110_71:
	v_mov_b32_e32 v8, 0xb0
	v_lshl_add_u32 v5, v5, 2, v8
	ds_read_b32 v5, v5 offset:256
	s_waitcnt lgkmcnt(0)
	v_add_f32_e32 v4, v4, v5
.LBB110_72:
	s_or_b64 exec, exec, s[4:5]
.LBB110_73:
	s_or_b64 exec, exec, s[0:1]
	v_cmp_eq_u32_e32 vcc, 0, v1
	s_barrier
	s_and_saveexec_b64 s[0:1], vcc
	s_cbranch_execz .LBB110_75
; %bb.74:
	s_mul_i32 s0, s2, 0x50
	s_ashr_i32 s1, s0, 31
	s_lshl_b64 s[0:1], s[0:1], 1
	s_add_u32 s2, s26, s0
	s_mul_i32 s0, s19, s24
	s_addc_u32 s3, s27, s1
	s_ashr_i32 s1, s0, 31
	s_lshl_b64 s[0:1], s[0:1], 1
	s_add_u32 s2, s2, s0
	s_mul_i32 s0, s8, 0x50
	s_addc_u32 s3, s3, s1
	s_ashr_i32 s1, s0, 31
	s_lshl_b64 s[0:1], s[0:1], 1
	s_add_u32 s0, s2, s0
	s_addc_u32 s1, s3, s1
	v_lshrrev_b32_e32 v0, 1, v0
	;;#ASMSTART
	v_cvt_f16_f32 v1, v6;

	;;#ASMEND
	global_store_short v0, v1, s[0:1]
	;;#ASMSTART
	v_cvt_f16_f32 v1, v7;

	;;#ASMEND
	global_store_short v0, v1, s[0:1] offset:32
	;;#ASMSTART
	v_cvt_f16_f32 v1, v2;

	;;#ASMEND
	global_store_short v0, v1, s[0:1] offset:64
	;; [unrolled: 5-line block ×4, first 2 shown]
.LBB110_75:
	s_endpgm
.LBB110_76:
	v_mov_b32_e32 v8, 0xb0
	v_lshl_add_u32 v8, v5, 2, v8
	ds_read_b32 v8, v8
	s_waitcnt lgkmcnt(0)
	v_add_f32_e32 v6, v6, v8
	s_or_b64 exec, exec, s[4:5]
	s_and_saveexec_b64 s[4:5], vcc
	s_cbranch_execz .LBB110_68
.LBB110_77:
	v_mov_b32_e32 v8, 0xb0
	v_lshl_add_u32 v8, v5, 2, v8
	ds_read_b32 v8, v8 offset:64
	s_waitcnt lgkmcnt(0)
	v_add_f32_e32 v7, v7, v8
	s_or_b64 exec, exec, s[4:5]
	s_and_saveexec_b64 s[4:5], vcc
	s_cbranch_execz .LBB110_69
.LBB110_78:
	v_mov_b32_e32 v8, 0xb0
	v_lshl_add_u32 v8, v5, 2, v8
	ds_read_b32 v8, v8 offset:128
	s_waitcnt lgkmcnt(0)
	v_add_f32_e32 v2, v2, v8
	s_or_b64 exec, exec, s[4:5]
	s_and_saveexec_b64 s[4:5], vcc
	s_cbranch_execz .LBB110_70
.LBB110_79:
	v_mov_b32_e32 v8, 0xb0
	v_lshl_add_u32 v8, v5, 2, v8
	ds_read_b32 v8, v8 offset:192
	s_waitcnt lgkmcnt(0)
	v_add_f32_e32 v3, v3, v8
	s_or_b64 exec, exec, s[4:5]
	s_and_saveexec_b64 s[4:5], vcc
	s_cbranch_execnz .LBB110_71
	s_branch .LBB110_72
	.section	.rodata,"a",@progbits
	.p2align	6, 0x0
	.amdhsa_kernel _ZN4vllm25paged_attention_v2_kernelIttLi80ELi32ELi128ELNS_18Fp8KVCacheDataTypeE0ELb1ELi512EEEvPfS2_PT_PKS3_PKT0_S9_ifPKiSB_iPKfiiiSD_SD_iiiii
		.amdhsa_group_segment_fixed_size 176
		.amdhsa_private_segment_fixed_size 0
		.amdhsa_kernarg_size 400
		.amdhsa_user_sgpr_count 6
		.amdhsa_user_sgpr_private_segment_buffer 1
		.amdhsa_user_sgpr_dispatch_ptr 0
		.amdhsa_user_sgpr_queue_ptr 0
		.amdhsa_user_sgpr_kernarg_segment_ptr 1
		.amdhsa_user_sgpr_dispatch_id 0
		.amdhsa_user_sgpr_flat_scratch_init 0
		.amdhsa_user_sgpr_kernarg_preload_length 0
		.amdhsa_user_sgpr_kernarg_preload_offset 0
		.amdhsa_user_sgpr_private_segment_size 0
		.amdhsa_uses_dynamic_stack 0
		.amdhsa_system_sgpr_private_segment_wavefront_offset 0
		.amdhsa_system_sgpr_workgroup_id_x 1
		.amdhsa_system_sgpr_workgroup_id_y 1
		.amdhsa_system_sgpr_workgroup_id_z 1
		.amdhsa_system_sgpr_workgroup_info 0
		.amdhsa_system_vgpr_workitem_id 0
		.amdhsa_next_free_vgpr 71
		.amdhsa_next_free_sgpr 56
		.amdhsa_accum_offset 72
		.amdhsa_reserve_vcc 1
		.amdhsa_reserve_flat_scratch 0
		.amdhsa_float_round_mode_32 0
		.amdhsa_float_round_mode_16_64 0
		.amdhsa_float_denorm_mode_32 3
		.amdhsa_float_denorm_mode_16_64 3
		.amdhsa_dx10_clamp 1
		.amdhsa_ieee_mode 1
		.amdhsa_fp16_overflow 0
		.amdhsa_tg_split 0
		.amdhsa_exception_fp_ieee_invalid_op 0
		.amdhsa_exception_fp_denorm_src 0
		.amdhsa_exception_fp_ieee_div_zero 0
		.amdhsa_exception_fp_ieee_overflow 0
		.amdhsa_exception_fp_ieee_underflow 0
		.amdhsa_exception_fp_ieee_inexact 0
		.amdhsa_exception_int_div_zero 0
	.end_amdhsa_kernel
	.section	.text._ZN4vllm25paged_attention_v2_kernelIttLi80ELi32ELi128ELNS_18Fp8KVCacheDataTypeE0ELb1ELi512EEEvPfS2_PT_PKS3_PKT0_S9_ifPKiSB_iPKfiiiSD_SD_iiiii,"axG",@progbits,_ZN4vllm25paged_attention_v2_kernelIttLi80ELi32ELi128ELNS_18Fp8KVCacheDataTypeE0ELb1ELi512EEEvPfS2_PT_PKS3_PKT0_S9_ifPKiSB_iPKfiiiSD_SD_iiiii,comdat
.Lfunc_end110:
	.size	_ZN4vllm25paged_attention_v2_kernelIttLi80ELi32ELi128ELNS_18Fp8KVCacheDataTypeE0ELb1ELi512EEEvPfS2_PT_PKS3_PKT0_S9_ifPKiSB_iPKfiiiSD_SD_iiiii, .Lfunc_end110-_ZN4vllm25paged_attention_v2_kernelIttLi80ELi32ELi128ELNS_18Fp8KVCacheDataTypeE0ELb1ELi512EEEvPfS2_PT_PKS3_PKT0_S9_ifPKiSB_iPKfiiiSD_SD_iiiii
                                        ; -- End function
	.section	.AMDGPU.csdata,"",@progbits
; Kernel info:
; codeLenInByte = 7324
; NumSgprs: 60
; NumVgprs: 71
; NumAgprs: 0
; TotalNumVgprs: 71
; ScratchSize: 0
; MemoryBound: 0
; FloatMode: 240
; IeeeMode: 1
; LDSByteSize: 176 bytes/workgroup (compile time only)
; SGPRBlocks: 7
; VGPRBlocks: 8
; NumSGPRsForWavesPerEU: 60
; NumVGPRsForWavesPerEU: 71
; AccumOffset: 72
; Occupancy: 7
; WaveLimiterHint : 1
; COMPUTE_PGM_RSRC2:SCRATCH_EN: 0
; COMPUTE_PGM_RSRC2:USER_SGPR: 6
; COMPUTE_PGM_RSRC2:TRAP_HANDLER: 0
; COMPUTE_PGM_RSRC2:TGID_X_EN: 1
; COMPUTE_PGM_RSRC2:TGID_Y_EN: 1
; COMPUTE_PGM_RSRC2:TGID_Z_EN: 1
; COMPUTE_PGM_RSRC2:TIDIG_COMP_CNT: 0
; COMPUTE_PGM_RSRC3_GFX90A:ACCUM_OFFSET: 17
; COMPUTE_PGM_RSRC3_GFX90A:TG_SPLIT: 0
	.section	.text._ZN4vllm25paged_attention_v2_kernelIttLi96ELi32ELi128ELNS_18Fp8KVCacheDataTypeE0ELb1ELi512EEEvPfS2_PT_PKS3_PKT0_S9_ifPKiSB_iPKfiiiSD_SD_iiiii,"axG",@progbits,_ZN4vllm25paged_attention_v2_kernelIttLi96ELi32ELi128ELNS_18Fp8KVCacheDataTypeE0ELb1ELi512EEEvPfS2_PT_PKS3_PKT0_S9_ifPKiSB_iPKfiiiSD_SD_iiiii,comdat
	.protected	_ZN4vllm25paged_attention_v2_kernelIttLi96ELi32ELi128ELNS_18Fp8KVCacheDataTypeE0ELb1ELi512EEEvPfS2_PT_PKS3_PKT0_S9_ifPKiSB_iPKfiiiSD_SD_iiiii ; -- Begin function _ZN4vllm25paged_attention_v2_kernelIttLi96ELi32ELi128ELNS_18Fp8KVCacheDataTypeE0ELb1ELi512EEEvPfS2_PT_PKS3_PKT0_S9_ifPKiSB_iPKfiiiSD_SD_iiiii
	.globl	_ZN4vllm25paged_attention_v2_kernelIttLi96ELi32ELi128ELNS_18Fp8KVCacheDataTypeE0ELb1ELi512EEEvPfS2_PT_PKS3_PKT0_S9_ifPKiSB_iPKfiiiSD_SD_iiiii
	.p2align	8
	.type	_ZN4vllm25paged_attention_v2_kernelIttLi96ELi32ELi128ELNS_18Fp8KVCacheDataTypeE0ELb1ELi512EEEvPfS2_PT_PKS3_PKT0_S9_ifPKiSB_iPKfiiiSD_SD_iiiii,@function
_ZN4vllm25paged_attention_v2_kernelIttLi96ELi32ELi128ELNS_18Fp8KVCacheDataTypeE0ELb1ELi512EEEvPfS2_PT_PKS3_PKT0_S9_ifPKiSB_iPKfiiiSD_SD_iiiii: ; @_ZN4vllm25paged_attention_v2_kernelIttLi96ELi32ELi128ELNS_18Fp8KVCacheDataTypeE0ELb1ELi512EEEvPfS2_PT_PKS3_PKT0_S9_ifPKiSB_iPKfiiiSD_SD_iiiii
; %bb.0:
	s_load_dwordx2 s[0:1], s[4:5], 0x40
	s_mov_b32 s28, s7
	s_ashr_i32 s29, s7, 31
	s_lshl_b64 s[2:3], s[28:29], 2
	s_waitcnt lgkmcnt(0)
	s_add_u32 s0, s0, s2
	s_addc_u32 s1, s1, s3
	s_load_dword s29, s[0:1], 0x0
	s_lshl_b32 s49, s8, 9
	s_waitcnt lgkmcnt(0)
	s_cmp_ge_i32 s49, s29
	s_cbranch_scc1 .LBB111_78
; %bb.1:
	s_load_dword s9, s[4:5], 0x90
	s_load_dwordx2 s[38:39], s[4:5], 0x30
	s_mov_b32 s50, 0
	s_waitcnt lgkmcnt(0)
	s_abs_i32 s2, s9
	s_abs_i32 s0, s38
	v_cvt_f32_u32_e32 v1, s0
	s_sub_i32 s3, 0, s0
	s_xor_b32 s1, s9, s38
	s_ashr_i32 s1, s1, 31
	v_rcp_iflag_f32_e32 v1, v1
	v_mul_f32_e32 v1, 0x4f7ffffe, v1
	v_cvt_u32_f32_e32 v1, v1
	v_readfirstlane_b32 s7, v1
	s_mul_i32 s3, s3, s7
	s_mul_hi_u32 s3, s7, s3
	s_add_i32 s7, s7, s3
	s_mul_hi_u32 s3, s2, s7
	s_mul_i32 s7, s3, s0
	s_sub_i32 s2, s2, s7
	s_add_i32 s10, s3, 1
	s_sub_i32 s7, s2, s0
	s_cmp_ge_u32 s2, s0
	s_cselect_b32 s3, s10, s3
	s_cselect_b32 s2, s7, s2
	s_add_i32 s7, s3, 1
	s_cmp_ge_u32 s2, s0
	s_cselect_b32 s0, s7, s3
	s_xor_b32 s0, s0, s1
	s_sub_i32 s11, s0, s1
	s_abs_i32 s2, s11
	v_cvt_f32_u32_e32 v1, s2
	s_load_dwordx2 s[0:1], s[4:5], 0x50
	s_sub_i32 s7, 0, s2
	s_abs_i32 s3, s6
	v_rcp_iflag_f32_e32 v1, v1
	v_mul_f32_e32 v1, 0x4f7ffffe, v1
	v_cvt_u32_f32_e32 v1, v1
	v_readfirstlane_b32 s10, v1
	s_mul_i32 s7, s7, s10
	s_mul_hi_u32 s7, s10, s7
	s_add_i32 s10, s10, s7
	s_waitcnt lgkmcnt(0)
	s_cmp_eq_u64 s[0:1], 0
	s_mul_hi_u32 s10, s3, s10
	s_cbranch_scc1 .LBB111_3
; %bb.2:
	s_ashr_i32 s7, s6, 31
	s_lshl_b64 s[12:13], s[6:7], 2
	s_add_u32 s0, s0, s12
	s_addc_u32 s1, s1, s13
	s_load_dword s50, s[0:1], 0x0
.LBB111_3:
	s_load_dwordx4 s[12:15], s[4:5], 0x58
	s_ashr_i32 s7, s6, 31
	s_ashr_i32 s11, s11, 31
	v_and_b32_e32 v2, 1, v0
	s_waitcnt lgkmcnt(0)
	s_movk_i32 s15, 0x60
	s_mul_i32 s24, s6, 0x60
	v_cmp_gt_u32_e32 vcc, 24, v0
	v_lshlrev_b32_e32 v22, 3, v0
	s_and_saveexec_b64 s[0:1], vcc
	s_cbranch_execz .LBB111_5
; %bb.4:
	s_load_dwordx2 s[16:17], s[4:5], 0x18
	s_mul_i32 s18, s28, s12
	s_ashr_i32 s19, s18, 31
	s_lshl_b64 s[18:19], s[18:19], 1
	v_lshlrev_b32_e32 v1, 2, v0
	s_waitcnt lgkmcnt(0)
	s_add_u32 s12, s16, s18
	s_addc_u32 s18, s17, s19
	s_ashr_i32 s25, s24, 31
	s_lshl_b64 s[16:17], s[24:25], 1
	s_add_u32 s16, s12, s16
	s_addc_u32 s17, s18, s17
	global_load_dwordx2 v[4:5], v22, s[16:17]
	v_and_b32_e32 v1, 0xff8, v1
	v_mad_u32_u24 v1, v2, s15, v1
	s_waitcnt vmcnt(0)
	ds_write_b64 v1, v[4:5]
.LBB111_5:
	s_or_b64 exec, exec, s[0:1]
	s_mul_i32 s1, s10, s2
	s_sub_i32 s1, s3, s1
	s_xor_b32 s0, s7, s11
	s_add_i32 s3, s10, 1
	s_sub_i32 s7, s1, s2
	s_load_dwordx4 s[16:19], s[4:5], 0x78
	s_cmp_ge_u32 s1, s2
	s_cselect_b32 s3, s3, s10
	s_load_dword s10, s[4:5], 0x88
	s_cselect_b32 s1, s7, s1
	s_add_i32 s7, s3, 1
	s_cmp_ge_u32 s1, s2
	s_cselect_b32 s1, s7, s3
	s_waitcnt lgkmcnt(0)
	s_abs_i32 s25, s19
	v_cvt_f32_u32_e32 v1, s25
	s_xor_b32 s1, s1, s0
	s_sub_i32 s2, s1, s0
	s_sub_i32 s0, 0, s25
	v_rcp_iflag_f32_e32 v1, v1
	s_add_i32 s11, s29, -1
	s_abs_i32 s3, s11
	v_mul_f32_e32 v1, 0x4f7ffffe, v1
	v_cvt_u32_f32_e32 v1, v1
	s_barrier
	v_readfirstlane_b32 s33, v1
	s_mul_i32 s0, s0, s33
	s_mul_hi_u32 s0, s33, s0
	s_add_i32 s33, s33, s0
	s_cmp_lt_i32 s10, 0
	s_mul_hi_u32 s7, s3, s33
	s_cbranch_scc0 .LBB111_7
; %bb.6:
	s_mul_i32 s0, s16, s38
	s_add_i32 s0, s2, s0
	s_mul_i32 s0, s0, s10
	s_sub_i32 s46, 1, s0
	s_mov_b64 s[0:1], 0
	s_branch .LBB111_8
.LBB111_7:
	s_mov_b64 s[0:1], -1
                                        ; implicit-def: $sgpr46
.LBB111_8:
	s_load_dwordx2 s[30:31], s[4:5], 0x38
	s_ashr_i32 s11, s11, 31
	s_andn2_b64 vcc, exec, s[0:1]
	s_ashr_i32 s47, s19, 31
	s_cbranch_vccnz .LBB111_10
; %bb.9:
	s_mul_i32 s0, s9, s16
	s_add_i32 s0, s0, s6
	s_mul_i32 s0, s0, s10
	s_add_i32 s46, s0, 1
.LBB111_10:
	s_load_dword s0, s[4:5], 0x48
	s_load_dwordx2 s[36:37], s[4:5], 0x28
	s_load_dword s19, s[4:5], 0x98
	s_load_dwordx4 s[20:23], s[4:5], 0x0
	s_load_dwordx2 s[26:27], s[4:5], 0x10
	s_mul_i32 s1, s7, s25
	s_waitcnt lgkmcnt(0)
	s_mul_i32 s34, s28, s0
	s_sub_i32 s1, s3, s1
	s_ashr_i32 s35, s34, 31
	s_xor_b32 s0, s11, s47
	s_add_i32 s3, s7, 1
	s_sub_i32 s10, s1, s25
	s_cmp_ge_u32 s1, s25
	s_cselect_b32 s3, s3, s7
	s_cselect_b32 s1, s10, s1
	s_add_i32 s7, s3, 1
	s_cmp_ge_u32 s1, s25
	s_cselect_b32 s1, s7, s3
	s_xor_b32 s1, s1, s0
	s_sub_i32 s16, s1, s0
	s_add_i32 s0, s29, 31
	s_ashr_i32 s1, s0, 31
	s_lshr_b32 s1, s1, 27
	s_add_i32 s0, s0, s1
	s_lshl_b32 s12, s8, 4
	s_ashr_i32 s7, s0, 5
	s_add_i32 s0, s12, 16
	v_lshrrev_b32_e32 v23, 6, v0
	s_min_i32 s48, s0, s7
	v_or_b32_e32 v12, s12, v23
	v_cmp_gt_i32_e64 s[0:1], s48, v12
	v_mov_b32_e32 v29, 0xff7fffff
	s_mul_i32 s14, s2, s14
	v_ashrrev_i32_e32 v13, 31, v12
	v_lshl_add_u32 v1, v23, 5, s49
	v_mbcnt_lo_u32_b32 v24, -1, 0
	s_and_saveexec_b64 s[40:41], s[0:1]
	s_cbranch_execz .LBB111_20
; %bb.11:
	s_load_dwordx2 s[4:5], s[4:5], 0x20
	s_ashr_i32 s15, s14, 31
	s_sub_i32 s38, s16, s17
	s_lshl_b64 s[10:11], s[14:15], 1
	v_bfe_u32 v25, v0, 1, 5
	s_waitcnt lgkmcnt(0)
	s_add_u32 s4, s4, s10
	s_addc_u32 s5, s5, s11
	s_abs_i32 s15, s18
	v_cvt_f32_u32_e32 v5, s15
	v_lshlrev_b32_e32 v3, 4, v25
	v_mov_b32_e32 v4, s5
	v_add_co_u32_e32 v3, vcc, s4, v3
	v_rcp_iflag_f32_e32 v5, v5
	v_addc_co_u32_e32 v4, vcc, 0, v4, vcc
	v_and_b32_e32 v6, 8, v22
	v_add_co_u32_e32 v26, vcc, v3, v6
	v_mul_f32_e32 v3, 0x4f7ffffe, v5
	v_cvt_u32_f32_e32 v3, v3
	s_sub_i32 s10, 0, s15
	v_cmp_eq_u32_e64 s[2:3], 0, v2
	v_mul_u32_u24_e32 v28, 0x60, v2
	v_mul_lo_u32 v2, s10, v3
	s_lshl_b64 s[10:11], s[34:35], 2
	v_mul_hi_u32 v2, v3, v2
	s_add_u32 s10, s30, s10
	v_addc_co_u32_e32 v27, vcc, 0, v4, vcc
	v_add_u32_e32 v30, v3, v2
	v_lshlrev_b64 v[2:3], 2, v[12:13]
	s_addc_u32 s11, s31, s11
	v_mov_b32_e32 v4, s11
	v_add_co_u32_e32 v2, vcc, s10, v2
	v_addc_co_u32_e32 v3, vcc, v4, v3, vcc
	v_lshlrev_b32_e32 v4, 2, v25
	v_lshl_or_b32 v4, v23, 7, v4
	v_add_u32_e32 v32, 0xd0, v4
	v_subrev_u32_e32 v4, s29, v25
	v_mbcnt_hi_u32_b32 v35, -1, v24
	v_add_u32_e32 v33, 1, v4
	v_and_b32_e32 v4, 64, v35
	s_mov_b32 s51, s13
	v_cmp_neq_f32_e64 s[4:5], s50, 0
	v_lshl_add_u32 v31, v23, 5, s49
	s_mov_b64 s[42:43], 0
	v_mov_b32_e32 v34, 0xff7fffff
	s_movk_i32 s52, 0x1000
	v_xor_b32_e32 v36, 1, v35
	v_add_u32_e32 v37, 64, v4
	v_mov_b32_e32 v29, 0xff7fffff
	v_mov_b32_e32 v38, v12
	s_branch .LBB111_14
.LBB111_12:                             ;   in Loop: Header=BB111_14 Depth=1
	s_or_b64 exec, exec, s[44:45]
.LBB111_13:                             ;   in Loop: Header=BB111_14 Depth=1
	s_or_b64 exec, exec, s[10:11]
	v_add_co_u32_e32 v2, vcc, 8, v2
	v_add_u32_e32 v38, 2, v38
	v_addc_co_u32_e32 v3, vcc, 0, v3, vcc
	v_cmp_le_i32_e32 vcc, s48, v38
	v_add_u32_e32 v31, 64, v31
	s_or_b64 s[42:43], vcc, s[42:43]
	v_add_u32_e32 v32, 0x100, v32
	s_andn2_b64 exec, exec, s[42:43]
	s_cbranch_execz .LBB111_19
.LBB111_14:                             ; =>This Inner Loop Header: Depth=1
	s_waitcnt lgkmcnt(0)
	v_sub_u32_e32 v5, 0, v31
	v_max_i32_e32 v5, v31, v5
	v_mul_hi_u32 v6, v5, s33
	v_mul_lo_u32 v7, v6, s25
	v_sub_u32_e32 v5, v5, v7
	v_add_u32_e32 v7, 1, v6
	v_cmp_le_u32_e32 vcc, s25, v5
	v_cndmask_b32_e32 v6, v6, v7, vcc
	v_subrev_u32_e32 v7, s25, v5
	v_cndmask_b32_e32 v5, v5, v7, vcc
	v_ashrrev_i32_e32 v4, 31, v31
	v_add_u32_e32 v7, 1, v6
	v_cmp_le_u32_e32 vcc, s25, v5
	v_xor_b32_e32 v4, s47, v4
	v_cndmask_b32_e32 v5, v6, v7, vcc
	v_xor_b32_e32 v5, v5, v4
	v_sub_u32_e32 v4, v5, v4
	v_add_u32_e32 v5, s46, v4
	v_sub_u32_e32 v7, 0, v5
	v_ashrrev_i32_e32 v6, 31, v5
	v_max_i32_e32 v5, v5, v7
	v_mul_hi_u32 v7, v5, v30
	v_mul_lo_u32 v7, v7, s15
	v_sub_u32_e32 v5, v5, v7
	v_subrev_u32_e32 v7, s15, v5
	v_cmp_le_u32_e32 vcc, s15, v5
	v_cndmask_b32_e32 v5, v5, v7, vcc
	v_subrev_u32_e32 v7, s15, v5
	v_cmp_le_u32_e32 vcc, s15, v5
	v_cndmask_b32_e32 v5, v5, v7, vcc
	v_xor_b32_e32 v5, v5, v6
	v_sub_u32_e32 v5, v5, v6
	v_cmp_ne_u32_e32 vcc, 0, v5
	v_cmp_ge_i32_e64 s[10:11], s38, v4
	s_and_b64 s[10:11], vcc, s[10:11]
	s_and_b64 s[54:55], s[2:3], s[10:11]
	s_and_saveexec_b64 s[44:45], s[54:55]
	s_cbranch_execz .LBB111_16
; %bb.15:                               ;   in Loop: Header=BB111_14 Depth=1
	ds_write_b32 v32, v34
.LBB111_16:                             ;   in Loop: Header=BB111_14 Depth=1
	s_or_b64 exec, exec, s[44:45]
	s_xor_b64 s[44:45], s[10:11], -1
	s_and_saveexec_b64 s[10:11], s[44:45]
	s_cbranch_execz .LBB111_13
; %bb.17:                               ;   in Loop: Header=BB111_14 Depth=1
	global_load_dword v4, v[2:3], off
	s_waitcnt vmcnt(0)
	v_mad_i64_i32 v[4:5], s[44:45], v4, s51, 0
	v_lshlrev_b64 v[4:5], 1, v[4:5]
	v_add_co_u32_e32 v4, vcc, v26, v4
	v_addc_co_u32_e32 v5, vcc, v27, v5, vcc
	global_load_dwordx2 v[42:43], v[4:5], off
	global_load_dwordx2 v[44:45], v[4:5], off offset:512
	global_load_dwordx2 v[48:49], v[4:5], off offset:1024
	;; [unrolled: 1-line block ×7, first 2 shown]
	v_add_co_u32_e32 v4, vcc, s52, v4
	v_addc_co_u32_e32 v5, vcc, 0, v5, vcc
	global_load_dwordx2 v[10:11], v[4:5], off
	global_load_dwordx2 v[8:9], v[4:5], off offset:512
	ds_read_b64 v[6:7], v28
	v_cmp_lt_i32_e32 vcc, v36, v37
	s_waitcnt lgkmcnt(0)
	v_lshrrev_b32_e32 v40, 16, v6
	v_and_b32_e32 v39, 0xffff, v6
	v_lshrrev_b32_e32 v63, 16, v7
	v_and_b32_e32 v64, 0xffff, v7
	global_load_dwordx2 v[6:7], v[4:5], off offset:1024
	s_nop 0
	global_load_dwordx2 v[4:5], v[4:5], off offset:1536
	;;#ASMSTART
	v_cvt_f32_f16 v39, v39;
	;;#ASMEND
	;;#ASMSTART
	v_cvt_f32_f16 v40, v40;
	;;#ASMEND
	s_waitcnt vmcnt(11)
	v_lshrrev_b32_e32 v65, 16, v42
	v_and_b32_e32 v66, 0xffff, v42
	v_lshrrev_b32_e32 v67, 16, v43
	v_and_b32_e32 v68, 0xffff, v43
	;;#ASMSTART
	v_cvt_f32_f16 v66, v66;
	;;#ASMEND
	;;#ASMSTART
	v_cvt_f32_f16 v65, v65;
	;;#ASMEND
	s_waitcnt vmcnt(5)
	v_lshrrev_b32_e32 v58, 16, v17
	v_and_b32_e32 v59, 0xffff, v17
	s_waitcnt vmcnt(4)
	v_lshrrev_b32_e32 v17, 16, v14
	v_and_b32_e32 v60, 0xffff, v14
	v_lshrrev_b32_e32 v61, 16, v15
	v_and_b32_e32 v62, 0xffff, v15
	;;#ASMSTART
	v_cvt_f32_f16 v69, v64;
	;;#ASMEND
	;;#ASMSTART
	v_cvt_f32_f16 v70, v63;
	;;#ASMEND
	;; [unrolled: 3-line block ×4, first 2 shown]
	ds_read_b64 v[14:15], v28 offset:8
	v_lshrrev_b32_e32 v41, 16, v44
	v_and_b32_e32 v42, 0xffff, v44
	v_lshrrev_b32_e32 v44, 16, v45
	v_and_b32_e32 v46, 0xffff, v45
	s_waitcnt lgkmcnt(0)
	v_lshrrev_b32_e32 v72, 16, v14
	v_and_b32_e32 v14, 0xffff, v14
	v_lshrrev_b32_e32 v73, 16, v15
	v_and_b32_e32 v15, 0xffff, v15
	;;#ASMSTART
	v_cvt_f32_f16 v74, v14;
	;;#ASMEND
	;;#ASMSTART
	v_cvt_f32_f16 v72, v72;
	;;#ASMEND
	;; [unrolled: 3-line block ×8, first 2 shown]
	ds_read_b64 v[14:15], v28 offset:16
	v_mul_f32_e32 v42, v74, v42
	v_mul_f32_e32 v41, v72, v41
	v_lshrrev_b32_e32 v43, 16, v48
	v_and_b32_e32 v45, 0xffff, v48
	v_lshrrev_b32_e32 v47, 16, v49
	v_and_b32_e32 v49, 0xffff, v49
	v_fmac_f32_e32 v42, v39, v66
	v_fmac_f32_e32 v41, v40, v65
	s_waitcnt lgkmcnt(0)
	v_lshrrev_b32_e32 v39, 16, v14
	v_and_b32_e32 v14, 0xffff, v14
	v_lshrrev_b32_e32 v40, 16, v15
	v_and_b32_e32 v15, 0xffff, v15
	;;#ASMSTART
	v_cvt_f32_f16 v65, v14;
	;;#ASMEND
	;;#ASMSTART
	v_cvt_f32_f16 v39, v39;
	;;#ASMEND
	;; [unrolled: 3-line block ×8, first 2 shown]
	ds_read_b64 v[14:15], v28 offset:24
	v_mul_f32_e32 v44, v73, v44
	v_mul_f32_e32 v46, v75, v46
	v_fmac_f32_e32 v44, v70, v67
	v_lshrrev_b32_e32 v48, 16, v52
	v_and_b32_e32 v50, 0xffff, v52
	v_fmac_f32_e32 v46, v69, v68
	v_fmac_f32_e32 v41, v39, v43
	;; [unrolled: 1-line block ×3, first 2 shown]
	s_waitcnt lgkmcnt(0)
	v_lshrrev_b32_e32 v39, 16, v14
	v_and_b32_e32 v14, 0xffff, v14
	v_lshrrev_b32_e32 v40, 16, v15
	v_and_b32_e32 v15, 0xffff, v15
	v_lshrrev_b32_e32 v51, 16, v53
	v_and_b32_e32 v53, 0xffff, v53
	v_fmac_f32_e32 v42, v65, v45
	v_fmac_f32_e32 v46, v66, v49
	;;#ASMSTART
	v_cvt_f32_f16 v43, v14;
	;;#ASMEND
	;;#ASMSTART
	v_cvt_f32_f16 v39, v39;
	;;#ASMEND
	;;#ASMSTART
	v_cvt_f32_f16 v45, v50;
	;;#ASMEND
	;;#ASMSTART
	v_cvt_f32_f16 v47, v48;
	;;#ASMEND
	;;#ASMSTART
	v_cvt_f32_f16 v48, v15;
	;;#ASMEND
	;;#ASMSTART
	v_cvt_f32_f16 v40, v40;
	;;#ASMEND
	;;#ASMSTART
	v_cvt_f32_f16 v49, v53;
	;;#ASMEND
	;;#ASMSTART
	v_cvt_f32_f16 v50, v51;
	;;#ASMEND
	ds_read_b64 v[14:15], v28 offset:32
	v_lshrrev_b32_e32 v52, 16, v20
	v_and_b32_e32 v20, 0xffff, v20
	v_fmac_f32_e32 v41, v39, v47
	v_fmac_f32_e32 v44, v40, v50
	s_waitcnt lgkmcnt(0)
	v_lshrrev_b32_e32 v39, 16, v14
	v_and_b32_e32 v14, 0xffff, v14
	v_lshrrev_b32_e32 v40, 16, v15
	v_and_b32_e32 v15, 0xffff, v15
	v_lshrrev_b32_e32 v54, 16, v21
	v_and_b32_e32 v55, 0xffff, v21
	v_fmac_f32_e32 v42, v43, v45
	v_fmac_f32_e32 v46, v48, v49
	;;#ASMSTART
	v_cvt_f32_f16 v43, v14;
	;;#ASMEND
	;;#ASMSTART
	v_cvt_f32_f16 v39, v39;
	;;#ASMEND
	;;#ASMSTART
	v_cvt_f32_f16 v20, v20;
	;;#ASMEND
	;;#ASMSTART
	v_cvt_f32_f16 v45, v52;
	;;#ASMEND
	;;#ASMSTART
	v_cvt_f32_f16 v47, v15;
	;;#ASMEND
	;;#ASMSTART
	v_cvt_f32_f16 v40, v40;
	;;#ASMEND
	;;#ASMSTART
	v_cvt_f32_f16 v48, v55;
	;;#ASMEND
	;;#ASMSTART
	v_cvt_f32_f16 v49, v54;
	;;#ASMEND
	ds_read_b64 v[14:15], v28 offset:40
	v_lshrrev_b32_e32 v21, 16, v18
	v_and_b32_e32 v18, 0xffff, v18
	v_fmac_f32_e32 v42, v43, v20
	v_fmac_f32_e32 v41, v39, v45
	;; [unrolled: 38-line block ×3, first 2 shown]
	s_waitcnt lgkmcnt(0)
	v_lshrrev_b32_e32 v18, 16, v14
	v_and_b32_e32 v14, 0xffff, v14
	v_lshrrev_b32_e32 v20, 16, v15
	v_and_b32_e32 v15, 0xffff, v15
	v_fmac_f32_e32 v46, v43, v45
	v_fmac_f32_e32 v44, v39, v47
	;;#ASMSTART
	v_cvt_f32_f16 v21, v14;
	;;#ASMEND
	;;#ASMSTART
	v_cvt_f32_f16 v18, v18;
	;;#ASMEND
	;;#ASMSTART
	v_cvt_f32_f16 v16, v16;
	;;#ASMEND
	;;#ASMSTART
	v_cvt_f32_f16 v19, v19;
	;;#ASMEND
	;;#ASMSTART
	v_cvt_f32_f16 v39, v15;
	;;#ASMEND
	;;#ASMSTART
	v_cvt_f32_f16 v20, v20;
	;;#ASMEND
	;;#ASMSTART
	v_cvt_f32_f16 v40, v59;
	;;#ASMEND
	;;#ASMSTART
	v_cvt_f32_f16 v43, v58;
	;;#ASMEND
	ds_read_b64 v[14:15], v28 offset:56
	v_fmac_f32_e32 v42, v21, v16
	v_fmac_f32_e32 v41, v18, v19
	;; [unrolled: 1-line block ×4, first 2 shown]
	s_waitcnt lgkmcnt(0)
	v_lshrrev_b32_e32 v16, 16, v14
	v_and_b32_e32 v14, 0xffff, v14
	v_lshrrev_b32_e32 v18, 16, v15
	v_and_b32_e32 v15, 0xffff, v15
	;;#ASMSTART
	v_cvt_f32_f16 v19, v14;
	;;#ASMEND
	;;#ASMSTART
	v_cvt_f32_f16 v16, v16;
	;;#ASMEND
	;; [unrolled: 3-line block ×8, first 2 shown]
	ds_read_b64 v[14:15], v28 offset:64
	s_waitcnt vmcnt(3)
	v_lshrrev_b32_e32 v63, 16, v10
	v_and_b32_e32 v10, 0xffff, v10
	v_lshrrev_b32_e32 v64, 16, v11
	v_and_b32_e32 v11, 0xffff, v11
	v_fmac_f32_e32 v41, v16, v17
	s_waitcnt lgkmcnt(0)
	v_lshrrev_b32_e32 v16, 16, v14
	v_and_b32_e32 v14, 0xffff, v14
	v_lshrrev_b32_e32 v17, 16, v15
	v_and_b32_e32 v15, 0xffff, v15
	v_fmac_f32_e32 v42, v19, v20
	v_fmac_f32_e32 v46, v21, v39
	;; [unrolled: 1-line block ×3, first 2 shown]
	;;#ASMSTART
	v_cvt_f32_f16 v14, v14;
	;;#ASMEND
	;;#ASMSTART
	v_cvt_f32_f16 v16, v16;
	;;#ASMEND
	;; [unrolled: 3-line block ×8, first 2 shown]
	ds_read_b64 v[10:11], v28 offset:72
	s_waitcnt vmcnt(2)
	v_lshrrev_b32_e32 v71, 16, v8
	v_fmac_f32_e32 v42, v14, v18
	v_and_b32_e32 v8, 0xffff, v8
	v_fmac_f32_e32 v46, v15, v20
	s_waitcnt lgkmcnt(0)
	v_lshrrev_b32_e32 v14, 16, v10
	v_and_b32_e32 v10, 0xffff, v10
	;;#ASMSTART
	v_cvt_f32_f16 v10, v10;
	;;#ASMEND
	;;#ASMSTART
	v_cvt_f32_f16 v14, v14;
	;;#ASMEND
	;; [unrolled: 3-line block ×3, first 2 shown]
	v_lshrrev_b32_e32 v8, 16, v11
	v_and_b32_e32 v11, 0xffff, v11
	v_fmac_f32_e32 v41, v16, v19
	v_fmac_f32_e32 v44, v17, v21
	;;#ASMSTART
	v_cvt_f32_f16 v16, v71;
	;;#ASMEND
	;;#ASMSTART
	v_cvt_f32_f16 v11, v11;
	;;#ASMEND
	;; [unrolled: 3-line block ×3, first 2 shown]
	v_lshrrev_b32_e32 v8, 16, v9
	v_and_b32_e32 v9, 0xffff, v9
	;;#ASMSTART
	v_cvt_f32_f16 v18, v9;
	;;#ASMEND
	;;#ASMSTART
	v_cvt_f32_f16 v19, v8;
	;;#ASMEND
	ds_read_b64 v[8:9], v28 offset:80
	v_fmac_f32_e32 v42, v10, v15
	v_fmac_f32_e32 v46, v11, v18
	s_waitcnt vmcnt(1)
	v_lshrrev_b32_e32 v11, 16, v6
	v_and_b32_e32 v6, 0xffff, v6
	s_waitcnt lgkmcnt(0)
	v_lshrrev_b32_e32 v10, 16, v8
	v_and_b32_e32 v8, 0xffff, v8
	v_fmac_f32_e32 v41, v14, v16
	;;#ASMSTART
	v_cvt_f32_f16 v8, v8;
	;;#ASMEND
	;;#ASMSTART
	v_cvt_f32_f16 v10, v10;
	;;#ASMEND
	;; [unrolled: 3-line block ×3, first 2 shown]
	v_lshrrev_b32_e32 v6, 16, v9
	v_and_b32_e32 v9, 0xffff, v9
	;;#ASMSTART
	v_cvt_f32_f16 v11, v11;
	;;#ASMEND
	;;#ASMSTART
	v_cvt_f32_f16 v9, v9;
	;;#ASMEND
	;; [unrolled: 3-line block ×3, first 2 shown]
	v_lshrrev_b32_e32 v6, 16, v7
	v_and_b32_e32 v7, 0xffff, v7
	v_fmac_f32_e32 v44, v17, v19
	;;#ASMSTART
	v_cvt_f32_f16 v16, v7;
	;;#ASMEND
	;;#ASMSTART
	v_cvt_f32_f16 v17, v6;
	;;#ASMEND
	ds_read_b64 v[6:7], v28 offset:88
	v_fmac_f32_e32 v42, v8, v14
	v_fmac_f32_e32 v46, v9, v16
	s_waitcnt vmcnt(0)
	v_lshrrev_b32_e32 v9, 16, v4
	v_and_b32_e32 v4, 0xffff, v4
	s_waitcnt lgkmcnt(0)
	v_lshrrev_b32_e32 v8, 16, v6
	v_and_b32_e32 v6, 0xffff, v6
	;;#ASMSTART
	v_cvt_f32_f16 v6, v6;
	;;#ASMEND
	;;#ASMSTART
	v_cvt_f32_f16 v8, v8;
	;;#ASMEND
	;; [unrolled: 3-line block ×3, first 2 shown]
	v_fmac_f32_e32 v41, v10, v11
	v_fmac_f32_e32 v42, v6, v4
	v_lshrrev_b32_e32 v4, 16, v7
	v_and_b32_e32 v6, 0xffff, v7
	v_fmac_f32_e32 v44, v15, v17
	;;#ASMSTART
	v_cvt_f32_f16 v9, v9;
	;;#ASMEND
	v_fmac_f32_e32 v41, v8, v9
	;;#ASMSTART
	v_cvt_f32_f16 v6, v6;
	;;#ASMEND
	;;#ASMSTART
	v_cvt_f32_f16 v4, v4;
	;;#ASMEND
	v_lshrrev_b32_e32 v7, 16, v5
	v_and_b32_e32 v5, 0xffff, v5
	;;#ASMSTART
	v_cvt_f32_f16 v5, v5;
	;;#ASMEND
	;;#ASMSTART
	v_cvt_f32_f16 v7, v7;
	;;#ASMEND
	v_fmac_f32_e32 v46, v6, v5
	v_fmac_f32_e32 v44, v4, v7
	v_add_f32_e32 v4, v42, v41
	v_add_f32_e32 v4, v4, v46
	v_cndmask_b32_e32 v5, v35, v36, vcc
	v_add_f32_e32 v4, v44, v4
	v_lshlrev_b32_e32 v5, 2, v5
	ds_bpermute_b32 v5, v5, v4
	s_and_saveexec_b64 s[44:45], s[2:3]
	s_cbranch_execz .LBB111_12
; %bb.18:                               ;   in Loop: Header=BB111_14 Depth=1
	v_add_u32_e32 v6, v33, v31
	v_cvt_f32_i32_e32 v6, v6
	s_waitcnt lgkmcnt(0)
	v_add_f32_e32 v4, v4, v5
	v_add_u32_e32 v7, v25, v31
	v_cmp_gt_i32_e32 vcc, s29, v7
	v_mul_f32_e32 v5, s50, v6
	v_cndmask_b32_e64 v5, 0, v5, s[4:5]
	v_fmac_f32_e32 v5, s39, v4
	v_cndmask_b32_e32 v4, 0, v5, vcc
	ds_write_b32 v32, v4
	v_max_f32_e32 v4, v29, v29
	v_max_f32_e32 v4, v4, v5
	v_cndmask_b32_e32 v29, v29, v4, vcc
	s_branch .LBB111_12
.LBB111_19:
	s_or_b64 exec, exec, s[42:43]
.LBB111_20:
	s_or_b64 exec, exec, s[40:41]
	v_mbcnt_hi_u32_b32 v4, -1, v24
	v_and_b32_e32 v2, 64, v4
	v_add_u32_e32 v9, 64, v2
	v_xor_b32_e32 v2, 32, v4
	v_cmp_lt_i32_e32 vcc, v2, v9
	v_cndmask_b32_e32 v2, v4, v2, vcc
	v_lshlrev_b32_e32 v2, 2, v2
	ds_bpermute_b32 v3, v2, v29
	v_xor_b32_e32 v6, 16, v4
	s_waitcnt lgkmcnt(1)
	v_max_f32_e32 v5, v29, v29
	v_cmp_lt_i32_e32 vcc, v6, v9
	v_xor_b32_e32 v7, 8, v4
	s_waitcnt lgkmcnt(0)
	v_max_f32_e32 v3, v3, v3
	v_max_f32_e32 v5, v5, v3
	v_cndmask_b32_e32 v3, v4, v6, vcc
	v_lshlrev_b32_e32 v3, 2, v3
	ds_bpermute_b32 v6, v3, v5
	v_cmp_lt_i32_e32 vcc, v7, v9
	v_xor_b32_e32 v8, 4, v4
	v_xor_b32_e32 v10, 2, v4
	v_and_b32_e32 v18, 63, v0
	s_waitcnt lgkmcnt(0)
	v_max_f32_e32 v6, v6, v6
	v_max_f32_e32 v6, v5, v6
	v_cndmask_b32_e32 v5, v4, v7, vcc
	v_lshlrev_b32_e32 v5, 2, v5
	ds_bpermute_b32 v7, v5, v6
	v_cmp_lt_i32_e32 vcc, v8, v9
	s_waitcnt lgkmcnt(0)
	v_max_f32_e32 v7, v7, v7
	v_max_f32_e32 v7, v6, v7
	v_cndmask_b32_e32 v6, v4, v8, vcc
	v_lshlrev_b32_e32 v6, 2, v6
	ds_bpermute_b32 v8, v6, v7
	v_cmp_lt_i32_e32 vcc, v10, v9
	s_waitcnt lgkmcnt(0)
	v_max_f32_e32 v8, v8, v8
	v_max_f32_e32 v8, v7, v8
	v_cndmask_b32_e32 v7, v4, v10, vcc
	v_lshlrev_b32_e32 v19, 2, v7
	ds_bpermute_b32 v10, v19, v8
	v_cmp_eq_u32_e32 vcc, 0, v18
	v_lshlrev_b32_e32 v7, 2, v23
	s_and_saveexec_b64 s[2:3], vcc
	s_cbranch_execz .LBB111_22
; %bb.21:
	s_waitcnt lgkmcnt(0)
	v_max_f32_e32 v10, v10, v10
	v_max_f32_e32 v8, v8, v8
	;; [unrolled: 1-line block ×3, first 2 shown]
	ds_write_b32 v7, v8 offset:192
.LBB111_22:
	s_or_b64 exec, exec, s[2:3]
	v_cmp_gt_u32_e64 s[2:3], 2, v18
	s_waitcnt lgkmcnt(0)
	v_mov_b32_e32 v10, 0xff7fffff
	v_lshlrev_b32_e32 v8, 2, v18
	s_barrier
	s_and_saveexec_b64 s[4:5], s[2:3]
	s_cbranch_execz .LBB111_24
; %bb.23:
	ds_read_b32 v10, v8 offset:192
.LBB111_24:
	s_or_b64 exec, exec, s[4:5]
	v_xor_b32_e32 v11, 1, v4
	v_cmp_lt_i32_e64 s[4:5], v11, v9
	v_cndmask_b32_e64 v9, v4, v11, s[4:5]
	v_lshlrev_b32_e32 v20, 2, v9
	s_waitcnt lgkmcnt(0)
	ds_bpermute_b32 v9, v20, v10
	v_max_f32_e32 v10, v10, v10
	v_lshlrev_b32_e32 v4, 2, v4
	s_sub_i32 s4, s48, s12
	s_lshl_b32 s4, s4, 5
	s_waitcnt lgkmcnt(0)
	v_max_f32_e32 v9, v9, v9
	v_max_f32_e32 v10, v10, v9
	v_and_b32_e32 v9, 0x100, v4
	ds_bpermute_b32 v4, v9, v10
	s_add_i32 s4, s4, s49
	s_min_i32 s15, s4, s29
	s_sub_i32 s12, s15, s49
	v_cmp_gt_i32_e64 s[4:5], s12, v0
	v_mov_b32_e32 v10, 0
	s_and_saveexec_b64 s[38:39], s[4:5]
	s_cbranch_execz .LBB111_28
; %bb.25:
	v_mov_b32_e32 v10, 0xd0
	v_lshl_add_u32 v11, v0, 2, v10
	s_mov_b64 s[40:41], 0
	v_mov_b32_e32 v10, 0
	v_mov_b32_e32 v14, v0
.LBB111_26:                             ; =>This Inner Loop Header: Depth=1
	ds_read_b32 v15, v11
	v_add_u32_e32 v14, 0x80, v14
	v_cmp_le_i32_e64 s[10:11], s12, v14
	s_or_b64 s[40:41], s[10:11], s[40:41]
	s_waitcnt lgkmcnt(0)
	v_sub_f32_e32 v15, v15, v4
	v_mul_f32_e32 v15, 0x3fb8aa3b, v15
	v_exp_f32_e32 v15, v15
	ds_write_b32 v11, v15
	v_add_f32_e32 v10, v10, v15
	v_add_u32_e32 v11, 0x200, v11
	s_andn2_b64 exec, exec, s[40:41]
	s_cbranch_execnz .LBB111_26
; %bb.27:
	s_or_b64 exec, exec, s[40:41]
.LBB111_28:
	s_or_b64 exec, exec, s[38:39]
	ds_bpermute_b32 v2, v2, v10
	s_waitcnt lgkmcnt(0)
	v_add_f32_e32 v2, v10, v2
	ds_bpermute_b32 v3, v3, v2
	s_waitcnt lgkmcnt(0)
	v_add_f32_e32 v2, v2, v3
	;; [unrolled: 3-line block ×6, first 2 shown]
	s_and_saveexec_b64 s[10:11], vcc
	s_cbranch_execz .LBB111_30
; %bb.29:
	ds_write_b32 v7, v2 offset:200
.LBB111_30:
	s_or_b64 exec, exec, s[10:11]
	s_waitcnt lgkmcnt(0)
	s_barrier
	s_and_saveexec_b64 s[10:11], s[2:3]
	s_cbranch_execz .LBB111_32
; %bb.31:
	ds_read_b32 v2, v8 offset:200
.LBB111_32:
	s_or_b64 exec, exec, s[10:11]
	s_waitcnt lgkmcnt(0)
	ds_bpermute_b32 v3, v20, v2
	s_waitcnt lgkmcnt(0)
	v_add_f32_e32 v2, v2, v3
	ds_bpermute_b32 v5, v9, v2
	s_and_saveexec_b64 s[2:3], s[4:5]
	s_cbranch_execz .LBB111_45
; %bb.33:
	s_waitcnt lgkmcnt(0)
	v_add_f32_e32 v2, 0x358637bd, v5
	v_div_scale_f32 v3, s[4:5], v2, v2, 1.0
	v_rcp_f32_e32 v6, v3
	v_div_scale_f32 v7, vcc, 1.0, v2, 1.0
	s_movk_i32 s4, 0x7f
	v_fma_f32 v8, -v3, v6, 1.0
	v_fmac_f32_e32 v6, v8, v6
	v_mul_f32_e32 v8, v7, v6
	v_fma_f32 v9, -v3, v8, v7
	v_fmac_f32_e32 v8, v9, v6
	v_fma_f32 v3, -v3, v8, v7
	v_div_fmas_f32 v3, v3, v6, v8
	v_div_fixup_f32 v2, v3, v2, 1.0
	v_xad_u32 v3, v0, -1, s15
	v_subrev_u32_e32 v6, s49, v3
	v_cmp_lt_u32_e32 vcc, s4, v6
	s_mov_b64 s[10:11], -1
	v_mov_b32_e32 v3, v0
	s_and_saveexec_b64 s[4:5], vcc
	s_cbranch_execz .LBB111_42
; %bb.34:
	v_lshrrev_b32_e32 v6, 7, v6
	v_add_u32_e32 v8, -1, v6
	v_lshrrev_b32_e32 v7, 1, v8
	v_mov_b32_e32 v3, v2
	v_add_u32_e32 v7, 1, v7
	v_cmp_lt_u32_e32 vcc, 13, v8
	v_mov_b32_e32 v10, 0
	s_and_saveexec_b64 s[10:11], vcc
	s_cbranch_execz .LBB111_38
; %bb.35:
	v_mov_b32_e32 v9, 0xd0
	v_and_b32_e32 v8, -8, v7
	v_lshl_add_u32 v9, v0, 2, v9
	s_mov_b32 s15, 0
	s_mov_b64 s[38:39], 0
.LBB111_36:                             ; =>This Inner Loop Header: Depth=1
	ds_read2st64_b32 v[10:11], v9 offset1:2
	ds_read2st64_b32 v[14:15], v9 offset0:4 offset1:6
	ds_read2st64_b32 v[16:17], v9 offset0:8 offset1:10
	;; [unrolled: 1-line block ×3, first 2 shown]
	v_add_u32_e32 v8, -8, v8
	s_waitcnt lgkmcnt(3)
	v_pk_mul_f32 v[10:11], v[2:3], v[10:11]
	s_waitcnt lgkmcnt(2)
	v_pk_mul_f32 v[14:15], v[2:3], v[14:15]
	ds_write2st64_b32 v9, v10, v11 offset1:2
	ds_write2st64_b32 v9, v14, v15 offset0:4 offset1:6
	ds_read2st64_b32 v[14:15], v9 offset0:16 offset1:18
	s_waitcnt lgkmcnt(4)
	v_pk_mul_f32 v[10:11], v[2:3], v[16:17]
	ds_write2st64_b32 v9, v10, v11 offset0:8 offset1:10
	s_waitcnt lgkmcnt(4)
	v_pk_mul_f32 v[10:11], v[2:3], v[24:25]
	ds_write2st64_b32 v9, v10, v11 offset0:12 offset1:14
	ds_read2st64_b32 v[10:11], v9 offset0:20 offset1:22
	s_waitcnt lgkmcnt(3)
	v_pk_mul_f32 v[14:15], v[2:3], v[14:15]
	ds_read2st64_b32 v[16:17], v9 offset0:24 offset1:26
	ds_write2st64_b32 v9, v14, v15 offset0:16 offset1:18
	ds_read2st64_b32 v[14:15], v9 offset0:28 offset1:30
	s_waitcnt lgkmcnt(3)
	v_pk_mul_f32 v[10:11], v[2:3], v[10:11]
	ds_write2st64_b32 v9, v10, v11 offset0:20 offset1:22
	s_waitcnt lgkmcnt(3)
	v_pk_mul_f32 v[10:11], v[2:3], v[16:17]
	ds_write2st64_b32 v9, v10, v11 offset0:24 offset1:26
	s_waitcnt lgkmcnt(2)
	v_pk_mul_f32 v[10:11], v[2:3], v[14:15]
	s_add_i32 s15, s15, 16
	v_cmp_eq_u32_e32 vcc, 0, v8
	ds_write2st64_b32 v9, v10, v11 offset0:28 offset1:30
	v_add_u32_e32 v9, 0x2000, v9
	s_or_b64 s[38:39], vcc, s[38:39]
	v_mov_b32_e32 v10, s15
	s_andn2_b64 exec, exec, s[38:39]
	s_cbranch_execnz .LBB111_36
; %bb.37:
	s_or_b64 exec, exec, s[38:39]
.LBB111_38:
	s_or_b64 exec, exec, s[10:11]
	v_and_b32_e32 v7, 7, v7
	v_cmp_ne_u32_e32 vcc, 0, v7
	s_and_saveexec_b64 s[10:11], vcc
	s_cbranch_execz .LBB111_41
; %bb.39:
	v_lshlrev_b32_e32 v8, 9, v10
	v_lshlrev_b32_e32 v9, 2, v0
	s_movk_i32 s15, 0xd0
	v_add3_u32 v8, v8, v9, s15
	s_mov_b64 s[38:39], 0
.LBB111_40:                             ; =>This Inner Loop Header: Depth=1
	ds_read2st64_b32 v[10:11], v8 offset1:2
	v_add_u32_e32 v7, -1, v7
	v_cmp_eq_u32_e32 vcc, 0, v7
	s_or_b64 s[38:39], vcc, s[38:39]
	s_waitcnt lgkmcnt(0)
	v_pk_mul_f32 v[10:11], v[2:3], v[10:11]
	ds_write2st64_b32 v8, v10, v11 offset1:2
	v_add_u32_e32 v8, 0x400, v8
	s_andn2_b64 exec, exec, s[38:39]
	s_cbranch_execnz .LBB111_40
.LBB111_41:
	s_or_b64 exec, exec, s[10:11]
	v_add_u32_e32 v6, 1, v6
	v_and_b32_e32 v7, 0x3fffffe, v6
	v_cmp_ne_u32_e32 vcc, v6, v7
	v_lshl_add_u32 v3, v7, 7, v0
	s_orn2_b64 s[10:11], vcc, exec
.LBB111_42:
	s_or_b64 exec, exec, s[4:5]
	s_and_b64 exec, exec, s[10:11]
	s_cbranch_execz .LBB111_45
; %bb.43:
	v_mov_b32_e32 v6, 0xd0
	v_lshl_add_u32 v6, v3, 2, v6
	s_mov_b64 s[4:5], 0
.LBB111_44:                             ; =>This Inner Loop Header: Depth=1
	ds_read_b32 v7, v6
	v_add_u32_e32 v3, 0x80, v3
	v_cmp_le_i32_e32 vcc, s12, v3
	s_or_b64 s[4:5], vcc, s[4:5]
	s_waitcnt lgkmcnt(0)
	v_mul_f32_e32 v7, v2, v7
	ds_write_b32 v6, v7
	v_add_u32_e32 v6, 0x200, v6
	s_andn2_b64 exec, exec, s[4:5]
	s_cbranch_execnz .LBB111_44
.LBB111_45:
	s_or_b64 exec, exec, s[2:3]
	s_mul_i32 s2, s19, s28
	v_cmp_eq_u32_e32 vcc, 0, v0
	s_mul_i32 s2, s2, s9
	s_waitcnt lgkmcnt(0)
	s_barrier
	s_and_saveexec_b64 s[4:5], vcc
	s_cbranch_execz .LBB111_47
; %bb.46:
	s_ashr_i32 s3, s2, 31
	s_lshl_b64 s[10:11], s[2:3], 2
	s_add_u32 s3, s22, s10
	s_mul_i32 s22, s19, s6
	s_addc_u32 s9, s23, s11
	s_ashr_i32 s23, s22, 31
	s_lshl_b64 s[22:23], s[22:23], 2
	s_add_u32 s3, s3, s22
	s_addc_u32 s6, s9, s23
	s_ashr_i32 s9, s8, 31
	s_lshl_b64 s[38:39], s[8:9], 2
	s_add_u32 s40, s3, s38
	s_addc_u32 s41, s6, s39
	s_add_u32 s3, s20, s10
	s_addc_u32 s6, s21, s11
	;; [unrolled: 2-line block ×3, first 2 shown]
	s_add_u32 s10, s3, s38
	v_mov_b32_e32 v2, 0
	s_addc_u32 s11, s6, s39
	global_store_dword v2, v4, s[40:41]
	global_store_dword v2, v5, s[10:11]
.LBB111_47:
	s_or_b64 exec, exec, s[4:5]
	s_mov_b32 s12, 0
	v_mov_b32_e32 v7, 0
	v_and_b32_e32 v21, 3, v0
	v_mov_b32_e32 v6, 0
	v_mov_b32_e32 v5, 0
	;; [unrolled: 1-line block ×5, first 2 shown]
	s_and_saveexec_b64 s[4:5], s[0:1]
	s_cbranch_execz .LBB111_65
; %bb.48:
	s_ashr_i32 s15, s14, 31
	s_sub_i32 s3, s16, s17
	s_lshl_b64 s[0:1], s[14:15], 1
	s_add_u32 s20, s36, s0
	s_addc_u32 s21, s37, s1
	s_abs_i32 s18, s18
	v_cvt_f32_u32_e32 v2, s18
	s_sub_i32 s0, 0, s18
	s_add_i32 s22, s7, -1
	v_and_b32_e32 v24, 24, v22
	v_rcp_iflag_f32_e32 v2, v2
	v_and_b32_e32 v8, 0x1f8, v22
	s_mov_b32 s9, s13
	s_mov_b32 s13, s12
	v_mul_f32_e32 v2, 0x4f7ffffe, v2
	v_cvt_u32_f32_e32 v2, v2
	v_or_b32_e32 v10, 0x800, v8
	v_or_b32_e32 v16, 0xa00, v8
	s_mov_b32 s14, s12
	v_mul_lo_u32 v3, s0, v2
	v_mul_hi_u32 v3, v2, v3
	s_lshl_b64 s[0:1], s[34:35], 2
	v_add_u32_e32 v22, v2, v3
	v_lshlrev_b64 v[2:3], 2, v[12:13]
	s_add_u32 s0, s30, s0
	s_addc_u32 s1, s31, s1
	v_add_co_u32_e32 v14, vcc, s0, v2
	v_lshlrev_b32_e32 v2, 5, v21
	v_mov_b32_e32 v4, s1
	v_lshl_or_b32 v2, v23, 7, v2
	v_addc_co_u32_e32 v15, vcc, v4, v3, vcc
	v_add_u32_e32 v13, 0xd0, v2
	s_mov_b32 s15, s12
	s_mov_b32 s16, s12
	;; [unrolled: 1-line block ×3, first 2 shown]
	v_pk_mov_b32 v[2:3], s[12:13], s[12:13] op_sel:[0,1]
	s_mov_b32 s23, s29
	s_mov_b32 s28, s29
	;; [unrolled: 1-line block ×7, first 2 shown]
	s_mov_b64 s[6:7], 0
	v_pk_mov_b32 v[4:5], s[14:15], s[14:15] op_sel:[0,1]
	v_pk_mov_b32 v[6:7], s[16:17], s[16:17] op_sel:[0,1]
	v_lshlrev_b32_e32 v23, 1, v8
	s_mov_b32 s14, 0x5040100
	v_lshlrev_b32_e32 v25, 1, v10
	v_lshlrev_b32_e32 v26, 1, v16
	s_branch .LBB111_51
.LBB111_49:                             ;   in Loop: Header=BB111_51 Depth=1
	s_or_b64 exec, exec, s[0:1]
	s_waitcnt vmcnt(0)
	;;#ASMSTART
	v_pk_mul_f16 v8, v40, v8;

	;;#ASMEND
	;;#ASMSTART
	v_pk_mul_f16 v9, v39, v9;

	;;#ASMEND
	;; [unrolled: 4-line block ×4, first 2 shown]
	;;#ASMSTART
	v_pk_add_f16 v8, v8, v9;

	;;#ASMEND
	;;#ASMSTART
	v_pk_add_f16 v8, v8, v10;

	;;#ASMEND
	;; [unrolled: 4-line block ×3, first 2 shown]
	v_add_f32_e32 v27, v41, v42
	v_lshrrev_b32_e32 v9, 16, v8
	v_and_b32_e32 v8, 0xffff, v8
	v_add_f32_e32 v2, v2, v27
	v_add_f32_e32 v27, v43, v44
	;; [unrolled: 1-line block ×3, first 2 shown]
	;;#ASMSTART
	v_cvt_f32_f16 v8, v8;
	;;#ASMEND
	v_add_f32_e32 v3, v3, v27
	v_add_f32_e32 v27, v45, v46
	;; [unrolled: 1-line block ×4, first 2 shown]
	;;#ASMSTART
	v_cvt_f32_f16 v9, v9;
	;;#ASMEND
	v_add_f32_e32 v8, v8, v9
	v_add_f32_e32 v4, v4, v27
	;; [unrolled: 1-line block ×4, first 2 shown]
.LBB111_50:                             ;   in Loop: Header=BB111_51 Depth=1
	s_or_b64 exec, exec, s[10:11]
	v_add_co_u32_e32 v14, vcc, 8, v14
	v_add_u32_e32 v12, 2, v12
	v_addc_co_u32_e32 v15, vcc, 0, v15, vcc
	v_cmp_le_i32_e32 vcc, s48, v12
	v_add_u32_e32 v1, 64, v1
	s_or_b64 s[6:7], vcc, s[6:7]
	v_add_u32_e32 v13, 0x100, v13
	s_andn2_b64 exec, exec, s[6:7]
	s_cbranch_execz .LBB111_64
.LBB111_51:                             ; =>This Inner Loop Header: Depth=1
	v_sub_u32_e32 v9, 0, v1
	v_max_i32_e32 v9, v1, v9
	v_mul_hi_u32 v10, v9, s33
	v_mul_lo_u32 v11, v10, s25
	v_sub_u32_e32 v9, v9, v11
	v_add_u32_e32 v11, 1, v10
	v_cmp_le_u32_e32 vcc, s25, v9
	v_cndmask_b32_e32 v10, v10, v11, vcc
	v_subrev_u32_e32 v11, s25, v9
	v_cndmask_b32_e32 v9, v9, v11, vcc
	v_ashrrev_i32_e32 v8, 31, v1
	v_add_u32_e32 v11, 1, v10
	v_cmp_le_u32_e32 vcc, s25, v9
	v_xor_b32_e32 v8, s47, v8
	v_cndmask_b32_e32 v9, v10, v11, vcc
	v_xor_b32_e32 v9, v9, v8
	v_sub_u32_e32 v8, v9, v8
	v_add_u32_e32 v9, s46, v8
	v_sub_u32_e32 v11, 0, v9
	v_ashrrev_i32_e32 v10, 31, v9
	v_max_i32_e32 v9, v9, v11
	v_mul_hi_u32 v11, v9, v22
	v_mul_lo_u32 v11, v11, s18
	v_sub_u32_e32 v9, v9, v11
	v_subrev_u32_e32 v11, s18, v9
	v_cmp_le_u32_e32 vcc, s18, v9
	v_cndmask_b32_e32 v9, v9, v11, vcc
	v_subrev_u32_e32 v11, s18, v9
	v_cmp_le_u32_e32 vcc, s18, v9
	v_cndmask_b32_e32 v9, v9, v11, vcc
	v_xor_b32_e32 v9, v9, v10
	v_sub_u32_e32 v9, v9, v10
	v_cmp_eq_u32_e32 vcc, 0, v9
	v_cmp_lt_i32_e64 s[0:1], s3, v8
	s_or_b64 s[0:1], vcc, s[0:1]
	s_and_saveexec_b64 s[10:11], s[0:1]
	s_cbranch_execz .LBB111_50
; %bb.52:                               ;   in Loop: Header=BB111_51 Depth=1
	global_load_dword v16, v[14:15], off
	ds_read2_b64 v[8:11], v13 offset1:1
	ds_read2_b64 v[28:31], v13 offset0:2 offset1:3
	v_mov_b32_e32 v17, s21
	v_add_u32_e32 v27, v24, v1
	s_waitcnt lgkmcnt(1)
	;;#ASMSTART
	v_cvt_f16_f32 v35, v8;

	;;#ASMEND
	;;#ASMSTART
	v_cvt_f16_f32 v36, v9;

	;;#ASMEND
	;; [unrolled: 4-line block ×4, first 2 shown]
	s_waitcnt lgkmcnt(0)
	;;#ASMSTART
	v_cvt_f16_f32 v42, v28;

	;;#ASMEND
	;;#ASMSTART
	v_cvt_f16_f32 v43, v29;

	;;#ASMEND
	;; [unrolled: 4-line block ×4, first 2 shown]
	v_add_u32_e32 v28, 1, v27
	v_or_b32_e32 v30, 3, v27
	v_or_b32_e32 v29, 2, v27
	;; [unrolled: 1-line block ×6, first 2 shown]
	s_waitcnt vmcnt(0)
	v_mad_i64_i32 v[8:9], s[0:1], v16, s9, 0
	v_lshlrev_b64 v[8:9], 1, v[8:9]
	v_add_co_u32_e32 v37, vcc, s20, v8
	v_addc_co_u32_e32 v38, vcc, v17, v9, vcc
	v_add_co_u32_e32 v16, vcc, v37, v23
	v_addc_co_u32_e32 v17, vcc, 0, v38, vcc
	global_load_dwordx4 v[8:11], v[16:17], off
	v_cmp_eq_u32_e32 vcc, s22, v12
	s_and_saveexec_b64 s[12:13], vcc
	s_cbranch_execz .LBB111_54
; %bb.53:                               ;   in Loop: Header=BB111_51 Depth=1
	s_waitcnt vmcnt(0)
	v_lshrrev_b32_e32 v40, 16, v11
	v_cmp_gt_i32_e64 s[0:1], s40, v34
	v_cndmask_b32_e64 v40, 0, v40, s[0:1]
	v_cmp_gt_i32_e64 s[0:1], s39, v33
	v_cndmask_b32_e64 v11, 0, v11, s[0:1]
	v_perm_b32 v11, v40, v11, s14
	v_lshrrev_b32_e32 v40, 16, v10
	v_cmp_gt_i32_e64 s[0:1], s38, v32
	v_cndmask_b32_e64 v40, 0, v40, s[0:1]
	v_cmp_gt_i32_e64 s[0:1], s37, v31
	v_cndmask_b32_e64 v10, 0, v10, s[0:1]
	v_perm_b32 v10, v40, v10, s14
	;; [unrolled: 6-line block ×4, first 2 shown]
.LBB111_54:                             ;   in Loop: Header=BB111_51 Depth=1
	s_or_b64 exec, exec, s[12:13]
	v_and_b32_e32 v35, 0xffff, v35
	v_lshl_or_b32 v40, v36, 16, v35
	v_and_b32_e32 v35, 0xffff, v39
	v_lshl_or_b32 v39, v41, 16, v35
	;; [unrolled: 2-line block ×3, first 2 shown]
	v_and_b32_e32 v35, 0xffff, v44
	s_waitcnt vmcnt(0)
	;;#ASMSTART
	v_pk_mul_f16 v8, v40, v8;

	;;#ASMEND
	v_lshl_or_b32 v35, v45, 16, v35
	;;#ASMSTART
	v_pk_mul_f16 v9, v39, v9;

	;;#ASMEND
	;;#ASMSTART
	v_pk_mul_f16 v10, v36, v10;

	;;#ASMEND
	;; [unrolled: 4-line block ×3, first 2 shown]
	;;#ASMSTART
	v_pk_add_f16 v8, v8, v9;

	;;#ASMEND
	;;#ASMSTART
	v_pk_add_f16 v8, v8, v10;

	;;#ASMEND
	;; [unrolled: 4-line block ×3, first 2 shown]
	v_lshrrev_b32_e32 v9, 16, v8
	v_and_b32_e32 v8, 0xffff, v8
	;;#ASMSTART
	v_cvt_f32_f16 v41, v8;
	;;#ASMEND
	;;#ASMSTART
	v_cvt_f32_f16 v42, v9;
	;;#ASMEND
	global_load_dwordx4 v[8:11], v[16:17], off offset:1024
	s_and_saveexec_b64 s[12:13], vcc
	s_cbranch_execz .LBB111_56
; %bb.55:                               ;   in Loop: Header=BB111_51 Depth=1
	s_waitcnt vmcnt(0)
	v_lshrrev_b32_e32 v43, 16, v11
	v_cmp_gt_i32_e64 s[0:1], s40, v34
	v_cndmask_b32_e64 v43, 0, v43, s[0:1]
	v_cmp_gt_i32_e64 s[0:1], s39, v33
	v_cndmask_b32_e64 v11, 0, v11, s[0:1]
	v_perm_b32 v11, v43, v11, s14
	v_lshrrev_b32_e32 v43, 16, v10
	v_cmp_gt_i32_e64 s[0:1], s38, v32
	v_cndmask_b32_e64 v43, 0, v43, s[0:1]
	v_cmp_gt_i32_e64 s[0:1], s37, v31
	v_cndmask_b32_e64 v10, 0, v10, s[0:1]
	v_perm_b32 v10, v43, v10, s14
	;; [unrolled: 6-line block ×4, first 2 shown]
.LBB111_56:                             ;   in Loop: Header=BB111_51 Depth=1
	s_or_b64 exec, exec, s[12:13]
	s_waitcnt vmcnt(0)
	;;#ASMSTART
	v_pk_mul_f16 v8, v40, v8;

	;;#ASMEND
	;;#ASMSTART
	v_pk_mul_f16 v9, v39, v9;

	;;#ASMEND
	;; [unrolled: 4-line block ×4, first 2 shown]
	;;#ASMSTART
	v_pk_add_f16 v8, v8, v9;

	;;#ASMEND
	;;#ASMSTART
	v_pk_add_f16 v8, v8, v10;

	;;#ASMEND
	;; [unrolled: 4-line block ×3, first 2 shown]
	v_lshrrev_b32_e32 v9, 16, v8
	v_and_b32_e32 v8, 0xffff, v8
	;;#ASMSTART
	v_cvt_f32_f16 v43, v8;
	;;#ASMEND
	;;#ASMSTART
	v_cvt_f32_f16 v44, v9;
	;;#ASMEND
	global_load_dwordx4 v[8:11], v[16:17], off offset:2048
	s_and_saveexec_b64 s[12:13], vcc
	s_cbranch_execz .LBB111_58
; %bb.57:                               ;   in Loop: Header=BB111_51 Depth=1
	s_waitcnt vmcnt(0)
	v_lshrrev_b32_e32 v45, 16, v11
	v_cmp_gt_i32_e64 s[0:1], s40, v34
	v_cndmask_b32_e64 v45, 0, v45, s[0:1]
	v_cmp_gt_i32_e64 s[0:1], s39, v33
	v_cndmask_b32_e64 v11, 0, v11, s[0:1]
	v_perm_b32 v11, v45, v11, s14
	v_lshrrev_b32_e32 v45, 16, v10
	v_cmp_gt_i32_e64 s[0:1], s38, v32
	v_cndmask_b32_e64 v45, 0, v45, s[0:1]
	v_cmp_gt_i32_e64 s[0:1], s37, v31
	v_cndmask_b32_e64 v10, 0, v10, s[0:1]
	v_perm_b32 v10, v45, v10, s14
	;; [unrolled: 6-line block ×4, first 2 shown]
.LBB111_58:                             ;   in Loop: Header=BB111_51 Depth=1
	s_or_b64 exec, exec, s[12:13]
	s_waitcnt vmcnt(0)
	;;#ASMSTART
	v_pk_mul_f16 v8, v40, v8;

	;;#ASMEND
	;;#ASMSTART
	v_pk_mul_f16 v9, v39, v9;

	;;#ASMEND
	;; [unrolled: 4-line block ×4, first 2 shown]
	;;#ASMSTART
	v_pk_add_f16 v8, v8, v9;

	;;#ASMEND
	;;#ASMSTART
	v_pk_add_f16 v8, v8, v10;

	;;#ASMEND
	;; [unrolled: 4-line block ×3, first 2 shown]
	v_lshrrev_b32_e32 v9, 16, v8
	v_and_b32_e32 v8, 0xffff, v8
	;;#ASMSTART
	v_cvt_f32_f16 v45, v8;
	;;#ASMEND
	;;#ASMSTART
	v_cvt_f32_f16 v46, v9;
	;;#ASMEND
	global_load_dwordx4 v[8:11], v[16:17], off offset:3072
	s_and_saveexec_b64 s[12:13], vcc
	s_cbranch_execz .LBB111_60
; %bb.59:                               ;   in Loop: Header=BB111_51 Depth=1
	s_waitcnt vmcnt(0)
	v_lshrrev_b32_e32 v16, 16, v11
	v_cmp_gt_i32_e64 s[0:1], s40, v34
	v_cndmask_b32_e64 v16, 0, v16, s[0:1]
	v_cmp_gt_i32_e64 s[0:1], s39, v33
	v_cndmask_b32_e64 v11, 0, v11, s[0:1]
	v_perm_b32 v11, v16, v11, s14
	v_lshrrev_b32_e32 v16, 16, v10
	v_cmp_gt_i32_e64 s[0:1], s38, v32
	v_cndmask_b32_e64 v16, 0, v16, s[0:1]
	v_cmp_gt_i32_e64 s[0:1], s37, v31
	v_cndmask_b32_e64 v10, 0, v10, s[0:1]
	v_perm_b32 v10, v16, v10, s14
	;; [unrolled: 6-line block ×4, first 2 shown]
.LBB111_60:                             ;   in Loop: Header=BB111_51 Depth=1
	s_or_b64 exec, exec, s[12:13]
	s_waitcnt vmcnt(0)
	;;#ASMSTART
	v_pk_mul_f16 v8, v40, v8;

	;;#ASMEND
	;;#ASMSTART
	v_pk_mul_f16 v9, v39, v9;

	;;#ASMEND
	;; [unrolled: 4-line block ×4, first 2 shown]
	;;#ASMSTART
	v_pk_add_f16 v8, v8, v9;

	;;#ASMEND
	;;#ASMSTART
	v_pk_add_f16 v8, v8, v10;

	;;#ASMEND
	;; [unrolled: 4-line block ×3, first 2 shown]
	v_lshrrev_b32_e32 v9, 16, v8
	v_and_b32_e32 v8, 0xffff, v8
	;;#ASMSTART
	v_cvt_f32_f16 v16, v8;
	;;#ASMEND
	v_add_co_u32_e64 v8, s[0:1], v37, v25
	;;#ASMSTART
	v_cvt_f32_f16 v17, v9;
	;;#ASMEND
	v_addc_co_u32_e64 v9, s[0:1], 0, v38, s[0:1]
	global_load_dwordx4 v[8:11], v[8:9], off
	s_and_saveexec_b64 s[12:13], vcc
	s_cbranch_execz .LBB111_62
; %bb.61:                               ;   in Loop: Header=BB111_51 Depth=1
	s_waitcnt vmcnt(0)
	v_lshrrev_b32_e32 v47, 16, v11
	v_cmp_gt_i32_e64 s[0:1], s40, v34
	v_cndmask_b32_e64 v47, 0, v47, s[0:1]
	v_cmp_gt_i32_e64 s[0:1], s39, v33
	v_cndmask_b32_e64 v11, 0, v11, s[0:1]
	v_perm_b32 v11, v47, v11, s14
	v_lshrrev_b32_e32 v47, 16, v10
	v_cmp_gt_i32_e64 s[0:1], s38, v32
	v_cndmask_b32_e64 v47, 0, v47, s[0:1]
	v_cmp_gt_i32_e64 s[0:1], s37, v31
	v_cndmask_b32_e64 v10, 0, v10, s[0:1]
	v_perm_b32 v10, v47, v10, s14
	;; [unrolled: 6-line block ×4, first 2 shown]
.LBB111_62:                             ;   in Loop: Header=BB111_51 Depth=1
	s_or_b64 exec, exec, s[12:13]
	s_waitcnt vmcnt(0)
	;;#ASMSTART
	v_pk_mul_f16 v8, v40, v8;

	;;#ASMEND
	;;#ASMSTART
	v_pk_mul_f16 v9, v39, v9;

	;;#ASMEND
	;;#ASMSTART
	v_pk_mul_f16 v10, v36, v10;

	;;#ASMEND
	;;#ASMSTART
	v_pk_mul_f16 v11, v35, v11;

	;;#ASMEND
	;;#ASMSTART
	v_pk_add_f16 v8, v8, v9;

	;;#ASMEND
	;;#ASMSTART
	v_pk_add_f16 v8, v8, v10;

	;;#ASMEND
	;; [unrolled: 4-line block ×3, first 2 shown]
	v_lshrrev_b32_e32 v9, 16, v8
	v_and_b32_e32 v8, 0xffff, v8
	;;#ASMSTART
	v_cvt_f32_f16 v47, v8;
	;;#ASMEND
	v_add_co_u32_e64 v8, s[0:1], v37, v26
	;;#ASMSTART
	v_cvt_f32_f16 v48, v9;
	;;#ASMEND
	v_addc_co_u32_e64 v9, s[0:1], 0, v38, s[0:1]
	global_load_dwordx4 v[8:11], v[8:9], off
	s_and_saveexec_b64 s[0:1], vcc
	s_cbranch_execz .LBB111_49
; %bb.63:                               ;   in Loop: Header=BB111_51 Depth=1
	s_waitcnt vmcnt(0)
	v_lshrrev_b32_e32 v37, 16, v11
	v_cmp_gt_i32_e32 vcc, s40, v34
	v_cndmask_b32_e32 v34, 0, v37, vcc
	v_cmp_gt_i32_e32 vcc, s39, v33
	v_cndmask_b32_e32 v11, 0, v11, vcc
	v_lshrrev_b32_e32 v33, 16, v10
	v_cmp_gt_i32_e32 vcc, s38, v32
	v_cndmask_b32_e32 v32, 0, v33, vcc
	v_cmp_gt_i32_e32 vcc, s37, v31
	v_cndmask_b32_e32 v10, 0, v10, vcc
	;; [unrolled: 5-line block ×4, first 2 shown]
	v_perm_b32 v11, v34, v11, s14
	v_perm_b32 v10, v32, v10, s14
	;; [unrolled: 1-line block ×4, first 2 shown]
	s_branch .LBB111_49
.LBB111_64:
	s_or_b64 exec, exec, s[6:7]
.LBB111_65:
	s_or_b64 exec, exec, s[4:5]
	ds_bpermute_b32 v8, v19, v2
	ds_bpermute_b32 v9, v19, v3
	;; [unrolled: 1-line block ×6, first 2 shown]
	s_waitcnt lgkmcnt(4)
	v_pk_add_f32 v[2:3], v[2:3], v[8:9]
	ds_bpermute_b32 v8, v20, v2
	s_waitcnt lgkmcnt(3)
	v_pk_add_f32 v[4:5], v[4:5], v[10:11]
	ds_bpermute_b32 v9, v20, v3
	;; [unrolled: 3-line block ×3, first 2 shown]
	ds_bpermute_b32 v11, v20, v5
	ds_bpermute_b32 v14, v20, v12
	;; [unrolled: 1-line block ×3, first 2 shown]
	v_and_b32_e32 v1, 0x3c3, v0
	s_waitcnt lgkmcnt(4)
	v_pk_add_f32 v[6:7], v[2:3], v[8:9]
	s_waitcnt lgkmcnt(2)
	v_pk_add_f32 v[4:5], v[4:5], v[10:11]
	v_cmp_eq_u32_e32 vcc, 64, v1
	s_waitcnt lgkmcnt(0)
	v_pk_add_f32 v[2:3], v[12:13], v[14:15]
	s_barrier
	s_and_saveexec_b64 s[0:1], vcc
	s_cbranch_execz .LBB111_67
; %bb.66:
	v_add_u32_e32 v8, 0xd0, v18
	ds_write2_b32 v8, v6, v7 offset1:16
	ds_write2_b32 v8, v4, v5 offset0:32 offset1:48
	ds_write2_b32 v8, v2, v3 offset0:64 offset1:80
.LBB111_67:
	s_or_b64 exec, exec, s[0:1]
	v_cmp_gt_u32_e32 vcc, 64, v0
	s_waitcnt lgkmcnt(0)
	s_barrier
	s_and_saveexec_b64 s[0:1], vcc
	s_cbranch_execz .LBB111_76
; %bb.68:
	v_cmp_eq_u32_e32 vcc, 0, v21
	v_lshrrev_b32_e32 v8, 2, v0
	s_and_saveexec_b64 s[4:5], vcc
	s_cbranch_execnz .LBB111_79
; %bb.69:
	s_or_b64 exec, exec, s[4:5]
	s_and_saveexec_b64 s[4:5], vcc
	s_cbranch_execnz .LBB111_80
.LBB111_70:
	s_or_b64 exec, exec, s[4:5]
	s_and_saveexec_b64 s[4:5], vcc
	s_cbranch_execnz .LBB111_81
.LBB111_71:
	s_or_b64 exec, exec, s[4:5]
	s_and_saveexec_b64 s[4:5], vcc
	s_cbranch_execnz .LBB111_82
.LBB111_72:
	s_or_b64 exec, exec, s[4:5]
	s_and_saveexec_b64 s[4:5], vcc
	s_cbranch_execnz .LBB111_83
.LBB111_73:
	s_or_b64 exec, exec, s[4:5]
	s_and_saveexec_b64 s[4:5], vcc
	s_cbranch_execz .LBB111_75
.LBB111_74:
	v_mov_b32_e32 v9, 0xd0
	v_lshl_add_u32 v8, v8, 2, v9
	ds_read_b32 v8, v8 offset:320
	s_waitcnt lgkmcnt(0)
	v_add_f32_e32 v3, v3, v8
.LBB111_75:
	s_or_b64 exec, exec, s[4:5]
.LBB111_76:
	s_or_b64 exec, exec, s[0:1]
	v_cmp_eq_u32_e32 vcc, 0, v1
	s_barrier
	s_and_saveexec_b64 s[0:1], vcc
	s_cbranch_execz .LBB111_78
; %bb.77:
	s_mul_i32 s0, s2, 0x60
	s_ashr_i32 s1, s0, 31
	s_lshl_b64 s[0:1], s[0:1], 1
	s_add_u32 s2, s26, s0
	s_mul_i32 s0, s19, s24
	s_addc_u32 s3, s27, s1
	s_ashr_i32 s1, s0, 31
	s_lshl_b64 s[0:1], s[0:1], 1
	s_add_u32 s2, s2, s0
	s_mul_i32 s0, s8, 0x60
	s_addc_u32 s3, s3, s1
	s_ashr_i32 s1, s0, 31
	s_lshl_b64 s[0:1], s[0:1], 1
	s_add_u32 s0, s2, s0
	s_addc_u32 s1, s3, s1
	v_lshrrev_b32_e32 v0, 1, v0
	;;#ASMSTART
	v_cvt_f16_f32 v1, v6;

	;;#ASMEND
	global_store_short v0, v1, s[0:1]
	;;#ASMSTART
	v_cvt_f16_f32 v1, v7;

	;;#ASMEND
	global_store_short v0, v1, s[0:1] offset:32
	;;#ASMSTART
	v_cvt_f16_f32 v1, v4;

	;;#ASMEND
	global_store_short v0, v1, s[0:1] offset:64
	;; [unrolled: 5-line block ×5, first 2 shown]
.LBB111_78:
	s_endpgm
.LBB111_79:
	v_mov_b32_e32 v9, 0xd0
	v_lshl_add_u32 v9, v8, 2, v9
	ds_read_b32 v9, v9
	s_waitcnt lgkmcnt(0)
	v_add_f32_e32 v6, v6, v9
	s_or_b64 exec, exec, s[4:5]
	s_and_saveexec_b64 s[4:5], vcc
	s_cbranch_execz .LBB111_70
.LBB111_80:
	v_mov_b32_e32 v9, 0xd0
	v_lshl_add_u32 v9, v8, 2, v9
	ds_read_b32 v9, v9 offset:64
	s_waitcnt lgkmcnt(0)
	v_add_f32_e32 v7, v7, v9
	s_or_b64 exec, exec, s[4:5]
	s_and_saveexec_b64 s[4:5], vcc
	s_cbranch_execz .LBB111_71
.LBB111_81:
	v_mov_b32_e32 v9, 0xd0
	v_lshl_add_u32 v9, v8, 2, v9
	ds_read_b32 v9, v9 offset:128
	s_waitcnt lgkmcnt(0)
	v_add_f32_e32 v4, v4, v9
	s_or_b64 exec, exec, s[4:5]
	s_and_saveexec_b64 s[4:5], vcc
	s_cbranch_execz .LBB111_72
.LBB111_82:
	v_mov_b32_e32 v9, 0xd0
	v_lshl_add_u32 v9, v8, 2, v9
	ds_read_b32 v9, v9 offset:192
	s_waitcnt lgkmcnt(0)
	v_add_f32_e32 v5, v5, v9
	s_or_b64 exec, exec, s[4:5]
	s_and_saveexec_b64 s[4:5], vcc
	s_cbranch_execz .LBB111_73
.LBB111_83:
	v_mov_b32_e32 v9, 0xd0
	v_lshl_add_u32 v9, v8, 2, v9
	ds_read_b32 v9, v9 offset:256
	s_waitcnt lgkmcnt(0)
	v_add_f32_e32 v2, v2, v9
	s_or_b64 exec, exec, s[4:5]
	s_and_saveexec_b64 s[4:5], vcc
	s_cbranch_execnz .LBB111_74
	s_branch .LBB111_75
	.section	.rodata,"a",@progbits
	.p2align	6, 0x0
	.amdhsa_kernel _ZN4vllm25paged_attention_v2_kernelIttLi96ELi32ELi128ELNS_18Fp8KVCacheDataTypeE0ELb1ELi512EEEvPfS2_PT_PKS3_PKT0_S9_ifPKiSB_iPKfiiiSD_SD_iiiii
		.amdhsa_group_segment_fixed_size 208
		.amdhsa_private_segment_fixed_size 0
		.amdhsa_kernarg_size 400
		.amdhsa_user_sgpr_count 6
		.amdhsa_user_sgpr_private_segment_buffer 1
		.amdhsa_user_sgpr_dispatch_ptr 0
		.amdhsa_user_sgpr_queue_ptr 0
		.amdhsa_user_sgpr_kernarg_segment_ptr 1
		.amdhsa_user_sgpr_dispatch_id 0
		.amdhsa_user_sgpr_flat_scratch_init 0
		.amdhsa_user_sgpr_kernarg_preload_length 0
		.amdhsa_user_sgpr_kernarg_preload_offset 0
		.amdhsa_user_sgpr_private_segment_size 0
		.amdhsa_uses_dynamic_stack 0
		.amdhsa_system_sgpr_private_segment_wavefront_offset 0
		.amdhsa_system_sgpr_workgroup_id_x 1
		.amdhsa_system_sgpr_workgroup_id_y 1
		.amdhsa_system_sgpr_workgroup_id_z 1
		.amdhsa_system_sgpr_workgroup_info 0
		.amdhsa_system_vgpr_workitem_id 0
		.amdhsa_next_free_vgpr 76
		.amdhsa_next_free_sgpr 56
		.amdhsa_accum_offset 76
		.amdhsa_reserve_vcc 1
		.amdhsa_reserve_flat_scratch 0
		.amdhsa_float_round_mode_32 0
		.amdhsa_float_round_mode_16_64 0
		.amdhsa_float_denorm_mode_32 3
		.amdhsa_float_denorm_mode_16_64 3
		.amdhsa_dx10_clamp 1
		.amdhsa_ieee_mode 1
		.amdhsa_fp16_overflow 0
		.amdhsa_tg_split 0
		.amdhsa_exception_fp_ieee_invalid_op 0
		.amdhsa_exception_fp_denorm_src 0
		.amdhsa_exception_fp_ieee_div_zero 0
		.amdhsa_exception_fp_ieee_overflow 0
		.amdhsa_exception_fp_ieee_underflow 0
		.amdhsa_exception_fp_ieee_inexact 0
		.amdhsa_exception_int_div_zero 0
	.end_amdhsa_kernel
	.section	.text._ZN4vllm25paged_attention_v2_kernelIttLi96ELi32ELi128ELNS_18Fp8KVCacheDataTypeE0ELb1ELi512EEEvPfS2_PT_PKS3_PKT0_S9_ifPKiSB_iPKfiiiSD_SD_iiiii,"axG",@progbits,_ZN4vllm25paged_attention_v2_kernelIttLi96ELi32ELi128ELNS_18Fp8KVCacheDataTypeE0ELb1ELi512EEEvPfS2_PT_PKS3_PKT0_S9_ifPKiSB_iPKfiiiSD_SD_iiiii,comdat
.Lfunc_end111:
	.size	_ZN4vllm25paged_attention_v2_kernelIttLi96ELi32ELi128ELNS_18Fp8KVCacheDataTypeE0ELb1ELi512EEEvPfS2_PT_PKS3_PKT0_S9_ifPKiSB_iPKfiiiSD_SD_iiiii, .Lfunc_end111-_ZN4vllm25paged_attention_v2_kernelIttLi96ELi32ELi128ELNS_18Fp8KVCacheDataTypeE0ELb1ELi512EEEvPfS2_PT_PKS3_PKT0_S9_ifPKiSB_iPKfiiiSD_SD_iiiii
                                        ; -- End function
	.section	.AMDGPU.csdata,"",@progbits
; Kernel info:
; codeLenInByte = 8076
; NumSgprs: 60
; NumVgprs: 76
; NumAgprs: 0
; TotalNumVgprs: 76
; ScratchSize: 0
; MemoryBound: 0
; FloatMode: 240
; IeeeMode: 1
; LDSByteSize: 208 bytes/workgroup (compile time only)
; SGPRBlocks: 7
; VGPRBlocks: 9
; NumSGPRsForWavesPerEU: 60
; NumVGPRsForWavesPerEU: 76
; AccumOffset: 76
; Occupancy: 6
; WaveLimiterHint : 1
; COMPUTE_PGM_RSRC2:SCRATCH_EN: 0
; COMPUTE_PGM_RSRC2:USER_SGPR: 6
; COMPUTE_PGM_RSRC2:TRAP_HANDLER: 0
; COMPUTE_PGM_RSRC2:TGID_X_EN: 1
; COMPUTE_PGM_RSRC2:TGID_Y_EN: 1
; COMPUTE_PGM_RSRC2:TGID_Z_EN: 1
; COMPUTE_PGM_RSRC2:TIDIG_COMP_CNT: 0
; COMPUTE_PGM_RSRC3_GFX90A:ACCUM_OFFSET: 18
; COMPUTE_PGM_RSRC3_GFX90A:TG_SPLIT: 0
	.section	.text._ZN4vllm25paged_attention_v2_kernelIttLi112ELi32ELi128ELNS_18Fp8KVCacheDataTypeE0ELb1ELi512EEEvPfS2_PT_PKS3_PKT0_S9_ifPKiSB_iPKfiiiSD_SD_iiiii,"axG",@progbits,_ZN4vllm25paged_attention_v2_kernelIttLi112ELi32ELi128ELNS_18Fp8KVCacheDataTypeE0ELb1ELi512EEEvPfS2_PT_PKS3_PKT0_S9_ifPKiSB_iPKfiiiSD_SD_iiiii,comdat
	.protected	_ZN4vllm25paged_attention_v2_kernelIttLi112ELi32ELi128ELNS_18Fp8KVCacheDataTypeE0ELb1ELi512EEEvPfS2_PT_PKS3_PKT0_S9_ifPKiSB_iPKfiiiSD_SD_iiiii ; -- Begin function _ZN4vllm25paged_attention_v2_kernelIttLi112ELi32ELi128ELNS_18Fp8KVCacheDataTypeE0ELb1ELi512EEEvPfS2_PT_PKS3_PKT0_S9_ifPKiSB_iPKfiiiSD_SD_iiiii
	.globl	_ZN4vllm25paged_attention_v2_kernelIttLi112ELi32ELi128ELNS_18Fp8KVCacheDataTypeE0ELb1ELi512EEEvPfS2_PT_PKS3_PKT0_S9_ifPKiSB_iPKfiiiSD_SD_iiiii
	.p2align	8
	.type	_ZN4vllm25paged_attention_v2_kernelIttLi112ELi32ELi128ELNS_18Fp8KVCacheDataTypeE0ELb1ELi512EEEvPfS2_PT_PKS3_PKT0_S9_ifPKiSB_iPKfiiiSD_SD_iiiii,@function
_ZN4vllm25paged_attention_v2_kernelIttLi112ELi32ELi128ELNS_18Fp8KVCacheDataTypeE0ELb1ELi512EEEvPfS2_PT_PKS3_PKT0_S9_ifPKiSB_iPKfiiiSD_SD_iiiii: ; @_ZN4vllm25paged_attention_v2_kernelIttLi112ELi32ELi128ELNS_18Fp8KVCacheDataTypeE0ELb1ELi512EEEvPfS2_PT_PKS3_PKT0_S9_ifPKiSB_iPKfiiiSD_SD_iiiii
; %bb.0:
	s_load_dwordx2 s[0:1], s[4:5], 0x40
	s_mov_b32 s28, s7
	s_ashr_i32 s29, s7, 31
	s_lshl_b64 s[2:3], s[28:29], 2
	s_waitcnt lgkmcnt(0)
	s_add_u32 s0, s0, s2
	s_addc_u32 s1, s1, s3
	s_load_dword s29, s[0:1], 0x0
	s_lshl_b32 s49, s8, 9
	s_waitcnt lgkmcnt(0)
	s_cmp_ge_i32 s49, s29
	s_cbranch_scc1 .LBB112_81
; %bb.1:
	s_load_dword s9, s[4:5], 0x90
	s_load_dwordx2 s[38:39], s[4:5], 0x30
	s_mov_b32 s50, 0
	s_waitcnt lgkmcnt(0)
	s_abs_i32 s2, s9
	s_abs_i32 s0, s38
	v_cvt_f32_u32_e32 v1, s0
	s_sub_i32 s3, 0, s0
	s_xor_b32 s1, s9, s38
	s_ashr_i32 s1, s1, 31
	v_rcp_iflag_f32_e32 v1, v1
	v_mul_f32_e32 v1, 0x4f7ffffe, v1
	v_cvt_u32_f32_e32 v1, v1
	v_readfirstlane_b32 s7, v1
	s_mul_i32 s3, s3, s7
	s_mul_hi_u32 s3, s7, s3
	s_add_i32 s7, s7, s3
	s_mul_hi_u32 s3, s2, s7
	s_mul_i32 s7, s3, s0
	s_sub_i32 s2, s2, s7
	s_add_i32 s10, s3, 1
	s_sub_i32 s7, s2, s0
	s_cmp_ge_u32 s2, s0
	s_cselect_b32 s3, s10, s3
	s_cselect_b32 s2, s7, s2
	s_add_i32 s7, s3, 1
	s_cmp_ge_u32 s2, s0
	s_cselect_b32 s0, s7, s3
	s_xor_b32 s0, s0, s1
	s_sub_i32 s11, s0, s1
	s_abs_i32 s2, s11
	v_cvt_f32_u32_e32 v1, s2
	s_load_dwordx2 s[0:1], s[4:5], 0x50
	s_sub_i32 s7, 0, s2
	s_abs_i32 s3, s6
	v_rcp_iflag_f32_e32 v1, v1
	v_mul_f32_e32 v1, 0x4f7ffffe, v1
	v_cvt_u32_f32_e32 v1, v1
	v_readfirstlane_b32 s10, v1
	s_mul_i32 s7, s7, s10
	s_mul_hi_u32 s7, s10, s7
	s_add_i32 s10, s10, s7
	s_waitcnt lgkmcnt(0)
	s_cmp_eq_u64 s[0:1], 0
	s_mul_hi_u32 s10, s3, s10
	s_cbranch_scc1 .LBB112_3
; %bb.2:
	s_ashr_i32 s7, s6, 31
	s_lshl_b64 s[12:13], s[6:7], 2
	s_add_u32 s0, s0, s12
	s_addc_u32 s1, s1, s13
	s_load_dword s50, s[0:1], 0x0
.LBB112_3:
	s_load_dwordx4 s[12:15], s[4:5], 0x58
	s_ashr_i32 s7, s6, 31
	s_ashr_i32 s11, s11, 31
	v_and_b32_e32 v2, 1, v0
	s_waitcnt lgkmcnt(0)
	s_movk_i32 s15, 0x70
	s_mul_i32 s24, s6, 0x70
	v_cmp_gt_u32_e32 vcc, 28, v0
	v_lshlrev_b32_e32 v26, 3, v0
	s_and_saveexec_b64 s[0:1], vcc
	s_cbranch_execz .LBB112_5
; %bb.4:
	s_load_dwordx2 s[16:17], s[4:5], 0x18
	s_mul_i32 s18, s28, s12
	s_ashr_i32 s19, s18, 31
	s_lshl_b64 s[18:19], s[18:19], 1
	v_lshlrev_b32_e32 v1, 2, v0
	s_waitcnt lgkmcnt(0)
	s_add_u32 s12, s16, s18
	s_addc_u32 s18, s17, s19
	s_ashr_i32 s25, s24, 31
	s_lshl_b64 s[16:17], s[24:25], 1
	s_add_u32 s16, s12, s16
	s_addc_u32 s17, s18, s17
	global_load_dwordx2 v[4:5], v26, s[16:17]
	v_and_b32_e32 v1, 0xff8, v1
	v_mad_u32_u24 v1, v2, s15, v1
	s_waitcnt vmcnt(0)
	ds_write_b64 v1, v[4:5]
.LBB112_5:
	s_or_b64 exec, exec, s[0:1]
	s_mul_i32 s1, s10, s2
	s_sub_i32 s1, s3, s1
	s_xor_b32 s0, s7, s11
	s_add_i32 s3, s10, 1
	s_sub_i32 s7, s1, s2
	s_load_dwordx4 s[16:19], s[4:5], 0x78
	s_cmp_ge_u32 s1, s2
	s_cselect_b32 s3, s3, s10
	s_load_dword s10, s[4:5], 0x88
	s_cselect_b32 s1, s7, s1
	s_add_i32 s7, s3, 1
	s_cmp_ge_u32 s1, s2
	s_cselect_b32 s1, s7, s3
	s_waitcnt lgkmcnt(0)
	s_abs_i32 s25, s19
	v_cvt_f32_u32_e32 v1, s25
	s_xor_b32 s1, s1, s0
	s_sub_i32 s2, s1, s0
	s_sub_i32 s0, 0, s25
	v_rcp_iflag_f32_e32 v1, v1
	s_add_i32 s11, s29, -1
	s_abs_i32 s3, s11
	v_mul_f32_e32 v1, 0x4f7ffffe, v1
	v_cvt_u32_f32_e32 v1, v1
	s_barrier
	v_readfirstlane_b32 s33, v1
	s_mul_i32 s0, s0, s33
	s_mul_hi_u32 s0, s33, s0
	s_add_i32 s33, s33, s0
	s_cmp_lt_i32 s10, 0
	s_mul_hi_u32 s7, s3, s33
	s_cbranch_scc0 .LBB112_7
; %bb.6:
	s_mul_i32 s0, s16, s38
	s_add_i32 s0, s2, s0
	s_mul_i32 s0, s0, s10
	s_sub_i32 s46, 1, s0
	s_mov_b64 s[0:1], 0
	s_branch .LBB112_8
.LBB112_7:
	s_mov_b64 s[0:1], -1
                                        ; implicit-def: $sgpr46
.LBB112_8:
	s_load_dwordx2 s[30:31], s[4:5], 0x38
	s_ashr_i32 s11, s11, 31
	s_andn2_b64 vcc, exec, s[0:1]
	s_ashr_i32 s47, s19, 31
	s_cbranch_vccnz .LBB112_10
; %bb.9:
	s_mul_i32 s0, s9, s16
	s_add_i32 s0, s0, s6
	s_mul_i32 s0, s0, s10
	s_add_i32 s46, s0, 1
.LBB112_10:
	s_load_dword s0, s[4:5], 0x48
	s_load_dwordx2 s[36:37], s[4:5], 0x28
	s_load_dword s19, s[4:5], 0x98
	s_load_dwordx4 s[20:23], s[4:5], 0x0
	s_load_dwordx2 s[26:27], s[4:5], 0x10
	s_mul_i32 s1, s7, s25
	s_waitcnt lgkmcnt(0)
	s_mul_i32 s34, s28, s0
	s_sub_i32 s1, s3, s1
	s_ashr_i32 s35, s34, 31
	s_xor_b32 s0, s11, s47
	s_add_i32 s3, s7, 1
	s_sub_i32 s10, s1, s25
	s_cmp_ge_u32 s1, s25
	s_cselect_b32 s3, s3, s7
	s_cselect_b32 s1, s10, s1
	s_add_i32 s7, s3, 1
	s_cmp_ge_u32 s1, s25
	s_cselect_b32 s1, s7, s3
	s_xor_b32 s1, s1, s0
	s_sub_i32 s16, s1, s0
	s_add_i32 s0, s29, 31
	s_ashr_i32 s1, s0, 31
	s_lshr_b32 s1, s1, 27
	s_add_i32 s0, s0, s1
	s_lshl_b32 s12, s8, 4
	s_ashr_i32 s7, s0, 5
	s_add_i32 s0, s12, 16
	v_lshrrev_b32_e32 v27, 6, v0
	s_min_i32 s48, s0, s7
	v_or_b32_e32 v14, s12, v27
	v_cmp_gt_i32_e64 s[0:1], s48, v14
	v_mov_b32_e32 v33, 0xff7fffff
	s_mul_i32 s14, s2, s14
	v_ashrrev_i32_e32 v15, 31, v14
	v_lshl_add_u32 v1, v27, 5, s49
	v_mbcnt_lo_u32_b32 v28, -1, 0
	s_and_saveexec_b64 s[40:41], s[0:1]
	s_cbranch_execz .LBB112_20
; %bb.11:
	s_load_dwordx2 s[4:5], s[4:5], 0x20
	s_ashr_i32 s15, s14, 31
	s_sub_i32 s38, s16, s17
	s_lshl_b64 s[10:11], s[14:15], 1
	v_bfe_u32 v29, v0, 1, 5
	s_waitcnt lgkmcnt(0)
	s_add_u32 s4, s4, s10
	s_addc_u32 s5, s5, s11
	s_abs_i32 s15, s18
	v_cvt_f32_u32_e32 v5, s15
	v_lshlrev_b32_e32 v3, 4, v29
	v_mov_b32_e32 v4, s5
	v_add_co_u32_e32 v3, vcc, s4, v3
	v_rcp_iflag_f32_e32 v5, v5
	v_addc_co_u32_e32 v4, vcc, 0, v4, vcc
	v_and_b32_e32 v6, 8, v26
	v_add_co_u32_e32 v30, vcc, v3, v6
	v_mul_f32_e32 v3, 0x4f7ffffe, v5
	v_cvt_u32_f32_e32 v3, v3
	s_sub_i32 s10, 0, s15
	v_cmp_eq_u32_e64 s[2:3], 0, v2
	v_mul_u32_u24_e32 v32, 0x70, v2
	v_mul_lo_u32 v2, s10, v3
	s_lshl_b64 s[10:11], s[34:35], 2
	v_mul_hi_u32 v2, v3, v2
	s_add_u32 s10, s30, s10
	v_addc_co_u32_e32 v31, vcc, 0, v4, vcc
	v_add_u32_e32 v34, v3, v2
	v_lshlrev_b64 v[2:3], 2, v[14:15]
	s_addc_u32 s11, s31, s11
	v_mov_b32_e32 v4, s11
	v_add_co_u32_e32 v2, vcc, s10, v2
	v_addc_co_u32_e32 v3, vcc, v4, v3, vcc
	v_lshlrev_b32_e32 v4, 2, v29
	v_lshl_or_b32 v4, v27, 7, v4
	v_add_u32_e32 v36, 0xf0, v4
	v_subrev_u32_e32 v4, s29, v29
	v_mbcnt_hi_u32_b32 v39, -1, v28
	v_add_u32_e32 v37, 1, v4
	v_and_b32_e32 v4, 64, v39
	s_mov_b32 s51, s13
	v_cmp_neq_f32_e64 s[4:5], s50, 0
	v_lshl_add_u32 v35, v27, 5, s49
	s_mov_b64 s[42:43], 0
	v_mov_b32_e32 v38, 0xff7fffff
	s_movk_i32 s52, 0x1000
	v_xor_b32_e32 v40, 1, v39
	v_add_u32_e32 v41, 64, v4
	v_mov_b32_e32 v33, 0xff7fffff
	v_mov_b32_e32 v42, v14
	s_branch .LBB112_14
.LBB112_12:                             ;   in Loop: Header=BB112_14 Depth=1
	s_or_b64 exec, exec, s[44:45]
.LBB112_13:                             ;   in Loop: Header=BB112_14 Depth=1
	s_or_b64 exec, exec, s[10:11]
	v_add_co_u32_e32 v2, vcc, 8, v2
	v_add_u32_e32 v42, 2, v42
	v_addc_co_u32_e32 v3, vcc, 0, v3, vcc
	v_cmp_le_i32_e32 vcc, s48, v42
	v_add_u32_e32 v35, 64, v35
	s_or_b64 s[42:43], vcc, s[42:43]
	v_add_u32_e32 v36, 0x100, v36
	s_andn2_b64 exec, exec, s[42:43]
	s_cbranch_execz .LBB112_19
.LBB112_14:                             ; =>This Inner Loop Header: Depth=1
	s_waitcnt lgkmcnt(0)
	v_sub_u32_e32 v5, 0, v35
	v_max_i32_e32 v5, v35, v5
	v_mul_hi_u32 v6, v5, s33
	v_mul_lo_u32 v7, v6, s25
	v_sub_u32_e32 v5, v5, v7
	v_add_u32_e32 v7, 1, v6
	v_cmp_le_u32_e32 vcc, s25, v5
	v_cndmask_b32_e32 v6, v6, v7, vcc
	v_subrev_u32_e32 v7, s25, v5
	v_cndmask_b32_e32 v5, v5, v7, vcc
	v_ashrrev_i32_e32 v4, 31, v35
	v_add_u32_e32 v7, 1, v6
	v_cmp_le_u32_e32 vcc, s25, v5
	v_xor_b32_e32 v4, s47, v4
	v_cndmask_b32_e32 v5, v6, v7, vcc
	v_xor_b32_e32 v5, v5, v4
	v_sub_u32_e32 v4, v5, v4
	v_add_u32_e32 v5, s46, v4
	v_sub_u32_e32 v7, 0, v5
	v_ashrrev_i32_e32 v6, 31, v5
	v_max_i32_e32 v5, v5, v7
	v_mul_hi_u32 v7, v5, v34
	v_mul_lo_u32 v7, v7, s15
	v_sub_u32_e32 v5, v5, v7
	v_subrev_u32_e32 v7, s15, v5
	v_cmp_le_u32_e32 vcc, s15, v5
	v_cndmask_b32_e32 v5, v5, v7, vcc
	v_subrev_u32_e32 v7, s15, v5
	v_cmp_le_u32_e32 vcc, s15, v5
	v_cndmask_b32_e32 v5, v5, v7, vcc
	v_xor_b32_e32 v5, v5, v6
	v_sub_u32_e32 v5, v5, v6
	v_cmp_ne_u32_e32 vcc, 0, v5
	v_cmp_ge_i32_e64 s[10:11], s38, v4
	s_and_b64 s[10:11], vcc, s[10:11]
	s_and_b64 s[54:55], s[2:3], s[10:11]
	s_and_saveexec_b64 s[44:45], s[54:55]
	s_cbranch_execz .LBB112_16
; %bb.15:                               ;   in Loop: Header=BB112_14 Depth=1
	ds_write_b32 v36, v38
.LBB112_16:                             ;   in Loop: Header=BB112_14 Depth=1
	s_or_b64 exec, exec, s[44:45]
	s_xor_b64 s[44:45], s[10:11], -1
	s_and_saveexec_b64 s[10:11], s[44:45]
	s_cbranch_execz .LBB112_13
; %bb.17:                               ;   in Loop: Header=BB112_14 Depth=1
	global_load_dword v4, v[2:3], off
	s_waitcnt vmcnt(0)
	v_mad_i64_i32 v[4:5], s[44:45], v4, s51, 0
	v_lshlrev_b64 v[4:5], 1, v[4:5]
	v_add_co_u32_e32 v4, vcc, v30, v4
	v_addc_co_u32_e32 v5, vcc, v31, v5, vcc
	global_load_dwordx2 v[44:45], v[4:5], off
	global_load_dwordx2 v[46:47], v[4:5], off offset:512
	global_load_dwordx2 v[48:49], v[4:5], off offset:1024
	;; [unrolled: 1-line block ×7, first 2 shown]
	v_add_co_u32_e32 v4, vcc, s52, v4
	v_addc_co_u32_e32 v5, vcc, 0, v5, vcc
	global_load_dwordx2 v[16:17], v[4:5], off
	ds_read_b64 v[6:7], v32
	v_cmp_lt_i32_e32 vcc, v40, v41
	s_waitcnt lgkmcnt(0)
	v_lshrrev_b32_e32 v43, 16, v6
	v_and_b32_e32 v52, 0xffff, v6
	v_lshrrev_b32_e32 v53, 16, v7
	v_and_b32_e32 v54, 0xffff, v7
	global_load_dwordx2 v[12:13], v[4:5], off offset:512
	global_load_dwordx2 v[10:11], v[4:5], off offset:1024
	;; [unrolled: 1-line block ×4, first 2 shown]
	s_nop 0
	global_load_dwordx2 v[4:5], v[4:5], off offset:2560
	;;#ASMSTART
	v_cvt_f32_f16 v52, v52;
	;;#ASMEND
	;;#ASMSTART
	v_cvt_f32_f16 v43, v43;
	;;#ASMEND
	s_waitcnt vmcnt(13)
	v_lshrrev_b32_e32 v55, 16, v44
	v_and_b32_e32 v44, 0xffff, v44
	v_lshrrev_b32_e32 v56, 16, v45
	v_and_b32_e32 v45, 0xffff, v45
	;;#ASMSTART
	v_cvt_f32_f16 v44, v44;
	;;#ASMEND
	;;#ASMSTART
	v_cvt_f32_f16 v55, v55;
	;;#ASMEND
	;; [unrolled: 3-line block ×3, first 2 shown]
	s_waitcnt vmcnt(6)
	v_lshrrev_b32_e32 v71, 16, v18
	v_and_b32_e32 v72, 0xffff, v18
	v_lshrrev_b32_e32 v73, 16, v19
	v_and_b32_e32 v74, 0xffff, v19
	;;#ASMSTART
	v_cvt_f32_f16 v53, v53;
	;;#ASMEND
	;;#ASMSTART
	v_cvt_f32_f16 v45, v45;
	;;#ASMEND
	;; [unrolled: 3-line block ×3, first 2 shown]
	ds_read_b64 v[18:19], v32 offset:8
	v_lshrrev_b32_e32 v57, 16, v46
	v_and_b32_e32 v46, 0xffff, v46
	v_lshrrev_b32_e32 v58, 16, v47
	v_and_b32_e32 v47, 0xffff, v47
	s_waitcnt vmcnt(5)
	v_lshrrev_b32_e32 v75, 16, v16
	v_and_b32_e32 v76, 0xffff, v16
	v_lshrrev_b32_e32 v77, 16, v17
	v_and_b32_e32 v78, 0xffff, v17
	s_waitcnt lgkmcnt(0)
	v_lshrrev_b32_e32 v16, 16, v18
	v_and_b32_e32 v17, 0xffff, v18
	v_lshrrev_b32_e32 v18, 16, v19
	v_and_b32_e32 v19, 0xffff, v19
	;; [unrolled: 2-line block ×4, first 2 shown]
	;;#ASMSTART
	v_cvt_f32_f16 v17, v17;
	;;#ASMEND
	;;#ASMSTART
	v_cvt_f32_f16 v79, v16;
	;;#ASMEND
	;; [unrolled: 3-line block ×8, first 2 shown]
	ds_read_b64 v[20:21], v32 offset:16
	v_mul_f32_e32 v16, v17, v16
	v_mul_f32_e32 v17, v79, v46
	v_lshrrev_b32_e32 v59, 16, v48
	v_and_b32_e32 v48, 0xffff, v48
	v_lshrrev_b32_e32 v60, 16, v49
	v_and_b32_e32 v49, 0xffff, v49
	v_mul_f32_e32 v18, v19, v18
	v_fmac_f32_e32 v16, v52, v44
	v_fmac_f32_e32 v17, v43, v55
	s_waitcnt lgkmcnt(0)
	v_lshrrev_b32_e32 v43, 16, v20
	v_and_b32_e32 v20, 0xffff, v20
	v_lshrrev_b32_e32 v44, 16, v21
	v_and_b32_e32 v21, 0xffff, v21
	v_mul_f32_e32 v19, v57, v47
	v_fmac_f32_e32 v18, v54, v45
	;;#ASMSTART
	v_cvt_f32_f16 v45, v20;
	;;#ASMEND
	;;#ASMSTART
	v_cvt_f32_f16 v43, v43;
	;;#ASMEND
	;; [unrolled: 3-line block ×8, first 2 shown]
	ds_read_b64 v[20:21], v32 offset:24
	v_fmac_f32_e32 v19, v53, v56
	v_lshrrev_b32_e32 v61, 16, v50
	v_and_b32_e32 v50, 0xffff, v50
	v_fmac_f32_e32 v17, v43, v47
	v_fmac_f32_e32 v19, v44, v52
	s_waitcnt lgkmcnt(0)
	v_lshrrev_b32_e32 v43, 16, v20
	v_and_b32_e32 v20, 0xffff, v20
	v_lshrrev_b32_e32 v44, 16, v21
	v_and_b32_e32 v21, 0xffff, v21
	;; [unrolled: 2-line block ×3, first 2 shown]
	v_fmac_f32_e32 v16, v45, v46
	v_fmac_f32_e32 v18, v48, v49
	;;#ASMSTART
	v_cvt_f32_f16 v45, v20;
	;;#ASMEND
	;;#ASMSTART
	v_cvt_f32_f16 v43, v43;
	;;#ASMEND
	;; [unrolled: 3-line block ×8, first 2 shown]
	ds_read_b64 v[20:21], v32 offset:32
	v_lshrrev_b32_e32 v63, 16, v24
	v_and_b32_e32 v24, 0xffff, v24
	v_lshrrev_b32_e32 v64, 16, v25
	v_and_b32_e32 v25, 0xffff, v25
	v_fmac_f32_e32 v17, v43, v47
	v_fmac_f32_e32 v19, v44, v50
	s_waitcnt lgkmcnt(0)
	v_lshrrev_b32_e32 v43, 16, v20
	v_and_b32_e32 v20, 0xffff, v20
	v_lshrrev_b32_e32 v44, 16, v21
	v_and_b32_e32 v21, 0xffff, v21
	v_fmac_f32_e32 v16, v45, v46
	v_fmac_f32_e32 v18, v48, v49
	;;#ASMSTART
	v_cvt_f32_f16 v45, v20;
	;;#ASMEND
	;;#ASMSTART
	v_cvt_f32_f16 v43, v43;
	;;#ASMEND
	;; [unrolled: 3-line block ×8, first 2 shown]
	ds_read_b64 v[20:21], v32 offset:40
	v_lshrrev_b32_e32 v65, 16, v22
	v_and_b32_e32 v22, 0xffff, v22
	v_lshrrev_b32_e32 v66, 16, v23
	v_and_b32_e32 v23, 0xffff, v23
	v_fmac_f32_e32 v16, v45, v24
	v_fmac_f32_e32 v18, v47, v25
	s_waitcnt lgkmcnt(0)
	v_lshrrev_b32_e32 v24, 16, v20
	v_and_b32_e32 v20, 0xffff, v20
	v_lshrrev_b32_e32 v25, 16, v21
	v_and_b32_e32 v21, 0xffff, v21
	v_fmac_f32_e32 v17, v43, v46
	v_fmac_f32_e32 v19, v44, v48
	;;#ASMSTART
	v_cvt_f32_f16 v43, v20;
	;;#ASMEND
	;;#ASMSTART
	v_cvt_f32_f16 v24, v24;
	;;#ASMEND
	;;#ASMSTART
	v_cvt_f32_f16 v22, v22;
	;;#ASMEND
	;;#ASMSTART
	v_cvt_f32_f16 v44, v65;
	;;#ASMEND
	;;#ASMSTART
	v_cvt_f32_f16 v45, v21;
	;;#ASMEND
	;;#ASMSTART
	v_cvt_f32_f16 v25, v25;
	;;#ASMEND
	;;#ASMSTART
	v_cvt_f32_f16 v23, v23;
	;;#ASMEND
	;;#ASMSTART
	v_cvt_f32_f16 v46, v66;
	;;#ASMEND
	ds_read_b64 v[20:21], v32 offset:48
	v_fmac_f32_e32 v16, v43, v22
	v_fmac_f32_e32 v18, v45, v23
	v_fmac_f32_e32 v17, v24, v44
	v_fmac_f32_e32 v19, v25, v46
	s_waitcnt lgkmcnt(0)
	v_lshrrev_b32_e32 v22, 16, v20
	v_and_b32_e32 v20, 0xffff, v20
	v_lshrrev_b32_e32 v23, 16, v21
	v_and_b32_e32 v21, 0xffff, v21
	;;#ASMSTART
	v_cvt_f32_f16 v24, v20;
	;;#ASMEND
	;;#ASMSTART
	v_cvt_f32_f16 v22, v22;
	;;#ASMEND
	;;#ASMSTART
	v_cvt_f32_f16 v25, v68;
	;;#ASMEND
	;;#ASMSTART
	v_cvt_f32_f16 v43, v67;
	;;#ASMEND
	;;#ASMSTART
	v_cvt_f32_f16 v44, v21;
	;;#ASMEND
	;;#ASMSTART
	v_cvt_f32_f16 v23, v23;
	;;#ASMEND
	;;#ASMSTART
	v_cvt_f32_f16 v45, v70;
	;;#ASMEND
	;;#ASMSTART
	v_cvt_f32_f16 v46, v69;
	;;#ASMEND
	ds_read_b64 v[20:21], v32 offset:56
	v_fmac_f32_e32 v17, v22, v43
	v_fmac_f32_e32 v19, v23, v46
	v_fmac_f32_e32 v16, v24, v25
	v_fmac_f32_e32 v18, v44, v45
	s_waitcnt lgkmcnt(0)
	v_lshrrev_b32_e32 v22, 16, v20
	v_and_b32_e32 v20, 0xffff, v20
	v_lshrrev_b32_e32 v23, 16, v21
	v_and_b32_e32 v21, 0xffff, v21
	;; [unrolled: 34-line block ×3, first 2 shown]
	;;#ASMSTART
	v_cvt_f32_f16 v24, v20;
	;;#ASMEND
	;;#ASMSTART
	v_cvt_f32_f16 v22, v22;
	;;#ASMEND
	;; [unrolled: 3-line block ×8, first 2 shown]
	ds_read_b64 v[20:21], v32 offset:72
	v_fmac_f32_e32 v17, v22, v43
	v_fmac_f32_e32 v19, v23, v46
	s_waitcnt vmcnt(4)
	v_lshrrev_b32_e32 v23, 16, v12
	v_and_b32_e32 v12, 0xffff, v12
	s_waitcnt lgkmcnt(0)
	v_lshrrev_b32_e32 v22, 16, v20
	v_and_b32_e32 v20, 0xffff, v20
	v_fmac_f32_e32 v16, v24, v25
	;;#ASMSTART
	v_cvt_f32_f16 v20, v20;
	;;#ASMEND
	;;#ASMSTART
	v_cvt_f32_f16 v22, v22;
	;;#ASMEND
	;;#ASMSTART
	v_cvt_f32_f16 v24, v12;
	;;#ASMEND
	v_lshrrev_b32_e32 v12, 16, v21
	v_and_b32_e32 v21, 0xffff, v21
	;;#ASMSTART
	v_cvt_f32_f16 v23, v23;
	;;#ASMEND
	;;#ASMSTART
	v_cvt_f32_f16 v21, v21;
	;;#ASMEND
	;;#ASMSTART
	v_cvt_f32_f16 v25, v12;
	;;#ASMEND
	v_lshrrev_b32_e32 v12, 16, v13
	v_and_b32_e32 v13, 0xffff, v13
	v_fmac_f32_e32 v18, v44, v45
	;;#ASMSTART
	v_cvt_f32_f16 v43, v13;
	;;#ASMEND
	;;#ASMSTART
	v_cvt_f32_f16 v44, v12;
	;;#ASMEND
	ds_read_b64 v[12:13], v32 offset:80
	v_fmac_f32_e32 v16, v20, v24
	v_fmac_f32_e32 v18, v21, v43
	s_waitcnt vmcnt(3)
	v_lshrrev_b32_e32 v21, 16, v10
	v_and_b32_e32 v10, 0xffff, v10
	s_waitcnt lgkmcnt(0)
	v_lshrrev_b32_e32 v20, 16, v12
	v_and_b32_e32 v12, 0xffff, v12
	v_fmac_f32_e32 v17, v22, v23
	;;#ASMSTART
	v_cvt_f32_f16 v12, v12;
	;;#ASMEND
	;;#ASMSTART
	v_cvt_f32_f16 v20, v20;
	;;#ASMEND
	;;#ASMSTART
	v_cvt_f32_f16 v22, v10;
	;;#ASMEND
	v_lshrrev_b32_e32 v10, 16, v13
	v_and_b32_e32 v13, 0xffff, v13
	;;#ASMSTART
	v_cvt_f32_f16 v21, v21;
	;;#ASMEND
	;;#ASMSTART
	v_cvt_f32_f16 v13, v13;
	;;#ASMEND
	;;#ASMSTART
	v_cvt_f32_f16 v23, v10;
	;;#ASMEND
	v_lshrrev_b32_e32 v10, 16, v11
	v_and_b32_e32 v11, 0xffff, v11
	v_fmac_f32_e32 v19, v25, v44
	;;#ASMSTART
	v_cvt_f32_f16 v24, v11;
	;;#ASMEND
	;;#ASMSTART
	v_cvt_f32_f16 v25, v10;
	;;#ASMEND
	;; [unrolled: 39-line block ×4, first 2 shown]
	ds_read_b64 v[6:7], v32 offset:104
	v_fmac_f32_e32 v16, v8, v12
	v_fmac_f32_e32 v18, v9, v20
	s_waitcnt vmcnt(0)
	v_lshrrev_b32_e32 v9, 16, v4
	v_and_b32_e32 v4, 0xffff, v4
	s_waitcnt lgkmcnt(0)
	v_lshrrev_b32_e32 v8, 16, v6
	v_and_b32_e32 v6, 0xffff, v6
	;;#ASMSTART
	v_cvt_f32_f16 v6, v6;
	;;#ASMEND
	;;#ASMSTART
	v_cvt_f32_f16 v8, v8;
	;;#ASMEND
	;; [unrolled: 3-line block ×3, first 2 shown]
	v_fmac_f32_e32 v17, v10, v11
	v_fmac_f32_e32 v16, v6, v4
	v_lshrrev_b32_e32 v4, 16, v7
	v_and_b32_e32 v6, 0xffff, v7
	v_fmac_f32_e32 v19, v13, v21
	;;#ASMSTART
	v_cvt_f32_f16 v9, v9;
	;;#ASMEND
	v_fmac_f32_e32 v17, v8, v9
	;;#ASMSTART
	v_cvt_f32_f16 v6, v6;
	;;#ASMEND
	;;#ASMSTART
	v_cvt_f32_f16 v4, v4;
	;;#ASMEND
	v_lshrrev_b32_e32 v7, 16, v5
	v_and_b32_e32 v5, 0xffff, v5
	;;#ASMSTART
	v_cvt_f32_f16 v5, v5;
	;;#ASMEND
	;;#ASMSTART
	v_cvt_f32_f16 v7, v7;
	;;#ASMEND
	v_fmac_f32_e32 v18, v6, v5
	v_fmac_f32_e32 v19, v4, v7
	v_add_f32_e32 v4, v16, v17
	v_add_f32_e32 v4, v4, v18
	v_cndmask_b32_e32 v5, v39, v40, vcc
	v_add_f32_e32 v4, v19, v4
	v_lshlrev_b32_e32 v5, 2, v5
	ds_bpermute_b32 v5, v5, v4
	s_and_saveexec_b64 s[44:45], s[2:3]
	s_cbranch_execz .LBB112_12
; %bb.18:                               ;   in Loop: Header=BB112_14 Depth=1
	v_add_u32_e32 v6, v37, v35
	v_cvt_f32_i32_e32 v6, v6
	s_waitcnt lgkmcnt(0)
	v_add_f32_e32 v4, v4, v5
	v_add_u32_e32 v7, v29, v35
	v_cmp_gt_i32_e32 vcc, s29, v7
	v_mul_f32_e32 v5, s50, v6
	v_cndmask_b32_e64 v5, 0, v5, s[4:5]
	v_fmac_f32_e32 v5, s39, v4
	v_cndmask_b32_e32 v4, 0, v5, vcc
	ds_write_b32 v36, v4
	v_max_f32_e32 v4, v33, v33
	v_max_f32_e32 v4, v4, v5
	v_cndmask_b32_e32 v33, v33, v4, vcc
	s_branch .LBB112_12
.LBB112_19:
	s_or_b64 exec, exec, s[42:43]
.LBB112_20:
	s_or_b64 exec, exec, s[40:41]
	v_mbcnt_hi_u32_b32 v4, -1, v28
	v_and_b32_e32 v2, 64, v4
	v_add_u32_e32 v10, 64, v2
	v_xor_b32_e32 v2, 32, v4
	v_cmp_lt_i32_e32 vcc, v2, v10
	v_cndmask_b32_e32 v2, v4, v2, vcc
	v_lshlrev_b32_e32 v2, 2, v2
	ds_bpermute_b32 v3, v2, v33
	v_xor_b32_e32 v6, 16, v4
	s_waitcnt lgkmcnt(1)
	v_max_f32_e32 v5, v33, v33
	v_cmp_lt_i32_e32 vcc, v6, v10
	v_xor_b32_e32 v7, 8, v4
	s_waitcnt lgkmcnt(0)
	v_max_f32_e32 v3, v3, v3
	v_max_f32_e32 v5, v5, v3
	v_cndmask_b32_e32 v3, v4, v6, vcc
	v_lshlrev_b32_e32 v3, 2, v3
	ds_bpermute_b32 v6, v3, v5
	v_cmp_lt_i32_e32 vcc, v7, v10
	v_xor_b32_e32 v8, 4, v4
	v_xor_b32_e32 v9, 2, v4
	v_and_b32_e32 v20, 63, v0
	s_waitcnt lgkmcnt(0)
	v_max_f32_e32 v6, v6, v6
	v_max_f32_e32 v6, v5, v6
	v_cndmask_b32_e32 v5, v4, v7, vcc
	v_lshlrev_b32_e32 v5, 2, v5
	ds_bpermute_b32 v7, v5, v6
	v_cmp_lt_i32_e32 vcc, v8, v10
	s_waitcnt lgkmcnt(0)
	v_max_f32_e32 v7, v7, v7
	v_max_f32_e32 v7, v6, v7
	v_cndmask_b32_e32 v6, v4, v8, vcc
	v_lshlrev_b32_e32 v6, 2, v6
	ds_bpermute_b32 v8, v6, v7
	v_cmp_lt_i32_e32 vcc, v9, v10
	s_waitcnt lgkmcnt(0)
	v_max_f32_e32 v8, v8, v8
	v_max_f32_e32 v8, v7, v8
	v_cndmask_b32_e32 v7, v4, v9, vcc
	v_lshlrev_b32_e32 v9, 2, v7
	ds_bpermute_b32 v11, v9, v8
	v_cmp_eq_u32_e32 vcc, 0, v20
	v_lshlrev_b32_e32 v7, 2, v27
	s_and_saveexec_b64 s[2:3], vcc
	s_cbranch_execz .LBB112_22
; %bb.21:
	s_waitcnt lgkmcnt(0)
	v_max_f32_e32 v11, v11, v11
	v_max_f32_e32 v8, v8, v8
	;; [unrolled: 1-line block ×3, first 2 shown]
	ds_write_b32 v7, v8 offset:224
.LBB112_22:
	s_or_b64 exec, exec, s[2:3]
	v_cmp_gt_u32_e64 s[2:3], 2, v20
	s_waitcnt lgkmcnt(0)
	v_mov_b32_e32 v11, 0xff7fffff
	v_lshlrev_b32_e32 v8, 2, v20
	s_barrier
	s_and_saveexec_b64 s[4:5], s[2:3]
	s_cbranch_execz .LBB112_24
; %bb.23:
	ds_read_b32 v11, v8 offset:224
.LBB112_24:
	s_or_b64 exec, exec, s[4:5]
	v_xor_b32_e32 v12, 1, v4
	v_cmp_lt_i32_e64 s[4:5], v12, v10
	v_cndmask_b32_e64 v10, v4, v12, s[4:5]
	v_lshlrev_b32_e32 v21, 2, v10
	s_waitcnt lgkmcnt(0)
	ds_bpermute_b32 v10, v21, v11
	v_max_f32_e32 v11, v11, v11
	v_lshlrev_b32_e32 v4, 2, v4
	s_sub_i32 s4, s48, s12
	s_lshl_b32 s4, s4, 5
	s_waitcnt lgkmcnt(0)
	v_max_f32_e32 v10, v10, v10
	v_max_f32_e32 v11, v11, v10
	v_and_b32_e32 v10, 0x100, v4
	ds_bpermute_b32 v4, v10, v11
	s_add_i32 s4, s4, s49
	s_min_i32 s15, s4, s29
	s_sub_i32 s12, s15, s49
	v_cmp_gt_i32_e64 s[4:5], s12, v0
	v_mov_b32_e32 v11, 0
	s_and_saveexec_b64 s[38:39], s[4:5]
	s_cbranch_execz .LBB112_28
; %bb.25:
	v_mov_b32_e32 v11, 0xf0
	v_lshl_add_u32 v12, v0, 2, v11
	s_mov_b64 s[40:41], 0
	v_mov_b32_e32 v11, 0
	v_mov_b32_e32 v13, v0
.LBB112_26:                             ; =>This Inner Loop Header: Depth=1
	ds_read_b32 v16, v12
	v_add_u32_e32 v13, 0x80, v13
	v_cmp_le_i32_e64 s[10:11], s12, v13
	s_or_b64 s[40:41], s[10:11], s[40:41]
	s_waitcnt lgkmcnt(0)
	v_sub_f32_e32 v16, v16, v4
	v_mul_f32_e32 v16, 0x3fb8aa3b, v16
	v_exp_f32_e32 v16, v16
	ds_write_b32 v12, v16
	v_add_f32_e32 v11, v11, v16
	v_add_u32_e32 v12, 0x200, v12
	s_andn2_b64 exec, exec, s[40:41]
	s_cbranch_execnz .LBB112_26
; %bb.27:
	s_or_b64 exec, exec, s[40:41]
.LBB112_28:
	s_or_b64 exec, exec, s[38:39]
	ds_bpermute_b32 v2, v2, v11
	s_waitcnt lgkmcnt(0)
	v_add_f32_e32 v2, v11, v2
	ds_bpermute_b32 v3, v3, v2
	s_waitcnt lgkmcnt(0)
	v_add_f32_e32 v2, v2, v3
	;; [unrolled: 3-line block ×6, first 2 shown]
	s_and_saveexec_b64 s[10:11], vcc
	s_cbranch_execz .LBB112_30
; %bb.29:
	ds_write_b32 v7, v2 offset:232
.LBB112_30:
	s_or_b64 exec, exec, s[10:11]
	s_waitcnt lgkmcnt(0)
	s_barrier
	s_and_saveexec_b64 s[10:11], s[2:3]
	s_cbranch_execz .LBB112_32
; %bb.31:
	ds_read_b32 v2, v8 offset:232
.LBB112_32:
	s_or_b64 exec, exec, s[10:11]
	s_waitcnt lgkmcnt(0)
	ds_bpermute_b32 v3, v21, v2
	s_waitcnt lgkmcnt(0)
	v_add_f32_e32 v2, v2, v3
	ds_bpermute_b32 v5, v10, v2
	s_and_saveexec_b64 s[2:3], s[4:5]
	s_cbranch_execz .LBB112_45
; %bb.33:
	s_waitcnt lgkmcnt(0)
	v_add_f32_e32 v2, 0x358637bd, v5
	v_div_scale_f32 v3, s[4:5], v2, v2, 1.0
	v_rcp_f32_e32 v6, v3
	v_div_scale_f32 v7, vcc, 1.0, v2, 1.0
	s_movk_i32 s4, 0x7f
	v_fma_f32 v8, -v3, v6, 1.0
	v_fmac_f32_e32 v6, v8, v6
	v_mul_f32_e32 v8, v7, v6
	v_fma_f32 v10, -v3, v8, v7
	v_fmac_f32_e32 v8, v10, v6
	v_fma_f32 v3, -v3, v8, v7
	v_div_fmas_f32 v3, v3, v6, v8
	v_div_fixup_f32 v2, v3, v2, 1.0
	v_xad_u32 v3, v0, -1, s15
	v_subrev_u32_e32 v6, s49, v3
	v_cmp_lt_u32_e32 vcc, s4, v6
	s_mov_b64 s[10:11], -1
	v_mov_b32_e32 v3, v0
	s_and_saveexec_b64 s[4:5], vcc
	s_cbranch_execz .LBB112_42
; %bb.34:
	v_lshrrev_b32_e32 v6, 7, v6
	v_add_u32_e32 v8, -1, v6
	v_lshrrev_b32_e32 v7, 1, v8
	v_mov_b32_e32 v3, v2
	v_add_u32_e32 v7, 1, v7
	v_cmp_lt_u32_e32 vcc, 13, v8
	v_mov_b32_e32 v11, 0
	s_and_saveexec_b64 s[10:11], vcc
	s_cbranch_execz .LBB112_38
; %bb.35:
	v_mov_b32_e32 v10, 0xf0
	v_and_b32_e32 v8, -8, v7
	v_lshl_add_u32 v10, v0, 2, v10
	s_mov_b32 s15, 0
	s_mov_b64 s[38:39], 0
.LBB112_36:                             ; =>This Inner Loop Header: Depth=1
	ds_read2st64_b32 v[12:13], v10 offset1:2
	ds_read2st64_b32 v[16:17], v10 offset0:4 offset1:6
	ds_read2st64_b32 v[18:19], v10 offset0:8 offset1:10
	;; [unrolled: 1-line block ×3, first 2 shown]
	v_add_u32_e32 v8, -8, v8
	s_waitcnt lgkmcnt(3)
	v_pk_mul_f32 v[12:13], v[2:3], v[12:13]
	s_waitcnt lgkmcnt(2)
	v_pk_mul_f32 v[16:17], v[2:3], v[16:17]
	ds_write2st64_b32 v10, v12, v13 offset1:2
	ds_write2st64_b32 v10, v16, v17 offset0:4 offset1:6
	ds_read2st64_b32 v[16:17], v10 offset0:16 offset1:18
	s_waitcnt lgkmcnt(4)
	v_pk_mul_f32 v[12:13], v[2:3], v[18:19]
	ds_write2st64_b32 v10, v12, v13 offset0:8 offset1:10
	s_waitcnt lgkmcnt(4)
	v_pk_mul_f32 v[12:13], v[2:3], v[22:23]
	ds_write2st64_b32 v10, v12, v13 offset0:12 offset1:14
	ds_read2st64_b32 v[12:13], v10 offset0:20 offset1:22
	s_waitcnt lgkmcnt(3)
	v_pk_mul_f32 v[16:17], v[2:3], v[16:17]
	ds_read2st64_b32 v[18:19], v10 offset0:24 offset1:26
	ds_write2st64_b32 v10, v16, v17 offset0:16 offset1:18
	ds_read2st64_b32 v[16:17], v10 offset0:28 offset1:30
	s_waitcnt lgkmcnt(3)
	v_pk_mul_f32 v[12:13], v[2:3], v[12:13]
	ds_write2st64_b32 v10, v12, v13 offset0:20 offset1:22
	s_waitcnt lgkmcnt(3)
	v_pk_mul_f32 v[12:13], v[2:3], v[18:19]
	ds_write2st64_b32 v10, v12, v13 offset0:24 offset1:26
	s_waitcnt lgkmcnt(2)
	v_pk_mul_f32 v[12:13], v[2:3], v[16:17]
	s_add_i32 s15, s15, 16
	v_cmp_eq_u32_e32 vcc, 0, v8
	ds_write2st64_b32 v10, v12, v13 offset0:28 offset1:30
	v_add_u32_e32 v10, 0x2000, v10
	s_or_b64 s[38:39], vcc, s[38:39]
	v_mov_b32_e32 v11, s15
	s_andn2_b64 exec, exec, s[38:39]
	s_cbranch_execnz .LBB112_36
; %bb.37:
	s_or_b64 exec, exec, s[38:39]
.LBB112_38:
	s_or_b64 exec, exec, s[10:11]
	v_and_b32_e32 v7, 7, v7
	v_cmp_ne_u32_e32 vcc, 0, v7
	s_and_saveexec_b64 s[10:11], vcc
	s_cbranch_execz .LBB112_41
; %bb.39:
	v_lshlrev_b32_e32 v8, 9, v11
	v_lshlrev_b32_e32 v10, 2, v0
	s_movk_i32 s15, 0xf0
	v_add3_u32 v8, v8, v10, s15
	s_mov_b64 s[38:39], 0
.LBB112_40:                             ; =>This Inner Loop Header: Depth=1
	ds_read2st64_b32 v[10:11], v8 offset1:2
	v_add_u32_e32 v7, -1, v7
	v_cmp_eq_u32_e32 vcc, 0, v7
	s_or_b64 s[38:39], vcc, s[38:39]
	s_waitcnt lgkmcnt(0)
	v_pk_mul_f32 v[10:11], v[2:3], v[10:11]
	ds_write2st64_b32 v8, v10, v11 offset1:2
	v_add_u32_e32 v8, 0x400, v8
	s_andn2_b64 exec, exec, s[38:39]
	s_cbranch_execnz .LBB112_40
.LBB112_41:
	s_or_b64 exec, exec, s[10:11]
	v_add_u32_e32 v6, 1, v6
	v_and_b32_e32 v7, 0x3fffffe, v6
	v_cmp_ne_u32_e32 vcc, v6, v7
	v_lshl_add_u32 v3, v7, 7, v0
	s_orn2_b64 s[10:11], vcc, exec
.LBB112_42:
	s_or_b64 exec, exec, s[4:5]
	s_and_b64 exec, exec, s[10:11]
	s_cbranch_execz .LBB112_45
; %bb.43:
	v_mov_b32_e32 v6, 0xf0
	v_lshl_add_u32 v6, v3, 2, v6
	s_mov_b64 s[4:5], 0
.LBB112_44:                             ; =>This Inner Loop Header: Depth=1
	ds_read_b32 v7, v6
	v_add_u32_e32 v3, 0x80, v3
	v_cmp_le_i32_e32 vcc, s12, v3
	s_or_b64 s[4:5], vcc, s[4:5]
	s_waitcnt lgkmcnt(0)
	v_mul_f32_e32 v7, v2, v7
	ds_write_b32 v6, v7
	v_add_u32_e32 v6, 0x200, v6
	s_andn2_b64 exec, exec, s[4:5]
	s_cbranch_execnz .LBB112_44
.LBB112_45:
	s_or_b64 exec, exec, s[2:3]
	s_mul_i32 s2, s19, s28
	v_cmp_eq_u32_e32 vcc, 0, v0
	s_mul_i32 s2, s2, s9
	s_waitcnt lgkmcnt(0)
	s_barrier
	s_and_saveexec_b64 s[4:5], vcc
	s_cbranch_execz .LBB112_47
; %bb.46:
	s_ashr_i32 s3, s2, 31
	s_lshl_b64 s[10:11], s[2:3], 2
	s_add_u32 s3, s22, s10
	s_mul_i32 s22, s19, s6
	s_addc_u32 s9, s23, s11
	s_ashr_i32 s23, s22, 31
	s_lshl_b64 s[22:23], s[22:23], 2
	s_add_u32 s3, s3, s22
	s_addc_u32 s6, s9, s23
	s_ashr_i32 s9, s8, 31
	s_lshl_b64 s[38:39], s[8:9], 2
	s_add_u32 s40, s3, s38
	s_addc_u32 s41, s6, s39
	s_add_u32 s3, s20, s10
	s_addc_u32 s6, s21, s11
	;; [unrolled: 2-line block ×3, first 2 shown]
	s_add_u32 s10, s3, s38
	v_mov_b32_e32 v2, 0
	s_addc_u32 s11, s6, s39
	global_store_dword v2, v4, s[40:41]
	global_store_dword v2, v5, s[10:11]
.LBB112_47:
	s_or_b64 exec, exec, s[4:5]
	s_mov_b32 s12, 0
	v_mov_b32_e32 v8, 0
	v_and_b32_e32 v22, 3, v0
	v_mov_b32_e32 v7, 0
	v_mov_b32_e32 v6, 0
	;; [unrolled: 1-line block ×6, first 2 shown]
	s_and_saveexec_b64 s[4:5], s[0:1]
	s_cbranch_execz .LBB112_67
; %bb.48:
	s_ashr_i32 s15, s14, 31
	s_sub_i32 s3, s16, s17
	s_lshl_b64 s[0:1], s[14:15], 1
	s_add_u32 s20, s36, s0
	s_addc_u32 s21, s37, s1
	s_abs_i32 s23, s18
	v_cvt_f32_u32_e32 v2, s23
	s_sub_i32 s0, 0, s23
	s_add_i32 s22, s7, -1
	v_and_b32_e32 v10, 0x1f8, v26
	v_rcp_iflag_f32_e32 v2, v2
	s_mov_b32 s9, s13
	v_or_b32_e32 v12, 0x800, v10
	v_or_b32_e32 v18, 0xa00, v10
	v_mul_f32_e32 v2, 0x4f7ffffe, v2
	v_cvt_u32_f32_e32 v2, v2
	v_or_b32_e32 v28, 0xc00, v10
	s_mov_b32 s13, s12
	s_mov_b32 s14, s12
	v_mul_lo_u32 v3, s0, v2
	v_mul_hi_u32 v3, v2, v3
	s_lshl_b64 s[0:1], s[34:35], 2
	v_add_u32_e32 v24, v2, v3
	v_lshlrev_b64 v[2:3], 2, v[14:15]
	s_add_u32 s0, s30, s0
	s_addc_u32 s1, s31, s1
	v_add_co_u32_e32 v16, vcc, s0, v2
	v_lshlrev_b32_e32 v2, 5, v22
	v_mov_b32_e32 v4, s1
	v_lshl_or_b32 v2, v27, 7, v2
	v_addc_co_u32_e32 v17, vcc, v4, v3, vcc
	v_add_u32_e32 v15, 0xf0, v2
	s_mov_b32 s15, s12
	s_mov_b32 s16, s12
	;; [unrolled: 1-line block ×4, first 2 shown]
	v_mov_b32_e32 v2, s12
	v_and_b32_e32 v23, 24, v26
	s_mov_b32 s28, s29
	s_mov_b32 s36, s29
	;; [unrolled: 1-line block ×7, first 2 shown]
	s_mov_b64 s[6:7], 0
	v_mov_b32_e32 v3, s13
	v_mov_b32_e32 v4, s14
	;; [unrolled: 1-line block ×6, first 2 shown]
	v_lshlrev_b32_e32 v25, 1, v10
	s_mov_b32 s14, 0x5040100
	v_lshlrev_b32_e32 v26, 1, v12
	v_lshlrev_b32_e32 v27, 1, v18
	;; [unrolled: 1-line block ×3, first 2 shown]
	s_branch .LBB112_51
.LBB112_49:                             ;   in Loop: Header=BB112_51 Depth=1
	s_or_b64 exec, exec, s[0:1]
	s_waitcnt vmcnt(0)
	;;#ASMSTART
	v_pk_mul_f16 v10, v40, v10;

	;;#ASMEND
	;;#ASMSTART
	v_pk_mul_f16 v11, v39, v11;

	;;#ASMEND
	;; [unrolled: 4-line block ×4, first 2 shown]
	;;#ASMSTART
	v_pk_add_f16 v10, v10, v11;

	;;#ASMEND
	;;#ASMSTART
	v_pk_add_f16 v10, v10, v12;

	;;#ASMEND
	;; [unrolled: 4-line block ×3, first 2 shown]
	v_add_f32_e32 v29, v43, v44
	v_add_f32_e32 v18, v18, v19
	v_lshrrev_b32_e32 v11, 16, v10
	v_and_b32_e32 v10, 0xffff, v10
	v_add_f32_e32 v2, v2, v29
	v_add_f32_e32 v29, v45, v46
	v_add_f32_e32 v5, v5, v18
	v_add_f32_e32 v18, v49, v50
	;;#ASMSTART
	v_cvt_f32_f16 v10, v10;
	;;#ASMEND
	v_add_f32_e32 v3, v3, v29
	v_add_f32_e32 v29, v47, v48
	;; [unrolled: 1-line block ×4, first 2 shown]
	;;#ASMSTART
	v_cvt_f32_f16 v11, v11;
	;;#ASMEND
	v_add_f32_e32 v10, v10, v11
	v_add_f32_e32 v4, v4, v29
	;; [unrolled: 1-line block ×4, first 2 shown]
.LBB112_50:                             ;   in Loop: Header=BB112_51 Depth=1
	s_or_b64 exec, exec, s[10:11]
	v_add_co_u32_e32 v16, vcc, 8, v16
	v_add_u32_e32 v14, 2, v14
	v_addc_co_u32_e32 v17, vcc, 0, v17, vcc
	v_cmp_le_i32_e32 vcc, s48, v14
	v_add_u32_e32 v1, 64, v1
	s_or_b64 s[6:7], vcc, s[6:7]
	v_add_u32_e32 v15, 0x100, v15
	s_andn2_b64 exec, exec, s[6:7]
	s_cbranch_execz .LBB112_66
.LBB112_51:                             ; =>This Inner Loop Header: Depth=1
	v_sub_u32_e32 v11, 0, v1
	v_max_i32_e32 v11, v1, v11
	v_mul_hi_u32 v12, v11, s33
	v_mul_lo_u32 v13, v12, s25
	v_sub_u32_e32 v11, v11, v13
	v_add_u32_e32 v13, 1, v12
	v_cmp_le_u32_e32 vcc, s25, v11
	v_cndmask_b32_e32 v12, v12, v13, vcc
	v_subrev_u32_e32 v13, s25, v11
	v_cndmask_b32_e32 v11, v11, v13, vcc
	v_ashrrev_i32_e32 v10, 31, v1
	v_add_u32_e32 v13, 1, v12
	v_cmp_le_u32_e32 vcc, s25, v11
	v_xor_b32_e32 v10, s47, v10
	v_cndmask_b32_e32 v11, v12, v13, vcc
	v_xor_b32_e32 v11, v11, v10
	v_sub_u32_e32 v10, v11, v10
	v_add_u32_e32 v11, s46, v10
	v_sub_u32_e32 v13, 0, v11
	v_ashrrev_i32_e32 v12, 31, v11
	v_max_i32_e32 v11, v11, v13
	v_mul_hi_u32 v13, v11, v24
	v_mul_lo_u32 v13, v13, s23
	v_sub_u32_e32 v11, v11, v13
	v_subrev_u32_e32 v13, s23, v11
	v_cmp_le_u32_e32 vcc, s23, v11
	v_cndmask_b32_e32 v11, v11, v13, vcc
	v_subrev_u32_e32 v13, s23, v11
	v_cmp_le_u32_e32 vcc, s23, v11
	v_cndmask_b32_e32 v11, v11, v13, vcc
	v_xor_b32_e32 v11, v11, v12
	v_sub_u32_e32 v11, v11, v12
	v_cmp_eq_u32_e32 vcc, 0, v11
	v_cmp_lt_i32_e64 s[0:1], s3, v10
	s_or_b64 s[0:1], vcc, s[0:1]
	s_and_saveexec_b64 s[10:11], s[0:1]
	s_cbranch_execz .LBB112_50
; %bb.52:                               ;   in Loop: Header=BB112_51 Depth=1
	global_load_dword v18, v[16:17], off
	ds_read2_b64 v[10:13], v15 offset1:1
	ds_read2_b64 v[30:33], v15 offset0:2 offset1:3
	v_mov_b32_e32 v19, s21
	v_add_u32_e32 v29, v23, v1
	s_waitcnt lgkmcnt(1)
	;;#ASMSTART
	v_cvt_f16_f32 v37, v10;

	;;#ASMEND
	;;#ASMSTART
	v_cvt_f16_f32 v38, v11;

	;;#ASMEND
	;; [unrolled: 4-line block ×4, first 2 shown]
	s_waitcnt lgkmcnt(0)
	;;#ASMSTART
	v_cvt_f16_f32 v44, v30;

	;;#ASMEND
	;;#ASMSTART
	v_cvt_f16_f32 v45, v31;

	;;#ASMEND
	;; [unrolled: 4-line block ×4, first 2 shown]
	v_add_u32_e32 v30, 1, v29
	v_or_b32_e32 v32, 3, v29
	v_or_b32_e32 v31, 2, v29
	;; [unrolled: 1-line block ×6, first 2 shown]
	s_waitcnt vmcnt(0)
	v_mad_i64_i32 v[10:11], s[0:1], v18, s9, 0
	v_lshlrev_b64 v[10:11], 1, v[10:11]
	v_add_co_u32_e32 v41, vcc, s20, v10
	v_addc_co_u32_e32 v42, vcc, v19, v11, vcc
	v_add_co_u32_e32 v18, vcc, v41, v25
	v_addc_co_u32_e32 v19, vcc, 0, v42, vcc
	global_load_dwordx4 v[10:13], v[18:19], off
	v_cmp_eq_u32_e32 vcc, s22, v14
	s_and_saveexec_b64 s[12:13], vcc
	s_cbranch_execz .LBB112_54
; %bb.53:                               ;   in Loop: Header=BB112_51 Depth=1
	s_waitcnt vmcnt(0)
	v_lshrrev_b32_e32 v40, 16, v13
	v_cmp_gt_i32_e64 s[0:1], s41, v36
	v_cndmask_b32_e64 v40, 0, v40, s[0:1]
	v_cmp_gt_i32_e64 s[0:1], s40, v35
	v_cndmask_b32_e64 v13, 0, v13, s[0:1]
	v_perm_b32 v13, v40, v13, s14
	v_lshrrev_b32_e32 v40, 16, v12
	v_cmp_gt_i32_e64 s[0:1], s39, v34
	v_cndmask_b32_e64 v40, 0, v40, s[0:1]
	v_cmp_gt_i32_e64 s[0:1], s38, v33
	v_cndmask_b32_e64 v12, 0, v12, s[0:1]
	v_perm_b32 v12, v40, v12, s14
	;; [unrolled: 6-line block ×4, first 2 shown]
.LBB112_54:                             ;   in Loop: Header=BB112_51 Depth=1
	s_or_b64 exec, exec, s[12:13]
	v_and_b32_e32 v37, 0xffff, v37
	v_lshl_or_b32 v40, v38, 16, v37
	v_and_b32_e32 v37, 0xffff, v39
	v_lshl_or_b32 v39, v43, 16, v37
	;; [unrolled: 2-line block ×3, first 2 shown]
	v_and_b32_e32 v37, 0xffff, v46
	s_waitcnt vmcnt(0)
	;;#ASMSTART
	v_pk_mul_f16 v10, v40, v10;

	;;#ASMEND
	v_lshl_or_b32 v37, v47, 16, v37
	;;#ASMSTART
	v_pk_mul_f16 v11, v39, v11;

	;;#ASMEND
	;;#ASMSTART
	v_pk_mul_f16 v12, v38, v12;

	;;#ASMEND
	;; [unrolled: 4-line block ×3, first 2 shown]
	;;#ASMSTART
	v_pk_add_f16 v10, v10, v11;

	;;#ASMEND
	;;#ASMSTART
	v_pk_add_f16 v10, v10, v12;

	;;#ASMEND
	;; [unrolled: 4-line block ×3, first 2 shown]
	v_lshrrev_b32_e32 v11, 16, v10
	v_and_b32_e32 v10, 0xffff, v10
	;;#ASMSTART
	v_cvt_f32_f16 v43, v10;
	;;#ASMEND
	;;#ASMSTART
	v_cvt_f32_f16 v44, v11;
	;;#ASMEND
	global_load_dwordx4 v[10:13], v[18:19], off offset:1024
	s_and_saveexec_b64 s[12:13], vcc
	s_cbranch_execz .LBB112_56
; %bb.55:                               ;   in Loop: Header=BB112_51 Depth=1
	s_waitcnt vmcnt(0)
	v_lshrrev_b32_e32 v45, 16, v13
	v_cmp_gt_i32_e64 s[0:1], s41, v36
	v_cndmask_b32_e64 v45, 0, v45, s[0:1]
	v_cmp_gt_i32_e64 s[0:1], s40, v35
	v_cndmask_b32_e64 v13, 0, v13, s[0:1]
	v_perm_b32 v13, v45, v13, s14
	v_lshrrev_b32_e32 v45, 16, v12
	v_cmp_gt_i32_e64 s[0:1], s39, v34
	v_cndmask_b32_e64 v45, 0, v45, s[0:1]
	v_cmp_gt_i32_e64 s[0:1], s38, v33
	v_cndmask_b32_e64 v12, 0, v12, s[0:1]
	v_perm_b32 v12, v45, v12, s14
	;; [unrolled: 6-line block ×4, first 2 shown]
.LBB112_56:                             ;   in Loop: Header=BB112_51 Depth=1
	s_or_b64 exec, exec, s[12:13]
	s_waitcnt vmcnt(0)
	;;#ASMSTART
	v_pk_mul_f16 v10, v40, v10;

	;;#ASMEND
	;;#ASMSTART
	v_pk_mul_f16 v11, v39, v11;

	;;#ASMEND
	;; [unrolled: 4-line block ×4, first 2 shown]
	;;#ASMSTART
	v_pk_add_f16 v10, v10, v11;

	;;#ASMEND
	;;#ASMSTART
	v_pk_add_f16 v10, v10, v12;

	;;#ASMEND
	;; [unrolled: 4-line block ×3, first 2 shown]
	v_lshrrev_b32_e32 v11, 16, v10
	v_and_b32_e32 v10, 0xffff, v10
	;;#ASMSTART
	v_cvt_f32_f16 v45, v10;
	;;#ASMEND
	;;#ASMSTART
	v_cvt_f32_f16 v46, v11;
	;;#ASMEND
	global_load_dwordx4 v[10:13], v[18:19], off offset:2048
	s_and_saveexec_b64 s[12:13], vcc
	s_cbranch_execz .LBB112_58
; %bb.57:                               ;   in Loop: Header=BB112_51 Depth=1
	s_waitcnt vmcnt(0)
	v_lshrrev_b32_e32 v47, 16, v13
	v_cmp_gt_i32_e64 s[0:1], s41, v36
	v_cndmask_b32_e64 v47, 0, v47, s[0:1]
	v_cmp_gt_i32_e64 s[0:1], s40, v35
	v_cndmask_b32_e64 v13, 0, v13, s[0:1]
	v_perm_b32 v13, v47, v13, s14
	v_lshrrev_b32_e32 v47, 16, v12
	v_cmp_gt_i32_e64 s[0:1], s39, v34
	v_cndmask_b32_e64 v47, 0, v47, s[0:1]
	v_cmp_gt_i32_e64 s[0:1], s38, v33
	v_cndmask_b32_e64 v12, 0, v12, s[0:1]
	v_perm_b32 v12, v47, v12, s14
	;; [unrolled: 6-line block ×4, first 2 shown]
.LBB112_58:                             ;   in Loop: Header=BB112_51 Depth=1
	s_or_b64 exec, exec, s[12:13]
	s_waitcnt vmcnt(0)
	;;#ASMSTART
	v_pk_mul_f16 v10, v40, v10;

	;;#ASMEND
	;;#ASMSTART
	v_pk_mul_f16 v11, v39, v11;

	;;#ASMEND
	;; [unrolled: 4-line block ×4, first 2 shown]
	;;#ASMSTART
	v_pk_add_f16 v10, v10, v11;

	;;#ASMEND
	;;#ASMSTART
	v_pk_add_f16 v10, v10, v12;

	;;#ASMEND
	;; [unrolled: 4-line block ×3, first 2 shown]
	v_lshrrev_b32_e32 v11, 16, v10
	v_and_b32_e32 v10, 0xffff, v10
	;;#ASMSTART
	v_cvt_f32_f16 v47, v10;
	;;#ASMEND
	;;#ASMSTART
	v_cvt_f32_f16 v48, v11;
	;;#ASMEND
	global_load_dwordx4 v[10:13], v[18:19], off offset:3072
	s_and_saveexec_b64 s[12:13], vcc
	s_cbranch_execz .LBB112_60
; %bb.59:                               ;   in Loop: Header=BB112_51 Depth=1
	s_waitcnt vmcnt(0)
	v_lshrrev_b32_e32 v18, 16, v13
	v_cmp_gt_i32_e64 s[0:1], s41, v36
	v_cndmask_b32_e64 v18, 0, v18, s[0:1]
	v_cmp_gt_i32_e64 s[0:1], s40, v35
	v_cndmask_b32_e64 v13, 0, v13, s[0:1]
	v_perm_b32 v13, v18, v13, s14
	v_lshrrev_b32_e32 v18, 16, v12
	v_cmp_gt_i32_e64 s[0:1], s39, v34
	v_cndmask_b32_e64 v18, 0, v18, s[0:1]
	v_cmp_gt_i32_e64 s[0:1], s38, v33
	v_cndmask_b32_e64 v12, 0, v12, s[0:1]
	v_perm_b32 v12, v18, v12, s14
	;; [unrolled: 6-line block ×4, first 2 shown]
.LBB112_60:                             ;   in Loop: Header=BB112_51 Depth=1
	s_or_b64 exec, exec, s[12:13]
	s_waitcnt vmcnt(0)
	;;#ASMSTART
	v_pk_mul_f16 v10, v40, v10;

	;;#ASMEND
	;;#ASMSTART
	v_pk_mul_f16 v11, v39, v11;

	;;#ASMEND
	;; [unrolled: 4-line block ×4, first 2 shown]
	;;#ASMSTART
	v_pk_add_f16 v10, v10, v11;

	;;#ASMEND
	;;#ASMSTART
	v_pk_add_f16 v10, v10, v12;

	;;#ASMEND
	;; [unrolled: 4-line block ×3, first 2 shown]
	v_lshrrev_b32_e32 v11, 16, v10
	v_and_b32_e32 v10, 0xffff, v10
	;;#ASMSTART
	v_cvt_f32_f16 v18, v10;
	;;#ASMEND
	v_add_co_u32_e64 v10, s[0:1], v41, v26
	;;#ASMSTART
	v_cvt_f32_f16 v19, v11;
	;;#ASMEND
	v_addc_co_u32_e64 v11, s[0:1], 0, v42, s[0:1]
	global_load_dwordx4 v[10:13], v[10:11], off
	s_and_saveexec_b64 s[12:13], vcc
	s_cbranch_execz .LBB112_62
; %bb.61:                               ;   in Loop: Header=BB112_51 Depth=1
	s_waitcnt vmcnt(0)
	v_lshrrev_b32_e32 v49, 16, v13
	v_cmp_gt_i32_e64 s[0:1], s41, v36
	v_cndmask_b32_e64 v49, 0, v49, s[0:1]
	v_cmp_gt_i32_e64 s[0:1], s40, v35
	v_cndmask_b32_e64 v13, 0, v13, s[0:1]
	v_perm_b32 v13, v49, v13, s14
	v_lshrrev_b32_e32 v49, 16, v12
	v_cmp_gt_i32_e64 s[0:1], s39, v34
	v_cndmask_b32_e64 v49, 0, v49, s[0:1]
	v_cmp_gt_i32_e64 s[0:1], s38, v33
	v_cndmask_b32_e64 v12, 0, v12, s[0:1]
	v_perm_b32 v12, v49, v12, s14
	;; [unrolled: 6-line block ×4, first 2 shown]
.LBB112_62:                             ;   in Loop: Header=BB112_51 Depth=1
	s_or_b64 exec, exec, s[12:13]
	s_waitcnt vmcnt(0)
	;;#ASMSTART
	v_pk_mul_f16 v10, v40, v10;

	;;#ASMEND
	;;#ASMSTART
	v_pk_mul_f16 v11, v39, v11;

	;;#ASMEND
	;; [unrolled: 4-line block ×4, first 2 shown]
	;;#ASMSTART
	v_pk_add_f16 v10, v10, v11;

	;;#ASMEND
	;;#ASMSTART
	v_pk_add_f16 v10, v10, v12;

	;;#ASMEND
	;; [unrolled: 4-line block ×3, first 2 shown]
	v_lshrrev_b32_e32 v11, 16, v10
	v_and_b32_e32 v10, 0xffff, v10
	;;#ASMSTART
	v_cvt_f32_f16 v49, v10;
	;;#ASMEND
	v_add_co_u32_e64 v10, s[0:1], v41, v27
	;;#ASMSTART
	v_cvt_f32_f16 v50, v11;
	;;#ASMEND
	v_addc_co_u32_e64 v11, s[0:1], 0, v42, s[0:1]
	global_load_dwordx4 v[10:13], v[10:11], off
	s_and_saveexec_b64 s[12:13], vcc
	s_cbranch_execz .LBB112_64
; %bb.63:                               ;   in Loop: Header=BB112_51 Depth=1
	s_waitcnt vmcnt(0)
	v_lshrrev_b32_e32 v51, 16, v13
	v_cmp_gt_i32_e64 s[0:1], s41, v36
	v_cndmask_b32_e64 v51, 0, v51, s[0:1]
	v_cmp_gt_i32_e64 s[0:1], s40, v35
	v_cndmask_b32_e64 v13, 0, v13, s[0:1]
	v_perm_b32 v13, v51, v13, s14
	v_lshrrev_b32_e32 v51, 16, v12
	v_cmp_gt_i32_e64 s[0:1], s39, v34
	v_cndmask_b32_e64 v51, 0, v51, s[0:1]
	v_cmp_gt_i32_e64 s[0:1], s38, v33
	v_cndmask_b32_e64 v12, 0, v12, s[0:1]
	v_perm_b32 v12, v51, v12, s14
	;; [unrolled: 6-line block ×4, first 2 shown]
.LBB112_64:                             ;   in Loop: Header=BB112_51 Depth=1
	s_or_b64 exec, exec, s[12:13]
	s_waitcnt vmcnt(0)
	;;#ASMSTART
	v_pk_mul_f16 v10, v40, v10;

	;;#ASMEND
	;;#ASMSTART
	v_pk_mul_f16 v11, v39, v11;

	;;#ASMEND
	;; [unrolled: 4-line block ×4, first 2 shown]
	;;#ASMSTART
	v_pk_add_f16 v10, v10, v11;

	;;#ASMEND
	;;#ASMSTART
	v_pk_add_f16 v10, v10, v12;

	;;#ASMEND
	;; [unrolled: 4-line block ×3, first 2 shown]
	v_lshrrev_b32_e32 v11, 16, v10
	v_and_b32_e32 v10, 0xffff, v10
	;;#ASMSTART
	v_cvt_f32_f16 v51, v10;
	;;#ASMEND
	v_add_co_u32_e64 v10, s[0:1], v41, v28
	;;#ASMSTART
	v_cvt_f32_f16 v52, v11;
	;;#ASMEND
	v_addc_co_u32_e64 v11, s[0:1], 0, v42, s[0:1]
	global_load_dwordx4 v[10:13], v[10:11], off
	s_and_saveexec_b64 s[0:1], vcc
	s_cbranch_execz .LBB112_49
; %bb.65:                               ;   in Loop: Header=BB112_51 Depth=1
	s_waitcnt vmcnt(0)
	v_lshrrev_b32_e32 v41, 16, v13
	v_cmp_gt_i32_e32 vcc, s41, v36
	v_cndmask_b32_e32 v36, 0, v41, vcc
	v_cmp_gt_i32_e32 vcc, s40, v35
	v_cndmask_b32_e32 v13, 0, v13, vcc
	v_lshrrev_b32_e32 v35, 16, v12
	v_cmp_gt_i32_e32 vcc, s39, v34
	v_cndmask_b32_e32 v34, 0, v35, vcc
	v_cmp_gt_i32_e32 vcc, s38, v33
	v_cndmask_b32_e32 v12, 0, v12, vcc
	v_lshrrev_b32_e32 v33, 16, v11
	v_cmp_gt_i32_e32 vcc, s37, v32
	v_cndmask_b32_e32 v32, 0, v33, vcc
	v_cmp_gt_i32_e32 vcc, s36, v31
	v_cndmask_b32_e32 v11, 0, v11, vcc
	v_lshrrev_b32_e32 v31, 16, v10
	v_cmp_gt_i32_e32 vcc, s28, v30
	v_cndmask_b32_e32 v30, 0, v31, vcc
	v_cmp_gt_i32_e32 vcc, s29, v29
	v_cndmask_b32_e32 v10, 0, v10, vcc
	v_perm_b32 v13, v36, v13, s14
	v_perm_b32 v12, v34, v12, s14
	;; [unrolled: 1-line block ×4, first 2 shown]
	s_branch .LBB112_49
.LBB112_66:
	s_or_b64 exec, exec, s[6:7]
.LBB112_67:
	s_or_b64 exec, exec, s[4:5]
	ds_bpermute_b32 v10, v9, v2
	ds_bpermute_b32 v11, v9, v3
	;; [unrolled: 1-line block ×7, first 2 shown]
	s_waitcnt lgkmcnt(5)
	v_pk_add_f32 v[2:3], v[2:3], v[10:11]
	s_waitcnt lgkmcnt(3)
	v_pk_add_f32 v[6:7], v[6:7], v[14:15]
	s_waitcnt lgkmcnt(2)
	v_add_f32_e32 v1, v8, v1
	ds_bpermute_b32 v10, v21, v2
	ds_bpermute_b32 v11, v21, v3
	s_waitcnt lgkmcnt(2)
	v_pk_add_f32 v[4:5], v[4:5], v[12:13]
	ds_bpermute_b32 v14, v21, v6
	ds_bpermute_b32 v15, v21, v7
	;; [unrolled: 1-line block ×5, first 2 shown]
	s_waitcnt lgkmcnt(5)
	v_pk_add_f32 v[8:9], v[2:3], v[10:11]
	s_waitcnt lgkmcnt(3)
	v_pk_add_f32 v[2:3], v[6:7], v[14:15]
	s_waitcnt lgkmcnt(2)
	v_add_f32_e32 v6, v1, v16
	v_and_b32_e32 v1, 0x3c3, v0
	s_waitcnt lgkmcnt(0)
	v_pk_add_f32 v[4:5], v[4:5], v[12:13]
	v_cmp_eq_u32_e32 vcc, 64, v1
	s_barrier
	s_and_saveexec_b64 s[0:1], vcc
	s_cbranch_execz .LBB112_69
; %bb.68:
	v_add_u32_e32 v7, 0xf0, v20
	ds_write2_b32 v7, v8, v9 offset1:16
	ds_write2_b32 v7, v4, v5 offset0:32 offset1:48
	ds_write2_b32 v7, v2, v3 offset0:64 offset1:80
	ds_write_b32 v7, v6 offset:384
.LBB112_69:
	s_or_b64 exec, exec, s[0:1]
	v_cmp_gt_u32_e32 vcc, 64, v0
	s_waitcnt lgkmcnt(0)
	s_barrier
	s_and_saveexec_b64 s[0:1], vcc
	s_cbranch_execz .LBB112_79
; %bb.70:
	v_cmp_eq_u32_e32 vcc, 0, v22
	v_lshrrev_b32_e32 v7, 2, v0
	s_and_saveexec_b64 s[4:5], vcc
	s_cbranch_execnz .LBB112_82
; %bb.71:
	s_or_b64 exec, exec, s[4:5]
	s_and_saveexec_b64 s[4:5], vcc
	s_cbranch_execnz .LBB112_83
.LBB112_72:
	s_or_b64 exec, exec, s[4:5]
	s_and_saveexec_b64 s[4:5], vcc
	s_cbranch_execnz .LBB112_84
.LBB112_73:
	s_or_b64 exec, exec, s[4:5]
	s_and_saveexec_b64 s[4:5], vcc
	s_cbranch_execnz .LBB112_85
.LBB112_74:
	s_or_b64 exec, exec, s[4:5]
	s_and_saveexec_b64 s[4:5], vcc
	s_cbranch_execnz .LBB112_86
.LBB112_75:
	s_or_b64 exec, exec, s[4:5]
	s_and_saveexec_b64 s[4:5], vcc
	s_cbranch_execnz .LBB112_87
.LBB112_76:
	s_or_b64 exec, exec, s[4:5]
	s_and_saveexec_b64 s[4:5], vcc
	s_cbranch_execz .LBB112_78
.LBB112_77:
	v_mov_b32_e32 v10, 0xf0
	v_lshl_add_u32 v7, v7, 2, v10
	ds_read_b32 v7, v7 offset:384
	s_waitcnt lgkmcnt(0)
	v_add_f32_e32 v6, v6, v7
.LBB112_78:
	s_or_b64 exec, exec, s[4:5]
.LBB112_79:
	s_or_b64 exec, exec, s[0:1]
	v_cmp_eq_u32_e32 vcc, 0, v1
	s_barrier
	s_and_saveexec_b64 s[0:1], vcc
	s_cbranch_execz .LBB112_81
; %bb.80:
	s_mul_i32 s0, s2, 0x70
	s_ashr_i32 s1, s0, 31
	s_lshl_b64 s[0:1], s[0:1], 1
	s_add_u32 s2, s26, s0
	s_mul_i32 s0, s19, s24
	s_addc_u32 s3, s27, s1
	s_ashr_i32 s1, s0, 31
	s_lshl_b64 s[0:1], s[0:1], 1
	s_add_u32 s2, s2, s0
	s_mul_i32 s0, s8, 0x70
	s_addc_u32 s3, s3, s1
	s_ashr_i32 s1, s0, 31
	s_lshl_b64 s[0:1], s[0:1], 1
	s_add_u32 s0, s2, s0
	s_addc_u32 s1, s3, s1
	v_lshrrev_b32_e32 v0, 1, v0
	;;#ASMSTART
	v_cvt_f16_f32 v1, v8;

	;;#ASMEND
	global_store_short v0, v1, s[0:1]
	;;#ASMSTART
	v_cvt_f16_f32 v1, v9;

	;;#ASMEND
	global_store_short v0, v1, s[0:1] offset:32
	;;#ASMSTART
	v_cvt_f16_f32 v1, v4;

	;;#ASMEND
	global_store_short v0, v1, s[0:1] offset:64
	;; [unrolled: 5-line block ×6, first 2 shown]
.LBB112_81:
	s_endpgm
.LBB112_82:
	v_mov_b32_e32 v10, 0xf0
	v_lshl_add_u32 v10, v7, 2, v10
	ds_read_b32 v10, v10
	s_waitcnt lgkmcnt(0)
	v_add_f32_e32 v8, v8, v10
	s_or_b64 exec, exec, s[4:5]
	s_and_saveexec_b64 s[4:5], vcc
	s_cbranch_execz .LBB112_72
.LBB112_83:
	v_mov_b32_e32 v10, 0xf0
	v_lshl_add_u32 v10, v7, 2, v10
	ds_read_b32 v10, v10 offset:64
	s_waitcnt lgkmcnt(0)
	v_add_f32_e32 v9, v9, v10
	s_or_b64 exec, exec, s[4:5]
	s_and_saveexec_b64 s[4:5], vcc
	s_cbranch_execz .LBB112_73
.LBB112_84:
	v_mov_b32_e32 v10, 0xf0
	v_lshl_add_u32 v10, v7, 2, v10
	ds_read_b32 v10, v10 offset:128
	s_waitcnt lgkmcnt(0)
	v_add_f32_e32 v4, v4, v10
	s_or_b64 exec, exec, s[4:5]
	s_and_saveexec_b64 s[4:5], vcc
	s_cbranch_execz .LBB112_74
.LBB112_85:
	v_mov_b32_e32 v10, 0xf0
	v_lshl_add_u32 v10, v7, 2, v10
	ds_read_b32 v10, v10 offset:192
	s_waitcnt lgkmcnt(0)
	v_add_f32_e32 v5, v5, v10
	s_or_b64 exec, exec, s[4:5]
	s_and_saveexec_b64 s[4:5], vcc
	s_cbranch_execz .LBB112_75
.LBB112_86:
	v_mov_b32_e32 v10, 0xf0
	v_lshl_add_u32 v10, v7, 2, v10
	ds_read_b32 v10, v10 offset:256
	s_waitcnt lgkmcnt(0)
	v_add_f32_e32 v2, v2, v10
	s_or_b64 exec, exec, s[4:5]
	s_and_saveexec_b64 s[4:5], vcc
	s_cbranch_execz .LBB112_76
.LBB112_87:
	v_mov_b32_e32 v10, 0xf0
	v_lshl_add_u32 v10, v7, 2, v10
	ds_read_b32 v10, v10 offset:320
	s_waitcnt lgkmcnt(0)
	v_add_f32_e32 v3, v3, v10
	s_or_b64 exec, exec, s[4:5]
	s_and_saveexec_b64 s[4:5], vcc
	s_cbranch_execnz .LBB112_77
	s_branch .LBB112_78
	.section	.rodata,"a",@progbits
	.p2align	6, 0x0
	.amdhsa_kernel _ZN4vllm25paged_attention_v2_kernelIttLi112ELi32ELi128ELNS_18Fp8KVCacheDataTypeE0ELb1ELi512EEEvPfS2_PT_PKS3_PKT0_S9_ifPKiSB_iPKfiiiSD_SD_iiiii
		.amdhsa_group_segment_fixed_size 240
		.amdhsa_private_segment_fixed_size 0
		.amdhsa_kernarg_size 400
		.amdhsa_user_sgpr_count 6
		.amdhsa_user_sgpr_private_segment_buffer 1
		.amdhsa_user_sgpr_dispatch_ptr 0
		.amdhsa_user_sgpr_queue_ptr 0
		.amdhsa_user_sgpr_kernarg_segment_ptr 1
		.amdhsa_user_sgpr_dispatch_id 0
		.amdhsa_user_sgpr_flat_scratch_init 0
		.amdhsa_user_sgpr_kernarg_preload_length 0
		.amdhsa_user_sgpr_kernarg_preload_offset 0
		.amdhsa_user_sgpr_private_segment_size 0
		.amdhsa_uses_dynamic_stack 0
		.amdhsa_system_sgpr_private_segment_wavefront_offset 0
		.amdhsa_system_sgpr_workgroup_id_x 1
		.amdhsa_system_sgpr_workgroup_id_y 1
		.amdhsa_system_sgpr_workgroup_id_z 1
		.amdhsa_system_sgpr_workgroup_info 0
		.amdhsa_system_vgpr_workitem_id 0
		.amdhsa_next_free_vgpr 80
		.amdhsa_next_free_sgpr 56
		.amdhsa_accum_offset 80
		.amdhsa_reserve_vcc 1
		.amdhsa_reserve_flat_scratch 0
		.amdhsa_float_round_mode_32 0
		.amdhsa_float_round_mode_16_64 0
		.amdhsa_float_denorm_mode_32 3
		.amdhsa_float_denorm_mode_16_64 3
		.amdhsa_dx10_clamp 1
		.amdhsa_ieee_mode 1
		.amdhsa_fp16_overflow 0
		.amdhsa_tg_split 0
		.amdhsa_exception_fp_ieee_invalid_op 0
		.amdhsa_exception_fp_denorm_src 0
		.amdhsa_exception_fp_ieee_div_zero 0
		.amdhsa_exception_fp_ieee_overflow 0
		.amdhsa_exception_fp_ieee_underflow 0
		.amdhsa_exception_fp_ieee_inexact 0
		.amdhsa_exception_int_div_zero 0
	.end_amdhsa_kernel
	.section	.text._ZN4vllm25paged_attention_v2_kernelIttLi112ELi32ELi128ELNS_18Fp8KVCacheDataTypeE0ELb1ELi512EEEvPfS2_PT_PKS3_PKT0_S9_ifPKiSB_iPKfiiiSD_SD_iiiii,"axG",@progbits,_ZN4vllm25paged_attention_v2_kernelIttLi112ELi32ELi128ELNS_18Fp8KVCacheDataTypeE0ELb1ELi512EEEvPfS2_PT_PKS3_PKT0_S9_ifPKiSB_iPKfiiiSD_SD_iiiii,comdat
.Lfunc_end112:
	.size	_ZN4vllm25paged_attention_v2_kernelIttLi112ELi32ELi128ELNS_18Fp8KVCacheDataTypeE0ELb1ELi512EEEvPfS2_PT_PKS3_PKT0_S9_ifPKiSB_iPKfiiiSD_SD_iiiii, .Lfunc_end112-_ZN4vllm25paged_attention_v2_kernelIttLi112ELi32ELi128ELNS_18Fp8KVCacheDataTypeE0ELb1ELi512EEEvPfS2_PT_PKS3_PKT0_S9_ifPKiSB_iPKfiiiSD_SD_iiiii
                                        ; -- End function
	.section	.AMDGPU.csdata,"",@progbits
; Kernel info:
; codeLenInByte = 8824
; NumSgprs: 60
; NumVgprs: 80
; NumAgprs: 0
; TotalNumVgprs: 80
; ScratchSize: 0
; MemoryBound: 0
; FloatMode: 240
; IeeeMode: 1
; LDSByteSize: 240 bytes/workgroup (compile time only)
; SGPRBlocks: 7
; VGPRBlocks: 9
; NumSGPRsForWavesPerEU: 60
; NumVGPRsForWavesPerEU: 80
; AccumOffset: 80
; Occupancy: 6
; WaveLimiterHint : 1
; COMPUTE_PGM_RSRC2:SCRATCH_EN: 0
; COMPUTE_PGM_RSRC2:USER_SGPR: 6
; COMPUTE_PGM_RSRC2:TRAP_HANDLER: 0
; COMPUTE_PGM_RSRC2:TGID_X_EN: 1
; COMPUTE_PGM_RSRC2:TGID_Y_EN: 1
; COMPUTE_PGM_RSRC2:TGID_Z_EN: 1
; COMPUTE_PGM_RSRC2:TIDIG_COMP_CNT: 0
; COMPUTE_PGM_RSRC3_GFX90A:ACCUM_OFFSET: 19
; COMPUTE_PGM_RSRC3_GFX90A:TG_SPLIT: 0
	.section	.text._ZN4vllm25paged_attention_v2_kernelIttLi120ELi32ELi128ELNS_18Fp8KVCacheDataTypeE0ELb1ELi512EEEvPfS2_PT_PKS3_PKT0_S9_ifPKiSB_iPKfiiiSD_SD_iiiii,"axG",@progbits,_ZN4vllm25paged_attention_v2_kernelIttLi120ELi32ELi128ELNS_18Fp8KVCacheDataTypeE0ELb1ELi512EEEvPfS2_PT_PKS3_PKT0_S9_ifPKiSB_iPKfiiiSD_SD_iiiii,comdat
	.protected	_ZN4vllm25paged_attention_v2_kernelIttLi120ELi32ELi128ELNS_18Fp8KVCacheDataTypeE0ELb1ELi512EEEvPfS2_PT_PKS3_PKT0_S9_ifPKiSB_iPKfiiiSD_SD_iiiii ; -- Begin function _ZN4vllm25paged_attention_v2_kernelIttLi120ELi32ELi128ELNS_18Fp8KVCacheDataTypeE0ELb1ELi512EEEvPfS2_PT_PKS3_PKT0_S9_ifPKiSB_iPKfiiiSD_SD_iiiii
	.globl	_ZN4vllm25paged_attention_v2_kernelIttLi120ELi32ELi128ELNS_18Fp8KVCacheDataTypeE0ELb1ELi512EEEvPfS2_PT_PKS3_PKT0_S9_ifPKiSB_iPKfiiiSD_SD_iiiii
	.p2align	8
	.type	_ZN4vllm25paged_attention_v2_kernelIttLi120ELi32ELi128ELNS_18Fp8KVCacheDataTypeE0ELb1ELi512EEEvPfS2_PT_PKS3_PKT0_S9_ifPKiSB_iPKfiiiSD_SD_iiiii,@function
_ZN4vllm25paged_attention_v2_kernelIttLi120ELi32ELi128ELNS_18Fp8KVCacheDataTypeE0ELb1ELi512EEEvPfS2_PT_PKS3_PKT0_S9_ifPKiSB_iPKfiiiSD_SD_iiiii: ; @_ZN4vllm25paged_attention_v2_kernelIttLi120ELi32ELi128ELNS_18Fp8KVCacheDataTypeE0ELb1ELi512EEEvPfS2_PT_PKS3_PKT0_S9_ifPKiSB_iPKfiiiSD_SD_iiiii
; %bb.0:
	s_load_dwordx2 s[0:1], s[4:5], 0x40
	s_mov_b32 s28, s7
	s_ashr_i32 s29, s7, 31
	s_lshl_b64 s[2:3], s[28:29], 2
	s_waitcnt lgkmcnt(0)
	s_add_u32 s0, s0, s2
	s_addc_u32 s1, s1, s3
	s_load_dword s29, s[0:1], 0x0
	s_lshl_b32 s50, s8, 9
	s_waitcnt lgkmcnt(0)
	s_cmp_ge_i32 s50, s29
	s_cbranch_scc1 .LBB113_93
; %bb.1:
	s_load_dword s9, s[4:5], 0x90
	s_load_dwordx2 s[38:39], s[4:5], 0x30
	s_waitcnt lgkmcnt(0)
	s_abs_i32 s2, s9
	s_abs_i32 s0, s38
	v_cvt_f32_u32_e32 v1, s0
	s_sub_i32 s3, 0, s0
	s_xor_b32 s1, s9, s38
	s_ashr_i32 s1, s1, 31
	v_rcp_iflag_f32_e32 v1, v1
	v_mul_f32_e32 v1, 0x4f7ffffe, v1
	v_cvt_u32_f32_e32 v1, v1
	v_readfirstlane_b32 s7, v1
	s_mul_i32 s3, s3, s7
	s_mul_hi_u32 s3, s7, s3
	s_add_i32 s7, s7, s3
	s_mul_hi_u32 s3, s2, s7
	s_mul_i32 s7, s3, s0
	s_sub_i32 s2, s2, s7
	s_add_i32 s10, s3, 1
	s_sub_i32 s7, s2, s0
	s_cmp_ge_u32 s2, s0
	s_cselect_b32 s3, s10, s3
	s_cselect_b32 s2, s7, s2
	s_add_i32 s7, s3, 1
	s_cmp_ge_u32 s2, s0
	s_cselect_b32 s0, s7, s3
	s_xor_b32 s0, s0, s1
	s_sub_i32 s12, s0, s1
	s_abs_i32 s2, s12
	v_cvt_f32_u32_e32 v1, s2
	s_load_dwordx2 s[0:1], s[4:5], 0x50
	s_sub_i32 s10, 0, s2
	s_abs_i32 s3, s6
	v_rcp_iflag_f32_e32 v1, v1
	s_mov_b32 s7, 0
	v_mul_f32_e32 v1, 0x4f7ffffe, v1
	v_cvt_u32_f32_e32 v1, v1
	v_readfirstlane_b32 s11, v1
	s_mul_i32 s10, s10, s11
	s_mul_hi_u32 s10, s11, s10
	s_add_i32 s11, s11, s10
	s_waitcnt lgkmcnt(0)
	s_cmp_eq_u64 s[0:1], 0
	s_mul_hi_u32 s10, s3, s11
	s_cbranch_scc1 .LBB113_3
; %bb.2:
	s_ashr_i32 s7, s6, 31
	s_lshl_b64 s[14:15], s[6:7], 2
	s_add_u32 s0, s0, s14
	s_addc_u32 s1, s1, s15
	s_load_dword s7, s[0:1], 0x0
.LBB113_3:
	s_ashr_i32 s16, s12, 31
	s_load_dwordx4 s[12:15], s[4:5], 0x58
	s_ashr_i32 s11, s6, 31
	v_and_b32_e32 v2, 1, v0
	s_waitcnt lgkmcnt(0)
	s_movk_i32 s15, 0x78
	s_mul_i32 s24, s6, 0x78
	v_cmp_gt_u32_e32 vcc, 30, v0
	v_lshlrev_b32_e32 v36, 3, v0
	s_and_saveexec_b64 s[0:1], vcc
	s_cbranch_execz .LBB113_5
; %bb.4:
	s_load_dwordx2 s[18:19], s[4:5], 0x18
	s_mul_i32 s20, s28, s12
	s_ashr_i32 s21, s20, 31
	s_lshl_b64 s[20:21], s[20:21], 1
	v_lshlrev_b32_e32 v1, 2, v0
	s_waitcnt lgkmcnt(0)
	s_add_u32 s12, s18, s20
	s_addc_u32 s17, s19, s21
	s_ashr_i32 s25, s24, 31
	s_lshl_b64 s[18:19], s[24:25], 1
	s_add_u32 s18, s12, s18
	s_addc_u32 s19, s17, s19
	global_load_dwordx2 v[4:5], v36, s[18:19]
	v_and_b32_e32 v1, 0xff8, v1
	v_mad_u32_u24 v1, v2, s15, v1
	s_waitcnt vmcnt(0)
	ds_write_b64 v1, v[4:5]
.LBB113_5:
	s_or_b64 exec, exec, s[0:1]
	s_mul_i32 s1, s10, s2
	s_sub_i32 s1, s3, s1
	s_xor_b32 s0, s11, s16
	s_add_i32 s3, s10, 1
	s_sub_i32 s11, s1, s2
	s_load_dwordx4 s[16:19], s[4:5], 0x78
	s_cmp_ge_u32 s1, s2
	s_cselect_b32 s3, s3, s10
	s_cselect_b32 s1, s11, s1
	s_load_dword s11, s[4:5], 0x88
	s_add_i32 s10, s3, 1
	s_cmp_ge_u32 s1, s2
	s_cselect_b32 s1, s10, s3
	s_waitcnt lgkmcnt(0)
	s_abs_i32 s33, s19
	v_cvt_f32_u32_e32 v1, s33
	s_xor_b32 s1, s1, s0
	s_sub_i32 s2, s1, s0
	s_sub_i32 s0, 0, s33
	v_rcp_iflag_f32_e32 v1, v1
	s_add_i32 s12, s29, -1
	s_abs_i32 s3, s12
	v_mul_f32_e32 v1, 0x4f7ffffe, v1
	v_cvt_u32_f32_e32 v1, v1
	s_barrier
	v_readfirstlane_b32 s46, v1
	s_mul_i32 s0, s0, s46
	s_mul_hi_u32 s0, s46, s0
	s_add_i32 s46, s46, s0
	s_cmp_lt_i32 s11, 0
	s_mul_hi_u32 s10, s3, s46
	s_cbranch_scc0 .LBB113_7
; %bb.6:
	s_mul_i32 s0, s16, s38
	s_add_i32 s0, s2, s0
	s_mul_i32 s0, s0, s11
	s_sub_i32 s47, 1, s0
	s_mov_b64 s[0:1], 0
	s_branch .LBB113_8
.LBB113_7:
	s_mov_b64 s[0:1], -1
                                        ; implicit-def: $sgpr47
.LBB113_8:
	s_load_dwordx2 s[30:31], s[4:5], 0x38
	s_ashr_i32 s12, s12, 31
	s_andn2_b64 vcc, exec, s[0:1]
	s_ashr_i32 s48, s19, 31
	s_cbranch_vccnz .LBB113_10
; %bb.9:
	s_mul_i32 s0, s9, s16
	s_add_i32 s0, s0, s6
	s_mul_i32 s0, s0, s11
	s_add_i32 s47, s0, 1
.LBB113_10:
	s_load_dword s0, s[4:5], 0x48
	s_load_dwordx2 s[36:37], s[4:5], 0x28
	s_load_dword s25, s[4:5], 0x98
	s_load_dwordx4 s[20:23], s[4:5], 0x0
	s_load_dwordx2 s[26:27], s[4:5], 0x10
	s_mul_i32 s1, s10, s33
	s_waitcnt lgkmcnt(0)
	s_mul_i32 s34, s28, s0
	s_sub_i32 s1, s3, s1
	s_ashr_i32 s35, s34, 31
	s_xor_b32 s0, s12, s48
	s_add_i32 s3, s10, 1
	s_sub_i32 s11, s1, s33
	s_cmp_ge_u32 s1, s33
	s_cselect_b32 s3, s3, s10
	s_cselect_b32 s1, s11, s1
	s_add_i32 s10, s3, 1
	s_cmp_ge_u32 s1, s33
	s_cselect_b32 s1, s10, s3
	s_xor_b32 s1, s1, s0
	s_sub_i32 s19, s1, s0
	s_add_i32 s0, s29, 31
	s_ashr_i32 s1, s0, 31
	s_lshr_b32 s1, s1, 27
	s_add_i32 s0, s0, s1
	s_lshl_b32 s12, s8, 4
	s_ashr_i32 s16, s0, 5
	s_add_i32 s0, s12, 16
	v_lshrrev_b32_e32 v37, 6, v0
	s_min_i32 s49, s0, s16
	v_or_b32_e32 v14, s12, v37
	v_cmp_gt_i32_e64 s[0:1], s49, v14
	v_mov_b32_e32 v43, 0xff7fffff
	s_mul_i32 s14, s2, s14
	v_ashrrev_i32_e32 v15, 31, v14
	v_lshl_add_u32 v1, v37, 5, s50
	v_mbcnt_lo_u32_b32 v38, -1, 0
	s_and_saveexec_b64 s[40:41], s[0:1]
	s_cbranch_execz .LBB113_20
; %bb.11:
	s_load_dwordx2 s[4:5], s[4:5], 0x20
	s_ashr_i32 s15, s14, 31
	s_sub_i32 s38, s19, s17
	s_lshl_b64 s[10:11], s[14:15], 1
	v_bfe_u32 v39, v0, 1, 5
	s_waitcnt lgkmcnt(0)
	s_add_u32 s4, s4, s10
	s_addc_u32 s5, s5, s11
	s_abs_i32 s15, s18
	v_cvt_f32_u32_e32 v5, s15
	v_lshlrev_b32_e32 v3, 4, v39
	v_mov_b32_e32 v4, s5
	v_add_co_u32_e32 v3, vcc, s4, v3
	v_rcp_iflag_f32_e32 v5, v5
	v_addc_co_u32_e32 v4, vcc, 0, v4, vcc
	v_and_b32_e32 v6, 8, v36
	v_add_co_u32_e32 v40, vcc, v3, v6
	v_mul_f32_e32 v3, 0x4f7ffffe, v5
	v_cvt_u32_f32_e32 v3, v3
	s_sub_i32 s10, 0, s15
	v_cmp_eq_u32_e64 s[2:3], 0, v2
	v_mul_u32_u24_e32 v42, 0x78, v2
	v_mul_lo_u32 v2, s10, v3
	s_lshl_b64 s[10:11], s[34:35], 2
	v_mul_hi_u32 v2, v3, v2
	s_add_u32 s10, s30, s10
	v_addc_co_u32_e32 v41, vcc, 0, v4, vcc
	v_add_u32_e32 v44, v3, v2
	v_lshlrev_b64 v[2:3], 2, v[14:15]
	s_addc_u32 s11, s31, s11
	v_mov_b32_e32 v4, s11
	v_add_co_u32_e32 v2, vcc, s10, v2
	v_addc_co_u32_e32 v3, vcc, v4, v3, vcc
	v_lshlrev_b32_e32 v4, 2, v39
	v_lshl_or_b32 v4, v37, 7, v4
	v_add_u32_e32 v46, 0x100, v4
	v_subrev_u32_e32 v4, s29, v39
	v_mbcnt_hi_u32_b32 v49, -1, v38
	v_add_u32_e32 v47, 1, v4
	v_and_b32_e32 v4, 64, v49
	s_mov_b32 s51, s13
	v_cmp_neq_f32_e64 s[4:5], s7, 0
	v_lshl_add_u32 v45, v37, 5, s50
	s_mov_b64 s[42:43], 0
	v_mov_b32_e32 v48, 0xff7fffff
	s_movk_i32 s52, 0x1000
	v_xor_b32_e32 v50, 1, v49
	v_add_u32_e32 v51, 64, v4
	v_mov_b32_e32 v43, 0xff7fffff
	v_mov_b32_e32 v52, v14
	s_branch .LBB113_14
.LBB113_12:                             ;   in Loop: Header=BB113_14 Depth=1
	s_or_b64 exec, exec, s[44:45]
.LBB113_13:                             ;   in Loop: Header=BB113_14 Depth=1
	s_or_b64 exec, exec, s[10:11]
	v_add_co_u32_e32 v2, vcc, 8, v2
	v_add_u32_e32 v52, 2, v52
	v_addc_co_u32_e32 v3, vcc, 0, v3, vcc
	v_cmp_le_i32_e32 vcc, s49, v52
	v_add_u32_e32 v45, 64, v45
	s_or_b64 s[42:43], vcc, s[42:43]
	v_add_u32_e32 v46, 0x100, v46
	s_andn2_b64 exec, exec, s[42:43]
	s_cbranch_execz .LBB113_19
.LBB113_14:                             ; =>This Inner Loop Header: Depth=1
	s_waitcnt lgkmcnt(0)
	v_sub_u32_e32 v5, 0, v45
	v_max_i32_e32 v5, v45, v5
	v_mul_hi_u32 v6, v5, s46
	v_mul_lo_u32 v7, v6, s33
	v_sub_u32_e32 v5, v5, v7
	v_add_u32_e32 v7, 1, v6
	v_cmp_le_u32_e32 vcc, s33, v5
	v_cndmask_b32_e32 v6, v6, v7, vcc
	v_subrev_u32_e32 v7, s33, v5
	v_cndmask_b32_e32 v5, v5, v7, vcc
	v_ashrrev_i32_e32 v4, 31, v45
	v_add_u32_e32 v7, 1, v6
	v_cmp_le_u32_e32 vcc, s33, v5
	v_xor_b32_e32 v4, s48, v4
	v_cndmask_b32_e32 v5, v6, v7, vcc
	v_xor_b32_e32 v5, v5, v4
	v_sub_u32_e32 v4, v5, v4
	v_add_u32_e32 v5, s47, v4
	v_sub_u32_e32 v7, 0, v5
	v_ashrrev_i32_e32 v6, 31, v5
	v_max_i32_e32 v5, v5, v7
	v_mul_hi_u32 v7, v5, v44
	v_mul_lo_u32 v7, v7, s15
	v_sub_u32_e32 v5, v5, v7
	v_subrev_u32_e32 v7, s15, v5
	v_cmp_le_u32_e32 vcc, s15, v5
	v_cndmask_b32_e32 v5, v5, v7, vcc
	v_subrev_u32_e32 v7, s15, v5
	v_cmp_le_u32_e32 vcc, s15, v5
	v_cndmask_b32_e32 v5, v5, v7, vcc
	v_xor_b32_e32 v5, v5, v6
	v_sub_u32_e32 v5, v5, v6
	v_cmp_ne_u32_e32 vcc, 0, v5
	v_cmp_ge_i32_e64 s[10:11], s38, v4
	s_and_b64 s[10:11], vcc, s[10:11]
	s_and_b64 s[54:55], s[2:3], s[10:11]
	s_and_saveexec_b64 s[44:45], s[54:55]
	s_cbranch_execz .LBB113_16
; %bb.15:                               ;   in Loop: Header=BB113_14 Depth=1
	ds_write_b32 v46, v48
.LBB113_16:                             ;   in Loop: Header=BB113_14 Depth=1
	s_or_b64 exec, exec, s[44:45]
	s_xor_b64 s[44:45], s[10:11], -1
	s_and_saveexec_b64 s[10:11], s[44:45]
	s_cbranch_execz .LBB113_13
; %bb.17:                               ;   in Loop: Header=BB113_14 Depth=1
	global_load_dword v4, v[2:3], off
	s_waitcnt vmcnt(0)
	v_mad_i64_i32 v[4:5], s[44:45], v4, s51, 0
	v_lshlrev_b64 v[4:5], 1, v[4:5]
	v_add_co_u32_e32 v4, vcc, v40, v4
	v_addc_co_u32_e32 v5, vcc, v41, v5, vcc
	global_load_dwordx2 v[34:35], v[4:5], off
	global_load_dwordx2 v[32:33], v[4:5], off offset:512
	global_load_dwordx2 v[30:31], v[4:5], off offset:1024
	global_load_dwordx2 v[28:29], v[4:5], off offset:1536
	global_load_dwordx2 v[26:27], v[4:5], off offset:2048
	global_load_dwordx2 v[24:25], v[4:5], off offset:2560
	global_load_dwordx2 v[22:23], v[4:5], off offset:3072
	global_load_dwordx2 v[20:21], v[4:5], off offset:3584
	v_add_co_u32_e32 v10, vcc, s52, v4
	v_addc_co_u32_e32 v11, vcc, 0, v5, vcc
	global_load_dwordx2 v[18:19], v[10:11], off
	ds_read_b64 v[4:5], v42
	v_cmp_lt_i32_e32 vcc, v50, v51
	s_waitcnt lgkmcnt(0)
	v_lshrrev_b32_e32 v53, 16, v4
	v_and_b32_e32 v54, 0xffff, v4
	v_lshrrev_b32_e32 v55, 16, v5
	v_and_b32_e32 v56, 0xffff, v5
	global_load_dwordx2 v[8:9], v[10:11], off offset:512
	global_load_dwordx2 v[6:7], v[10:11], off offset:1024
	;; [unrolled: 1-line block ×5, first 2 shown]
	s_nop 0
	global_load_dwordx2 v[10:11], v[10:11], off offset:3072
	;;#ASMSTART
	v_cvt_f32_f16 v54, v54;
	;;#ASMEND
	;;#ASMSTART
	v_cvt_f32_f16 v53, v53;
	;;#ASMEND
	s_waitcnt vmcnt(14)
	v_lshrrev_b32_e32 v57, 16, v34
	v_and_b32_e32 v34, 0xffff, v34
	v_lshrrev_b32_e32 v58, 16, v35
	v_and_b32_e32 v35, 0xffff, v35
	;;#ASMSTART
	v_cvt_f32_f16 v34, v34;
	;;#ASMEND
	;;#ASMSTART
	v_cvt_f32_f16 v57, v57;
	;;#ASMEND
	;; [unrolled: 3-line block ×3, first 2 shown]
	s_waitcnt vmcnt(7)
	v_lshrrev_b32_e32 v73, 16, v20
	v_and_b32_e32 v74, 0xffff, v20
	v_lshrrev_b32_e32 v75, 16, v21
	v_and_b32_e32 v76, 0xffff, v21
	;;#ASMSTART
	v_cvt_f32_f16 v55, v55;
	;;#ASMEND
	;;#ASMSTART
	v_cvt_f32_f16 v35, v35;
	;;#ASMEND
	;; [unrolled: 3-line block ×3, first 2 shown]
	ds_read_b64 v[20:21], v42 offset:8
	v_lshrrev_b32_e32 v59, 16, v32
	v_and_b32_e32 v32, 0xffff, v32
	v_lshrrev_b32_e32 v60, 16, v33
	v_and_b32_e32 v33, 0xffff, v33
	s_waitcnt vmcnt(6)
	v_lshrrev_b32_e32 v77, 16, v18
	v_and_b32_e32 v78, 0xffff, v18
	v_lshrrev_b32_e32 v79, 16, v19
	v_and_b32_e32 v80, 0xffff, v19
	s_waitcnt lgkmcnt(0)
	v_lshrrev_b32_e32 v18, 16, v20
	v_and_b32_e32 v19, 0xffff, v20
	v_lshrrev_b32_e32 v20, 16, v21
	v_and_b32_e32 v21, 0xffff, v21
	;; [unrolled: 2-line block ×4, first 2 shown]
	;;#ASMSTART
	v_cvt_f32_f16 v19, v19;
	;;#ASMEND
	;;#ASMSTART
	v_cvt_f32_f16 v81, v18;
	;;#ASMEND
	;; [unrolled: 3-line block ×8, first 2 shown]
	ds_read_b64 v[22:23], v42 offset:16
	v_lshrrev_b32_e32 v61, 16, v30
	v_and_b32_e32 v30, 0xffff, v30
	v_lshrrev_b32_e32 v62, 16, v31
	v_and_b32_e32 v31, 0xffff, v31
	v_mul_f32_e32 v18, v19, v18
	v_mul_f32_e32 v19, v81, v32
	;; [unrolled: 1-line block ×4, first 2 shown]
	s_waitcnt lgkmcnt(0)
	v_lshrrev_b32_e32 v32, 16, v22
	v_and_b32_e32 v22, 0xffff, v22
	v_lshrrev_b32_e32 v33, 16, v23
	v_and_b32_e32 v23, 0xffff, v23
	v_fmac_f32_e32 v18, v54, v34
	v_fmac_f32_e32 v19, v53, v57
	;; [unrolled: 1-line block ×3, first 2 shown]
	;;#ASMSTART
	v_cvt_f32_f16 v34, v22;
	;;#ASMEND
	;;#ASMSTART
	v_cvt_f32_f16 v32, v32;
	;;#ASMEND
	;; [unrolled: 3-line block ×8, first 2 shown]
	ds_read_b64 v[22:23], v42 offset:24
	v_lshrrev_b32_e32 v63, 16, v28
	v_and_b32_e32 v28, 0xffff, v28
	v_lshrrev_b32_e32 v64, 16, v29
	v_and_b32_e32 v29, 0xffff, v29
	v_fmac_f32_e32 v21, v55, v58
	v_fmac_f32_e32 v18, v34, v30
	;; [unrolled: 1-line block ×3, first 2 shown]
	s_waitcnt lgkmcnt(0)
	v_lshrrev_b32_e32 v30, 16, v22
	v_and_b32_e32 v22, 0xffff, v22
	v_lshrrev_b32_e32 v31, 16, v23
	v_and_b32_e32 v23, 0xffff, v23
	v_fmac_f32_e32 v19, v32, v35
	v_fmac_f32_e32 v21, v33, v54
	;;#ASMSTART
	v_cvt_f32_f16 v32, v22;
	;;#ASMEND
	;;#ASMSTART
	v_cvt_f32_f16 v30, v30;
	;;#ASMEND
	;;#ASMSTART
	v_cvt_f32_f16 v28, v28;
	;;#ASMEND
	;;#ASMSTART
	v_cvt_f32_f16 v33, v63;
	;;#ASMEND
	;;#ASMSTART
	v_cvt_f32_f16 v34, v23;
	;;#ASMEND
	;;#ASMSTART
	v_cvt_f32_f16 v31, v31;
	;;#ASMEND
	;;#ASMSTART
	v_cvt_f32_f16 v29, v29;
	;;#ASMEND
	;;#ASMSTART
	v_cvt_f32_f16 v35, v64;
	;;#ASMEND
	ds_read_b64 v[22:23], v42 offset:32
	v_lshrrev_b32_e32 v65, 16, v26
	v_and_b32_e32 v26, 0xffff, v26
	v_lshrrev_b32_e32 v66, 16, v27
	v_and_b32_e32 v27, 0xffff, v27
	v_fmac_f32_e32 v18, v32, v28
	v_fmac_f32_e32 v20, v34, v29
	s_waitcnt lgkmcnt(0)
	v_lshrrev_b32_e32 v28, 16, v22
	v_and_b32_e32 v22, 0xffff, v22
	v_lshrrev_b32_e32 v29, 16, v23
	v_and_b32_e32 v23, 0xffff, v23
	v_fmac_f32_e32 v19, v30, v33
	v_fmac_f32_e32 v21, v31, v35
	;;#ASMSTART
	v_cvt_f32_f16 v30, v22;
	;;#ASMEND
	;;#ASMSTART
	v_cvt_f32_f16 v28, v28;
	;;#ASMEND
	;; [unrolled: 3-line block ×8, first 2 shown]
	ds_read_b64 v[22:23], v42 offset:40
	v_lshrrev_b32_e32 v67, 16, v24
	v_and_b32_e32 v24, 0xffff, v24
	v_lshrrev_b32_e32 v68, 16, v25
	v_and_b32_e32 v25, 0xffff, v25
	v_fmac_f32_e32 v18, v30, v26
	v_fmac_f32_e32 v20, v32, v27
	s_waitcnt lgkmcnt(0)
	v_lshrrev_b32_e32 v26, 16, v22
	v_and_b32_e32 v22, 0xffff, v22
	v_lshrrev_b32_e32 v27, 16, v23
	v_and_b32_e32 v23, 0xffff, v23
	v_fmac_f32_e32 v19, v28, v31
	v_fmac_f32_e32 v21, v29, v33
	;;#ASMSTART
	v_cvt_f32_f16 v28, v22;
	;;#ASMEND
	;;#ASMSTART
	v_cvt_f32_f16 v26, v26;
	;;#ASMEND
	;;#ASMSTART
	v_cvt_f32_f16 v24, v24;
	;;#ASMEND
	;;#ASMSTART
	v_cvt_f32_f16 v29, v67;
	;;#ASMEND
	;;#ASMSTART
	v_cvt_f32_f16 v30, v23;
	;;#ASMEND
	;;#ASMSTART
	v_cvt_f32_f16 v27, v27;
	;;#ASMEND
	;;#ASMSTART
	v_cvt_f32_f16 v25, v25;
	;;#ASMEND
	;;#ASMSTART
	v_cvt_f32_f16 v31, v68;
	;;#ASMEND
	ds_read_b64 v[22:23], v42 offset:48
	v_fmac_f32_e32 v18, v28, v24
	v_fmac_f32_e32 v20, v30, v25
	v_fmac_f32_e32 v19, v26, v29
	v_fmac_f32_e32 v21, v27, v31
	s_waitcnt lgkmcnt(0)
	v_lshrrev_b32_e32 v24, 16, v22
	v_and_b32_e32 v22, 0xffff, v22
	v_lshrrev_b32_e32 v25, 16, v23
	v_and_b32_e32 v23, 0xffff, v23
	;;#ASMSTART
	v_cvt_f32_f16 v26, v22;
	;;#ASMEND
	;;#ASMSTART
	v_cvt_f32_f16 v24, v24;
	;;#ASMEND
	;;#ASMSTART
	v_cvt_f32_f16 v27, v70;
	;;#ASMEND
	;;#ASMSTART
	v_cvt_f32_f16 v28, v69;
	;;#ASMEND
	;;#ASMSTART
	v_cvt_f32_f16 v29, v23;
	;;#ASMEND
	;;#ASMSTART
	v_cvt_f32_f16 v25, v25;
	;;#ASMEND
	;;#ASMSTART
	v_cvt_f32_f16 v30, v72;
	;;#ASMEND
	;;#ASMSTART
	v_cvt_f32_f16 v31, v71;
	;;#ASMEND
	ds_read_b64 v[22:23], v42 offset:56
	v_fmac_f32_e32 v19, v24, v28
	v_fmac_f32_e32 v21, v25, v31
	v_fmac_f32_e32 v18, v26, v27
	v_fmac_f32_e32 v20, v29, v30
	s_waitcnt lgkmcnt(0)
	v_lshrrev_b32_e32 v24, 16, v22
	v_and_b32_e32 v22, 0xffff, v22
	v_lshrrev_b32_e32 v25, 16, v23
	v_and_b32_e32 v23, 0xffff, v23
	;; [unrolled: 34-line block ×3, first 2 shown]
	;;#ASMSTART
	v_cvt_f32_f16 v26, v22;
	;;#ASMEND
	;;#ASMSTART
	v_cvt_f32_f16 v24, v24;
	;;#ASMEND
	;; [unrolled: 3-line block ×8, first 2 shown]
	ds_read_b64 v[22:23], v42 offset:72
	v_fmac_f32_e32 v19, v24, v28
	v_fmac_f32_e32 v21, v25, v31
	s_waitcnt vmcnt(5)
	v_lshrrev_b32_e32 v25, 16, v8
	v_and_b32_e32 v8, 0xffff, v8
	s_waitcnt lgkmcnt(0)
	v_lshrrev_b32_e32 v24, 16, v22
	v_and_b32_e32 v22, 0xffff, v22
	v_fmac_f32_e32 v18, v26, v27
	;;#ASMSTART
	v_cvt_f32_f16 v22, v22;
	;;#ASMEND
	;;#ASMSTART
	v_cvt_f32_f16 v24, v24;
	;;#ASMEND
	;;#ASMSTART
	v_cvt_f32_f16 v26, v8;
	;;#ASMEND
	v_lshrrev_b32_e32 v8, 16, v23
	v_and_b32_e32 v23, 0xffff, v23
	;;#ASMSTART
	v_cvt_f32_f16 v25, v25;
	;;#ASMEND
	;;#ASMSTART
	v_cvt_f32_f16 v23, v23;
	;;#ASMEND
	;;#ASMSTART
	v_cvt_f32_f16 v27, v8;
	;;#ASMEND
	v_lshrrev_b32_e32 v8, 16, v9
	v_and_b32_e32 v9, 0xffff, v9
	v_fmac_f32_e32 v20, v29, v30
	;;#ASMSTART
	v_cvt_f32_f16 v28, v9;
	;;#ASMEND
	;;#ASMSTART
	v_cvt_f32_f16 v29, v8;
	;;#ASMEND
	ds_read_b64 v[8:9], v42 offset:80
	v_fmac_f32_e32 v18, v22, v26
	v_fmac_f32_e32 v20, v23, v28
	s_waitcnt vmcnt(4)
	v_lshrrev_b32_e32 v23, 16, v6
	v_and_b32_e32 v6, 0xffff, v6
	s_waitcnt lgkmcnt(0)
	v_lshrrev_b32_e32 v22, 16, v8
	v_and_b32_e32 v8, 0xffff, v8
	v_fmac_f32_e32 v19, v24, v25
	;;#ASMSTART
	v_cvt_f32_f16 v8, v8;
	;;#ASMEND
	;;#ASMSTART
	v_cvt_f32_f16 v22, v22;
	;;#ASMEND
	;;#ASMSTART
	v_cvt_f32_f16 v24, v6;
	;;#ASMEND
	v_lshrrev_b32_e32 v6, 16, v9
	v_and_b32_e32 v9, 0xffff, v9
	;;#ASMSTART
	v_cvt_f32_f16 v23, v23;
	;;#ASMEND
	;;#ASMSTART
	v_cvt_f32_f16 v9, v9;
	;;#ASMEND
	;;#ASMSTART
	v_cvt_f32_f16 v25, v6;
	;;#ASMEND
	v_lshrrev_b32_e32 v6, 16, v7
	v_and_b32_e32 v7, 0xffff, v7
	v_fmac_f32_e32 v21, v27, v29
	;;#ASMSTART
	v_cvt_f32_f16 v26, v7;
	;;#ASMEND
	;;#ASMSTART
	v_cvt_f32_f16 v27, v6;
	;;#ASMEND
	ds_read_b64 v[6:7], v42 offset:88
	v_fmac_f32_e32 v18, v8, v24
	v_fmac_f32_e32 v20, v9, v26
	s_waitcnt vmcnt(3)
	v_lshrrev_b32_e32 v9, 16, v4
	v_and_b32_e32 v4, 0xffff, v4
	s_waitcnt lgkmcnt(0)
	v_lshrrev_b32_e32 v8, 16, v6
	v_and_b32_e32 v6, 0xffff, v6
	v_fmac_f32_e32 v19, v22, v23
	;;#ASMSTART
	v_cvt_f32_f16 v6, v6;
	;;#ASMEND
	;;#ASMSTART
	v_cvt_f32_f16 v8, v8;
	;;#ASMEND
	;;#ASMSTART
	v_cvt_f32_f16 v22, v4;
	;;#ASMEND
	v_lshrrev_b32_e32 v4, 16, v7
	v_and_b32_e32 v7, 0xffff, v7
	;;#ASMSTART
	v_cvt_f32_f16 v9, v9;
	;;#ASMEND
	;;#ASMSTART
	v_cvt_f32_f16 v7, v7;
	;;#ASMEND
	;;#ASMSTART
	v_cvt_f32_f16 v23, v4;
	;;#ASMEND
	v_lshrrev_b32_e32 v4, 16, v5
	v_and_b32_e32 v5, 0xffff, v5
	v_fmac_f32_e32 v21, v25, v27
	;;#ASMSTART
	v_cvt_f32_f16 v24, v5;
	;;#ASMEND
	;;#ASMSTART
	v_cvt_f32_f16 v25, v4;
	;;#ASMEND
	ds_read_b64 v[4:5], v42 offset:96
	v_fmac_f32_e32 v18, v6, v22
	v_fmac_f32_e32 v19, v8, v9
	;; [unrolled: 1-line block ×3, first 2 shown]
	s_waitcnt vmcnt(2)
	v_and_b32_e32 v8, 0xffff, v16
	s_waitcnt lgkmcnt(0)
	v_lshrrev_b32_e32 v6, 16, v4
	v_and_b32_e32 v4, 0xffff, v4
	;;#ASMSTART
	v_cvt_f32_f16 v7, v4;
	;;#ASMEND
	v_lshrrev_b32_e32 v4, 16, v16
	;;#ASMSTART
	v_cvt_f32_f16 v6, v6;
	;;#ASMEND
	;;#ASMSTART
	v_cvt_f32_f16 v8, v8;
	;;#ASMEND
	;; [unrolled: 3-line block ×3, first 2 shown]
	v_lshrrev_b32_e32 v4, 16, v5
	v_and_b32_e32 v5, 0xffff, v5
	;;#ASMSTART
	v_cvt_f32_f16 v16, v5;
	;;#ASMEND
	;;#ASMSTART
	v_cvt_f32_f16 v22, v4;
	;;#ASMEND
	v_lshrrev_b32_e32 v4, 16, v17
	v_and_b32_e32 v5, 0xffff, v17
	v_fmac_f32_e32 v21, v23, v25
	;;#ASMSTART
	v_cvt_f32_f16 v17, v5;
	;;#ASMEND
	;;#ASMSTART
	v_cvt_f32_f16 v23, v4;
	;;#ASMEND
	ds_read_b64 v[4:5], v42 offset:104
	v_fmac_f32_e32 v19, v6, v9
	v_fmac_f32_e32 v18, v7, v8
	s_waitcnt vmcnt(1)
	v_and_b32_e32 v8, 0xffff, v12
	v_fmac_f32_e32 v20, v16, v17
	s_waitcnt lgkmcnt(0)
	v_lshrrev_b32_e32 v6, 16, v4
	v_and_b32_e32 v4, 0xffff, v4
	;;#ASMSTART
	v_cvt_f32_f16 v7, v4;
	;;#ASMEND
	v_lshrrev_b32_e32 v4, 16, v12
	;;#ASMSTART
	v_cvt_f32_f16 v6, v6;
	;;#ASMEND
	;;#ASMSTART
	v_cvt_f32_f16 v8, v8;
	;;#ASMEND
	;; [unrolled: 3-line block ×3, first 2 shown]
	v_lshrrev_b32_e32 v4, 16, v5
	v_and_b32_e32 v5, 0xffff, v5
	;;#ASMSTART
	v_cvt_f32_f16 v12, v5;
	;;#ASMEND
	;;#ASMSTART
	v_cvt_f32_f16 v16, v4;
	;;#ASMEND
	v_lshrrev_b32_e32 v4, 16, v13
	v_and_b32_e32 v5, 0xffff, v13
	;;#ASMSTART
	v_cvt_f32_f16 v13, v5;
	;;#ASMEND
	;;#ASMSTART
	v_cvt_f32_f16 v17, v4;
	;;#ASMEND
	ds_read_b64 v[4:5], v42 offset:112
	v_fmac_f32_e32 v19, v6, v9
	v_fmac_f32_e32 v18, v7, v8
	s_waitcnt vmcnt(0)
	v_lshrrev_b32_e32 v7, 16, v10
	v_and_b32_e32 v8, 0xffff, v10
	s_waitcnt lgkmcnt(0)
	v_lshrrev_b32_e32 v6, 16, v4
	v_and_b32_e32 v4, 0xffff, v4
	;;#ASMSTART
	v_cvt_f32_f16 v4, v4;
	;;#ASMEND
	v_fmac_f32_e32 v21, v22, v23
	;;#ASMSTART
	v_cvt_f32_f16 v6, v6;
	;;#ASMEND
	;;#ASMSTART
	v_cvt_f32_f16 v8, v8;
	;;#ASMEND
	;; [unrolled: 3-line block ×3, first 2 shown]
	v_fmac_f32_e32 v18, v4, v8
	v_lshrrev_b32_e32 v4, 16, v5
	v_and_b32_e32 v5, 0xffff, v5
	v_fmac_f32_e32 v20, v12, v13
	v_fmac_f32_e32 v21, v16, v17
	;; [unrolled: 1-line block ×3, first 2 shown]
	;;#ASMSTART
	v_cvt_f32_f16 v5, v5;
	;;#ASMEND
	;;#ASMSTART
	v_cvt_f32_f16 v4, v4;
	;;#ASMEND
	v_lshrrev_b32_e32 v6, 16, v11
	v_and_b32_e32 v7, 0xffff, v11
	;;#ASMSTART
	v_cvt_f32_f16 v7, v7;
	;;#ASMEND
	;;#ASMSTART
	v_cvt_f32_f16 v6, v6;
	;;#ASMEND
	v_fmac_f32_e32 v20, v5, v7
	v_fmac_f32_e32 v21, v4, v6
	v_add_f32_e32 v4, v18, v19
	v_add_f32_e32 v4, v4, v20
	v_cndmask_b32_e32 v5, v49, v50, vcc
	v_add_f32_e32 v4, v21, v4
	v_lshlrev_b32_e32 v5, 2, v5
	ds_bpermute_b32 v5, v5, v4
	s_and_saveexec_b64 s[44:45], s[2:3]
	s_cbranch_execz .LBB113_12
; %bb.18:                               ;   in Loop: Header=BB113_14 Depth=1
	v_add_u32_e32 v6, v47, v45
	v_cvt_f32_i32_e32 v6, v6
	s_waitcnt lgkmcnt(0)
	v_add_f32_e32 v4, v4, v5
	v_add_u32_e32 v7, v39, v45
	v_cmp_gt_i32_e32 vcc, s29, v7
	v_mul_f32_e32 v5, s7, v6
	v_cndmask_b32_e64 v5, 0, v5, s[4:5]
	v_fmac_f32_e32 v5, s39, v4
	v_cndmask_b32_e32 v4, 0, v5, vcc
	ds_write_b32 v46, v4
	v_max_f32_e32 v4, v43, v43
	v_max_f32_e32 v4, v4, v5
	v_cndmask_b32_e32 v43, v43, v4, vcc
	s_branch .LBB113_12
.LBB113_19:
	s_or_b64 exec, exec, s[42:43]
.LBB113_20:
	s_or_b64 exec, exec, s[40:41]
	s_waitcnt lgkmcnt(0)
	v_mbcnt_hi_u32_b32 v5, -1, v38
	v_and_b32_e32 v2, 64, v5
	v_add_u32_e32 v10, 64, v2
	v_xor_b32_e32 v2, 32, v5
	v_cmp_lt_i32_e32 vcc, v2, v10
	v_cndmask_b32_e32 v2, v5, v2, vcc
	v_lshlrev_b32_e32 v2, 2, v2
	ds_bpermute_b32 v3, v2, v43
	v_xor_b32_e32 v6, 16, v5
	v_max_f32_e32 v4, v43, v43
	v_cmp_lt_i32_e32 vcc, v6, v10
	v_xor_b32_e32 v7, 8, v5
	s_waitcnt lgkmcnt(0)
	v_max_f32_e32 v3, v3, v3
	v_max_f32_e32 v4, v4, v3
	v_cndmask_b32_e32 v3, v5, v6, vcc
	v_lshlrev_b32_e32 v3, 2, v3
	ds_bpermute_b32 v6, v3, v4
	v_cmp_lt_i32_e32 vcc, v7, v10
	v_xor_b32_e32 v8, 4, v5
	v_xor_b32_e32 v11, 2, v5
	s_waitcnt lgkmcnt(0)
	v_max_f32_e32 v6, v6, v6
	v_max_f32_e32 v4, v4, v6
	v_cndmask_b32_e32 v6, v5, v7, vcc
	v_lshlrev_b32_e32 v6, 2, v6
	ds_bpermute_b32 v7, v6, v4
	v_cmp_lt_i32_e32 vcc, v8, v10
	s_waitcnt lgkmcnt(0)
	v_max_f32_e32 v7, v7, v7
	v_max_f32_e32 v4, v4, v7
	v_cndmask_b32_e32 v7, v5, v8, vcc
	v_lshlrev_b32_e32 v7, 2, v7
	ds_bpermute_b32 v8, v7, v4
	v_cmp_lt_i32_e32 vcc, v11, v10
	s_waitcnt lgkmcnt(0)
	v_max_f32_e32 v8, v8, v8
	v_max_f32_e32 v9, v4, v8
	v_cndmask_b32_e32 v4, v5, v11, vcc
	v_lshlrev_b32_e32 v20, 2, v4
	ds_bpermute_b32 v11, v20, v9
	v_and_b32_e32 v4, 63, v0
	v_cmp_eq_u32_e32 vcc, 0, v4
	v_lshlrev_b32_e32 v8, 2, v37
	s_and_saveexec_b64 s[2:3], vcc
	s_cbranch_execz .LBB113_22
; %bb.21:
	s_waitcnt lgkmcnt(0)
	v_max_f32_e32 v11, v11, v11
	v_max_f32_e32 v9, v9, v9
	;; [unrolled: 1-line block ×3, first 2 shown]
	ds_write_b32 v8, v9 offset:240
.LBB113_22:
	s_or_b64 exec, exec, s[2:3]
	v_cmp_gt_u32_e64 s[2:3], 2, v4
	s_waitcnt lgkmcnt(0)
	v_mov_b32_e32 v11, 0xff7fffff
	v_lshlrev_b32_e32 v9, 2, v4
	s_barrier
	s_and_saveexec_b64 s[4:5], s[2:3]
	s_cbranch_execz .LBB113_24
; %bb.23:
	ds_read_b32 v11, v9 offset:240
.LBB113_24:
	s_or_b64 exec, exec, s[4:5]
	v_xor_b32_e32 v12, 1, v5
	v_cmp_lt_i32_e64 s[4:5], v12, v10
	v_cndmask_b32_e64 v10, v5, v12, s[4:5]
	v_lshlrev_b32_e32 v21, 2, v10
	s_waitcnt lgkmcnt(0)
	ds_bpermute_b32 v10, v21, v11
	v_max_f32_e32 v11, v11, v11
	v_lshlrev_b32_e32 v5, 2, v5
	s_sub_i32 s4, s49, s12
	s_lshl_b32 s4, s4, 5
	s_waitcnt lgkmcnt(0)
	v_max_f32_e32 v10, v10, v10
	v_max_f32_e32 v11, v11, v10
	v_and_b32_e32 v10, 0x100, v5
	ds_bpermute_b32 v5, v10, v11
	s_add_i32 s4, s4, s50
	s_min_i32 s12, s4, s29
	s_sub_i32 s7, s12, s50
	v_cmp_gt_i32_e64 s[4:5], s7, v0
	v_mov_b32_e32 v11, 0
	s_and_saveexec_b64 s[38:39], s[4:5]
	s_cbranch_execz .LBB113_28
; %bb.25:
	v_mov_b32_e32 v11, 0x100
	v_lshl_add_u32 v12, v0, 2, v11
	s_mov_b64 s[40:41], 0
	v_mov_b32_e32 v11, 0
	v_mov_b32_e32 v13, v0
.LBB113_26:                             ; =>This Inner Loop Header: Depth=1
	ds_read_b32 v16, v12
	v_add_u32_e32 v13, 0x80, v13
	v_cmp_le_i32_e64 s[10:11], s7, v13
	s_or_b64 s[40:41], s[10:11], s[40:41]
	s_waitcnt lgkmcnt(0)
	v_sub_f32_e32 v16, v16, v5
	v_mul_f32_e32 v16, 0x3fb8aa3b, v16
	v_exp_f32_e32 v16, v16
	ds_write_b32 v12, v16
	v_add_f32_e32 v11, v11, v16
	v_add_u32_e32 v12, 0x200, v12
	s_andn2_b64 exec, exec, s[40:41]
	s_cbranch_execnz .LBB113_26
; %bb.27:
	s_or_b64 exec, exec, s[40:41]
.LBB113_28:
	s_or_b64 exec, exec, s[38:39]
	ds_bpermute_b32 v2, v2, v11
	s_waitcnt lgkmcnt(0)
	v_add_f32_e32 v2, v11, v2
	ds_bpermute_b32 v3, v3, v2
	s_waitcnt lgkmcnt(0)
	v_add_f32_e32 v2, v2, v3
	;; [unrolled: 3-line block ×6, first 2 shown]
	s_and_saveexec_b64 s[10:11], vcc
	s_cbranch_execz .LBB113_30
; %bb.29:
	ds_write_b32 v8, v2 offset:248
.LBB113_30:
	s_or_b64 exec, exec, s[10:11]
	s_waitcnt lgkmcnt(0)
	s_barrier
	s_and_saveexec_b64 s[10:11], s[2:3]
	s_cbranch_execz .LBB113_32
; %bb.31:
	ds_read_b32 v2, v9 offset:248
.LBB113_32:
	s_or_b64 exec, exec, s[10:11]
	s_waitcnt lgkmcnt(0)
	ds_bpermute_b32 v3, v21, v2
	s_waitcnt lgkmcnt(0)
	v_add_f32_e32 v2, v2, v3
	ds_bpermute_b32 v6, v10, v2
	s_and_saveexec_b64 s[2:3], s[4:5]
	s_cbranch_execz .LBB113_45
; %bb.33:
	s_waitcnt lgkmcnt(0)
	v_add_f32_e32 v2, 0x358637bd, v6
	v_div_scale_f32 v3, s[4:5], v2, v2, 1.0
	v_rcp_f32_e32 v7, v3
	v_div_scale_f32 v8, vcc, 1.0, v2, 1.0
	s_movk_i32 s4, 0x7f
	v_fma_f32 v9, -v3, v7, 1.0
	v_fmac_f32_e32 v7, v9, v7
	v_mul_f32_e32 v9, v8, v7
	v_fma_f32 v10, -v3, v9, v8
	v_fmac_f32_e32 v9, v10, v7
	v_fma_f32 v3, -v3, v9, v8
	v_div_fmas_f32 v3, v3, v7, v9
	v_div_fixup_f32 v2, v3, v2, 1.0
	v_xad_u32 v3, v0, -1, s12
	v_subrev_u32_e32 v7, s50, v3
	v_cmp_lt_u32_e32 vcc, s4, v7
	s_mov_b64 s[10:11], -1
	v_mov_b32_e32 v3, v0
	s_and_saveexec_b64 s[4:5], vcc
	s_cbranch_execz .LBB113_42
; %bb.34:
	v_lshrrev_b32_e32 v7, 7, v7
	v_add_u32_e32 v9, -1, v7
	v_lshrrev_b32_e32 v8, 1, v9
	v_mov_b32_e32 v3, v2
	v_add_u32_e32 v8, 1, v8
	v_cmp_lt_u32_e32 vcc, 13, v9
	v_mov_b32_e32 v11, 0
	s_and_saveexec_b64 s[10:11], vcc
	s_cbranch_execz .LBB113_38
; %bb.35:
	v_mov_b32_e32 v10, 0x100
	v_and_b32_e32 v9, -8, v8
	v_lshl_add_u32 v10, v0, 2, v10
	s_mov_b32 s12, 0
	s_mov_b64 s[38:39], 0
.LBB113_36:                             ; =>This Inner Loop Header: Depth=1
	ds_read2st64_b32 v[12:13], v10 offset1:2
	ds_read2st64_b32 v[16:17], v10 offset0:4 offset1:6
	ds_read2st64_b32 v[18:19], v10 offset0:8 offset1:10
	;; [unrolled: 1-line block ×3, first 2 shown]
	v_add_u32_e32 v9, -8, v9
	s_waitcnt lgkmcnt(3)
	v_pk_mul_f32 v[12:13], v[2:3], v[12:13]
	s_waitcnt lgkmcnt(2)
	v_pk_mul_f32 v[16:17], v[2:3], v[16:17]
	ds_write2st64_b32 v10, v12, v13 offset1:2
	ds_write2st64_b32 v10, v16, v17 offset0:4 offset1:6
	ds_read2st64_b32 v[16:17], v10 offset0:16 offset1:18
	s_waitcnt lgkmcnt(4)
	v_pk_mul_f32 v[12:13], v[2:3], v[18:19]
	ds_write2st64_b32 v10, v12, v13 offset0:8 offset1:10
	s_waitcnt lgkmcnt(4)
	v_pk_mul_f32 v[12:13], v[2:3], v[22:23]
	ds_write2st64_b32 v10, v12, v13 offset0:12 offset1:14
	ds_read2st64_b32 v[12:13], v10 offset0:20 offset1:22
	s_waitcnt lgkmcnt(3)
	v_pk_mul_f32 v[16:17], v[2:3], v[16:17]
	ds_read2st64_b32 v[18:19], v10 offset0:24 offset1:26
	ds_write2st64_b32 v10, v16, v17 offset0:16 offset1:18
	ds_read2st64_b32 v[16:17], v10 offset0:28 offset1:30
	s_waitcnt lgkmcnt(3)
	v_pk_mul_f32 v[12:13], v[2:3], v[12:13]
	ds_write2st64_b32 v10, v12, v13 offset0:20 offset1:22
	s_waitcnt lgkmcnt(3)
	v_pk_mul_f32 v[12:13], v[2:3], v[18:19]
	ds_write2st64_b32 v10, v12, v13 offset0:24 offset1:26
	s_waitcnt lgkmcnt(2)
	v_pk_mul_f32 v[12:13], v[2:3], v[16:17]
	s_add_i32 s12, s12, 16
	v_cmp_eq_u32_e32 vcc, 0, v9
	ds_write2st64_b32 v10, v12, v13 offset0:28 offset1:30
	v_add_u32_e32 v10, 0x2000, v10
	s_or_b64 s[38:39], vcc, s[38:39]
	v_mov_b32_e32 v11, s12
	s_andn2_b64 exec, exec, s[38:39]
	s_cbranch_execnz .LBB113_36
; %bb.37:
	s_or_b64 exec, exec, s[38:39]
.LBB113_38:
	s_or_b64 exec, exec, s[10:11]
	v_and_b32_e32 v8, 7, v8
	v_cmp_ne_u32_e32 vcc, 0, v8
	s_and_saveexec_b64 s[10:11], vcc
	s_cbranch_execz .LBB113_41
; %bb.39:
	v_lshlrev_b32_e32 v9, 9, v11
	v_lshlrev_b32_e32 v10, 2, v0
	s_movk_i32 s12, 0x100
	v_add3_u32 v9, v9, v10, s12
	s_mov_b64 s[38:39], 0
.LBB113_40:                             ; =>This Inner Loop Header: Depth=1
	ds_read2st64_b32 v[10:11], v9 offset1:2
	v_add_u32_e32 v8, -1, v8
	v_cmp_eq_u32_e32 vcc, 0, v8
	s_or_b64 s[38:39], vcc, s[38:39]
	s_waitcnt lgkmcnt(0)
	v_pk_mul_f32 v[10:11], v[2:3], v[10:11]
	ds_write2st64_b32 v9, v10, v11 offset1:2
	v_add_u32_e32 v9, 0x400, v9
	s_andn2_b64 exec, exec, s[38:39]
	s_cbranch_execnz .LBB113_40
.LBB113_41:
	s_or_b64 exec, exec, s[10:11]
	v_add_u32_e32 v7, 1, v7
	v_and_b32_e32 v8, 0x3fffffe, v7
	v_cmp_ne_u32_e32 vcc, v7, v8
	v_lshl_add_u32 v3, v8, 7, v0
	s_orn2_b64 s[10:11], vcc, exec
.LBB113_42:
	s_or_b64 exec, exec, s[4:5]
	s_and_b64 exec, exec, s[10:11]
	s_cbranch_execz .LBB113_45
; %bb.43:
	v_mov_b32_e32 v7, 0x100
	v_lshl_add_u32 v7, v3, 2, v7
	s_mov_b64 s[4:5], 0
.LBB113_44:                             ; =>This Inner Loop Header: Depth=1
	ds_read_b32 v8, v7
	v_add_u32_e32 v3, 0x80, v3
	v_cmp_le_i32_e32 vcc, s7, v3
	s_or_b64 s[4:5], vcc, s[4:5]
	s_waitcnt lgkmcnt(0)
	v_mul_f32_e32 v8, v2, v8
	ds_write_b32 v7, v8
	v_add_u32_e32 v7, 0x200, v7
	s_andn2_b64 exec, exec, s[4:5]
	s_cbranch_execnz .LBB113_44
.LBB113_45:
	s_or_b64 exec, exec, s[2:3]
	s_mul_i32 s2, s25, s28
	v_cmp_eq_u32_e32 vcc, 0, v0
	s_mul_i32 s4, s2, s9
	s_waitcnt lgkmcnt(0)
	s_barrier
	s_and_saveexec_b64 s[2:3], vcc
	s_cbranch_execz .LBB113_47
; %bb.46:
	s_ashr_i32 s5, s4, 31
	s_lshl_b64 s[10:11], s[4:5], 2
	s_add_u32 s5, s22, s10
	s_mul_i32 s6, s25, s6
	s_addc_u32 s9, s23, s11
	s_ashr_i32 s7, s6, 31
	s_lshl_b64 s[6:7], s[6:7], 2
	s_add_u32 s5, s5, s6
	s_addc_u32 s12, s9, s7
	s_ashr_i32 s9, s8, 31
	s_lshl_b64 s[22:23], s[8:9], 2
	s_add_u32 s38, s5, s22
	s_addc_u32 s39, s12, s23
	s_add_u32 s5, s20, s10
	s_addc_u32 s9, s21, s11
	;; [unrolled: 2-line block ×3, first 2 shown]
	s_add_u32 s6, s5, s22
	v_mov_b32_e32 v2, 0
	s_addc_u32 s7, s7, s23
	global_store_dword v2, v5, s[38:39]
	global_store_dword v2, v6, s[6:7]
.LBB113_47:
	s_or_b64 exec, exec, s[2:3]
	s_mov_b32 s12, 0
	v_mov_b32_e32 v9, 0
	v_lshrrev_b32_e32 v23, 2, v4
	v_and_b32_e32 v22, 3, v0
	v_mov_b32_e32 v8, 0
	v_mov_b32_e32 v7, 0
	;; [unrolled: 1-line block ×7, first 2 shown]
	s_and_saveexec_b64 s[6:7], s[0:1]
	s_cbranch_execz .LBB113_71
; %bb.48:
	s_ashr_i32 s15, s14, 31
	s_sub_i32 s5, s19, s17
	s_lshl_b64 s[0:1], s[14:15], 1
	s_add_u32 s20, s36, s0
	s_addc_u32 s21, s37, s1
	s_abs_i32 s23, s18
	v_cvt_f32_u32_e32 v3, s23
	v_and_b32_e32 v24, 24, v36
	v_or_b32_e32 v2, 0x70, v23
	s_movk_i32 s0, 0x78
	v_cmp_gt_u32_e32 vcc, s0, v2
	v_lshl_or_b32 v32, v2, 5, v24
	v_rcp_iflag_f32_e32 v2, v3
	s_sub_i32 s0, 0, s23
	s_add_i32 s22, s16, -1
	s_mov_b32 s9, s13
	v_mul_f32_e32 v2, 0x4f7ffffe, v2
	v_cvt_u32_f32_e32 v2, v2
	v_lshl_or_b32 v10, v23, 5, v24
	s_mov_b32 s13, s12
	v_or_b32_e32 v12, 0x800, v10
	v_mul_lo_u32 v3, s0, v2
	s_lshl_b64 s[0:1], s[34:35], 2
	v_mul_hi_u32 v3, v2, v3
	s_add_u32 s0, s30, s0
	v_add_u32_e32 v25, v2, v3
	v_lshlrev_b64 v[2:3], 2, v[14:15]
	s_addc_u32 s1, s31, s1
	v_mov_b32_e32 v4, s1
	v_add_co_u32_e64 v16, s[0:1], s0, v2
	v_lshlrev_b32_e32 v2, 5, v22
	v_lshl_or_b32 v2, v37, 7, v2
	v_or_b32_e32 v18, 0xa00, v10
	v_or_b32_e32 v30, 0xc00, v10
	v_addc_co_u32_e64 v17, s[0:1], v4, v3, s[0:1]
	v_add_u32_e32 v15, 0x100, v2
	s_mov_b32 s14, s12
	s_mov_b32 s15, s12
	s_mov_b32 s16, s12
	s_mov_b32 s17, s12
	s_mov_b32 s18, s12
	s_mov_b32 s19, s12
	v_pk_mov_b32 v[2:3], s[12:13], s[12:13] op_sel:[0,1]
	s_mov_b32 s28, s29
	s_mov_b32 s36, s29
	;; [unrolled: 1-line block ×7, first 2 shown]
	s_mov_b64 s[10:11], 0
	v_pk_mov_b32 v[4:5], s[14:15], s[14:15] op_sel:[0,1]
	v_pk_mov_b32 v[6:7], s[16:17], s[16:17] op_sel:[0,1]
	;; [unrolled: 1-line block ×3, first 2 shown]
	v_lshlrev_b32_e32 v26, 1, v10
	s_mov_b32 s16, 0x5040100
	v_lshlrev_b32_e32 v27, 1, v12
	v_lshlrev_b32_e32 v28, 1, v18
	;; [unrolled: 1-line block ×4, first 2 shown]
	s_branch .LBB113_52
.LBB113_49:                             ;   in Loop: Header=BB113_52 Depth=1
	s_or_b64 exec, exec, s[2:3]
	s_waitcnt vmcnt(0)
	;;#ASMSTART
	v_pk_mul_f16 v10, v37, v10;

	;;#ASMEND
	;;#ASMSTART
	v_pk_mul_f16 v11, v36, v11;

	;;#ASMEND
	;; [unrolled: 4-line block ×4, first 2 shown]
	;;#ASMSTART
	v_pk_add_f16 v10, v10, v11;

	;;#ASMEND
	;;#ASMSTART
	v_pk_add_f16 v10, v10, v12;

	;;#ASMEND
	;; [unrolled: 4-line block ×3, first 2 shown]
	v_lshrrev_b32_e32 v11, 16, v10
	v_and_b32_e32 v10, 0xffff, v10
	;;#ASMSTART
	v_cvt_f32_f16 v10, v10;
	;;#ASMEND
	;;#ASMSTART
	v_cvt_f32_f16 v11, v11;
	;;#ASMEND
	v_add_f32_e32 v10, v10, v11
	v_add_f32_e32 v9, v9, v10
.LBB113_50:                             ;   in Loop: Header=BB113_52 Depth=1
	s_or_b64 exec, exec, s[14:15]
.LBB113_51:                             ;   in Loop: Header=BB113_52 Depth=1
	s_or_b64 exec, exec, s[12:13]
	v_add_co_u32_e64 v16, s[0:1], 8, v16
	v_add_u32_e32 v14, 2, v14
	v_addc_co_u32_e64 v17, s[0:1], 0, v17, s[0:1]
	v_cmp_le_i32_e64 s[0:1], s49, v14
	v_add_u32_e32 v1, 64, v1
	s_or_b64 s[10:11], s[0:1], s[10:11]
	v_add_u32_e32 v15, 0x100, v15
	s_andn2_b64 exec, exec, s[10:11]
	s_cbranch_execz .LBB113_70
.LBB113_52:                             ; =>This Inner Loop Header: Depth=1
	v_sub_u32_e32 v11, 0, v1
	v_max_i32_e32 v11, v1, v11
	v_mul_hi_u32 v12, v11, s46
	v_mul_lo_u32 v13, v12, s33
	v_sub_u32_e32 v11, v11, v13
	v_add_u32_e32 v13, 1, v12
	v_cmp_le_u32_e64 s[0:1], s33, v11
	v_cndmask_b32_e64 v12, v12, v13, s[0:1]
	v_subrev_u32_e32 v13, s33, v11
	v_cndmask_b32_e64 v11, v11, v13, s[0:1]
	v_ashrrev_i32_e32 v10, 31, v1
	v_add_u32_e32 v13, 1, v12
	v_cmp_le_u32_e64 s[0:1], s33, v11
	v_xor_b32_e32 v10, s48, v10
	v_cndmask_b32_e64 v11, v12, v13, s[0:1]
	v_xor_b32_e32 v11, v11, v10
	v_sub_u32_e32 v10, v11, v10
	v_add_u32_e32 v11, s47, v10
	v_sub_u32_e32 v13, 0, v11
	v_ashrrev_i32_e32 v12, 31, v11
	v_max_i32_e32 v11, v11, v13
	v_mul_hi_u32 v13, v11, v25
	v_mul_lo_u32 v13, v13, s23
	v_sub_u32_e32 v11, v11, v13
	v_subrev_u32_e32 v13, s23, v11
	v_cmp_le_u32_e64 s[0:1], s23, v11
	v_cndmask_b32_e64 v11, v11, v13, s[0:1]
	v_subrev_u32_e32 v13, s23, v11
	v_cmp_le_u32_e64 s[0:1], s23, v11
	v_cndmask_b32_e64 v11, v11, v13, s[0:1]
	v_xor_b32_e32 v11, v11, v12
	v_sub_u32_e32 v11, v11, v12
	v_cmp_eq_u32_e64 s[0:1], 0, v11
	v_cmp_lt_i32_e64 s[2:3], s5, v10
	s_or_b64 s[0:1], s[0:1], s[2:3]
	s_and_saveexec_b64 s[12:13], s[0:1]
	s_cbranch_execz .LBB113_51
; %bb.53:                               ;   in Loop: Header=BB113_52 Depth=1
	global_load_dword v18, v[16:17], off
	ds_read2_b64 v[10:13], v15 offset1:1
	ds_read2_b64 v[40:43], v15 offset0:2 offset1:3
	v_mov_b32_e32 v19, s21
	v_add_u32_e32 v31, v24, v1
	s_waitcnt lgkmcnt(1)
	;;#ASMSTART
	v_cvt_f16_f32 v34, v10;

	;;#ASMEND
	;;#ASMSTART
	v_cvt_f16_f32 v35, v11;

	;;#ASMEND
	;; [unrolled: 4-line block ×4, first 2 shown]
	s_waitcnt lgkmcnt(0)
	;;#ASMSTART
	v_cvt_f16_f32 v39, v40;

	;;#ASMEND
	;;#ASMSTART
	v_cvt_f16_f32 v40, v41;

	;;#ASMEND
	;; [unrolled: 4-line block ×4, first 2 shown]
	s_waitcnt vmcnt(0)
	v_mad_i64_i32 v[10:11], s[0:1], v18, s9, 0
	v_lshlrev_b64 v[10:11], 1, v[10:11]
	v_add_co_u32_e64 v32, s[0:1], s20, v10
	v_addc_co_u32_e64 v33, s[0:1], v19, v11, s[0:1]
	v_add_co_u32_e64 v18, s[0:1], v32, v26
	v_addc_co_u32_e64 v19, s[0:1], 0, v33, s[0:1]
	global_load_dwordx4 v[10:13], v[18:19], off
	v_cmp_eq_u32_e64 s[0:1], s22, v14
	s_and_saveexec_b64 s[14:15], s[0:1]
	s_cbranch_execz .LBB113_55
; %bb.54:                               ;   in Loop: Header=BB113_52 Depth=1
	v_or_b32_e32 v47, 7, v31
	v_or_b32_e32 v48, 6, v31
	s_waitcnt vmcnt(0)
	v_lshrrev_b32_e32 v49, 16, v13
	v_cmp_gt_i32_e64 s[2:3], s41, v47
	v_cndmask_b32_e64 v47, 0, v49, s[2:3]
	v_cmp_gt_i32_e64 s[2:3], s40, v48
	v_or_b32_e32 v45, 5, v31
	v_cndmask_b32_e64 v13, 0, v13, s[2:3]
	v_or_b32_e32 v46, 4, v31
	v_perm_b32 v13, v47, v13, s16
	v_lshrrev_b32_e32 v47, 16, v12
	v_cmp_gt_i32_e64 s[2:3], s39, v45
	v_cndmask_b32_e64 v45, 0, v47, s[2:3]
	v_cmp_gt_i32_e64 s[2:3], s38, v46
	v_or_b32_e32 v43, 3, v31
	v_cndmask_b32_e64 v12, 0, v12, s[2:3]
	v_or_b32_e32 v44, 2, v31
	v_perm_b32 v12, v45, v12, s16
	v_lshrrev_b32_e32 v45, 16, v11
	v_cmp_gt_i32_e64 s[2:3], s37, v43
	v_cndmask_b32_e64 v43, 0, v45, s[2:3]
	v_cmp_gt_i32_e64 s[2:3], s36, v44
	v_add_u32_e32 v37, 1, v31
	v_cndmask_b32_e64 v11, 0, v11, s[2:3]
	v_perm_b32 v11, v43, v11, s16
	v_lshrrev_b32_e32 v43, 16, v10
	v_cmp_gt_i32_e64 s[2:3], s28, v37
	v_cndmask_b32_e64 v37, 0, v43, s[2:3]
	v_cmp_gt_i32_e64 s[2:3], s29, v31
	v_cndmask_b32_e64 v10, 0, v10, s[2:3]
	v_perm_b32 v10, v37, v10, s16
.LBB113_55:                             ;   in Loop: Header=BB113_52 Depth=1
	s_or_b64 exec, exec, s[14:15]
	v_and_b32_e32 v34, 0xffff, v34
	v_lshl_or_b32 v37, v35, 16, v34
	v_and_b32_e32 v34, 0xffff, v36
	v_lshl_or_b32 v36, v38, 16, v34
	;; [unrolled: 2-line block ×3, first 2 shown]
	v_and_b32_e32 v34, 0xffff, v41
	s_waitcnt vmcnt(0)
	;;#ASMSTART
	v_pk_mul_f16 v10, v37, v10;

	;;#ASMEND
	v_lshl_or_b32 v34, v42, 16, v34
	;;#ASMSTART
	v_pk_mul_f16 v11, v36, v11;

	;;#ASMEND
	;;#ASMSTART
	v_pk_mul_f16 v12, v35, v12;

	;;#ASMEND
	;; [unrolled: 4-line block ×3, first 2 shown]
	;;#ASMSTART
	v_pk_add_f16 v10, v10, v11;

	;;#ASMEND
	;;#ASMSTART
	v_pk_add_f16 v10, v10, v12;

	;;#ASMEND
	;; [unrolled: 4-line block ×3, first 2 shown]
	v_lshrrev_b32_e32 v11, 16, v10
	v_and_b32_e32 v10, 0xffff, v10
	;;#ASMSTART
	v_cvt_f32_f16 v38, v10;
	;;#ASMEND
	;;#ASMSTART
	v_cvt_f32_f16 v39, v11;
	;;#ASMEND
	global_load_dwordx4 v[10:13], v[18:19], off offset:1024
	s_and_saveexec_b64 s[14:15], s[0:1]
	s_cbranch_execz .LBB113_57
; %bb.56:                               ;   in Loop: Header=BB113_52 Depth=1
	v_or_b32_e32 v45, 7, v31
	v_or_b32_e32 v46, 6, v31
	s_waitcnt vmcnt(0)
	v_lshrrev_b32_e32 v47, 16, v13
	v_cmp_gt_i32_e64 s[2:3], s41, v45
	v_cndmask_b32_e64 v45, 0, v47, s[2:3]
	v_cmp_gt_i32_e64 s[2:3], s40, v46
	v_or_b32_e32 v43, 5, v31
	v_cndmask_b32_e64 v13, 0, v13, s[2:3]
	v_or_b32_e32 v44, 4, v31
	v_perm_b32 v13, v45, v13, s16
	v_lshrrev_b32_e32 v45, 16, v12
	v_cmp_gt_i32_e64 s[2:3], s39, v43
	v_cndmask_b32_e64 v43, 0, v45, s[2:3]
	v_cmp_gt_i32_e64 s[2:3], s38, v44
	v_or_b32_e32 v41, 3, v31
	v_cndmask_b32_e64 v12, 0, v12, s[2:3]
	v_or_b32_e32 v42, 2, v31
	v_perm_b32 v12, v43, v12, s16
	v_lshrrev_b32_e32 v43, 16, v11
	v_cmp_gt_i32_e64 s[2:3], s37, v41
	v_cndmask_b32_e64 v41, 0, v43, s[2:3]
	v_cmp_gt_i32_e64 s[2:3], s36, v42
	v_add_u32_e32 v40, 1, v31
	v_cndmask_b32_e64 v11, 0, v11, s[2:3]
	v_perm_b32 v11, v41, v11, s16
	v_lshrrev_b32_e32 v41, 16, v10
	v_cmp_gt_i32_e64 s[2:3], s28, v40
	v_cndmask_b32_e64 v40, 0, v41, s[2:3]
	v_cmp_gt_i32_e64 s[2:3], s29, v31
	v_cndmask_b32_e64 v10, 0, v10, s[2:3]
	v_perm_b32 v10, v40, v10, s16
.LBB113_57:                             ;   in Loop: Header=BB113_52 Depth=1
	s_or_b64 exec, exec, s[14:15]
	s_waitcnt vmcnt(0)
	;;#ASMSTART
	v_pk_mul_f16 v10, v37, v10;

	;;#ASMEND
	;;#ASMSTART
	v_pk_mul_f16 v11, v36, v11;

	;;#ASMEND
	;; [unrolled: 4-line block ×4, first 2 shown]
	;;#ASMSTART
	v_pk_add_f16 v10, v10, v11;

	;;#ASMEND
	;;#ASMSTART
	v_pk_add_f16 v10, v10, v12;

	;;#ASMEND
	;; [unrolled: 4-line block ×3, first 2 shown]
	v_lshrrev_b32_e32 v11, 16, v10
	v_and_b32_e32 v10, 0xffff, v10
	;;#ASMSTART
	v_cvt_f32_f16 v40, v10;
	;;#ASMEND
	;;#ASMSTART
	v_cvt_f32_f16 v41, v11;
	;;#ASMEND
	global_load_dwordx4 v[10:13], v[18:19], off offset:2048
	s_and_saveexec_b64 s[14:15], s[0:1]
	s_cbranch_execz .LBB113_59
; %bb.58:                               ;   in Loop: Header=BB113_52 Depth=1
	v_or_b32_e32 v47, 7, v31
	v_or_b32_e32 v48, 6, v31
	s_waitcnt vmcnt(0)
	v_lshrrev_b32_e32 v49, 16, v13
	v_cmp_gt_i32_e64 s[2:3], s41, v47
	v_cndmask_b32_e64 v47, 0, v49, s[2:3]
	v_cmp_gt_i32_e64 s[2:3], s40, v48
	v_or_b32_e32 v45, 5, v31
	v_cndmask_b32_e64 v13, 0, v13, s[2:3]
	v_or_b32_e32 v46, 4, v31
	v_perm_b32 v13, v47, v13, s16
	v_lshrrev_b32_e32 v47, 16, v12
	v_cmp_gt_i32_e64 s[2:3], s39, v45
	v_cndmask_b32_e64 v45, 0, v47, s[2:3]
	v_cmp_gt_i32_e64 s[2:3], s38, v46
	v_or_b32_e32 v43, 3, v31
	v_cndmask_b32_e64 v12, 0, v12, s[2:3]
	v_or_b32_e32 v44, 2, v31
	v_perm_b32 v12, v45, v12, s16
	v_lshrrev_b32_e32 v45, 16, v11
	v_cmp_gt_i32_e64 s[2:3], s37, v43
	v_cndmask_b32_e64 v43, 0, v45, s[2:3]
	v_cmp_gt_i32_e64 s[2:3], s36, v44
	v_add_u32_e32 v42, 1, v31
	v_cndmask_b32_e64 v11, 0, v11, s[2:3]
	v_perm_b32 v11, v43, v11, s16
	v_lshrrev_b32_e32 v43, 16, v10
	v_cmp_gt_i32_e64 s[2:3], s28, v42
	v_cndmask_b32_e64 v42, 0, v43, s[2:3]
	v_cmp_gt_i32_e64 s[2:3], s29, v31
	v_cndmask_b32_e64 v10, 0, v10, s[2:3]
	v_perm_b32 v10, v42, v10, s16
.LBB113_59:                             ;   in Loop: Header=BB113_52 Depth=1
	s_or_b64 exec, exec, s[14:15]
	s_waitcnt vmcnt(0)
	;;#ASMSTART
	v_pk_mul_f16 v10, v37, v10;

	;;#ASMEND
	;;#ASMSTART
	v_pk_mul_f16 v11, v36, v11;

	;;#ASMEND
	;; [unrolled: 4-line block ×4, first 2 shown]
	;;#ASMSTART
	v_pk_add_f16 v10, v10, v11;

	;;#ASMEND
	;;#ASMSTART
	v_pk_add_f16 v10, v10, v12;

	;;#ASMEND
	;; [unrolled: 4-line block ×3, first 2 shown]
	v_lshrrev_b32_e32 v11, 16, v10
	v_and_b32_e32 v10, 0xffff, v10
	;;#ASMSTART
	v_cvt_f32_f16 v42, v10;
	;;#ASMEND
	;;#ASMSTART
	v_cvt_f32_f16 v43, v11;
	;;#ASMEND
	global_load_dwordx4 v[10:13], v[18:19], off offset:3072
	s_and_saveexec_b64 s[14:15], s[0:1]
	s_cbranch_execz .LBB113_61
; %bb.60:                               ;   in Loop: Header=BB113_52 Depth=1
	v_or_b32_e32 v47, 7, v31
	v_or_b32_e32 v48, 6, v31
	s_waitcnt vmcnt(0)
	v_lshrrev_b32_e32 v49, 16, v13
	v_cmp_gt_i32_e64 s[2:3], s41, v47
	v_cndmask_b32_e64 v47, 0, v49, s[2:3]
	v_cmp_gt_i32_e64 s[2:3], s40, v48
	v_or_b32_e32 v45, 5, v31
	v_cndmask_b32_e64 v13, 0, v13, s[2:3]
	v_or_b32_e32 v46, 4, v31
	v_perm_b32 v13, v47, v13, s16
	v_lshrrev_b32_e32 v47, 16, v12
	v_cmp_gt_i32_e64 s[2:3], s39, v45
	v_cndmask_b32_e64 v45, 0, v47, s[2:3]
	v_cmp_gt_i32_e64 s[2:3], s38, v46
	v_or_b32_e32 v19, 3, v31
	v_cndmask_b32_e64 v12, 0, v12, s[2:3]
	v_or_b32_e32 v44, 2, v31
	v_perm_b32 v12, v45, v12, s16
	v_lshrrev_b32_e32 v45, 16, v11
	v_cmp_gt_i32_e64 s[2:3], s37, v19
	v_cndmask_b32_e64 v19, 0, v45, s[2:3]
	v_cmp_gt_i32_e64 s[2:3], s36, v44
	v_add_u32_e32 v18, 1, v31
	v_cndmask_b32_e64 v11, 0, v11, s[2:3]
	v_perm_b32 v11, v19, v11, s16
	v_lshrrev_b32_e32 v19, 16, v10
	v_cmp_gt_i32_e64 s[2:3], s28, v18
	v_cndmask_b32_e64 v18, 0, v19, s[2:3]
	v_cmp_gt_i32_e64 s[2:3], s29, v31
	v_cndmask_b32_e64 v10, 0, v10, s[2:3]
	v_perm_b32 v10, v18, v10, s16
.LBB113_61:                             ;   in Loop: Header=BB113_52 Depth=1
	s_or_b64 exec, exec, s[14:15]
	s_waitcnt vmcnt(0)
	;;#ASMSTART
	v_pk_mul_f16 v10, v37, v10;

	;;#ASMEND
	;;#ASMSTART
	v_pk_mul_f16 v11, v36, v11;

	;;#ASMEND
	;;#ASMSTART
	v_pk_mul_f16 v12, v35, v12;

	;;#ASMEND
	;;#ASMSTART
	v_pk_mul_f16 v13, v34, v13;

	;;#ASMEND
	;;#ASMSTART
	v_pk_add_f16 v10, v10, v11;

	;;#ASMEND
	;;#ASMSTART
	v_pk_add_f16 v10, v10, v12;

	;;#ASMEND
	;; [unrolled: 4-line block ×3, first 2 shown]
	v_lshrrev_b32_e32 v11, 16, v10
	v_and_b32_e32 v10, 0xffff, v10
	;;#ASMSTART
	v_cvt_f32_f16 v18, v10;
	;;#ASMEND
	v_add_co_u32_e64 v10, s[2:3], v32, v27
	;;#ASMSTART
	v_cvt_f32_f16 v19, v11;
	;;#ASMEND
	v_addc_co_u32_e64 v11, s[2:3], 0, v33, s[2:3]
	global_load_dwordx4 v[10:13], v[10:11], off
	s_and_saveexec_b64 s[14:15], s[0:1]
	s_cbranch_execz .LBB113_63
; %bb.62:                               ;   in Loop: Header=BB113_52 Depth=1
	v_or_b32_e32 v49, 7, v31
	v_or_b32_e32 v50, 6, v31
	s_waitcnt vmcnt(0)
	v_lshrrev_b32_e32 v51, 16, v13
	v_cmp_gt_i32_e64 s[2:3], s41, v49
	v_cndmask_b32_e64 v49, 0, v51, s[2:3]
	v_cmp_gt_i32_e64 s[2:3], s40, v50
	v_or_b32_e32 v47, 5, v31
	v_cndmask_b32_e64 v13, 0, v13, s[2:3]
	v_or_b32_e32 v48, 4, v31
	v_perm_b32 v13, v49, v13, s16
	v_lshrrev_b32_e32 v49, 16, v12
	v_cmp_gt_i32_e64 s[2:3], s39, v47
	v_cndmask_b32_e64 v47, 0, v49, s[2:3]
	v_cmp_gt_i32_e64 s[2:3], s38, v48
	v_or_b32_e32 v45, 3, v31
	v_cndmask_b32_e64 v12, 0, v12, s[2:3]
	v_or_b32_e32 v46, 2, v31
	v_perm_b32 v12, v47, v12, s16
	v_lshrrev_b32_e32 v47, 16, v11
	v_cmp_gt_i32_e64 s[2:3], s37, v45
	v_cndmask_b32_e64 v45, 0, v47, s[2:3]
	v_cmp_gt_i32_e64 s[2:3], s36, v46
	v_add_u32_e32 v44, 1, v31
	v_cndmask_b32_e64 v11, 0, v11, s[2:3]
	v_perm_b32 v11, v45, v11, s16
	v_lshrrev_b32_e32 v45, 16, v10
	v_cmp_gt_i32_e64 s[2:3], s28, v44
	v_cndmask_b32_e64 v44, 0, v45, s[2:3]
	v_cmp_gt_i32_e64 s[2:3], s29, v31
	v_cndmask_b32_e64 v10, 0, v10, s[2:3]
	v_perm_b32 v10, v44, v10, s16
.LBB113_63:                             ;   in Loop: Header=BB113_52 Depth=1
	s_or_b64 exec, exec, s[14:15]
	s_waitcnt vmcnt(0)
	;;#ASMSTART
	v_pk_mul_f16 v10, v37, v10;

	;;#ASMEND
	;;#ASMSTART
	v_pk_mul_f16 v11, v36, v11;

	;;#ASMEND
	;; [unrolled: 4-line block ×4, first 2 shown]
	;;#ASMSTART
	v_pk_add_f16 v10, v10, v11;

	;;#ASMEND
	;;#ASMSTART
	v_pk_add_f16 v10, v10, v12;

	;;#ASMEND
	;; [unrolled: 4-line block ×3, first 2 shown]
	v_lshrrev_b32_e32 v11, 16, v10
	v_and_b32_e32 v10, 0xffff, v10
	;;#ASMSTART
	v_cvt_f32_f16 v44, v10;
	;;#ASMEND
	v_add_co_u32_e64 v10, s[2:3], v32, v28
	;;#ASMSTART
	v_cvt_f32_f16 v45, v11;
	;;#ASMEND
	v_addc_co_u32_e64 v11, s[2:3], 0, v33, s[2:3]
	global_load_dwordx4 v[10:13], v[10:11], off
	s_and_saveexec_b64 s[14:15], s[0:1]
	s_cbranch_execz .LBB113_65
; %bb.64:                               ;   in Loop: Header=BB113_52 Depth=1
	v_or_b32_e32 v51, 7, v31
	v_or_b32_e32 v52, 6, v31
	s_waitcnt vmcnt(0)
	v_lshrrev_b32_e32 v53, 16, v13
	v_cmp_gt_i32_e64 s[2:3], s41, v51
	v_cndmask_b32_e64 v51, 0, v53, s[2:3]
	v_cmp_gt_i32_e64 s[2:3], s40, v52
	v_or_b32_e32 v49, 5, v31
	v_cndmask_b32_e64 v13, 0, v13, s[2:3]
	v_or_b32_e32 v50, 4, v31
	v_perm_b32 v13, v51, v13, s16
	v_lshrrev_b32_e32 v51, 16, v12
	v_cmp_gt_i32_e64 s[2:3], s39, v49
	v_cndmask_b32_e64 v49, 0, v51, s[2:3]
	v_cmp_gt_i32_e64 s[2:3], s38, v50
	v_or_b32_e32 v47, 3, v31
	v_cndmask_b32_e64 v12, 0, v12, s[2:3]
	v_or_b32_e32 v48, 2, v31
	v_perm_b32 v12, v49, v12, s16
	v_lshrrev_b32_e32 v49, 16, v11
	v_cmp_gt_i32_e64 s[2:3], s37, v47
	v_cndmask_b32_e64 v47, 0, v49, s[2:3]
	v_cmp_gt_i32_e64 s[2:3], s36, v48
	v_add_u32_e32 v46, 1, v31
	v_cndmask_b32_e64 v11, 0, v11, s[2:3]
	v_perm_b32 v11, v47, v11, s16
	v_lshrrev_b32_e32 v47, 16, v10
	v_cmp_gt_i32_e64 s[2:3], s28, v46
	v_cndmask_b32_e64 v46, 0, v47, s[2:3]
	v_cmp_gt_i32_e64 s[2:3], s29, v31
	v_cndmask_b32_e64 v10, 0, v10, s[2:3]
	v_perm_b32 v10, v46, v10, s16
.LBB113_65:                             ;   in Loop: Header=BB113_52 Depth=1
	s_or_b64 exec, exec, s[14:15]
	s_waitcnt vmcnt(0)
	;;#ASMSTART
	v_pk_mul_f16 v10, v37, v10;

	;;#ASMEND
	;;#ASMSTART
	v_pk_mul_f16 v11, v36, v11;

	;;#ASMEND
	;; [unrolled: 4-line block ×4, first 2 shown]
	;;#ASMSTART
	v_pk_add_f16 v10, v10, v11;

	;;#ASMEND
	;;#ASMSTART
	v_pk_add_f16 v10, v10, v12;

	;;#ASMEND
	;;#ASMSTART
	v_pk_add_f16 v10, v10, v13;

	;;#ASMEND
	v_lshrrev_b32_e32 v11, 16, v10
	v_and_b32_e32 v10, 0xffff, v10
	;;#ASMSTART
	v_cvt_f32_f16 v46, v10;
	;;#ASMEND
	v_add_co_u32_e64 v10, s[2:3], v32, v29
	;;#ASMSTART
	v_cvt_f32_f16 v47, v11;
	;;#ASMEND
	v_addc_co_u32_e64 v11, s[2:3], 0, v33, s[2:3]
	global_load_dwordx4 v[10:13], v[10:11], off
	s_and_saveexec_b64 s[14:15], s[0:1]
	s_cbranch_execz .LBB113_67
; %bb.66:                               ;   in Loop: Header=BB113_52 Depth=1
	v_or_b32_e32 v53, 7, v31
	v_or_b32_e32 v54, 6, v31
	s_waitcnt vmcnt(0)
	v_lshrrev_b32_e32 v55, 16, v13
	v_cmp_gt_i32_e64 s[2:3], s41, v53
	v_cndmask_b32_e64 v53, 0, v55, s[2:3]
	v_cmp_gt_i32_e64 s[2:3], s40, v54
	v_or_b32_e32 v51, 5, v31
	v_cndmask_b32_e64 v13, 0, v13, s[2:3]
	v_or_b32_e32 v52, 4, v31
	v_perm_b32 v13, v53, v13, s16
	v_lshrrev_b32_e32 v53, 16, v12
	v_cmp_gt_i32_e64 s[2:3], s39, v51
	v_cndmask_b32_e64 v51, 0, v53, s[2:3]
	v_cmp_gt_i32_e64 s[2:3], s38, v52
	v_or_b32_e32 v49, 3, v31
	v_cndmask_b32_e64 v12, 0, v12, s[2:3]
	v_or_b32_e32 v50, 2, v31
	v_perm_b32 v12, v51, v12, s16
	v_lshrrev_b32_e32 v51, 16, v11
	v_cmp_gt_i32_e64 s[2:3], s37, v49
	v_cndmask_b32_e64 v49, 0, v51, s[2:3]
	v_cmp_gt_i32_e64 s[2:3], s36, v50
	v_add_u32_e32 v48, 1, v31
	v_cndmask_b32_e64 v11, 0, v11, s[2:3]
	v_perm_b32 v11, v49, v11, s16
	v_lshrrev_b32_e32 v49, 16, v10
	v_cmp_gt_i32_e64 s[2:3], s28, v48
	v_cndmask_b32_e64 v48, 0, v49, s[2:3]
	v_cmp_gt_i32_e64 s[2:3], s29, v31
	v_cndmask_b32_e64 v10, 0, v10, s[2:3]
	v_perm_b32 v10, v48, v10, s16
.LBB113_67:                             ;   in Loop: Header=BB113_52 Depth=1
	s_or_b64 exec, exec, s[14:15]
	s_waitcnt vmcnt(0)
	;;#ASMSTART
	v_pk_mul_f16 v10, v37, v10;

	;;#ASMEND
	;;#ASMSTART
	v_pk_mul_f16 v11, v36, v11;

	;;#ASMEND
	;; [unrolled: 4-line block ×4, first 2 shown]
	;;#ASMSTART
	v_pk_add_f16 v10, v10, v11;

	;;#ASMEND
	;;#ASMSTART
	v_pk_add_f16 v10, v10, v12;

	;;#ASMEND
	;; [unrolled: 4-line block ×3, first 2 shown]
	v_add_f32_e32 v38, v38, v39
	v_add_f32_e32 v18, v18, v19
	v_lshrrev_b32_e32 v11, 16, v10
	v_and_b32_e32 v10, 0xffff, v10
	v_add_f32_e32 v2, v2, v38
	v_add_f32_e32 v38, v40, v41
	;; [unrolled: 1-line block ×4, first 2 shown]
	;;#ASMSTART
	v_cvt_f32_f16 v10, v10;
	;;#ASMEND
	v_add_f32_e32 v3, v3, v38
	v_add_f32_e32 v38, v42, v43
	;; [unrolled: 1-line block ×4, first 2 shown]
	;;#ASMSTART
	v_cvt_f32_f16 v11, v11;
	;;#ASMEND
	v_add_f32_e32 v10, v10, v11
	v_add_f32_e32 v4, v4, v38
	v_add_f32_e32 v7, v7, v18
	v_add_f32_e32 v8, v8, v10
	s_and_saveexec_b64 s[14:15], vcc
	s_cbranch_execz .LBB113_50
; %bb.68:                               ;   in Loop: Header=BB113_52 Depth=1
	v_add_co_u32_e64 v10, s[2:3], v32, v30
	v_addc_co_u32_e64 v11, s[2:3], 0, v33, s[2:3]
	global_load_dwordx4 v[10:13], v[10:11], off
	s_and_saveexec_b64 s[2:3], s[0:1]
	s_cbranch_execz .LBB113_49
; %bb.69:                               ;   in Loop: Header=BB113_52 Depth=1
	v_or_b32_e32 v39, 7, v31
	v_or_b32_e32 v40, 6, v31
	s_waitcnt vmcnt(0)
	v_lshrrev_b32_e32 v41, 16, v13
	v_cmp_gt_i32_e64 s[0:1], s41, v39
	v_cndmask_b32_e64 v39, 0, v41, s[0:1]
	v_cmp_gt_i32_e64 s[0:1], s40, v40
	v_or_b32_e32 v33, 5, v31
	v_cndmask_b32_e64 v13, 0, v13, s[0:1]
	v_or_b32_e32 v38, 4, v31
	v_perm_b32 v13, v39, v13, s16
	v_lshrrev_b32_e32 v39, 16, v12
	v_cmp_gt_i32_e64 s[0:1], s39, v33
	v_cndmask_b32_e64 v33, 0, v39, s[0:1]
	v_cmp_gt_i32_e64 s[0:1], s38, v38
	v_or_b32_e32 v19, 3, v31
	v_cndmask_b32_e64 v12, 0, v12, s[0:1]
	v_or_b32_e32 v32, 2, v31
	v_perm_b32 v12, v33, v12, s16
	v_lshrrev_b32_e32 v33, 16, v11
	v_cmp_gt_i32_e64 s[0:1], s37, v19
	v_cndmask_b32_e64 v19, 0, v33, s[0:1]
	v_cmp_gt_i32_e64 s[0:1], s36, v32
	v_add_u32_e32 v18, 1, v31
	v_cndmask_b32_e64 v11, 0, v11, s[0:1]
	v_perm_b32 v11, v19, v11, s16
	v_lshrrev_b32_e32 v19, 16, v10
	v_cmp_gt_i32_e64 s[0:1], s28, v18
	v_cndmask_b32_e64 v18, 0, v19, s[0:1]
	v_cmp_gt_i32_e64 s[0:1], s29, v31
	v_cndmask_b32_e64 v10, 0, v10, s[0:1]
	v_perm_b32 v10, v18, v10, s16
	s_branch .LBB113_49
.LBB113_70:
	s_or_b64 exec, exec, s[10:11]
.LBB113_71:
	s_or_b64 exec, exec, s[6:7]
	ds_bpermute_b32 v12, v20, v4
	ds_bpermute_b32 v13, v20, v5
	ds_bpermute_b32 v10, v20, v2
	ds_bpermute_b32 v11, v20, v3
	ds_bpermute_b32 v16, v20, v8
	ds_bpermute_b32 v17, v20, v9
	s_waitcnt lgkmcnt(4)
	v_pk_add_f32 v[4:5], v[4:5], v[12:13]
	ds_bpermute_b32 v12, v20, v6
	ds_bpermute_b32 v13, v20, v7
	s_waitcnt lgkmcnt(4)
	v_pk_add_f32 v[2:3], v[2:3], v[10:11]
	s_waitcnt lgkmcnt(2)
	v_pk_add_f32 v[16:17], v[8:9], v[16:17]
	ds_bpermute_b32 v10, v21, v2
	ds_bpermute_b32 v11, v21, v3
	s_waitcnt lgkmcnt(2)
	v_pk_add_f32 v[12:13], v[6:7], v[12:13]
	ds_bpermute_b32 v14, v21, v4
	ds_bpermute_b32 v15, v21, v5
	;; [unrolled: 1-line block ×6, first 2 shown]
	v_and_b32_e32 v1, 0x3c0, v0
	s_waitcnt lgkmcnt(6)
	v_pk_add_f32 v[8:9], v[2:3], v[10:11]
	s_waitcnt lgkmcnt(4)
	v_pk_add_f32 v[6:7], v[4:5], v[14:15]
	s_waitcnt lgkmcnt(2)
	v_pk_add_f32 v[4:5], v[12:13], v[18:19]
	s_waitcnt lgkmcnt(0)
	v_pk_add_f32 v[2:3], v[16:17], v[20:21]
	v_cmp_eq_u32_e32 vcc, 64, v1
	s_barrier
	s_and_saveexec_b64 s[2:3], vcc
	s_cbranch_execz .LBB113_76
; %bb.72:
	v_cmp_eq_u32_e32 vcc, 0, v22
	s_and_saveexec_b64 s[0:1], vcc
	s_cbranch_execz .LBB113_74
; %bb.73:
	v_mov_b32_e32 v1, 0x100
	v_lshl_add_u32 v1, v23, 2, v1
	ds_write2_b32 v1, v8, v9 offset1:16
	ds_write2_b32 v1, v6, v7 offset0:32 offset1:48
	ds_write2_b32 v1, v4, v5 offset0:64 offset1:80
	ds_write_b32 v1, v2 offset:384
.LBB113_74:
	s_or_b64 exec, exec, s[0:1]
	v_or_b32_e32 v1, 0x70, v23
	s_movk_i32 s0, 0x78
	v_cmp_gt_u32_e64 s[0:1], s0, v1
	s_and_b64 s[0:1], vcc, s[0:1]
	s_and_b64 exec, exec, s[0:1]
	s_cbranch_execz .LBB113_76
; %bb.75:
	v_mov_b32_e32 v1, 0x100
	v_lshl_add_u32 v1, v23, 2, v1
	ds_write_b32 v1, v3 offset:448
.LBB113_76:
	s_or_b64 exec, exec, s[2:3]
	v_cmp_gt_u32_e32 vcc, 64, v0
	v_lshrrev_b32_e32 v0, 2, v0
	s_waitcnt lgkmcnt(0)
	s_barrier
	s_and_saveexec_b64 s[6:7], vcc
	s_cbranch_execz .LBB113_88
; %bb.77:
	v_cmp_eq_u32_e64 s[0:1], 0, v22
	s_and_saveexec_b64 s[2:3], s[0:1]
	s_cbranch_execnz .LBB113_94
; %bb.78:
	s_or_b64 exec, exec, s[2:3]
	s_and_saveexec_b64 s[2:3], s[0:1]
	s_cbranch_execnz .LBB113_95
.LBB113_79:
	s_or_b64 exec, exec, s[2:3]
	s_and_saveexec_b64 s[2:3], s[0:1]
	s_cbranch_execnz .LBB113_96
.LBB113_80:
	s_or_b64 exec, exec, s[2:3]
	s_and_saveexec_b64 s[2:3], s[0:1]
	s_cbranch_execnz .LBB113_97
.LBB113_81:
	s_or_b64 exec, exec, s[2:3]
	s_and_saveexec_b64 s[2:3], s[0:1]
	s_cbranch_execnz .LBB113_98
.LBB113_82:
	s_or_b64 exec, exec, s[2:3]
	s_and_saveexec_b64 s[2:3], s[0:1]
	s_cbranch_execnz .LBB113_99
.LBB113_83:
	s_or_b64 exec, exec, s[2:3]
	s_and_saveexec_b64 s[2:3], s[0:1]
	s_cbranch_execz .LBB113_85
.LBB113_84:
	v_mov_b32_e32 v1, 0x100
	v_lshl_add_u32 v1, v0, 2, v1
	ds_read_b32 v1, v1 offset:384
	s_waitcnt lgkmcnt(0)
	v_add_f32_e32 v2, v2, v1
.LBB113_85:
	s_or_b64 exec, exec, s[2:3]
	v_or_b32_e32 v1, 0x70, v0
	s_movk_i32 s2, 0x78
	v_cmp_gt_u32_e64 s[2:3], s2, v1
	s_and_b64 s[2:3], s[0:1], s[2:3]
	s_and_saveexec_b64 s[0:1], s[2:3]
	s_cbranch_execz .LBB113_87
; %bb.86:
	v_mov_b32_e32 v1, 0x100
	v_lshl_add_u32 v1, v0, 2, v1
	ds_read_b32 v1, v1 offset:448
	s_waitcnt lgkmcnt(0)
	v_add_f32_e32 v3, v3, v1
.LBB113_87:
	s_or_b64 exec, exec, s[0:1]
.LBB113_88:
	s_or_b64 exec, exec, s[6:7]
	s_barrier
	s_and_saveexec_b64 s[0:1], vcc
	s_cbranch_execz .LBB113_93
; %bb.89:
	s_mul_i32 s0, s4, 0x78
	s_ashr_i32 s1, s0, 31
	s_lshl_b64 s[0:1], s[0:1], 1
	s_add_u32 s2, s26, s0
	s_mul_i32 s0, s25, s24
	s_addc_u32 s3, s27, s1
	s_ashr_i32 s1, s0, 31
	s_lshl_b64 s[0:1], s[0:1], 1
	s_add_u32 s2, s2, s0
	s_mul_i32 s0, s8, 0x78
	s_addc_u32 s3, s3, s1
	s_ashr_i32 s1, s0, 31
	s_lshl_b64 s[0:1], s[0:1], 1
	s_add_u32 s2, s2, s0
	s_movk_i32 s5, 0x78
	s_addc_u32 s3, s3, s1
	v_cmp_eq_u32_e32 vcc, 0, v22
	v_lshlrev_b32_e32 v1, 1, v0
	s_and_saveexec_b64 s[0:1], vcc
	s_cbranch_execz .LBB113_91
; %bb.90:
	;;#ASMSTART
	v_cvt_f16_f32 v8, v8;

	;;#ASMEND
	global_store_short v1, v8, s[2:3]
	;;#ASMSTART
	v_cvt_f16_f32 v8, v9;

	;;#ASMEND
	global_store_short v1, v8, s[2:3] offset:32
	;;#ASMSTART
	v_cvt_f16_f32 v6, v6;

	;;#ASMEND
	global_store_short v1, v6, s[2:3] offset:64
	;; [unrolled: 5-line block ×6, first 2 shown]
.LBB113_91:
	s_or_b64 exec, exec, s[0:1]
	v_or_b32_e32 v0, 0x70, v0
	v_cmp_gt_u32_e64 s[0:1], s5, v0
	s_and_b64 s[0:1], vcc, s[0:1]
	s_and_b64 exec, exec, s[0:1]
	s_cbranch_execz .LBB113_93
; %bb.92:
	;;#ASMSTART
	v_cvt_f16_f32 v0, v3;

	;;#ASMEND
	global_store_short v1, v0, s[2:3] offset:224
.LBB113_93:
	s_endpgm
.LBB113_94:
	v_mov_b32_e32 v1, 0x100
	v_lshl_add_u32 v1, v0, 2, v1
	ds_read_b32 v1, v1
	s_waitcnt lgkmcnt(0)
	v_add_f32_e32 v8, v8, v1
	s_or_b64 exec, exec, s[2:3]
	s_and_saveexec_b64 s[2:3], s[0:1]
	s_cbranch_execz .LBB113_79
.LBB113_95:
	v_mov_b32_e32 v1, 0x100
	v_lshl_add_u32 v1, v0, 2, v1
	ds_read_b32 v1, v1 offset:64
	s_waitcnt lgkmcnt(0)
	v_add_f32_e32 v9, v9, v1
	s_or_b64 exec, exec, s[2:3]
	s_and_saveexec_b64 s[2:3], s[0:1]
	s_cbranch_execz .LBB113_80
.LBB113_96:
	v_mov_b32_e32 v1, 0x100
	v_lshl_add_u32 v1, v0, 2, v1
	ds_read_b32 v1, v1 offset:128
	s_waitcnt lgkmcnt(0)
	v_add_f32_e32 v6, v6, v1
	s_or_b64 exec, exec, s[2:3]
	s_and_saveexec_b64 s[2:3], s[0:1]
	s_cbranch_execz .LBB113_81
.LBB113_97:
	v_mov_b32_e32 v1, 0x100
	v_lshl_add_u32 v1, v0, 2, v1
	ds_read_b32 v1, v1 offset:192
	s_waitcnt lgkmcnt(0)
	v_add_f32_e32 v7, v7, v1
	s_or_b64 exec, exec, s[2:3]
	s_and_saveexec_b64 s[2:3], s[0:1]
	s_cbranch_execz .LBB113_82
.LBB113_98:
	v_mov_b32_e32 v1, 0x100
	v_lshl_add_u32 v1, v0, 2, v1
	ds_read_b32 v1, v1 offset:256
	s_waitcnt lgkmcnt(0)
	v_add_f32_e32 v4, v4, v1
	s_or_b64 exec, exec, s[2:3]
	s_and_saveexec_b64 s[2:3], s[0:1]
	s_cbranch_execz .LBB113_83
.LBB113_99:
	v_mov_b32_e32 v1, 0x100
	v_lshl_add_u32 v1, v0, 2, v1
	ds_read_b32 v1, v1 offset:320
	s_waitcnt lgkmcnt(0)
	v_add_f32_e32 v5, v5, v1
	s_or_b64 exec, exec, s[2:3]
	s_and_saveexec_b64 s[2:3], s[0:1]
	s_cbranch_execnz .LBB113_84
	s_branch .LBB113_85
	.section	.rodata,"a",@progbits
	.p2align	6, 0x0
	.amdhsa_kernel _ZN4vllm25paged_attention_v2_kernelIttLi120ELi32ELi128ELNS_18Fp8KVCacheDataTypeE0ELb1ELi512EEEvPfS2_PT_PKS3_PKT0_S9_ifPKiSB_iPKfiiiSD_SD_iiiii
		.amdhsa_group_segment_fixed_size 256
		.amdhsa_private_segment_fixed_size 0
		.amdhsa_kernarg_size 400
		.amdhsa_user_sgpr_count 6
		.amdhsa_user_sgpr_private_segment_buffer 1
		.amdhsa_user_sgpr_dispatch_ptr 0
		.amdhsa_user_sgpr_queue_ptr 0
		.amdhsa_user_sgpr_kernarg_segment_ptr 1
		.amdhsa_user_sgpr_dispatch_id 0
		.amdhsa_user_sgpr_flat_scratch_init 0
		.amdhsa_user_sgpr_kernarg_preload_length 0
		.amdhsa_user_sgpr_kernarg_preload_offset 0
		.amdhsa_user_sgpr_private_segment_size 0
		.amdhsa_uses_dynamic_stack 0
		.amdhsa_system_sgpr_private_segment_wavefront_offset 0
		.amdhsa_system_sgpr_workgroup_id_x 1
		.amdhsa_system_sgpr_workgroup_id_y 1
		.amdhsa_system_sgpr_workgroup_id_z 1
		.amdhsa_system_sgpr_workgroup_info 0
		.amdhsa_system_vgpr_workitem_id 0
		.amdhsa_next_free_vgpr 82
		.amdhsa_next_free_sgpr 56
		.amdhsa_accum_offset 84
		.amdhsa_reserve_vcc 1
		.amdhsa_reserve_flat_scratch 0
		.amdhsa_float_round_mode_32 0
		.amdhsa_float_round_mode_16_64 0
		.amdhsa_float_denorm_mode_32 3
		.amdhsa_float_denorm_mode_16_64 3
		.amdhsa_dx10_clamp 1
		.amdhsa_ieee_mode 1
		.amdhsa_fp16_overflow 0
		.amdhsa_tg_split 0
		.amdhsa_exception_fp_ieee_invalid_op 0
		.amdhsa_exception_fp_denorm_src 0
		.amdhsa_exception_fp_ieee_div_zero 0
		.amdhsa_exception_fp_ieee_overflow 0
		.amdhsa_exception_fp_ieee_underflow 0
		.amdhsa_exception_fp_ieee_inexact 0
		.amdhsa_exception_int_div_zero 0
	.end_amdhsa_kernel
	.section	.text._ZN4vllm25paged_attention_v2_kernelIttLi120ELi32ELi128ELNS_18Fp8KVCacheDataTypeE0ELb1ELi512EEEvPfS2_PT_PKS3_PKT0_S9_ifPKiSB_iPKfiiiSD_SD_iiiii,"axG",@progbits,_ZN4vllm25paged_attention_v2_kernelIttLi120ELi32ELi128ELNS_18Fp8KVCacheDataTypeE0ELb1ELi512EEEvPfS2_PT_PKS3_PKT0_S9_ifPKiSB_iPKfiiiSD_SD_iiiii,comdat
.Lfunc_end113:
	.size	_ZN4vllm25paged_attention_v2_kernelIttLi120ELi32ELi128ELNS_18Fp8KVCacheDataTypeE0ELb1ELi512EEEvPfS2_PT_PKS3_PKT0_S9_ifPKiSB_iPKfiiiSD_SD_iiiii, .Lfunc_end113-_ZN4vllm25paged_attention_v2_kernelIttLi120ELi32ELi128ELNS_18Fp8KVCacheDataTypeE0ELb1ELi512EEEvPfS2_PT_PKS3_PKT0_S9_ifPKiSB_iPKfiiiSD_SD_iiiii
                                        ; -- End function
	.section	.AMDGPU.csdata,"",@progbits
; Kernel info:
; codeLenInByte = 9920
; NumSgprs: 60
; NumVgprs: 82
; NumAgprs: 0
; TotalNumVgprs: 82
; ScratchSize: 0
; MemoryBound: 0
; FloatMode: 240
; IeeeMode: 1
; LDSByteSize: 256 bytes/workgroup (compile time only)
; SGPRBlocks: 7
; VGPRBlocks: 10
; NumSGPRsForWavesPerEU: 60
; NumVGPRsForWavesPerEU: 82
; AccumOffset: 84
; Occupancy: 5
; WaveLimiterHint : 1
; COMPUTE_PGM_RSRC2:SCRATCH_EN: 0
; COMPUTE_PGM_RSRC2:USER_SGPR: 6
; COMPUTE_PGM_RSRC2:TRAP_HANDLER: 0
; COMPUTE_PGM_RSRC2:TGID_X_EN: 1
; COMPUTE_PGM_RSRC2:TGID_Y_EN: 1
; COMPUTE_PGM_RSRC2:TGID_Z_EN: 1
; COMPUTE_PGM_RSRC2:TIDIG_COMP_CNT: 0
; COMPUTE_PGM_RSRC3_GFX90A:ACCUM_OFFSET: 20
; COMPUTE_PGM_RSRC3_GFX90A:TG_SPLIT: 0
	.section	.text._ZN4vllm25paged_attention_v2_kernelIttLi128ELi32ELi128ELNS_18Fp8KVCacheDataTypeE0ELb1ELi512EEEvPfS2_PT_PKS3_PKT0_S9_ifPKiSB_iPKfiiiSD_SD_iiiii,"axG",@progbits,_ZN4vllm25paged_attention_v2_kernelIttLi128ELi32ELi128ELNS_18Fp8KVCacheDataTypeE0ELb1ELi512EEEvPfS2_PT_PKS3_PKT0_S9_ifPKiSB_iPKfiiiSD_SD_iiiii,comdat
	.protected	_ZN4vllm25paged_attention_v2_kernelIttLi128ELi32ELi128ELNS_18Fp8KVCacheDataTypeE0ELb1ELi512EEEvPfS2_PT_PKS3_PKT0_S9_ifPKiSB_iPKfiiiSD_SD_iiiii ; -- Begin function _ZN4vllm25paged_attention_v2_kernelIttLi128ELi32ELi128ELNS_18Fp8KVCacheDataTypeE0ELb1ELi512EEEvPfS2_PT_PKS3_PKT0_S9_ifPKiSB_iPKfiiiSD_SD_iiiii
	.globl	_ZN4vllm25paged_attention_v2_kernelIttLi128ELi32ELi128ELNS_18Fp8KVCacheDataTypeE0ELb1ELi512EEEvPfS2_PT_PKS3_PKT0_S9_ifPKiSB_iPKfiiiSD_SD_iiiii
	.p2align	8
	.type	_ZN4vllm25paged_attention_v2_kernelIttLi128ELi32ELi128ELNS_18Fp8KVCacheDataTypeE0ELb1ELi512EEEvPfS2_PT_PKS3_PKT0_S9_ifPKiSB_iPKfiiiSD_SD_iiiii,@function
_ZN4vllm25paged_attention_v2_kernelIttLi128ELi32ELi128ELNS_18Fp8KVCacheDataTypeE0ELb1ELi512EEEvPfS2_PT_PKS3_PKT0_S9_ifPKiSB_iPKfiiiSD_SD_iiiii: ; @_ZN4vllm25paged_attention_v2_kernelIttLi128ELi32ELi128ELNS_18Fp8KVCacheDataTypeE0ELb1ELi512EEEvPfS2_PT_PKS3_PKT0_S9_ifPKiSB_iPKfiiiSD_SD_iiiii
; %bb.0:
	s_load_dwordx2 s[0:1], s[4:5], 0x40
	s_mov_b32 s28, s7
	s_ashr_i32 s29, s7, 31
	s_lshl_b64 s[2:3], s[28:29], 2
	s_waitcnt lgkmcnt(0)
	s_add_u32 s0, s0, s2
	s_addc_u32 s1, s1, s3
	s_load_dword s29, s[0:1], 0x0
	s_lshl_b32 s50, s8, 9
	s_waitcnt lgkmcnt(0)
	s_cmp_ge_i32 s50, s29
	s_cbranch_scc1 .LBB114_84
; %bb.1:
	s_load_dword s9, s[4:5], 0x90
	s_load_dwordx2 s[38:39], s[4:5], 0x30
	s_mov_b32 s51, 0
	s_waitcnt lgkmcnt(0)
	s_abs_i32 s2, s9
	s_abs_i32 s0, s38
	v_cvt_f32_u32_e32 v1, s0
	s_sub_i32 s3, 0, s0
	s_xor_b32 s1, s9, s38
	s_ashr_i32 s1, s1, 31
	v_rcp_iflag_f32_e32 v1, v1
	v_mul_f32_e32 v1, 0x4f7ffffe, v1
	v_cvt_u32_f32_e32 v1, v1
	v_readfirstlane_b32 s7, v1
	s_mul_i32 s3, s3, s7
	s_mul_hi_u32 s3, s7, s3
	s_add_i32 s7, s7, s3
	s_mul_hi_u32 s3, s2, s7
	s_mul_i32 s7, s3, s0
	s_sub_i32 s2, s2, s7
	s_add_i32 s10, s3, 1
	s_sub_i32 s7, s2, s0
	s_cmp_ge_u32 s2, s0
	s_cselect_b32 s3, s10, s3
	s_cselect_b32 s2, s7, s2
	s_add_i32 s7, s3, 1
	s_cmp_ge_u32 s2, s0
	s_cselect_b32 s0, s7, s3
	s_xor_b32 s0, s0, s1
	s_sub_i32 s11, s0, s1
	s_abs_i32 s2, s11
	v_cvt_f32_u32_e32 v1, s2
	s_load_dwordx2 s[0:1], s[4:5], 0x50
	s_sub_i32 s7, 0, s2
	s_abs_i32 s3, s6
	v_rcp_iflag_f32_e32 v1, v1
	v_mul_f32_e32 v1, 0x4f7ffffe, v1
	v_cvt_u32_f32_e32 v1, v1
	v_readfirstlane_b32 s10, v1
	s_mul_i32 s7, s7, s10
	s_mul_hi_u32 s7, s10, s7
	s_add_i32 s10, s10, s7
	s_waitcnt lgkmcnt(0)
	s_cmp_eq_u64 s[0:1], 0
	s_mul_hi_u32 s10, s3, s10
	s_cbranch_scc1 .LBB114_3
; %bb.2:
	s_ashr_i32 s7, s6, 31
	s_lshl_b64 s[12:13], s[6:7], 2
	s_add_u32 s0, s0, s12
	s_addc_u32 s1, s1, s13
	s_load_dword s51, s[0:1], 0x0
.LBB114_3:
	s_load_dwordx4 s[12:15], s[4:5], 0x58
	s_ashr_i32 s7, s6, 31
	s_ashr_i32 s11, s11, 31
	v_and_b32_e32 v2, 1, v0
	s_lshl_b32 s24, s6, 7
	v_cmp_gt_u32_e32 vcc, 32, v0
	v_lshlrev_b32_e32 v30, 3, v0
	s_and_saveexec_b64 s[0:1], vcc
	s_cbranch_execz .LBB114_5
; %bb.4:
	s_load_dwordx2 s[16:17], s[4:5], 0x18
	s_waitcnt lgkmcnt(0)
	s_mul_i32 s18, s28, s12
	s_ashr_i32 s19, s18, 31
	s_lshl_b64 s[18:19], s[18:19], 1
	v_lshlrev_b32_e32 v1, 2, v0
	s_add_u32 s12, s16, s18
	s_addc_u32 s15, s17, s19
	s_ashr_i32 s25, s24, 31
	s_lshl_b64 s[16:17], s[24:25], 1
	s_add_u32 s16, s12, s16
	s_addc_u32 s17, s15, s17
	global_load_dwordx2 v[4:5], v30, s[16:17]
	v_and_b32_e32 v1, 0xff8, v1
	v_lshl_add_u32 v1, v2, 7, v1
	s_waitcnt vmcnt(0)
	ds_write_b64 v1, v[4:5]
.LBB114_5:
	s_or_b64 exec, exec, s[0:1]
	s_mul_i32 s1, s10, s2
	s_sub_i32 s1, s3, s1
	s_xor_b32 s0, s7, s11
	s_add_i32 s3, s10, 1
	s_sub_i32 s7, s1, s2
	s_load_dwordx4 s[16:19], s[4:5], 0x78
	s_cmp_ge_u32 s1, s2
	s_cselect_b32 s3, s3, s10
	s_load_dword s10, s[4:5], 0x88
	s_cselect_b32 s1, s7, s1
	s_add_i32 s7, s3, 1
	s_cmp_ge_u32 s1, s2
	s_cselect_b32 s1, s7, s3
	s_waitcnt lgkmcnt(0)
	s_abs_i32 s33, s19
	v_cvt_f32_u32_e32 v1, s33
	s_xor_b32 s1, s1, s0
	s_sub_i32 s2, s1, s0
	s_sub_i32 s0, 0, s33
	v_rcp_iflag_f32_e32 v1, v1
	s_add_i32 s11, s29, -1
	s_abs_i32 s3, s11
	v_mul_f32_e32 v1, 0x4f7ffffe, v1
	v_cvt_u32_f32_e32 v1, v1
	s_barrier
	v_readfirstlane_b32 s46, v1
	s_mul_i32 s0, s0, s46
	s_mul_hi_u32 s0, s46, s0
	s_add_i32 s46, s46, s0
	s_cmp_lt_i32 s10, 0
	s_mul_hi_u32 s7, s3, s46
	s_cbranch_scc0 .LBB114_7
; %bb.6:
	s_mul_i32 s0, s16, s38
	s_add_i32 s0, s2, s0
	s_mul_i32 s0, s0, s10
	s_sub_i32 s47, 1, s0
	s_mov_b64 s[0:1], 0
	s_branch .LBB114_8
.LBB114_7:
	s_mov_b64 s[0:1], -1
                                        ; implicit-def: $sgpr47
.LBB114_8:
	s_load_dwordx2 s[30:31], s[4:5], 0x38
	s_ashr_i32 s11, s11, 31
	s_andn2_b64 vcc, exec, s[0:1]
	s_ashr_i32 s48, s19, 31
	s_cbranch_vccnz .LBB114_10
; %bb.9:
	s_mul_i32 s0, s9, s16
	s_add_i32 s0, s0, s6
	s_mul_i32 s0, s0, s10
	s_add_i32 s47, s0, 1
.LBB114_10:
	s_load_dword s0, s[4:5], 0x48
	s_load_dwordx2 s[36:37], s[4:5], 0x28
	s_load_dword s25, s[4:5], 0x98
	s_load_dwordx4 s[20:23], s[4:5], 0x0
	s_load_dwordx2 s[26:27], s[4:5], 0x10
	s_mul_i32 s1, s7, s33
	s_waitcnt lgkmcnt(0)
	s_mul_i32 s34, s28, s0
	s_sub_i32 s1, s3, s1
	s_ashr_i32 s35, s34, 31
	s_xor_b32 s0, s11, s48
	s_add_i32 s3, s7, 1
	s_sub_i32 s10, s1, s33
	s_cmp_ge_u32 s1, s33
	s_cselect_b32 s3, s3, s7
	s_cselect_b32 s1, s10, s1
	s_add_i32 s7, s3, 1
	s_cmp_ge_u32 s1, s33
	s_cselect_b32 s1, s7, s3
	s_xor_b32 s1, s1, s0
	s_sub_i32 s16, s1, s0
	s_add_i32 s0, s29, 31
	s_ashr_i32 s1, s0, 31
	s_lshr_b32 s1, s1, 27
	s_add_i32 s0, s0, s1
	s_lshl_b32 s12, s8, 4
	s_ashr_i32 s7, s0, 5
	s_add_i32 s0, s12, 16
	v_lshrrev_b32_e32 v31, 6, v0
	s_min_i32 s49, s0, s7
	v_or_b32_e32 v14, s12, v31
	v_cmp_gt_i32_e64 s[0:1], s49, v14
	v_mov_b32_e32 v37, 0xff7fffff
	s_mul_i32 s14, s2, s14
	v_ashrrev_i32_e32 v15, 31, v14
	v_lshl_add_u32 v1, v31, 5, s50
	v_mbcnt_lo_u32_b32 v32, -1, 0
	s_and_saveexec_b64 s[40:41], s[0:1]
	s_cbranch_execz .LBB114_20
; %bb.11:
	s_load_dwordx2 s[4:5], s[4:5], 0x20
	s_ashr_i32 s15, s14, 31
	s_sub_i32 s19, s16, s17
	s_lshl_b64 s[10:11], s[14:15], 1
	v_bfe_u32 v33, v0, 1, 5
	s_waitcnt lgkmcnt(0)
	s_add_u32 s4, s4, s10
	s_addc_u32 s5, s5, s11
	s_abs_i32 s15, s18
	v_cvt_f32_u32_e32 v5, s15
	v_lshlrev_b32_e32 v3, 4, v33
	v_mov_b32_e32 v4, s5
	v_add_co_u32_e32 v3, vcc, s4, v3
	v_rcp_iflag_f32_e32 v5, v5
	v_addc_co_u32_e32 v4, vcc, 0, v4, vcc
	v_and_b32_e32 v6, 8, v30
	v_add_co_u32_e32 v34, vcc, v3, v6
	v_mul_f32_e32 v3, 0x4f7ffffe, v5
	v_cvt_u32_f32_e32 v3, v3
	s_sub_i32 s10, 0, s15
	v_cmp_eq_u32_e64 s[2:3], 0, v2
	v_lshlrev_b32_e32 v36, 7, v2
	v_mul_lo_u32 v2, s10, v3
	s_lshl_b64 s[10:11], s[34:35], 2
	v_mul_hi_u32 v2, v3, v2
	s_add_u32 s10, s30, s10
	v_addc_co_u32_e32 v35, vcc, 0, v4, vcc
	v_add_u32_e32 v38, v3, v2
	v_lshlrev_b64 v[2:3], 2, v[14:15]
	s_addc_u32 s11, s31, s11
	v_mov_b32_e32 v4, s11
	v_add_co_u32_e32 v2, vcc, s10, v2
	v_addc_co_u32_e32 v3, vcc, v4, v3, vcc
	v_lshlrev_b32_e32 v4, 2, v33
	v_lshl_or_b32 v4, v31, 7, v4
	v_add_u32_e32 v40, 0x110, v4
	v_subrev_u32_e32 v4, s29, v33
	v_mbcnt_hi_u32_b32 v43, -1, v32
	v_add_u32_e32 v41, 1, v4
	v_and_b32_e32 v4, 64, v43
	s_mov_b32 s38, s13
	v_cmp_neq_f32_e64 s[4:5], s51, 0
	v_lshl_add_u32 v39, v31, 5, s50
	s_mov_b64 s[42:43], 0
	v_mov_b32_e32 v42, 0xff7fffff
	s_movk_i32 s52, 0x1000
	v_xor_b32_e32 v44, 1, v43
	v_add_u32_e32 v45, 64, v4
	v_mov_b32_e32 v37, 0xff7fffff
	v_mov_b32_e32 v46, v14
	s_branch .LBB114_14
.LBB114_12:                             ;   in Loop: Header=BB114_14 Depth=1
	s_or_b64 exec, exec, s[44:45]
.LBB114_13:                             ;   in Loop: Header=BB114_14 Depth=1
	s_or_b64 exec, exec, s[10:11]
	v_add_co_u32_e32 v2, vcc, 8, v2
	v_add_u32_e32 v46, 2, v46
	v_addc_co_u32_e32 v3, vcc, 0, v3, vcc
	v_cmp_le_i32_e32 vcc, s49, v46
	v_add_u32_e32 v39, 64, v39
	s_or_b64 s[42:43], vcc, s[42:43]
	v_add_u32_e32 v40, 0x100, v40
	s_andn2_b64 exec, exec, s[42:43]
	s_cbranch_execz .LBB114_19
.LBB114_14:                             ; =>This Inner Loop Header: Depth=1
	s_waitcnt lgkmcnt(0)
	v_sub_u32_e32 v5, 0, v39
	v_max_i32_e32 v5, v39, v5
	v_mul_hi_u32 v6, v5, s46
	v_mul_lo_u32 v7, v6, s33
	v_sub_u32_e32 v5, v5, v7
	v_add_u32_e32 v7, 1, v6
	v_cmp_le_u32_e32 vcc, s33, v5
	v_cndmask_b32_e32 v6, v6, v7, vcc
	v_subrev_u32_e32 v7, s33, v5
	v_cndmask_b32_e32 v5, v5, v7, vcc
	v_ashrrev_i32_e32 v4, 31, v39
	v_add_u32_e32 v7, 1, v6
	v_cmp_le_u32_e32 vcc, s33, v5
	v_xor_b32_e32 v4, s48, v4
	v_cndmask_b32_e32 v5, v6, v7, vcc
	v_xor_b32_e32 v5, v5, v4
	v_sub_u32_e32 v4, v5, v4
	v_add_u32_e32 v5, s47, v4
	v_sub_u32_e32 v7, 0, v5
	v_ashrrev_i32_e32 v6, 31, v5
	v_max_i32_e32 v5, v5, v7
	v_mul_hi_u32 v7, v5, v38
	v_mul_lo_u32 v7, v7, s15
	v_sub_u32_e32 v5, v5, v7
	v_subrev_u32_e32 v7, s15, v5
	v_cmp_le_u32_e32 vcc, s15, v5
	v_cndmask_b32_e32 v5, v5, v7, vcc
	v_subrev_u32_e32 v7, s15, v5
	v_cmp_le_u32_e32 vcc, s15, v5
	v_cndmask_b32_e32 v5, v5, v7, vcc
	v_xor_b32_e32 v5, v5, v6
	v_sub_u32_e32 v5, v5, v6
	v_cmp_ne_u32_e32 vcc, 0, v5
	v_cmp_ge_i32_e64 s[10:11], s19, v4
	s_and_b64 s[10:11], vcc, s[10:11]
	s_and_b64 s[54:55], s[2:3], s[10:11]
	s_and_saveexec_b64 s[44:45], s[54:55]
	s_cbranch_execz .LBB114_16
; %bb.15:                               ;   in Loop: Header=BB114_14 Depth=1
	ds_write_b32 v40, v42
.LBB114_16:                             ;   in Loop: Header=BB114_14 Depth=1
	s_or_b64 exec, exec, s[44:45]
	s_xor_b64 s[44:45], s[10:11], -1
	s_and_saveexec_b64 s[10:11], s[44:45]
	s_cbranch_execz .LBB114_13
; %bb.17:                               ;   in Loop: Header=BB114_14 Depth=1
	global_load_dword v4, v[2:3], off
	s_waitcnt vmcnt(0)
	v_mad_i64_i32 v[4:5], s[44:45], v4, s38, 0
	v_lshlrev_b64 v[4:5], 1, v[4:5]
	v_add_co_u32_e32 v4, vcc, v34, v4
	v_addc_co_u32_e32 v5, vcc, v35, v5, vcc
	global_load_dwordx2 v[50:51], v[4:5], off
	global_load_dwordx2 v[52:53], v[4:5], off offset:512
	global_load_dwordx2 v[54:55], v[4:5], off offset:1024
	;; [unrolled: 1-line block ×7, first 2 shown]
	v_add_co_u32_e32 v4, vcc, s52, v4
	v_addc_co_u32_e32 v5, vcc, 0, v5, vcc
	global_load_dwordx2 v[20:21], v[4:5], off
	ds_read_b64 v[6:7], v36
	v_cmp_lt_i32_e32 vcc, v44, v45
	s_waitcnt lgkmcnt(0)
	v_lshrrev_b32_e32 v48, 16, v6
	v_and_b32_e32 v47, 0xffff, v6
	v_lshrrev_b32_e32 v49, 16, v7
	v_and_b32_e32 v58, 0xffff, v7
	global_load_dwordx2 v[18:19], v[4:5], off offset:512
	global_load_dwordx2 v[16:17], v[4:5], off offset:1024
	;; [unrolled: 1-line block ×6, first 2 shown]
	s_nop 0
	global_load_dwordx2 v[4:5], v[4:5], off offset:3584
	;;#ASMSTART
	v_cvt_f32_f16 v47, v47;
	;;#ASMEND
	;;#ASMSTART
	v_cvt_f32_f16 v48, v48;
	;;#ASMEND
	s_waitcnt vmcnt(15)
	v_lshrrev_b32_e32 v59, 16, v50
	v_and_b32_e32 v50, 0xffff, v50
	v_lshrrev_b32_e32 v60, 16, v51
	v_and_b32_e32 v51, 0xffff, v51
	;;#ASMSTART
	v_cvt_f32_f16 v50, v50;
	;;#ASMEND
	;;#ASMSTART
	v_cvt_f32_f16 v59, v59;
	;;#ASMEND
	;;#ASMSTART
	v_cvt_f32_f16 v58, v58;
	;;#ASMEND
	s_waitcnt vmcnt(8)
	v_lshrrev_b32_e32 v75, 16, v22
	v_and_b32_e32 v76, 0xffff, v22
	v_lshrrev_b32_e32 v77, 16, v23
	v_and_b32_e32 v78, 0xffff, v23
	;;#ASMSTART
	v_cvt_f32_f16 v49, v49;
	;;#ASMEND
	;;#ASMSTART
	v_cvt_f32_f16 v51, v51;
	;;#ASMEND
	;; [unrolled: 3-line block ×3, first 2 shown]
	ds_read_b64 v[22:23], v36 offset:8
	v_lshrrev_b32_e32 v61, 16, v52
	v_and_b32_e32 v52, 0xffff, v52
	v_lshrrev_b32_e32 v62, 16, v53
	v_and_b32_e32 v53, 0xffff, v53
	s_waitcnt vmcnt(7)
	v_lshrrev_b32_e32 v79, 16, v20
	v_and_b32_e32 v80, 0xffff, v20
	v_lshrrev_b32_e32 v81, 16, v21
	v_and_b32_e32 v82, 0xffff, v21
	s_waitcnt lgkmcnt(0)
	v_and_b32_e32 v20, 0xffff, v22
	v_lshrrev_b32_e32 v21, 16, v22
	v_lshrrev_b32_e32 v22, 16, v23
	v_and_b32_e32 v23, 0xffff, v23
	v_lshrrev_b32_e32 v71, 16, v24
	v_and_b32_e32 v72, 0xffff, v24
	;; [unrolled: 2-line block ×3, first 2 shown]
	;;#ASMSTART
	v_cvt_f32_f16 v20, v20;
	;;#ASMEND
	;;#ASMSTART
	v_cvt_f32_f16 v21, v21;
	;;#ASMEND
	;; [unrolled: 3-line block ×8, first 2 shown]
	ds_read_b64 v[24:25], v36 offset:16
	v_mul_f32_e32 v20, v20, v52
	v_mul_f32_e32 v21, v21, v61
	v_lshrrev_b32_e32 v63, 16, v54
	v_and_b32_e32 v54, 0xffff, v54
	v_mul_f32_e32 v22, v23, v22
	v_mul_f32_e32 v23, v83, v53
	v_fmac_f32_e32 v20, v47, v50
	v_fmac_f32_e32 v21, v48, v59
	s_waitcnt lgkmcnt(0)
	v_lshrrev_b32_e32 v47, 16, v24
	v_and_b32_e32 v24, 0xffff, v24
	v_lshrrev_b32_e32 v48, 16, v25
	v_and_b32_e32 v25, 0xffff, v25
	;; [unrolled: 2-line block ×3, first 2 shown]
	v_fmac_f32_e32 v22, v58, v51
	v_fmac_f32_e32 v23, v49, v60
	;;#ASMSTART
	v_cvt_f32_f16 v49, v24;
	;;#ASMEND
	;;#ASMSTART
	v_cvt_f32_f16 v47, v47;
	;;#ASMEND
	;; [unrolled: 3-line block ×8, first 2 shown]
	ds_read_b64 v[24:25], v36 offset:24
	v_fmac_f32_e32 v21, v47, v51
	v_fmac_f32_e32 v23, v48, v54
	v_lshrrev_b32_e32 v65, 16, v56
	v_and_b32_e32 v56, 0xffff, v56
	s_waitcnt lgkmcnt(0)
	v_lshrrev_b32_e32 v47, 16, v24
	v_and_b32_e32 v24, 0xffff, v24
	v_lshrrev_b32_e32 v48, 16, v25
	v_and_b32_e32 v25, 0xffff, v25
	;; [unrolled: 2-line block ×3, first 2 shown]
	v_fmac_f32_e32 v20, v49, v50
	v_fmac_f32_e32 v22, v52, v53
	;;#ASMSTART
	v_cvt_f32_f16 v49, v24;
	;;#ASMEND
	;;#ASMSTART
	v_cvt_f32_f16 v47, v47;
	;;#ASMEND
	;; [unrolled: 3-line block ×8, first 2 shown]
	ds_read_b64 v[24:25], v36 offset:32
	v_lshrrev_b32_e32 v67, 16, v28
	v_and_b32_e32 v28, 0xffff, v28
	v_lshrrev_b32_e32 v68, 16, v29
	v_and_b32_e32 v29, 0xffff, v29
	v_fmac_f32_e32 v21, v47, v51
	v_fmac_f32_e32 v23, v48, v54
	s_waitcnt lgkmcnt(0)
	v_lshrrev_b32_e32 v47, 16, v24
	v_and_b32_e32 v24, 0xffff, v24
	v_lshrrev_b32_e32 v48, 16, v25
	v_and_b32_e32 v25, 0xffff, v25
	v_fmac_f32_e32 v20, v49, v50
	v_fmac_f32_e32 v22, v52, v53
	;;#ASMSTART
	v_cvt_f32_f16 v49, v24;
	;;#ASMEND
	;;#ASMSTART
	v_cvt_f32_f16 v47, v47;
	;;#ASMEND
	;; [unrolled: 3-line block ×8, first 2 shown]
	ds_read_b64 v[24:25], v36 offset:40
	v_lshrrev_b32_e32 v69, 16, v26
	v_and_b32_e32 v26, 0xffff, v26
	v_lshrrev_b32_e32 v70, 16, v27
	v_and_b32_e32 v27, 0xffff, v27
	v_fmac_f32_e32 v20, v49, v28
	v_fmac_f32_e32 v22, v51, v29
	s_waitcnt lgkmcnt(0)
	v_lshrrev_b32_e32 v28, 16, v24
	v_and_b32_e32 v24, 0xffff, v24
	v_lshrrev_b32_e32 v29, 16, v25
	v_and_b32_e32 v25, 0xffff, v25
	v_fmac_f32_e32 v21, v47, v50
	v_fmac_f32_e32 v23, v48, v52
	;;#ASMSTART
	v_cvt_f32_f16 v47, v24;
	;;#ASMEND
	;;#ASMSTART
	v_cvt_f32_f16 v28, v28;
	;;#ASMEND
	;;#ASMSTART
	v_cvt_f32_f16 v26, v26;
	;;#ASMEND
	;;#ASMSTART
	v_cvt_f32_f16 v48, v69;
	;;#ASMEND
	;;#ASMSTART
	v_cvt_f32_f16 v49, v25;
	;;#ASMEND
	;;#ASMSTART
	v_cvt_f32_f16 v29, v29;
	;;#ASMEND
	;;#ASMSTART
	v_cvt_f32_f16 v27, v27;
	;;#ASMEND
	;;#ASMSTART
	v_cvt_f32_f16 v50, v70;
	;;#ASMEND
	ds_read_b64 v[24:25], v36 offset:48
	v_fmac_f32_e32 v20, v47, v26
	v_fmac_f32_e32 v22, v49, v27
	v_fmac_f32_e32 v21, v28, v48
	v_fmac_f32_e32 v23, v29, v50
	s_waitcnt lgkmcnt(0)
	v_lshrrev_b32_e32 v26, 16, v24
	v_and_b32_e32 v24, 0xffff, v24
	v_lshrrev_b32_e32 v27, 16, v25
	v_and_b32_e32 v25, 0xffff, v25
	;;#ASMSTART
	v_cvt_f32_f16 v28, v24;
	;;#ASMEND
	;;#ASMSTART
	v_cvt_f32_f16 v26, v26;
	;;#ASMEND
	;;#ASMSTART
	v_cvt_f32_f16 v29, v72;
	;;#ASMEND
	;;#ASMSTART
	v_cvt_f32_f16 v47, v71;
	;;#ASMEND
	;;#ASMSTART
	v_cvt_f32_f16 v48, v25;
	;;#ASMEND
	;;#ASMSTART
	v_cvt_f32_f16 v27, v27;
	;;#ASMEND
	;;#ASMSTART
	v_cvt_f32_f16 v49, v74;
	;;#ASMEND
	;;#ASMSTART
	v_cvt_f32_f16 v50, v73;
	;;#ASMEND
	ds_read_b64 v[24:25], v36 offset:56
	v_fmac_f32_e32 v21, v26, v47
	v_fmac_f32_e32 v23, v27, v50
	v_fmac_f32_e32 v20, v28, v29
	v_fmac_f32_e32 v22, v48, v49
	s_waitcnt lgkmcnt(0)
	v_lshrrev_b32_e32 v26, 16, v24
	v_and_b32_e32 v24, 0xffff, v24
	v_lshrrev_b32_e32 v27, 16, v25
	v_and_b32_e32 v25, 0xffff, v25
	;;#ASMSTART
	v_cvt_f32_f16 v28, v24;
	;;#ASMEND
	;;#ASMSTART
	v_cvt_f32_f16 v26, v26;
	;;#ASMEND
	;;#ASMSTART
	v_cvt_f32_f16 v29, v76;
	;;#ASMEND
	;;#ASMSTART
	v_cvt_f32_f16 v47, v75;
	;;#ASMEND
	;;#ASMSTART
	v_cvt_f32_f16 v48, v25;
	;;#ASMEND
	;;#ASMSTART
	v_cvt_f32_f16 v27, v27;
	;;#ASMEND
	;;#ASMSTART
	v_cvt_f32_f16 v49, v78;
	;;#ASMEND
	;;#ASMSTART
	v_cvt_f32_f16 v50, v77;
	;;#ASMEND
	ds_read_b64 v[24:25], v36 offset:64
	v_fmac_f32_e32 v21, v26, v47
	v_fmac_f32_e32 v23, v27, v50
	v_fmac_f32_e32 v20, v28, v29
	v_fmac_f32_e32 v22, v48, v49
	s_waitcnt lgkmcnt(0)
	v_lshrrev_b32_e32 v26, 16, v24
	v_and_b32_e32 v24, 0xffff, v24
	v_lshrrev_b32_e32 v27, 16, v25
	v_and_b32_e32 v25, 0xffff, v25
	;;#ASMSTART
	v_cvt_f32_f16 v28, v24;
	;;#ASMEND
	;;#ASMSTART
	v_cvt_f32_f16 v26, v26;
	;;#ASMEND
	;; [unrolled: 3-line block ×8, first 2 shown]
	ds_read_b64 v[24:25], v36 offset:72
	v_fmac_f32_e32 v21, v26, v47
	v_fmac_f32_e32 v23, v27, v50
	s_waitcnt vmcnt(6)
	v_lshrrev_b32_e32 v27, 16, v18
	v_and_b32_e32 v18, 0xffff, v18
	s_waitcnt lgkmcnt(0)
	v_lshrrev_b32_e32 v26, 16, v24
	v_and_b32_e32 v24, 0xffff, v24
	v_fmac_f32_e32 v20, v28, v29
	;;#ASMSTART
	v_cvt_f32_f16 v24, v24;
	;;#ASMEND
	;;#ASMSTART
	v_cvt_f32_f16 v26, v26;
	;;#ASMEND
	;;#ASMSTART
	v_cvt_f32_f16 v28, v18;
	;;#ASMEND
	v_lshrrev_b32_e32 v18, 16, v25
	v_and_b32_e32 v25, 0xffff, v25
	;;#ASMSTART
	v_cvt_f32_f16 v27, v27;
	;;#ASMEND
	;;#ASMSTART
	v_cvt_f32_f16 v25, v25;
	;;#ASMEND
	;;#ASMSTART
	v_cvt_f32_f16 v29, v18;
	;;#ASMEND
	v_lshrrev_b32_e32 v18, 16, v19
	v_and_b32_e32 v19, 0xffff, v19
	v_fmac_f32_e32 v22, v48, v49
	;;#ASMSTART
	v_cvt_f32_f16 v47, v19;
	;;#ASMEND
	;;#ASMSTART
	v_cvt_f32_f16 v48, v18;
	;;#ASMEND
	ds_read_b64 v[18:19], v36 offset:80
	v_fmac_f32_e32 v20, v24, v28
	v_fmac_f32_e32 v22, v25, v47
	s_waitcnt vmcnt(5)
	v_lshrrev_b32_e32 v25, 16, v16
	v_and_b32_e32 v16, 0xffff, v16
	s_waitcnt lgkmcnt(0)
	v_lshrrev_b32_e32 v24, 16, v18
	v_and_b32_e32 v18, 0xffff, v18
	v_fmac_f32_e32 v21, v26, v27
	;;#ASMSTART
	v_cvt_f32_f16 v18, v18;
	;;#ASMEND
	;;#ASMSTART
	v_cvt_f32_f16 v24, v24;
	;;#ASMEND
	;;#ASMSTART
	v_cvt_f32_f16 v26, v16;
	;;#ASMEND
	v_lshrrev_b32_e32 v16, 16, v19
	v_and_b32_e32 v19, 0xffff, v19
	;;#ASMSTART
	v_cvt_f32_f16 v25, v25;
	;;#ASMEND
	;;#ASMSTART
	v_cvt_f32_f16 v19, v19;
	;;#ASMEND
	;;#ASMSTART
	v_cvt_f32_f16 v27, v16;
	;;#ASMEND
	v_lshrrev_b32_e32 v16, 16, v17
	v_and_b32_e32 v17, 0xffff, v17
	v_fmac_f32_e32 v23, v29, v48
	;;#ASMSTART
	v_cvt_f32_f16 v28, v17;
	;;#ASMEND
	;;#ASMSTART
	v_cvt_f32_f16 v29, v16;
	;;#ASMEND
	;; [unrolled: 39-line block ×6, first 2 shown]
	ds_read_b64 v[6:7], v36 offset:120
	v_fmac_f32_e32 v20, v8, v12
	v_fmac_f32_e32 v22, v9, v16
	s_waitcnt vmcnt(0)
	v_lshrrev_b32_e32 v9, 16, v4
	v_and_b32_e32 v4, 0xffff, v4
	s_waitcnt lgkmcnt(0)
	v_lshrrev_b32_e32 v8, 16, v6
	v_and_b32_e32 v6, 0xffff, v6
	;;#ASMSTART
	v_cvt_f32_f16 v6, v6;
	;;#ASMEND
	;;#ASMSTART
	v_cvt_f32_f16 v8, v8;
	;;#ASMEND
	;;#ASMSTART
	v_cvt_f32_f16 v4, v4;
	;;#ASMEND
	v_fmac_f32_e32 v21, v10, v11
	v_fmac_f32_e32 v20, v6, v4
	v_lshrrev_b32_e32 v4, 16, v7
	v_and_b32_e32 v6, 0xffff, v7
	v_fmac_f32_e32 v23, v13, v17
	;;#ASMSTART
	v_cvt_f32_f16 v9, v9;
	;;#ASMEND
	v_fmac_f32_e32 v21, v8, v9
	;;#ASMSTART
	v_cvt_f32_f16 v6, v6;
	;;#ASMEND
	;;#ASMSTART
	v_cvt_f32_f16 v4, v4;
	;;#ASMEND
	v_lshrrev_b32_e32 v7, 16, v5
	v_and_b32_e32 v5, 0xffff, v5
	;;#ASMSTART
	v_cvt_f32_f16 v5, v5;
	;;#ASMEND
	;;#ASMSTART
	v_cvt_f32_f16 v7, v7;
	;;#ASMEND
	v_fmac_f32_e32 v22, v6, v5
	v_fmac_f32_e32 v23, v4, v7
	v_add_f32_e32 v4, v20, v21
	v_add_f32_e32 v4, v4, v22
	v_cndmask_b32_e32 v5, v43, v44, vcc
	v_add_f32_e32 v4, v23, v4
	v_lshlrev_b32_e32 v5, 2, v5
	ds_bpermute_b32 v5, v5, v4
	s_and_saveexec_b64 s[44:45], s[2:3]
	s_cbranch_execz .LBB114_12
; %bb.18:                               ;   in Loop: Header=BB114_14 Depth=1
	v_add_u32_e32 v6, v41, v39
	v_cvt_f32_i32_e32 v6, v6
	s_waitcnt lgkmcnt(0)
	v_add_f32_e32 v4, v4, v5
	v_add_u32_e32 v7, v33, v39
	v_cmp_gt_i32_e32 vcc, s29, v7
	v_mul_f32_e32 v5, s51, v6
	v_cndmask_b32_e64 v5, 0, v5, s[4:5]
	v_fmac_f32_e32 v5, s39, v4
	v_cndmask_b32_e32 v4, 0, v5, vcc
	ds_write_b32 v40, v4
	v_max_f32_e32 v4, v37, v37
	v_max_f32_e32 v4, v4, v5
	v_cndmask_b32_e32 v37, v37, v4, vcc
	s_branch .LBB114_12
.LBB114_19:
	s_or_b64 exec, exec, s[42:43]
.LBB114_20:
	s_or_b64 exec, exec, s[40:41]
	v_mbcnt_hi_u32_b32 v4, -1, v32
	v_and_b32_e32 v2, 64, v4
	v_add_u32_e32 v9, 64, v2
	v_xor_b32_e32 v2, 32, v4
	v_cmp_lt_i32_e32 vcc, v2, v9
	v_cndmask_b32_e32 v2, v4, v2, vcc
	v_lshlrev_b32_e32 v2, 2, v2
	ds_bpermute_b32 v3, v2, v37
	v_xor_b32_e32 v6, 16, v4
	s_waitcnt lgkmcnt(1)
	v_max_f32_e32 v5, v37, v37
	v_cmp_lt_i32_e32 vcc, v6, v9
	v_xor_b32_e32 v7, 8, v4
	s_waitcnt lgkmcnt(0)
	v_max_f32_e32 v3, v3, v3
	v_max_f32_e32 v5, v5, v3
	v_cndmask_b32_e32 v3, v4, v6, vcc
	v_lshlrev_b32_e32 v3, 2, v3
	ds_bpermute_b32 v6, v3, v5
	v_cmp_lt_i32_e32 vcc, v7, v9
	v_xor_b32_e32 v8, 4, v4
	v_xor_b32_e32 v10, 2, v4
	v_and_b32_e32 v20, 63, v0
	s_waitcnt lgkmcnt(0)
	v_max_f32_e32 v6, v6, v6
	v_max_f32_e32 v6, v5, v6
	v_cndmask_b32_e32 v5, v4, v7, vcc
	v_lshlrev_b32_e32 v5, 2, v5
	ds_bpermute_b32 v7, v5, v6
	v_cmp_lt_i32_e32 vcc, v8, v9
	s_waitcnt lgkmcnt(0)
	v_max_f32_e32 v7, v7, v7
	v_max_f32_e32 v7, v6, v7
	v_cndmask_b32_e32 v6, v4, v8, vcc
	v_lshlrev_b32_e32 v6, 2, v6
	ds_bpermute_b32 v8, v6, v7
	v_cmp_lt_i32_e32 vcc, v10, v9
	s_waitcnt lgkmcnt(0)
	v_max_f32_e32 v8, v8, v8
	v_max_f32_e32 v8, v7, v8
	v_cndmask_b32_e32 v7, v4, v10, vcc
	v_lshlrev_b32_e32 v21, 2, v7
	ds_bpermute_b32 v10, v21, v8
	v_cmp_eq_u32_e32 vcc, 0, v20
	v_lshlrev_b32_e32 v7, 2, v31
	s_and_saveexec_b64 s[2:3], vcc
	s_cbranch_execz .LBB114_22
; %bb.21:
	s_waitcnt lgkmcnt(0)
	v_max_f32_e32 v10, v10, v10
	v_max_f32_e32 v8, v8, v8
	;; [unrolled: 1-line block ×3, first 2 shown]
	ds_write_b32 v7, v8 offset:256
.LBB114_22:
	s_or_b64 exec, exec, s[2:3]
	v_cmp_gt_u32_e64 s[2:3], 2, v20
	s_waitcnt lgkmcnt(0)
	v_mov_b32_e32 v10, 0xff7fffff
	v_lshlrev_b32_e32 v8, 2, v20
	s_barrier
	s_and_saveexec_b64 s[4:5], s[2:3]
	s_cbranch_execz .LBB114_24
; %bb.23:
	ds_read_b32 v10, v8 offset:256
.LBB114_24:
	s_or_b64 exec, exec, s[4:5]
	v_xor_b32_e32 v11, 1, v4
	v_cmp_lt_i32_e64 s[4:5], v11, v9
	v_cndmask_b32_e64 v9, v4, v11, s[4:5]
	v_lshlrev_b32_e32 v22, 2, v9
	s_waitcnt lgkmcnt(0)
	ds_bpermute_b32 v9, v22, v10
	v_max_f32_e32 v10, v10, v10
	v_lshlrev_b32_e32 v4, 2, v4
	s_sub_i32 s4, s49, s12
	s_lshl_b32 s4, s4, 5
	s_waitcnt lgkmcnt(0)
	v_max_f32_e32 v9, v9, v9
	v_max_f32_e32 v10, v10, v9
	v_and_b32_e32 v9, 0x100, v4
	ds_bpermute_b32 v4, v9, v10
	s_add_i32 s4, s4, s50
	s_min_i32 s15, s4, s29
	s_sub_i32 s12, s15, s50
	v_cmp_gt_i32_e64 s[4:5], s12, v0
	v_mov_b32_e32 v10, 0
	s_and_saveexec_b64 s[38:39], s[4:5]
	s_cbranch_execz .LBB114_28
; %bb.25:
	v_mov_b32_e32 v10, 0x110
	v_lshl_add_u32 v11, v0, 2, v10
	s_mov_b64 s[40:41], 0
	v_mov_b32_e32 v10, 0
	v_mov_b32_e32 v12, v0
.LBB114_26:                             ; =>This Inner Loop Header: Depth=1
	ds_read_b32 v13, v11
	v_add_u32_e32 v12, 0x80, v12
	v_cmp_le_i32_e64 s[10:11], s12, v12
	s_or_b64 s[40:41], s[10:11], s[40:41]
	s_waitcnt lgkmcnt(0)
	v_sub_f32_e32 v13, v13, v4
	v_mul_f32_e32 v13, 0x3fb8aa3b, v13
	v_exp_f32_e32 v13, v13
	ds_write_b32 v11, v13
	v_add_f32_e32 v10, v10, v13
	v_add_u32_e32 v11, 0x200, v11
	s_andn2_b64 exec, exec, s[40:41]
	s_cbranch_execnz .LBB114_26
; %bb.27:
	s_or_b64 exec, exec, s[40:41]
.LBB114_28:
	s_or_b64 exec, exec, s[38:39]
	ds_bpermute_b32 v2, v2, v10
	s_waitcnt lgkmcnt(0)
	v_add_f32_e32 v2, v10, v2
	ds_bpermute_b32 v3, v3, v2
	s_waitcnt lgkmcnt(0)
	v_add_f32_e32 v2, v2, v3
	;; [unrolled: 3-line block ×6, first 2 shown]
	s_and_saveexec_b64 s[10:11], vcc
	s_cbranch_execz .LBB114_30
; %bb.29:
	ds_write_b32 v7, v2 offset:264
.LBB114_30:
	s_or_b64 exec, exec, s[10:11]
	s_waitcnt lgkmcnt(0)
	s_barrier
	s_and_saveexec_b64 s[10:11], s[2:3]
	s_cbranch_execz .LBB114_32
; %bb.31:
	ds_read_b32 v2, v8 offset:264
.LBB114_32:
	s_or_b64 exec, exec, s[10:11]
	s_waitcnt lgkmcnt(0)
	ds_bpermute_b32 v3, v22, v2
	s_waitcnt lgkmcnt(0)
	v_add_f32_e32 v2, v2, v3
	ds_bpermute_b32 v5, v9, v2
	s_and_saveexec_b64 s[2:3], s[4:5]
	s_cbranch_execz .LBB114_45
; %bb.33:
	s_waitcnt lgkmcnt(0)
	v_add_f32_e32 v2, 0x358637bd, v5
	v_div_scale_f32 v3, s[4:5], v2, v2, 1.0
	v_rcp_f32_e32 v6, v3
	v_div_scale_f32 v7, vcc, 1.0, v2, 1.0
	s_movk_i32 s4, 0x7f
	v_fma_f32 v8, -v3, v6, 1.0
	v_fmac_f32_e32 v6, v8, v6
	v_mul_f32_e32 v8, v7, v6
	v_fma_f32 v9, -v3, v8, v7
	v_fmac_f32_e32 v8, v9, v6
	v_fma_f32 v3, -v3, v8, v7
	v_div_fmas_f32 v3, v3, v6, v8
	v_div_fixup_f32 v2, v3, v2, 1.0
	v_xad_u32 v3, v0, -1, s15
	v_subrev_u32_e32 v6, s50, v3
	v_cmp_lt_u32_e32 vcc, s4, v6
	s_mov_b64 s[10:11], -1
	v_mov_b32_e32 v3, v0
	s_and_saveexec_b64 s[4:5], vcc
	s_cbranch_execz .LBB114_42
; %bb.34:
	v_lshrrev_b32_e32 v6, 7, v6
	v_add_u32_e32 v8, -1, v6
	v_lshrrev_b32_e32 v7, 1, v8
	v_mov_b32_e32 v3, v2
	v_add_u32_e32 v7, 1, v7
	v_cmp_lt_u32_e32 vcc, 13, v8
	v_mov_b32_e32 v10, 0
	s_and_saveexec_b64 s[10:11], vcc
	s_cbranch_execz .LBB114_38
; %bb.35:
	v_mov_b32_e32 v9, 0x110
	v_and_b32_e32 v8, -8, v7
	v_lshl_add_u32 v9, v0, 2, v9
	s_mov_b32 s15, 0
	s_mov_b64 s[38:39], 0
.LBB114_36:                             ; =>This Inner Loop Header: Depth=1
	ds_read2st64_b32 v[10:11], v9 offset1:2
	ds_read2st64_b32 v[12:13], v9 offset0:4 offset1:6
	ds_read2st64_b32 v[16:17], v9 offset0:8 offset1:10
	;; [unrolled: 1-line block ×3, first 2 shown]
	v_add_u32_e32 v8, -8, v8
	s_waitcnt lgkmcnt(3)
	v_pk_mul_f32 v[10:11], v[2:3], v[10:11]
	s_waitcnt lgkmcnt(2)
	v_pk_mul_f32 v[12:13], v[2:3], v[12:13]
	ds_write2st64_b32 v9, v10, v11 offset1:2
	ds_write2st64_b32 v9, v12, v13 offset0:4 offset1:6
	ds_read2st64_b32 v[12:13], v9 offset0:16 offset1:18
	s_waitcnt lgkmcnt(4)
	v_pk_mul_f32 v[10:11], v[2:3], v[16:17]
	ds_write2st64_b32 v9, v10, v11 offset0:8 offset1:10
	s_waitcnt lgkmcnt(4)
	v_pk_mul_f32 v[10:11], v[2:3], v[18:19]
	ds_write2st64_b32 v9, v10, v11 offset0:12 offset1:14
	ds_read2st64_b32 v[10:11], v9 offset0:20 offset1:22
	s_waitcnt lgkmcnt(3)
	v_pk_mul_f32 v[12:13], v[2:3], v[12:13]
	ds_read2st64_b32 v[16:17], v9 offset0:24 offset1:26
	ds_write2st64_b32 v9, v12, v13 offset0:16 offset1:18
	ds_read2st64_b32 v[12:13], v9 offset0:28 offset1:30
	s_waitcnt lgkmcnt(3)
	v_pk_mul_f32 v[10:11], v[2:3], v[10:11]
	ds_write2st64_b32 v9, v10, v11 offset0:20 offset1:22
	s_waitcnt lgkmcnt(3)
	v_pk_mul_f32 v[10:11], v[2:3], v[16:17]
	ds_write2st64_b32 v9, v10, v11 offset0:24 offset1:26
	s_waitcnt lgkmcnt(2)
	v_pk_mul_f32 v[10:11], v[2:3], v[12:13]
	s_add_i32 s15, s15, 16
	v_cmp_eq_u32_e32 vcc, 0, v8
	ds_write2st64_b32 v9, v10, v11 offset0:28 offset1:30
	v_add_u32_e32 v9, 0x2000, v9
	s_or_b64 s[38:39], vcc, s[38:39]
	v_mov_b32_e32 v10, s15
	s_andn2_b64 exec, exec, s[38:39]
	s_cbranch_execnz .LBB114_36
; %bb.37:
	s_or_b64 exec, exec, s[38:39]
.LBB114_38:
	s_or_b64 exec, exec, s[10:11]
	v_and_b32_e32 v7, 7, v7
	v_cmp_ne_u32_e32 vcc, 0, v7
	s_and_saveexec_b64 s[10:11], vcc
	s_cbranch_execz .LBB114_41
; %bb.39:
	v_lshlrev_b32_e32 v8, 9, v10
	v_lshlrev_b32_e32 v9, 2, v0
	s_movk_i32 s15, 0x110
	v_add3_u32 v8, v8, v9, s15
	s_mov_b64 s[38:39], 0
.LBB114_40:                             ; =>This Inner Loop Header: Depth=1
	ds_read2st64_b32 v[10:11], v8 offset1:2
	v_add_u32_e32 v7, -1, v7
	v_cmp_eq_u32_e32 vcc, 0, v7
	s_or_b64 s[38:39], vcc, s[38:39]
	s_waitcnt lgkmcnt(0)
	v_pk_mul_f32 v[10:11], v[2:3], v[10:11]
	ds_write2st64_b32 v8, v10, v11 offset1:2
	v_add_u32_e32 v8, 0x400, v8
	s_andn2_b64 exec, exec, s[38:39]
	s_cbranch_execnz .LBB114_40
.LBB114_41:
	s_or_b64 exec, exec, s[10:11]
	v_add_u32_e32 v6, 1, v6
	v_and_b32_e32 v7, 0x3fffffe, v6
	v_cmp_ne_u32_e32 vcc, v6, v7
	v_lshl_add_u32 v3, v7, 7, v0
	s_orn2_b64 s[10:11], vcc, exec
.LBB114_42:
	s_or_b64 exec, exec, s[4:5]
	s_and_b64 exec, exec, s[10:11]
	s_cbranch_execz .LBB114_45
; %bb.43:
	v_mov_b32_e32 v6, 0x110
	v_lshl_add_u32 v6, v3, 2, v6
	s_mov_b64 s[4:5], 0
.LBB114_44:                             ; =>This Inner Loop Header: Depth=1
	ds_read_b32 v7, v6
	v_add_u32_e32 v3, 0x80, v3
	v_cmp_le_i32_e32 vcc, s12, v3
	s_or_b64 s[4:5], vcc, s[4:5]
	s_waitcnt lgkmcnt(0)
	v_mul_f32_e32 v7, v2, v7
	ds_write_b32 v6, v7
	v_add_u32_e32 v6, 0x200, v6
	s_andn2_b64 exec, exec, s[4:5]
	s_cbranch_execnz .LBB114_44
.LBB114_45:
	s_or_b64 exec, exec, s[2:3]
	s_mul_i32 s2, s25, s28
	v_cmp_eq_u32_e32 vcc, 0, v0
	s_mul_i32 s2, s2, s9
	s_waitcnt lgkmcnt(0)
	s_barrier
	s_and_saveexec_b64 s[4:5], vcc
	s_cbranch_execz .LBB114_47
; %bb.46:
	s_ashr_i32 s3, s2, 31
	s_lshl_b64 s[10:11], s[2:3], 2
	s_add_u32 s3, s22, s10
	s_mul_i32 s22, s25, s6
	s_addc_u32 s9, s23, s11
	s_ashr_i32 s23, s22, 31
	s_lshl_b64 s[22:23], s[22:23], 2
	s_add_u32 s3, s3, s22
	s_addc_u32 s6, s9, s23
	s_ashr_i32 s9, s8, 31
	s_lshl_b64 s[38:39], s[8:9], 2
	s_add_u32 s40, s3, s38
	s_addc_u32 s41, s6, s39
	s_add_u32 s3, s20, s10
	s_addc_u32 s6, s21, s11
	;; [unrolled: 2-line block ×3, first 2 shown]
	s_add_u32 s10, s3, s38
	v_mov_b32_e32 v2, 0
	s_addc_u32 s11, s6, s39
	global_store_dword v2, v4, s[40:41]
	global_store_dword v2, v5, s[10:11]
.LBB114_47:
	s_or_b64 exec, exec, s[4:5]
	s_mov_b32 s12, 0
	v_mov_b32_e32 v9, 0
	v_and_b32_e32 v23, 3, v0
	v_mov_b32_e32 v8, 0
	v_mov_b32_e32 v7, 0
	;; [unrolled: 1-line block ×7, first 2 shown]
	s_and_saveexec_b64 s[4:5], s[0:1]
	s_cbranch_execz .LBB114_69
; %bb.48:
	s_ashr_i32 s15, s14, 31
	s_sub_i32 s3, s16, s17
	s_lshl_b64 s[0:1], s[14:15], 1
	s_add_u32 s20, s36, s0
	s_addc_u32 s21, s37, s1
	s_abs_i32 s23, s18
	v_cvt_f32_u32_e32 v2, s23
	s_sub_i32 s0, 0, s23
	s_add_i32 s22, s7, -1
	s_mov_b32 s9, s13
	v_rcp_iflag_f32_e32 v2, v2
	v_and_b32_e32 v10, 0x1f8, v30
	s_mov_b32 s13, s12
	v_and_b32_e32 v24, 24, v30
	v_mul_f32_e32 v2, 0x4f7ffffe, v2
	v_cvt_u32_f32_e32 v2, v2
	v_or_b32_e32 v12, 0x800, v10
	v_or_b32_e32 v18, 0xa00, v10
	;; [unrolled: 1-line block ×3, first 2 shown]
	v_mul_lo_u32 v3, s0, v2
	v_mul_hi_u32 v3, v2, v3
	s_lshl_b64 s[0:1], s[34:35], 2
	v_add_u32_e32 v25, v2, v3
	v_lshlrev_b64 v[2:3], 2, v[14:15]
	s_add_u32 s0, s30, s0
	s_addc_u32 s1, s31, s1
	v_add_co_u32_e32 v16, vcc, s0, v2
	v_lshlrev_b32_e32 v2, 5, v23
	v_mov_b32_e32 v4, s1
	v_lshl_or_b32 v2, v31, 7, v2
	v_or_b32_e32 v32, 0xe00, v10
	v_addc_co_u32_e32 v17, vcc, v4, v3, vcc
	v_add_u32_e32 v15, 0x110, v2
	s_mov_b32 s14, s12
	s_mov_b32 s15, s12
	;; [unrolled: 1-line block ×6, first 2 shown]
	v_pk_mov_b32 v[2:3], s[12:13], s[12:13] op_sel:[0,1]
	s_mov_b32 s28, s29
	s_mov_b32 s36, s29
	;; [unrolled: 1-line block ×7, first 2 shown]
	s_mov_b64 s[6:7], 0
	v_pk_mov_b32 v[4:5], s[14:15], s[14:15] op_sel:[0,1]
	v_pk_mov_b32 v[6:7], s[16:17], s[16:17] op_sel:[0,1]
	;; [unrolled: 1-line block ×3, first 2 shown]
	v_lshlrev_b32_e32 v26, 1, v10
	s_mov_b32 s14, 0x5040100
	v_lshlrev_b32_e32 v27, 1, v12
	v_lshlrev_b32_e32 v28, 1, v18
	;; [unrolled: 1-line block ×4, first 2 shown]
	s_branch .LBB114_51
.LBB114_49:                             ;   in Loop: Header=BB114_51 Depth=1
	s_or_b64 exec, exec, s[0:1]
	s_waitcnt vmcnt(0)
	;;#ASMSTART
	v_pk_mul_f16 v10, v42, v10;

	;;#ASMEND
	;;#ASMSTART
	v_pk_mul_f16 v11, v41, v11;

	;;#ASMEND
	;; [unrolled: 4-line block ×4, first 2 shown]
	;;#ASMSTART
	v_pk_add_f16 v10, v10, v11;

	;;#ASMEND
	;;#ASMSTART
	v_pk_add_f16 v10, v10, v12;

	;;#ASMEND
	v_add_f32_e32 v18, v18, v19
	;;#ASMSTART
	v_pk_add_f16 v10, v10, v13;

	;;#ASMEND
	v_add_f32_e32 v31, v45, v46
	v_add_f32_e32 v5, v5, v18
	v_add_f32_e32 v18, v51, v52
	v_lshrrev_b32_e32 v11, 16, v10
	v_and_b32_e32 v10, 0xffff, v10
	v_add_f32_e32 v2, v2, v31
	v_add_f32_e32 v31, v47, v48
	v_add_f32_e32 v6, v6, v18
	v_add_f32_e32 v18, v53, v54
	;;#ASMSTART
	v_cvt_f32_f16 v10, v10;
	;;#ASMEND
	v_add_f32_e32 v3, v3, v31
	v_add_f32_e32 v31, v49, v50
	;; [unrolled: 1-line block ×4, first 2 shown]
	;;#ASMSTART
	v_cvt_f32_f16 v11, v11;
	;;#ASMEND
	v_add_f32_e32 v10, v10, v11
	v_add_f32_e32 v4, v4, v31
	;; [unrolled: 1-line block ×4, first 2 shown]
.LBB114_50:                             ;   in Loop: Header=BB114_51 Depth=1
	s_or_b64 exec, exec, s[10:11]
	v_add_co_u32_e32 v16, vcc, 8, v16
	v_add_u32_e32 v14, 2, v14
	v_addc_co_u32_e32 v17, vcc, 0, v17, vcc
	v_cmp_le_i32_e32 vcc, s49, v14
	v_add_u32_e32 v1, 64, v1
	s_or_b64 s[6:7], vcc, s[6:7]
	v_add_u32_e32 v15, 0x100, v15
	s_andn2_b64 exec, exec, s[6:7]
	s_cbranch_execz .LBB114_68
.LBB114_51:                             ; =>This Inner Loop Header: Depth=1
	v_sub_u32_e32 v11, 0, v1
	v_max_i32_e32 v11, v1, v11
	v_mul_hi_u32 v12, v11, s46
	v_mul_lo_u32 v13, v12, s33
	v_sub_u32_e32 v11, v11, v13
	v_add_u32_e32 v13, 1, v12
	v_cmp_le_u32_e32 vcc, s33, v11
	v_cndmask_b32_e32 v12, v12, v13, vcc
	v_subrev_u32_e32 v13, s33, v11
	v_cndmask_b32_e32 v11, v11, v13, vcc
	v_ashrrev_i32_e32 v10, 31, v1
	v_add_u32_e32 v13, 1, v12
	v_cmp_le_u32_e32 vcc, s33, v11
	v_xor_b32_e32 v10, s48, v10
	v_cndmask_b32_e32 v11, v12, v13, vcc
	v_xor_b32_e32 v11, v11, v10
	v_sub_u32_e32 v10, v11, v10
	v_add_u32_e32 v11, s47, v10
	v_sub_u32_e32 v13, 0, v11
	v_ashrrev_i32_e32 v12, 31, v11
	v_max_i32_e32 v11, v11, v13
	v_mul_hi_u32 v13, v11, v25
	v_mul_lo_u32 v13, v13, s23
	v_sub_u32_e32 v11, v11, v13
	v_subrev_u32_e32 v13, s23, v11
	v_cmp_le_u32_e32 vcc, s23, v11
	v_cndmask_b32_e32 v11, v11, v13, vcc
	v_subrev_u32_e32 v13, s23, v11
	v_cmp_le_u32_e32 vcc, s23, v11
	v_cndmask_b32_e32 v11, v11, v13, vcc
	v_xor_b32_e32 v11, v11, v12
	v_sub_u32_e32 v11, v11, v12
	v_cmp_eq_u32_e32 vcc, 0, v11
	v_cmp_lt_i32_e64 s[0:1], s3, v10
	s_or_b64 s[0:1], vcc, s[0:1]
	s_and_saveexec_b64 s[10:11], s[0:1]
	s_cbranch_execz .LBB114_50
; %bb.52:                               ;   in Loop: Header=BB114_51 Depth=1
	global_load_dword v18, v[16:17], off
	ds_read2_b64 v[10:13], v15 offset1:1
	ds_read2_b64 v[32:35], v15 offset0:2 offset1:3
	v_mov_b32_e32 v19, s21
	v_add_u32_e32 v31, v24, v1
	s_waitcnt lgkmcnt(1)
	;;#ASMSTART
	v_cvt_f16_f32 v39, v10;

	;;#ASMEND
	;;#ASMSTART
	v_cvt_f16_f32 v40, v11;

	;;#ASMEND
	;; [unrolled: 4-line block ×4, first 2 shown]
	s_waitcnt lgkmcnt(0)
	;;#ASMSTART
	v_cvt_f16_f32 v46, v32;

	;;#ASMEND
	;;#ASMSTART
	v_cvt_f16_f32 v47, v33;

	;;#ASMEND
	;; [unrolled: 4-line block ×4, first 2 shown]
	v_add_u32_e32 v32, 1, v31
	v_or_b32_e32 v34, 3, v31
	v_or_b32_e32 v33, 2, v31
	;; [unrolled: 1-line block ×6, first 2 shown]
	s_waitcnt vmcnt(0)
	v_mad_i64_i32 v[10:11], s[0:1], v18, s9, 0
	v_lshlrev_b64 v[10:11], 1, v[10:11]
	v_add_co_u32_e32 v43, vcc, s20, v10
	v_addc_co_u32_e32 v44, vcc, v19, v11, vcc
	v_add_co_u32_e32 v18, vcc, v43, v26
	v_addc_co_u32_e32 v19, vcc, 0, v44, vcc
	global_load_dwordx4 v[10:13], v[18:19], off
	v_cmp_eq_u32_e32 vcc, s22, v14
	s_and_saveexec_b64 s[12:13], vcc
	s_cbranch_execz .LBB114_54
; %bb.53:                               ;   in Loop: Header=BB114_51 Depth=1
	s_waitcnt vmcnt(0)
	v_lshrrev_b32_e32 v42, 16, v13
	v_cmp_gt_i32_e64 s[0:1], s41, v38
	v_cndmask_b32_e64 v42, 0, v42, s[0:1]
	v_cmp_gt_i32_e64 s[0:1], s40, v37
	v_cndmask_b32_e64 v13, 0, v13, s[0:1]
	v_perm_b32 v13, v42, v13, s14
	v_lshrrev_b32_e32 v42, 16, v12
	v_cmp_gt_i32_e64 s[0:1], s39, v36
	v_cndmask_b32_e64 v42, 0, v42, s[0:1]
	v_cmp_gt_i32_e64 s[0:1], s38, v35
	v_cndmask_b32_e64 v12, 0, v12, s[0:1]
	v_perm_b32 v12, v42, v12, s14
	v_lshrrev_b32_e32 v42, 16, v11
	v_cmp_gt_i32_e64 s[0:1], s37, v34
	v_cndmask_b32_e64 v42, 0, v42, s[0:1]
	v_cmp_gt_i32_e64 s[0:1], s36, v33
	v_cndmask_b32_e64 v11, 0, v11, s[0:1]
	v_perm_b32 v11, v42, v11, s14
	v_lshrrev_b32_e32 v42, 16, v10
	v_cmp_gt_i32_e64 s[0:1], s28, v32
	v_cndmask_b32_e64 v42, 0, v42, s[0:1]
	v_cmp_gt_i32_e64 s[0:1], s29, v31
	v_cndmask_b32_e64 v10, 0, v10, s[0:1]
	v_perm_b32 v10, v42, v10, s14
.LBB114_54:                             ;   in Loop: Header=BB114_51 Depth=1
	s_or_b64 exec, exec, s[12:13]
	v_and_b32_e32 v39, 0xffff, v39
	v_lshl_or_b32 v42, v40, 16, v39
	v_and_b32_e32 v39, 0xffff, v41
	v_lshl_or_b32 v41, v45, 16, v39
	;; [unrolled: 2-line block ×3, first 2 shown]
	v_and_b32_e32 v39, 0xffff, v48
	s_waitcnt vmcnt(0)
	;;#ASMSTART
	v_pk_mul_f16 v10, v42, v10;

	;;#ASMEND
	v_lshl_or_b32 v39, v49, 16, v39
	;;#ASMSTART
	v_pk_mul_f16 v11, v41, v11;

	;;#ASMEND
	;;#ASMSTART
	v_pk_mul_f16 v12, v40, v12;

	;;#ASMEND
	;; [unrolled: 4-line block ×3, first 2 shown]
	;;#ASMSTART
	v_pk_add_f16 v10, v10, v11;

	;;#ASMEND
	;;#ASMSTART
	v_pk_add_f16 v10, v10, v12;

	;;#ASMEND
	;; [unrolled: 4-line block ×3, first 2 shown]
	v_lshrrev_b32_e32 v11, 16, v10
	v_and_b32_e32 v10, 0xffff, v10
	;;#ASMSTART
	v_cvt_f32_f16 v45, v10;
	;;#ASMEND
	;;#ASMSTART
	v_cvt_f32_f16 v46, v11;
	;;#ASMEND
	global_load_dwordx4 v[10:13], v[18:19], off offset:1024
	s_and_saveexec_b64 s[12:13], vcc
	s_cbranch_execz .LBB114_56
; %bb.55:                               ;   in Loop: Header=BB114_51 Depth=1
	s_waitcnt vmcnt(0)
	v_lshrrev_b32_e32 v47, 16, v13
	v_cmp_gt_i32_e64 s[0:1], s41, v38
	v_cndmask_b32_e64 v47, 0, v47, s[0:1]
	v_cmp_gt_i32_e64 s[0:1], s40, v37
	v_cndmask_b32_e64 v13, 0, v13, s[0:1]
	v_perm_b32 v13, v47, v13, s14
	v_lshrrev_b32_e32 v47, 16, v12
	v_cmp_gt_i32_e64 s[0:1], s39, v36
	v_cndmask_b32_e64 v47, 0, v47, s[0:1]
	v_cmp_gt_i32_e64 s[0:1], s38, v35
	v_cndmask_b32_e64 v12, 0, v12, s[0:1]
	v_perm_b32 v12, v47, v12, s14
	v_lshrrev_b32_e32 v47, 16, v11
	v_cmp_gt_i32_e64 s[0:1], s37, v34
	v_cndmask_b32_e64 v47, 0, v47, s[0:1]
	v_cmp_gt_i32_e64 s[0:1], s36, v33
	v_cndmask_b32_e64 v11, 0, v11, s[0:1]
	v_perm_b32 v11, v47, v11, s14
	v_lshrrev_b32_e32 v47, 16, v10
	v_cmp_gt_i32_e64 s[0:1], s28, v32
	v_cndmask_b32_e64 v47, 0, v47, s[0:1]
	v_cmp_gt_i32_e64 s[0:1], s29, v31
	v_cndmask_b32_e64 v10, 0, v10, s[0:1]
	v_perm_b32 v10, v47, v10, s14
.LBB114_56:                             ;   in Loop: Header=BB114_51 Depth=1
	s_or_b64 exec, exec, s[12:13]
	s_waitcnt vmcnt(0)
	;;#ASMSTART
	v_pk_mul_f16 v10, v42, v10;

	;;#ASMEND
	;;#ASMSTART
	v_pk_mul_f16 v11, v41, v11;

	;;#ASMEND
	;; [unrolled: 4-line block ×4, first 2 shown]
	;;#ASMSTART
	v_pk_add_f16 v10, v10, v11;

	;;#ASMEND
	;;#ASMSTART
	v_pk_add_f16 v10, v10, v12;

	;;#ASMEND
	;; [unrolled: 4-line block ×3, first 2 shown]
	v_lshrrev_b32_e32 v11, 16, v10
	v_and_b32_e32 v10, 0xffff, v10
	;;#ASMSTART
	v_cvt_f32_f16 v47, v10;
	;;#ASMEND
	;;#ASMSTART
	v_cvt_f32_f16 v48, v11;
	;;#ASMEND
	global_load_dwordx4 v[10:13], v[18:19], off offset:2048
	s_and_saveexec_b64 s[12:13], vcc
	s_cbranch_execz .LBB114_58
; %bb.57:                               ;   in Loop: Header=BB114_51 Depth=1
	s_waitcnt vmcnt(0)
	v_lshrrev_b32_e32 v49, 16, v13
	v_cmp_gt_i32_e64 s[0:1], s41, v38
	v_cndmask_b32_e64 v49, 0, v49, s[0:1]
	v_cmp_gt_i32_e64 s[0:1], s40, v37
	v_cndmask_b32_e64 v13, 0, v13, s[0:1]
	v_perm_b32 v13, v49, v13, s14
	v_lshrrev_b32_e32 v49, 16, v12
	v_cmp_gt_i32_e64 s[0:1], s39, v36
	v_cndmask_b32_e64 v49, 0, v49, s[0:1]
	v_cmp_gt_i32_e64 s[0:1], s38, v35
	v_cndmask_b32_e64 v12, 0, v12, s[0:1]
	v_perm_b32 v12, v49, v12, s14
	;; [unrolled: 6-line block ×4, first 2 shown]
.LBB114_58:                             ;   in Loop: Header=BB114_51 Depth=1
	s_or_b64 exec, exec, s[12:13]
	s_waitcnt vmcnt(0)
	;;#ASMSTART
	v_pk_mul_f16 v10, v42, v10;

	;;#ASMEND
	;;#ASMSTART
	v_pk_mul_f16 v11, v41, v11;

	;;#ASMEND
	;; [unrolled: 4-line block ×4, first 2 shown]
	;;#ASMSTART
	v_pk_add_f16 v10, v10, v11;

	;;#ASMEND
	;;#ASMSTART
	v_pk_add_f16 v10, v10, v12;

	;;#ASMEND
	;; [unrolled: 4-line block ×3, first 2 shown]
	v_lshrrev_b32_e32 v11, 16, v10
	v_and_b32_e32 v10, 0xffff, v10
	;;#ASMSTART
	v_cvt_f32_f16 v49, v10;
	;;#ASMEND
	;;#ASMSTART
	v_cvt_f32_f16 v50, v11;
	;;#ASMEND
	global_load_dwordx4 v[10:13], v[18:19], off offset:3072
	s_and_saveexec_b64 s[12:13], vcc
	s_cbranch_execz .LBB114_60
; %bb.59:                               ;   in Loop: Header=BB114_51 Depth=1
	s_waitcnt vmcnt(0)
	v_lshrrev_b32_e32 v18, 16, v13
	v_cmp_gt_i32_e64 s[0:1], s41, v38
	v_cndmask_b32_e64 v18, 0, v18, s[0:1]
	v_cmp_gt_i32_e64 s[0:1], s40, v37
	v_cndmask_b32_e64 v13, 0, v13, s[0:1]
	v_perm_b32 v13, v18, v13, s14
	v_lshrrev_b32_e32 v18, 16, v12
	v_cmp_gt_i32_e64 s[0:1], s39, v36
	v_cndmask_b32_e64 v18, 0, v18, s[0:1]
	v_cmp_gt_i32_e64 s[0:1], s38, v35
	v_cndmask_b32_e64 v12, 0, v12, s[0:1]
	v_perm_b32 v12, v18, v12, s14
	;; [unrolled: 6-line block ×4, first 2 shown]
.LBB114_60:                             ;   in Loop: Header=BB114_51 Depth=1
	s_or_b64 exec, exec, s[12:13]
	s_waitcnt vmcnt(0)
	;;#ASMSTART
	v_pk_mul_f16 v10, v42, v10;

	;;#ASMEND
	;;#ASMSTART
	v_pk_mul_f16 v11, v41, v11;

	;;#ASMEND
	;;#ASMSTART
	v_pk_mul_f16 v12, v40, v12;

	;;#ASMEND
	;;#ASMSTART
	v_pk_mul_f16 v13, v39, v13;

	;;#ASMEND
	;;#ASMSTART
	v_pk_add_f16 v10, v10, v11;

	;;#ASMEND
	;;#ASMSTART
	v_pk_add_f16 v10, v10, v12;

	;;#ASMEND
	;; [unrolled: 4-line block ×3, first 2 shown]
	v_lshrrev_b32_e32 v11, 16, v10
	v_and_b32_e32 v10, 0xffff, v10
	;;#ASMSTART
	v_cvt_f32_f16 v18, v10;
	;;#ASMEND
	v_add_co_u32_e64 v10, s[0:1], v43, v27
	;;#ASMSTART
	v_cvt_f32_f16 v19, v11;
	;;#ASMEND
	v_addc_co_u32_e64 v11, s[0:1], 0, v44, s[0:1]
	global_load_dwordx4 v[10:13], v[10:11], off
	s_and_saveexec_b64 s[12:13], vcc
	s_cbranch_execz .LBB114_62
; %bb.61:                               ;   in Loop: Header=BB114_51 Depth=1
	s_waitcnt vmcnt(0)
	v_lshrrev_b32_e32 v51, 16, v13
	v_cmp_gt_i32_e64 s[0:1], s41, v38
	v_cndmask_b32_e64 v51, 0, v51, s[0:1]
	v_cmp_gt_i32_e64 s[0:1], s40, v37
	v_cndmask_b32_e64 v13, 0, v13, s[0:1]
	v_perm_b32 v13, v51, v13, s14
	v_lshrrev_b32_e32 v51, 16, v12
	v_cmp_gt_i32_e64 s[0:1], s39, v36
	v_cndmask_b32_e64 v51, 0, v51, s[0:1]
	v_cmp_gt_i32_e64 s[0:1], s38, v35
	v_cndmask_b32_e64 v12, 0, v12, s[0:1]
	v_perm_b32 v12, v51, v12, s14
	;; [unrolled: 6-line block ×4, first 2 shown]
.LBB114_62:                             ;   in Loop: Header=BB114_51 Depth=1
	s_or_b64 exec, exec, s[12:13]
	s_waitcnt vmcnt(0)
	;;#ASMSTART
	v_pk_mul_f16 v10, v42, v10;

	;;#ASMEND
	;;#ASMSTART
	v_pk_mul_f16 v11, v41, v11;

	;;#ASMEND
	;; [unrolled: 4-line block ×4, first 2 shown]
	;;#ASMSTART
	v_pk_add_f16 v10, v10, v11;

	;;#ASMEND
	;;#ASMSTART
	v_pk_add_f16 v10, v10, v12;

	;;#ASMEND
	;; [unrolled: 4-line block ×3, first 2 shown]
	v_lshrrev_b32_e32 v11, 16, v10
	v_and_b32_e32 v10, 0xffff, v10
	;;#ASMSTART
	v_cvt_f32_f16 v51, v10;
	;;#ASMEND
	v_add_co_u32_e64 v10, s[0:1], v43, v28
	;;#ASMSTART
	v_cvt_f32_f16 v52, v11;
	;;#ASMEND
	v_addc_co_u32_e64 v11, s[0:1], 0, v44, s[0:1]
	global_load_dwordx4 v[10:13], v[10:11], off
	s_and_saveexec_b64 s[12:13], vcc
	s_cbranch_execz .LBB114_64
; %bb.63:                               ;   in Loop: Header=BB114_51 Depth=1
	s_waitcnt vmcnt(0)
	v_lshrrev_b32_e32 v53, 16, v13
	v_cmp_gt_i32_e64 s[0:1], s41, v38
	v_cndmask_b32_e64 v53, 0, v53, s[0:1]
	v_cmp_gt_i32_e64 s[0:1], s40, v37
	v_cndmask_b32_e64 v13, 0, v13, s[0:1]
	v_perm_b32 v13, v53, v13, s14
	v_lshrrev_b32_e32 v53, 16, v12
	v_cmp_gt_i32_e64 s[0:1], s39, v36
	v_cndmask_b32_e64 v53, 0, v53, s[0:1]
	v_cmp_gt_i32_e64 s[0:1], s38, v35
	v_cndmask_b32_e64 v12, 0, v12, s[0:1]
	v_perm_b32 v12, v53, v12, s14
	;; [unrolled: 6-line block ×4, first 2 shown]
.LBB114_64:                             ;   in Loop: Header=BB114_51 Depth=1
	s_or_b64 exec, exec, s[12:13]
	s_waitcnt vmcnt(0)
	;;#ASMSTART
	v_pk_mul_f16 v10, v42, v10;

	;;#ASMEND
	;;#ASMSTART
	v_pk_mul_f16 v11, v41, v11;

	;;#ASMEND
	;; [unrolled: 4-line block ×4, first 2 shown]
	;;#ASMSTART
	v_pk_add_f16 v10, v10, v11;

	;;#ASMEND
	;;#ASMSTART
	v_pk_add_f16 v10, v10, v12;

	;;#ASMEND
	;; [unrolled: 4-line block ×3, first 2 shown]
	v_lshrrev_b32_e32 v11, 16, v10
	v_and_b32_e32 v10, 0xffff, v10
	;;#ASMSTART
	v_cvt_f32_f16 v53, v10;
	;;#ASMEND
	v_add_co_u32_e64 v10, s[0:1], v43, v29
	;;#ASMSTART
	v_cvt_f32_f16 v54, v11;
	;;#ASMEND
	v_addc_co_u32_e64 v11, s[0:1], 0, v44, s[0:1]
	global_load_dwordx4 v[10:13], v[10:11], off
	s_and_saveexec_b64 s[12:13], vcc
	s_cbranch_execz .LBB114_66
; %bb.65:                               ;   in Loop: Header=BB114_51 Depth=1
	s_waitcnt vmcnt(0)
	v_lshrrev_b32_e32 v55, 16, v13
	v_cmp_gt_i32_e64 s[0:1], s41, v38
	v_cndmask_b32_e64 v55, 0, v55, s[0:1]
	v_cmp_gt_i32_e64 s[0:1], s40, v37
	v_cndmask_b32_e64 v13, 0, v13, s[0:1]
	v_perm_b32 v13, v55, v13, s14
	v_lshrrev_b32_e32 v55, 16, v12
	v_cmp_gt_i32_e64 s[0:1], s39, v36
	v_cndmask_b32_e64 v55, 0, v55, s[0:1]
	v_cmp_gt_i32_e64 s[0:1], s38, v35
	v_cndmask_b32_e64 v12, 0, v12, s[0:1]
	v_perm_b32 v12, v55, v12, s14
	;; [unrolled: 6-line block ×4, first 2 shown]
.LBB114_66:                             ;   in Loop: Header=BB114_51 Depth=1
	s_or_b64 exec, exec, s[12:13]
	s_waitcnt vmcnt(0)
	;;#ASMSTART
	v_pk_mul_f16 v10, v42, v10;

	;;#ASMEND
	;;#ASMSTART
	v_pk_mul_f16 v11, v41, v11;

	;;#ASMEND
	;; [unrolled: 4-line block ×4, first 2 shown]
	;;#ASMSTART
	v_pk_add_f16 v10, v10, v11;

	;;#ASMEND
	;;#ASMSTART
	v_pk_add_f16 v10, v10, v12;

	;;#ASMEND
	;; [unrolled: 4-line block ×3, first 2 shown]
	v_lshrrev_b32_e32 v11, 16, v10
	v_and_b32_e32 v10, 0xffff, v10
	;;#ASMSTART
	v_cvt_f32_f16 v55, v10;
	;;#ASMEND
	v_add_co_u32_e64 v10, s[0:1], v43, v30
	;;#ASMSTART
	v_cvt_f32_f16 v56, v11;
	;;#ASMEND
	v_addc_co_u32_e64 v11, s[0:1], 0, v44, s[0:1]
	global_load_dwordx4 v[10:13], v[10:11], off
	s_and_saveexec_b64 s[0:1], vcc
	s_cbranch_execz .LBB114_49
; %bb.67:                               ;   in Loop: Header=BB114_51 Depth=1
	s_waitcnt vmcnt(0)
	v_lshrrev_b32_e32 v43, 16, v13
	v_cmp_gt_i32_e32 vcc, s41, v38
	v_cndmask_b32_e32 v38, 0, v43, vcc
	v_cmp_gt_i32_e32 vcc, s40, v37
	v_cndmask_b32_e32 v13, 0, v13, vcc
	v_lshrrev_b32_e32 v37, 16, v12
	v_cmp_gt_i32_e32 vcc, s39, v36
	v_cndmask_b32_e32 v36, 0, v37, vcc
	v_cmp_gt_i32_e32 vcc, s38, v35
	v_cndmask_b32_e32 v12, 0, v12, vcc
	;; [unrolled: 5-line block ×4, first 2 shown]
	v_perm_b32 v13, v38, v13, s14
	v_perm_b32 v12, v36, v12, s14
	;; [unrolled: 1-line block ×4, first 2 shown]
	s_branch .LBB114_49
.LBB114_68:
	s_or_b64 exec, exec, s[6:7]
.LBB114_69:
	s_or_b64 exec, exec, s[4:5]
	ds_bpermute_b32 v12, v21, v4
	ds_bpermute_b32 v13, v21, v5
	;; [unrolled: 1-line block ×6, first 2 shown]
	s_waitcnt lgkmcnt(4)
	v_pk_add_f32 v[4:5], v[4:5], v[12:13]
	ds_bpermute_b32 v12, v21, v6
	ds_bpermute_b32 v13, v21, v7
	s_waitcnt lgkmcnt(4)
	v_pk_add_f32 v[2:3], v[2:3], v[10:11]
	s_waitcnt lgkmcnt(2)
	v_pk_add_f32 v[16:17], v[8:9], v[16:17]
	ds_bpermute_b32 v10, v22, v2
	ds_bpermute_b32 v11, v22, v3
	s_waitcnt lgkmcnt(2)
	v_pk_add_f32 v[12:13], v[6:7], v[12:13]
	ds_bpermute_b32 v14, v22, v4
	ds_bpermute_b32 v15, v22, v5
	;; [unrolled: 1-line block ×6, first 2 shown]
	v_and_b32_e32 v1, 0x3c3, v0
	s_waitcnt lgkmcnt(6)
	v_pk_add_f32 v[8:9], v[2:3], v[10:11]
	s_waitcnt lgkmcnt(4)
	v_pk_add_f32 v[6:7], v[4:5], v[14:15]
	;; [unrolled: 2-line block ×4, first 2 shown]
	v_cmp_eq_u32_e32 vcc, 64, v1
	s_barrier
	s_and_saveexec_b64 s[0:1], vcc
	s_cbranch_execz .LBB114_71
; %bb.70:
	v_add_u32_e32 v10, 0x110, v20
	ds_write2_b32 v10, v8, v9 offset1:16
	ds_write2_b32 v10, v6, v7 offset0:32 offset1:48
	ds_write2_b32 v10, v4, v5 offset0:64 offset1:80
	;; [unrolled: 1-line block ×3, first 2 shown]
.LBB114_71:
	s_or_b64 exec, exec, s[0:1]
	v_cmp_gt_u32_e32 vcc, 64, v0
	s_waitcnt lgkmcnt(0)
	s_barrier
	s_and_saveexec_b64 s[0:1], vcc
	s_cbranch_execz .LBB114_82
; %bb.72:
	v_cmp_eq_u32_e32 vcc, 0, v23
	v_lshrrev_b32_e32 v10, 2, v0
	s_and_saveexec_b64 s[4:5], vcc
	s_cbranch_execnz .LBB114_85
; %bb.73:
	s_or_b64 exec, exec, s[4:5]
	s_and_saveexec_b64 s[4:5], vcc
	s_cbranch_execnz .LBB114_86
.LBB114_74:
	s_or_b64 exec, exec, s[4:5]
	s_and_saveexec_b64 s[4:5], vcc
	s_cbranch_execnz .LBB114_87
.LBB114_75:
	s_or_b64 exec, exec, s[4:5]
	s_and_saveexec_b64 s[4:5], vcc
	s_cbranch_execnz .LBB114_88
.LBB114_76:
	s_or_b64 exec, exec, s[4:5]
	s_and_saveexec_b64 s[4:5], vcc
	s_cbranch_execnz .LBB114_89
.LBB114_77:
	s_or_b64 exec, exec, s[4:5]
	s_and_saveexec_b64 s[4:5], vcc
	s_cbranch_execnz .LBB114_90
.LBB114_78:
	s_or_b64 exec, exec, s[4:5]
	s_and_saveexec_b64 s[4:5], vcc
	s_cbranch_execnz .LBB114_91
.LBB114_79:
	s_or_b64 exec, exec, s[4:5]
	s_and_saveexec_b64 s[4:5], vcc
	s_cbranch_execz .LBB114_81
.LBB114_80:
	v_mov_b32_e32 v11, 0x110
	v_lshl_add_u32 v10, v10, 2, v11
	ds_read_b32 v10, v10 offset:448
	s_waitcnt lgkmcnt(0)
	v_add_f32_e32 v3, v3, v10
.LBB114_81:
	s_or_b64 exec, exec, s[4:5]
.LBB114_82:
	s_or_b64 exec, exec, s[0:1]
	v_cmp_eq_u32_e32 vcc, 0, v1
	s_barrier
	s_and_saveexec_b64 s[0:1], vcc
	s_cbranch_execz .LBB114_84
; %bb.83:
	s_lshl_b32 s0, s2, 7
	s_ashr_i32 s1, s0, 31
	s_lshl_b64 s[0:1], s[0:1], 1
	s_add_u32 s2, s26, s0
	s_mul_i32 s0, s25, s24
	s_addc_u32 s3, s27, s1
	s_ashr_i32 s1, s0, 31
	s_lshl_b64 s[0:1], s[0:1], 1
	s_add_u32 s2, s2, s0
	s_addc_u32 s3, s3, s1
	s_lshl_b32 s0, s8, 7
	s_ashr_i32 s1, s0, 31
	s_lshl_b64 s[0:1], s[0:1], 1
	s_add_u32 s0, s2, s0
	s_addc_u32 s1, s3, s1
	v_lshrrev_b32_e32 v0, 1, v0
	;;#ASMSTART
	v_cvt_f16_f32 v1, v8;

	;;#ASMEND
	global_store_short v0, v1, s[0:1]
	;;#ASMSTART
	v_cvt_f16_f32 v1, v9;

	;;#ASMEND
	global_store_short v0, v1, s[0:1] offset:32
	;;#ASMSTART
	v_cvt_f16_f32 v1, v6;

	;;#ASMEND
	global_store_short v0, v1, s[0:1] offset:64
	;;#ASMSTART
	v_cvt_f16_f32 v1, v7;

	;;#ASMEND
	global_store_short v0, v1, s[0:1] offset:96
	;;#ASMSTART
	v_cvt_f16_f32 v1, v4;

	;;#ASMEND
	global_store_short v0, v1, s[0:1] offset:128
	;;#ASMSTART
	v_cvt_f16_f32 v1, v5;

	;;#ASMEND
	global_store_short v0, v1, s[0:1] offset:160
	;;#ASMSTART
	v_cvt_f16_f32 v1, v2;

	;;#ASMEND
	global_store_short v0, v1, s[0:1] offset:192
	;;#ASMSTART
	v_cvt_f16_f32 v1, v3;

	;;#ASMEND
	global_store_short v0, v1, s[0:1] offset:224
.LBB114_84:
	s_endpgm
.LBB114_85:
	v_mov_b32_e32 v11, 0x110
	v_lshl_add_u32 v11, v10, 2, v11
	ds_read_b32 v11, v11
	s_waitcnt lgkmcnt(0)
	v_add_f32_e32 v8, v8, v11
	s_or_b64 exec, exec, s[4:5]
	s_and_saveexec_b64 s[4:5], vcc
	s_cbranch_execz .LBB114_74
.LBB114_86:
	v_mov_b32_e32 v11, 0x110
	v_lshl_add_u32 v11, v10, 2, v11
	ds_read_b32 v11, v11 offset:64
	s_waitcnt lgkmcnt(0)
	v_add_f32_e32 v9, v9, v11
	s_or_b64 exec, exec, s[4:5]
	s_and_saveexec_b64 s[4:5], vcc
	s_cbranch_execz .LBB114_75
.LBB114_87:
	v_mov_b32_e32 v11, 0x110
	v_lshl_add_u32 v11, v10, 2, v11
	ds_read_b32 v11, v11 offset:128
	s_waitcnt lgkmcnt(0)
	v_add_f32_e32 v6, v6, v11
	s_or_b64 exec, exec, s[4:5]
	s_and_saveexec_b64 s[4:5], vcc
	s_cbranch_execz .LBB114_76
.LBB114_88:
	v_mov_b32_e32 v11, 0x110
	v_lshl_add_u32 v11, v10, 2, v11
	ds_read_b32 v11, v11 offset:192
	s_waitcnt lgkmcnt(0)
	v_add_f32_e32 v7, v7, v11
	s_or_b64 exec, exec, s[4:5]
	s_and_saveexec_b64 s[4:5], vcc
	s_cbranch_execz .LBB114_77
.LBB114_89:
	v_mov_b32_e32 v11, 0x110
	v_lshl_add_u32 v11, v10, 2, v11
	ds_read_b32 v11, v11 offset:256
	s_waitcnt lgkmcnt(0)
	v_add_f32_e32 v4, v4, v11
	s_or_b64 exec, exec, s[4:5]
	s_and_saveexec_b64 s[4:5], vcc
	s_cbranch_execz .LBB114_78
.LBB114_90:
	v_mov_b32_e32 v11, 0x110
	v_lshl_add_u32 v11, v10, 2, v11
	ds_read_b32 v11, v11 offset:320
	s_waitcnt lgkmcnt(0)
	v_add_f32_e32 v5, v5, v11
	s_or_b64 exec, exec, s[4:5]
	s_and_saveexec_b64 s[4:5], vcc
	s_cbranch_execz .LBB114_79
.LBB114_91:
	v_mov_b32_e32 v11, 0x110
	v_lshl_add_u32 v11, v10, 2, v11
	ds_read_b32 v11, v11 offset:384
	s_waitcnt lgkmcnt(0)
	v_add_f32_e32 v2, v2, v11
	s_or_b64 exec, exec, s[4:5]
	s_and_saveexec_b64 s[4:5], vcc
	s_cbranch_execnz .LBB114_80
	s_branch .LBB114_81
	.section	.rodata,"a",@progbits
	.p2align	6, 0x0
	.amdhsa_kernel _ZN4vllm25paged_attention_v2_kernelIttLi128ELi32ELi128ELNS_18Fp8KVCacheDataTypeE0ELb1ELi512EEEvPfS2_PT_PKS3_PKT0_S9_ifPKiSB_iPKfiiiSD_SD_iiiii
		.amdhsa_group_segment_fixed_size 272
		.amdhsa_private_segment_fixed_size 0
		.amdhsa_kernarg_size 400
		.amdhsa_user_sgpr_count 6
		.amdhsa_user_sgpr_private_segment_buffer 1
		.amdhsa_user_sgpr_dispatch_ptr 0
		.amdhsa_user_sgpr_queue_ptr 0
		.amdhsa_user_sgpr_kernarg_segment_ptr 1
		.amdhsa_user_sgpr_dispatch_id 0
		.amdhsa_user_sgpr_flat_scratch_init 0
		.amdhsa_user_sgpr_kernarg_preload_length 0
		.amdhsa_user_sgpr_kernarg_preload_offset 0
		.amdhsa_user_sgpr_private_segment_size 0
		.amdhsa_uses_dynamic_stack 0
		.amdhsa_system_sgpr_private_segment_wavefront_offset 0
		.amdhsa_system_sgpr_workgroup_id_x 1
		.amdhsa_system_sgpr_workgroup_id_y 1
		.amdhsa_system_sgpr_workgroup_id_z 1
		.amdhsa_system_sgpr_workgroup_info 0
		.amdhsa_system_vgpr_workitem_id 0
		.amdhsa_next_free_vgpr 84
		.amdhsa_next_free_sgpr 56
		.amdhsa_accum_offset 84
		.amdhsa_reserve_vcc 1
		.amdhsa_reserve_flat_scratch 0
		.amdhsa_float_round_mode_32 0
		.amdhsa_float_round_mode_16_64 0
		.amdhsa_float_denorm_mode_32 3
		.amdhsa_float_denorm_mode_16_64 3
		.amdhsa_dx10_clamp 1
		.amdhsa_ieee_mode 1
		.amdhsa_fp16_overflow 0
		.amdhsa_tg_split 0
		.amdhsa_exception_fp_ieee_invalid_op 0
		.amdhsa_exception_fp_denorm_src 0
		.amdhsa_exception_fp_ieee_div_zero 0
		.amdhsa_exception_fp_ieee_overflow 0
		.amdhsa_exception_fp_ieee_underflow 0
		.amdhsa_exception_fp_ieee_inexact 0
		.amdhsa_exception_int_div_zero 0
	.end_amdhsa_kernel
	.section	.text._ZN4vllm25paged_attention_v2_kernelIttLi128ELi32ELi128ELNS_18Fp8KVCacheDataTypeE0ELb1ELi512EEEvPfS2_PT_PKS3_PKT0_S9_ifPKiSB_iPKfiiiSD_SD_iiiii,"axG",@progbits,_ZN4vllm25paged_attention_v2_kernelIttLi128ELi32ELi128ELNS_18Fp8KVCacheDataTypeE0ELb1ELi512EEEvPfS2_PT_PKS3_PKT0_S9_ifPKiSB_iPKfiiiSD_SD_iiiii,comdat
.Lfunc_end114:
	.size	_ZN4vllm25paged_attention_v2_kernelIttLi128ELi32ELi128ELNS_18Fp8KVCacheDataTypeE0ELb1ELi512EEEvPfS2_PT_PKS3_PKT0_S9_ifPKiSB_iPKfiiiSD_SD_iiiii, .Lfunc_end114-_ZN4vllm25paged_attention_v2_kernelIttLi128ELi32ELi128ELNS_18Fp8KVCacheDataTypeE0ELb1ELi512EEEvPfS2_PT_PKS3_PKT0_S9_ifPKiSB_iPKfiiiSD_SD_iiiii
                                        ; -- End function
	.section	.AMDGPU.csdata,"",@progbits
; Kernel info:
; codeLenInByte = 9536
; NumSgprs: 60
; NumVgprs: 84
; NumAgprs: 0
; TotalNumVgprs: 84
; ScratchSize: 0
; MemoryBound: 0
; FloatMode: 240
; IeeeMode: 1
; LDSByteSize: 272 bytes/workgroup (compile time only)
; SGPRBlocks: 7
; VGPRBlocks: 10
; NumSGPRsForWavesPerEU: 60
; NumVGPRsForWavesPerEU: 84
; AccumOffset: 84
; Occupancy: 5
; WaveLimiterHint : 1
; COMPUTE_PGM_RSRC2:SCRATCH_EN: 0
; COMPUTE_PGM_RSRC2:USER_SGPR: 6
; COMPUTE_PGM_RSRC2:TRAP_HANDLER: 0
; COMPUTE_PGM_RSRC2:TGID_X_EN: 1
; COMPUTE_PGM_RSRC2:TGID_Y_EN: 1
; COMPUTE_PGM_RSRC2:TGID_Z_EN: 1
; COMPUTE_PGM_RSRC2:TIDIG_COMP_CNT: 0
; COMPUTE_PGM_RSRC3_GFX90A:ACCUM_OFFSET: 20
; COMPUTE_PGM_RSRC3_GFX90A:TG_SPLIT: 0
	.section	.text._ZN4vllm25paged_attention_v2_kernelIttLi192ELi32ELi128ELNS_18Fp8KVCacheDataTypeE0ELb1ELi512EEEvPfS2_PT_PKS3_PKT0_S9_ifPKiSB_iPKfiiiSD_SD_iiiii,"axG",@progbits,_ZN4vllm25paged_attention_v2_kernelIttLi192ELi32ELi128ELNS_18Fp8KVCacheDataTypeE0ELb1ELi512EEEvPfS2_PT_PKS3_PKT0_S9_ifPKiSB_iPKfiiiSD_SD_iiiii,comdat
	.protected	_ZN4vllm25paged_attention_v2_kernelIttLi192ELi32ELi128ELNS_18Fp8KVCacheDataTypeE0ELb1ELi512EEEvPfS2_PT_PKS3_PKT0_S9_ifPKiSB_iPKfiiiSD_SD_iiiii ; -- Begin function _ZN4vllm25paged_attention_v2_kernelIttLi192ELi32ELi128ELNS_18Fp8KVCacheDataTypeE0ELb1ELi512EEEvPfS2_PT_PKS3_PKT0_S9_ifPKiSB_iPKfiiiSD_SD_iiiii
	.globl	_ZN4vllm25paged_attention_v2_kernelIttLi192ELi32ELi128ELNS_18Fp8KVCacheDataTypeE0ELb1ELi512EEEvPfS2_PT_PKS3_PKT0_S9_ifPKiSB_iPKfiiiSD_SD_iiiii
	.p2align	8
	.type	_ZN4vllm25paged_attention_v2_kernelIttLi192ELi32ELi128ELNS_18Fp8KVCacheDataTypeE0ELb1ELi512EEEvPfS2_PT_PKS3_PKT0_S9_ifPKiSB_iPKfiiiSD_SD_iiiii,@function
_ZN4vllm25paged_attention_v2_kernelIttLi192ELi32ELi128ELNS_18Fp8KVCacheDataTypeE0ELb1ELi512EEEvPfS2_PT_PKS3_PKT0_S9_ifPKiSB_iPKfiiiSD_SD_iiiii: ; @_ZN4vllm25paged_attention_v2_kernelIttLi192ELi32ELi128ELNS_18Fp8KVCacheDataTypeE0ELb1ELi512EEEvPfS2_PT_PKS3_PKT0_S9_ifPKiSB_iPKfiiiSD_SD_iiiii
; %bb.0:
	s_load_dwordx2 s[0:1], s[4:5], 0x40
	s_mov_b32 s28, s7
	s_ashr_i32 s29, s7, 31
	s_lshl_b64 s[2:3], s[28:29], 2
	s_waitcnt lgkmcnt(0)
	s_add_u32 s0, s0, s2
	s_addc_u32 s1, s1, s3
	s_load_dword s29, s[0:1], 0x0
	s_lshl_b32 s48, s8, 9
	s_waitcnt lgkmcnt(0)
	s_cmp_ge_i32 s48, s29
	s_cbranch_scc1 .LBB115_98
; %bb.1:
	s_load_dword s9, s[4:5], 0x90
	s_load_dwordx2 s[38:39], s[4:5], 0x30
	s_mov_b32 s49, 0
	s_waitcnt lgkmcnt(0)
	s_abs_i32 s2, s9
	s_abs_i32 s0, s38
	v_cvt_f32_u32_e32 v1, s0
	s_sub_i32 s3, 0, s0
	s_xor_b32 s1, s9, s38
	s_ashr_i32 s1, s1, 31
	v_rcp_iflag_f32_e32 v1, v1
	v_mul_f32_e32 v1, 0x4f7ffffe, v1
	v_cvt_u32_f32_e32 v1, v1
	v_readfirstlane_b32 s7, v1
	s_mul_i32 s3, s3, s7
	s_mul_hi_u32 s3, s7, s3
	s_add_i32 s7, s7, s3
	s_mul_hi_u32 s3, s2, s7
	s_mul_i32 s7, s3, s0
	s_sub_i32 s2, s2, s7
	s_add_i32 s10, s3, 1
	s_sub_i32 s7, s2, s0
	s_cmp_ge_u32 s2, s0
	s_cselect_b32 s3, s10, s3
	s_cselect_b32 s2, s7, s2
	s_add_i32 s7, s3, 1
	s_cmp_ge_u32 s2, s0
	s_cselect_b32 s0, s7, s3
	s_xor_b32 s0, s0, s1
	s_sub_i32 s11, s0, s1
	s_abs_i32 s2, s11
	v_cvt_f32_u32_e32 v1, s2
	s_load_dwordx2 s[0:1], s[4:5], 0x50
	s_sub_i32 s7, 0, s2
	s_abs_i32 s3, s6
	v_rcp_iflag_f32_e32 v1, v1
	v_mul_f32_e32 v1, 0x4f7ffffe, v1
	v_cvt_u32_f32_e32 v1, v1
	v_readfirstlane_b32 s10, v1
	s_mul_i32 s7, s7, s10
	s_mul_hi_u32 s7, s10, s7
	s_add_i32 s10, s10, s7
	s_waitcnt lgkmcnt(0)
	s_cmp_eq_u64 s[0:1], 0
	s_mul_hi_u32 s10, s3, s10
	s_cbranch_scc1 .LBB115_3
; %bb.2:
	s_ashr_i32 s7, s6, 31
	s_lshl_b64 s[12:13], s[6:7], 2
	s_add_u32 s0, s0, s12
	s_addc_u32 s1, s1, s13
	s_load_dword s49, s[0:1], 0x0
.LBB115_3:
	s_load_dwordx4 s[12:15], s[4:5], 0x58
	s_ashr_i32 s7, s6, 31
	s_ashr_i32 s11, s11, 31
	v_and_b32_e32 v2, 1, v0
	s_waitcnt lgkmcnt(0)
	s_movk_i32 s15, 0xc0
	s_mul_i32 s24, s6, 0xc0
	v_cmp_gt_u32_e32 vcc, 48, v0
	v_lshlrev_b32_e32 v52, 3, v0
	s_and_saveexec_b64 s[0:1], vcc
	s_cbranch_execz .LBB115_5
; %bb.4:
	s_load_dwordx2 s[16:17], s[4:5], 0x18
	s_mul_i32 s18, s28, s12
	s_ashr_i32 s19, s18, 31
	s_lshl_b64 s[18:19], s[18:19], 1
	v_lshlrev_b32_e32 v1, 2, v0
	s_waitcnt lgkmcnt(0)
	s_add_u32 s12, s16, s18
	s_addc_u32 s18, s17, s19
	s_ashr_i32 s25, s24, 31
	s_lshl_b64 s[16:17], s[24:25], 1
	s_add_u32 s16, s12, s16
	s_addc_u32 s17, s18, s17
	global_load_dwordx2 v[4:5], v52, s[16:17]
	v_and_b32_e32 v1, 0xff8, v1
	v_mad_u32_u24 v1, v2, s15, v1
	s_waitcnt vmcnt(0)
	ds_write_b64 v1, v[4:5]
.LBB115_5:
	s_or_b64 exec, exec, s[0:1]
	s_mul_i32 s1, s10, s2
	s_sub_i32 s1, s3, s1
	s_xor_b32 s0, s7, s11
	s_add_i32 s3, s10, 1
	s_sub_i32 s7, s1, s2
	s_load_dwordx4 s[16:19], s[4:5], 0x78
	s_cmp_ge_u32 s1, s2
	s_cselect_b32 s3, s3, s10
	s_load_dword s10, s[4:5], 0x88
	s_cselect_b32 s1, s7, s1
	s_add_i32 s7, s3, 1
	s_cmp_ge_u32 s1, s2
	s_cselect_b32 s1, s7, s3
	s_waitcnt lgkmcnt(0)
	s_abs_i32 s25, s19
	v_cvt_f32_u32_e32 v1, s25
	s_xor_b32 s1, s1, s0
	s_sub_i32 s2, s1, s0
	s_sub_i32 s0, 0, s25
	v_rcp_iflag_f32_e32 v1, v1
	s_add_i32 s11, s29, -1
	s_abs_i32 s3, s11
	v_mul_f32_e32 v1, 0x4f7ffffe, v1
	v_cvt_u32_f32_e32 v1, v1
	s_barrier
	v_readfirstlane_b32 s33, v1
	s_mul_i32 s0, s0, s33
	s_mul_hi_u32 s0, s33, s0
	s_add_i32 s33, s33, s0
	s_cmp_lt_i32 s10, 0
	s_mul_hi_u32 s7, s3, s33
	s_cbranch_scc0 .LBB115_7
; %bb.6:
	s_mul_i32 s0, s16, s38
	s_add_i32 s0, s2, s0
	s_mul_i32 s0, s0, s10
	s_sub_i32 s46, 1, s0
	s_mov_b64 s[0:1], 0
	s_branch .LBB115_8
.LBB115_7:
	s_mov_b64 s[0:1], -1
                                        ; implicit-def: $sgpr46
.LBB115_8:
	s_load_dwordx2 s[30:31], s[4:5], 0x38
	s_ashr_i32 s11, s11, 31
	s_andn2_b64 vcc, exec, s[0:1]
	s_ashr_i32 s19, s19, 31
	s_cbranch_vccnz .LBB115_10
; %bb.9:
	s_mul_i32 s0, s9, s16
	s_add_i32 s0, s0, s6
	s_mul_i32 s0, s0, s10
	s_add_i32 s46, s0, 1
.LBB115_10:
	s_load_dword s0, s[4:5], 0x48
	s_load_dwordx2 s[36:37], s[4:5], 0x28
	s_load_dword s16, s[4:5], 0x98
	s_load_dwordx4 s[20:23], s[4:5], 0x0
	s_load_dwordx2 s[26:27], s[4:5], 0x10
	s_mul_i32 s1, s7, s25
	s_waitcnt lgkmcnt(0)
	s_mul_i32 s34, s28, s0
	s_sub_i32 s1, s3, s1
	s_ashr_i32 s35, s34, 31
	s_xor_b32 s0, s11, s19
	s_add_i32 s3, s7, 1
	s_sub_i32 s10, s1, s25
	s_cmp_ge_u32 s1, s25
	s_cselect_b32 s3, s3, s7
	s_cselect_b32 s1, s10, s1
	s_add_i32 s7, s3, 1
	s_cmp_ge_u32 s1, s25
	s_cselect_b32 s1, s7, s3
	s_xor_b32 s1, s1, s0
	s_sub_i32 s12, s1, s0
	s_add_i32 s0, s29, 31
	s_ashr_i32 s1, s0, 31
	s_lshr_b32 s1, s1, 27
	s_add_i32 s0, s0, s1
	s_lshl_b32 s38, s8, 4
	s_ashr_i32 s7, s0, 5
	s_add_i32 s0, s38, 16
	v_lshrrev_b32_e32 v53, 6, v0
	s_min_i32 s47, s0, s7
	v_or_b32_e32 v6, s38, v53
	v_cmp_gt_i32_e64 s[0:1], s47, v6
	v_mov_b32_e32 v60, 0xff7fffff
	s_mul_i32 s14, s2, s14
	v_ashrrev_i32_e32 v7, 31, v6
	v_lshl_add_u32 v1, v53, 5, s48
	v_mbcnt_lo_u32_b32 v54, -1, 0
	s_and_saveexec_b64 s[40:41], s[0:1]
	s_cbranch_execz .LBB115_20
; %bb.11:
	s_load_dwordx2 s[4:5], s[4:5], 0x20
	s_ashr_i32 s15, s14, 31
	s_sub_i32 s50, s12, s17
	s_lshl_b64 s[10:11], s[14:15], 1
	v_bfe_u32 v55, v0, 1, 5
	s_waitcnt lgkmcnt(0)
	s_add_u32 s4, s4, s10
	s_addc_u32 s5, s5, s11
	s_abs_i32 s15, s18
	v_cvt_f32_u32_e32 v5, s15
	v_lshlrev_b32_e32 v3, 4, v55
	v_mov_b32_e32 v4, s5
	v_add_co_u32_e32 v3, vcc, s4, v3
	v_rcp_iflag_f32_e32 v5, v5
	v_addc_co_u32_e32 v4, vcc, 0, v4, vcc
	v_and_b32_e32 v8, 8, v52
	v_add_co_u32_e32 v56, vcc, v3, v8
	v_mul_f32_e32 v3, 0x4f7ffffe, v5
	v_cvt_u32_f32_e32 v3, v3
	s_sub_i32 s10, 0, s15
	v_cmp_eq_u32_e64 s[2:3], 0, v2
	v_mul_u32_u24_e32 v58, 0xc0, v2
	v_mul_lo_u32 v2, s10, v3
	s_lshl_b64 s[10:11], s[34:35], 2
	v_mul_hi_u32 v2, v3, v2
	s_add_u32 s10, s30, s10
	v_addc_co_u32_e32 v57, vcc, 0, v4, vcc
	v_add_u32_e32 v59, v3, v2
	v_lshlrev_b64 v[2:3], 2, v[6:7]
	s_addc_u32 s11, s31, s11
	v_mov_b32_e32 v4, s11
	v_add_co_u32_e32 v2, vcc, s10, v2
	v_addc_co_u32_e32 v3, vcc, v4, v3, vcc
	v_lshlrev_b32_e32 v4, 2, v55
	v_lshl_or_b32 v4, v53, 7, v4
	v_add_u32_e32 v62, 0x190, v4
	v_subrev_u32_e32 v4, s29, v55
	v_mbcnt_hi_u32_b32 v65, -1, v54
	v_add_u32_e32 v63, 1, v4
	v_and_b32_e32 v4, 64, v65
	s_mov_b32 s51, s13
	v_cmp_neq_f32_e64 s[4:5], s49, 0
	v_lshl_add_u32 v61, v53, 5, s48
	s_mov_b64 s[42:43], 0
	v_mov_b32_e32 v64, 0xff7fffff
	s_movk_i32 s52, 0x1000
	s_movk_i32 s53, 0x2000
	v_xor_b32_e32 v66, 1, v65
	v_add_u32_e32 v67, 64, v4
	v_mov_b32_e32 v60, 0xff7fffff
	v_mov_b32_e32 v68, v6
	s_branch .LBB115_14
.LBB115_12:                             ;   in Loop: Header=BB115_14 Depth=1
	s_or_b64 exec, exec, s[10:11]
.LBB115_13:                             ;   in Loop: Header=BB115_14 Depth=1
	s_or_b64 exec, exec, s[44:45]
	v_add_co_u32_e32 v2, vcc, 8, v2
	v_add_u32_e32 v68, 2, v68
	v_addc_co_u32_e32 v3, vcc, 0, v3, vcc
	v_cmp_le_i32_e32 vcc, s47, v68
	v_add_u32_e32 v61, 64, v61
	s_or_b64 s[42:43], vcc, s[42:43]
	v_add_u32_e32 v62, 0x100, v62
	s_andn2_b64 exec, exec, s[42:43]
	s_cbranch_execz .LBB115_19
.LBB115_14:                             ; =>This Inner Loop Header: Depth=1
	s_waitcnt lgkmcnt(0)
	v_sub_u32_e32 v5, 0, v61
	v_max_i32_e32 v5, v61, v5
	v_mul_hi_u32 v8, v5, s33
	v_mul_lo_u32 v9, v8, s25
	v_sub_u32_e32 v5, v5, v9
	v_add_u32_e32 v9, 1, v8
	v_cmp_le_u32_e32 vcc, s25, v5
	v_cndmask_b32_e32 v8, v8, v9, vcc
	v_subrev_u32_e32 v9, s25, v5
	v_cndmask_b32_e32 v5, v5, v9, vcc
	v_ashrrev_i32_e32 v4, 31, v61
	v_add_u32_e32 v9, 1, v8
	v_cmp_le_u32_e32 vcc, s25, v5
	v_xor_b32_e32 v4, s19, v4
	v_cndmask_b32_e32 v5, v8, v9, vcc
	v_xor_b32_e32 v5, v5, v4
	v_sub_u32_e32 v4, v5, v4
	v_add_u32_e32 v5, s46, v4
	v_sub_u32_e32 v9, 0, v5
	v_ashrrev_i32_e32 v8, 31, v5
	v_max_i32_e32 v5, v5, v9
	v_mul_hi_u32 v9, v5, v59
	v_mul_lo_u32 v9, v9, s15
	v_sub_u32_e32 v5, v5, v9
	v_subrev_u32_e32 v9, s15, v5
	v_cmp_le_u32_e32 vcc, s15, v5
	v_cndmask_b32_e32 v5, v5, v9, vcc
	v_subrev_u32_e32 v9, s15, v5
	v_cmp_le_u32_e32 vcc, s15, v5
	v_cndmask_b32_e32 v5, v5, v9, vcc
	v_xor_b32_e32 v5, v5, v8
	v_sub_u32_e32 v5, v5, v8
	v_cmp_ne_u32_e32 vcc, 0, v5
	v_cmp_ge_i32_e64 s[10:11], s50, v4
	s_and_b64 s[10:11], vcc, s[10:11]
	s_and_b64 s[54:55], s[2:3], s[10:11]
	s_and_saveexec_b64 s[44:45], s[54:55]
	s_cbranch_execz .LBB115_16
; %bb.15:                               ;   in Loop: Header=BB115_14 Depth=1
	ds_write_b32 v62, v64
.LBB115_16:                             ;   in Loop: Header=BB115_14 Depth=1
	s_or_b64 exec, exec, s[44:45]
	s_xor_b64 s[10:11], s[10:11], -1
	s_and_saveexec_b64 s[44:45], s[10:11]
	s_cbranch_execz .LBB115_13
; %bb.17:                               ;   in Loop: Header=BB115_14 Depth=1
	global_load_dword v4, v[2:3], off
	s_waitcnt vmcnt(0)
	v_mad_i64_i32 v[4:5], s[10:11], v4, s51, 0
	v_lshlrev_b64 v[4:5], 1, v[4:5]
	v_add_co_u32_e32 v4, vcc, v56, v4
	v_addc_co_u32_e32 v5, vcc, v57, v5, vcc
	global_load_dwordx2 v[74:75], v[4:5], off
	global_load_dwordx2 v[48:49], v[4:5], off offset:512
	global_load_dwordx2 v[50:51], v[4:5], off offset:1024
	;; [unrolled: 1-line block ×7, first 2 shown]
	ds_read_b64 v[8:9], v58
	s_waitcnt lgkmcnt(0)
	v_lshrrev_b32_e32 v70, 16, v8
	v_and_b32_e32 v69, 0xffff, v8
	v_add_co_u32_e32 v8, vcc, s52, v4
	s_mov_b64 s[10:11], vcc
	v_add_co_u32_e32 v4, vcc, s53, v4
	v_lshrrev_b32_e32 v72, 16, v9
	v_and_b32_e32 v73, 0xffff, v9
	v_addc_co_u32_e64 v9, s[10:11], 0, v5, s[10:11]
	v_addc_co_u32_e32 v5, vcc, 0, v5, vcc
	global_load_dwordx2 v[34:35], v[8:9], off offset:512
	global_load_dwordx2 v[32:33], v[8:9], off offset:1024
	;; [unrolled: 1-line block ×7, first 2 shown]
	global_load_dwordx2 v[36:37], v[4:5], off offset:-4096
	global_load_dwordx2 v[20:21], v[4:5], off
	global_load_dwordx2 v[18:19], v[4:5], off offset:512
	global_load_dwordx2 v[16:17], v[4:5], off offset:1024
	;; [unrolled: 1-line block ×6, first 2 shown]
	s_nop 0
	global_load_dwordx2 v[4:5], v[4:5], off offset:3584
	;;#ASMSTART
	v_cvt_f32_f16 v69, v69;
	;;#ASMEND
	;;#ASMSTART
	v_cvt_f32_f16 v70, v70;
	;;#ASMEND
	v_cmp_lt_i32_e32 vcc, v66, v67
	s_waitcnt vmcnt(23)
	v_lshrrev_b32_e32 v76, 16, v74
	v_and_b32_e32 v77, 0xffff, v74
	v_lshrrev_b32_e32 v78, 16, v75
	v_and_b32_e32 v79, 0xffff, v75
	;;#ASMSTART
	v_cvt_f32_f16 v77, v77;
	;;#ASMEND
	;;#ASMSTART
	v_cvt_f32_f16 v76, v76;
	;;#ASMEND
	s_waitcnt vmcnt(17)
	v_lshrrev_b32_e32 v89, 16, v40
	v_and_b32_e32 v90, 0xffff, v40
	v_lshrrev_b32_e32 v91, 16, v41
	v_and_b32_e32 v92, 0xffff, v41
	;;#ASMSTART
	v_cvt_f32_f16 v73, v73;
	;;#ASMEND
	;;#ASMSTART
	v_cvt_f32_f16 v72, v72;
	;;#ASMEND
	;; [unrolled: 3-line block ×4, first 2 shown]
	ds_read_b64 v[40:41], v58 offset:8
	v_and_b32_e32 v71, 0xffff, v48
	v_lshrrev_b32_e32 v48, 16, v48
	v_lshrrev_b32_e32 v74, 16, v49
	v_and_b32_e32 v49, 0xffff, v49
	s_waitcnt vmcnt(16)
	v_lshrrev_b32_e32 v93, 16, v38
	v_and_b32_e32 v94, 0xffff, v38
	v_lshrrev_b32_e32 v95, 16, v39
	v_and_b32_e32 v96, 0xffff, v39
	s_waitcnt lgkmcnt(0)
	v_and_b32_e32 v38, 0xffff, v40
	v_lshrrev_b32_e32 v39, 16, v40
	v_lshrrev_b32_e32 v40, 16, v41
	v_and_b32_e32 v41, 0xffff, v41
	v_lshrrev_b32_e32 v85, 16, v42
	v_and_b32_e32 v86, 0xffff, v42
	;; [unrolled: 2-line block ×3, first 2 shown]
	;;#ASMSTART
	v_cvt_f32_f16 v38, v38;
	;;#ASMEND
	;;#ASMSTART
	v_cvt_f32_f16 v39, v39;
	;;#ASMEND
	;; [unrolled: 3-line block ×8, first 2 shown]
	ds_read_b64 v[42:43], v58 offset:16
	v_and_b32_e32 v75, 0xffff, v50
	v_lshrrev_b32_e32 v50, 16, v50
	v_lshrrev_b32_e32 v80, 16, v51
	v_and_b32_e32 v51, 0xffff, v51
	v_mul_f32_e32 v38, v38, v71
	v_mul_f32_e32 v39, v39, v48
	;; [unrolled: 1-line block ×4, first 2 shown]
	s_waitcnt lgkmcnt(0)
	v_lshrrev_b32_e32 v48, 16, v42
	v_and_b32_e32 v42, 0xffff, v42
	v_lshrrev_b32_e32 v49, 16, v43
	v_and_b32_e32 v43, 0xffff, v43
	v_fmac_f32_e32 v38, v69, v77
	v_fmac_f32_e32 v39, v70, v76
	;; [unrolled: 1-line block ×3, first 2 shown]
	;;#ASMSTART
	v_cvt_f32_f16 v69, v42;
	;;#ASMEND
	;;#ASMSTART
	v_cvt_f32_f16 v48, v48;
	;;#ASMEND
	;; [unrolled: 3-line block ×8, first 2 shown]
	ds_read_b64 v[42:43], v58 offset:24
	v_lshrrev_b32_e32 v81, 16, v46
	v_and_b32_e32 v46, 0xffff, v46
	v_lshrrev_b32_e32 v82, 16, v47
	v_and_b32_e32 v47, 0xffff, v47
	v_fmac_f32_e32 v40, v73, v79
	v_fmac_f32_e32 v39, v48, v50
	;; [unrolled: 1-line block ×3, first 2 shown]
	s_waitcnt lgkmcnt(0)
	v_lshrrev_b32_e32 v48, 16, v42
	v_and_b32_e32 v42, 0xffff, v42
	v_lshrrev_b32_e32 v49, 16, v43
	v_and_b32_e32 v43, 0xffff, v43
	v_fmac_f32_e32 v38, v69, v70
	v_fmac_f32_e32 v40, v71, v51
	;;#ASMSTART
	v_cvt_f32_f16 v50, v42;
	;;#ASMEND
	;;#ASMSTART
	v_cvt_f32_f16 v48, v48;
	;;#ASMEND
	;; [unrolled: 3-line block ×8, first 2 shown]
	ds_read_b64 v[42:43], v58 offset:32
	v_lshrrev_b32_e32 v83, 16, v44
	v_and_b32_e32 v44, 0xffff, v44
	v_lshrrev_b32_e32 v84, 16, v45
	v_and_b32_e32 v45, 0xffff, v45
	v_fmac_f32_e32 v38, v50, v46
	v_fmac_f32_e32 v40, v69, v47
	s_waitcnt lgkmcnt(0)
	v_lshrrev_b32_e32 v46, 16, v42
	v_and_b32_e32 v42, 0xffff, v42
	v_lshrrev_b32_e32 v47, 16, v43
	v_and_b32_e32 v43, 0xffff, v43
	v_fmac_f32_e32 v39, v48, v51
	v_fmac_f32_e32 v41, v49, v70
	;;#ASMSTART
	v_cvt_f32_f16 v48, v42;
	;;#ASMEND
	;;#ASMSTART
	v_cvt_f32_f16 v46, v46;
	;;#ASMEND
	;;#ASMSTART
	v_cvt_f32_f16 v44, v44;
	;;#ASMEND
	;;#ASMSTART
	v_cvt_f32_f16 v49, v83;
	;;#ASMEND
	;;#ASMSTART
	v_cvt_f32_f16 v50, v43;
	;;#ASMEND
	;;#ASMSTART
	v_cvt_f32_f16 v47, v47;
	;;#ASMEND
	;;#ASMSTART
	v_cvt_f32_f16 v45, v45;
	;;#ASMEND
	;;#ASMSTART
	v_cvt_f32_f16 v51, v84;
	;;#ASMEND
	ds_read_b64 v[42:43], v58 offset:40
	v_fmac_f32_e32 v38, v48, v44
	v_fmac_f32_e32 v40, v50, v45
	v_fmac_f32_e32 v39, v46, v49
	v_fmac_f32_e32 v41, v47, v51
	s_waitcnt lgkmcnt(0)
	v_lshrrev_b32_e32 v44, 16, v42
	v_and_b32_e32 v42, 0xffff, v42
	v_lshrrev_b32_e32 v45, 16, v43
	v_and_b32_e32 v43, 0xffff, v43
	;;#ASMSTART
	v_cvt_f32_f16 v46, v42;
	;;#ASMEND
	;;#ASMSTART
	v_cvt_f32_f16 v44, v44;
	;;#ASMEND
	;;#ASMSTART
	v_cvt_f32_f16 v47, v86;
	;;#ASMEND
	;;#ASMSTART
	v_cvt_f32_f16 v48, v85;
	;;#ASMEND
	;;#ASMSTART
	v_cvt_f32_f16 v49, v43;
	;;#ASMEND
	;;#ASMSTART
	v_cvt_f32_f16 v45, v45;
	;;#ASMEND
	;;#ASMSTART
	v_cvt_f32_f16 v50, v88;
	;;#ASMEND
	;;#ASMSTART
	v_cvt_f32_f16 v51, v87;
	;;#ASMEND
	ds_read_b64 v[42:43], v58 offset:48
	v_fmac_f32_e32 v39, v44, v48
	v_fmac_f32_e32 v41, v45, v51
	v_fmac_f32_e32 v38, v46, v47
	v_fmac_f32_e32 v40, v49, v50
	s_waitcnt lgkmcnt(0)
	v_lshrrev_b32_e32 v44, 16, v42
	v_and_b32_e32 v42, 0xffff, v42
	v_lshrrev_b32_e32 v45, 16, v43
	v_and_b32_e32 v43, 0xffff, v43
	;; [unrolled: 34-line block ×3, first 2 shown]
	;;#ASMSTART
	v_cvt_f32_f16 v46, v42;
	;;#ASMEND
	;;#ASMSTART
	v_cvt_f32_f16 v44, v44;
	;;#ASMEND
	;; [unrolled: 3-line block ×8, first 2 shown]
	ds_read_b64 v[42:43], v58 offset:64
	v_fmac_f32_e32 v39, v44, v48
	v_fmac_f32_e32 v41, v45, v51
	s_waitcnt vmcnt(8)
	v_lshrrev_b32_e32 v45, 16, v36
	v_and_b32_e32 v36, 0xffff, v36
	s_waitcnt lgkmcnt(0)
	v_lshrrev_b32_e32 v44, 16, v42
	v_and_b32_e32 v42, 0xffff, v42
	v_fmac_f32_e32 v38, v46, v47
	;;#ASMSTART
	v_cvt_f32_f16 v42, v42;
	;;#ASMEND
	;;#ASMSTART
	v_cvt_f32_f16 v44, v44;
	;;#ASMEND
	;;#ASMSTART
	v_cvt_f32_f16 v46, v36;
	;;#ASMEND
	v_lshrrev_b32_e32 v36, 16, v43
	v_and_b32_e32 v43, 0xffff, v43
	;;#ASMSTART
	v_cvt_f32_f16 v45, v45;
	;;#ASMEND
	;;#ASMSTART
	v_cvt_f32_f16 v43, v43;
	;;#ASMEND
	;;#ASMSTART
	v_cvt_f32_f16 v47, v36;
	;;#ASMEND
	v_lshrrev_b32_e32 v36, 16, v37
	v_and_b32_e32 v37, 0xffff, v37
	v_fmac_f32_e32 v40, v49, v50
	;;#ASMSTART
	v_cvt_f32_f16 v48, v37;
	;;#ASMEND
	;;#ASMSTART
	v_cvt_f32_f16 v49, v36;
	;;#ASMEND
	ds_read_b64 v[36:37], v58 offset:72
	v_fmac_f32_e32 v38, v42, v46
	v_fmac_f32_e32 v40, v43, v48
	v_lshrrev_b32_e32 v43, 16, v34
	v_and_b32_e32 v34, 0xffff, v34
	s_waitcnt lgkmcnt(0)
	v_lshrrev_b32_e32 v42, 16, v36
	v_and_b32_e32 v36, 0xffff, v36
	v_fmac_f32_e32 v39, v44, v45
	;;#ASMSTART
	v_cvt_f32_f16 v36, v36;
	;;#ASMEND
	;;#ASMSTART
	v_cvt_f32_f16 v42, v42;
	;;#ASMEND
	;;#ASMSTART
	v_cvt_f32_f16 v44, v34;
	;;#ASMEND
	v_lshrrev_b32_e32 v34, 16, v37
	v_and_b32_e32 v37, 0xffff, v37
	;;#ASMSTART
	v_cvt_f32_f16 v43, v43;
	;;#ASMEND
	;;#ASMSTART
	v_cvt_f32_f16 v37, v37;
	;;#ASMEND
	;;#ASMSTART
	v_cvt_f32_f16 v45, v34;
	;;#ASMEND
	v_lshrrev_b32_e32 v34, 16, v35
	v_and_b32_e32 v35, 0xffff, v35
	v_fmac_f32_e32 v41, v47, v49
	;;#ASMSTART
	v_cvt_f32_f16 v46, v35;
	;;#ASMEND
	;;#ASMSTART
	v_cvt_f32_f16 v47, v34;
	;;#ASMEND
	ds_read_b64 v[34:35], v58 offset:80
	v_fmac_f32_e32 v38, v36, v44
	v_fmac_f32_e32 v40, v37, v46
	;; [unrolled: 38-line block ×8, first 2 shown]
	s_waitcnt vmcnt(7)
	v_lshrrev_b32_e32 v25, 16, v20
	v_and_b32_e32 v20, 0xffff, v20
	s_waitcnt lgkmcnt(0)
	v_lshrrev_b32_e32 v24, 16, v22
	v_and_b32_e32 v22, 0xffff, v22
	v_fmac_f32_e32 v39, v26, v27
	;;#ASMSTART
	v_cvt_f32_f16 v22, v22;
	;;#ASMEND
	;;#ASMSTART
	v_cvt_f32_f16 v24, v24;
	;;#ASMEND
	;;#ASMSTART
	v_cvt_f32_f16 v26, v20;
	;;#ASMEND
	v_lshrrev_b32_e32 v20, 16, v23
	v_and_b32_e32 v23, 0xffff, v23
	;;#ASMSTART
	v_cvt_f32_f16 v25, v25;
	;;#ASMEND
	;;#ASMSTART
	v_cvt_f32_f16 v23, v23;
	;;#ASMEND
	;;#ASMSTART
	v_cvt_f32_f16 v27, v20;
	;;#ASMEND
	v_lshrrev_b32_e32 v20, 16, v21
	v_and_b32_e32 v21, 0xffff, v21
	v_fmac_f32_e32 v41, v29, v31
	;;#ASMSTART
	v_cvt_f32_f16 v28, v21;
	;;#ASMEND
	;;#ASMSTART
	v_cvt_f32_f16 v29, v20;
	;;#ASMEND
	ds_read_b64 v[20:21], v58 offset:136
	v_fmac_f32_e32 v38, v22, v26
	v_fmac_f32_e32 v40, v23, v28
	s_waitcnt vmcnt(6)
	v_lshrrev_b32_e32 v23, 16, v18
	v_and_b32_e32 v18, 0xffff, v18
	s_waitcnt lgkmcnt(0)
	v_lshrrev_b32_e32 v22, 16, v20
	v_and_b32_e32 v20, 0xffff, v20
	v_fmac_f32_e32 v39, v24, v25
	;;#ASMSTART
	v_cvt_f32_f16 v20, v20;
	;;#ASMEND
	;;#ASMSTART
	v_cvt_f32_f16 v22, v22;
	;;#ASMEND
	;;#ASMSTART
	v_cvt_f32_f16 v24, v18;
	;;#ASMEND
	v_lshrrev_b32_e32 v18, 16, v21
	v_and_b32_e32 v21, 0xffff, v21
	;;#ASMSTART
	v_cvt_f32_f16 v23, v23;
	;;#ASMEND
	;;#ASMSTART
	v_cvt_f32_f16 v21, v21;
	;;#ASMEND
	;;#ASMSTART
	v_cvt_f32_f16 v25, v18;
	;;#ASMEND
	v_lshrrev_b32_e32 v18, 16, v19
	v_and_b32_e32 v19, 0xffff, v19
	v_fmac_f32_e32 v41, v27, v29
	;;#ASMSTART
	v_cvt_f32_f16 v26, v19;
	;;#ASMEND
	;;#ASMSTART
	v_cvt_f32_f16 v27, v18;
	;;#ASMEND
	ds_read_b64 v[18:19], v58 offset:144
	v_fmac_f32_e32 v38, v20, v24
	v_fmac_f32_e32 v40, v21, v26
	;; [unrolled: 39-line block ×7, first 2 shown]
	s_waitcnt vmcnt(0)
	v_lshrrev_b32_e32 v11, 16, v4
	v_and_b32_e32 v4, 0xffff, v4
	s_waitcnt lgkmcnt(0)
	v_lshrrev_b32_e32 v10, 16, v8
	v_and_b32_e32 v8, 0xffff, v8
	;;#ASMSTART
	v_cvt_f32_f16 v8, v8;
	;;#ASMEND
	;;#ASMSTART
	v_cvt_f32_f16 v10, v10;
	;;#ASMEND
	;; [unrolled: 3-line block ×3, first 2 shown]
	v_fmac_f32_e32 v39, v12, v13
	v_fmac_f32_e32 v38, v8, v4
	v_lshrrev_b32_e32 v4, 16, v9
	v_and_b32_e32 v8, 0xffff, v9
	v_fmac_f32_e32 v41, v15, v17
	;;#ASMSTART
	v_cvt_f32_f16 v11, v11;
	;;#ASMEND
	v_fmac_f32_e32 v39, v10, v11
	;;#ASMSTART
	v_cvt_f32_f16 v8, v8;
	;;#ASMEND
	;;#ASMSTART
	v_cvt_f32_f16 v4, v4;
	;;#ASMEND
	v_lshrrev_b32_e32 v9, 16, v5
	v_and_b32_e32 v5, 0xffff, v5
	;;#ASMSTART
	v_cvt_f32_f16 v5, v5;
	;;#ASMEND
	;;#ASMSTART
	v_cvt_f32_f16 v9, v9;
	;;#ASMEND
	v_fmac_f32_e32 v40, v8, v5
	v_fmac_f32_e32 v41, v4, v9
	v_add_f32_e32 v4, v38, v39
	v_add_f32_e32 v4, v4, v40
	v_cndmask_b32_e32 v5, v65, v66, vcc
	v_add_f32_e32 v4, v41, v4
	v_lshlrev_b32_e32 v5, 2, v5
	ds_bpermute_b32 v5, v5, v4
	s_and_saveexec_b64 s[10:11], s[2:3]
	s_cbranch_execz .LBB115_12
; %bb.18:                               ;   in Loop: Header=BB115_14 Depth=1
	v_add_u32_e32 v8, v63, v61
	v_cvt_f32_i32_e32 v8, v8
	s_waitcnt lgkmcnt(0)
	v_add_f32_e32 v4, v4, v5
	v_add_u32_e32 v9, v55, v61
	v_cmp_gt_i32_e32 vcc, s29, v9
	v_mul_f32_e32 v5, s49, v8
	v_cndmask_b32_e64 v5, 0, v5, s[4:5]
	v_fmac_f32_e32 v5, s39, v4
	v_cndmask_b32_e32 v4, 0, v5, vcc
	ds_write_b32 v62, v4
	v_max_f32_e32 v4, v60, v60
	v_max_f32_e32 v4, v4, v5
	v_cndmask_b32_e32 v60, v60, v4, vcc
	s_branch .LBB115_12
.LBB115_19:
	s_or_b64 exec, exec, s[42:43]
.LBB115_20:
	s_or_b64 exec, exec, s[40:41]
	v_mbcnt_hi_u32_b32 v4, -1, v54
	v_and_b32_e32 v2, 64, v4
	v_add_u32_e32 v11, 64, v2
	v_xor_b32_e32 v2, 32, v4
	v_cmp_lt_i32_e32 vcc, v2, v11
	v_cndmask_b32_e32 v2, v4, v2, vcc
	v_lshlrev_b32_e32 v2, 2, v2
	ds_bpermute_b32 v3, v2, v60
	v_xor_b32_e32 v8, 16, v4
	s_waitcnt lgkmcnt(1)
	v_max_f32_e32 v5, v60, v60
	v_cmp_lt_i32_e32 vcc, v8, v11
	v_xor_b32_e32 v9, 8, v4
	s_waitcnt lgkmcnt(0)
	v_max_f32_e32 v3, v3, v3
	v_max_f32_e32 v5, v5, v3
	v_cndmask_b32_e32 v3, v4, v8, vcc
	v_lshlrev_b32_e32 v3, 2, v3
	ds_bpermute_b32 v8, v3, v5
	v_cmp_lt_i32_e32 vcc, v9, v11
	v_xor_b32_e32 v10, 4, v4
	v_xor_b32_e32 v12, 2, v4
	v_and_b32_e32 v24, 63, v0
	s_waitcnt lgkmcnt(0)
	v_max_f32_e32 v8, v8, v8
	v_max_f32_e32 v8, v5, v8
	v_cndmask_b32_e32 v5, v4, v9, vcc
	v_lshlrev_b32_e32 v5, 2, v5
	ds_bpermute_b32 v9, v5, v8
	v_cmp_lt_i32_e32 vcc, v10, v11
	s_waitcnt lgkmcnt(0)
	v_max_f32_e32 v9, v9, v9
	v_max_f32_e32 v9, v8, v9
	v_cndmask_b32_e32 v8, v4, v10, vcc
	v_lshlrev_b32_e32 v8, 2, v8
	ds_bpermute_b32 v10, v8, v9
	v_cmp_lt_i32_e32 vcc, v12, v11
	s_waitcnt lgkmcnt(0)
	v_max_f32_e32 v10, v10, v10
	v_max_f32_e32 v10, v9, v10
	v_cndmask_b32_e32 v9, v4, v12, vcc
	v_lshlrev_b32_e32 v25, 2, v9
	ds_bpermute_b32 v12, v25, v10
	v_cmp_eq_u32_e32 vcc, 0, v24
	v_lshlrev_b32_e32 v9, 2, v53
	s_and_saveexec_b64 s[2:3], vcc
	s_cbranch_execz .LBB115_22
; %bb.21:
	s_waitcnt lgkmcnt(0)
	v_max_f32_e32 v12, v12, v12
	v_max_f32_e32 v10, v10, v10
	;; [unrolled: 1-line block ×3, first 2 shown]
	ds_write_b32 v9, v10 offset:384
.LBB115_22:
	s_or_b64 exec, exec, s[2:3]
	v_cmp_gt_u32_e64 s[2:3], 2, v24
	s_waitcnt lgkmcnt(0)
	v_mov_b32_e32 v12, 0xff7fffff
	v_lshlrev_b32_e32 v10, 2, v24
	s_barrier
	s_and_saveexec_b64 s[4:5], s[2:3]
	s_cbranch_execz .LBB115_24
; %bb.23:
	ds_read_b32 v12, v10 offset:384
.LBB115_24:
	s_or_b64 exec, exec, s[4:5]
	v_xor_b32_e32 v13, 1, v4
	v_cmp_lt_i32_e64 s[4:5], v13, v11
	v_cndmask_b32_e64 v11, v4, v13, s[4:5]
	v_lshlrev_b32_e32 v26, 2, v11
	s_waitcnt lgkmcnt(0)
	ds_bpermute_b32 v11, v26, v12
	v_max_f32_e32 v12, v12, v12
	v_lshlrev_b32_e32 v4, 2, v4
	s_sub_i32 s4, s47, s38
	s_lshl_b32 s4, s4, 5
	s_waitcnt lgkmcnt(0)
	v_max_f32_e32 v11, v11, v11
	v_max_f32_e32 v12, v12, v11
	v_and_b32_e32 v11, 0x100, v4
	ds_bpermute_b32 v4, v11, v12
	s_add_i32 s4, s4, s48
	s_min_i32 s42, s4, s29
	s_sub_i32 s15, s42, s48
	v_cmp_gt_i32_e64 s[4:5], s15, v0
	v_mov_b32_e32 v12, 0
	s_and_saveexec_b64 s[38:39], s[4:5]
	s_cbranch_execz .LBB115_28
; %bb.25:
	v_mov_b32_e32 v12, 0x190
	v_lshl_add_u32 v13, v0, 2, v12
	s_mov_b64 s[40:41], 0
	v_mov_b32_e32 v12, 0
	v_mov_b32_e32 v14, v0
.LBB115_26:                             ; =>This Inner Loop Header: Depth=1
	ds_read_b32 v15, v13
	v_add_u32_e32 v14, 0x80, v14
	v_cmp_le_i32_e64 s[10:11], s15, v14
	s_or_b64 s[40:41], s[10:11], s[40:41]
	s_waitcnt lgkmcnt(0)
	v_sub_f32_e32 v15, v15, v4
	v_mul_f32_e32 v15, 0x3fb8aa3b, v15
	v_exp_f32_e32 v15, v15
	ds_write_b32 v13, v15
	v_add_f32_e32 v12, v12, v15
	v_add_u32_e32 v13, 0x200, v13
	s_andn2_b64 exec, exec, s[40:41]
	s_cbranch_execnz .LBB115_26
; %bb.27:
	s_or_b64 exec, exec, s[40:41]
.LBB115_28:
	s_or_b64 exec, exec, s[38:39]
	ds_bpermute_b32 v2, v2, v12
	s_waitcnt lgkmcnt(0)
	v_add_f32_e32 v2, v12, v2
	ds_bpermute_b32 v3, v3, v2
	s_waitcnt lgkmcnt(0)
	v_add_f32_e32 v2, v2, v3
	;; [unrolled: 3-line block ×6, first 2 shown]
	s_and_saveexec_b64 s[10:11], vcc
	s_cbranch_execz .LBB115_30
; %bb.29:
	ds_write_b32 v9, v2 offset:392
.LBB115_30:
	s_or_b64 exec, exec, s[10:11]
	s_waitcnt lgkmcnt(0)
	s_barrier
	s_and_saveexec_b64 s[10:11], s[2:3]
	s_cbranch_execz .LBB115_32
; %bb.31:
	ds_read_b32 v2, v10 offset:392
.LBB115_32:
	s_or_b64 exec, exec, s[10:11]
	s_waitcnt lgkmcnt(0)
	ds_bpermute_b32 v3, v26, v2
	s_waitcnt lgkmcnt(0)
	v_add_f32_e32 v2, v2, v3
	ds_bpermute_b32 v5, v11, v2
	s_and_saveexec_b64 s[2:3], s[4:5]
	s_cbranch_execz .LBB115_45
; %bb.33:
	s_waitcnt lgkmcnt(0)
	v_add_f32_e32 v2, 0x358637bd, v5
	v_div_scale_f32 v3, s[4:5], v2, v2, 1.0
	v_rcp_f32_e32 v8, v3
	v_div_scale_f32 v9, vcc, 1.0, v2, 1.0
	s_movk_i32 s4, 0x7f
	v_fma_f32 v10, -v3, v8, 1.0
	v_fmac_f32_e32 v8, v10, v8
	v_mul_f32_e32 v10, v9, v8
	v_fma_f32 v11, -v3, v10, v9
	v_fmac_f32_e32 v10, v11, v8
	v_fma_f32 v3, -v3, v10, v9
	v_div_fmas_f32 v3, v3, v8, v10
	v_div_fixup_f32 v2, v3, v2, 1.0
	v_xad_u32 v3, v0, -1, s42
	v_subrev_u32_e32 v8, s48, v3
	v_cmp_lt_u32_e32 vcc, s4, v8
	s_mov_b64 s[10:11], -1
	v_mov_b32_e32 v3, v0
	s_and_saveexec_b64 s[4:5], vcc
	s_cbranch_execz .LBB115_42
; %bb.34:
	v_lshrrev_b32_e32 v8, 7, v8
	v_add_u32_e32 v10, -1, v8
	v_lshrrev_b32_e32 v9, 1, v10
	v_mov_b32_e32 v3, v2
	v_add_u32_e32 v9, 1, v9
	v_cmp_lt_u32_e32 vcc, 13, v10
	v_mov_b32_e32 v12, 0
	s_and_saveexec_b64 s[10:11], vcc
	s_cbranch_execz .LBB115_38
; %bb.35:
	v_mov_b32_e32 v11, 0x190
	v_and_b32_e32 v10, -8, v9
	v_lshl_add_u32 v11, v0, 2, v11
	s_mov_b32 s40, 0
	s_mov_b64 s[38:39], 0
.LBB115_36:                             ; =>This Inner Loop Header: Depth=1
	ds_read2st64_b32 v[12:13], v11 offset1:2
	ds_read2st64_b32 v[14:15], v11 offset0:4 offset1:6
	ds_read2st64_b32 v[16:17], v11 offset0:8 offset1:10
	;; [unrolled: 1-line block ×3, first 2 shown]
	v_add_u32_e32 v10, -8, v10
	s_waitcnt lgkmcnt(3)
	v_pk_mul_f32 v[12:13], v[2:3], v[12:13]
	s_waitcnt lgkmcnt(2)
	v_pk_mul_f32 v[14:15], v[2:3], v[14:15]
	ds_write2st64_b32 v11, v12, v13 offset1:2
	ds_write2st64_b32 v11, v14, v15 offset0:4 offset1:6
	ds_read2st64_b32 v[14:15], v11 offset0:16 offset1:18
	s_waitcnt lgkmcnt(4)
	v_pk_mul_f32 v[12:13], v[2:3], v[16:17]
	ds_write2st64_b32 v11, v12, v13 offset0:8 offset1:10
	s_waitcnt lgkmcnt(4)
	v_pk_mul_f32 v[12:13], v[2:3], v[18:19]
	ds_write2st64_b32 v11, v12, v13 offset0:12 offset1:14
	ds_read2st64_b32 v[12:13], v11 offset0:20 offset1:22
	s_waitcnt lgkmcnt(3)
	v_pk_mul_f32 v[14:15], v[2:3], v[14:15]
	ds_read2st64_b32 v[16:17], v11 offset0:24 offset1:26
	ds_write2st64_b32 v11, v14, v15 offset0:16 offset1:18
	ds_read2st64_b32 v[14:15], v11 offset0:28 offset1:30
	s_waitcnt lgkmcnt(3)
	v_pk_mul_f32 v[12:13], v[2:3], v[12:13]
	ds_write2st64_b32 v11, v12, v13 offset0:20 offset1:22
	s_waitcnt lgkmcnt(3)
	v_pk_mul_f32 v[12:13], v[2:3], v[16:17]
	ds_write2st64_b32 v11, v12, v13 offset0:24 offset1:26
	s_waitcnt lgkmcnt(2)
	v_pk_mul_f32 v[12:13], v[2:3], v[14:15]
	s_add_i32 s40, s40, 16
	v_cmp_eq_u32_e32 vcc, 0, v10
	ds_write2st64_b32 v11, v12, v13 offset0:28 offset1:30
	v_add_u32_e32 v11, 0x2000, v11
	s_or_b64 s[38:39], vcc, s[38:39]
	v_mov_b32_e32 v12, s40
	s_andn2_b64 exec, exec, s[38:39]
	s_cbranch_execnz .LBB115_36
; %bb.37:
	s_or_b64 exec, exec, s[38:39]
.LBB115_38:
	s_or_b64 exec, exec, s[10:11]
	v_and_b32_e32 v9, 7, v9
	v_cmp_ne_u32_e32 vcc, 0, v9
	s_and_saveexec_b64 s[10:11], vcc
	s_cbranch_execz .LBB115_41
; %bb.39:
	v_lshlrev_b32_e32 v10, 9, v12
	v_lshlrev_b32_e32 v11, 2, v0
	s_movk_i32 s38, 0x190
	v_add3_u32 v10, v10, v11, s38
	s_mov_b64 s[38:39], 0
.LBB115_40:                             ; =>This Inner Loop Header: Depth=1
	ds_read2st64_b32 v[12:13], v10 offset1:2
	v_add_u32_e32 v9, -1, v9
	v_cmp_eq_u32_e32 vcc, 0, v9
	s_or_b64 s[38:39], vcc, s[38:39]
	s_waitcnt lgkmcnt(0)
	v_pk_mul_f32 v[12:13], v[2:3], v[12:13]
	ds_write2st64_b32 v10, v12, v13 offset1:2
	v_add_u32_e32 v10, 0x400, v10
	s_andn2_b64 exec, exec, s[38:39]
	s_cbranch_execnz .LBB115_40
.LBB115_41:
	s_or_b64 exec, exec, s[10:11]
	v_add_u32_e32 v8, 1, v8
	v_and_b32_e32 v9, 0x3fffffe, v8
	v_cmp_ne_u32_e32 vcc, v8, v9
	v_lshl_add_u32 v3, v9, 7, v0
	s_orn2_b64 s[10:11], vcc, exec
.LBB115_42:
	s_or_b64 exec, exec, s[4:5]
	s_and_b64 exec, exec, s[10:11]
	s_cbranch_execz .LBB115_45
; %bb.43:
	v_mov_b32_e32 v8, 0x190
	v_lshl_add_u32 v8, v3, 2, v8
	s_mov_b64 s[4:5], 0
.LBB115_44:                             ; =>This Inner Loop Header: Depth=1
	ds_read_b32 v9, v8
	v_add_u32_e32 v3, 0x80, v3
	v_cmp_le_i32_e32 vcc, s15, v3
	s_or_b64 s[4:5], vcc, s[4:5]
	s_waitcnt lgkmcnt(0)
	v_mul_f32_e32 v9, v2, v9
	ds_write_b32 v8, v9
	v_add_u32_e32 v8, 0x200, v8
	s_andn2_b64 exec, exec, s[4:5]
	s_cbranch_execnz .LBB115_44
.LBB115_45:
	s_or_b64 exec, exec, s[2:3]
	s_mul_i32 s2, s16, s28
	v_cmp_eq_u32_e32 vcc, 0, v0
	s_mul_i32 s2, s2, s9
	s_waitcnt lgkmcnt(0)
	s_barrier
	s_and_saveexec_b64 s[4:5], vcc
	s_cbranch_execz .LBB115_47
; %bb.46:
	s_ashr_i32 s3, s2, 31
	s_lshl_b64 s[10:11], s[2:3], 2
	s_add_u32 s3, s22, s10
	s_mul_i32 s22, s16, s6
	s_addc_u32 s9, s23, s11
	s_ashr_i32 s23, s22, 31
	s_lshl_b64 s[22:23], s[22:23], 2
	s_add_u32 s3, s3, s22
	s_addc_u32 s6, s9, s23
	s_ashr_i32 s9, s8, 31
	s_lshl_b64 s[38:39], s[8:9], 2
	s_add_u32 s40, s3, s38
	s_addc_u32 s41, s6, s39
	s_add_u32 s3, s20, s10
	s_addc_u32 s6, s21, s11
	;; [unrolled: 2-line block ×3, first 2 shown]
	s_add_u32 s10, s3, s38
	v_mov_b32_e32 v2, 0
	s_addc_u32 s11, s6, s39
	global_store_dword v2, v4, s[40:41]
	global_store_dword v2, v5, s[10:11]
.LBB115_47:
	s_or_b64 exec, exec, s[4:5]
	v_mov_b32_e32 v11, 0
	v_and_b32_e32 v27, 3, v0
	v_mov_b32_e32 v10, 0
	v_mov_b32_e32 v13, 0
	;; [unrolled: 1-line block ×11, first 2 shown]
	s_and_saveexec_b64 s[4:5], s[0:1]
	s_cbranch_execz .LBB115_77
; %bb.48:
	s_ashr_i32 s15, s14, 31
	s_sub_i32 s3, s12, s17
	s_lshl_b64 s[0:1], s[14:15], 1
	s_add_u32 s14, s36, s0
	s_addc_u32 s15, s37, s1
	s_abs_i32 s18, s18
	v_cvt_f32_u32_e32 v3, s18
	s_sub_i32 s0, 0, s18
	s_add_i32 s17, s7, -1
	v_lshlrev_b64 v[20:21], 2, v[6:7]
	v_rcp_iflag_f32_e32 v3, v3
	v_and_b32_e32 v2, 0x1f8, v52
	v_mov_b32_e32 v8, 0
	v_or_b32_e32 v4, 0x800, v2
	v_mul_f32_e32 v3, 0x4f7ffffe, v3
	v_cvt_u32_f32_e32 v3, v3
	v_or_b32_e32 v10, 0xa00, v2
	v_or_b32_e32 v12, 0xc00, v2
	;; [unrolled: 1-line block ×3, first 2 shown]
	v_mul_lo_u32 v5, s0, v3
	s_lshl_b64 s[0:1], s[34:35], 2
	s_add_u32 s0, s30, s0
	v_mul_hi_u32 v5, v3, v5
	s_addc_u32 s1, s31, s1
	v_add_u32_e32 v29, v3, v5
	v_mov_b32_e32 v3, s1
	v_add_co_u32_e32 v20, vcc, s0, v20
	v_addc_co_u32_e32 v21, vcc, v3, v21, vcc
	v_lshlrev_b32_e32 v3, 5, v27
	v_or_b32_e32 v16, 0x1000, v2
	v_or_b32_e32 v18, 0x1200, v2
	;; [unrolled: 1-line block ×4, first 2 shown]
	v_lshl_or_b32 v3, v53, 7, v3
	v_and_b32_e32 v28, 24, v52
	s_mov_b32 s9, s13
	s_mov_b32 s20, s29
	;; [unrolled: 1-line block ×8, first 2 shown]
	v_add_u32_e32 v7, 0x190, v3
	s_mov_b64 s[6:7], 0
	v_lshlrev_b32_e32 v30, 1, v2
	s_mov_b32 s30, 0x5040100
	v_lshlrev_b32_e32 v31, 1, v4
	v_lshlrev_b32_e32 v32, 1, v10
	;; [unrolled: 1-line block ×8, first 2 shown]
	v_mov_b32_e32 v9, v8
	v_mov_b32_e32 v18, v8
	;; [unrolled: 1-line block ×11, first 2 shown]
	s_branch .LBB115_51
.LBB115_49:                             ;   in Loop: Header=BB115_51 Depth=1
	s_or_b64 exec, exec, s[0:1]
	v_add_f32_e32 v39, v71, v72
	s_waitcnt vmcnt(0)
	;;#ASMSTART
	v_pk_mul_f16 v2, v48, v2;

	;;#ASMEND
	v_add_f32_e32 v10, v10, v39
	v_add_f32_e32 v39, v69, v70
	;;#ASMSTART
	v_pk_mul_f16 v3, v47, v3;

	;;#ASMEND
	;;#ASMSTART
	v_pk_mul_f16 v4, v46, v4;

	;;#ASMEND
	;; [unrolled: 4-line block ×3, first 2 shown]
	;;#ASMSTART
	v_pk_add_f16 v2, v2, v3;

	;;#ASMEND
	v_add_f32_e32 v13, v13, v39
	v_add_f32_e32 v39, v67, v68
	;;#ASMSTART
	v_pk_add_f16 v2, v2, v4;

	;;#ASMEND
	v_add_f32_e32 v12, v12, v39
	v_add_f32_e32 v39, v65, v66
	;; [unrolled: 1-line block ×3, first 2 shown]
	;;#ASMSTART
	v_pk_add_f16 v2, v2, v5;

	;;#ASMEND
	v_add_f32_e32 v15, v15, v39
	v_add_f32_e32 v39, v63, v64
	v_add_f32_e32 v19, v19, v22
	v_add_f32_e32 v22, v57, v58
	v_lshrrev_b32_e32 v3, 16, v2
	v_and_b32_e32 v2, 0xffff, v2
	v_add_f32_e32 v14, v14, v39
	v_add_f32_e32 v39, v61, v62
	;; [unrolled: 1-line block ×4, first 2 shown]
	;;#ASMSTART
	v_cvt_f32_f16 v2, v2;
	;;#ASMEND
	v_add_f32_e32 v17, v17, v39
	v_add_f32_e32 v39, v59, v60
	;; [unrolled: 1-line block ×4, first 2 shown]
	;;#ASMSTART
	v_cvt_f32_f16 v3, v3;
	;;#ASMEND
	v_add_f32_e32 v2, v2, v3
	v_add_f32_e32 v16, v16, v39
	;; [unrolled: 1-line block ×4, first 2 shown]
.LBB115_50:                             ;   in Loop: Header=BB115_51 Depth=1
	s_or_b64 exec, exec, s[10:11]
	v_add_co_u32_e32 v20, vcc, 8, v20
	v_add_u32_e32 v6, 2, v6
	v_addc_co_u32_e32 v21, vcc, 0, v21, vcc
	v_cmp_le_i32_e32 vcc, s47, v6
	v_add_u32_e32 v1, 64, v1
	s_or_b64 s[6:7], vcc, s[6:7]
	v_add_u32_e32 v7, 0x100, v7
	s_andn2_b64 exec, exec, s[6:7]
	s_cbranch_execz .LBB115_76
.LBB115_51:                             ; =>This Inner Loop Header: Depth=1
	v_sub_u32_e32 v3, 0, v1
	v_max_i32_e32 v3, v1, v3
	v_mul_hi_u32 v4, v3, s33
	v_mul_lo_u32 v5, v4, s25
	v_sub_u32_e32 v3, v3, v5
	v_add_u32_e32 v5, 1, v4
	v_cmp_le_u32_e32 vcc, s25, v3
	v_cndmask_b32_e32 v4, v4, v5, vcc
	v_subrev_u32_e32 v5, s25, v3
	v_cndmask_b32_e32 v3, v3, v5, vcc
	v_ashrrev_i32_e32 v2, 31, v1
	v_add_u32_e32 v5, 1, v4
	v_cmp_le_u32_e32 vcc, s25, v3
	v_xor_b32_e32 v2, s19, v2
	v_cndmask_b32_e32 v3, v4, v5, vcc
	v_xor_b32_e32 v3, v3, v2
	v_sub_u32_e32 v2, v3, v2
	v_add_u32_e32 v3, s46, v2
	v_sub_u32_e32 v5, 0, v3
	v_ashrrev_i32_e32 v4, 31, v3
	v_max_i32_e32 v3, v3, v5
	v_mul_hi_u32 v5, v3, v29
	v_mul_lo_u32 v5, v5, s18
	v_sub_u32_e32 v3, v3, v5
	v_subrev_u32_e32 v5, s18, v3
	v_cmp_le_u32_e32 vcc, s18, v3
	v_cndmask_b32_e32 v3, v3, v5, vcc
	v_subrev_u32_e32 v5, s18, v3
	v_cmp_le_u32_e32 vcc, s18, v3
	v_cndmask_b32_e32 v3, v3, v5, vcc
	v_xor_b32_e32 v3, v3, v4
	v_sub_u32_e32 v3, v3, v4
	v_cmp_eq_u32_e32 vcc, 0, v3
	v_cmp_lt_i32_e64 s[0:1], s3, v2
	s_or_b64 s[0:1], vcc, s[0:1]
	s_and_saveexec_b64 s[10:11], s[0:1]
	s_cbranch_execz .LBB115_50
; %bb.52:                               ;   in Loop: Header=BB115_51 Depth=1
	global_load_dword v22, v[20:21], off
	ds_read2_b64 v[2:5], v7 offset1:1
	ds_read2_b64 v[40:43], v7 offset0:2 offset1:3
	v_mov_b32_e32 v23, s15
	v_add_u32_e32 v39, v28, v1
	s_waitcnt lgkmcnt(1)
	;;#ASMSTART
	v_cvt_f16_f32 v45, v2;

	;;#ASMEND
	;;#ASMSTART
	v_cvt_f16_f32 v46, v3;

	;;#ASMEND
	;; [unrolled: 4-line block ×4, first 2 shown]
	s_waitcnt lgkmcnt(0)
	;;#ASMSTART
	v_cvt_f16_f32 v54, v40;

	;;#ASMEND
	;;#ASMSTART
	v_cvt_f16_f32 v55, v41;

	;;#ASMEND
	;; [unrolled: 4-line block ×4, first 2 shown]
	v_add_u32_e32 v40, 1, v39
	v_or_b32_e32 v42, 3, v39
	v_or_b32_e32 v41, 2, v39
	;; [unrolled: 1-line block ×6, first 2 shown]
	s_waitcnt vmcnt(0)
	v_mad_i64_i32 v[2:3], s[0:1], v22, s9, 0
	v_lshlrev_b64 v[2:3], 1, v[2:3]
	v_add_co_u32_e32 v51, vcc, s14, v2
	v_addc_co_u32_e32 v52, vcc, v23, v3, vcc
	v_add_co_u32_e32 v22, vcc, v51, v30
	v_addc_co_u32_e32 v23, vcc, 0, v52, vcc
	global_load_dwordx4 v[2:5], v[22:23], off
	v_cmp_eq_u32_e32 vcc, s17, v6
	s_and_saveexec_b64 s[12:13], vcc
	s_cbranch_execz .LBB115_54
; %bb.53:                               ;   in Loop: Header=BB115_51 Depth=1
	s_waitcnt vmcnt(0)
	v_lshrrev_b32_e32 v48, 16, v5
	v_cmp_gt_i32_e64 s[0:1], s37, v50
	v_cndmask_b32_e64 v48, 0, v48, s[0:1]
	v_cmp_gt_i32_e64 s[0:1], s36, v49
	v_cndmask_b32_e64 v5, 0, v5, s[0:1]
	v_perm_b32 v5, v48, v5, s30
	v_lshrrev_b32_e32 v48, 16, v4
	v_cmp_gt_i32_e64 s[0:1], s28, v44
	v_cndmask_b32_e64 v48, 0, v48, s[0:1]
	v_cmp_gt_i32_e64 s[0:1], s23, v43
	v_cndmask_b32_e64 v4, 0, v4, s[0:1]
	v_perm_b32 v4, v48, v4, s30
	;; [unrolled: 6-line block ×4, first 2 shown]
.LBB115_54:                             ;   in Loop: Header=BB115_51 Depth=1
	s_or_b64 exec, exec, s[12:13]
	v_and_b32_e32 v45, 0xffff, v45
	v_lshl_or_b32 v48, v46, 16, v45
	v_and_b32_e32 v45, 0xffff, v47
	v_lshl_or_b32 v47, v53, 16, v45
	;; [unrolled: 2-line block ×3, first 2 shown]
	v_and_b32_e32 v45, 0xffff, v56
	s_waitcnt vmcnt(0)
	;;#ASMSTART
	v_pk_mul_f16 v2, v48, v2;

	;;#ASMEND
	v_lshl_or_b32 v45, v57, 16, v45
	;;#ASMSTART
	v_pk_mul_f16 v3, v47, v3;

	;;#ASMEND
	;;#ASMSTART
	v_pk_mul_f16 v4, v46, v4;

	;;#ASMEND
	;;#ASMSTART
	v_pk_mul_f16 v5, v45, v5;

	;;#ASMEND
	;;#ASMSTART
	v_pk_add_f16 v2, v2, v3;

	;;#ASMEND
	;;#ASMSTART
	v_pk_add_f16 v2, v2, v4;

	;;#ASMEND
	;; [unrolled: 4-line block ×3, first 2 shown]
	v_lshrrev_b32_e32 v3, 16, v2
	v_and_b32_e32 v2, 0xffff, v2
	;;#ASMSTART
	v_cvt_f32_f16 v53, v2;
	;;#ASMEND
	;;#ASMSTART
	v_cvt_f32_f16 v54, v3;
	;;#ASMEND
	global_load_dwordx4 v[2:5], v[22:23], off offset:1024
	s_and_saveexec_b64 s[12:13], vcc
	s_cbranch_execz .LBB115_56
; %bb.55:                               ;   in Loop: Header=BB115_51 Depth=1
	s_waitcnt vmcnt(0)
	v_lshrrev_b32_e32 v55, 16, v5
	v_cmp_gt_i32_e64 s[0:1], s37, v50
	v_cndmask_b32_e64 v55, 0, v55, s[0:1]
	v_cmp_gt_i32_e64 s[0:1], s36, v49
	v_cndmask_b32_e64 v5, 0, v5, s[0:1]
	v_perm_b32 v5, v55, v5, s30
	v_lshrrev_b32_e32 v55, 16, v4
	v_cmp_gt_i32_e64 s[0:1], s28, v44
	v_cndmask_b32_e64 v55, 0, v55, s[0:1]
	v_cmp_gt_i32_e64 s[0:1], s23, v43
	v_cndmask_b32_e64 v4, 0, v4, s[0:1]
	v_perm_b32 v4, v55, v4, s30
	;; [unrolled: 6-line block ×4, first 2 shown]
.LBB115_56:                             ;   in Loop: Header=BB115_51 Depth=1
	s_or_b64 exec, exec, s[12:13]
	s_waitcnt vmcnt(0)
	;;#ASMSTART
	v_pk_mul_f16 v2, v48, v2;

	;;#ASMEND
	;;#ASMSTART
	v_pk_mul_f16 v3, v47, v3;

	;;#ASMEND
	;; [unrolled: 4-line block ×4, first 2 shown]
	;;#ASMSTART
	v_pk_add_f16 v2, v2, v3;

	;;#ASMEND
	;;#ASMSTART
	v_pk_add_f16 v2, v2, v4;

	;;#ASMEND
	;; [unrolled: 4-line block ×3, first 2 shown]
	v_lshrrev_b32_e32 v3, 16, v2
	v_and_b32_e32 v2, 0xffff, v2
	;;#ASMSTART
	v_cvt_f32_f16 v55, v2;
	;;#ASMEND
	;;#ASMSTART
	v_cvt_f32_f16 v56, v3;
	;;#ASMEND
	global_load_dwordx4 v[2:5], v[22:23], off offset:2048
	s_and_saveexec_b64 s[12:13], vcc
	s_cbranch_execz .LBB115_58
; %bb.57:                               ;   in Loop: Header=BB115_51 Depth=1
	s_waitcnt vmcnt(0)
	v_lshrrev_b32_e32 v57, 16, v5
	v_cmp_gt_i32_e64 s[0:1], s37, v50
	v_cndmask_b32_e64 v57, 0, v57, s[0:1]
	v_cmp_gt_i32_e64 s[0:1], s36, v49
	v_cndmask_b32_e64 v5, 0, v5, s[0:1]
	v_perm_b32 v5, v57, v5, s30
	v_lshrrev_b32_e32 v57, 16, v4
	v_cmp_gt_i32_e64 s[0:1], s28, v44
	v_cndmask_b32_e64 v57, 0, v57, s[0:1]
	v_cmp_gt_i32_e64 s[0:1], s23, v43
	v_cndmask_b32_e64 v4, 0, v4, s[0:1]
	v_perm_b32 v4, v57, v4, s30
	;; [unrolled: 6-line block ×4, first 2 shown]
.LBB115_58:                             ;   in Loop: Header=BB115_51 Depth=1
	s_or_b64 exec, exec, s[12:13]
	s_waitcnt vmcnt(0)
	;;#ASMSTART
	v_pk_mul_f16 v2, v48, v2;

	;;#ASMEND
	;;#ASMSTART
	v_pk_mul_f16 v3, v47, v3;

	;;#ASMEND
	;; [unrolled: 4-line block ×4, first 2 shown]
	;;#ASMSTART
	v_pk_add_f16 v2, v2, v3;

	;;#ASMEND
	;;#ASMSTART
	v_pk_add_f16 v2, v2, v4;

	;;#ASMEND
	;; [unrolled: 4-line block ×3, first 2 shown]
	v_lshrrev_b32_e32 v3, 16, v2
	v_and_b32_e32 v2, 0xffff, v2
	;;#ASMSTART
	v_cvt_f32_f16 v57, v2;
	;;#ASMEND
	;;#ASMSTART
	v_cvt_f32_f16 v58, v3;
	;;#ASMEND
	global_load_dwordx4 v[2:5], v[22:23], off offset:3072
	s_and_saveexec_b64 s[12:13], vcc
	s_cbranch_execz .LBB115_60
; %bb.59:                               ;   in Loop: Header=BB115_51 Depth=1
	s_waitcnt vmcnt(0)
	v_lshrrev_b32_e32 v22, 16, v5
	v_cmp_gt_i32_e64 s[0:1], s37, v50
	v_cndmask_b32_e64 v22, 0, v22, s[0:1]
	v_cmp_gt_i32_e64 s[0:1], s36, v49
	v_cndmask_b32_e64 v5, 0, v5, s[0:1]
	v_perm_b32 v5, v22, v5, s30
	v_lshrrev_b32_e32 v22, 16, v4
	v_cmp_gt_i32_e64 s[0:1], s28, v44
	v_cndmask_b32_e64 v22, 0, v22, s[0:1]
	v_cmp_gt_i32_e64 s[0:1], s23, v43
	v_cndmask_b32_e64 v4, 0, v4, s[0:1]
	v_perm_b32 v4, v22, v4, s30
	;; [unrolled: 6-line block ×4, first 2 shown]
.LBB115_60:                             ;   in Loop: Header=BB115_51 Depth=1
	s_or_b64 exec, exec, s[12:13]
	s_waitcnt vmcnt(0)
	;;#ASMSTART
	v_pk_mul_f16 v2, v48, v2;

	;;#ASMEND
	;;#ASMSTART
	v_pk_mul_f16 v3, v47, v3;

	;;#ASMEND
	;; [unrolled: 4-line block ×4, first 2 shown]
	;;#ASMSTART
	v_pk_add_f16 v2, v2, v3;

	;;#ASMEND
	;;#ASMSTART
	v_pk_add_f16 v2, v2, v4;

	;;#ASMEND
	;; [unrolled: 4-line block ×3, first 2 shown]
	v_lshrrev_b32_e32 v3, 16, v2
	v_and_b32_e32 v2, 0xffff, v2
	;;#ASMSTART
	v_cvt_f32_f16 v22, v2;
	;;#ASMEND
	v_add_co_u32_e64 v2, s[0:1], v51, v31
	;;#ASMSTART
	v_cvt_f32_f16 v23, v3;
	;;#ASMEND
	v_addc_co_u32_e64 v3, s[0:1], 0, v52, s[0:1]
	global_load_dwordx4 v[2:5], v[2:3], off
	s_and_saveexec_b64 s[12:13], vcc
	s_cbranch_execz .LBB115_62
; %bb.61:                               ;   in Loop: Header=BB115_51 Depth=1
	s_waitcnt vmcnt(0)
	v_lshrrev_b32_e32 v59, 16, v5
	v_cmp_gt_i32_e64 s[0:1], s37, v50
	v_cndmask_b32_e64 v59, 0, v59, s[0:1]
	v_cmp_gt_i32_e64 s[0:1], s36, v49
	v_cndmask_b32_e64 v5, 0, v5, s[0:1]
	v_perm_b32 v5, v59, v5, s30
	v_lshrrev_b32_e32 v59, 16, v4
	v_cmp_gt_i32_e64 s[0:1], s28, v44
	v_cndmask_b32_e64 v59, 0, v59, s[0:1]
	v_cmp_gt_i32_e64 s[0:1], s23, v43
	v_cndmask_b32_e64 v4, 0, v4, s[0:1]
	v_perm_b32 v4, v59, v4, s30
	;; [unrolled: 6-line block ×4, first 2 shown]
.LBB115_62:                             ;   in Loop: Header=BB115_51 Depth=1
	s_or_b64 exec, exec, s[12:13]
	s_waitcnt vmcnt(0)
	;;#ASMSTART
	v_pk_mul_f16 v2, v48, v2;

	;;#ASMEND
	;;#ASMSTART
	v_pk_mul_f16 v3, v47, v3;

	;;#ASMEND
	;; [unrolled: 4-line block ×4, first 2 shown]
	;;#ASMSTART
	v_pk_add_f16 v2, v2, v3;

	;;#ASMEND
	;;#ASMSTART
	v_pk_add_f16 v2, v2, v4;

	;;#ASMEND
	;; [unrolled: 4-line block ×3, first 2 shown]
	v_lshrrev_b32_e32 v3, 16, v2
	v_and_b32_e32 v2, 0xffff, v2
	;;#ASMSTART
	v_cvt_f32_f16 v59, v2;
	;;#ASMEND
	v_add_co_u32_e64 v2, s[0:1], v51, v32
	;;#ASMSTART
	v_cvt_f32_f16 v60, v3;
	;;#ASMEND
	v_addc_co_u32_e64 v3, s[0:1], 0, v52, s[0:1]
	global_load_dwordx4 v[2:5], v[2:3], off
	s_and_saveexec_b64 s[12:13], vcc
	s_cbranch_execz .LBB115_64
; %bb.63:                               ;   in Loop: Header=BB115_51 Depth=1
	s_waitcnt vmcnt(0)
	v_lshrrev_b32_e32 v61, 16, v5
	v_cmp_gt_i32_e64 s[0:1], s37, v50
	v_cndmask_b32_e64 v61, 0, v61, s[0:1]
	v_cmp_gt_i32_e64 s[0:1], s36, v49
	v_cndmask_b32_e64 v5, 0, v5, s[0:1]
	v_perm_b32 v5, v61, v5, s30
	v_lshrrev_b32_e32 v61, 16, v4
	v_cmp_gt_i32_e64 s[0:1], s28, v44
	v_cndmask_b32_e64 v61, 0, v61, s[0:1]
	v_cmp_gt_i32_e64 s[0:1], s23, v43
	v_cndmask_b32_e64 v4, 0, v4, s[0:1]
	v_perm_b32 v4, v61, v4, s30
	;; [unrolled: 6-line block ×4, first 2 shown]
.LBB115_64:                             ;   in Loop: Header=BB115_51 Depth=1
	s_or_b64 exec, exec, s[12:13]
	s_waitcnt vmcnt(0)
	;;#ASMSTART
	v_pk_mul_f16 v2, v48, v2;

	;;#ASMEND
	;;#ASMSTART
	v_pk_mul_f16 v3, v47, v3;

	;;#ASMEND
	;;#ASMSTART
	v_pk_mul_f16 v4, v46, v4;

	;;#ASMEND
	;;#ASMSTART
	v_pk_mul_f16 v5, v45, v5;

	;;#ASMEND
	;;#ASMSTART
	v_pk_add_f16 v2, v2, v3;

	;;#ASMEND
	;;#ASMSTART
	v_pk_add_f16 v2, v2, v4;

	;;#ASMEND
	;; [unrolled: 4-line block ×3, first 2 shown]
	v_lshrrev_b32_e32 v3, 16, v2
	v_and_b32_e32 v2, 0xffff, v2
	;;#ASMSTART
	v_cvt_f32_f16 v61, v2;
	;;#ASMEND
	v_add_co_u32_e64 v2, s[0:1], v51, v33
	;;#ASMSTART
	v_cvt_f32_f16 v62, v3;
	;;#ASMEND
	v_addc_co_u32_e64 v3, s[0:1], 0, v52, s[0:1]
	global_load_dwordx4 v[2:5], v[2:3], off
	s_and_saveexec_b64 s[12:13], vcc
	s_cbranch_execz .LBB115_66
; %bb.65:                               ;   in Loop: Header=BB115_51 Depth=1
	s_waitcnt vmcnt(0)
	v_lshrrev_b32_e32 v63, 16, v5
	v_cmp_gt_i32_e64 s[0:1], s37, v50
	v_cndmask_b32_e64 v63, 0, v63, s[0:1]
	v_cmp_gt_i32_e64 s[0:1], s36, v49
	v_cndmask_b32_e64 v5, 0, v5, s[0:1]
	v_perm_b32 v5, v63, v5, s30
	v_lshrrev_b32_e32 v63, 16, v4
	v_cmp_gt_i32_e64 s[0:1], s28, v44
	v_cndmask_b32_e64 v63, 0, v63, s[0:1]
	v_cmp_gt_i32_e64 s[0:1], s23, v43
	v_cndmask_b32_e64 v4, 0, v4, s[0:1]
	v_perm_b32 v4, v63, v4, s30
	;; [unrolled: 6-line block ×4, first 2 shown]
.LBB115_66:                             ;   in Loop: Header=BB115_51 Depth=1
	s_or_b64 exec, exec, s[12:13]
	s_waitcnt vmcnt(0)
	;;#ASMSTART
	v_pk_mul_f16 v2, v48, v2;

	;;#ASMEND
	;;#ASMSTART
	v_pk_mul_f16 v3, v47, v3;

	;;#ASMEND
	;; [unrolled: 4-line block ×4, first 2 shown]
	;;#ASMSTART
	v_pk_add_f16 v2, v2, v3;

	;;#ASMEND
	;;#ASMSTART
	v_pk_add_f16 v2, v2, v4;

	;;#ASMEND
	;;#ASMSTART
	v_pk_add_f16 v2, v2, v5;

	;;#ASMEND
	v_lshrrev_b32_e32 v3, 16, v2
	v_and_b32_e32 v2, 0xffff, v2
	;;#ASMSTART
	v_cvt_f32_f16 v63, v2;
	;;#ASMEND
	v_add_co_u32_e64 v2, s[0:1], v51, v34
	;;#ASMSTART
	v_cvt_f32_f16 v64, v3;
	;;#ASMEND
	v_addc_co_u32_e64 v3, s[0:1], 0, v52, s[0:1]
	global_load_dwordx4 v[2:5], v[2:3], off
	s_and_saveexec_b64 s[12:13], vcc
	s_cbranch_execz .LBB115_68
; %bb.67:                               ;   in Loop: Header=BB115_51 Depth=1
	s_waitcnt vmcnt(0)
	v_lshrrev_b32_e32 v65, 16, v5
	v_cmp_gt_i32_e64 s[0:1], s37, v50
	v_cndmask_b32_e64 v65, 0, v65, s[0:1]
	v_cmp_gt_i32_e64 s[0:1], s36, v49
	v_cndmask_b32_e64 v5, 0, v5, s[0:1]
	v_perm_b32 v5, v65, v5, s30
	v_lshrrev_b32_e32 v65, 16, v4
	v_cmp_gt_i32_e64 s[0:1], s28, v44
	v_cndmask_b32_e64 v65, 0, v65, s[0:1]
	v_cmp_gt_i32_e64 s[0:1], s23, v43
	v_cndmask_b32_e64 v4, 0, v4, s[0:1]
	v_perm_b32 v4, v65, v4, s30
	;; [unrolled: 6-line block ×4, first 2 shown]
.LBB115_68:                             ;   in Loop: Header=BB115_51 Depth=1
	s_or_b64 exec, exec, s[12:13]
	s_waitcnt vmcnt(0)
	;;#ASMSTART
	v_pk_mul_f16 v2, v48, v2;

	;;#ASMEND
	;;#ASMSTART
	v_pk_mul_f16 v3, v47, v3;

	;;#ASMEND
	;; [unrolled: 4-line block ×4, first 2 shown]
	;;#ASMSTART
	v_pk_add_f16 v2, v2, v3;

	;;#ASMEND
	;;#ASMSTART
	v_pk_add_f16 v2, v2, v4;

	;;#ASMEND
	;; [unrolled: 4-line block ×3, first 2 shown]
	v_lshrrev_b32_e32 v3, 16, v2
	v_and_b32_e32 v2, 0xffff, v2
	;;#ASMSTART
	v_cvt_f32_f16 v65, v2;
	;;#ASMEND
	v_add_co_u32_e64 v2, s[0:1], v51, v35
	;;#ASMSTART
	v_cvt_f32_f16 v66, v3;
	;;#ASMEND
	v_addc_co_u32_e64 v3, s[0:1], 0, v52, s[0:1]
	global_load_dwordx4 v[2:5], v[2:3], off
	s_and_saveexec_b64 s[12:13], vcc
	s_cbranch_execz .LBB115_70
; %bb.69:                               ;   in Loop: Header=BB115_51 Depth=1
	s_waitcnt vmcnt(0)
	v_lshrrev_b32_e32 v67, 16, v5
	v_cmp_gt_i32_e64 s[0:1], s37, v50
	v_cndmask_b32_e64 v67, 0, v67, s[0:1]
	v_cmp_gt_i32_e64 s[0:1], s36, v49
	v_cndmask_b32_e64 v5, 0, v5, s[0:1]
	v_perm_b32 v5, v67, v5, s30
	v_lshrrev_b32_e32 v67, 16, v4
	v_cmp_gt_i32_e64 s[0:1], s28, v44
	v_cndmask_b32_e64 v67, 0, v67, s[0:1]
	v_cmp_gt_i32_e64 s[0:1], s23, v43
	v_cndmask_b32_e64 v4, 0, v4, s[0:1]
	v_perm_b32 v4, v67, v4, s30
	;; [unrolled: 6-line block ×4, first 2 shown]
.LBB115_70:                             ;   in Loop: Header=BB115_51 Depth=1
	s_or_b64 exec, exec, s[12:13]
	s_waitcnt vmcnt(0)
	;;#ASMSTART
	v_pk_mul_f16 v2, v48, v2;

	;;#ASMEND
	;;#ASMSTART
	v_pk_mul_f16 v3, v47, v3;

	;;#ASMEND
	;; [unrolled: 4-line block ×4, first 2 shown]
	;;#ASMSTART
	v_pk_add_f16 v2, v2, v3;

	;;#ASMEND
	;;#ASMSTART
	v_pk_add_f16 v2, v2, v4;

	;;#ASMEND
	;; [unrolled: 4-line block ×3, first 2 shown]
	v_lshrrev_b32_e32 v3, 16, v2
	v_and_b32_e32 v2, 0xffff, v2
	;;#ASMSTART
	v_cvt_f32_f16 v67, v2;
	;;#ASMEND
	v_add_co_u32_e64 v2, s[0:1], v51, v36
	;;#ASMSTART
	v_cvt_f32_f16 v68, v3;
	;;#ASMEND
	v_addc_co_u32_e64 v3, s[0:1], 0, v52, s[0:1]
	global_load_dwordx4 v[2:5], v[2:3], off
	s_and_saveexec_b64 s[12:13], vcc
	s_cbranch_execz .LBB115_72
; %bb.71:                               ;   in Loop: Header=BB115_51 Depth=1
	s_waitcnt vmcnt(0)
	v_lshrrev_b32_e32 v69, 16, v5
	v_cmp_gt_i32_e64 s[0:1], s37, v50
	v_cndmask_b32_e64 v69, 0, v69, s[0:1]
	v_cmp_gt_i32_e64 s[0:1], s36, v49
	v_cndmask_b32_e64 v5, 0, v5, s[0:1]
	v_perm_b32 v5, v69, v5, s30
	v_lshrrev_b32_e32 v69, 16, v4
	v_cmp_gt_i32_e64 s[0:1], s28, v44
	v_cndmask_b32_e64 v69, 0, v69, s[0:1]
	v_cmp_gt_i32_e64 s[0:1], s23, v43
	v_cndmask_b32_e64 v4, 0, v4, s[0:1]
	v_perm_b32 v4, v69, v4, s30
	;; [unrolled: 6-line block ×4, first 2 shown]
.LBB115_72:                             ;   in Loop: Header=BB115_51 Depth=1
	s_or_b64 exec, exec, s[12:13]
	s_waitcnt vmcnt(0)
	;;#ASMSTART
	v_pk_mul_f16 v2, v48, v2;

	;;#ASMEND
	;;#ASMSTART
	v_pk_mul_f16 v3, v47, v3;

	;;#ASMEND
	;; [unrolled: 4-line block ×4, first 2 shown]
	;;#ASMSTART
	v_pk_add_f16 v2, v2, v3;

	;;#ASMEND
	;;#ASMSTART
	v_pk_add_f16 v2, v2, v4;

	;;#ASMEND
	;; [unrolled: 4-line block ×3, first 2 shown]
	v_lshrrev_b32_e32 v3, 16, v2
	v_and_b32_e32 v2, 0xffff, v2
	;;#ASMSTART
	v_cvt_f32_f16 v69, v2;
	;;#ASMEND
	v_add_co_u32_e64 v2, s[0:1], v51, v37
	;;#ASMSTART
	v_cvt_f32_f16 v70, v3;
	;;#ASMEND
	v_addc_co_u32_e64 v3, s[0:1], 0, v52, s[0:1]
	global_load_dwordx4 v[2:5], v[2:3], off
	s_and_saveexec_b64 s[12:13], vcc
	s_cbranch_execz .LBB115_74
; %bb.73:                               ;   in Loop: Header=BB115_51 Depth=1
	s_waitcnt vmcnt(0)
	v_lshrrev_b32_e32 v71, 16, v5
	v_cmp_gt_i32_e64 s[0:1], s37, v50
	v_cndmask_b32_e64 v71, 0, v71, s[0:1]
	v_cmp_gt_i32_e64 s[0:1], s36, v49
	v_cndmask_b32_e64 v5, 0, v5, s[0:1]
	v_perm_b32 v5, v71, v5, s30
	v_lshrrev_b32_e32 v71, 16, v4
	v_cmp_gt_i32_e64 s[0:1], s28, v44
	v_cndmask_b32_e64 v71, 0, v71, s[0:1]
	v_cmp_gt_i32_e64 s[0:1], s23, v43
	v_cndmask_b32_e64 v4, 0, v4, s[0:1]
	v_perm_b32 v4, v71, v4, s30
	;; [unrolled: 6-line block ×4, first 2 shown]
.LBB115_74:                             ;   in Loop: Header=BB115_51 Depth=1
	s_or_b64 exec, exec, s[12:13]
	s_waitcnt vmcnt(0)
	;;#ASMSTART
	v_pk_mul_f16 v2, v48, v2;

	;;#ASMEND
	;;#ASMSTART
	v_pk_mul_f16 v3, v47, v3;

	;;#ASMEND
	;;#ASMSTART
	v_pk_mul_f16 v4, v46, v4;

	;;#ASMEND
	;;#ASMSTART
	v_pk_mul_f16 v5, v45, v5;

	;;#ASMEND
	;;#ASMSTART
	v_pk_add_f16 v2, v2, v3;

	;;#ASMEND
	;;#ASMSTART
	v_pk_add_f16 v2, v2, v4;

	;;#ASMEND
	;; [unrolled: 4-line block ×3, first 2 shown]
	v_lshrrev_b32_e32 v3, 16, v2
	v_and_b32_e32 v2, 0xffff, v2
	;;#ASMSTART
	v_cvt_f32_f16 v71, v2;
	;;#ASMEND
	v_add_co_u32_e64 v2, s[0:1], v51, v38
	;;#ASMSTART
	v_cvt_f32_f16 v72, v3;
	;;#ASMEND
	v_addc_co_u32_e64 v3, s[0:1], 0, v52, s[0:1]
	global_load_dwordx4 v[2:5], v[2:3], off
	s_and_saveexec_b64 s[0:1], vcc
	s_cbranch_execz .LBB115_49
; %bb.75:                               ;   in Loop: Header=BB115_51 Depth=1
	s_waitcnt vmcnt(0)
	v_lshrrev_b32_e32 v51, 16, v5
	v_cmp_gt_i32_e32 vcc, s37, v50
	v_cndmask_b32_e32 v50, 0, v51, vcc
	v_cmp_gt_i32_e32 vcc, s36, v49
	v_cndmask_b32_e32 v5, 0, v5, vcc
	v_lshrrev_b32_e32 v49, 16, v4
	v_cmp_gt_i32_e32 vcc, s28, v44
	v_cndmask_b32_e32 v44, 0, v49, vcc
	v_cmp_gt_i32_e32 vcc, s23, v43
	v_cndmask_b32_e32 v4, 0, v4, vcc
	;; [unrolled: 5-line block ×4, first 2 shown]
	v_perm_b32 v5, v50, v5, s30
	v_perm_b32 v4, v44, v4, s30
	;; [unrolled: 1-line block ×4, first 2 shown]
	s_branch .LBB115_49
.LBB115_76:
	s_or_b64 exec, exec, s[6:7]
.LBB115_77:
	s_or_b64 exec, exec, s[4:5]
	ds_bpermute_b32 v2, v25, v8
	ds_bpermute_b32 v3, v25, v9
	;; [unrolled: 1-line block ×6, first 2 shown]
	s_waitcnt lgkmcnt(4)
	v_pk_add_f32 v[2:3], v[8:9], v[2:3]
	ds_bpermute_b32 v6, v26, v2
	ds_bpermute_b32 v7, v26, v3
	;; [unrolled: 1-line block ×6, first 2 shown]
	s_waitcnt lgkmcnt(4)
	v_pk_add_f32 v[2:3], v[2:3], v[6:7]
	v_pk_add_f32 v[4:5], v[18:19], v[4:5]
	s_waitcnt lgkmcnt(2)
	v_pk_add_f32 v[6:7], v[16:17], v[8:9]
	ds_bpermute_b32 v8, v25, v14
	ds_bpermute_b32 v9, v25, v15
	;; [unrolled: 1-line block ×4, first 2 shown]
	v_pk_add_f32 v[20:21], v[12:13], v[20:21]
	ds_bpermute_b32 v18, v26, v4
	s_waitcnt lgkmcnt(3)
	v_pk_add_f32 v[14:15], v[14:15], v[8:9]
	ds_bpermute_b32 v22, v26, v14
	ds_bpermute_b32 v23, v26, v15
	;; [unrolled: 1-line block ×5, first 2 shown]
	v_pk_add_f32 v[10:11], v[10:11], v[30:31]
	s_waitcnt lgkmcnt(6)
	v_pk_add_f32 v[8:9], v[6:7], v[16:17]
	s_waitcnt lgkmcnt(3)
	v_pk_add_f32 v[6:7], v[14:15], v[22:23]
	ds_bpermute_b32 v14, v26, v10
	ds_bpermute_b32 v15, v26, v11
	v_and_b32_e32 v1, 0x3c3, v0
	s_waitcnt lgkmcnt(4)
	v_pk_add_f32 v[12:13], v[4:5], v[18:19]
	s_waitcnt lgkmcnt(2)
	v_pk_add_f32 v[4:5], v[20:21], v[28:29]
	v_cmp_ne_u32_e32 vcc, 64, v1
	s_waitcnt lgkmcnt(0)
	s_barrier
	s_and_saveexec_b64 s[0:1], vcc
	s_xor_b64 s[0:1], exec, s[0:1]
; %bb.78:
                                        ; implicit-def: $vgpr24
; %bb.79:
	s_or_saveexec_b64 s[0:1], s[0:1]
	v_pk_add_f32 v[10:11], v[10:11], v[14:15]
	s_xor_b64 exec, exec, s[0:1]
	s_cbranch_execz .LBB115_81
; %bb.80:
	v_add_u32_e32 v14, 0x190, v24
	ds_write2_b32 v14, v2, v3 offset1:16
	ds_write2_b32 v14, v12, v13 offset0:32 offset1:48
	ds_write2_b32 v14, v8, v9 offset0:64 offset1:80
	;; [unrolled: 1-line block ×5, first 2 shown]
.LBB115_81:
	s_or_b64 exec, exec, s[0:1]
	v_cmp_gt_u32_e32 vcc, 64, v0
	s_waitcnt lgkmcnt(0)
	s_barrier
	s_and_saveexec_b64 s[0:1], vcc
	s_cbranch_execz .LBB115_96
; %bb.82:
	v_cmp_eq_u32_e32 vcc, 0, v27
	v_lshrrev_b32_e32 v14, 2, v0
	s_and_saveexec_b64 s[4:5], vcc
	s_cbranch_execnz .LBB115_99
; %bb.83:
	s_or_b64 exec, exec, s[4:5]
	s_and_saveexec_b64 s[4:5], vcc
	s_cbranch_execnz .LBB115_100
.LBB115_84:
	s_or_b64 exec, exec, s[4:5]
	s_and_saveexec_b64 s[4:5], vcc
	s_cbranch_execnz .LBB115_101
.LBB115_85:
	s_or_b64 exec, exec, s[4:5]
	s_and_saveexec_b64 s[4:5], vcc
	s_cbranch_execnz .LBB115_102
.LBB115_86:
	s_or_b64 exec, exec, s[4:5]
	s_and_saveexec_b64 s[4:5], vcc
	s_cbranch_execnz .LBB115_103
.LBB115_87:
	s_or_b64 exec, exec, s[4:5]
	s_and_saveexec_b64 s[4:5], vcc
	s_cbranch_execnz .LBB115_104
.LBB115_88:
	s_or_b64 exec, exec, s[4:5]
	s_and_saveexec_b64 s[4:5], vcc
	s_cbranch_execnz .LBB115_105
.LBB115_89:
	s_or_b64 exec, exec, s[4:5]
	s_and_saveexec_b64 s[4:5], vcc
	s_cbranch_execnz .LBB115_106
.LBB115_90:
	s_or_b64 exec, exec, s[4:5]
	s_and_saveexec_b64 s[4:5], vcc
	s_cbranch_execnz .LBB115_107
.LBB115_91:
	s_or_b64 exec, exec, s[4:5]
	s_and_saveexec_b64 s[4:5], vcc
	s_cbranch_execnz .LBB115_108
.LBB115_92:
	s_or_b64 exec, exec, s[4:5]
	s_and_saveexec_b64 s[4:5], vcc
	s_cbranch_execnz .LBB115_109
.LBB115_93:
	s_or_b64 exec, exec, s[4:5]
	s_and_saveexec_b64 s[4:5], vcc
	s_cbranch_execz .LBB115_95
.LBB115_94:
	v_mov_b32_e32 v15, 0x190
	v_lshl_add_u32 v14, v14, 2, v15
	ds_read_b32 v14, v14 offset:704
	s_waitcnt lgkmcnt(0)
	v_add_f32_e32 v11, v11, v14
.LBB115_95:
	s_or_b64 exec, exec, s[4:5]
.LBB115_96:
	s_or_b64 exec, exec, s[0:1]
	v_cmp_eq_u32_e32 vcc, 0, v1
	s_barrier
	s_and_saveexec_b64 s[0:1], vcc
	s_cbranch_execz .LBB115_98
; %bb.97:
	s_mul_i32 s0, s2, 0xc0
	s_ashr_i32 s1, s0, 31
	s_lshl_b64 s[0:1], s[0:1], 1
	s_add_u32 s2, s26, s0
	s_mul_i32 s0, s16, s24
	s_addc_u32 s3, s27, s1
	s_ashr_i32 s1, s0, 31
	s_lshl_b64 s[0:1], s[0:1], 1
	s_add_u32 s2, s2, s0
	s_mul_i32 s0, s8, 0xc0
	s_addc_u32 s3, s3, s1
	s_ashr_i32 s1, s0, 31
	s_lshl_b64 s[0:1], s[0:1], 1
	s_add_u32 s0, s2, s0
	s_addc_u32 s1, s3, s1
	v_lshrrev_b32_e32 v0, 1, v0
	;;#ASMSTART
	v_cvt_f16_f32 v1, v2;

	;;#ASMEND
	global_store_short v0, v1, s[0:1]
	;;#ASMSTART
	v_cvt_f16_f32 v1, v3;

	;;#ASMEND
	global_store_short v0, v1, s[0:1] offset:32
	;;#ASMSTART
	v_cvt_f16_f32 v1, v12;

	;;#ASMEND
	global_store_short v0, v1, s[0:1] offset:64
	;; [unrolled: 5-line block ×11, first 2 shown]
.LBB115_98:
	s_endpgm
.LBB115_99:
	v_mov_b32_e32 v15, 0x190
	v_lshl_add_u32 v15, v14, 2, v15
	ds_read_b32 v15, v15
	s_waitcnt lgkmcnt(0)
	v_add_f32_e32 v2, v2, v15
	s_or_b64 exec, exec, s[4:5]
	s_and_saveexec_b64 s[4:5], vcc
	s_cbranch_execz .LBB115_84
.LBB115_100:
	v_mov_b32_e32 v15, 0x190
	v_lshl_add_u32 v15, v14, 2, v15
	ds_read_b32 v15, v15 offset:64
	s_waitcnt lgkmcnt(0)
	v_add_f32_e32 v3, v3, v15
	s_or_b64 exec, exec, s[4:5]
	s_and_saveexec_b64 s[4:5], vcc
	s_cbranch_execz .LBB115_85
.LBB115_101:
	v_mov_b32_e32 v15, 0x190
	v_lshl_add_u32 v15, v14, 2, v15
	ds_read_b32 v15, v15 offset:128
	s_waitcnt lgkmcnt(0)
	v_add_f32_e32 v12, v12, v15
	s_or_b64 exec, exec, s[4:5]
	s_and_saveexec_b64 s[4:5], vcc
	s_cbranch_execz .LBB115_86
.LBB115_102:
	v_mov_b32_e32 v15, 0x190
	v_lshl_add_u32 v15, v14, 2, v15
	ds_read_b32 v15, v15 offset:192
	s_waitcnt lgkmcnt(0)
	v_add_f32_e32 v13, v13, v15
	s_or_b64 exec, exec, s[4:5]
	s_and_saveexec_b64 s[4:5], vcc
	s_cbranch_execz .LBB115_87
.LBB115_103:
	v_mov_b32_e32 v15, 0x190
	v_lshl_add_u32 v15, v14, 2, v15
	ds_read_b32 v15, v15 offset:256
	s_waitcnt lgkmcnt(0)
	v_add_f32_e32 v8, v8, v15
	s_or_b64 exec, exec, s[4:5]
	s_and_saveexec_b64 s[4:5], vcc
	s_cbranch_execz .LBB115_88
.LBB115_104:
	v_mov_b32_e32 v15, 0x190
	v_lshl_add_u32 v15, v14, 2, v15
	ds_read_b32 v15, v15 offset:320
	s_waitcnt lgkmcnt(0)
	v_add_f32_e32 v9, v9, v15
	s_or_b64 exec, exec, s[4:5]
	s_and_saveexec_b64 s[4:5], vcc
	s_cbranch_execz .LBB115_89
.LBB115_105:
	v_mov_b32_e32 v15, 0x190
	v_lshl_add_u32 v15, v14, 2, v15
	ds_read_b32 v15, v15 offset:384
	s_waitcnt lgkmcnt(0)
	v_add_f32_e32 v6, v6, v15
	s_or_b64 exec, exec, s[4:5]
	s_and_saveexec_b64 s[4:5], vcc
	s_cbranch_execz .LBB115_90
.LBB115_106:
	v_mov_b32_e32 v15, 0x190
	v_lshl_add_u32 v15, v14, 2, v15
	ds_read_b32 v15, v15 offset:448
	s_waitcnt lgkmcnt(0)
	v_add_f32_e32 v7, v7, v15
	s_or_b64 exec, exec, s[4:5]
	s_and_saveexec_b64 s[4:5], vcc
	s_cbranch_execz .LBB115_91
.LBB115_107:
	v_mov_b32_e32 v15, 0x190
	v_lshl_add_u32 v15, v14, 2, v15
	ds_read_b32 v15, v15 offset:512
	s_waitcnt lgkmcnt(0)
	v_add_f32_e32 v4, v4, v15
	s_or_b64 exec, exec, s[4:5]
	s_and_saveexec_b64 s[4:5], vcc
	s_cbranch_execz .LBB115_92
.LBB115_108:
	v_mov_b32_e32 v15, 0x190
	v_lshl_add_u32 v15, v14, 2, v15
	ds_read_b32 v15, v15 offset:576
	s_waitcnt lgkmcnt(0)
	v_add_f32_e32 v5, v5, v15
	s_or_b64 exec, exec, s[4:5]
	s_and_saveexec_b64 s[4:5], vcc
	s_cbranch_execz .LBB115_93
.LBB115_109:
	v_mov_b32_e32 v15, 0x190
	v_lshl_add_u32 v15, v14, 2, v15
	ds_read_b32 v15, v15 offset:640
	s_waitcnt lgkmcnt(0)
	v_add_f32_e32 v10, v10, v15
	s_or_b64 exec, exec, s[4:5]
	s_and_saveexec_b64 s[4:5], vcc
	s_cbranch_execnz .LBB115_94
	s_branch .LBB115_95
	.section	.rodata,"a",@progbits
	.p2align	6, 0x0
	.amdhsa_kernel _ZN4vllm25paged_attention_v2_kernelIttLi192ELi32ELi128ELNS_18Fp8KVCacheDataTypeE0ELb1ELi512EEEvPfS2_PT_PKS3_PKT0_S9_ifPKiSB_iPKfiiiSD_SD_iiiii
		.amdhsa_group_segment_fixed_size 400
		.amdhsa_private_segment_fixed_size 0
		.amdhsa_kernarg_size 400
		.amdhsa_user_sgpr_count 6
		.amdhsa_user_sgpr_private_segment_buffer 1
		.amdhsa_user_sgpr_dispatch_ptr 0
		.amdhsa_user_sgpr_queue_ptr 0
		.amdhsa_user_sgpr_kernarg_segment_ptr 1
		.amdhsa_user_sgpr_dispatch_id 0
		.amdhsa_user_sgpr_flat_scratch_init 0
		.amdhsa_user_sgpr_kernarg_preload_length 0
		.amdhsa_user_sgpr_kernarg_preload_offset 0
		.amdhsa_user_sgpr_private_segment_size 0
		.amdhsa_uses_dynamic_stack 0
		.amdhsa_system_sgpr_private_segment_wavefront_offset 0
		.amdhsa_system_sgpr_workgroup_id_x 1
		.amdhsa_system_sgpr_workgroup_id_y 1
		.amdhsa_system_sgpr_workgroup_id_z 1
		.amdhsa_system_sgpr_workgroup_info 0
		.amdhsa_system_vgpr_workitem_id 0
		.amdhsa_next_free_vgpr 98
		.amdhsa_next_free_sgpr 56
		.amdhsa_accum_offset 100
		.amdhsa_reserve_vcc 1
		.amdhsa_reserve_flat_scratch 0
		.amdhsa_float_round_mode_32 0
		.amdhsa_float_round_mode_16_64 0
		.amdhsa_float_denorm_mode_32 3
		.amdhsa_float_denorm_mode_16_64 3
		.amdhsa_dx10_clamp 1
		.amdhsa_ieee_mode 1
		.amdhsa_fp16_overflow 0
		.amdhsa_tg_split 0
		.amdhsa_exception_fp_ieee_invalid_op 0
		.amdhsa_exception_fp_denorm_src 0
		.amdhsa_exception_fp_ieee_div_zero 0
		.amdhsa_exception_fp_ieee_overflow 0
		.amdhsa_exception_fp_ieee_underflow 0
		.amdhsa_exception_fp_ieee_inexact 0
		.amdhsa_exception_int_div_zero 0
	.end_amdhsa_kernel
	.section	.text._ZN4vllm25paged_attention_v2_kernelIttLi192ELi32ELi128ELNS_18Fp8KVCacheDataTypeE0ELb1ELi512EEEvPfS2_PT_PKS3_PKT0_S9_ifPKiSB_iPKfiiiSD_SD_iiiii,"axG",@progbits,_ZN4vllm25paged_attention_v2_kernelIttLi192ELi32ELi128ELNS_18Fp8KVCacheDataTypeE0ELb1ELi512EEEvPfS2_PT_PKS3_PKT0_S9_ifPKiSB_iPKfiiiSD_SD_iiiii,comdat
.Lfunc_end115:
	.size	_ZN4vllm25paged_attention_v2_kernelIttLi192ELi32ELi128ELNS_18Fp8KVCacheDataTypeE0ELb1ELi512EEEvPfS2_PT_PKS3_PKT0_S9_ifPKiSB_iPKfiiiSD_SD_iiiii, .Lfunc_end115-_ZN4vllm25paged_attention_v2_kernelIttLi192ELi32ELi128ELNS_18Fp8KVCacheDataTypeE0ELb1ELi512EEEvPfS2_PT_PKS3_PKT0_S9_ifPKiSB_iPKfiiiSD_SD_iiiii
                                        ; -- End function
	.section	.AMDGPU.csdata,"",@progbits
; Kernel info:
; codeLenInByte = 12484
; NumSgprs: 60
; NumVgprs: 98
; NumAgprs: 0
; TotalNumVgprs: 98
; ScratchSize: 0
; MemoryBound: 0
; FloatMode: 240
; IeeeMode: 1
; LDSByteSize: 400 bytes/workgroup (compile time only)
; SGPRBlocks: 7
; VGPRBlocks: 12
; NumSGPRsForWavesPerEU: 60
; NumVGPRsForWavesPerEU: 98
; AccumOffset: 100
; Occupancy: 4
; WaveLimiterHint : 1
; COMPUTE_PGM_RSRC2:SCRATCH_EN: 0
; COMPUTE_PGM_RSRC2:USER_SGPR: 6
; COMPUTE_PGM_RSRC2:TRAP_HANDLER: 0
; COMPUTE_PGM_RSRC2:TGID_X_EN: 1
; COMPUTE_PGM_RSRC2:TGID_Y_EN: 1
; COMPUTE_PGM_RSRC2:TGID_Z_EN: 1
; COMPUTE_PGM_RSRC2:TIDIG_COMP_CNT: 0
; COMPUTE_PGM_RSRC3_GFX90A:ACCUM_OFFSET: 24
; COMPUTE_PGM_RSRC3_GFX90A:TG_SPLIT: 0
	.section	.text._ZN4vllm25paged_attention_v2_kernelIttLi256ELi32ELi128ELNS_18Fp8KVCacheDataTypeE0ELb1ELi512EEEvPfS2_PT_PKS3_PKT0_S9_ifPKiSB_iPKfiiiSD_SD_iiiii,"axG",@progbits,_ZN4vllm25paged_attention_v2_kernelIttLi256ELi32ELi128ELNS_18Fp8KVCacheDataTypeE0ELb1ELi512EEEvPfS2_PT_PKS3_PKT0_S9_ifPKiSB_iPKfiiiSD_SD_iiiii,comdat
	.protected	_ZN4vllm25paged_attention_v2_kernelIttLi256ELi32ELi128ELNS_18Fp8KVCacheDataTypeE0ELb1ELi512EEEvPfS2_PT_PKS3_PKT0_S9_ifPKiSB_iPKfiiiSD_SD_iiiii ; -- Begin function _ZN4vllm25paged_attention_v2_kernelIttLi256ELi32ELi128ELNS_18Fp8KVCacheDataTypeE0ELb1ELi512EEEvPfS2_PT_PKS3_PKT0_S9_ifPKiSB_iPKfiiiSD_SD_iiiii
	.globl	_ZN4vllm25paged_attention_v2_kernelIttLi256ELi32ELi128ELNS_18Fp8KVCacheDataTypeE0ELb1ELi512EEEvPfS2_PT_PKS3_PKT0_S9_ifPKiSB_iPKfiiiSD_SD_iiiii
	.p2align	8
	.type	_ZN4vllm25paged_attention_v2_kernelIttLi256ELi32ELi128ELNS_18Fp8KVCacheDataTypeE0ELb1ELi512EEEvPfS2_PT_PKS3_PKT0_S9_ifPKiSB_iPKfiiiSD_SD_iiiii,@function
_ZN4vllm25paged_attention_v2_kernelIttLi256ELi32ELi128ELNS_18Fp8KVCacheDataTypeE0ELb1ELi512EEEvPfS2_PT_PKS3_PKT0_S9_ifPKiSB_iPKfiiiSD_SD_iiiii: ; @_ZN4vllm25paged_attention_v2_kernelIttLi256ELi32ELi128ELNS_18Fp8KVCacheDataTypeE0ELb1ELi512EEEvPfS2_PT_PKS3_PKT0_S9_ifPKiSB_iPKfiiiSD_SD_iiiii
; %bb.0:
	s_load_dwordx2 s[0:1], s[4:5], 0x40
	s_mov_b32 s30, s7
	s_ashr_i32 s31, s7, 31
	s_lshl_b64 s[2:3], s[30:31], 2
	s_waitcnt lgkmcnt(0)
	s_add_u32 s0, s0, s2
	s_addc_u32 s1, s1, s3
	s_load_dword s31, s[0:1], 0x0
	s_lshl_b32 s51, s8, 9
	s_waitcnt lgkmcnt(0)
	s_cmp_ge_i32 s51, s31
	s_cbranch_scc1 .LBB116_110
; %bb.1:
	s_load_dword s9, s[4:5], 0x90
	s_load_dwordx2 s[40:41], s[4:5], 0x30
	s_waitcnt lgkmcnt(0)
	s_abs_i32 s2, s9
	s_abs_i32 s0, s40
	v_cvt_f32_u32_e32 v1, s0
	s_sub_i32 s3, 0, s0
	s_xor_b32 s1, s9, s40
	s_ashr_i32 s1, s1, 31
	v_rcp_iflag_f32_e32 v1, v1
	v_mul_f32_e32 v1, 0x4f7ffffe, v1
	v_cvt_u32_f32_e32 v1, v1
	v_readfirstlane_b32 s7, v1
	s_mul_i32 s3, s3, s7
	s_mul_hi_u32 s3, s7, s3
	s_add_i32 s7, s7, s3
	s_mul_hi_u32 s3, s2, s7
	s_mul_i32 s7, s3, s0
	s_sub_i32 s2, s2, s7
	s_add_i32 s10, s3, 1
	s_sub_i32 s7, s2, s0
	s_cmp_ge_u32 s2, s0
	s_cselect_b32 s3, s10, s3
	s_cselect_b32 s2, s7, s2
	s_add_i32 s7, s3, 1
	s_cmp_ge_u32 s2, s0
	s_cselect_b32 s0, s7, s3
	s_xor_b32 s0, s0, s1
	s_sub_i32 s2, s0, s1
	s_abs_i32 s10, s2
	v_cvt_f32_u32_e32 v1, s10
	s_load_dwordx2 s[0:1], s[4:5], 0x50
	s_sub_i32 s3, 0, s10
	s_abs_i32 s11, s6
	v_rcp_iflag_f32_e32 v1, v1
	s_mov_b32 s7, 0
	v_mul_f32_e32 v1, 0x4f7ffffe, v1
	v_cvt_u32_f32_e32 v1, v1
	v_readfirstlane_b32 s12, v1
	s_mul_i32 s3, s3, s12
	s_mul_hi_u32 s3, s12, s3
	s_add_i32 s12, s12, s3
	s_waitcnt lgkmcnt(0)
	s_cmp_eq_u64 s[0:1], 0
	s_mul_hi_u32 s12, s11, s12
	s_cbranch_scc1 .LBB116_3
; %bb.2:
	s_ashr_i32 s7, s6, 31
	s_lshl_b64 s[14:15], s[6:7], 2
	s_add_u32 s0, s0, s14
	s_addc_u32 s1, s1, s15
	s_load_dword s7, s[0:1], 0x0
.LBB116_3:
	s_load_dwordx4 s[16:19], s[4:5], 0x58
	s_ashr_i32 s13, s6, 31
	s_ashr_i32 s20, s2, 31
	v_and_b32_e32 v2, 1, v0
	s_lshl_b32 s14, s6, 8
	v_cmp_gt_u32_e64 s[0:1], 64, v0
	v_lshlrev_b32_e32 v70, 3, v0
	s_and_saveexec_b64 s[2:3], s[0:1]
	s_cbranch_execz .LBB116_5
; %bb.4:
	s_load_dwordx2 s[22:23], s[4:5], 0x18
	s_waitcnt lgkmcnt(0)
	s_mul_i32 s24, s30, s16
	s_ashr_i32 s25, s24, 31
	s_lshl_b64 s[24:25], s[24:25], 1
	v_lshlrev_b32_e32 v1, 2, v0
	s_add_u32 s16, s22, s24
	s_addc_u32 s19, s23, s25
	s_ashr_i32 s15, s14, 31
	s_lshl_b64 s[22:23], s[14:15], 1
	s_add_u32 s22, s16, s22
	s_addc_u32 s23, s19, s23
	global_load_dwordx2 v[4:5], v70, s[22:23]
	v_and_b32_e32 v1, 0xff8, v1
	v_lshl_add_u32 v1, v2, 8, v1
	s_waitcnt vmcnt(0)
	ds_write_b64 v1, v[4:5]
.LBB116_5:
	s_or_b64 exec, exec, s[2:3]
	s_mul_i32 s3, s12, s10
	s_sub_i32 s3, s11, s3
	s_xor_b32 s2, s13, s20
	s_add_i32 s11, s12, 1
	s_sub_i32 s13, s3, s10
	s_load_dwordx4 s[20:23], s[4:5], 0x78
	s_cmp_ge_u32 s3, s10
	s_cselect_b32 s11, s11, s12
	s_cselect_b32 s3, s13, s3
	s_load_dword s13, s[4:5], 0x88
	s_add_i32 s12, s11, 1
	s_cmp_ge_u32 s3, s10
	s_cselect_b32 s3, s12, s11
	s_waitcnt lgkmcnt(0)
	s_abs_i32 s33, s23
	v_cvt_f32_u32_e32 v1, s33
	s_xor_b32 s3, s3, s2
	s_sub_i32 s10, s3, s2
	s_sub_i32 s2, 0, s33
	v_rcp_iflag_f32_e32 v1, v1
	s_add_i32 s15, s31, -1
	s_abs_i32 s11, s15
	v_mul_f32_e32 v1, 0x4f7ffffe, v1
	v_cvt_u32_f32_e32 v1, v1
	s_barrier
	v_readfirstlane_b32 s48, v1
	s_mul_i32 s2, s2, s48
	s_mul_hi_u32 s2, s48, s2
	s_add_i32 s48, s48, s2
	s_cmp_lt_i32 s13, 0
	s_mul_hi_u32 s12, s11, s48
	s_cbranch_scc0 .LBB116_7
; %bb.6:
	s_mul_i32 s2, s20, s40
	s_add_i32 s2, s10, s2
	s_mul_i32 s2, s2, s13
	s_sub_i32 s49, 1, s2
	s_mov_b64 s[2:3], 0
	s_branch .LBB116_8
.LBB116_7:
	s_mov_b64 s[2:3], -1
                                        ; implicit-def: $sgpr49
.LBB116_8:
	s_load_dwordx2 s[34:35], s[4:5], 0x38
	s_ashr_i32 s16, s15, 31
	s_andn2_b64 vcc, exec, s[2:3]
	s_ashr_i32 s23, s23, 31
	s_cbranch_vccnz .LBB116_10
; %bb.9:
	s_mul_i32 s2, s9, s20
	s_add_i32 s2, s2, s6
	s_mul_i32 s2, s2, s13
	s_add_i32 s49, s2, 1
.LBB116_10:
	s_load_dword s2, s[4:5], 0x48
	s_load_dwordx2 s[38:39], s[4:5], 0x28
	s_load_dword s15, s[4:5], 0x98
	s_load_dwordx4 s[24:27], s[4:5], 0x0
	s_load_dwordx2 s[28:29], s[4:5], 0x10
	s_mul_i32 s3, s12, s33
	s_waitcnt lgkmcnt(0)
	s_mul_i32 s36, s30, s2
	s_sub_i32 s3, s11, s3
	s_ashr_i32 s37, s36, 31
	s_xor_b32 s2, s16, s23
	s_add_i32 s11, s12, 1
	s_sub_i32 s13, s3, s33
	s_cmp_ge_u32 s3, s33
	s_cselect_b32 s11, s11, s12
	s_cselect_b32 s3, s13, s3
	s_add_i32 s12, s11, 1
	s_cmp_ge_u32 s3, s33
	s_cselect_b32 s3, s12, s11
	s_xor_b32 s3, s3, s2
	s_sub_i32 s50, s3, s2
	s_add_i32 s2, s31, 31
	s_ashr_i32 s3, s2, 31
	s_lshr_b32 s3, s3, 27
	s_add_i32 s2, s2, s3
	s_lshl_b32 s40, s8, 4
	s_ashr_i32 s16, s2, 5
	s_add_i32 s2, s40, 16
	v_lshrrev_b32_e32 v71, 6, v0
	s_min_i32 s20, s2, s16
	v_or_b32_e32 v6, s40, v71
	v_cmp_gt_i32_e64 s[2:3], s20, v6
	v_mov_b32_e32 v78, 0xff7fffff
	s_mul_i32 s18, s10, s18
	v_ashrrev_i32_e32 v7, 31, v6
	v_lshl_add_u32 v1, v71, 5, s51
	v_mbcnt_lo_u32_b32 v72, -1, 0
	s_and_saveexec_b64 s[42:43], s[2:3]
	s_cbranch_execz .LBB116_20
; %bb.11:
	s_load_dwordx2 s[10:11], s[4:5], 0x20
	s_ashr_i32 s19, s18, 31
	s_sub_i32 s52, s50, s21
	s_lshl_b64 s[12:13], s[18:19], 1
	v_bfe_u32 v73, v0, 1, 5
	s_waitcnt lgkmcnt(0)
	s_add_u32 s10, s10, s12
	s_addc_u32 s11, s11, s13
	s_abs_i32 s19, s22
	v_cvt_f32_u32_e32 v5, s19
	v_lshlrev_b32_e32 v3, 4, v73
	v_mov_b32_e32 v4, s11
	v_add_co_u32_e32 v3, vcc, s10, v3
	v_rcp_iflag_f32_e32 v5, v5
	v_addc_co_u32_e32 v4, vcc, 0, v4, vcc
	v_and_b32_e32 v8, 8, v70
	v_add_co_u32_e32 v74, vcc, v3, v8
	v_mul_f32_e32 v3, 0x4f7ffffe, v5
	v_cvt_u32_f32_e32 v3, v3
	s_sub_i32 s12, 0, s19
	v_cmp_eq_u32_e64 s[4:5], 0, v2
	v_lshlrev_b32_e32 v76, 8, v2
	v_mul_lo_u32 v2, s12, v3
	s_lshl_b64 s[12:13], s[36:37], 2
	v_mul_hi_u32 v2, v3, v2
	s_add_u32 s12, s34, s12
	v_addc_co_u32_e32 v75, vcc, 0, v4, vcc
	v_add_u32_e32 v77, v3, v2
	v_lshlrev_b64 v[2:3], 2, v[6:7]
	s_addc_u32 s13, s35, s13
	v_mov_b32_e32 v4, s13
	v_add_co_u32_e32 v2, vcc, s12, v2
	v_addc_co_u32_e32 v3, vcc, v4, v3, vcc
	v_lshlrev_b32_e32 v4, 2, v73
	v_lshl_or_b32 v4, v71, 7, v4
	v_add_u32_e32 v80, 0x210, v4
	v_subrev_u32_e32 v4, s31, v73
	v_mbcnt_hi_u32_b32 v83, -1, v72
	v_add_u32_e32 v81, 1, v4
	v_and_b32_e32 v4, 64, v83
	s_mov_b32 s53, s17
	v_cmp_neq_f32_e64 s[10:11], s7, 0
	v_lshl_add_u32 v79, v71, 5, s51
	s_mov_b64 s[44:45], 0
	v_mov_b32_e32 v82, 0xff7fffff
	s_movk_i32 s54, 0x1000
	s_movk_i32 s55, 0x2000
	;; [unrolled: 1-line block ×3, first 2 shown]
	v_xor_b32_e32 v84, 1, v83
	v_add_u32_e32 v85, 64, v4
	v_mov_b32_e32 v78, 0xff7fffff
	v_mov_b32_e32 v86, v6
	s_branch .LBB116_14
.LBB116_12:                             ;   in Loop: Header=BB116_14 Depth=1
	s_or_b64 exec, exec, s[12:13]
.LBB116_13:                             ;   in Loop: Header=BB116_14 Depth=1
	s_or_b64 exec, exec, s[46:47]
	v_add_co_u32_e32 v2, vcc, 8, v2
	v_add_u32_e32 v86, 2, v86
	v_addc_co_u32_e32 v3, vcc, 0, v3, vcc
	v_cmp_le_i32_e32 vcc, s20, v86
	v_add_u32_e32 v79, 64, v79
	s_or_b64 s[44:45], vcc, s[44:45]
	v_add_u32_e32 v80, 0x100, v80
	s_andn2_b64 exec, exec, s[44:45]
	s_cbranch_execz .LBB116_19
.LBB116_14:                             ; =>This Inner Loop Header: Depth=1
	s_waitcnt lgkmcnt(0)
	v_sub_u32_e32 v5, 0, v79
	v_max_i32_e32 v5, v79, v5
	v_mul_hi_u32 v8, v5, s48
	v_mul_lo_u32 v9, v8, s33
	v_sub_u32_e32 v5, v5, v9
	v_add_u32_e32 v9, 1, v8
	v_cmp_le_u32_e32 vcc, s33, v5
	v_cndmask_b32_e32 v8, v8, v9, vcc
	v_subrev_u32_e32 v9, s33, v5
	v_cndmask_b32_e32 v5, v5, v9, vcc
	v_ashrrev_i32_e32 v4, 31, v79
	v_add_u32_e32 v9, 1, v8
	v_cmp_le_u32_e32 vcc, s33, v5
	v_xor_b32_e32 v4, s23, v4
	v_cndmask_b32_e32 v5, v8, v9, vcc
	v_xor_b32_e32 v5, v5, v4
	v_sub_u32_e32 v4, v5, v4
	v_add_u32_e32 v5, s49, v4
	v_sub_u32_e32 v9, 0, v5
	v_ashrrev_i32_e32 v8, 31, v5
	v_max_i32_e32 v5, v5, v9
	v_mul_hi_u32 v9, v5, v77
	v_mul_lo_u32 v9, v9, s19
	v_sub_u32_e32 v5, v5, v9
	v_subrev_u32_e32 v9, s19, v5
	v_cmp_le_u32_e32 vcc, s19, v5
	v_cndmask_b32_e32 v5, v5, v9, vcc
	v_subrev_u32_e32 v9, s19, v5
	v_cmp_le_u32_e32 vcc, s19, v5
	v_cndmask_b32_e32 v5, v5, v9, vcc
	v_xor_b32_e32 v5, v5, v8
	v_sub_u32_e32 v5, v5, v8
	v_cmp_ne_u32_e32 vcc, 0, v5
	v_cmp_ge_i32_e64 s[12:13], s52, v4
	s_and_b64 s[12:13], vcc, s[12:13]
	s_and_b64 s[58:59], s[4:5], s[12:13]
	s_and_saveexec_b64 s[46:47], s[58:59]
	s_cbranch_execz .LBB116_16
; %bb.15:                               ;   in Loop: Header=BB116_14 Depth=1
	ds_write_b32 v80, v82
.LBB116_16:                             ;   in Loop: Header=BB116_14 Depth=1
	s_or_b64 exec, exec, s[46:47]
	s_xor_b64 s[12:13], s[12:13], -1
	s_and_saveexec_b64 s[46:47], s[12:13]
	s_cbranch_execz .LBB116_13
; %bb.17:                               ;   in Loop: Header=BB116_14 Depth=1
	global_load_dword v4, v[2:3], off
	s_waitcnt vmcnt(0)
	v_mad_i64_i32 v[4:5], s[12:13], v4, s53, 0
	v_lshlrev_b64 v[4:5], 1, v[4:5]
	v_add_co_u32_e32 v4, vcc, v74, v4
	v_addc_co_u32_e32 v5, vcc, v75, v5, vcc
	global_load_dwordx2 v[68:69], v[4:5], off
	global_load_dwordx2 v[64:65], v[4:5], off offset:512
	global_load_dwordx2 v[66:67], v[4:5], off offset:1024
	;; [unrolled: 1-line block ×7, first 2 shown]
	ds_read_b64 v[8:9], v76
	v_add_co_u32_e64 v22, s[12:13], s56, v4
	v_addc_co_u32_e64 v23, s[12:13], 0, v5, s[12:13]
	s_waitcnt lgkmcnt(0)
	v_lshrrev_b32_e32 v88, 16, v8
	v_and_b32_e32 v87, 0xffff, v8
	v_add_co_u32_e32 v8, vcc, s54, v4
	s_mov_b64 s[12:13], vcc
	v_lshrrev_b32_e32 v89, 16, v9
	v_and_b32_e32 v90, 0xffff, v9
	v_add_co_u32_e32 v92, vcc, s55, v4
	v_addc_co_u32_e64 v9, s[12:13], 0, v5, s[12:13]
	global_load_dwordx2 v[18:19], v[22:23], off offset:512
	global_load_dwordx2 v[16:17], v[22:23], off offset:1024
	;; [unrolled: 1-line block ×4, first 2 shown]
	v_addc_co_u32_e32 v93, vcc, 0, v5, vcc
	global_load_dwordx2 v[50:51], v[8:9], off offset:512
	global_load_dwordx2 v[48:49], v[8:9], off offset:1024
	;; [unrolled: 1-line block ×6, first 2 shown]
	global_load_dwordx2 v[20:21], v[22:23], off
	global_load_dwordx2 v[38:39], v[8:9], off offset:3584
	global_load_dwordx2 v[10:11], v[22:23], off offset:2560
	s_nop 0
	global_load_dwordx2 v[8:9], v[22:23], off offset:3072
	global_load_dwordx2 v[4:5], v[22:23], off offset:3584
	global_load_dwordx2 v[54:55], v[92:93], off offset:-4096
	global_load_dwordx2 v[36:37], v[92:93], off
	global_load_dwordx2 v[34:35], v[92:93], off offset:512
	global_load_dwordx2 v[32:33], v[92:93], off offset:1024
	;; [unrolled: 1-line block ×7, first 2 shown]
	;;#ASMSTART
	v_cvt_f32_f16 v87, v87;
	;;#ASMEND
	;;#ASMSTART
	v_cvt_f32_f16 v88, v88;
	;;#ASMEND
	v_cmp_lt_i32_e32 vcc, v84, v85
	s_waitcnt vmcnt(31)
	v_lshrrev_b32_e32 v91, 16, v68
	v_and_b32_e32 v68, 0xffff, v68
	v_lshrrev_b32_e32 v92, 16, v69
	v_and_b32_e32 v69, 0xffff, v69
	;;#ASMSTART
	v_cvt_f32_f16 v68, v68;
	;;#ASMEND
	s_waitcnt vmcnt(26)
	v_and_b32_e32 v103, 0xffff, v58
	v_lshrrev_b32_e32 v104, 16, v58
	v_and_b32_e32 v105, 0xffff, v59
	v_lshrrev_b32_e32 v106, 16, v59
	;;#ASMSTART
	v_cvt_f32_f16 v91, v91;
	;;#ASMEND
	;;#ASMSTART
	v_cvt_f32_f16 v90, v90;
	;;#ASMEND
	;; [unrolled: 3-line block ×5, first 2 shown]
	ds_read_b64 v[58:59], v76 offset:8
	v_and_b32_e32 v93, 0xffff, v64
	v_lshrrev_b32_e32 v64, 16, v64
	v_and_b32_e32 v94, 0xffff, v65
	v_lshrrev_b32_e32 v65, 16, v65
	s_waitcnt vmcnt(25)
	v_and_b32_e32 v107, 0xffff, v56
	v_lshrrev_b32_e32 v108, 16, v56
	v_and_b32_e32 v109, 0xffff, v57
	v_lshrrev_b32_e32 v110, 16, v57
	s_waitcnt lgkmcnt(0)
	v_and_b32_e32 v56, 0xffff, v58
	v_lshrrev_b32_e32 v57, 16, v58
	v_lshrrev_b32_e32 v58, 16, v59
	v_and_b32_e32 v59, 0xffff, v59
	v_and_b32_e32 v99, 0xffff, v60
	v_lshrrev_b32_e32 v100, 16, v60
	v_and_b32_e32 v101, 0xffff, v61
	v_lshrrev_b32_e32 v102, 16, v61
	;;#ASMSTART
	v_cvt_f32_f16 v56, v56;
	;;#ASMEND
	;;#ASMSTART
	v_cvt_f32_f16 v57, v57;
	;;#ASMEND
	;; [unrolled: 3-line block ×8, first 2 shown]
	ds_read_b64 v[60:61], v76 offset:16
	v_and_b32_e32 v95, 0xffff, v66
	v_lshrrev_b32_e32 v66, 16, v66
	v_and_b32_e32 v96, 0xffff, v67
	v_lshrrev_b32_e32 v67, 16, v67
	v_mul_f32_e32 v56, v56, v93
	v_mul_f32_e32 v57, v57, v64
	;; [unrolled: 1-line block ×4, first 2 shown]
	s_waitcnt lgkmcnt(0)
	v_and_b32_e32 v64, 0xffff, v60
	v_lshrrev_b32_e32 v60, 16, v60
	v_lshrrev_b32_e32 v65, 16, v61
	v_and_b32_e32 v61, 0xffff, v61
	v_fmac_f32_e32 v56, v87, v68
	v_fmac_f32_e32 v57, v88, v91
	;; [unrolled: 1-line block ×3, first 2 shown]
	;;#ASMSTART
	v_cvt_f32_f16 v64, v64;
	;;#ASMEND
	;;#ASMSTART
	v_cvt_f32_f16 v68, v60;
	;;#ASMEND
	;; [unrolled: 3-line block ×8, first 2 shown]
	ds_read_b64 v[60:61], v76 offset:24
	v_fmac_f32_e32 v59, v89, v92
	v_and_b32_e32 v97, 0xffff, v62
	v_lshrrev_b32_e32 v62, 16, v62
	v_and_b32_e32 v98, 0xffff, v63
	v_lshrrev_b32_e32 v63, 16, v63
	v_fmac_f32_e32 v56, v64, v69
	v_fmac_f32_e32 v59, v65, v67
	s_waitcnt lgkmcnt(0)
	v_and_b32_e32 v64, 0xffff, v60
	v_lshrrev_b32_e32 v60, 16, v60
	v_lshrrev_b32_e32 v65, 16, v61
	v_and_b32_e32 v61, 0xffff, v61
	v_fmac_f32_e32 v57, v68, v66
	;;#ASMSTART
	v_cvt_f32_f16 v64, v64;
	;;#ASMEND
	;;#ASMSTART
	v_cvt_f32_f16 v66, v60;
	;;#ASMEND
	;; [unrolled: 3-line block ×8, first 2 shown]
	ds_read_b64 v[60:61], v76 offset:32
	v_fmac_f32_e32 v58, v87, v88
	v_fmac_f32_e32 v57, v66, v62
	;; [unrolled: 1-line block ×4, first 2 shown]
	s_waitcnt lgkmcnt(0)
	v_and_b32_e32 v62, 0xffff, v60
	v_lshrrev_b32_e32 v60, 16, v60
	v_lshrrev_b32_e32 v63, 16, v61
	v_and_b32_e32 v61, 0xffff, v61
	v_fmac_f32_e32 v58, v68, v69
	;;#ASMSTART
	v_cvt_f32_f16 v62, v62;
	;;#ASMEND
	;;#ASMSTART
	v_cvt_f32_f16 v64, v60;
	;;#ASMEND
	;; [unrolled: 3-line block ×8, first 2 shown]
	ds_read_b64 v[60:61], v76 offset:40
	v_fmac_f32_e32 v56, v62, v65
	v_fmac_f32_e32 v59, v63, v69
	;; [unrolled: 1-line block ×4, first 2 shown]
	s_waitcnt lgkmcnt(0)
	v_and_b32_e32 v62, 0xffff, v60
	v_lshrrev_b32_e32 v60, 16, v60
	v_lshrrev_b32_e32 v63, 16, v61
	v_and_b32_e32 v61, 0xffff, v61
	;;#ASMSTART
	v_cvt_f32_f16 v62, v62;
	;;#ASMEND
	;;#ASMSTART
	v_cvt_f32_f16 v64, v60;
	;;#ASMEND
	;; [unrolled: 3-line block ×8, first 2 shown]
	ds_read_b64 v[60:61], v76 offset:48
	v_fmac_f32_e32 v56, v62, v65
	v_fmac_f32_e32 v59, v63, v69
	;; [unrolled: 1-line block ×4, first 2 shown]
	s_waitcnt lgkmcnt(0)
	v_and_b32_e32 v62, 0xffff, v60
	v_lshrrev_b32_e32 v60, 16, v60
	v_lshrrev_b32_e32 v63, 16, v61
	v_and_b32_e32 v61, 0xffff, v61
	;;#ASMSTART
	v_cvt_f32_f16 v62, v62;
	;;#ASMEND
	;;#ASMSTART
	v_cvt_f32_f16 v64, v60;
	;;#ASMEND
	;; [unrolled: 3-line block ×8, first 2 shown]
	ds_read_b64 v[60:61], v76 offset:56
	s_waitcnt vmcnt(24)
	v_and_b32_e32 v111, 0xffff, v52
	v_fmac_f32_e32 v56, v62, v65
	v_lshrrev_b32_e32 v52, 16, v52
	v_fmac_f32_e32 v57, v64, v66
	s_waitcnt lgkmcnt(0)
	v_and_b32_e32 v62, 0xffff, v60
	v_lshrrev_b32_e32 v60, 16, v60
	v_fmac_f32_e32 v59, v63, v69
	;;#ASMSTART
	v_cvt_f32_f16 v62, v62;
	;;#ASMEND
	;;#ASMSTART
	v_cvt_f32_f16 v60, v60;
	;;#ASMEND
	;;#ASMSTART
	v_cvt_f32_f16 v63, v111;
	;;#ASMEND
	;;#ASMSTART
	v_cvt_f32_f16 v64, v52;
	;;#ASMEND
	v_lshrrev_b32_e32 v52, 16, v61
	v_and_b32_e32 v61, 0xffff, v61
	;;#ASMSTART
	v_cvt_f32_f16 v61, v61;
	;;#ASMEND
	;;#ASMSTART
	v_cvt_f32_f16 v65, v52;
	;;#ASMEND
	v_and_b32_e32 v52, 0xffff, v53
	;;#ASMSTART
	v_cvt_f32_f16 v66, v52;
	;;#ASMEND
	v_lshrrev_b32_e32 v52, 16, v53
	v_fmac_f32_e32 v58, v67, v68
	;;#ASMSTART
	v_cvt_f32_f16 v67, v52;
	;;#ASMEND
	ds_read_b64 v[52:53], v76 offset:64
	v_fmac_f32_e32 v57, v60, v64
	v_fmac_f32_e32 v58, v61, v66
	;; [unrolled: 1-line block ×4, first 2 shown]
	s_waitcnt lgkmcnt(0)
	v_and_b32_e32 v60, 0xffff, v52
	v_lshrrev_b32_e32 v52, 16, v52
	;;#ASMSTART
	v_cvt_f32_f16 v60, v60;
	;;#ASMEND
	;;#ASMSTART
	v_cvt_f32_f16 v61, v52;
	;;#ASMEND
	s_waitcnt vmcnt(8)
	v_and_b32_e32 v52, 0xffff, v54
	;;#ASMSTART
	v_cvt_f32_f16 v62, v52;
	;;#ASMEND
	v_lshrrev_b32_e32 v52, 16, v54
	;;#ASMSTART
	v_cvt_f32_f16 v54, v52;
	;;#ASMEND
	v_lshrrev_b32_e32 v52, 16, v53
	v_and_b32_e32 v53, 0xffff, v53
	;;#ASMSTART
	v_cvt_f32_f16 v63, v53;
	;;#ASMEND
	;;#ASMSTART
	v_cvt_f32_f16 v64, v52;
	;;#ASMEND
	v_and_b32_e32 v52, 0xffff, v55
	;;#ASMSTART
	v_cvt_f32_f16 v65, v52;
	;;#ASMEND
	v_lshrrev_b32_e32 v52, 16, v55
	;;#ASMSTART
	v_cvt_f32_f16 v55, v52;
	;;#ASMEND
	ds_read_b64 v[52:53], v76 offset:72
	v_fmac_f32_e32 v57, v61, v54
	v_fmac_f32_e32 v59, v64, v55
	v_and_b32_e32 v55, 0xffff, v50
	v_lshrrev_b32_e32 v50, 16, v50
	s_waitcnt lgkmcnt(0)
	v_and_b32_e32 v54, 0xffff, v52
	v_lshrrev_b32_e32 v52, 16, v52
	v_fmac_f32_e32 v56, v60, v62
	;;#ASMSTART
	v_cvt_f32_f16 v54, v54;
	;;#ASMEND
	;;#ASMSTART
	v_cvt_f32_f16 v52, v52;
	;;#ASMEND
	;; [unrolled: 3-line block ×4, first 2 shown]
	v_lshrrev_b32_e32 v50, 16, v53
	v_and_b32_e32 v53, 0xffff, v53
	v_lshrrev_b32_e32 v61, 16, v51
	v_and_b32_e32 v51, 0xffff, v51
	v_fmac_f32_e32 v58, v63, v65
	;;#ASMSTART
	v_cvt_f32_f16 v53, v53;
	;;#ASMEND
	;;#ASMSTART
	v_cvt_f32_f16 v62, v50;
	;;#ASMEND
	;; [unrolled: 3-line block ×4, first 2 shown]
	ds_read_b64 v[50:51], v76 offset:80
	v_fmac_f32_e32 v57, v52, v60
	v_fmac_f32_e32 v58, v53, v63
	v_and_b32_e32 v53, 0xffff, v48
	v_lshrrev_b32_e32 v48, 16, v48
	s_waitcnt lgkmcnt(0)
	v_lshrrev_b32_e32 v52, 16, v50
	v_and_b32_e32 v50, 0xffff, v50
	v_fmac_f32_e32 v56, v54, v55
	;;#ASMSTART
	v_cvt_f32_f16 v50, v50;
	;;#ASMEND
	;;#ASMSTART
	v_cvt_f32_f16 v52, v52;
	;;#ASMEND
	;; [unrolled: 3-line block ×4, first 2 shown]
	v_lshrrev_b32_e32 v48, 16, v51
	v_and_b32_e32 v51, 0xffff, v51
	;;#ASMSTART
	v_cvt_f32_f16 v51, v51;
	;;#ASMEND
	;;#ASMSTART
	v_cvt_f32_f16 v55, v48;
	;;#ASMEND
	v_lshrrev_b32_e32 v48, 16, v49
	v_and_b32_e32 v49, 0xffff, v49
	v_fmac_f32_e32 v59, v62, v61
	;;#ASMSTART
	v_cvt_f32_f16 v60, v49;
	;;#ASMEND
	;;#ASMSTART
	v_cvt_f32_f16 v61, v48;
	;;#ASMEND
	ds_read_b64 v[48:49], v76 offset:88
	v_fmac_f32_e32 v56, v50, v53
	v_fmac_f32_e32 v58, v51, v60
	v_lshrrev_b32_e32 v51, 16, v46
	v_and_b32_e32 v46, 0xffff, v46
	s_waitcnt lgkmcnt(0)
	v_lshrrev_b32_e32 v50, 16, v48
	v_and_b32_e32 v48, 0xffff, v48
	v_fmac_f32_e32 v57, v52, v54
	;;#ASMSTART
	v_cvt_f32_f16 v48, v48;
	;;#ASMEND
	;;#ASMSTART
	v_cvt_f32_f16 v50, v50;
	;;#ASMEND
	;;#ASMSTART
	v_cvt_f32_f16 v52, v46;
	;;#ASMEND
	v_lshrrev_b32_e32 v46, 16, v49
	v_and_b32_e32 v49, 0xffff, v49
	;;#ASMSTART
	v_cvt_f32_f16 v51, v51;
	;;#ASMEND
	;;#ASMSTART
	v_cvt_f32_f16 v49, v49;
	;;#ASMEND
	;;#ASMSTART
	v_cvt_f32_f16 v53, v46;
	;;#ASMEND
	v_lshrrev_b32_e32 v46, 16, v47
	v_and_b32_e32 v47, 0xffff, v47
	v_fmac_f32_e32 v59, v55, v61
	;;#ASMSTART
	v_cvt_f32_f16 v54, v47;
	;;#ASMEND
	;;#ASMSTART
	v_cvt_f32_f16 v55, v46;
	;;#ASMEND
	ds_read_b64 v[46:47], v76 offset:96
	v_fmac_f32_e32 v56, v48, v52
	v_fmac_f32_e32 v58, v49, v54
	v_lshrrev_b32_e32 v49, 16, v44
	v_and_b32_e32 v44, 0xffff, v44
	s_waitcnt lgkmcnt(0)
	v_lshrrev_b32_e32 v48, 16, v46
	v_and_b32_e32 v46, 0xffff, v46
	v_fmac_f32_e32 v57, v50, v51
	;;#ASMSTART
	v_cvt_f32_f16 v46, v46;
	;;#ASMEND
	;;#ASMSTART
	v_cvt_f32_f16 v48, v48;
	;;#ASMEND
	;;#ASMSTART
	v_cvt_f32_f16 v50, v44;
	;;#ASMEND
	v_lshrrev_b32_e32 v44, 16, v47
	v_and_b32_e32 v47, 0xffff, v47
	;;#ASMSTART
	v_cvt_f32_f16 v49, v49;
	;;#ASMEND
	;; [unrolled: 38-line block ×5, first 2 shown]
	;;#ASMSTART
	v_cvt_f32_f16 v41, v41;
	;;#ASMEND
	;;#ASMSTART
	v_cvt_f32_f16 v45, v38;
	;;#ASMEND
	v_lshrrev_b32_e32 v38, 16, v39
	v_and_b32_e32 v39, 0xffff, v39
	v_fmac_f32_e32 v59, v47, v49
	;;#ASMSTART
	v_cvt_f32_f16 v46, v39;
	;;#ASMEND
	;;#ASMSTART
	v_cvt_f32_f16 v47, v38;
	;;#ASMEND
	ds_read_b64 v[38:39], v76 offset:128
	v_fmac_f32_e32 v56, v40, v44
	v_fmac_f32_e32 v58, v41, v46
	s_waitcnt vmcnt(7)
	v_lshrrev_b32_e32 v41, 16, v36
	v_and_b32_e32 v36, 0xffff, v36
	s_waitcnt lgkmcnt(0)
	v_lshrrev_b32_e32 v40, 16, v38
	v_and_b32_e32 v38, 0xffff, v38
	v_fmac_f32_e32 v57, v42, v43
	;;#ASMSTART
	v_cvt_f32_f16 v38, v38;
	;;#ASMEND
	;;#ASMSTART
	v_cvt_f32_f16 v40, v40;
	;;#ASMEND
	;;#ASMSTART
	v_cvt_f32_f16 v42, v36;
	;;#ASMEND
	v_lshrrev_b32_e32 v36, 16, v39
	v_and_b32_e32 v39, 0xffff, v39
	;;#ASMSTART
	v_cvt_f32_f16 v41, v41;
	;;#ASMEND
	;;#ASMSTART
	v_cvt_f32_f16 v39, v39;
	;;#ASMEND
	;;#ASMSTART
	v_cvt_f32_f16 v43, v36;
	;;#ASMEND
	v_lshrrev_b32_e32 v36, 16, v37
	v_and_b32_e32 v37, 0xffff, v37
	v_fmac_f32_e32 v59, v45, v47
	;;#ASMSTART
	v_cvt_f32_f16 v44, v37;
	;;#ASMEND
	;;#ASMSTART
	v_cvt_f32_f16 v45, v36;
	;;#ASMEND
	ds_read_b64 v[36:37], v76 offset:136
	v_fmac_f32_e32 v56, v38, v42
	v_fmac_f32_e32 v58, v39, v44
	s_waitcnt vmcnt(6)
	v_lshrrev_b32_e32 v39, 16, v34
	v_and_b32_e32 v34, 0xffff, v34
	s_waitcnt lgkmcnt(0)
	v_lshrrev_b32_e32 v38, 16, v36
	v_and_b32_e32 v36, 0xffff, v36
	v_fmac_f32_e32 v57, v40, v41
	;;#ASMSTART
	v_cvt_f32_f16 v36, v36;
	;;#ASMEND
	;;#ASMSTART
	v_cvt_f32_f16 v38, v38;
	;;#ASMEND
	;;#ASMSTART
	v_cvt_f32_f16 v40, v34;
	;;#ASMEND
	v_lshrrev_b32_e32 v34, 16, v37
	v_and_b32_e32 v37, 0xffff, v37
	;;#ASMSTART
	v_cvt_f32_f16 v39, v39;
	;;#ASMEND
	;; [unrolled: 39-line block ×8, first 2 shown]
	;;#ASMSTART
	v_cvt_f32_f16 v25, v25;
	;;#ASMEND
	;;#ASMSTART
	v_cvt_f32_f16 v29, v22;
	;;#ASMEND
	v_lshrrev_b32_e32 v22, 16, v23
	v_and_b32_e32 v23, 0xffff, v23
	v_fmac_f32_e32 v59, v31, v33
	;;#ASMSTART
	v_cvt_f32_f16 v30, v23;
	;;#ASMEND
	;;#ASMSTART
	v_cvt_f32_f16 v31, v22;
	;;#ASMEND
	ds_read_b64 v[22:23], v76 offset:192
	v_fmac_f32_e32 v56, v24, v28
	v_fmac_f32_e32 v58, v25, v30
	v_lshrrev_b32_e32 v25, 16, v20
	v_and_b32_e32 v20, 0xffff, v20
	s_waitcnt lgkmcnt(0)
	v_lshrrev_b32_e32 v24, 16, v22
	v_and_b32_e32 v22, 0xffff, v22
	v_fmac_f32_e32 v57, v26, v27
	;;#ASMSTART
	v_cvt_f32_f16 v22, v22;
	;;#ASMEND
	;;#ASMSTART
	v_cvt_f32_f16 v24, v24;
	;;#ASMEND
	;;#ASMSTART
	v_cvt_f32_f16 v26, v20;
	;;#ASMEND
	v_lshrrev_b32_e32 v20, 16, v23
	v_and_b32_e32 v23, 0xffff, v23
	;;#ASMSTART
	v_cvt_f32_f16 v25, v25;
	;;#ASMEND
	;;#ASMSTART
	v_cvt_f32_f16 v23, v23;
	;;#ASMEND
	;;#ASMSTART
	v_cvt_f32_f16 v27, v20;
	;;#ASMEND
	v_lshrrev_b32_e32 v20, 16, v21
	v_and_b32_e32 v21, 0xffff, v21
	v_fmac_f32_e32 v59, v29, v31
	;;#ASMSTART
	v_cvt_f32_f16 v28, v21;
	;;#ASMEND
	;;#ASMSTART
	v_cvt_f32_f16 v29, v20;
	;;#ASMEND
	ds_read_b64 v[20:21], v76 offset:200
	v_fmac_f32_e32 v56, v22, v26
	v_fmac_f32_e32 v58, v23, v28
	v_lshrrev_b32_e32 v23, 16, v18
	v_and_b32_e32 v18, 0xffff, v18
	s_waitcnt lgkmcnt(0)
	v_lshrrev_b32_e32 v22, 16, v20
	v_and_b32_e32 v20, 0xffff, v20
	v_fmac_f32_e32 v57, v24, v25
	;;#ASMSTART
	v_cvt_f32_f16 v20, v20;
	;;#ASMEND
	;;#ASMSTART
	v_cvt_f32_f16 v22, v22;
	;;#ASMEND
	;;#ASMSTART
	v_cvt_f32_f16 v24, v18;
	;;#ASMEND
	v_lshrrev_b32_e32 v18, 16, v21
	v_and_b32_e32 v21, 0xffff, v21
	;;#ASMSTART
	v_cvt_f32_f16 v23, v23;
	;;#ASMEND
	;; [unrolled: 38-line block ×7, first 2 shown]
	;;#ASMSTART
	v_cvt_f32_f16 v11, v11;
	;;#ASMEND
	;;#ASMSTART
	v_cvt_f32_f16 v15, v8;
	;;#ASMEND
	v_lshrrev_b32_e32 v8, 16, v9
	v_and_b32_e32 v9, 0xffff, v9
	v_fmac_f32_e32 v59, v17, v19
	;;#ASMSTART
	v_cvt_f32_f16 v16, v9;
	;;#ASMEND
	;;#ASMSTART
	v_cvt_f32_f16 v17, v8;
	;;#ASMEND
	ds_read_b64 v[8:9], v76 offset:248
	v_fmac_f32_e32 v56, v10, v14
	v_fmac_f32_e32 v58, v11, v16
	v_lshrrev_b32_e32 v11, 16, v4
	v_and_b32_e32 v4, 0xffff, v4
	s_waitcnt lgkmcnt(0)
	v_lshrrev_b32_e32 v10, 16, v8
	v_and_b32_e32 v8, 0xffff, v8
	;;#ASMSTART
	v_cvt_f32_f16 v8, v8;
	;;#ASMEND
	;;#ASMSTART
	v_cvt_f32_f16 v10, v10;
	;;#ASMEND
	;; [unrolled: 3-line block ×3, first 2 shown]
	v_fmac_f32_e32 v57, v12, v13
	v_fmac_f32_e32 v56, v8, v4
	v_lshrrev_b32_e32 v4, 16, v9
	v_and_b32_e32 v8, 0xffff, v9
	v_fmac_f32_e32 v59, v15, v17
	;;#ASMSTART
	v_cvt_f32_f16 v11, v11;
	;;#ASMEND
	v_fmac_f32_e32 v57, v10, v11
	;;#ASMSTART
	v_cvt_f32_f16 v8, v8;
	;;#ASMEND
	;;#ASMSTART
	v_cvt_f32_f16 v4, v4;
	;;#ASMEND
	v_lshrrev_b32_e32 v9, 16, v5
	v_and_b32_e32 v5, 0xffff, v5
	;;#ASMSTART
	v_cvt_f32_f16 v5, v5;
	;;#ASMEND
	;;#ASMSTART
	v_cvt_f32_f16 v9, v9;
	;;#ASMEND
	v_fmac_f32_e32 v58, v8, v5
	v_fmac_f32_e32 v59, v4, v9
	v_add_f32_e32 v4, v56, v57
	v_add_f32_e32 v4, v4, v58
	v_cndmask_b32_e32 v5, v83, v84, vcc
	v_add_f32_e32 v4, v59, v4
	v_lshlrev_b32_e32 v5, 2, v5
	ds_bpermute_b32 v5, v5, v4
	s_and_saveexec_b64 s[12:13], s[4:5]
	s_cbranch_execz .LBB116_12
; %bb.18:                               ;   in Loop: Header=BB116_14 Depth=1
	v_add_u32_e32 v8, v81, v79
	v_cvt_f32_i32_e32 v8, v8
	s_waitcnt lgkmcnt(0)
	v_add_f32_e32 v4, v4, v5
	v_add_u32_e32 v9, v73, v79
	v_cmp_gt_i32_e32 vcc, s31, v9
	v_mul_f32_e32 v5, s7, v8
	v_cndmask_b32_e64 v5, 0, v5, s[10:11]
	v_fmac_f32_e32 v5, s41, v4
	v_cndmask_b32_e32 v4, 0, v5, vcc
	ds_write_b32 v80, v4
	v_max_f32_e32 v4, v78, v78
	v_max_f32_e32 v4, v4, v5
	v_cndmask_b32_e32 v78, v78, v4, vcc
	s_branch .LBB116_12
.LBB116_19:
	s_or_b64 exec, exec, s[44:45]
.LBB116_20:
	s_or_b64 exec, exec, s[42:43]
	v_mbcnt_hi_u32_b32 v4, -1, v72
	v_and_b32_e32 v2, 64, v4
	v_add_u32_e32 v11, 64, v2
	v_xor_b32_e32 v2, 32, v4
	v_cmp_lt_i32_e32 vcc, v2, v11
	v_cndmask_b32_e32 v2, v4, v2, vcc
	v_lshlrev_b32_e32 v2, 2, v2
	ds_bpermute_b32 v3, v2, v78
	v_xor_b32_e32 v8, 16, v4
	s_waitcnt lgkmcnt(1)
	v_max_f32_e32 v5, v78, v78
	v_cmp_lt_i32_e32 vcc, v8, v11
	v_xor_b32_e32 v9, 8, v4
	s_waitcnt lgkmcnt(0)
	v_max_f32_e32 v3, v3, v3
	v_max_f32_e32 v5, v5, v3
	v_cndmask_b32_e32 v3, v4, v8, vcc
	v_lshlrev_b32_e32 v3, 2, v3
	ds_bpermute_b32 v8, v3, v5
	v_cmp_lt_i32_e32 vcc, v9, v11
	v_xor_b32_e32 v10, 4, v4
	v_xor_b32_e32 v12, 2, v4
	v_and_b32_e32 v28, 63, v0
	s_waitcnt lgkmcnt(0)
	v_max_f32_e32 v8, v8, v8
	v_max_f32_e32 v8, v5, v8
	v_cndmask_b32_e32 v5, v4, v9, vcc
	v_lshlrev_b32_e32 v5, 2, v5
	ds_bpermute_b32 v9, v5, v8
	v_cmp_lt_i32_e32 vcc, v10, v11
	s_waitcnt lgkmcnt(0)
	v_max_f32_e32 v9, v9, v9
	v_max_f32_e32 v9, v8, v9
	v_cndmask_b32_e32 v8, v4, v10, vcc
	v_lshlrev_b32_e32 v8, 2, v8
	ds_bpermute_b32 v10, v8, v9
	v_cmp_lt_i32_e32 vcc, v12, v11
	s_waitcnt lgkmcnt(0)
	v_max_f32_e32 v10, v10, v10
	v_max_f32_e32 v10, v9, v10
	v_cndmask_b32_e32 v9, v4, v12, vcc
	v_lshlrev_b32_e32 v29, 2, v9
	ds_bpermute_b32 v12, v29, v10
	v_cmp_eq_u32_e32 vcc, 0, v28
	v_lshlrev_b32_e32 v9, 2, v71
	s_and_saveexec_b64 s[4:5], vcc
	s_cbranch_execz .LBB116_22
; %bb.21:
	s_waitcnt lgkmcnt(0)
	v_max_f32_e32 v12, v12, v12
	v_max_f32_e32 v10, v10, v10
	;; [unrolled: 1-line block ×3, first 2 shown]
	ds_write_b32 v9, v10 offset:512
.LBB116_22:
	s_or_b64 exec, exec, s[4:5]
	v_cmp_gt_u32_e64 s[4:5], 2, v28
	s_waitcnt lgkmcnt(0)
	v_mov_b32_e32 v12, 0xff7fffff
	v_lshlrev_b32_e32 v10, 2, v28
	s_barrier
	s_and_saveexec_b64 s[10:11], s[4:5]
	s_cbranch_execz .LBB116_24
; %bb.23:
	ds_read_b32 v12, v10 offset:512
.LBB116_24:
	s_or_b64 exec, exec, s[10:11]
	v_xor_b32_e32 v13, 1, v4
	v_cmp_lt_i32_e64 s[10:11], v13, v11
	v_cndmask_b32_e64 v11, v4, v13, s[10:11]
	v_lshlrev_b32_e32 v30, 2, v11
	s_waitcnt lgkmcnt(0)
	ds_bpermute_b32 v11, v30, v12
	v_max_f32_e32 v12, v12, v12
	v_lshlrev_b32_e32 v4, 2, v4
	s_sub_i32 s7, s20, s40
	s_lshl_b32 s7, s7, 5
	s_waitcnt lgkmcnt(0)
	v_max_f32_e32 v11, v11, v11
	v_max_f32_e32 v12, v12, v11
	v_and_b32_e32 v11, 0x100, v4
	ds_bpermute_b32 v4, v11, v12
	s_add_i32 s7, s7, s51
	s_min_i32 s19, s7, s31
	s_sub_i32 s7, s19, s51
	v_cmp_gt_i32_e64 s[10:11], s7, v0
	v_mov_b32_e32 v12, 0
	s_and_saveexec_b64 s[40:41], s[10:11]
	s_cbranch_execz .LBB116_28
; %bb.25:
	v_mov_b32_e32 v12, 0x210
	v_lshl_add_u32 v13, v0, 2, v12
	s_mov_b64 s[42:43], 0
	v_mov_b32_e32 v12, 0
	v_mov_b32_e32 v14, v0
.LBB116_26:                             ; =>This Inner Loop Header: Depth=1
	ds_read_b32 v15, v13
	v_add_u32_e32 v14, 0x80, v14
	v_cmp_le_i32_e64 s[12:13], s7, v14
	s_or_b64 s[42:43], s[12:13], s[42:43]
	s_waitcnt lgkmcnt(0)
	v_sub_f32_e32 v15, v15, v4
	v_mul_f32_e32 v15, 0x3fb8aa3b, v15
	v_exp_f32_e32 v15, v15
	ds_write_b32 v13, v15
	v_add_f32_e32 v12, v12, v15
	v_add_u32_e32 v13, 0x200, v13
	s_andn2_b64 exec, exec, s[42:43]
	s_cbranch_execnz .LBB116_26
; %bb.27:
	s_or_b64 exec, exec, s[42:43]
.LBB116_28:
	s_or_b64 exec, exec, s[40:41]
	ds_bpermute_b32 v2, v2, v12
	s_waitcnt lgkmcnt(0)
	v_add_f32_e32 v2, v12, v2
	ds_bpermute_b32 v3, v3, v2
	s_waitcnt lgkmcnt(0)
	v_add_f32_e32 v2, v2, v3
	;; [unrolled: 3-line block ×6, first 2 shown]
	s_and_saveexec_b64 s[12:13], vcc
	s_cbranch_execz .LBB116_30
; %bb.29:
	ds_write_b32 v9, v2 offset:520
.LBB116_30:
	s_or_b64 exec, exec, s[12:13]
	s_waitcnt lgkmcnt(0)
	s_barrier
	s_and_saveexec_b64 s[12:13], s[4:5]
	s_cbranch_execz .LBB116_32
; %bb.31:
	ds_read_b32 v2, v10 offset:520
.LBB116_32:
	s_or_b64 exec, exec, s[12:13]
	s_waitcnt lgkmcnt(0)
	ds_bpermute_b32 v3, v30, v2
	s_waitcnt lgkmcnt(0)
	v_add_f32_e32 v2, v2, v3
	ds_bpermute_b32 v5, v11, v2
	s_and_saveexec_b64 s[4:5], s[10:11]
	s_cbranch_execz .LBB116_45
; %bb.33:
	s_waitcnt lgkmcnt(0)
	v_add_f32_e32 v2, 0x358637bd, v5
	v_div_scale_f32 v3, s[10:11], v2, v2, 1.0
	v_rcp_f32_e32 v8, v3
	v_div_scale_f32 v9, vcc, 1.0, v2, 1.0
	s_movk_i32 s10, 0x7f
	v_fma_f32 v10, -v3, v8, 1.0
	v_fmac_f32_e32 v8, v10, v8
	v_mul_f32_e32 v10, v9, v8
	v_fma_f32 v11, -v3, v10, v9
	v_fmac_f32_e32 v10, v11, v8
	v_fma_f32 v3, -v3, v10, v9
	v_div_fmas_f32 v3, v3, v8, v10
	v_div_fixup_f32 v2, v3, v2, 1.0
	v_xad_u32 v3, v0, -1, s19
	v_subrev_u32_e32 v8, s51, v3
	v_cmp_lt_u32_e32 vcc, s10, v8
	s_mov_b64 s[12:13], -1
	v_mov_b32_e32 v3, v0
	s_and_saveexec_b64 s[10:11], vcc
	s_cbranch_execz .LBB116_42
; %bb.34:
	v_lshrrev_b32_e32 v8, 7, v8
	v_add_u32_e32 v10, -1, v8
	v_lshrrev_b32_e32 v9, 1, v10
	v_mov_b32_e32 v3, v2
	v_add_u32_e32 v9, 1, v9
	v_cmp_lt_u32_e32 vcc, 13, v10
	v_mov_b32_e32 v12, 0
	s_and_saveexec_b64 s[12:13], vcc
	s_cbranch_execz .LBB116_38
; %bb.35:
	v_mov_b32_e32 v11, 0x210
	v_and_b32_e32 v10, -8, v9
	v_lshl_add_u32 v11, v0, 2, v11
	s_mov_b32 s19, 0
	s_mov_b64 s[40:41], 0
.LBB116_36:                             ; =>This Inner Loop Header: Depth=1
	ds_read2st64_b32 v[12:13], v11 offset1:2
	ds_read2st64_b32 v[14:15], v11 offset0:4 offset1:6
	ds_read2st64_b32 v[16:17], v11 offset0:8 offset1:10
	;; [unrolled: 1-line block ×3, first 2 shown]
	v_add_u32_e32 v10, -8, v10
	s_waitcnt lgkmcnt(3)
	v_pk_mul_f32 v[12:13], v[2:3], v[12:13]
	s_waitcnt lgkmcnt(2)
	v_pk_mul_f32 v[14:15], v[2:3], v[14:15]
	ds_write2st64_b32 v11, v12, v13 offset1:2
	ds_write2st64_b32 v11, v14, v15 offset0:4 offset1:6
	ds_read2st64_b32 v[14:15], v11 offset0:16 offset1:18
	s_waitcnt lgkmcnt(4)
	v_pk_mul_f32 v[12:13], v[2:3], v[16:17]
	ds_write2st64_b32 v11, v12, v13 offset0:8 offset1:10
	s_waitcnt lgkmcnt(4)
	v_pk_mul_f32 v[12:13], v[2:3], v[18:19]
	ds_write2st64_b32 v11, v12, v13 offset0:12 offset1:14
	ds_read2st64_b32 v[12:13], v11 offset0:20 offset1:22
	s_waitcnt lgkmcnt(3)
	v_pk_mul_f32 v[14:15], v[2:3], v[14:15]
	ds_read2st64_b32 v[16:17], v11 offset0:24 offset1:26
	ds_write2st64_b32 v11, v14, v15 offset0:16 offset1:18
	ds_read2st64_b32 v[14:15], v11 offset0:28 offset1:30
	s_waitcnt lgkmcnt(3)
	v_pk_mul_f32 v[12:13], v[2:3], v[12:13]
	ds_write2st64_b32 v11, v12, v13 offset0:20 offset1:22
	s_waitcnt lgkmcnt(3)
	v_pk_mul_f32 v[12:13], v[2:3], v[16:17]
	ds_write2st64_b32 v11, v12, v13 offset0:24 offset1:26
	s_waitcnt lgkmcnt(2)
	v_pk_mul_f32 v[12:13], v[2:3], v[14:15]
	s_add_i32 s19, s19, 16
	v_cmp_eq_u32_e32 vcc, 0, v10
	ds_write2st64_b32 v11, v12, v13 offset0:28 offset1:30
	v_add_u32_e32 v11, 0x2000, v11
	s_or_b64 s[40:41], vcc, s[40:41]
	v_mov_b32_e32 v12, s19
	s_andn2_b64 exec, exec, s[40:41]
	s_cbranch_execnz .LBB116_36
; %bb.37:
	s_or_b64 exec, exec, s[40:41]
.LBB116_38:
	s_or_b64 exec, exec, s[12:13]
	v_and_b32_e32 v9, 7, v9
	v_cmp_ne_u32_e32 vcc, 0, v9
	s_and_saveexec_b64 s[12:13], vcc
	s_cbranch_execz .LBB116_41
; %bb.39:
	v_lshlrev_b32_e32 v10, 9, v12
	v_lshlrev_b32_e32 v11, 2, v0
	s_movk_i32 s19, 0x210
	v_add3_u32 v10, v10, v11, s19
	s_mov_b64 s[40:41], 0
.LBB116_40:                             ; =>This Inner Loop Header: Depth=1
	ds_read2st64_b32 v[12:13], v10 offset1:2
	v_add_u32_e32 v9, -1, v9
	v_cmp_eq_u32_e32 vcc, 0, v9
	s_or_b64 s[40:41], vcc, s[40:41]
	s_waitcnt lgkmcnt(0)
	v_pk_mul_f32 v[12:13], v[2:3], v[12:13]
	ds_write2st64_b32 v10, v12, v13 offset1:2
	v_add_u32_e32 v10, 0x400, v10
	s_andn2_b64 exec, exec, s[40:41]
	s_cbranch_execnz .LBB116_40
.LBB116_41:
	s_or_b64 exec, exec, s[12:13]
	v_add_u32_e32 v8, 1, v8
	v_and_b32_e32 v9, 0x3fffffe, v8
	v_cmp_ne_u32_e32 vcc, v8, v9
	v_lshl_add_u32 v3, v9, 7, v0
	s_orn2_b64 s[12:13], vcc, exec
.LBB116_42:
	s_or_b64 exec, exec, s[10:11]
	s_and_b64 exec, exec, s[12:13]
	s_cbranch_execz .LBB116_45
; %bb.43:
	v_mov_b32_e32 v8, 0x210
	v_lshl_add_u32 v8, v3, 2, v8
	s_mov_b64 s[10:11], 0
.LBB116_44:                             ; =>This Inner Loop Header: Depth=1
	ds_read_b32 v9, v8
	v_add_u32_e32 v3, 0x80, v3
	v_cmp_le_i32_e32 vcc, s7, v3
	s_or_b64 s[10:11], vcc, s[10:11]
	s_waitcnt lgkmcnt(0)
	v_mul_f32_e32 v9, v2, v9
	ds_write_b32 v8, v9
	v_add_u32_e32 v8, 0x200, v8
	s_andn2_b64 exec, exec, s[10:11]
	s_cbranch_execnz .LBB116_44
.LBB116_45:
	s_or_b64 exec, exec, s[4:5]
	s_mul_i32 s4, s15, s30
	v_cmp_eq_u32_e32 vcc, 0, v0
	s_mul_i32 s4, s4, s9
	s_waitcnt lgkmcnt(0)
	s_barrier
	s_and_saveexec_b64 s[10:11], vcc
	s_cbranch_execz .LBB116_47
; %bb.46:
	s_ashr_i32 s5, s4, 31
	s_lshl_b64 s[12:13], s[4:5], 2
	s_add_u32 s5, s26, s12
	s_mul_i32 s6, s15, s6
	s_addc_u32 s9, s27, s13
	s_ashr_i32 s7, s6, 31
	s_lshl_b64 s[6:7], s[6:7], 2
	s_add_u32 s5, s5, s6
	s_addc_u32 s19, s9, s7
	s_ashr_i32 s9, s8, 31
	s_lshl_b64 s[26:27], s[8:9], 2
	s_add_u32 s40, s5, s26
	s_addc_u32 s41, s19, s27
	s_add_u32 s5, s24, s12
	s_addc_u32 s9, s25, s13
	;; [unrolled: 2-line block ×3, first 2 shown]
	s_add_u32 s6, s5, s26
	v_mov_b32_e32 v2, 0
	s_addc_u32 s7, s7, s27
	global_store_dword v2, v4, s[40:41]
	global_store_dword v2, v5, s[6:7]
.LBB116_47:
	s_or_b64 exec, exec, s[10:11]
	v_mov_b32_e32 v22, 0
	v_and_b32_e32 v31, 3, v0
	v_mov_b32_e32 v23, 0
	v_mov_b32_e32 v20, 0
	v_mov_b32_e32 v21, 0
	v_mov_b32_e32 v18, 0
	v_mov_b32_e32 v19, 0
	v_mov_b32_e32 v16, 0
	v_mov_b32_e32 v17, 0
	v_mov_b32_e32 v14, 0
	v_mov_b32_e32 v15, 0
	v_mov_b32_e32 v12, 0
	v_mov_b32_e32 v13, 0
	v_mov_b32_e32 v10, 0
	v_mov_b32_e32 v11, 0
	v_mov_b32_e32 v8, 0
	v_mov_b32_e32 v9, 0
	s_and_saveexec_b64 s[6:7], s[2:3]
	s_cbranch_execz .LBB116_85
; %bb.48:
	s_ashr_i32 s19, s18, 31
	s_sub_i32 s5, s50, s21
	s_lshl_b64 s[2:3], s[18:19], 1
	s_add_u32 s18, s38, s2
	s_addc_u32 s19, s39, s3
	s_abs_i32 s22, s22
	v_cvt_f32_u32_e32 v3, s22
	s_sub_i32 s2, 0, s22
	s_add_i32 s21, s16, -1
	v_lshlrev_b64 v[24:25], 2, v[6:7]
	v_rcp_iflag_f32_e32 v3, v3
	v_and_b32_e32 v2, 0x1f8, v70
	v_mov_b32_e32 v9, 0
	v_or_b32_e32 v4, 0x800, v2
	v_mul_f32_e32 v3, 0x4f7ffffe, v3
	v_cvt_u32_f32_e32 v3, v3
	v_or_b32_e32 v8, 0xa00, v2
	v_or_b32_e32 v10, 0xc00, v2
	;; [unrolled: 1-line block ×3, first 2 shown]
	v_mul_lo_u32 v5, s2, v3
	s_lshl_b64 s[2:3], s[36:37], 2
	s_add_u32 s2, s34, s2
	v_mul_hi_u32 v5, v3, v5
	s_addc_u32 s3, s35, s3
	v_add_u32_e32 v33, v3, v5
	v_mov_b32_e32 v3, s3
	v_add_co_u32_e32 v24, vcc, s2, v24
	v_addc_co_u32_e32 v25, vcc, v3, v25, vcc
	v_lshlrev_b32_e32 v3, 5, v31
	v_or_b32_e32 v14, 0x1000, v2
	v_or_b32_e32 v16, 0x1200, v2
	;; [unrolled: 1-line block ×8, first 2 shown]
	v_lshl_or_b32 v3, v71, 7, v3
	v_and_b32_e32 v32, 24, v70
	s_mov_b32 s9, s17
	s_mov_b32 s24, s31
	;; [unrolled: 1-line block ×8, first 2 shown]
	v_add_u32_e32 v7, 0x210, v3
	s_mov_b64 s[10:11], 0
	v_lshlrev_b32_e32 v34, 1, v2
	s_mov_b32 s34, 0x5040100
	v_lshlrev_b32_e32 v35, 1, v4
	v_lshlrev_b32_e32 v36, 1, v8
	;; [unrolled: 1-line block ×12, first 2 shown]
	v_mov_b32_e32 v8, v9
	v_mov_b32_e32 v11, v9
	;; [unrolled: 1-line block ×15, first 2 shown]
	s_branch .LBB116_51
.LBB116_49:                             ;   in Loop: Header=BB116_51 Depth=1
	s_or_b64 exec, exec, s[2:3]
	v_add_f32_e32 v47, v87, v88
	v_add_f32_e32 v8, v8, v47
	;; [unrolled: 1-line block ×9, first 2 shown]
	s_waitcnt vmcnt(0)
	;;#ASMSTART
	v_pk_mul_f16 v2, v54, v2;

	;;#ASMEND
	v_add_f32_e32 v12, v12, v47
	v_add_f32_e32 v47, v77, v78
	;;#ASMSTART
	v_pk_mul_f16 v3, v53, v3;

	;;#ASMEND
	;;#ASMSTART
	v_pk_mul_f16 v4, v52, v4;

	;;#ASMEND
	;; [unrolled: 4-line block ×3, first 2 shown]
	;;#ASMSTART
	v_pk_add_f16 v2, v2, v3;

	;;#ASMEND
	v_add_f32_e32 v15, v15, v47
	v_add_f32_e32 v47, v75, v76
	;;#ASMSTART
	v_pk_add_f16 v2, v2, v4;

	;;#ASMEND
	v_add_f32_e32 v14, v14, v47
	v_add_f32_e32 v47, v73, v74
	;; [unrolled: 1-line block ×3, first 2 shown]
	;;#ASMSTART
	v_pk_add_f16 v2, v2, v5;

	;;#ASMEND
	v_add_f32_e32 v17, v17, v47
	v_add_f32_e32 v47, v71, v72
	;; [unrolled: 1-line block ×4, first 2 shown]
	v_lshrrev_b32_e32 v3, 16, v2
	v_and_b32_e32 v2, 0xffff, v2
	v_add_f32_e32 v16, v16, v47
	v_add_f32_e32 v47, v69, v70
	;; [unrolled: 1-line block ×4, first 2 shown]
	;;#ASMSTART
	v_cvt_f32_f16 v2, v2;
	;;#ASMEND
	v_add_f32_e32 v19, v19, v47
	v_add_f32_e32 v47, v67, v68
	;; [unrolled: 1-line block ×4, first 2 shown]
	;;#ASMSTART
	v_cvt_f32_f16 v3, v3;
	;;#ASMEND
	v_add_f32_e32 v2, v2, v3
	v_add_f32_e32 v18, v18, v47
	;; [unrolled: 1-line block ×4, first 2 shown]
.LBB116_50:                             ;   in Loop: Header=BB116_51 Depth=1
	s_or_b64 exec, exec, s[12:13]
	v_add_co_u32_e32 v24, vcc, 8, v24
	v_add_u32_e32 v6, 2, v6
	v_addc_co_u32_e32 v25, vcc, 0, v25, vcc
	v_cmp_le_i32_e32 vcc, s20, v6
	v_add_u32_e32 v1, 64, v1
	s_or_b64 s[10:11], vcc, s[10:11]
	v_add_u32_e32 v7, 0x100, v7
	s_andn2_b64 exec, exec, s[10:11]
	s_cbranch_execz .LBB116_84
.LBB116_51:                             ; =>This Inner Loop Header: Depth=1
	v_sub_u32_e32 v3, 0, v1
	v_max_i32_e32 v3, v1, v3
	v_mul_hi_u32 v4, v3, s48
	v_mul_lo_u32 v5, v4, s33
	v_sub_u32_e32 v3, v3, v5
	v_add_u32_e32 v5, 1, v4
	v_cmp_le_u32_e32 vcc, s33, v3
	v_cndmask_b32_e32 v4, v4, v5, vcc
	v_subrev_u32_e32 v5, s33, v3
	v_cndmask_b32_e32 v3, v3, v5, vcc
	v_ashrrev_i32_e32 v2, 31, v1
	v_add_u32_e32 v5, 1, v4
	v_cmp_le_u32_e32 vcc, s33, v3
	v_xor_b32_e32 v2, s23, v2
	v_cndmask_b32_e32 v3, v4, v5, vcc
	v_xor_b32_e32 v3, v3, v2
	v_sub_u32_e32 v2, v3, v2
	v_add_u32_e32 v3, s49, v2
	v_sub_u32_e32 v5, 0, v3
	v_ashrrev_i32_e32 v4, 31, v3
	v_max_i32_e32 v3, v3, v5
	v_mul_hi_u32 v5, v3, v33
	v_mul_lo_u32 v5, v5, s22
	v_sub_u32_e32 v3, v3, v5
	v_subrev_u32_e32 v5, s22, v3
	v_cmp_le_u32_e32 vcc, s22, v3
	v_cndmask_b32_e32 v3, v3, v5, vcc
	v_subrev_u32_e32 v5, s22, v3
	v_cmp_le_u32_e32 vcc, s22, v3
	v_cndmask_b32_e32 v3, v3, v5, vcc
	v_xor_b32_e32 v3, v3, v4
	v_sub_u32_e32 v3, v3, v4
	v_cmp_eq_u32_e32 vcc, 0, v3
	v_cmp_lt_i32_e64 s[2:3], s5, v2
	s_or_b64 s[2:3], vcc, s[2:3]
	s_and_saveexec_b64 s[12:13], s[2:3]
	s_cbranch_execz .LBB116_50
; %bb.52:                               ;   in Loop: Header=BB116_51 Depth=1
	global_load_dword v26, v[24:25], off
	ds_read2_b64 v[2:5], v7 offset1:1
	ds_read2_b64 v[54:57], v7 offset0:2 offset1:3
	v_mov_b32_e32 v27, s19
	v_add_u32_e32 v47, v32, v1
	s_waitcnt lgkmcnt(1)
	;;#ASMSTART
	v_cvt_f16_f32 v51, v2;

	;;#ASMEND
	;;#ASMSTART
	v_cvt_f16_f32 v52, v3;

	;;#ASMEND
	;; [unrolled: 4-line block ×4, first 2 shown]
	s_waitcnt lgkmcnt(0)
	;;#ASMSTART
	v_cvt_f16_f32 v62, v54;

	;;#ASMEND
	;;#ASMSTART
	v_cvt_f16_f32 v63, v55;

	;;#ASMEND
	;; [unrolled: 4-line block ×4, first 2 shown]
	v_add_u32_e32 v48, 1, v47
	v_or_b32_e32 v50, 3, v47
	v_or_b32_e32 v49, 2, v47
	;; [unrolled: 1-line block ×6, first 2 shown]
	s_waitcnt vmcnt(0)
	v_mad_i64_i32 v[2:3], s[2:3], v26, s9, 0
	v_lshlrev_b64 v[2:3], 1, v[2:3]
	v_add_co_u32_e32 v59, vcc, s18, v2
	v_addc_co_u32_e32 v60, vcc, v27, v3, vcc
	v_add_co_u32_e32 v26, vcc, v59, v34
	v_addc_co_u32_e32 v27, vcc, 0, v60, vcc
	global_load_dwordx4 v[2:5], v[26:27], off
	v_cmp_eq_u32_e32 vcc, s21, v6
	s_and_saveexec_b64 s[16:17], vcc
	s_cbranch_execz .LBB116_54
; %bb.53:                               ;   in Loop: Header=BB116_51 Depth=1
	s_waitcnt vmcnt(0)
	v_lshrrev_b32_e32 v54, 16, v5
	v_cmp_gt_i32_e64 s[2:3], s39, v58
	v_cndmask_b32_e64 v54, 0, v54, s[2:3]
	v_cmp_gt_i32_e64 s[2:3], s38, v57
	v_cndmask_b32_e64 v5, 0, v5, s[2:3]
	v_perm_b32 v5, v54, v5, s34
	v_lshrrev_b32_e32 v54, 16, v4
	v_cmp_gt_i32_e64 s[2:3], s30, v56
	v_cndmask_b32_e64 v54, 0, v54, s[2:3]
	v_cmp_gt_i32_e64 s[2:3], s27, v55
	v_cndmask_b32_e64 v4, 0, v4, s[2:3]
	v_perm_b32 v4, v54, v4, s34
	;; [unrolled: 6-line block ×4, first 2 shown]
.LBB116_54:                             ;   in Loop: Header=BB116_51 Depth=1
	s_or_b64 exec, exec, s[16:17]
	v_and_b32_e32 v51, 0xffff, v51
	v_lshl_or_b32 v54, v52, 16, v51
	v_and_b32_e32 v51, 0xffff, v53
	v_lshl_or_b32 v53, v61, 16, v51
	;; [unrolled: 2-line block ×3, first 2 shown]
	v_and_b32_e32 v51, 0xffff, v64
	s_waitcnt vmcnt(0)
	;;#ASMSTART
	v_pk_mul_f16 v2, v54, v2;

	;;#ASMEND
	v_lshl_or_b32 v51, v65, 16, v51
	;;#ASMSTART
	v_pk_mul_f16 v3, v53, v3;

	;;#ASMEND
	;;#ASMSTART
	v_pk_mul_f16 v4, v52, v4;

	;;#ASMEND
	;;#ASMSTART
	v_pk_mul_f16 v5, v51, v5;

	;;#ASMEND
	;;#ASMSTART
	v_pk_add_f16 v2, v2, v3;

	;;#ASMEND
	;;#ASMSTART
	v_pk_add_f16 v2, v2, v4;

	;;#ASMEND
	;; [unrolled: 4-line block ×3, first 2 shown]
	v_lshrrev_b32_e32 v3, 16, v2
	v_and_b32_e32 v2, 0xffff, v2
	;;#ASMSTART
	v_cvt_f32_f16 v61, v2;
	;;#ASMEND
	;;#ASMSTART
	v_cvt_f32_f16 v62, v3;
	;;#ASMEND
	global_load_dwordx4 v[2:5], v[26:27], off offset:1024
	s_and_saveexec_b64 s[16:17], vcc
	s_cbranch_execz .LBB116_56
; %bb.55:                               ;   in Loop: Header=BB116_51 Depth=1
	s_waitcnt vmcnt(0)
	v_lshrrev_b32_e32 v63, 16, v5
	v_cmp_gt_i32_e64 s[2:3], s39, v58
	v_cndmask_b32_e64 v63, 0, v63, s[2:3]
	v_cmp_gt_i32_e64 s[2:3], s38, v57
	v_cndmask_b32_e64 v5, 0, v5, s[2:3]
	v_perm_b32 v5, v63, v5, s34
	v_lshrrev_b32_e32 v63, 16, v4
	v_cmp_gt_i32_e64 s[2:3], s30, v56
	v_cndmask_b32_e64 v63, 0, v63, s[2:3]
	v_cmp_gt_i32_e64 s[2:3], s27, v55
	v_cndmask_b32_e64 v4, 0, v4, s[2:3]
	v_perm_b32 v4, v63, v4, s34
	;; [unrolled: 6-line block ×4, first 2 shown]
.LBB116_56:                             ;   in Loop: Header=BB116_51 Depth=1
	s_or_b64 exec, exec, s[16:17]
	s_waitcnt vmcnt(0)
	;;#ASMSTART
	v_pk_mul_f16 v2, v54, v2;

	;;#ASMEND
	;;#ASMSTART
	v_pk_mul_f16 v3, v53, v3;

	;;#ASMEND
	;;#ASMSTART
	v_pk_mul_f16 v4, v52, v4;

	;;#ASMEND
	;;#ASMSTART
	v_pk_mul_f16 v5, v51, v5;

	;;#ASMEND
	;;#ASMSTART
	v_pk_add_f16 v2, v2, v3;

	;;#ASMEND
	;;#ASMSTART
	v_pk_add_f16 v2, v2, v4;

	;;#ASMEND
	;; [unrolled: 4-line block ×3, first 2 shown]
	v_lshrrev_b32_e32 v3, 16, v2
	v_and_b32_e32 v2, 0xffff, v2
	;;#ASMSTART
	v_cvt_f32_f16 v63, v2;
	;;#ASMEND
	;;#ASMSTART
	v_cvt_f32_f16 v64, v3;
	;;#ASMEND
	global_load_dwordx4 v[2:5], v[26:27], off offset:2048
	s_and_saveexec_b64 s[16:17], vcc
	s_cbranch_execz .LBB116_58
; %bb.57:                               ;   in Loop: Header=BB116_51 Depth=1
	s_waitcnt vmcnt(0)
	v_lshrrev_b32_e32 v65, 16, v5
	v_cmp_gt_i32_e64 s[2:3], s39, v58
	v_cndmask_b32_e64 v65, 0, v65, s[2:3]
	v_cmp_gt_i32_e64 s[2:3], s38, v57
	v_cndmask_b32_e64 v5, 0, v5, s[2:3]
	v_perm_b32 v5, v65, v5, s34
	v_lshrrev_b32_e32 v65, 16, v4
	v_cmp_gt_i32_e64 s[2:3], s30, v56
	v_cndmask_b32_e64 v65, 0, v65, s[2:3]
	v_cmp_gt_i32_e64 s[2:3], s27, v55
	v_cndmask_b32_e64 v4, 0, v4, s[2:3]
	v_perm_b32 v4, v65, v4, s34
	;; [unrolled: 6-line block ×4, first 2 shown]
.LBB116_58:                             ;   in Loop: Header=BB116_51 Depth=1
	s_or_b64 exec, exec, s[16:17]
	s_waitcnt vmcnt(0)
	;;#ASMSTART
	v_pk_mul_f16 v2, v54, v2;

	;;#ASMEND
	;;#ASMSTART
	v_pk_mul_f16 v3, v53, v3;

	;;#ASMEND
	;; [unrolled: 4-line block ×4, first 2 shown]
	;;#ASMSTART
	v_pk_add_f16 v2, v2, v3;

	;;#ASMEND
	;;#ASMSTART
	v_pk_add_f16 v2, v2, v4;

	;;#ASMEND
	;; [unrolled: 4-line block ×3, first 2 shown]
	v_lshrrev_b32_e32 v3, 16, v2
	v_and_b32_e32 v2, 0xffff, v2
	;;#ASMSTART
	v_cvt_f32_f16 v65, v2;
	;;#ASMEND
	;;#ASMSTART
	v_cvt_f32_f16 v66, v3;
	;;#ASMEND
	global_load_dwordx4 v[2:5], v[26:27], off offset:3072
	s_and_saveexec_b64 s[16:17], vcc
	s_cbranch_execz .LBB116_60
; %bb.59:                               ;   in Loop: Header=BB116_51 Depth=1
	s_waitcnt vmcnt(0)
	v_lshrrev_b32_e32 v26, 16, v5
	v_cmp_gt_i32_e64 s[2:3], s39, v58
	v_cndmask_b32_e64 v26, 0, v26, s[2:3]
	v_cmp_gt_i32_e64 s[2:3], s38, v57
	v_cndmask_b32_e64 v5, 0, v5, s[2:3]
	v_perm_b32 v5, v26, v5, s34
	v_lshrrev_b32_e32 v26, 16, v4
	v_cmp_gt_i32_e64 s[2:3], s30, v56
	v_cndmask_b32_e64 v26, 0, v26, s[2:3]
	v_cmp_gt_i32_e64 s[2:3], s27, v55
	v_cndmask_b32_e64 v4, 0, v4, s[2:3]
	v_perm_b32 v4, v26, v4, s34
	;; [unrolled: 6-line block ×4, first 2 shown]
.LBB116_60:                             ;   in Loop: Header=BB116_51 Depth=1
	s_or_b64 exec, exec, s[16:17]
	s_waitcnt vmcnt(0)
	;;#ASMSTART
	v_pk_mul_f16 v2, v54, v2;

	;;#ASMEND
	;;#ASMSTART
	v_pk_mul_f16 v3, v53, v3;

	;;#ASMEND
	;; [unrolled: 4-line block ×4, first 2 shown]
	;;#ASMSTART
	v_pk_add_f16 v2, v2, v3;

	;;#ASMEND
	;;#ASMSTART
	v_pk_add_f16 v2, v2, v4;

	;;#ASMEND
	;; [unrolled: 4-line block ×3, first 2 shown]
	v_lshrrev_b32_e32 v3, 16, v2
	v_and_b32_e32 v2, 0xffff, v2
	;;#ASMSTART
	v_cvt_f32_f16 v26, v2;
	;;#ASMEND
	v_add_co_u32_e64 v2, s[2:3], v59, v35
	;;#ASMSTART
	v_cvt_f32_f16 v27, v3;
	;;#ASMEND
	v_addc_co_u32_e64 v3, s[2:3], 0, v60, s[2:3]
	global_load_dwordx4 v[2:5], v[2:3], off
	s_and_saveexec_b64 s[16:17], vcc
	s_cbranch_execz .LBB116_62
; %bb.61:                               ;   in Loop: Header=BB116_51 Depth=1
	s_waitcnt vmcnt(0)
	v_lshrrev_b32_e32 v67, 16, v5
	v_cmp_gt_i32_e64 s[2:3], s39, v58
	v_cndmask_b32_e64 v67, 0, v67, s[2:3]
	v_cmp_gt_i32_e64 s[2:3], s38, v57
	v_cndmask_b32_e64 v5, 0, v5, s[2:3]
	v_perm_b32 v5, v67, v5, s34
	v_lshrrev_b32_e32 v67, 16, v4
	v_cmp_gt_i32_e64 s[2:3], s30, v56
	v_cndmask_b32_e64 v67, 0, v67, s[2:3]
	v_cmp_gt_i32_e64 s[2:3], s27, v55
	v_cndmask_b32_e64 v4, 0, v4, s[2:3]
	v_perm_b32 v4, v67, v4, s34
	;; [unrolled: 6-line block ×4, first 2 shown]
.LBB116_62:                             ;   in Loop: Header=BB116_51 Depth=1
	s_or_b64 exec, exec, s[16:17]
	s_waitcnt vmcnt(0)
	;;#ASMSTART
	v_pk_mul_f16 v2, v54, v2;

	;;#ASMEND
	;;#ASMSTART
	v_pk_mul_f16 v3, v53, v3;

	;;#ASMEND
	;; [unrolled: 4-line block ×4, first 2 shown]
	;;#ASMSTART
	v_pk_add_f16 v2, v2, v3;

	;;#ASMEND
	;;#ASMSTART
	v_pk_add_f16 v2, v2, v4;

	;;#ASMEND
	;; [unrolled: 4-line block ×3, first 2 shown]
	v_lshrrev_b32_e32 v3, 16, v2
	v_and_b32_e32 v2, 0xffff, v2
	;;#ASMSTART
	v_cvt_f32_f16 v67, v2;
	;;#ASMEND
	v_add_co_u32_e64 v2, s[2:3], v59, v36
	;;#ASMSTART
	v_cvt_f32_f16 v68, v3;
	;;#ASMEND
	v_addc_co_u32_e64 v3, s[2:3], 0, v60, s[2:3]
	global_load_dwordx4 v[2:5], v[2:3], off
	s_and_saveexec_b64 s[16:17], vcc
	s_cbranch_execz .LBB116_64
; %bb.63:                               ;   in Loop: Header=BB116_51 Depth=1
	s_waitcnt vmcnt(0)
	v_lshrrev_b32_e32 v69, 16, v5
	v_cmp_gt_i32_e64 s[2:3], s39, v58
	v_cndmask_b32_e64 v69, 0, v69, s[2:3]
	v_cmp_gt_i32_e64 s[2:3], s38, v57
	v_cndmask_b32_e64 v5, 0, v5, s[2:3]
	v_perm_b32 v5, v69, v5, s34
	v_lshrrev_b32_e32 v69, 16, v4
	v_cmp_gt_i32_e64 s[2:3], s30, v56
	v_cndmask_b32_e64 v69, 0, v69, s[2:3]
	v_cmp_gt_i32_e64 s[2:3], s27, v55
	v_cndmask_b32_e64 v4, 0, v4, s[2:3]
	v_perm_b32 v4, v69, v4, s34
	;; [unrolled: 6-line block ×4, first 2 shown]
.LBB116_64:                             ;   in Loop: Header=BB116_51 Depth=1
	s_or_b64 exec, exec, s[16:17]
	s_waitcnt vmcnt(0)
	;;#ASMSTART
	v_pk_mul_f16 v2, v54, v2;

	;;#ASMEND
	;;#ASMSTART
	v_pk_mul_f16 v3, v53, v3;

	;;#ASMEND
	;; [unrolled: 4-line block ×4, first 2 shown]
	;;#ASMSTART
	v_pk_add_f16 v2, v2, v3;

	;;#ASMEND
	;;#ASMSTART
	v_pk_add_f16 v2, v2, v4;

	;;#ASMEND
	;;#ASMSTART
	v_pk_add_f16 v2, v2, v5;

	;;#ASMEND
	v_lshrrev_b32_e32 v3, 16, v2
	v_and_b32_e32 v2, 0xffff, v2
	;;#ASMSTART
	v_cvt_f32_f16 v69, v2;
	;;#ASMEND
	v_add_co_u32_e64 v2, s[2:3], v59, v37
	;;#ASMSTART
	v_cvt_f32_f16 v70, v3;
	;;#ASMEND
	v_addc_co_u32_e64 v3, s[2:3], 0, v60, s[2:3]
	global_load_dwordx4 v[2:5], v[2:3], off
	s_and_saveexec_b64 s[16:17], vcc
	s_cbranch_execz .LBB116_66
; %bb.65:                               ;   in Loop: Header=BB116_51 Depth=1
	s_waitcnt vmcnt(0)
	v_lshrrev_b32_e32 v71, 16, v5
	v_cmp_gt_i32_e64 s[2:3], s39, v58
	v_cndmask_b32_e64 v71, 0, v71, s[2:3]
	v_cmp_gt_i32_e64 s[2:3], s38, v57
	v_cndmask_b32_e64 v5, 0, v5, s[2:3]
	v_perm_b32 v5, v71, v5, s34
	v_lshrrev_b32_e32 v71, 16, v4
	v_cmp_gt_i32_e64 s[2:3], s30, v56
	v_cndmask_b32_e64 v71, 0, v71, s[2:3]
	v_cmp_gt_i32_e64 s[2:3], s27, v55
	v_cndmask_b32_e64 v4, 0, v4, s[2:3]
	v_perm_b32 v4, v71, v4, s34
	;; [unrolled: 6-line block ×4, first 2 shown]
.LBB116_66:                             ;   in Loop: Header=BB116_51 Depth=1
	s_or_b64 exec, exec, s[16:17]
	s_waitcnt vmcnt(0)
	;;#ASMSTART
	v_pk_mul_f16 v2, v54, v2;

	;;#ASMEND
	;;#ASMSTART
	v_pk_mul_f16 v3, v53, v3;

	;;#ASMEND
	;; [unrolled: 4-line block ×4, first 2 shown]
	;;#ASMSTART
	v_pk_add_f16 v2, v2, v3;

	;;#ASMEND
	;;#ASMSTART
	v_pk_add_f16 v2, v2, v4;

	;;#ASMEND
	;; [unrolled: 4-line block ×3, first 2 shown]
	v_lshrrev_b32_e32 v3, 16, v2
	v_and_b32_e32 v2, 0xffff, v2
	;;#ASMSTART
	v_cvt_f32_f16 v71, v2;
	;;#ASMEND
	v_add_co_u32_e64 v2, s[2:3], v59, v38
	;;#ASMSTART
	v_cvt_f32_f16 v72, v3;
	;;#ASMEND
	v_addc_co_u32_e64 v3, s[2:3], 0, v60, s[2:3]
	global_load_dwordx4 v[2:5], v[2:3], off
	s_and_saveexec_b64 s[16:17], vcc
	s_cbranch_execz .LBB116_68
; %bb.67:                               ;   in Loop: Header=BB116_51 Depth=1
	s_waitcnt vmcnt(0)
	v_lshrrev_b32_e32 v73, 16, v5
	v_cmp_gt_i32_e64 s[2:3], s39, v58
	v_cndmask_b32_e64 v73, 0, v73, s[2:3]
	v_cmp_gt_i32_e64 s[2:3], s38, v57
	v_cndmask_b32_e64 v5, 0, v5, s[2:3]
	v_perm_b32 v5, v73, v5, s34
	v_lshrrev_b32_e32 v73, 16, v4
	v_cmp_gt_i32_e64 s[2:3], s30, v56
	v_cndmask_b32_e64 v73, 0, v73, s[2:3]
	v_cmp_gt_i32_e64 s[2:3], s27, v55
	v_cndmask_b32_e64 v4, 0, v4, s[2:3]
	v_perm_b32 v4, v73, v4, s34
	;; [unrolled: 6-line block ×4, first 2 shown]
.LBB116_68:                             ;   in Loop: Header=BB116_51 Depth=1
	s_or_b64 exec, exec, s[16:17]
	s_waitcnt vmcnt(0)
	;;#ASMSTART
	v_pk_mul_f16 v2, v54, v2;

	;;#ASMEND
	;;#ASMSTART
	v_pk_mul_f16 v3, v53, v3;

	;;#ASMEND
	;; [unrolled: 4-line block ×4, first 2 shown]
	;;#ASMSTART
	v_pk_add_f16 v2, v2, v3;

	;;#ASMEND
	;;#ASMSTART
	v_pk_add_f16 v2, v2, v4;

	;;#ASMEND
	;; [unrolled: 4-line block ×3, first 2 shown]
	v_lshrrev_b32_e32 v3, 16, v2
	v_and_b32_e32 v2, 0xffff, v2
	;;#ASMSTART
	v_cvt_f32_f16 v73, v2;
	;;#ASMEND
	v_add_co_u32_e64 v2, s[2:3], v59, v39
	;;#ASMSTART
	v_cvt_f32_f16 v74, v3;
	;;#ASMEND
	v_addc_co_u32_e64 v3, s[2:3], 0, v60, s[2:3]
	global_load_dwordx4 v[2:5], v[2:3], off
	s_and_saveexec_b64 s[16:17], vcc
	s_cbranch_execz .LBB116_70
; %bb.69:                               ;   in Loop: Header=BB116_51 Depth=1
	s_waitcnt vmcnt(0)
	v_lshrrev_b32_e32 v75, 16, v5
	v_cmp_gt_i32_e64 s[2:3], s39, v58
	v_cndmask_b32_e64 v75, 0, v75, s[2:3]
	v_cmp_gt_i32_e64 s[2:3], s38, v57
	v_cndmask_b32_e64 v5, 0, v5, s[2:3]
	v_perm_b32 v5, v75, v5, s34
	v_lshrrev_b32_e32 v75, 16, v4
	v_cmp_gt_i32_e64 s[2:3], s30, v56
	v_cndmask_b32_e64 v75, 0, v75, s[2:3]
	v_cmp_gt_i32_e64 s[2:3], s27, v55
	v_cndmask_b32_e64 v4, 0, v4, s[2:3]
	v_perm_b32 v4, v75, v4, s34
	;; [unrolled: 6-line block ×4, first 2 shown]
.LBB116_70:                             ;   in Loop: Header=BB116_51 Depth=1
	s_or_b64 exec, exec, s[16:17]
	s_waitcnt vmcnt(0)
	;;#ASMSTART
	v_pk_mul_f16 v2, v54, v2;

	;;#ASMEND
	;;#ASMSTART
	v_pk_mul_f16 v3, v53, v3;

	;;#ASMEND
	;; [unrolled: 4-line block ×4, first 2 shown]
	;;#ASMSTART
	v_pk_add_f16 v2, v2, v3;

	;;#ASMEND
	;;#ASMSTART
	v_pk_add_f16 v2, v2, v4;

	;;#ASMEND
	;; [unrolled: 4-line block ×3, first 2 shown]
	v_lshrrev_b32_e32 v3, 16, v2
	v_and_b32_e32 v2, 0xffff, v2
	;;#ASMSTART
	v_cvt_f32_f16 v75, v2;
	;;#ASMEND
	v_add_co_u32_e64 v2, s[2:3], v59, v40
	;;#ASMSTART
	v_cvt_f32_f16 v76, v3;
	;;#ASMEND
	v_addc_co_u32_e64 v3, s[2:3], 0, v60, s[2:3]
	global_load_dwordx4 v[2:5], v[2:3], off
	s_and_saveexec_b64 s[16:17], vcc
	s_cbranch_execz .LBB116_72
; %bb.71:                               ;   in Loop: Header=BB116_51 Depth=1
	s_waitcnt vmcnt(0)
	v_lshrrev_b32_e32 v77, 16, v5
	v_cmp_gt_i32_e64 s[2:3], s39, v58
	v_cndmask_b32_e64 v77, 0, v77, s[2:3]
	v_cmp_gt_i32_e64 s[2:3], s38, v57
	v_cndmask_b32_e64 v5, 0, v5, s[2:3]
	v_perm_b32 v5, v77, v5, s34
	v_lshrrev_b32_e32 v77, 16, v4
	v_cmp_gt_i32_e64 s[2:3], s30, v56
	v_cndmask_b32_e64 v77, 0, v77, s[2:3]
	v_cmp_gt_i32_e64 s[2:3], s27, v55
	v_cndmask_b32_e64 v4, 0, v4, s[2:3]
	v_perm_b32 v4, v77, v4, s34
	;; [unrolled: 6-line block ×4, first 2 shown]
.LBB116_72:                             ;   in Loop: Header=BB116_51 Depth=1
	s_or_b64 exec, exec, s[16:17]
	s_waitcnt vmcnt(0)
	;;#ASMSTART
	v_pk_mul_f16 v2, v54, v2;

	;;#ASMEND
	;;#ASMSTART
	v_pk_mul_f16 v3, v53, v3;

	;;#ASMEND
	;;#ASMSTART
	v_pk_mul_f16 v4, v52, v4;

	;;#ASMEND
	;;#ASMSTART
	v_pk_mul_f16 v5, v51, v5;

	;;#ASMEND
	;;#ASMSTART
	v_pk_add_f16 v2, v2, v3;

	;;#ASMEND
	;;#ASMSTART
	v_pk_add_f16 v2, v2, v4;

	;;#ASMEND
	;; [unrolled: 4-line block ×3, first 2 shown]
	v_lshrrev_b32_e32 v3, 16, v2
	v_and_b32_e32 v2, 0xffff, v2
	;;#ASMSTART
	v_cvt_f32_f16 v77, v2;
	;;#ASMEND
	v_add_co_u32_e64 v2, s[2:3], v59, v41
	;;#ASMSTART
	v_cvt_f32_f16 v78, v3;
	;;#ASMEND
	v_addc_co_u32_e64 v3, s[2:3], 0, v60, s[2:3]
	global_load_dwordx4 v[2:5], v[2:3], off
	s_and_saveexec_b64 s[16:17], vcc
	s_cbranch_execz .LBB116_74
; %bb.73:                               ;   in Loop: Header=BB116_51 Depth=1
	s_waitcnt vmcnt(0)
	v_lshrrev_b32_e32 v79, 16, v5
	v_cmp_gt_i32_e64 s[2:3], s39, v58
	v_cndmask_b32_e64 v79, 0, v79, s[2:3]
	v_cmp_gt_i32_e64 s[2:3], s38, v57
	v_cndmask_b32_e64 v5, 0, v5, s[2:3]
	v_perm_b32 v5, v79, v5, s34
	v_lshrrev_b32_e32 v79, 16, v4
	v_cmp_gt_i32_e64 s[2:3], s30, v56
	v_cndmask_b32_e64 v79, 0, v79, s[2:3]
	v_cmp_gt_i32_e64 s[2:3], s27, v55
	v_cndmask_b32_e64 v4, 0, v4, s[2:3]
	v_perm_b32 v4, v79, v4, s34
	v_lshrrev_b32_e32 v79, 16, v3
	v_cmp_gt_i32_e64 s[2:3], s26, v50
	v_cndmask_b32_e64 v79, 0, v79, s[2:3]
	v_cmp_gt_i32_e64 s[2:3], s25, v49
	v_cndmask_b32_e64 v3, 0, v3, s[2:3]
	v_perm_b32 v3, v79, v3, s34
	v_lshrrev_b32_e32 v79, 16, v2
	v_cmp_gt_i32_e64 s[2:3], s24, v48
	v_cndmask_b32_e64 v79, 0, v79, s[2:3]
	v_cmp_gt_i32_e64 s[2:3], s31, v47
	v_cndmask_b32_e64 v2, 0, v2, s[2:3]
	v_perm_b32 v2, v79, v2, s34
.LBB116_74:                             ;   in Loop: Header=BB116_51 Depth=1
	s_or_b64 exec, exec, s[16:17]
	s_waitcnt vmcnt(0)
	;;#ASMSTART
	v_pk_mul_f16 v2, v54, v2;

	;;#ASMEND
	;;#ASMSTART
	v_pk_mul_f16 v3, v53, v3;

	;;#ASMEND
	;; [unrolled: 4-line block ×4, first 2 shown]
	;;#ASMSTART
	v_pk_add_f16 v2, v2, v3;

	;;#ASMEND
	;;#ASMSTART
	v_pk_add_f16 v2, v2, v4;

	;;#ASMEND
	;;#ASMSTART
	v_pk_add_f16 v2, v2, v5;

	;;#ASMEND
	v_lshrrev_b32_e32 v3, 16, v2
	v_and_b32_e32 v2, 0xffff, v2
	;;#ASMSTART
	v_cvt_f32_f16 v79, v2;
	;;#ASMEND
	v_add_co_u32_e64 v2, s[2:3], v59, v42
	;;#ASMSTART
	v_cvt_f32_f16 v80, v3;
	;;#ASMEND
	v_addc_co_u32_e64 v3, s[2:3], 0, v60, s[2:3]
	global_load_dwordx4 v[2:5], v[2:3], off
	s_and_saveexec_b64 s[16:17], vcc
	s_cbranch_execz .LBB116_76
; %bb.75:                               ;   in Loop: Header=BB116_51 Depth=1
	s_waitcnt vmcnt(0)
	v_lshrrev_b32_e32 v81, 16, v5
	v_cmp_gt_i32_e64 s[2:3], s39, v58
	v_cndmask_b32_e64 v81, 0, v81, s[2:3]
	v_cmp_gt_i32_e64 s[2:3], s38, v57
	v_cndmask_b32_e64 v5, 0, v5, s[2:3]
	v_perm_b32 v5, v81, v5, s34
	v_lshrrev_b32_e32 v81, 16, v4
	v_cmp_gt_i32_e64 s[2:3], s30, v56
	v_cndmask_b32_e64 v81, 0, v81, s[2:3]
	v_cmp_gt_i32_e64 s[2:3], s27, v55
	v_cndmask_b32_e64 v4, 0, v4, s[2:3]
	v_perm_b32 v4, v81, v4, s34
	;; [unrolled: 6-line block ×4, first 2 shown]
.LBB116_76:                             ;   in Loop: Header=BB116_51 Depth=1
	s_or_b64 exec, exec, s[16:17]
	s_waitcnt vmcnt(0)
	;;#ASMSTART
	v_pk_mul_f16 v2, v54, v2;

	;;#ASMEND
	;;#ASMSTART
	v_pk_mul_f16 v3, v53, v3;

	;;#ASMEND
	;; [unrolled: 4-line block ×4, first 2 shown]
	;;#ASMSTART
	v_pk_add_f16 v2, v2, v3;

	;;#ASMEND
	;;#ASMSTART
	v_pk_add_f16 v2, v2, v4;

	;;#ASMEND
	;; [unrolled: 4-line block ×3, first 2 shown]
	v_lshrrev_b32_e32 v3, 16, v2
	v_and_b32_e32 v2, 0xffff, v2
	;;#ASMSTART
	v_cvt_f32_f16 v81, v2;
	;;#ASMEND
	v_add_co_u32_e64 v2, s[2:3], v59, v43
	;;#ASMSTART
	v_cvt_f32_f16 v82, v3;
	;;#ASMEND
	v_addc_co_u32_e64 v3, s[2:3], 0, v60, s[2:3]
	global_load_dwordx4 v[2:5], v[2:3], off
	s_and_saveexec_b64 s[16:17], vcc
	s_cbranch_execz .LBB116_78
; %bb.77:                               ;   in Loop: Header=BB116_51 Depth=1
	s_waitcnt vmcnt(0)
	v_lshrrev_b32_e32 v83, 16, v5
	v_cmp_gt_i32_e64 s[2:3], s39, v58
	v_cndmask_b32_e64 v83, 0, v83, s[2:3]
	v_cmp_gt_i32_e64 s[2:3], s38, v57
	v_cndmask_b32_e64 v5, 0, v5, s[2:3]
	v_perm_b32 v5, v83, v5, s34
	v_lshrrev_b32_e32 v83, 16, v4
	v_cmp_gt_i32_e64 s[2:3], s30, v56
	v_cndmask_b32_e64 v83, 0, v83, s[2:3]
	v_cmp_gt_i32_e64 s[2:3], s27, v55
	v_cndmask_b32_e64 v4, 0, v4, s[2:3]
	v_perm_b32 v4, v83, v4, s34
	v_lshrrev_b32_e32 v83, 16, v3
	v_cmp_gt_i32_e64 s[2:3], s26, v50
	v_cndmask_b32_e64 v83, 0, v83, s[2:3]
	v_cmp_gt_i32_e64 s[2:3], s25, v49
	v_cndmask_b32_e64 v3, 0, v3, s[2:3]
	v_perm_b32 v3, v83, v3, s34
	v_lshrrev_b32_e32 v83, 16, v2
	v_cmp_gt_i32_e64 s[2:3], s24, v48
	v_cndmask_b32_e64 v83, 0, v83, s[2:3]
	v_cmp_gt_i32_e64 s[2:3], s31, v47
	v_cndmask_b32_e64 v2, 0, v2, s[2:3]
	v_perm_b32 v2, v83, v2, s34
.LBB116_78:                             ;   in Loop: Header=BB116_51 Depth=1
	s_or_b64 exec, exec, s[16:17]
	s_waitcnt vmcnt(0)
	;;#ASMSTART
	v_pk_mul_f16 v2, v54, v2;

	;;#ASMEND
	;;#ASMSTART
	v_pk_mul_f16 v3, v53, v3;

	;;#ASMEND
	;; [unrolled: 4-line block ×4, first 2 shown]
	;;#ASMSTART
	v_pk_add_f16 v2, v2, v3;

	;;#ASMEND
	;;#ASMSTART
	v_pk_add_f16 v2, v2, v4;

	;;#ASMEND
	;; [unrolled: 4-line block ×3, first 2 shown]
	v_lshrrev_b32_e32 v3, 16, v2
	v_and_b32_e32 v2, 0xffff, v2
	;;#ASMSTART
	v_cvt_f32_f16 v83, v2;
	;;#ASMEND
	v_add_co_u32_e64 v2, s[2:3], v59, v44
	;;#ASMSTART
	v_cvt_f32_f16 v84, v3;
	;;#ASMEND
	v_addc_co_u32_e64 v3, s[2:3], 0, v60, s[2:3]
	global_load_dwordx4 v[2:5], v[2:3], off
	s_and_saveexec_b64 s[16:17], vcc
	s_cbranch_execz .LBB116_80
; %bb.79:                               ;   in Loop: Header=BB116_51 Depth=1
	s_waitcnt vmcnt(0)
	v_lshrrev_b32_e32 v85, 16, v5
	v_cmp_gt_i32_e64 s[2:3], s39, v58
	v_cndmask_b32_e64 v85, 0, v85, s[2:3]
	v_cmp_gt_i32_e64 s[2:3], s38, v57
	v_cndmask_b32_e64 v5, 0, v5, s[2:3]
	v_perm_b32 v5, v85, v5, s34
	v_lshrrev_b32_e32 v85, 16, v4
	v_cmp_gt_i32_e64 s[2:3], s30, v56
	v_cndmask_b32_e64 v85, 0, v85, s[2:3]
	v_cmp_gt_i32_e64 s[2:3], s27, v55
	v_cndmask_b32_e64 v4, 0, v4, s[2:3]
	v_perm_b32 v4, v85, v4, s34
	;; [unrolled: 6-line block ×4, first 2 shown]
.LBB116_80:                             ;   in Loop: Header=BB116_51 Depth=1
	s_or_b64 exec, exec, s[16:17]
	s_waitcnt vmcnt(0)
	;;#ASMSTART
	v_pk_mul_f16 v2, v54, v2;

	;;#ASMEND
	;;#ASMSTART
	v_pk_mul_f16 v3, v53, v3;

	;;#ASMEND
	;; [unrolled: 4-line block ×4, first 2 shown]
	;;#ASMSTART
	v_pk_add_f16 v2, v2, v3;

	;;#ASMEND
	;;#ASMSTART
	v_pk_add_f16 v2, v2, v4;

	;;#ASMEND
	;; [unrolled: 4-line block ×3, first 2 shown]
	v_lshrrev_b32_e32 v3, 16, v2
	v_and_b32_e32 v2, 0xffff, v2
	;;#ASMSTART
	v_cvt_f32_f16 v85, v2;
	;;#ASMEND
	v_add_co_u32_e64 v2, s[2:3], v59, v45
	;;#ASMSTART
	v_cvt_f32_f16 v86, v3;
	;;#ASMEND
	v_addc_co_u32_e64 v3, s[2:3], 0, v60, s[2:3]
	global_load_dwordx4 v[2:5], v[2:3], off
	s_and_saveexec_b64 s[16:17], vcc
	s_cbranch_execz .LBB116_82
; %bb.81:                               ;   in Loop: Header=BB116_51 Depth=1
	s_waitcnt vmcnt(0)
	v_lshrrev_b32_e32 v87, 16, v5
	v_cmp_gt_i32_e64 s[2:3], s39, v58
	v_cndmask_b32_e64 v87, 0, v87, s[2:3]
	v_cmp_gt_i32_e64 s[2:3], s38, v57
	v_cndmask_b32_e64 v5, 0, v5, s[2:3]
	v_perm_b32 v5, v87, v5, s34
	v_lshrrev_b32_e32 v87, 16, v4
	v_cmp_gt_i32_e64 s[2:3], s30, v56
	v_cndmask_b32_e64 v87, 0, v87, s[2:3]
	v_cmp_gt_i32_e64 s[2:3], s27, v55
	v_cndmask_b32_e64 v4, 0, v4, s[2:3]
	v_perm_b32 v4, v87, v4, s34
	;; [unrolled: 6-line block ×4, first 2 shown]
.LBB116_82:                             ;   in Loop: Header=BB116_51 Depth=1
	s_or_b64 exec, exec, s[16:17]
	s_waitcnt vmcnt(0)
	;;#ASMSTART
	v_pk_mul_f16 v2, v54, v2;

	;;#ASMEND
	;;#ASMSTART
	v_pk_mul_f16 v3, v53, v3;

	;;#ASMEND
	;; [unrolled: 4-line block ×4, first 2 shown]
	;;#ASMSTART
	v_pk_add_f16 v2, v2, v3;

	;;#ASMEND
	;;#ASMSTART
	v_pk_add_f16 v2, v2, v4;

	;;#ASMEND
	;; [unrolled: 4-line block ×3, first 2 shown]
	v_lshrrev_b32_e32 v3, 16, v2
	v_and_b32_e32 v2, 0xffff, v2
	;;#ASMSTART
	v_cvt_f32_f16 v87, v2;
	;;#ASMEND
	v_add_co_u32_e64 v2, s[2:3], v59, v46
	;;#ASMSTART
	v_cvt_f32_f16 v88, v3;
	;;#ASMEND
	v_addc_co_u32_e64 v3, s[2:3], 0, v60, s[2:3]
	global_load_dwordx4 v[2:5], v[2:3], off
	s_and_saveexec_b64 s[2:3], vcc
	s_cbranch_execz .LBB116_49
; %bb.83:                               ;   in Loop: Header=BB116_51 Depth=1
	s_waitcnt vmcnt(0)
	v_lshrrev_b32_e32 v59, 16, v5
	v_cmp_gt_i32_e32 vcc, s39, v58
	v_cndmask_b32_e32 v58, 0, v59, vcc
	v_cmp_gt_i32_e32 vcc, s38, v57
	v_cndmask_b32_e32 v5, 0, v5, vcc
	v_lshrrev_b32_e32 v57, 16, v4
	v_cmp_gt_i32_e32 vcc, s30, v56
	v_cndmask_b32_e32 v56, 0, v57, vcc
	v_cmp_gt_i32_e32 vcc, s27, v55
	v_cndmask_b32_e32 v4, 0, v4, vcc
	;; [unrolled: 5-line block ×4, first 2 shown]
	v_perm_b32 v5, v58, v5, s34
	v_perm_b32 v4, v56, v4, s34
	;; [unrolled: 1-line block ×4, first 2 shown]
	s_branch .LBB116_49
.LBB116_84:
	s_or_b64 exec, exec, s[10:11]
.LBB116_85:
	s_or_b64 exec, exec, s[6:7]
	ds_bpermute_b32 v4, v29, v20
	ds_bpermute_b32 v5, v29, v21
	;; [unrolled: 1-line block ×6, first 2 shown]
	s_waitcnt lgkmcnt(4)
	v_pk_add_f32 v[4:5], v[20:21], v[4:5]
	ds_bpermute_b32 v20, v30, v4
	s_waitcnt lgkmcnt(3)
	v_pk_add_f32 v[2:3], v[22:23], v[2:3]
	ds_bpermute_b32 v21, v30, v5
	ds_bpermute_b32 v6, v30, v2
	;; [unrolled: 1-line block ×5, first 2 shown]
	s_waitcnt lgkmcnt(4)
	v_pk_add_f32 v[4:5], v[4:5], v[20:21]
	ds_bpermute_b32 v20, v29, v14
	ds_bpermute_b32 v21, v29, v15
	s_waitcnt lgkmcnt(4)
	v_pk_add_f32 v[2:3], v[2:3], v[6:7]
	s_waitcnt lgkmcnt(2)
	v_pk_add_f32 v[6:7], v[18:19], v[22:23]
	ds_bpermute_b32 v22, v29, v16
	ds_bpermute_b32 v23, v29, v17
	ds_bpermute_b32 v18, v30, v6
	ds_bpermute_b32 v19, v30, v7
	s_waitcnt lgkmcnt(4)
	v_pk_add_f32 v[14:15], v[14:15], v[20:21]
	ds_bpermute_b32 v20, v29, v12
	ds_bpermute_b32 v21, v29, v13
	s_waitcnt lgkmcnt(4)
	v_pk_add_f32 v[16:17], v[16:17], v[22:23]
	ds_bpermute_b32 v26, v29, v8
	ds_bpermute_b32 v27, v29, v9
	;; [unrolled: 4-line block ×3, first 2 shown]
	s_waitcnt lgkmcnt(4)
	v_pk_add_f32 v[12:13], v[12:13], v[20:21]
	v_pk_add_f32 v[10:11], v[10:11], v[24:25]
	ds_bpermute_b32 v22, v30, v14
	ds_bpermute_b32 v23, v30, v15
	;; [unrolled: 1-line block ×6, first 2 shown]
	s_waitcnt lgkmcnt(8)
	v_pk_add_f32 v[8:9], v[8:9], v[26:27]
	s_waitcnt lgkmcnt(6)
	v_pk_add_f32 v[16:17], v[16:17], v[18:19]
	ds_bpermute_b32 v18, v30, v8
	ds_bpermute_b32 v19, v30, v9
	v_and_b32_e32 v1, 0x3c3, v0
	s_waitcnt lgkmcnt(6)
	v_pk_add_f32 v[14:15], v[14:15], v[22:23]
	s_waitcnt lgkmcnt(4)
	v_pk_add_f32 v[12:13], v[12:13], v[20:21]
	s_waitcnt lgkmcnt(2)
	v_pk_add_f32 v[10:11], v[10:11], v[24:25]
	v_cmp_ne_u32_e32 vcc, 64, v1
	s_waitcnt lgkmcnt(0)
	s_barrier
	s_and_saveexec_b64 s[2:3], vcc
	s_xor_b64 s[2:3], exec, s[2:3]
; %bb.86:
                                        ; implicit-def: $vgpr28
; %bb.87:
	s_or_saveexec_b64 s[2:3], s[2:3]
	v_pk_add_f32 v[8:9], v[8:9], v[18:19]
	s_xor_b64 exec, exec, s[2:3]
	s_cbranch_execz .LBB116_89
; %bb.88:
	v_add_u32_e32 v18, 0x210, v28
	ds_write2_b32 v18, v2, v3 offset1:16
	ds_write2_b32 v18, v4, v5 offset0:32 offset1:48
	ds_write2_b32 v18, v6, v7 offset0:64 offset1:80
	;; [unrolled: 1-line block ×7, first 2 shown]
.LBB116_89:
	s_or_b64 exec, exec, s[2:3]
	s_waitcnt lgkmcnt(0)
	s_barrier
	s_and_saveexec_b64 s[2:3], s[0:1]
	s_cbranch_execz .LBB116_108
; %bb.90:
	v_cmp_eq_u32_e32 vcc, 0, v31
	v_lshrrev_b32_e32 v18, 2, v0
	s_and_saveexec_b64 s[0:1], vcc
	s_cbranch_execnz .LBB116_111
; %bb.91:
	s_or_b64 exec, exec, s[0:1]
	s_and_saveexec_b64 s[0:1], vcc
	s_cbranch_execnz .LBB116_112
.LBB116_92:
	s_or_b64 exec, exec, s[0:1]
	s_and_saveexec_b64 s[0:1], vcc
	s_cbranch_execnz .LBB116_113
.LBB116_93:
	s_or_b64 exec, exec, s[0:1]
	s_and_saveexec_b64 s[0:1], vcc
	s_cbranch_execnz .LBB116_114
.LBB116_94:
	s_or_b64 exec, exec, s[0:1]
	s_and_saveexec_b64 s[0:1], vcc
	s_cbranch_execnz .LBB116_115
.LBB116_95:
	s_or_b64 exec, exec, s[0:1]
	s_and_saveexec_b64 s[0:1], vcc
	s_cbranch_execnz .LBB116_116
.LBB116_96:
	s_or_b64 exec, exec, s[0:1]
	s_and_saveexec_b64 s[0:1], vcc
	s_cbranch_execnz .LBB116_117
.LBB116_97:
	s_or_b64 exec, exec, s[0:1]
	s_and_saveexec_b64 s[0:1], vcc
	s_cbranch_execnz .LBB116_118
.LBB116_98:
	s_or_b64 exec, exec, s[0:1]
	s_and_saveexec_b64 s[0:1], vcc
	s_cbranch_execnz .LBB116_119
.LBB116_99:
	s_or_b64 exec, exec, s[0:1]
	s_and_saveexec_b64 s[0:1], vcc
	s_cbranch_execnz .LBB116_120
.LBB116_100:
	s_or_b64 exec, exec, s[0:1]
	s_and_saveexec_b64 s[0:1], vcc
	s_cbranch_execnz .LBB116_121
.LBB116_101:
	s_or_b64 exec, exec, s[0:1]
	s_and_saveexec_b64 s[0:1], vcc
	s_cbranch_execnz .LBB116_122
.LBB116_102:
	s_or_b64 exec, exec, s[0:1]
	s_and_saveexec_b64 s[0:1], vcc
	s_cbranch_execnz .LBB116_123
.LBB116_103:
	s_or_b64 exec, exec, s[0:1]
	s_and_saveexec_b64 s[0:1], vcc
	s_cbranch_execnz .LBB116_124
.LBB116_104:
	s_or_b64 exec, exec, s[0:1]
	s_and_saveexec_b64 s[0:1], vcc
	s_cbranch_execnz .LBB116_125
.LBB116_105:
	s_or_b64 exec, exec, s[0:1]
	s_and_saveexec_b64 s[0:1], vcc
	s_cbranch_execz .LBB116_107
.LBB116_106:
	v_mov_b32_e32 v19, 0x210
	v_lshl_add_u32 v18, v18, 2, v19
	ds_read_b32 v18, v18 offset:960
	s_waitcnt lgkmcnt(0)
	v_add_f32_e32 v9, v9, v18
.LBB116_107:
	s_or_b64 exec, exec, s[0:1]
.LBB116_108:
	s_or_b64 exec, exec, s[2:3]
	v_cmp_eq_u32_e32 vcc, 0, v1
	s_barrier
	s_and_saveexec_b64 s[0:1], vcc
	s_cbranch_execz .LBB116_110
; %bb.109:
	s_lshl_b32 s0, s4, 8
	s_ashr_i32 s1, s0, 31
	s_lshl_b64 s[0:1], s[0:1], 1
	s_add_u32 s2, s28, s0
	s_mul_i32 s0, s15, s14
	s_addc_u32 s3, s29, s1
	s_ashr_i32 s1, s0, 31
	s_lshl_b64 s[0:1], s[0:1], 1
	s_add_u32 s2, s2, s0
	s_addc_u32 s3, s3, s1
	s_lshl_b32 s0, s8, 8
	s_ashr_i32 s1, s0, 31
	s_lshl_b64 s[0:1], s[0:1], 1
	s_add_u32 s0, s2, s0
	s_addc_u32 s1, s3, s1
	v_lshrrev_b32_e32 v0, 1, v0
	;;#ASMSTART
	v_cvt_f16_f32 v1, v2;

	;;#ASMEND
	global_store_short v0, v1, s[0:1]
	;;#ASMSTART
	v_cvt_f16_f32 v1, v3;

	;;#ASMEND
	global_store_short v0, v1, s[0:1] offset:32
	;;#ASMSTART
	v_cvt_f16_f32 v1, v4;

	;;#ASMEND
	global_store_short v0, v1, s[0:1] offset:64
	;; [unrolled: 5-line block ×15, first 2 shown]
.LBB116_110:
	s_endpgm
.LBB116_111:
	v_mov_b32_e32 v19, 0x210
	v_lshl_add_u32 v19, v18, 2, v19
	ds_read_b32 v19, v19
	s_waitcnt lgkmcnt(0)
	v_add_f32_e32 v2, v2, v19
	s_or_b64 exec, exec, s[0:1]
	s_and_saveexec_b64 s[0:1], vcc
	s_cbranch_execz .LBB116_92
.LBB116_112:
	v_mov_b32_e32 v19, 0x210
	v_lshl_add_u32 v19, v18, 2, v19
	ds_read_b32 v19, v19 offset:64
	s_waitcnt lgkmcnt(0)
	v_add_f32_e32 v3, v3, v19
	s_or_b64 exec, exec, s[0:1]
	s_and_saveexec_b64 s[0:1], vcc
	s_cbranch_execz .LBB116_93
.LBB116_113:
	v_mov_b32_e32 v19, 0x210
	v_lshl_add_u32 v19, v18, 2, v19
	ds_read_b32 v19, v19 offset:128
	s_waitcnt lgkmcnt(0)
	v_add_f32_e32 v4, v4, v19
	s_or_b64 exec, exec, s[0:1]
	s_and_saveexec_b64 s[0:1], vcc
	s_cbranch_execz .LBB116_94
.LBB116_114:
	v_mov_b32_e32 v19, 0x210
	v_lshl_add_u32 v19, v18, 2, v19
	ds_read_b32 v19, v19 offset:192
	s_waitcnt lgkmcnt(0)
	v_add_f32_e32 v5, v5, v19
	s_or_b64 exec, exec, s[0:1]
	s_and_saveexec_b64 s[0:1], vcc
	s_cbranch_execz .LBB116_95
.LBB116_115:
	v_mov_b32_e32 v19, 0x210
	v_lshl_add_u32 v19, v18, 2, v19
	ds_read_b32 v19, v19 offset:256
	s_waitcnt lgkmcnt(0)
	v_add_f32_e32 v6, v6, v19
	s_or_b64 exec, exec, s[0:1]
	s_and_saveexec_b64 s[0:1], vcc
	s_cbranch_execz .LBB116_96
.LBB116_116:
	v_mov_b32_e32 v19, 0x210
	v_lshl_add_u32 v19, v18, 2, v19
	ds_read_b32 v19, v19 offset:320
	s_waitcnt lgkmcnt(0)
	v_add_f32_e32 v7, v7, v19
	s_or_b64 exec, exec, s[0:1]
	s_and_saveexec_b64 s[0:1], vcc
	s_cbranch_execz .LBB116_97
.LBB116_117:
	v_mov_b32_e32 v19, 0x210
	v_lshl_add_u32 v19, v18, 2, v19
	ds_read_b32 v19, v19 offset:384
	s_waitcnt lgkmcnt(0)
	v_add_f32_e32 v16, v16, v19
	s_or_b64 exec, exec, s[0:1]
	s_and_saveexec_b64 s[0:1], vcc
	s_cbranch_execz .LBB116_98
.LBB116_118:
	v_mov_b32_e32 v19, 0x210
	v_lshl_add_u32 v19, v18, 2, v19
	ds_read_b32 v19, v19 offset:448
	s_waitcnt lgkmcnt(0)
	v_add_f32_e32 v17, v17, v19
	s_or_b64 exec, exec, s[0:1]
	s_and_saveexec_b64 s[0:1], vcc
	s_cbranch_execz .LBB116_99
.LBB116_119:
	v_mov_b32_e32 v19, 0x210
	v_lshl_add_u32 v19, v18, 2, v19
	ds_read_b32 v19, v19 offset:512
	s_waitcnt lgkmcnt(0)
	v_add_f32_e32 v14, v14, v19
	s_or_b64 exec, exec, s[0:1]
	s_and_saveexec_b64 s[0:1], vcc
	s_cbranch_execz .LBB116_100
.LBB116_120:
	v_mov_b32_e32 v19, 0x210
	v_lshl_add_u32 v19, v18, 2, v19
	ds_read_b32 v19, v19 offset:576
	s_waitcnt lgkmcnt(0)
	v_add_f32_e32 v15, v15, v19
	s_or_b64 exec, exec, s[0:1]
	s_and_saveexec_b64 s[0:1], vcc
	s_cbranch_execz .LBB116_101
.LBB116_121:
	v_mov_b32_e32 v19, 0x210
	v_lshl_add_u32 v19, v18, 2, v19
	ds_read_b32 v19, v19 offset:640
	s_waitcnt lgkmcnt(0)
	v_add_f32_e32 v12, v12, v19
	s_or_b64 exec, exec, s[0:1]
	s_and_saveexec_b64 s[0:1], vcc
	s_cbranch_execz .LBB116_102
.LBB116_122:
	v_mov_b32_e32 v19, 0x210
	v_lshl_add_u32 v19, v18, 2, v19
	ds_read_b32 v19, v19 offset:704
	s_waitcnt lgkmcnt(0)
	v_add_f32_e32 v13, v13, v19
	s_or_b64 exec, exec, s[0:1]
	s_and_saveexec_b64 s[0:1], vcc
	s_cbranch_execz .LBB116_103
.LBB116_123:
	v_mov_b32_e32 v19, 0x210
	v_lshl_add_u32 v19, v18, 2, v19
	ds_read_b32 v19, v19 offset:768
	s_waitcnt lgkmcnt(0)
	v_add_f32_e32 v10, v10, v19
	s_or_b64 exec, exec, s[0:1]
	s_and_saveexec_b64 s[0:1], vcc
	s_cbranch_execz .LBB116_104
.LBB116_124:
	v_mov_b32_e32 v19, 0x210
	v_lshl_add_u32 v19, v18, 2, v19
	ds_read_b32 v19, v19 offset:832
	s_waitcnt lgkmcnt(0)
	v_add_f32_e32 v11, v11, v19
	s_or_b64 exec, exec, s[0:1]
	s_and_saveexec_b64 s[0:1], vcc
	s_cbranch_execz .LBB116_105
.LBB116_125:
	v_mov_b32_e32 v19, 0x210
	v_lshl_add_u32 v19, v18, 2, v19
	ds_read_b32 v19, v19 offset:896
	s_waitcnt lgkmcnt(0)
	v_add_f32_e32 v8, v8, v19
	s_or_b64 exec, exec, s[0:1]
	s_and_saveexec_b64 s[0:1], vcc
	s_cbranch_execnz .LBB116_106
	s_branch .LBB116_107
	.section	.rodata,"a",@progbits
	.p2align	6, 0x0
	.amdhsa_kernel _ZN4vllm25paged_attention_v2_kernelIttLi256ELi32ELi128ELNS_18Fp8KVCacheDataTypeE0ELb1ELi512EEEvPfS2_PT_PKS3_PKT0_S9_ifPKiSB_iPKfiiiSD_SD_iiiii
		.amdhsa_group_segment_fixed_size 528
		.amdhsa_private_segment_fixed_size 0
		.amdhsa_kernarg_size 400
		.amdhsa_user_sgpr_count 6
		.amdhsa_user_sgpr_private_segment_buffer 1
		.amdhsa_user_sgpr_dispatch_ptr 0
		.amdhsa_user_sgpr_queue_ptr 0
		.amdhsa_user_sgpr_kernarg_segment_ptr 1
		.amdhsa_user_sgpr_dispatch_id 0
		.amdhsa_user_sgpr_flat_scratch_init 0
		.amdhsa_user_sgpr_kernarg_preload_length 0
		.amdhsa_user_sgpr_kernarg_preload_offset 0
		.amdhsa_user_sgpr_private_segment_size 0
		.amdhsa_uses_dynamic_stack 0
		.amdhsa_system_sgpr_private_segment_wavefront_offset 0
		.amdhsa_system_sgpr_workgroup_id_x 1
		.amdhsa_system_sgpr_workgroup_id_y 1
		.amdhsa_system_sgpr_workgroup_id_z 1
		.amdhsa_system_sgpr_workgroup_info 0
		.amdhsa_system_vgpr_workitem_id 0
		.amdhsa_next_free_vgpr 113
		.amdhsa_next_free_sgpr 60
		.amdhsa_accum_offset 116
		.amdhsa_reserve_vcc 1
		.amdhsa_reserve_flat_scratch 0
		.amdhsa_float_round_mode_32 0
		.amdhsa_float_round_mode_16_64 0
		.amdhsa_float_denorm_mode_32 3
		.amdhsa_float_denorm_mode_16_64 3
		.amdhsa_dx10_clamp 1
		.amdhsa_ieee_mode 1
		.amdhsa_fp16_overflow 0
		.amdhsa_tg_split 0
		.amdhsa_exception_fp_ieee_invalid_op 0
		.amdhsa_exception_fp_denorm_src 0
		.amdhsa_exception_fp_ieee_div_zero 0
		.amdhsa_exception_fp_ieee_overflow 0
		.amdhsa_exception_fp_ieee_underflow 0
		.amdhsa_exception_fp_ieee_inexact 0
		.amdhsa_exception_int_div_zero 0
	.end_amdhsa_kernel
	.section	.text._ZN4vllm25paged_attention_v2_kernelIttLi256ELi32ELi128ELNS_18Fp8KVCacheDataTypeE0ELb1ELi512EEEvPfS2_PT_PKS3_PKT0_S9_ifPKiSB_iPKfiiiSD_SD_iiiii,"axG",@progbits,_ZN4vllm25paged_attention_v2_kernelIttLi256ELi32ELi128ELNS_18Fp8KVCacheDataTypeE0ELb1ELi512EEEvPfS2_PT_PKS3_PKT0_S9_ifPKiSB_iPKfiiiSD_SD_iiiii,comdat
.Lfunc_end116:
	.size	_ZN4vllm25paged_attention_v2_kernelIttLi256ELi32ELi128ELNS_18Fp8KVCacheDataTypeE0ELb1ELi512EEEvPfS2_PT_PKS3_PKT0_S9_ifPKiSB_iPKfiiiSD_SD_iiiii, .Lfunc_end116-_ZN4vllm25paged_attention_v2_kernelIttLi256ELi32ELi128ELNS_18Fp8KVCacheDataTypeE0ELb1ELi512EEEvPfS2_PT_PKS3_PKT0_S9_ifPKiSB_iPKfiiiSD_SD_iiiii
                                        ; -- End function
	.section	.AMDGPU.csdata,"",@progbits
; Kernel info:
; codeLenInByte = 15420
; NumSgprs: 64
; NumVgprs: 113
; NumAgprs: 0
; TotalNumVgprs: 113
; ScratchSize: 0
; MemoryBound: 0
; FloatMode: 240
; IeeeMode: 1
; LDSByteSize: 528 bytes/workgroup (compile time only)
; SGPRBlocks: 7
; VGPRBlocks: 14
; NumSGPRsForWavesPerEU: 64
; NumVGPRsForWavesPerEU: 113
; AccumOffset: 116
; Occupancy: 4
; WaveLimiterHint : 1
; COMPUTE_PGM_RSRC2:SCRATCH_EN: 0
; COMPUTE_PGM_RSRC2:USER_SGPR: 6
; COMPUTE_PGM_RSRC2:TRAP_HANDLER: 0
; COMPUTE_PGM_RSRC2:TGID_X_EN: 1
; COMPUTE_PGM_RSRC2:TGID_Y_EN: 1
; COMPUTE_PGM_RSRC2:TGID_Z_EN: 1
; COMPUTE_PGM_RSRC2:TIDIG_COMP_CNT: 0
; COMPUTE_PGM_RSRC3_GFX90A:ACCUM_OFFSET: 28
; COMPUTE_PGM_RSRC3_GFX90A:TG_SPLIT: 0
	.section	.text._ZN4vllm25paged_attention_v2_kernelIttLi32ELi32ELi128ELNS_18Fp8KVCacheDataTypeE0ELb0ELi512EEEvPfS2_PT_PKS3_PKT0_S9_ifPKiSB_iPKfiiiSD_SD_iiiii,"axG",@progbits,_ZN4vllm25paged_attention_v2_kernelIttLi32ELi32ELi128ELNS_18Fp8KVCacheDataTypeE0ELb0ELi512EEEvPfS2_PT_PKS3_PKT0_S9_ifPKiSB_iPKfiiiSD_SD_iiiii,comdat
	.protected	_ZN4vllm25paged_attention_v2_kernelIttLi32ELi32ELi128ELNS_18Fp8KVCacheDataTypeE0ELb0ELi512EEEvPfS2_PT_PKS3_PKT0_S9_ifPKiSB_iPKfiiiSD_SD_iiiii ; -- Begin function _ZN4vllm25paged_attention_v2_kernelIttLi32ELi32ELi128ELNS_18Fp8KVCacheDataTypeE0ELb0ELi512EEEvPfS2_PT_PKS3_PKT0_S9_ifPKiSB_iPKfiiiSD_SD_iiiii
	.globl	_ZN4vllm25paged_attention_v2_kernelIttLi32ELi32ELi128ELNS_18Fp8KVCacheDataTypeE0ELb0ELi512EEEvPfS2_PT_PKS3_PKT0_S9_ifPKiSB_iPKfiiiSD_SD_iiiii
	.p2align	8
	.type	_ZN4vllm25paged_attention_v2_kernelIttLi32ELi32ELi128ELNS_18Fp8KVCacheDataTypeE0ELb0ELi512EEEvPfS2_PT_PKS3_PKT0_S9_ifPKiSB_iPKfiiiSD_SD_iiiii,@function
_ZN4vllm25paged_attention_v2_kernelIttLi32ELi32ELi128ELNS_18Fp8KVCacheDataTypeE0ELb0ELi512EEEvPfS2_PT_PKS3_PKT0_S9_ifPKiSB_iPKfiiiSD_SD_iiiii: ; @_ZN4vllm25paged_attention_v2_kernelIttLi32ELi32ELi128ELNS_18Fp8KVCacheDataTypeE0ELb0ELi512EEEvPfS2_PT_PKS3_PKT0_S9_ifPKiSB_iPKfiiiSD_SD_iiiii
; %bb.0:
	s_load_dwordx2 s[0:1], s[4:5], 0x40
	s_mov_b32 s24, s7
	s_ashr_i32 s25, s7, 31
	s_lshl_b64 s[2:3], s[24:25], 2
	s_waitcnt lgkmcnt(0)
	s_add_u32 s0, s0, s2
	s_addc_u32 s1, s1, s3
	s_load_dword s25, s[0:1], 0x0
	s_lshl_b32 s33, s8, 9
	s_waitcnt lgkmcnt(0)
	s_cmp_ge_i32 s33, s25
	s_cbranch_scc1 .LBB117_58
; %bb.1:
	s_load_dword s9, s[4:5], 0x90
	s_load_dwordx2 s[10:11], s[4:5], 0x30
	s_mov_b32 s40, 0
	s_waitcnt lgkmcnt(0)
	s_abs_i32 s2, s9
	s_abs_i32 s0, s10
	v_cvt_f32_u32_e32 v1, s0
	s_sub_i32 s3, 0, s0
	s_xor_b32 s1, s9, s10
	s_ashr_i32 s1, s1, 31
	v_rcp_iflag_f32_e32 v1, v1
	v_mul_f32_e32 v1, 0x4f7ffffe, v1
	v_cvt_u32_f32_e32 v1, v1
	v_readfirstlane_b32 s7, v1
	s_mul_i32 s3, s3, s7
	s_mul_hi_u32 s3, s7, s3
	s_add_i32 s7, s7, s3
	s_mul_hi_u32 s3, s2, s7
	s_mul_i32 s7, s3, s0
	s_sub_i32 s2, s2, s7
	s_add_i32 s10, s3, 1
	s_sub_i32 s7, s2, s0
	s_cmp_ge_u32 s2, s0
	s_cselect_b32 s3, s10, s3
	s_cselect_b32 s2, s7, s2
	s_add_i32 s7, s3, 1
	s_cmp_ge_u32 s2, s0
	s_cselect_b32 s0, s7, s3
	s_xor_b32 s0, s0, s1
	s_sub_i32 s10, s0, s1
	s_abs_i32 s2, s10
	v_cvt_f32_u32_e32 v1, s2
	s_load_dwordx2 s[0:1], s[4:5], 0x50
	s_sub_i32 s7, 0, s2
	s_abs_i32 s3, s6
	v_rcp_iflag_f32_e32 v1, v1
	v_mul_f32_e32 v1, 0x4f7ffffe, v1
	v_cvt_u32_f32_e32 v1, v1
	v_readfirstlane_b32 s12, v1
	s_mul_i32 s7, s7, s12
	s_mul_hi_u32 s7, s12, s7
	s_add_i32 s12, s12, s7
	s_waitcnt lgkmcnt(0)
	s_cmp_eq_u64 s[0:1], 0
	s_mul_hi_u32 s16, s3, s12
	s_cbranch_scc1 .LBB117_3
; %bb.2:
	s_ashr_i32 s7, s6, 31
	s_lshl_b64 s[12:13], s[6:7], 2
	s_add_u32 s0, s0, s12
	s_addc_u32 s1, s1, s13
	s_load_dword s40, s[0:1], 0x0
.LBB117_3:
	s_load_dwordx4 s[12:15], s[4:5], 0x58
	s_ashr_i32 s17, s6, 31
	s_ashr_i32 s18, s10, 31
	v_and_b32_e32 v2, 1, v0
	s_lshl_b32 s20, s6, 5
	v_cmp_gt_u32_e32 vcc, 8, v0
	v_lshlrev_b32_e32 v1, 3, v0
	s_and_saveexec_b64 s[0:1], vcc
	s_cbranch_execz .LBB117_5
; %bb.4:
	s_load_dwordx2 s[22:23], s[4:5], 0x18
	s_waitcnt lgkmcnt(0)
	s_mul_i32 s26, s24, s12
	s_ashr_i32 s27, s26, 31
	s_lshl_b64 s[26:27], s[26:27], 1
	v_lshlrev_b32_e32 v3, 2, v0
	s_add_u32 s7, s22, s26
	s_addc_u32 s10, s23, s27
	s_ashr_i32 s21, s20, 31
	s_lshl_b64 s[22:23], s[20:21], 1
	s_add_u32 s22, s7, s22
	s_addc_u32 s23, s10, s23
	global_load_dwordx2 v[4:5], v1, s[22:23]
	v_and_b32_e32 v3, 0xff8, v3
	v_lshl_add_u32 v3, v2, 5, v3
	s_waitcnt vmcnt(0)
	ds_write_b64 v3, v[4:5]
.LBB117_5:
	s_or_b64 exec, exec, s[0:1]
	s_add_i32 s0, s25, 31
	s_ashr_i32 s1, s0, 31
	s_lshr_b32 s1, s1, 27
	s_add_i32 s0, s0, s1
	s_lshl_b32 s10, s8, 4
	s_mul_i32 s1, s16, s2
	s_ashr_i32 s7, s0, 5
	s_add_i32 s0, s10, 16
	s_sub_i32 s1, s3, s1
	s_min_i32 s21, s0, s7
	s_xor_b32 s0, s17, s18
	s_add_i32 s3, s16, 1
	s_waitcnt lgkmcnt(0)
	s_sub_i32 s12, s1, s2
	s_cmp_ge_u32 s1, s2
	s_cselect_b32 s3, s3, s16
	s_cselect_b32 s1, s12, s1
	s_add_i32 s12, s3, 1
	s_cmp_ge_u32 s1, s2
	s_load_dwordx2 s[26:27], s[4:5], 0x38
	s_load_dword s2, s[4:5], 0x48
	v_lshrrev_b32_e32 v10, 6, v0
	s_cselect_b32 s1, s12, s3
	s_xor_b32 s1, s1, s0
	v_or_b32_e32 v6, s10, v10
	s_waitcnt lgkmcnt(0)
	s_mul_i32 s28, s24, s2
	s_sub_i32 s15, s1, s0
	s_ashr_i32 s29, s28, 31
	v_cmp_gt_i32_e64 s[0:1], s21, v6
	v_cmp_le_i32_e32 vcc, s21, v6
	v_mbcnt_lo_u32_b32 v4, -1, 0
	s_barrier
	s_waitcnt lgkmcnt(0)
                                        ; implicit-def: $sgpr36
                                        ; implicit-def: $vgpr8
                                        ; implicit-def: $vgpr9
	s_and_saveexec_b64 s[2:3], vcc
	s_xor_b64 s[2:3], exec, s[2:3]
; %bb.6:
	v_mbcnt_hi_u32_b32 v8, -1, v4
	v_and_b32_e32 v2, 64, v8
	v_add_u32_e32 v9, 64, v2
	s_mov_b32 s36, 0xff7fffff
                                        ; implicit-def: $vgpr2
                                        ; implicit-def: $vgpr4
; %bb.7:
	s_or_saveexec_b64 s[34:35], s[2:3]
	s_load_dwordx4 s[16:19], s[4:5], 0x0
	s_load_dwordx2 s[22:23], s[4:5], 0x10
	s_load_dwordx2 s[30:31], s[4:5], 0x28
	s_load_dword s12, s[4:5], 0x98
	v_mov_b32_e32 v12, s36
	s_mul_i32 s14, s15, s14
	v_ashrrev_i32_e32 v7, 31, v6
	v_lshlrev_b32_e32 v11, 5, v10
	s_xor_b64 exec, exec, s[34:35]
	s_cbranch_execz .LBB117_13
; %bb.8:
	s_load_dwordx2 s[2:3], s[4:5], 0x20
	s_ashr_i32 s15, s14, 31
	s_lshl_b64 s[4:5], s[14:15], 1
	v_bfe_u32 v3, v0, 1, 5
	v_lshlrev_b32_e32 v5, 4, v3
	s_waitcnt lgkmcnt(0)
	s_add_u32 s2, s2, s4
	s_addc_u32 s3, s3, s5
	v_mov_b32_e32 v8, s3
	v_add_co_u32_e32 v5, vcc, s2, v5
	v_addc_co_u32_e32 v8, vcc, 0, v8, vcc
	v_and_b32_e32 v9, 8, v1
	v_add_co_u32_e32 v13, vcc, v5, v9
	v_addc_co_u32_e32 v14, vcc, 0, v8, vcc
	v_lshlrev_b32_e32 v15, 5, v2
	v_cmp_eq_u32_e32 vcc, 0, v2
	s_sub_i32 s15, 1, s25
	v_lshlrev_b32_e32 v2, 2, v3
	s_lshl_b64 s[4:5], s[28:29], 2
	v_lshl_or_b32 v2, v10, 7, v2
	s_add_u32 s4, s26, s4
	v_add3_u32 v16, s33, v11, v3
	v_add_u32_e32 v17, 0x50, v2
	v_lshlrev_b64 v[2:3], 2, v[6:7]
	s_addc_u32 s5, s27, s5
	v_mbcnt_hi_u32_b32 v8, -1, v4
	v_mov_b32_e32 v5, s5
	v_add_co_u32_e64 v2, s[4:5], s4, v2
	v_and_b32_e32 v4, 64, v8
	s_mov_b32 s41, s13
	v_cmp_neq_f32_e64 s[2:3], s40, 0
	v_addc_co_u32_e64 v3, s[4:5], v5, v3, s[4:5]
	s_mov_b64 s[36:37], 0
	v_mov_b32_e32 v12, 0xff7fffff
	v_xor_b32_e32 v18, 1, v8
	v_add_u32_e32 v9, 64, v4
	v_mov_b32_e32 v19, v6
	s_branch .LBB117_10
.LBB117_9:                              ;   in Loop: Header=BB117_10 Depth=1
	s_or_b64 exec, exec, s[38:39]
	v_add_u32_e32 v19, 2, v19
	v_cmp_le_i32_e64 s[4:5], s21, v19
	s_or_b64 s[36:37], s[4:5], s[36:37]
	v_add_co_u32_e64 v2, s[4:5], 8, v2
	v_add_u32_e32 v16, 64, v16
	v_add_u32_e32 v17, 0x100, v17
	v_addc_co_u32_e64 v3, s[4:5], 0, v3, s[4:5]
	s_andn2_b64 exec, exec, s[36:37]
	s_cbranch_execz .LBB117_12
.LBB117_10:                             ; =>This Inner Loop Header: Depth=1
	global_load_dword v4, v[2:3], off
	s_waitcnt vmcnt(0) lgkmcnt(0)
	v_mad_i64_i32 v[4:5], s[4:5], v4, s41, 0
	v_lshlrev_b64 v[4:5], 1, v[4:5]
	v_add_co_u32_e64 v20, s[4:5], v13, v4
	v_addc_co_u32_e64 v21, s[4:5], v14, v5, s[4:5]
	global_load_dwordx2 v[22:23], v[20:21], off
	global_load_dwordx2 v[24:25], v[20:21], off offset:512
	global_load_dwordx2 v[26:27], v[20:21], off offset:1024
	;; [unrolled: 1-line block ×3, first 2 shown]
	ds_read_b64 v[20:21], v15
	v_cmp_lt_i32_e64 s[4:5], v18, v9
	v_cndmask_b32_e64 v28, v8, v18, s[4:5]
	s_waitcnt lgkmcnt(0)
	v_lshrrev_b32_e32 v29, 16, v20
	v_and_b32_e32 v20, 0xffff, v20
	v_lshrrev_b32_e32 v30, 16, v21
	v_and_b32_e32 v21, 0xffff, v21
	;;#ASMSTART
	v_cvt_f32_f16 v31, v20;
	;;#ASMEND
	;;#ASMSTART
	v_cvt_f32_f16 v29, v29;
	;;#ASMEND
	s_waitcnt vmcnt(3)
	v_lshrrev_b32_e32 v20, 16, v22
	v_and_b32_e32 v22, 0xffff, v22
	v_lshrrev_b32_e32 v32, 16, v23
	v_and_b32_e32 v23, 0xffff, v23
	;;#ASMSTART
	v_cvt_f32_f16 v22, v22;
	;;#ASMEND
	;;#ASMSTART
	v_cvt_f32_f16 v37, v20;
	;;#ASMEND
	;;#ASMSTART
	v_cvt_f32_f16 v38, v21;
	;;#ASMEND
	;;#ASMSTART
	v_cvt_f32_f16 v30, v30;
	;;#ASMEND
	;;#ASMSTART
	v_cvt_f32_f16 v23, v23;
	;;#ASMEND
	;;#ASMSTART
	v_cvt_f32_f16 v32, v32;
	;;#ASMEND
	ds_read_b64 v[20:21], v15 offset:8
	s_waitcnt vmcnt(2)
	v_lshrrev_b32_e32 v33, 16, v24
	v_and_b32_e32 v24, 0xffff, v24
	v_lshrrev_b32_e32 v34, 16, v25
	v_and_b32_e32 v25, 0xffff, v25
	s_waitcnt vmcnt(0)
	v_lshrrev_b32_e32 v39, 16, v4
	v_and_b32_e32 v40, 0xffff, v4
	v_lshrrev_b32_e32 v41, 16, v5
	v_and_b32_e32 v42, 0xffff, v5
	s_waitcnt lgkmcnt(0)
	v_lshrrev_b32_e32 v4, 16, v20
	v_and_b32_e32 v5, 0xffff, v20
	v_lshrrev_b32_e32 v20, 16, v21
	v_and_b32_e32 v21, 0xffff, v21
	;;#ASMSTART
	v_cvt_f32_f16 v43, v5;
	;;#ASMEND
	;;#ASMSTART
	v_cvt_f32_f16 v44, v4;
	;;#ASMEND
	;; [unrolled: 3-line block ×8, first 2 shown]
	ds_read_b64 v[4:5], v15 offset:16
	v_mul_f32_e32 v24, v43, v24
	v_mul_f32_e32 v21, v21, v25
	v_lshrrev_b32_e32 v35, 16, v26
	v_and_b32_e32 v26, 0xffff, v26
	v_lshrrev_b32_e32 v36, 16, v27
	v_and_b32_e32 v27, 0xffff, v27
	v_mul_f32_e32 v33, v44, v33
	v_mul_f32_e32 v20, v20, v34
	v_fmac_f32_e32 v24, v31, v22
	v_fmac_f32_e32 v21, v38, v23
	s_waitcnt lgkmcnt(0)
	v_lshrrev_b32_e32 v22, 16, v4
	v_and_b32_e32 v4, 0xffff, v4
	v_lshrrev_b32_e32 v23, 16, v5
	v_and_b32_e32 v5, 0xffff, v5
	v_fmac_f32_e32 v33, v29, v37
	v_fmac_f32_e32 v20, v30, v32
	;;#ASMSTART
	v_cvt_f32_f16 v25, v4;
	;;#ASMEND
	;;#ASMSTART
	v_cvt_f32_f16 v22, v22;
	;;#ASMEND
	;; [unrolled: 3-line block ×8, first 2 shown]
	ds_read_b64 v[4:5], v15 offset:24
	v_fmac_f32_e32 v24, v25, v26
	v_fmac_f32_e32 v33, v22, v29
	v_fmac_f32_e32 v21, v30, v27
	v_fmac_f32_e32 v20, v23, v31
	s_waitcnt lgkmcnt(0)
	v_lshrrev_b32_e32 v22, 16, v4
	v_and_b32_e32 v4, 0xffff, v4
	v_lshrrev_b32_e32 v23, 16, v5
	v_and_b32_e32 v5, 0xffff, v5
	;;#ASMSTART
	v_cvt_f32_f16 v4, v4;
	;;#ASMEND
	;;#ASMSTART
	v_cvt_f32_f16 v22, v22;
	;;#ASMEND
	;; [unrolled: 3-line block ×4, first 2 shown]
	v_fmac_f32_e32 v24, v4, v25
	v_fmac_f32_e32 v33, v22, v26
	;;#ASMSTART
	v_cvt_f32_f16 v5, v5;
	;;#ASMEND
	;;#ASMSTART
	v_cvt_f32_f16 v23, v23;
	;;#ASMEND
	;; [unrolled: 3-line block ×3, first 2 shown]
	v_fmac_f32_e32 v21, v5, v27
	v_add_f32_e32 v4, v24, v33
	;;#ASMSTART
	v_cvt_f32_f16 v29, v41;
	;;#ASMEND
	v_fmac_f32_e32 v20, v23, v29
	v_add_f32_e32 v4, v4, v21
	v_add_f32_e32 v4, v20, v4
	v_lshlrev_b32_e32 v5, 2, v28
	ds_bpermute_b32 v5, v5, v4
	s_and_saveexec_b64 s[38:39], vcc
	s_cbranch_execz .LBB117_9
; %bb.11:                               ;   in Loop: Header=BB117_10 Depth=1
	v_add_u32_e32 v20, s15, v16
	v_cvt_f32_i32_e32 v20, v20
	s_waitcnt lgkmcnt(0)
	v_add_f32_e32 v4, v4, v5
	v_cmp_gt_i32_e64 s[4:5], s25, v16
	v_max_f32_e32 v5, v12, v12
	v_mul_f32_e32 v20, s40, v20
	v_cndmask_b32_e64 v20, 0, v20, s[2:3]
	v_fmac_f32_e32 v20, s11, v4
	v_cndmask_b32_e64 v4, 0, v20, s[4:5]
	ds_write_b32 v17, v4
	v_max_f32_e32 v4, v5, v20
	v_cndmask_b32_e64 v12, v12, v4, s[4:5]
	s_branch .LBB117_9
.LBB117_12:
	s_or_b64 exec, exec, s[36:37]
.LBB117_13:
	s_or_b64 exec, exec, s[34:35]
	v_xor_b32_e32 v2, 32, v8
	v_cmp_lt_i32_e32 vcc, v2, v9
	v_cndmask_b32_e32 v2, v8, v2, vcc
	v_lshlrev_b32_e32 v2, 2, v2
	ds_bpermute_b32 v3, v2, v12
	s_waitcnt lgkmcnt(0)
	v_xor_b32_e32 v5, 16, v8
	v_max_f32_e32 v4, v12, v12
	v_cmp_lt_i32_e32 vcc, v5, v9
	v_xor_b32_e32 v12, 8, v8
	v_max_f32_e32 v3, v3, v3
	v_max_f32_e32 v4, v4, v3
	v_cndmask_b32_e32 v3, v8, v5, vcc
	v_lshlrev_b32_e32 v3, 2, v3
	ds_bpermute_b32 v5, v3, v4
	v_cmp_lt_i32_e32 vcc, v12, v9
	v_xor_b32_e32 v13, 4, v8
	v_xor_b32_e32 v14, 2, v8
	s_waitcnt lgkmcnt(0)
	v_max_f32_e32 v5, v5, v5
	v_max_f32_e32 v4, v4, v5
	v_cndmask_b32_e32 v5, v8, v12, vcc
	v_lshlrev_b32_e32 v5, 2, v5
	ds_bpermute_b32 v12, v5, v4
	v_cmp_lt_i32_e32 vcc, v13, v9
	s_waitcnt lgkmcnt(0)
	v_max_f32_e32 v12, v12, v12
	v_max_f32_e32 v4, v4, v12
	v_cndmask_b32_e32 v12, v8, v13, vcc
	v_lshlrev_b32_e32 v12, 2, v12
	ds_bpermute_b32 v13, v12, v4
	v_cmp_lt_i32_e32 vcc, v14, v9
	s_waitcnt lgkmcnt(0)
	v_max_f32_e32 v13, v13, v13
	v_max_f32_e32 v4, v4, v13
	v_cndmask_b32_e32 v13, v8, v14, vcc
	v_lshlrev_b32_e32 v15, 2, v13
	ds_bpermute_b32 v16, v15, v4
	v_and_b32_e32 v14, 63, v0
	v_cmp_eq_u32_e32 vcc, 0, v14
	v_lshlrev_b32_e32 v13, 2, v10
	s_and_saveexec_b64 s[2:3], vcc
	s_cbranch_execz .LBB117_15
; %bb.14:
	s_waitcnt lgkmcnt(0)
	v_max_f32_e32 v16, v16, v16
	v_max_f32_e32 v4, v4, v4
	;; [unrolled: 1-line block ×3, first 2 shown]
	ds_write_b32 v13, v4 offset:64
.LBB117_15:
	s_or_b64 exec, exec, s[2:3]
	v_cmp_gt_u32_e64 s[2:3], 2, v14
	v_mov_b32_e32 v4, 0xff7fffff
	v_lshlrev_b32_e32 v17, 2, v14
	s_waitcnt lgkmcnt(0)
	s_barrier
	s_and_saveexec_b64 s[4:5], s[2:3]
	s_cbranch_execz .LBB117_17
; %bb.16:
	ds_read_b32 v4, v17 offset:64
.LBB117_17:
	s_or_b64 exec, exec, s[4:5]
	v_xor_b32_e32 v16, 1, v8
	v_cmp_lt_i32_e64 s[4:5], v16, v9
	v_cndmask_b32_e64 v9, v8, v16, s[4:5]
	v_lshlrev_b32_e32 v16, 2, v9
	s_waitcnt lgkmcnt(0)
	ds_bpermute_b32 v9, v16, v4
	v_max_f32_e32 v4, v4, v4
	v_lshlrev_b32_e32 v8, 2, v8
	s_sub_i32 s4, s21, s10
	v_and_b32_e32 v8, 0xffffff00, v8
	s_waitcnt lgkmcnt(0)
	v_max_f32_e32 v9, v9, v9
	v_max_f32_e32 v4, v4, v9
	s_lshl_b32 s4, s4, 5
	ds_bpermute_b32 v4, v8, v4
	s_add_i32 s4, s4, s33
	s_min_i32 s38, s4, s25
	s_sub_i32 s15, s38, s33
	v_cmp_gt_i32_e64 s[4:5], s15, v0
	v_mov_b32_e32 v9, 0
	s_and_saveexec_b64 s[34:35], s[4:5]
	s_cbranch_execz .LBB117_21
; %bb.18:
	v_mov_b32_e32 v9, 0x50
	v_lshl_add_u32 v18, v0, 2, v9
	s_mov_b64 s[36:37], 0
	v_mov_b32_e32 v9, 0
	v_mov_b32_e32 v19, v0
.LBB117_19:                             ; =>This Inner Loop Header: Depth=1
	ds_read_b32 v20, v18
	v_add_u32_e32 v19, 0x80, v19
	v_cmp_le_i32_e64 s[10:11], s15, v19
	s_or_b64 s[36:37], s[10:11], s[36:37]
	s_waitcnt lgkmcnt(0)
	v_sub_f32_e32 v20, v20, v4
	v_mul_f32_e32 v20, 0x3fb8aa3b, v20
	v_exp_f32_e32 v20, v20
	ds_write_b32 v18, v20
	v_add_f32_e32 v9, v9, v20
	v_add_u32_e32 v18, 0x200, v18
	s_andn2_b64 exec, exec, s[36:37]
	s_cbranch_execnz .LBB117_19
; %bb.20:
	s_or_b64 exec, exec, s[36:37]
.LBB117_21:
	s_or_b64 exec, exec, s[34:35]
	ds_bpermute_b32 v2, v2, v9
	s_waitcnt lgkmcnt(0)
	v_add_f32_e32 v2, v9, v2
	ds_bpermute_b32 v3, v3, v2
	s_waitcnt lgkmcnt(0)
	v_add_f32_e32 v2, v2, v3
	;; [unrolled: 3-line block ×6, first 2 shown]
	s_and_saveexec_b64 s[10:11], vcc
	s_cbranch_execz .LBB117_23
; %bb.22:
	ds_write_b32 v13, v2 offset:72
.LBB117_23:
	s_or_b64 exec, exec, s[10:11]
	s_waitcnt lgkmcnt(0)
	s_barrier
	s_and_saveexec_b64 s[10:11], s[2:3]
	s_cbranch_execz .LBB117_25
; %bb.24:
	ds_read_b32 v2, v17 offset:72
.LBB117_25:
	s_or_b64 exec, exec, s[10:11]
	s_waitcnt lgkmcnt(0)
	ds_bpermute_b32 v3, v16, v2
	s_waitcnt lgkmcnt(0)
	v_add_f32_e32 v2, v2, v3
	ds_bpermute_b32 v5, v8, v2
	s_and_saveexec_b64 s[2:3], s[4:5]
	s_cbranch_execz .LBB117_38
; %bb.26:
	s_waitcnt lgkmcnt(0)
	v_add_f32_e32 v2, 0x358637bd, v5
	v_div_scale_f32 v3, s[4:5], v2, v2, 1.0
	v_rcp_f32_e32 v8, v3
	v_div_scale_f32 v9, vcc, 1.0, v2, 1.0
	s_movk_i32 s4, 0x7f
	v_fma_f32 v12, -v3, v8, 1.0
	v_fmac_f32_e32 v8, v12, v8
	v_mul_f32_e32 v12, v9, v8
	v_fma_f32 v13, -v3, v12, v9
	v_fmac_f32_e32 v12, v13, v8
	v_fma_f32 v3, -v3, v12, v9
	v_div_fmas_f32 v3, v3, v8, v12
	v_div_fixup_f32 v2, v3, v2, 1.0
	v_xad_u32 v3, v0, -1, s38
	v_subrev_u32_e32 v8, s33, v3
	v_cmp_lt_u32_e32 vcc, s4, v8
	s_mov_b64 s[10:11], -1
	v_mov_b32_e32 v3, v0
	s_and_saveexec_b64 s[4:5], vcc
	s_cbranch_execz .LBB117_35
; %bb.27:
	v_lshrrev_b32_e32 v8, 7, v8
	v_add_u32_e32 v12, -1, v8
	v_lshrrev_b32_e32 v9, 1, v12
	v_mov_b32_e32 v3, v2
	v_add_u32_e32 v9, 1, v9
	v_cmp_lt_u32_e32 vcc, 13, v12
	v_mov_b32_e32 v17, 0
	s_and_saveexec_b64 s[10:11], vcc
	s_cbranch_execz .LBB117_31
; %bb.28:
	v_mov_b32_e32 v13, 0x50
	v_and_b32_e32 v12, -8, v9
	v_lshl_add_u32 v13, v0, 2, v13
	s_mov_b32 s36, 0
	s_mov_b64 s[34:35], 0
.LBB117_29:                             ; =>This Inner Loop Header: Depth=1
	ds_read2st64_b32 v[18:19], v13 offset1:2
	ds_read2st64_b32 v[20:21], v13 offset0:4 offset1:6
	ds_read2st64_b32 v[22:23], v13 offset0:8 offset1:10
	;; [unrolled: 1-line block ×3, first 2 shown]
	v_add_u32_e32 v12, -8, v12
	s_waitcnt lgkmcnt(3)
	v_pk_mul_f32 v[18:19], v[2:3], v[18:19]
	s_waitcnt lgkmcnt(2)
	v_pk_mul_f32 v[20:21], v[2:3], v[20:21]
	ds_write2st64_b32 v13, v18, v19 offset1:2
	ds_write2st64_b32 v13, v20, v21 offset0:4 offset1:6
	ds_read2st64_b32 v[20:21], v13 offset0:16 offset1:18
	s_waitcnt lgkmcnt(4)
	v_pk_mul_f32 v[18:19], v[2:3], v[22:23]
	ds_write2st64_b32 v13, v18, v19 offset0:8 offset1:10
	s_waitcnt lgkmcnt(4)
	v_pk_mul_f32 v[18:19], v[2:3], v[24:25]
	ds_write2st64_b32 v13, v18, v19 offset0:12 offset1:14
	ds_read2st64_b32 v[18:19], v13 offset0:20 offset1:22
	s_waitcnt lgkmcnt(3)
	v_pk_mul_f32 v[20:21], v[2:3], v[20:21]
	ds_read2st64_b32 v[22:23], v13 offset0:24 offset1:26
	ds_write2st64_b32 v13, v20, v21 offset0:16 offset1:18
	ds_read2st64_b32 v[20:21], v13 offset0:28 offset1:30
	s_waitcnt lgkmcnt(3)
	v_pk_mul_f32 v[18:19], v[2:3], v[18:19]
	ds_write2st64_b32 v13, v18, v19 offset0:20 offset1:22
	s_waitcnt lgkmcnt(3)
	v_pk_mul_f32 v[18:19], v[2:3], v[22:23]
	ds_write2st64_b32 v13, v18, v19 offset0:24 offset1:26
	s_waitcnt lgkmcnt(2)
	v_pk_mul_f32 v[18:19], v[2:3], v[20:21]
	s_add_i32 s36, s36, 16
	v_cmp_eq_u32_e32 vcc, 0, v12
	ds_write2st64_b32 v13, v18, v19 offset0:28 offset1:30
	v_add_u32_e32 v13, 0x2000, v13
	s_or_b64 s[34:35], vcc, s[34:35]
	v_mov_b32_e32 v17, s36
	s_andn2_b64 exec, exec, s[34:35]
	s_cbranch_execnz .LBB117_29
; %bb.30:
	s_or_b64 exec, exec, s[34:35]
.LBB117_31:
	s_or_b64 exec, exec, s[10:11]
	v_and_b32_e32 v9, 7, v9
	v_cmp_ne_u32_e32 vcc, 0, v9
	s_and_saveexec_b64 s[10:11], vcc
	s_cbranch_execz .LBB117_34
; %bb.32:
	v_lshlrev_b32_e32 v12, 9, v17
	v_lshlrev_b32_e32 v13, 2, v0
	s_movk_i32 s34, 0x50
	v_add3_u32 v12, v12, v13, s34
	s_mov_b64 s[34:35], 0
.LBB117_33:                             ; =>This Inner Loop Header: Depth=1
	ds_read2st64_b32 v[18:19], v12 offset1:2
	v_add_u32_e32 v9, -1, v9
	v_cmp_eq_u32_e32 vcc, 0, v9
	s_or_b64 s[34:35], vcc, s[34:35]
	s_waitcnt lgkmcnt(0)
	v_pk_mul_f32 v[18:19], v[2:3], v[18:19]
	ds_write2st64_b32 v12, v18, v19 offset1:2
	v_add_u32_e32 v12, 0x400, v12
	s_andn2_b64 exec, exec, s[34:35]
	s_cbranch_execnz .LBB117_33
.LBB117_34:
	s_or_b64 exec, exec, s[10:11]
	v_add_u32_e32 v8, 1, v8
	v_and_b32_e32 v9, 0x3fffffe, v8
	v_cmp_ne_u32_e32 vcc, v8, v9
	v_lshl_add_u32 v3, v9, 7, v0
	s_orn2_b64 s[10:11], vcc, exec
.LBB117_35:
	s_or_b64 exec, exec, s[4:5]
	s_and_b64 exec, exec, s[10:11]
	s_cbranch_execz .LBB117_38
; %bb.36:
	v_mov_b32_e32 v8, 0x50
	v_lshl_add_u32 v8, v3, 2, v8
	s_mov_b64 s[4:5], 0
.LBB117_37:                             ; =>This Inner Loop Header: Depth=1
	ds_read_b32 v9, v8
	v_add_u32_e32 v3, 0x80, v3
	v_cmp_le_i32_e32 vcc, s15, v3
	s_or_b64 s[4:5], vcc, s[4:5]
	s_waitcnt lgkmcnt(0)
	v_mul_f32_e32 v9, v2, v9
	ds_write_b32 v8, v9
	v_add_u32_e32 v8, 0x200, v8
	s_andn2_b64 exec, exec, s[4:5]
	s_cbranch_execnz .LBB117_37
.LBB117_38:
	s_or_b64 exec, exec, s[2:3]
	s_mul_i32 s2, s12, s24
	v_cmp_eq_u32_e32 vcc, 0, v0
	s_mul_i32 s2, s2, s9
	s_waitcnt lgkmcnt(0)
	s_barrier
	s_and_saveexec_b64 s[4:5], vcc
	s_cbranch_execz .LBB117_40
; %bb.39:
	s_ashr_i32 s3, s2, 31
	s_lshl_b64 s[10:11], s[2:3], 2
	s_add_u32 s3, s18, s10
	s_mul_i32 s18, s12, s6
	s_addc_u32 s9, s19, s11
	s_ashr_i32 s19, s18, 31
	s_lshl_b64 s[18:19], s[18:19], 2
	s_add_u32 s3, s3, s18
	s_addc_u32 s6, s9, s19
	s_ashr_i32 s9, s8, 31
	s_lshl_b64 s[34:35], s[8:9], 2
	s_add_u32 s36, s3, s34
	s_addc_u32 s37, s6, s35
	s_add_u32 s3, s16, s10
	s_addc_u32 s6, s17, s11
	;; [unrolled: 2-line block ×3, first 2 shown]
	s_add_u32 s10, s3, s34
	v_mov_b32_e32 v2, 0
	s_addc_u32 s11, s6, s35
	global_store_dword v2, v4, s[36:37]
	global_store_dword v2, v5, s[10:11]
.LBB117_40:
	s_or_b64 exec, exec, s[4:5]
	v_mov_b32_e32 v9, 0
	v_and_b32_e32 v17, 3, v0
	v_mov_b32_e32 v8, 0
	s_and_saveexec_b64 s[4:5], s[0:1]
	s_cbranch_execz .LBB117_48
; %bb.41:
	s_ashr_i32 s15, s14, 31
	s_lshl_b64 s[0:1], s[14:15], 1
	v_and_b32_e32 v2, 24, v1
	s_add_u32 s0, s30, s0
	v_lshlrev_b32_e32 v1, 4, v0
	s_addc_u32 s1, s31, s1
	v_and_b32_e32 v1, 0x3f0, v1
	s_add_i32 s9, s7, -1
	v_mov_b32_e32 v3, s1
	v_add_co_u32_e32 v1, vcc, s0, v1
	v_add3_u32 v19, s33, v11, v2
	v_lshlrev_b32_e32 v2, 5, v17
	s_lshl_b64 s[0:1], s[28:29], 2
	v_lshl_or_b32 v2, v10, 7, v2
	s_add_u32 s0, s26, s0
	v_addc_co_u32_e32 v18, vcc, 0, v3, vcc
	v_add_u32_e32 v20, 0x50, v2
	v_lshlrev_b64 v[2:3], 2, v[6:7]
	s_addc_u32 s1, s27, s1
	v_mov_b32_e32 v4, s1
	v_add_co_u32_e32 v10, vcc, s0, v2
	v_mov_b32_e32 v8, 0
	s_mov_b32 s3, s13
	s_mov_b32 s13, s25
	;; [unrolled: 1-line block ×8, first 2 shown]
	v_addc_co_u32_e32 v11, vcc, v4, v3, vcc
	s_mov_b64 s[6:7], 0
	s_mov_b32 s24, 0x5040100
	v_mov_b32_e32 v9, v8
	s_branch .LBB117_43
.LBB117_42:                             ;   in Loop: Header=BB117_43 Depth=1
	s_or_b64 exec, exec, s[0:1]
	s_waitcnt vmcnt(0)
	;;#ASMSTART
	v_pk_mul_f16 v2, v30, v2;

	;;#ASMEND
	;;#ASMSTART
	v_pk_mul_f16 v3, v29, v3;

	;;#ASMEND
	;; [unrolled: 4-line block ×4, first 2 shown]
	;;#ASMSTART
	v_pk_add_f16 v2, v2, v3;

	;;#ASMEND
	;;#ASMSTART
	v_pk_add_f16 v2, v2, v4;

	;;#ASMEND
	;; [unrolled: 4-line block ×3, first 2 shown]
	v_lshrrev_b32_e32 v3, 16, v2
	v_and_b32_e32 v2, 0xffff, v2
	v_add_u32_e32 v6, 2, v6
	;;#ASMSTART
	v_cvt_f32_f16 v2, v2;
	;;#ASMEND
	v_cmp_le_i32_e32 vcc, s21, v6
	v_add_f32_e32 v7, v31, v32
	;;#ASMSTART
	v_cvt_f32_f16 v3, v3;
	;;#ASMEND
	v_add_f32_e32 v2, v2, v3
	s_or_b64 s[6:7], vcc, s[6:7]
	v_add_co_u32_e32 v10, vcc, 8, v10
	v_add_f32_e32 v8, v8, v7
	v_add_f32_e32 v9, v9, v2
	v_add_u32_e32 v19, 64, v19
	v_add_u32_e32 v20, 0x100, v20
	v_addc_co_u32_e32 v11, vcc, 0, v11, vcc
	s_andn2_b64 exec, exec, s[6:7]
	s_cbranch_execz .LBB117_47
.LBB117_43:                             ; =>This Inner Loop Header: Depth=1
	global_load_dword v7, v[10:11], off
	ds_read2_b64 v[2:5], v20 offset1:1
	ds_read2_b64 v[22:25], v20 offset0:2 offset1:3
	v_or_b32_e32 v21, 2, v19
	v_or_b32_e32 v26, 7, v19
	s_waitcnt lgkmcnt(1)
	;;#ASMSTART
	v_cvt_f16_f32 v27, v2;

	;;#ASMEND
	;;#ASMSTART
	v_cvt_f16_f32 v28, v3;

	;;#ASMEND
	;; [unrolled: 4-line block ×4, first 2 shown]
	s_waitcnt lgkmcnt(0)
	;;#ASMSTART
	v_cvt_f16_f32 v32, v22;

	;;#ASMEND
	;;#ASMSTART
	v_cvt_f16_f32 v33, v23;

	;;#ASMEND
	;; [unrolled: 4-line block ×4, first 2 shown]
	v_or_b32_e32 v22, 3, v19
	v_or_b32_e32 v24, 5, v19
	;; [unrolled: 1-line block ×4, first 2 shown]
	s_waitcnt vmcnt(0)
	v_mad_i64_i32 v[2:3], s[0:1], v7, s3, 0
	v_lshlrev_b64 v[2:3], 1, v[2:3]
	v_add_co_u32_e32 v12, vcc, v1, v2
	v_addc_co_u32_e32 v13, vcc, v18, v3, vcc
	global_load_dwordx4 v[2:5], v[12:13], off
	v_cmp_eq_u32_e32 vcc, s9, v6
	v_add_u32_e32 v7, 1, v19
	s_and_saveexec_b64 s[10:11], vcc
	s_cbranch_execz .LBB117_45
; %bb.44:                               ;   in Loop: Header=BB117_43 Depth=1
	s_waitcnt vmcnt(0)
	v_lshrrev_b32_e32 v30, 16, v5
	v_cmp_gt_i32_e64 s[0:1], s19, v26
	v_cndmask_b32_e64 v30, 0, v30, s[0:1]
	v_cmp_gt_i32_e64 s[0:1], s18, v25
	v_cndmask_b32_e64 v5, 0, v5, s[0:1]
	v_perm_b32 v5, v30, v5, s24
	v_lshrrev_b32_e32 v30, 16, v4
	v_cmp_gt_i32_e64 s[0:1], s17, v24
	v_cndmask_b32_e64 v30, 0, v30, s[0:1]
	v_cmp_gt_i32_e64 s[0:1], s16, v23
	v_cndmask_b32_e64 v4, 0, v4, s[0:1]
	v_perm_b32 v4, v30, v4, s24
	;; [unrolled: 6-line block ×4, first 2 shown]
.LBB117_45:                             ;   in Loop: Header=BB117_43 Depth=1
	s_or_b64 exec, exec, s[10:11]
	v_and_b32_e32 v27, 0xffff, v27
	v_lshl_or_b32 v30, v28, 16, v27
	v_and_b32_e32 v27, 0xffff, v29
	v_lshl_or_b32 v29, v31, 16, v27
	;; [unrolled: 2-line block ×3, first 2 shown]
	v_and_b32_e32 v27, 0xffff, v34
	s_waitcnt vmcnt(0)
	;;#ASMSTART
	v_pk_mul_f16 v2, v30, v2;

	;;#ASMEND
	v_lshl_or_b32 v27, v35, 16, v27
	;;#ASMSTART
	v_pk_mul_f16 v3, v29, v3;

	;;#ASMEND
	;;#ASMSTART
	v_pk_mul_f16 v4, v28, v4;

	;;#ASMEND
	;; [unrolled: 4-line block ×3, first 2 shown]
	;;#ASMSTART
	v_pk_add_f16 v2, v2, v3;

	;;#ASMEND
	;;#ASMSTART
	v_pk_add_f16 v2, v2, v4;

	;;#ASMEND
	;; [unrolled: 4-line block ×3, first 2 shown]
	v_lshrrev_b32_e32 v3, 16, v2
	v_and_b32_e32 v2, 0xffff, v2
	;;#ASMSTART
	v_cvt_f32_f16 v31, v2;
	;;#ASMEND
	;;#ASMSTART
	v_cvt_f32_f16 v32, v3;
	;;#ASMEND
	global_load_dwordx4 v[2:5], v[12:13], off offset:1024
	s_and_saveexec_b64 s[0:1], vcc
	s_cbranch_execz .LBB117_42
; %bb.46:                               ;   in Loop: Header=BB117_43 Depth=1
	s_waitcnt vmcnt(0)
	v_lshrrev_b32_e32 v12, 16, v5
	v_cmp_gt_i32_e32 vcc, s19, v26
	v_cndmask_b32_e32 v12, 0, v12, vcc
	v_cmp_gt_i32_e32 vcc, s18, v25
	v_cndmask_b32_e32 v5, 0, v5, vcc
	v_perm_b32 v5, v12, v5, s24
	v_lshrrev_b32_e32 v12, 16, v4
	v_cmp_gt_i32_e32 vcc, s17, v24
	v_cndmask_b32_e32 v12, 0, v12, vcc
	v_cmp_gt_i32_e32 vcc, s16, v23
	v_cndmask_b32_e32 v4, 0, v4, vcc
	v_perm_b32 v4, v12, v4, s24
	;; [unrolled: 6-line block ×4, first 2 shown]
	s_branch .LBB117_42
.LBB117_47:
	s_or_b64 exec, exec, s[6:7]
.LBB117_48:
	s_or_b64 exec, exec, s[4:5]
	ds_bpermute_b32 v2, v15, v8
	ds_bpermute_b32 v3, v15, v9
	v_and_b32_e32 v1, 0x3c3, v0
	v_cmp_eq_u32_e32 vcc, 64, v1
	s_waitcnt lgkmcnt(0)
	s_barrier
	v_pk_add_f32 v[2:3], v[8:9], v[2:3]
	ds_bpermute_b32 v4, v16, v2
	ds_bpermute_b32 v5, v16, v3
	s_waitcnt lgkmcnt(0)
	v_pk_add_f32 v[2:3], v[2:3], v[4:5]
	s_and_saveexec_b64 s[0:1], vcc
	s_cbranch_execz .LBB117_50
; %bb.49:
	v_add_u32_e32 v5, 0x50, v14
	v_add_u32_e32 v4, 0x50, v0
	ds_write_b32 v5, v2
	ds_write_b32 v4, v3
.LBB117_50:
	s_or_b64 exec, exec, s[0:1]
	v_cmp_gt_u32_e32 vcc, 64, v0
	s_waitcnt lgkmcnt(0)
	s_barrier
	s_and_saveexec_b64 s[0:1], vcc
	s_cbranch_execz .LBB117_56
; %bb.51:
	v_cmp_eq_u32_e32 vcc, 0, v17
	v_lshrrev_b32_e32 v4, 2, v0
	s_and_saveexec_b64 s[4:5], vcc
	s_cbranch_execz .LBB117_53
; %bb.52:
	v_mov_b32_e32 v5, 0x50
	v_lshl_add_u32 v5, v4, 2, v5
	ds_read_b32 v5, v5
	s_waitcnt lgkmcnt(0)
	v_add_f32_e32 v2, v2, v5
.LBB117_53:
	s_or_b64 exec, exec, s[4:5]
	s_and_saveexec_b64 s[4:5], vcc
	s_cbranch_execz .LBB117_55
; %bb.54:
	v_mov_b32_e32 v5, 0x50
	v_lshl_add_u32 v4, v4, 2, v5
	ds_read_b32 v4, v4 offset:64
	s_waitcnt lgkmcnt(0)
	v_add_f32_e32 v3, v3, v4
.LBB117_55:
	s_or_b64 exec, exec, s[4:5]
.LBB117_56:
	s_or_b64 exec, exec, s[0:1]
	v_cmp_eq_u32_e32 vcc, 0, v1
	s_barrier
	s_and_saveexec_b64 s[0:1], vcc
	s_cbranch_execz .LBB117_58
; %bb.57:
	s_lshl_b32 s0, s2, 5
	s_ashr_i32 s1, s0, 31
	s_lshl_b64 s[0:1], s[0:1], 1
	s_add_u32 s2, s22, s0
	s_mul_i32 s0, s12, s20
	s_addc_u32 s3, s23, s1
	s_ashr_i32 s1, s0, 31
	s_lshl_b64 s[0:1], s[0:1], 1
	s_add_u32 s2, s2, s0
	s_addc_u32 s3, s3, s1
	s_lshl_b32 s0, s8, 5
	s_ashr_i32 s1, s0, 31
	s_lshl_b64 s[0:1], s[0:1], 1
	s_add_u32 s0, s2, s0
	s_addc_u32 s1, s3, s1
	v_lshrrev_b32_e32 v0, 1, v0
	;;#ASMSTART
	v_cvt_f16_f32 v1, v2;

	;;#ASMEND
	global_store_short v0, v1, s[0:1]
	;;#ASMSTART
	v_cvt_f16_f32 v1, v3;

	;;#ASMEND
	global_store_short v0, v1, s[0:1] offset:32
.LBB117_58:
	s_endpgm
	.section	.rodata,"a",@progbits
	.p2align	6, 0x0
	.amdhsa_kernel _ZN4vllm25paged_attention_v2_kernelIttLi32ELi32ELi128ELNS_18Fp8KVCacheDataTypeE0ELb0ELi512EEEvPfS2_PT_PKS3_PKT0_S9_ifPKiSB_iPKfiiiSD_SD_iiiii
		.amdhsa_group_segment_fixed_size 80
		.amdhsa_private_segment_fixed_size 0
		.amdhsa_kernarg_size 400
		.amdhsa_user_sgpr_count 6
		.amdhsa_user_sgpr_private_segment_buffer 1
		.amdhsa_user_sgpr_dispatch_ptr 0
		.amdhsa_user_sgpr_queue_ptr 0
		.amdhsa_user_sgpr_kernarg_segment_ptr 1
		.amdhsa_user_sgpr_dispatch_id 0
		.amdhsa_user_sgpr_flat_scratch_init 0
		.amdhsa_user_sgpr_kernarg_preload_length 0
		.amdhsa_user_sgpr_kernarg_preload_offset 0
		.amdhsa_user_sgpr_private_segment_size 0
		.amdhsa_uses_dynamic_stack 0
		.amdhsa_system_sgpr_private_segment_wavefront_offset 0
		.amdhsa_system_sgpr_workgroup_id_x 1
		.amdhsa_system_sgpr_workgroup_id_y 1
		.amdhsa_system_sgpr_workgroup_id_z 1
		.amdhsa_system_sgpr_workgroup_info 0
		.amdhsa_system_vgpr_workitem_id 0
		.amdhsa_next_free_vgpr 45
		.amdhsa_next_free_sgpr 42
		.amdhsa_accum_offset 48
		.amdhsa_reserve_vcc 1
		.amdhsa_reserve_flat_scratch 0
		.amdhsa_float_round_mode_32 0
		.amdhsa_float_round_mode_16_64 0
		.amdhsa_float_denorm_mode_32 3
		.amdhsa_float_denorm_mode_16_64 3
		.amdhsa_dx10_clamp 1
		.amdhsa_ieee_mode 1
		.amdhsa_fp16_overflow 0
		.amdhsa_tg_split 0
		.amdhsa_exception_fp_ieee_invalid_op 0
		.amdhsa_exception_fp_denorm_src 0
		.amdhsa_exception_fp_ieee_div_zero 0
		.amdhsa_exception_fp_ieee_overflow 0
		.amdhsa_exception_fp_ieee_underflow 0
		.amdhsa_exception_fp_ieee_inexact 0
		.amdhsa_exception_int_div_zero 0
	.end_amdhsa_kernel
	.section	.text._ZN4vllm25paged_attention_v2_kernelIttLi32ELi32ELi128ELNS_18Fp8KVCacheDataTypeE0ELb0ELi512EEEvPfS2_PT_PKS3_PKT0_S9_ifPKiSB_iPKfiiiSD_SD_iiiii,"axG",@progbits,_ZN4vllm25paged_attention_v2_kernelIttLi32ELi32ELi128ELNS_18Fp8KVCacheDataTypeE0ELb0ELi512EEEvPfS2_PT_PKS3_PKT0_S9_ifPKiSB_iPKfiiiSD_SD_iiiii,comdat
.Lfunc_end117:
	.size	_ZN4vllm25paged_attention_v2_kernelIttLi32ELi32ELi128ELNS_18Fp8KVCacheDataTypeE0ELb0ELi512EEEvPfS2_PT_PKS3_PKT0_S9_ifPKiSB_iPKfiiiSD_SD_iiiii, .Lfunc_end117-_ZN4vllm25paged_attention_v2_kernelIttLi32ELi32ELi128ELNS_18Fp8KVCacheDataTypeE0ELb0ELi512EEEvPfS2_PT_PKS3_PKT0_S9_ifPKiSB_iPKfiiiSD_SD_iiiii
                                        ; -- End function
	.section	.AMDGPU.csdata,"",@progbits
; Kernel info:
; codeLenInByte = 4500
; NumSgprs: 46
; NumVgprs: 45
; NumAgprs: 0
; TotalNumVgprs: 45
; ScratchSize: 0
; MemoryBound: 0
; FloatMode: 240
; IeeeMode: 1
; LDSByteSize: 80 bytes/workgroup (compile time only)
; SGPRBlocks: 5
; VGPRBlocks: 5
; NumSGPRsForWavesPerEU: 46
; NumVGPRsForWavesPerEU: 45
; AccumOffset: 48
; Occupancy: 8
; WaveLimiterHint : 1
; COMPUTE_PGM_RSRC2:SCRATCH_EN: 0
; COMPUTE_PGM_RSRC2:USER_SGPR: 6
; COMPUTE_PGM_RSRC2:TRAP_HANDLER: 0
; COMPUTE_PGM_RSRC2:TGID_X_EN: 1
; COMPUTE_PGM_RSRC2:TGID_Y_EN: 1
; COMPUTE_PGM_RSRC2:TGID_Z_EN: 1
; COMPUTE_PGM_RSRC2:TIDIG_COMP_CNT: 0
; COMPUTE_PGM_RSRC3_GFX90A:ACCUM_OFFSET: 11
; COMPUTE_PGM_RSRC3_GFX90A:TG_SPLIT: 0
	.section	.text._ZN4vllm25paged_attention_v2_kernelIttLi64ELi32ELi128ELNS_18Fp8KVCacheDataTypeE0ELb0ELi512EEEvPfS2_PT_PKS3_PKT0_S9_ifPKiSB_iPKfiiiSD_SD_iiiii,"axG",@progbits,_ZN4vllm25paged_attention_v2_kernelIttLi64ELi32ELi128ELNS_18Fp8KVCacheDataTypeE0ELb0ELi512EEEvPfS2_PT_PKS3_PKT0_S9_ifPKiSB_iPKfiiiSD_SD_iiiii,comdat
	.protected	_ZN4vllm25paged_attention_v2_kernelIttLi64ELi32ELi128ELNS_18Fp8KVCacheDataTypeE0ELb0ELi512EEEvPfS2_PT_PKS3_PKT0_S9_ifPKiSB_iPKfiiiSD_SD_iiiii ; -- Begin function _ZN4vllm25paged_attention_v2_kernelIttLi64ELi32ELi128ELNS_18Fp8KVCacheDataTypeE0ELb0ELi512EEEvPfS2_PT_PKS3_PKT0_S9_ifPKiSB_iPKfiiiSD_SD_iiiii
	.globl	_ZN4vllm25paged_attention_v2_kernelIttLi64ELi32ELi128ELNS_18Fp8KVCacheDataTypeE0ELb0ELi512EEEvPfS2_PT_PKS3_PKT0_S9_ifPKiSB_iPKfiiiSD_SD_iiiii
	.p2align	8
	.type	_ZN4vllm25paged_attention_v2_kernelIttLi64ELi32ELi128ELNS_18Fp8KVCacheDataTypeE0ELb0ELi512EEEvPfS2_PT_PKS3_PKT0_S9_ifPKiSB_iPKfiiiSD_SD_iiiii,@function
_ZN4vllm25paged_attention_v2_kernelIttLi64ELi32ELi128ELNS_18Fp8KVCacheDataTypeE0ELb0ELi512EEEvPfS2_PT_PKS3_PKT0_S9_ifPKiSB_iPKfiiiSD_SD_iiiii: ; @_ZN4vllm25paged_attention_v2_kernelIttLi64ELi32ELi128ELNS_18Fp8KVCacheDataTypeE0ELb0ELi512EEEvPfS2_PT_PKS3_PKT0_S9_ifPKiSB_iPKfiiiSD_SD_iiiii
; %bb.0:
	s_load_dwordx2 s[0:1], s[4:5], 0x40
	s_mov_b32 s24, s7
	s_ashr_i32 s25, s7, 31
	s_lshl_b64 s[2:3], s[24:25], 2
	s_waitcnt lgkmcnt(0)
	s_add_u32 s0, s0, s2
	s_addc_u32 s1, s1, s3
	s_load_dword s25, s[0:1], 0x0
	s_lshl_b32 s33, s8, 9
	s_waitcnt lgkmcnt(0)
	s_cmp_ge_i32 s33, s25
	s_cbranch_scc1 .LBB118_63
; %bb.1:
	s_load_dword s9, s[4:5], 0x90
	s_load_dwordx2 s[10:11], s[4:5], 0x30
	s_mov_b32 s40, 0
	s_waitcnt lgkmcnt(0)
	s_abs_i32 s2, s9
	s_abs_i32 s0, s10
	v_cvt_f32_u32_e32 v1, s0
	s_sub_i32 s3, 0, s0
	s_xor_b32 s1, s9, s10
	s_ashr_i32 s1, s1, 31
	v_rcp_iflag_f32_e32 v1, v1
	v_mul_f32_e32 v1, 0x4f7ffffe, v1
	v_cvt_u32_f32_e32 v1, v1
	v_readfirstlane_b32 s7, v1
	s_mul_i32 s3, s3, s7
	s_mul_hi_u32 s3, s7, s3
	s_add_i32 s7, s7, s3
	s_mul_hi_u32 s3, s2, s7
	s_mul_i32 s7, s3, s0
	s_sub_i32 s2, s2, s7
	s_add_i32 s10, s3, 1
	s_sub_i32 s7, s2, s0
	s_cmp_ge_u32 s2, s0
	s_cselect_b32 s3, s10, s3
	s_cselect_b32 s2, s7, s2
	s_add_i32 s7, s3, 1
	s_cmp_ge_u32 s2, s0
	s_cselect_b32 s0, s7, s3
	s_xor_b32 s0, s0, s1
	s_sub_i32 s10, s0, s1
	s_abs_i32 s2, s10
	v_cvt_f32_u32_e32 v1, s2
	s_load_dwordx2 s[0:1], s[4:5], 0x50
	s_sub_i32 s7, 0, s2
	s_abs_i32 s3, s6
	v_rcp_iflag_f32_e32 v1, v1
	v_mul_f32_e32 v1, 0x4f7ffffe, v1
	v_cvt_u32_f32_e32 v1, v1
	v_readfirstlane_b32 s12, v1
	s_mul_i32 s7, s7, s12
	s_mul_hi_u32 s7, s12, s7
	s_add_i32 s12, s12, s7
	s_waitcnt lgkmcnt(0)
	s_cmp_eq_u64 s[0:1], 0
	s_mul_hi_u32 s16, s3, s12
	s_cbranch_scc1 .LBB118_3
; %bb.2:
	s_ashr_i32 s7, s6, 31
	s_lshl_b64 s[12:13], s[6:7], 2
	s_add_u32 s0, s0, s12
	s_addc_u32 s1, s1, s13
	s_load_dword s40, s[0:1], 0x0
.LBB118_3:
	s_load_dwordx4 s[12:15], s[4:5], 0x58
	s_ashr_i32 s17, s6, 31
	s_ashr_i32 s18, s10, 31
	v_and_b32_e32 v2, 1, v0
	s_lshl_b32 s20, s6, 6
	v_cmp_gt_u32_e32 vcc, 16, v0
	v_lshlrev_b32_e32 v1, 3, v0
	s_and_saveexec_b64 s[0:1], vcc
	s_cbranch_execz .LBB118_5
; %bb.4:
	s_load_dwordx2 s[22:23], s[4:5], 0x18
	s_waitcnt lgkmcnt(0)
	s_mul_i32 s26, s24, s12
	s_ashr_i32 s27, s26, 31
	s_lshl_b64 s[26:27], s[26:27], 1
	v_lshlrev_b32_e32 v3, 2, v0
	s_add_u32 s7, s22, s26
	s_addc_u32 s10, s23, s27
	s_ashr_i32 s21, s20, 31
	s_lshl_b64 s[22:23], s[20:21], 1
	s_add_u32 s22, s7, s22
	s_addc_u32 s23, s10, s23
	global_load_dwordx2 v[4:5], v1, s[22:23]
	v_and_b32_e32 v3, 0xff8, v3
	v_lshl_add_u32 v3, v2, 6, v3
	s_waitcnt vmcnt(0)
	ds_write_b64 v3, v[4:5]
.LBB118_5:
	s_or_b64 exec, exec, s[0:1]
	s_add_i32 s0, s25, 31
	s_ashr_i32 s1, s0, 31
	s_lshr_b32 s1, s1, 27
	s_add_i32 s0, s0, s1
	s_lshl_b32 s10, s8, 4
	s_mul_i32 s1, s16, s2
	s_ashr_i32 s7, s0, 5
	s_add_i32 s0, s10, 16
	s_sub_i32 s1, s3, s1
	s_min_i32 s21, s0, s7
	s_xor_b32 s0, s17, s18
	s_add_i32 s3, s16, 1
	s_waitcnt lgkmcnt(0)
	s_sub_i32 s12, s1, s2
	s_cmp_ge_u32 s1, s2
	s_cselect_b32 s3, s3, s16
	s_cselect_b32 s1, s12, s1
	s_add_i32 s12, s3, 1
	s_cmp_ge_u32 s1, s2
	s_load_dwordx2 s[26:27], s[4:5], 0x38
	s_load_dword s2, s[4:5], 0x48
	v_lshrrev_b32_e32 v24, 6, v0
	s_cselect_b32 s1, s12, s3
	s_xor_b32 s1, s1, s0
	v_or_b32_e32 v6, s10, v24
	s_waitcnt lgkmcnt(0)
	s_mul_i32 s28, s24, s2
	s_sub_i32 s15, s1, s0
	s_ashr_i32 s29, s28, 31
	v_cmp_gt_i32_e64 s[0:1], s21, v6
	v_cmp_le_i32_e32 vcc, s21, v6
	v_mbcnt_lo_u32_b32 v4, -1, 0
	s_barrier
	s_waitcnt lgkmcnt(0)
                                        ; implicit-def: $sgpr36
                                        ; implicit-def: $vgpr26
                                        ; implicit-def: $vgpr27
	s_and_saveexec_b64 s[2:3], vcc
	s_xor_b64 s[2:3], exec, s[2:3]
; %bb.6:
	v_mbcnt_hi_u32_b32 v26, -1, v4
	v_and_b32_e32 v2, 64, v26
	v_add_u32_e32 v27, 64, v2
	s_mov_b32 s36, 0xff7fffff
                                        ; implicit-def: $vgpr2
                                        ; implicit-def: $vgpr4
; %bb.7:
	s_or_saveexec_b64 s[34:35], s[2:3]
	s_load_dwordx4 s[16:19], s[4:5], 0x0
	s_load_dwordx2 s[22:23], s[4:5], 0x10
	s_load_dwordx2 s[30:31], s[4:5], 0x28
	s_load_dword s12, s[4:5], 0x98
	v_mov_b32_e32 v28, s36
	s_mul_i32 s14, s15, s14
	v_ashrrev_i32_e32 v7, 31, v6
	v_lshlrev_b32_e32 v25, 5, v24
	s_xor_b64 exec, exec, s[34:35]
	s_cbranch_execz .LBB118_13
; %bb.8:
	s_load_dwordx2 s[2:3], s[4:5], 0x20
	s_ashr_i32 s15, s14, 31
	s_lshl_b64 s[4:5], s[14:15], 1
	v_bfe_u32 v3, v0, 1, 5
	v_lshlrev_b32_e32 v5, 4, v3
	s_waitcnt lgkmcnt(0)
	s_add_u32 s2, s2, s4
	s_addc_u32 s3, s3, s5
	v_mov_b32_e32 v8, s3
	v_add_co_u32_e32 v5, vcc, s2, v5
	v_addc_co_u32_e32 v8, vcc, 0, v8, vcc
	v_and_b32_e32 v9, 8, v1
	v_add_co_u32_e32 v29, vcc, v5, v9
	v_addc_co_u32_e32 v30, vcc, 0, v8, vcc
	v_lshlrev_b32_e32 v31, 6, v2
	v_cmp_eq_u32_e32 vcc, 0, v2
	s_sub_i32 s15, 1, s25
	v_lshlrev_b32_e32 v2, 2, v3
	s_lshl_b64 s[4:5], s[28:29], 2
	v_lshl_or_b32 v2, v24, 7, v2
	s_add_u32 s4, s26, s4
	v_add3_u32 v32, s33, v25, v3
	v_add_u32_e32 v33, 0x90, v2
	v_lshlrev_b64 v[2:3], 2, v[6:7]
	s_addc_u32 s5, s27, s5
	v_mbcnt_hi_u32_b32 v26, -1, v4
	v_mov_b32_e32 v5, s5
	v_add_co_u32_e64 v2, s[4:5], s4, v2
	v_and_b32_e32 v4, 64, v26
	s_mov_b32 s41, s13
	v_cmp_neq_f32_e64 s[2:3], s40, 0
	v_addc_co_u32_e64 v3, s[4:5], v5, v3, s[4:5]
	s_mov_b64 s[36:37], 0
	v_mov_b32_e32 v28, 0xff7fffff
	v_xor_b32_e32 v34, 1, v26
	v_add_u32_e32 v27, 64, v4
	v_mov_b32_e32 v35, v6
	s_branch .LBB118_10
.LBB118_9:                              ;   in Loop: Header=BB118_10 Depth=1
	s_or_b64 exec, exec, s[38:39]
	v_add_u32_e32 v35, 2, v35
	v_cmp_le_i32_e64 s[4:5], s21, v35
	s_or_b64 s[36:37], s[4:5], s[36:37]
	v_add_co_u32_e64 v2, s[4:5], 8, v2
	v_add_u32_e32 v32, 64, v32
	v_add_u32_e32 v33, 0x100, v33
	v_addc_co_u32_e64 v3, s[4:5], 0, v3, s[4:5]
	s_andn2_b64 exec, exec, s[36:37]
	s_cbranch_execz .LBB118_12
.LBB118_10:                             ; =>This Inner Loop Header: Depth=1
	global_load_dword v4, v[2:3], off
	s_waitcnt vmcnt(0) lgkmcnt(0)
	v_mad_i64_i32 v[4:5], s[4:5], v4, s41, 0
	v_lshlrev_b64 v[4:5], 1, v[4:5]
	v_add_co_u32_e64 v22, s[4:5], v29, v4
	v_addc_co_u32_e64 v23, s[4:5], v30, v5, s[4:5]
	global_load_dwordx2 v[20:21], v[22:23], off
	global_load_dwordx2 v[18:19], v[22:23], off offset:512
	global_load_dwordx2 v[16:17], v[22:23], off offset:1024
	;; [unrolled: 1-line block ×7, first 2 shown]
	ds_read_b64 v[22:23], v31
	v_cmp_lt_i32_e64 s[4:5], v34, v27
	v_cndmask_b32_e64 v36, v26, v34, s[4:5]
	s_waitcnt lgkmcnt(0)
	v_lshrrev_b32_e32 v37, 16, v22
	v_and_b32_e32 v22, 0xffff, v22
	v_lshrrev_b32_e32 v38, 16, v23
	v_and_b32_e32 v23, 0xffff, v23
	;;#ASMSTART
	v_cvt_f32_f16 v22, v22;
	;;#ASMEND
	;;#ASMSTART
	v_cvt_f32_f16 v37, v37;
	;;#ASMEND
	s_waitcnt vmcnt(7)
	v_lshrrev_b32_e32 v39, 16, v20
	v_and_b32_e32 v20, 0xffff, v20
	v_lshrrev_b32_e32 v40, 16, v21
	v_and_b32_e32 v21, 0xffff, v21
	;;#ASMSTART
	v_cvt_f32_f16 v20, v20;
	;;#ASMEND
	;;#ASMSTART
	v_cvt_f32_f16 v39, v39;
	;;#ASMEND
	s_waitcnt vmcnt(1)
	v_lshrrev_b32_e32 v51, 16, v8
	v_and_b32_e32 v52, 0xffff, v8
	v_lshrrev_b32_e32 v53, 16, v9
	v_and_b32_e32 v54, 0xffff, v9
	;;#ASMSTART
	v_cvt_f32_f16 v23, v23;
	;;#ASMEND
	;;#ASMSTART
	v_cvt_f32_f16 v38, v38;
	;;#ASMEND
	;;#ASMSTART
	v_cvt_f32_f16 v21, v21;
	;;#ASMEND
	;;#ASMSTART
	v_cvt_f32_f16 v40, v40;
	;;#ASMEND
	ds_read_b64 v[8:9], v31 offset:8
	v_lshrrev_b32_e32 v41, 16, v18
	v_and_b32_e32 v18, 0xffff, v18
	v_lshrrev_b32_e32 v42, 16, v19
	v_and_b32_e32 v19, 0xffff, v19
	s_waitcnt vmcnt(0)
	v_lshrrev_b32_e32 v55, 16, v4
	v_and_b32_e32 v56, 0xffff, v4
	v_lshrrev_b32_e32 v57, 16, v5
	v_and_b32_e32 v58, 0xffff, v5
	s_waitcnt lgkmcnt(0)
	v_lshrrev_b32_e32 v4, 16, v8
	v_and_b32_e32 v5, 0xffff, v8
	v_lshrrev_b32_e32 v8, 16, v9
	v_and_b32_e32 v9, 0xffff, v9
	;;#ASMSTART
	v_cvt_f32_f16 v59, v5;
	;;#ASMEND
	;;#ASMSTART
	v_cvt_f32_f16 v60, v4;
	;;#ASMEND
	;; [unrolled: 3-line block ×8, first 2 shown]
	ds_read_b64 v[4:5], v31 offset:16
	v_mul_f32_e32 v18, v59, v18
	v_lshrrev_b32_e32 v43, 16, v16
	v_and_b32_e32 v16, 0xffff, v16
	v_lshrrev_b32_e32 v44, 16, v17
	v_and_b32_e32 v17, 0xffff, v17
	v_mul_f32_e32 v41, v60, v41
	v_mul_f32_e32 v9, v9, v19
	v_fmac_f32_e32 v18, v22, v20
	s_waitcnt lgkmcnt(0)
	v_lshrrev_b32_e32 v19, 16, v4
	v_and_b32_e32 v4, 0xffff, v4
	v_lshrrev_b32_e32 v20, 16, v5
	v_and_b32_e32 v5, 0xffff, v5
	v_fmac_f32_e32 v41, v37, v39
	v_fmac_f32_e32 v9, v23, v21
	;;#ASMSTART
	v_cvt_f32_f16 v21, v4;
	;;#ASMEND
	;;#ASMSTART
	v_cvt_f32_f16 v19, v19;
	;;#ASMEND
	;; [unrolled: 3-line block ×8, first 2 shown]
	ds_read_b64 v[4:5], v31 offset:24
	v_mul_f32_e32 v8, v8, v42
	v_lshrrev_b32_e32 v45, 16, v14
	v_and_b32_e32 v14, 0xffff, v14
	v_lshrrev_b32_e32 v46, 16, v15
	v_and_b32_e32 v15, 0xffff, v15
	v_fmac_f32_e32 v8, v38, v40
	v_fmac_f32_e32 v18, v21, v16
	;; [unrolled: 1-line block ×3, first 2 shown]
	s_waitcnt lgkmcnt(0)
	v_lshrrev_b32_e32 v16, 16, v4
	v_and_b32_e32 v4, 0xffff, v4
	v_lshrrev_b32_e32 v17, 16, v5
	v_and_b32_e32 v5, 0xffff, v5
	v_fmac_f32_e32 v41, v19, v22
	v_fmac_f32_e32 v8, v20, v37
	;;#ASMSTART
	v_cvt_f32_f16 v19, v4;
	;;#ASMEND
	;;#ASMSTART
	v_cvt_f32_f16 v16, v16;
	;;#ASMEND
	;;#ASMSTART
	v_cvt_f32_f16 v14, v14;
	;;#ASMEND
	;;#ASMSTART
	v_cvt_f32_f16 v20, v45;
	;;#ASMEND
	;;#ASMSTART
	v_cvt_f32_f16 v21, v5;
	;;#ASMEND
	;;#ASMSTART
	v_cvt_f32_f16 v17, v17;
	;;#ASMEND
	;;#ASMSTART
	v_cvt_f32_f16 v15, v15;
	;;#ASMEND
	;;#ASMSTART
	v_cvt_f32_f16 v22, v46;
	;;#ASMEND
	ds_read_b64 v[4:5], v31 offset:32
	v_lshrrev_b32_e32 v47, 16, v12
	v_and_b32_e32 v12, 0xffff, v12
	v_lshrrev_b32_e32 v48, 16, v13
	v_and_b32_e32 v13, 0xffff, v13
	v_fmac_f32_e32 v18, v19, v14
	v_fmac_f32_e32 v9, v21, v15
	s_waitcnt lgkmcnt(0)
	v_lshrrev_b32_e32 v14, 16, v4
	v_and_b32_e32 v4, 0xffff, v4
	v_lshrrev_b32_e32 v15, 16, v5
	v_and_b32_e32 v5, 0xffff, v5
	v_fmac_f32_e32 v41, v16, v20
	v_fmac_f32_e32 v8, v17, v22
	;;#ASMSTART
	v_cvt_f32_f16 v16, v4;
	;;#ASMEND
	;;#ASMSTART
	v_cvt_f32_f16 v14, v14;
	;;#ASMEND
	;; [unrolled: 3-line block ×8, first 2 shown]
	ds_read_b64 v[4:5], v31 offset:40
	v_lshrrev_b32_e32 v49, 16, v10
	v_and_b32_e32 v10, 0xffff, v10
	v_lshrrev_b32_e32 v50, 16, v11
	v_and_b32_e32 v11, 0xffff, v11
	v_fmac_f32_e32 v18, v16, v12
	v_fmac_f32_e32 v9, v19, v13
	s_waitcnt lgkmcnt(0)
	v_lshrrev_b32_e32 v12, 16, v4
	v_and_b32_e32 v4, 0xffff, v4
	v_lshrrev_b32_e32 v13, 16, v5
	v_and_b32_e32 v5, 0xffff, v5
	v_fmac_f32_e32 v41, v14, v17
	v_fmac_f32_e32 v8, v15, v20
	;;#ASMSTART
	v_cvt_f32_f16 v14, v4;
	;;#ASMEND
	;;#ASMSTART
	v_cvt_f32_f16 v12, v12;
	;;#ASMEND
	;; [unrolled: 3-line block ×8, first 2 shown]
	ds_read_b64 v[4:5], v31 offset:48
	v_fmac_f32_e32 v18, v14, v10
	v_fmac_f32_e32 v9, v16, v11
	;; [unrolled: 1-line block ×4, first 2 shown]
	s_waitcnt lgkmcnt(0)
	v_lshrrev_b32_e32 v10, 16, v4
	v_and_b32_e32 v4, 0xffff, v4
	v_lshrrev_b32_e32 v11, 16, v5
	v_and_b32_e32 v5, 0xffff, v5
	;;#ASMSTART
	v_cvt_f32_f16 v12, v4;
	;;#ASMEND
	;;#ASMSTART
	v_cvt_f32_f16 v10, v10;
	;;#ASMEND
	;; [unrolled: 3-line block ×8, first 2 shown]
	ds_read_b64 v[4:5], v31 offset:56
	v_fmac_f32_e32 v18, v12, v13
	v_fmac_f32_e32 v41, v10, v14
	;; [unrolled: 1-line block ×4, first 2 shown]
	s_waitcnt lgkmcnt(0)
	v_lshrrev_b32_e32 v10, 16, v4
	v_and_b32_e32 v4, 0xffff, v4
	v_lshrrev_b32_e32 v11, 16, v5
	v_and_b32_e32 v5, 0xffff, v5
	;;#ASMSTART
	v_cvt_f32_f16 v4, v4;
	;;#ASMEND
	;;#ASMSTART
	v_cvt_f32_f16 v10, v10;
	;;#ASMEND
	;; [unrolled: 3-line block ×4, first 2 shown]
	v_fmac_f32_e32 v18, v4, v12
	v_fmac_f32_e32 v41, v10, v13
	;;#ASMSTART
	v_cvt_f32_f16 v5, v5;
	;;#ASMEND
	;;#ASMSTART
	v_cvt_f32_f16 v11, v11;
	;;#ASMEND
	;; [unrolled: 3-line block ×3, first 2 shown]
	v_fmac_f32_e32 v9, v5, v14
	v_add_f32_e32 v4, v18, v41
	;;#ASMSTART
	v_cvt_f32_f16 v15, v57;
	;;#ASMEND
	v_fmac_f32_e32 v8, v11, v15
	v_add_f32_e32 v4, v4, v9
	v_add_f32_e32 v4, v8, v4
	v_lshlrev_b32_e32 v5, 2, v36
	ds_bpermute_b32 v5, v5, v4
	s_and_saveexec_b64 s[38:39], vcc
	s_cbranch_execz .LBB118_9
; %bb.11:                               ;   in Loop: Header=BB118_10 Depth=1
	v_add_u32_e32 v8, s15, v32
	v_cvt_f32_i32_e32 v8, v8
	s_waitcnt lgkmcnt(0)
	v_add_f32_e32 v4, v4, v5
	v_cmp_gt_i32_e64 s[4:5], s25, v32
	v_max_f32_e32 v5, v28, v28
	v_mul_f32_e32 v8, s40, v8
	v_cndmask_b32_e64 v8, 0, v8, s[2:3]
	v_fmac_f32_e32 v8, s11, v4
	v_cndmask_b32_e64 v4, 0, v8, s[4:5]
	ds_write_b32 v33, v4
	v_max_f32_e32 v4, v5, v8
	v_cndmask_b32_e64 v28, v28, v4, s[4:5]
	s_branch .LBB118_9
.LBB118_12:
	s_or_b64 exec, exec, s[36:37]
.LBB118_13:
	s_or_b64 exec, exec, s[34:35]
	v_xor_b32_e32 v2, 32, v26
	v_cmp_lt_i32_e32 vcc, v2, v27
	v_cndmask_b32_e32 v2, v26, v2, vcc
	v_lshlrev_b32_e32 v2, 2, v2
	ds_bpermute_b32 v3, v2, v28
	s_waitcnt lgkmcnt(0)
	v_xor_b32_e32 v5, 16, v26
	v_max_f32_e32 v4, v28, v28
	v_cmp_lt_i32_e32 vcc, v5, v27
	v_xor_b32_e32 v8, 8, v26
	v_max_f32_e32 v3, v3, v3
	v_max_f32_e32 v4, v4, v3
	v_cndmask_b32_e32 v3, v26, v5, vcc
	v_lshlrev_b32_e32 v3, 2, v3
	ds_bpermute_b32 v5, v3, v4
	v_cmp_lt_i32_e32 vcc, v8, v27
	v_xor_b32_e32 v9, 4, v26
	v_xor_b32_e32 v10, 2, v26
	v_and_b32_e32 v16, 63, v0
	s_waitcnt lgkmcnt(0)
	v_max_f32_e32 v5, v5, v5
	v_max_f32_e32 v4, v4, v5
	v_cndmask_b32_e32 v5, v26, v8, vcc
	v_lshlrev_b32_e32 v5, 2, v5
	ds_bpermute_b32 v8, v5, v4
	v_cmp_lt_i32_e32 vcc, v9, v27
	s_waitcnt lgkmcnt(0)
	v_max_f32_e32 v8, v8, v8
	v_max_f32_e32 v4, v4, v8
	v_cndmask_b32_e32 v8, v26, v9, vcc
	v_lshlrev_b32_e32 v8, 2, v8
	ds_bpermute_b32 v9, v8, v4
	v_cmp_lt_i32_e32 vcc, v10, v27
	s_waitcnt lgkmcnt(0)
	v_max_f32_e32 v9, v9, v9
	v_max_f32_e32 v4, v4, v9
	v_cndmask_b32_e32 v9, v26, v10, vcc
	v_lshlrev_b32_e32 v17, 2, v9
	ds_bpermute_b32 v10, v17, v4
	v_cmp_eq_u32_e32 vcc, 0, v16
	v_lshlrev_b32_e32 v9, 2, v24
	s_and_saveexec_b64 s[2:3], vcc
	s_cbranch_execz .LBB118_15
; %bb.14:
	s_waitcnt lgkmcnt(0)
	v_max_f32_e32 v10, v10, v10
	v_max_f32_e32 v4, v4, v4
	;; [unrolled: 1-line block ×3, first 2 shown]
	ds_write_b32 v9, v4 offset:128
.LBB118_15:
	s_or_b64 exec, exec, s[2:3]
	v_cmp_gt_u32_e64 s[2:3], 2, v16
	v_mov_b32_e32 v4, 0xff7fffff
	s_waitcnt lgkmcnt(0)
	v_lshlrev_b32_e32 v10, 2, v16
	s_barrier
	s_and_saveexec_b64 s[4:5], s[2:3]
	s_cbranch_execz .LBB118_17
; %bb.16:
	ds_read_b32 v4, v10 offset:128
.LBB118_17:
	s_or_b64 exec, exec, s[4:5]
	v_xor_b32_e32 v11, 1, v26
	v_cmp_lt_i32_e64 s[4:5], v11, v27
	v_cndmask_b32_e64 v11, v26, v11, s[4:5]
	v_lshlrev_b32_e32 v18, 2, v11
	s_waitcnt lgkmcnt(0)
	ds_bpermute_b32 v11, v18, v4
	v_max_f32_e32 v4, v4, v4
	s_sub_i32 s4, s21, s10
	s_lshl_b32 s4, s4, 5
	s_add_i32 s4, s4, s33
	s_waitcnt lgkmcnt(0)
	v_max_f32_e32 v11, v11, v11
	v_max_f32_e32 v4, v4, v11
	v_lshlrev_b32_e32 v11, 2, v26
	v_and_b32_e32 v11, 0xffffff00, v11
	ds_bpermute_b32 v4, v11, v4
	s_min_i32 s38, s4, s25
	s_sub_i32 s15, s38, s33
	v_cmp_gt_i32_e64 s[4:5], s15, v0
	v_mov_b32_e32 v12, 0
	s_and_saveexec_b64 s[34:35], s[4:5]
	s_cbranch_execz .LBB118_21
; %bb.18:
	v_mov_b32_e32 v12, 0x90
	v_lshl_add_u32 v13, v0, 2, v12
	s_mov_b64 s[36:37], 0
	v_mov_b32_e32 v12, 0
	v_mov_b32_e32 v14, v0
.LBB118_19:                             ; =>This Inner Loop Header: Depth=1
	ds_read_b32 v15, v13
	v_add_u32_e32 v14, 0x80, v14
	v_cmp_le_i32_e64 s[10:11], s15, v14
	s_or_b64 s[36:37], s[10:11], s[36:37]
	s_waitcnt lgkmcnt(0)
	v_sub_f32_e32 v15, v15, v4
	v_mul_f32_e32 v15, 0x3fb8aa3b, v15
	v_exp_f32_e32 v15, v15
	ds_write_b32 v13, v15
	v_add_f32_e32 v12, v12, v15
	v_add_u32_e32 v13, 0x200, v13
	s_andn2_b64 exec, exec, s[36:37]
	s_cbranch_execnz .LBB118_19
; %bb.20:
	s_or_b64 exec, exec, s[36:37]
.LBB118_21:
	s_or_b64 exec, exec, s[34:35]
	ds_bpermute_b32 v2, v2, v12
	s_waitcnt lgkmcnt(0)
	v_add_f32_e32 v2, v12, v2
	ds_bpermute_b32 v3, v3, v2
	s_waitcnt lgkmcnt(0)
	v_add_f32_e32 v2, v2, v3
	;; [unrolled: 3-line block ×6, first 2 shown]
	s_and_saveexec_b64 s[10:11], vcc
	s_cbranch_execz .LBB118_23
; %bb.22:
	ds_write_b32 v9, v2 offset:136
.LBB118_23:
	s_or_b64 exec, exec, s[10:11]
	s_waitcnt lgkmcnt(0)
	s_barrier
	s_and_saveexec_b64 s[10:11], s[2:3]
	s_cbranch_execz .LBB118_25
; %bb.24:
	ds_read_b32 v2, v10 offset:136
.LBB118_25:
	s_or_b64 exec, exec, s[10:11]
	s_waitcnt lgkmcnt(0)
	ds_bpermute_b32 v3, v18, v2
	s_waitcnt lgkmcnt(0)
	v_add_f32_e32 v2, v2, v3
	ds_bpermute_b32 v5, v11, v2
	s_and_saveexec_b64 s[2:3], s[4:5]
	s_cbranch_execz .LBB118_38
; %bb.26:
	s_waitcnt lgkmcnt(0)
	v_add_f32_e32 v2, 0x358637bd, v5
	v_div_scale_f32 v3, s[4:5], v2, v2, 1.0
	v_rcp_f32_e32 v8, v3
	v_div_scale_f32 v9, vcc, 1.0, v2, 1.0
	s_movk_i32 s4, 0x7f
	v_fma_f32 v10, -v3, v8, 1.0
	v_fmac_f32_e32 v8, v10, v8
	v_mul_f32_e32 v10, v9, v8
	v_fma_f32 v11, -v3, v10, v9
	v_fmac_f32_e32 v10, v11, v8
	v_fma_f32 v3, -v3, v10, v9
	v_div_fmas_f32 v3, v3, v8, v10
	v_div_fixup_f32 v2, v3, v2, 1.0
	v_xad_u32 v3, v0, -1, s38
	v_subrev_u32_e32 v8, s33, v3
	v_cmp_lt_u32_e32 vcc, s4, v8
	s_mov_b64 s[10:11], -1
	v_mov_b32_e32 v3, v0
	s_and_saveexec_b64 s[4:5], vcc
	s_cbranch_execz .LBB118_35
; %bb.27:
	v_lshrrev_b32_e32 v8, 7, v8
	v_add_u32_e32 v10, -1, v8
	v_lshrrev_b32_e32 v9, 1, v10
	v_mov_b32_e32 v3, v2
	v_add_u32_e32 v9, 1, v9
	v_cmp_lt_u32_e32 vcc, 13, v10
	v_mov_b32_e32 v12, 0
	s_and_saveexec_b64 s[10:11], vcc
	s_cbranch_execz .LBB118_31
; %bb.28:
	v_mov_b32_e32 v11, 0x90
	v_and_b32_e32 v10, -8, v9
	v_lshl_add_u32 v11, v0, 2, v11
	s_mov_b32 s36, 0
	s_mov_b64 s[34:35], 0
.LBB118_29:                             ; =>This Inner Loop Header: Depth=1
	ds_read2st64_b32 v[12:13], v11 offset1:2
	ds_read2st64_b32 v[14:15], v11 offset0:4 offset1:6
	ds_read2st64_b32 v[20:21], v11 offset0:8 offset1:10
	;; [unrolled: 1-line block ×3, first 2 shown]
	v_add_u32_e32 v10, -8, v10
	s_waitcnt lgkmcnt(3)
	v_pk_mul_f32 v[12:13], v[2:3], v[12:13]
	s_waitcnt lgkmcnt(2)
	v_pk_mul_f32 v[14:15], v[2:3], v[14:15]
	ds_write2st64_b32 v11, v12, v13 offset1:2
	ds_write2st64_b32 v11, v14, v15 offset0:4 offset1:6
	ds_read2st64_b32 v[14:15], v11 offset0:16 offset1:18
	s_waitcnt lgkmcnt(4)
	v_pk_mul_f32 v[12:13], v[2:3], v[20:21]
	ds_write2st64_b32 v11, v12, v13 offset0:8 offset1:10
	s_waitcnt lgkmcnt(4)
	v_pk_mul_f32 v[12:13], v[2:3], v[22:23]
	ds_write2st64_b32 v11, v12, v13 offset0:12 offset1:14
	ds_read2st64_b32 v[12:13], v11 offset0:20 offset1:22
	s_waitcnt lgkmcnt(3)
	v_pk_mul_f32 v[14:15], v[2:3], v[14:15]
	ds_read2st64_b32 v[20:21], v11 offset0:24 offset1:26
	ds_write2st64_b32 v11, v14, v15 offset0:16 offset1:18
	ds_read2st64_b32 v[14:15], v11 offset0:28 offset1:30
	s_waitcnt lgkmcnt(3)
	v_pk_mul_f32 v[12:13], v[2:3], v[12:13]
	ds_write2st64_b32 v11, v12, v13 offset0:20 offset1:22
	s_waitcnt lgkmcnt(3)
	v_pk_mul_f32 v[12:13], v[2:3], v[20:21]
	ds_write2st64_b32 v11, v12, v13 offset0:24 offset1:26
	s_waitcnt lgkmcnt(2)
	v_pk_mul_f32 v[12:13], v[2:3], v[14:15]
	s_add_i32 s36, s36, 16
	v_cmp_eq_u32_e32 vcc, 0, v10
	ds_write2st64_b32 v11, v12, v13 offset0:28 offset1:30
	v_add_u32_e32 v11, 0x2000, v11
	s_or_b64 s[34:35], vcc, s[34:35]
	v_mov_b32_e32 v12, s36
	s_andn2_b64 exec, exec, s[34:35]
	s_cbranch_execnz .LBB118_29
; %bb.30:
	s_or_b64 exec, exec, s[34:35]
.LBB118_31:
	s_or_b64 exec, exec, s[10:11]
	v_and_b32_e32 v9, 7, v9
	v_cmp_ne_u32_e32 vcc, 0, v9
	s_and_saveexec_b64 s[10:11], vcc
	s_cbranch_execz .LBB118_34
; %bb.32:
	v_lshlrev_b32_e32 v10, 9, v12
	v_lshlrev_b32_e32 v11, 2, v0
	s_movk_i32 s34, 0x90
	v_add3_u32 v10, v10, v11, s34
	s_mov_b64 s[34:35], 0
.LBB118_33:                             ; =>This Inner Loop Header: Depth=1
	ds_read2st64_b32 v[12:13], v10 offset1:2
	v_add_u32_e32 v9, -1, v9
	v_cmp_eq_u32_e32 vcc, 0, v9
	s_or_b64 s[34:35], vcc, s[34:35]
	s_waitcnt lgkmcnt(0)
	v_pk_mul_f32 v[12:13], v[2:3], v[12:13]
	ds_write2st64_b32 v10, v12, v13 offset1:2
	v_add_u32_e32 v10, 0x400, v10
	s_andn2_b64 exec, exec, s[34:35]
	s_cbranch_execnz .LBB118_33
.LBB118_34:
	s_or_b64 exec, exec, s[10:11]
	v_add_u32_e32 v8, 1, v8
	v_and_b32_e32 v9, 0x3fffffe, v8
	v_cmp_ne_u32_e32 vcc, v8, v9
	v_lshl_add_u32 v3, v9, 7, v0
	s_orn2_b64 s[10:11], vcc, exec
.LBB118_35:
	s_or_b64 exec, exec, s[4:5]
	s_and_b64 exec, exec, s[10:11]
	s_cbranch_execz .LBB118_38
; %bb.36:
	v_mov_b32_e32 v8, 0x90
	v_lshl_add_u32 v8, v3, 2, v8
	s_mov_b64 s[4:5], 0
.LBB118_37:                             ; =>This Inner Loop Header: Depth=1
	ds_read_b32 v9, v8
	v_add_u32_e32 v3, 0x80, v3
	v_cmp_le_i32_e32 vcc, s15, v3
	s_or_b64 s[4:5], vcc, s[4:5]
	s_waitcnt lgkmcnt(0)
	v_mul_f32_e32 v9, v2, v9
	ds_write_b32 v8, v9
	v_add_u32_e32 v8, 0x200, v8
	s_andn2_b64 exec, exec, s[4:5]
	s_cbranch_execnz .LBB118_37
.LBB118_38:
	s_or_b64 exec, exec, s[2:3]
	s_mul_i32 s2, s12, s24
	v_cmp_eq_u32_e32 vcc, 0, v0
	s_mul_i32 s2, s2, s9
	s_waitcnt lgkmcnt(0)
	s_barrier
	s_and_saveexec_b64 s[4:5], vcc
	s_cbranch_execz .LBB118_40
; %bb.39:
	s_ashr_i32 s3, s2, 31
	s_lshl_b64 s[10:11], s[2:3], 2
	s_add_u32 s3, s18, s10
	s_mul_i32 s18, s12, s6
	s_addc_u32 s9, s19, s11
	s_ashr_i32 s19, s18, 31
	s_lshl_b64 s[18:19], s[18:19], 2
	s_add_u32 s3, s3, s18
	s_addc_u32 s6, s9, s19
	s_ashr_i32 s9, s8, 31
	s_lshl_b64 s[34:35], s[8:9], 2
	s_add_u32 s36, s3, s34
	s_addc_u32 s37, s6, s35
	s_add_u32 s3, s16, s10
	s_addc_u32 s6, s17, s11
	;; [unrolled: 2-line block ×3, first 2 shown]
	s_add_u32 s10, s3, s34
	v_mov_b32_e32 v2, 0
	s_addc_u32 s11, s6, s35
	global_store_dword v2, v4, s[36:37]
	global_store_dword v2, v5, s[10:11]
.LBB118_40:
	s_or_b64 exec, exec, s[4:5]
	v_mov_b32_e32 v9, 0
	v_and_b32_e32 v19, 3, v0
	v_mov_b32_e32 v8, 0
	v_mov_b32_e32 v11, 0
	;; [unrolled: 1-line block ×3, first 2 shown]
	s_and_saveexec_b64 s[4:5], s[0:1]
	s_cbranch_execz .LBB118_52
; %bb.41:
	s_ashr_i32 s15, s14, 31
	s_lshl_b64 s[0:1], s[14:15], 1
	v_and_b32_e32 v2, 24, v1
	s_add_u32 s0, s30, s0
	v_lshlrev_b32_e32 v1, 4, v0
	s_addc_u32 s1, s31, s1
	v_and_b32_e32 v1, 0x3f0, v1
	s_add_i32 s9, s7, -1
	v_mov_b32_e32 v3, s1
	v_add_co_u32_e32 v1, vcc, s0, v1
	v_add3_u32 v21, s33, v25, v2
	v_lshlrev_b32_e32 v2, 5, v19
	s_lshl_b64 s[0:1], s[28:29], 2
	v_lshl_or_b32 v2, v24, 7, v2
	s_add_u32 s0, s26, s0
	v_addc_co_u32_e32 v20, vcc, 0, v3, vcc
	v_add_u32_e32 v22, 0x90, v2
	v_lshlrev_b64 v[2:3], 2, v[6:7]
	s_addc_u32 s1, s27, s1
	v_mov_b32_e32 v4, s1
	v_add_co_u32_e32 v12, vcc, s0, v2
	v_mov_b32_e32 v10, 0
	s_mov_b32 s3, s13
	s_mov_b32 s13, s25
	;; [unrolled: 1-line block ×8, first 2 shown]
	v_addc_co_u32_e32 v13, vcc, v4, v3, vcc
	s_mov_b64 s[6:7], 0
	s_mov_b32 s24, 0x5040100
	v_mov_b32_e32 v11, v10
	v_mov_b32_e32 v8, v10
	;; [unrolled: 1-line block ×3, first 2 shown]
	s_branch .LBB118_43
.LBB118_42:                             ;   in Loop: Header=BB118_43 Depth=1
	s_or_b64 exec, exec, s[0:1]
	s_waitcnt vmcnt(0)
	;;#ASMSTART
	v_pk_mul_f16 v2, v32, v2;

	;;#ASMEND
	;;#ASMSTART
	v_pk_mul_f16 v3, v31, v3;

	;;#ASMEND
	;;#ASMSTART
	v_pk_mul_f16 v4, v30, v4;

	;;#ASMEND
	;;#ASMSTART
	v_pk_mul_f16 v5, v29, v5;

	;;#ASMEND
	;;#ASMSTART
	v_pk_add_f16 v2, v2, v3;

	;;#ASMEND
	;;#ASMSTART
	v_pk_add_f16 v2, v2, v4;

	;;#ASMEND
	;; [unrolled: 4-line block ×3, first 2 shown]
	v_add_f32_e32 v7, v33, v34
	v_lshrrev_b32_e32 v3, 16, v2
	v_and_b32_e32 v2, 0xffff, v2
	v_add_u32_e32 v6, 2, v6
	v_add_f32_e32 v10, v10, v7
	v_add_f32_e32 v7, v35, v36
	;;#ASMSTART
	v_cvt_f32_f16 v2, v2;
	;;#ASMEND
	v_cmp_le_i32_e32 vcc, s21, v6
	v_add_f32_e32 v11, v11, v7
	v_add_f32_e32 v7, v37, v38
	;;#ASMSTART
	v_cvt_f32_f16 v3, v3;
	;;#ASMEND
	v_add_f32_e32 v2, v2, v3
	s_or_b64 s[6:7], vcc, s[6:7]
	v_add_co_u32_e32 v12, vcc, 8, v12
	v_add_f32_e32 v8, v8, v7
	v_add_f32_e32 v9, v9, v2
	v_add_u32_e32 v21, 64, v21
	v_add_u32_e32 v22, 0x100, v22
	v_addc_co_u32_e32 v13, vcc, 0, v13, vcc
	s_andn2_b64 exec, exec, s[6:7]
	s_cbranch_execz .LBB118_51
.LBB118_43:                             ; =>This Inner Loop Header: Depth=1
	global_load_dword v7, v[12:13], off
	ds_read2_b64 v[2:5], v22 offset1:1
	ds_read2_b64 v[24:27], v22 offset0:2 offset1:3
	v_or_b32_e32 v23, 2, v21
	v_or_b32_e32 v28, 7, v21
	s_waitcnt lgkmcnt(1)
	;;#ASMSTART
	v_cvt_f16_f32 v29, v2;

	;;#ASMEND
	;;#ASMSTART
	v_cvt_f16_f32 v30, v3;

	;;#ASMEND
	;; [unrolled: 4-line block ×4, first 2 shown]
	s_waitcnt lgkmcnt(0)
	;;#ASMSTART
	v_cvt_f16_f32 v34, v24;

	;;#ASMEND
	;;#ASMSTART
	v_cvt_f16_f32 v35, v25;

	;;#ASMEND
	;; [unrolled: 4-line block ×4, first 2 shown]
	v_or_b32_e32 v24, 3, v21
	v_or_b32_e32 v26, 5, v21
	;; [unrolled: 1-line block ×4, first 2 shown]
	s_waitcnt vmcnt(0)
	v_mad_i64_i32 v[2:3], s[0:1], v7, s3, 0
	v_lshlrev_b64 v[2:3], 1, v[2:3]
	v_add_co_u32_e32 v14, vcc, v1, v2
	v_addc_co_u32_e32 v15, vcc, v20, v3, vcc
	global_load_dwordx4 v[2:5], v[14:15], off
	v_cmp_eq_u32_e32 vcc, s9, v6
	v_add_u32_e32 v7, 1, v21
	s_and_saveexec_b64 s[10:11], vcc
	s_cbranch_execz .LBB118_45
; %bb.44:                               ;   in Loop: Header=BB118_43 Depth=1
	s_waitcnt vmcnt(0)
	v_lshrrev_b32_e32 v32, 16, v5
	v_cmp_gt_i32_e64 s[0:1], s19, v28
	v_cndmask_b32_e64 v32, 0, v32, s[0:1]
	v_cmp_gt_i32_e64 s[0:1], s18, v27
	v_cndmask_b32_e64 v5, 0, v5, s[0:1]
	v_perm_b32 v5, v32, v5, s24
	v_lshrrev_b32_e32 v32, 16, v4
	v_cmp_gt_i32_e64 s[0:1], s17, v26
	v_cndmask_b32_e64 v32, 0, v32, s[0:1]
	v_cmp_gt_i32_e64 s[0:1], s16, v25
	v_cndmask_b32_e64 v4, 0, v4, s[0:1]
	v_perm_b32 v4, v32, v4, s24
	;; [unrolled: 6-line block ×4, first 2 shown]
.LBB118_45:                             ;   in Loop: Header=BB118_43 Depth=1
	s_or_b64 exec, exec, s[10:11]
	v_and_b32_e32 v29, 0xffff, v29
	v_lshl_or_b32 v32, v30, 16, v29
	v_and_b32_e32 v29, 0xffff, v31
	v_lshl_or_b32 v31, v33, 16, v29
	;; [unrolled: 2-line block ×3, first 2 shown]
	v_and_b32_e32 v29, 0xffff, v36
	s_waitcnt vmcnt(0)
	;;#ASMSTART
	v_pk_mul_f16 v2, v32, v2;

	;;#ASMEND
	v_lshl_or_b32 v29, v37, 16, v29
	;;#ASMSTART
	v_pk_mul_f16 v3, v31, v3;

	;;#ASMEND
	;;#ASMSTART
	v_pk_mul_f16 v4, v30, v4;

	;;#ASMEND
	;; [unrolled: 4-line block ×3, first 2 shown]
	;;#ASMSTART
	v_pk_add_f16 v2, v2, v3;

	;;#ASMEND
	;;#ASMSTART
	v_pk_add_f16 v2, v2, v4;

	;;#ASMEND
	;; [unrolled: 4-line block ×3, first 2 shown]
	v_lshrrev_b32_e32 v3, 16, v2
	v_and_b32_e32 v2, 0xffff, v2
	;;#ASMSTART
	v_cvt_f32_f16 v33, v2;
	;;#ASMEND
	;;#ASMSTART
	v_cvt_f32_f16 v34, v3;
	;;#ASMEND
	global_load_dwordx4 v[2:5], v[14:15], off offset:1024
	s_and_saveexec_b64 s[10:11], vcc
	s_cbranch_execz .LBB118_47
; %bb.46:                               ;   in Loop: Header=BB118_43 Depth=1
	s_waitcnt vmcnt(0)
	v_lshrrev_b32_e32 v35, 16, v5
	v_cmp_gt_i32_e64 s[0:1], s19, v28
	v_cndmask_b32_e64 v35, 0, v35, s[0:1]
	v_cmp_gt_i32_e64 s[0:1], s18, v27
	v_cndmask_b32_e64 v5, 0, v5, s[0:1]
	v_perm_b32 v5, v35, v5, s24
	v_lshrrev_b32_e32 v35, 16, v4
	v_cmp_gt_i32_e64 s[0:1], s17, v26
	v_cndmask_b32_e64 v35, 0, v35, s[0:1]
	v_cmp_gt_i32_e64 s[0:1], s16, v25
	v_cndmask_b32_e64 v4, 0, v4, s[0:1]
	v_perm_b32 v4, v35, v4, s24
	;; [unrolled: 6-line block ×4, first 2 shown]
.LBB118_47:                             ;   in Loop: Header=BB118_43 Depth=1
	s_or_b64 exec, exec, s[10:11]
	s_waitcnt vmcnt(0)
	;;#ASMSTART
	v_pk_mul_f16 v2, v32, v2;

	;;#ASMEND
	;;#ASMSTART
	v_pk_mul_f16 v3, v31, v3;

	;;#ASMEND
	;; [unrolled: 4-line block ×4, first 2 shown]
	;;#ASMSTART
	v_pk_add_f16 v2, v2, v3;

	;;#ASMEND
	;;#ASMSTART
	v_pk_add_f16 v2, v2, v4;

	;;#ASMEND
	;; [unrolled: 4-line block ×3, first 2 shown]
	v_lshrrev_b32_e32 v3, 16, v2
	v_and_b32_e32 v2, 0xffff, v2
	;;#ASMSTART
	v_cvt_f32_f16 v35, v2;
	;;#ASMEND
	;;#ASMSTART
	v_cvt_f32_f16 v36, v3;
	;;#ASMEND
	global_load_dwordx4 v[2:5], v[14:15], off offset:2048
	s_and_saveexec_b64 s[10:11], vcc
	s_cbranch_execz .LBB118_49
; %bb.48:                               ;   in Loop: Header=BB118_43 Depth=1
	s_waitcnt vmcnt(0)
	v_lshrrev_b32_e32 v37, 16, v5
	v_cmp_gt_i32_e64 s[0:1], s19, v28
	v_cndmask_b32_e64 v37, 0, v37, s[0:1]
	v_cmp_gt_i32_e64 s[0:1], s18, v27
	v_cndmask_b32_e64 v5, 0, v5, s[0:1]
	v_perm_b32 v5, v37, v5, s24
	v_lshrrev_b32_e32 v37, 16, v4
	v_cmp_gt_i32_e64 s[0:1], s17, v26
	v_cndmask_b32_e64 v37, 0, v37, s[0:1]
	v_cmp_gt_i32_e64 s[0:1], s16, v25
	v_cndmask_b32_e64 v4, 0, v4, s[0:1]
	v_perm_b32 v4, v37, v4, s24
	v_lshrrev_b32_e32 v37, 16, v3
	v_cmp_gt_i32_e64 s[0:1], s15, v24
	v_cndmask_b32_e64 v37, 0, v37, s[0:1]
	v_cmp_gt_i32_e64 s[0:1], s14, v23
	v_cndmask_b32_e64 v3, 0, v3, s[0:1]
	v_perm_b32 v3, v37, v3, s24
	v_lshrrev_b32_e32 v37, 16, v2
	v_cmp_gt_i32_e64 s[0:1], s13, v7
	v_cndmask_b32_e64 v37, 0, v37, s[0:1]
	v_cmp_gt_i32_e64 s[0:1], s25, v21
	v_cndmask_b32_e64 v2, 0, v2, s[0:1]
	v_perm_b32 v2, v37, v2, s24
.LBB118_49:                             ;   in Loop: Header=BB118_43 Depth=1
	s_or_b64 exec, exec, s[10:11]
	s_waitcnt vmcnt(0)
	;;#ASMSTART
	v_pk_mul_f16 v2, v32, v2;

	;;#ASMEND
	;;#ASMSTART
	v_pk_mul_f16 v3, v31, v3;

	;;#ASMEND
	;; [unrolled: 4-line block ×4, first 2 shown]
	;;#ASMSTART
	v_pk_add_f16 v2, v2, v3;

	;;#ASMEND
	;;#ASMSTART
	v_pk_add_f16 v2, v2, v4;

	;;#ASMEND
	;; [unrolled: 4-line block ×3, first 2 shown]
	v_lshrrev_b32_e32 v3, 16, v2
	v_and_b32_e32 v2, 0xffff, v2
	;;#ASMSTART
	v_cvt_f32_f16 v37, v2;
	;;#ASMEND
	;;#ASMSTART
	v_cvt_f32_f16 v38, v3;
	;;#ASMEND
	global_load_dwordx4 v[2:5], v[14:15], off offset:3072
	s_and_saveexec_b64 s[0:1], vcc
	s_cbranch_execz .LBB118_42
; %bb.50:                               ;   in Loop: Header=BB118_43 Depth=1
	s_waitcnt vmcnt(0)
	v_lshrrev_b32_e32 v14, 16, v5
	v_cmp_gt_i32_e32 vcc, s19, v28
	v_cndmask_b32_e32 v14, 0, v14, vcc
	v_cmp_gt_i32_e32 vcc, s18, v27
	v_cndmask_b32_e32 v5, 0, v5, vcc
	v_perm_b32 v5, v14, v5, s24
	v_lshrrev_b32_e32 v14, 16, v4
	v_cmp_gt_i32_e32 vcc, s17, v26
	v_cndmask_b32_e32 v14, 0, v14, vcc
	v_cmp_gt_i32_e32 vcc, s16, v25
	v_cndmask_b32_e32 v4, 0, v4, vcc
	v_perm_b32 v4, v14, v4, s24
	v_lshrrev_b32_e32 v14, 16, v3
	v_cmp_gt_i32_e32 vcc, s15, v24
	v_cndmask_b32_e32 v14, 0, v14, vcc
	v_cmp_gt_i32_e32 vcc, s14, v23
	v_cndmask_b32_e32 v3, 0, v3, vcc
	v_perm_b32 v3, v14, v3, s24
	v_lshrrev_b32_e32 v14, 16, v2
	v_cmp_gt_i32_e32 vcc, s13, v7
	v_cndmask_b32_e32 v7, 0, v14, vcc
	v_cmp_gt_i32_e32 vcc, s25, v21
	v_cndmask_b32_e32 v2, 0, v2, vcc
	v_perm_b32 v2, v7, v2, s24
	s_branch .LBB118_42
.LBB118_51:
	s_or_b64 exec, exec, s[6:7]
.LBB118_52:
	s_or_b64 exec, exec, s[4:5]
	ds_bpermute_b32 v2, v17, v10
	ds_bpermute_b32 v3, v17, v11
	;; [unrolled: 1-line block ×4, first 2 shown]
	v_and_b32_e32 v1, 0x3c3, v0
	v_cmp_eq_u32_e32 vcc, 64, v1
	s_waitcnt lgkmcnt(2)
	v_pk_add_f32 v[2:3], v[10:11], v[2:3]
	ds_bpermute_b32 v6, v18, v2
	s_waitcnt lgkmcnt(1)
	v_pk_add_f32 v[8:9], v[8:9], v[4:5]
	ds_bpermute_b32 v7, v18, v3
	ds_bpermute_b32 v10, v18, v8
	;; [unrolled: 1-line block ×3, first 2 shown]
	s_waitcnt lgkmcnt(0)
	s_barrier
	v_pk_add_f32 v[4:5], v[2:3], v[6:7]
	v_pk_add_f32 v[2:3], v[8:9], v[10:11]
	s_and_saveexec_b64 s[0:1], vcc
	s_cbranch_execz .LBB118_54
; %bb.53:
	v_add_u32_e32 v6, 0x90, v16
	ds_write2_b32 v6, v4, v5 offset1:16
	ds_write2_b32 v6, v2, v3 offset0:32 offset1:48
.LBB118_54:
	s_or_b64 exec, exec, s[0:1]
	v_cmp_gt_u32_e32 vcc, 64, v0
	s_waitcnt lgkmcnt(0)
	s_barrier
	s_and_saveexec_b64 s[0:1], vcc
	s_cbranch_execz .LBB118_61
; %bb.55:
	v_cmp_eq_u32_e32 vcc, 0, v19
	v_lshrrev_b32_e32 v6, 2, v0
	s_and_saveexec_b64 s[4:5], vcc
	s_cbranch_execnz .LBB118_64
; %bb.56:
	s_or_b64 exec, exec, s[4:5]
	s_and_saveexec_b64 s[4:5], vcc
	s_cbranch_execnz .LBB118_65
.LBB118_57:
	s_or_b64 exec, exec, s[4:5]
	s_and_saveexec_b64 s[4:5], vcc
	s_cbranch_execnz .LBB118_66
.LBB118_58:
	s_or_b64 exec, exec, s[4:5]
	s_and_saveexec_b64 s[4:5], vcc
	s_cbranch_execz .LBB118_60
.LBB118_59:
	v_mov_b32_e32 v7, 0x90
	v_lshl_add_u32 v6, v6, 2, v7
	ds_read_b32 v6, v6 offset:192
	s_waitcnt lgkmcnt(0)
	v_add_f32_e32 v3, v3, v6
.LBB118_60:
	s_or_b64 exec, exec, s[4:5]
.LBB118_61:
	s_or_b64 exec, exec, s[0:1]
	v_cmp_eq_u32_e32 vcc, 0, v1
	s_barrier
	s_and_saveexec_b64 s[0:1], vcc
	s_cbranch_execz .LBB118_63
; %bb.62:
	s_lshl_b32 s0, s2, 6
	s_ashr_i32 s1, s0, 31
	s_lshl_b64 s[0:1], s[0:1], 1
	s_add_u32 s2, s22, s0
	s_mul_i32 s0, s12, s20
	s_addc_u32 s3, s23, s1
	s_ashr_i32 s1, s0, 31
	s_lshl_b64 s[0:1], s[0:1], 1
	s_add_u32 s2, s2, s0
	s_addc_u32 s3, s3, s1
	s_lshl_b32 s0, s8, 6
	s_ashr_i32 s1, s0, 31
	s_lshl_b64 s[0:1], s[0:1], 1
	s_add_u32 s0, s2, s0
	s_addc_u32 s1, s3, s1
	v_lshrrev_b32_e32 v0, 1, v0
	;;#ASMSTART
	v_cvt_f16_f32 v1, v4;

	;;#ASMEND
	global_store_short v0, v1, s[0:1]
	;;#ASMSTART
	v_cvt_f16_f32 v1, v5;

	;;#ASMEND
	global_store_short v0, v1, s[0:1] offset:32
	;;#ASMSTART
	v_cvt_f16_f32 v1, v2;

	;;#ASMEND
	global_store_short v0, v1, s[0:1] offset:64
	;; [unrolled: 5-line block ×3, first 2 shown]
.LBB118_63:
	s_endpgm
.LBB118_64:
	v_mov_b32_e32 v7, 0x90
	v_lshl_add_u32 v7, v6, 2, v7
	ds_read_b32 v7, v7
	s_waitcnt lgkmcnt(0)
	v_add_f32_e32 v4, v4, v7
	s_or_b64 exec, exec, s[4:5]
	s_and_saveexec_b64 s[4:5], vcc
	s_cbranch_execz .LBB118_57
.LBB118_65:
	v_mov_b32_e32 v7, 0x90
	v_lshl_add_u32 v7, v6, 2, v7
	ds_read_b32 v7, v7 offset:64
	s_waitcnt lgkmcnt(0)
	v_add_f32_e32 v5, v5, v7
	s_or_b64 exec, exec, s[4:5]
	s_and_saveexec_b64 s[4:5], vcc
	s_cbranch_execz .LBB118_58
.LBB118_66:
	v_mov_b32_e32 v7, 0x90
	v_lshl_add_u32 v7, v6, 2, v7
	ds_read_b32 v7, v7 offset:128
	s_waitcnt lgkmcnt(0)
	v_add_f32_e32 v2, v2, v7
	s_or_b64 exec, exec, s[4:5]
	s_and_saveexec_b64 s[4:5], vcc
	s_cbranch_execnz .LBB118_59
	s_branch .LBB118_60
	.section	.rodata,"a",@progbits
	.p2align	6, 0x0
	.amdhsa_kernel _ZN4vllm25paged_attention_v2_kernelIttLi64ELi32ELi128ELNS_18Fp8KVCacheDataTypeE0ELb0ELi512EEEvPfS2_PT_PKS3_PKT0_S9_ifPKiSB_iPKfiiiSD_SD_iiiii
		.amdhsa_group_segment_fixed_size 144
		.amdhsa_private_segment_fixed_size 0
		.amdhsa_kernarg_size 400
		.amdhsa_user_sgpr_count 6
		.amdhsa_user_sgpr_private_segment_buffer 1
		.amdhsa_user_sgpr_dispatch_ptr 0
		.amdhsa_user_sgpr_queue_ptr 0
		.amdhsa_user_sgpr_kernarg_segment_ptr 1
		.amdhsa_user_sgpr_dispatch_id 0
		.amdhsa_user_sgpr_flat_scratch_init 0
		.amdhsa_user_sgpr_kernarg_preload_length 0
		.amdhsa_user_sgpr_kernarg_preload_offset 0
		.amdhsa_user_sgpr_private_segment_size 0
		.amdhsa_uses_dynamic_stack 0
		.amdhsa_system_sgpr_private_segment_wavefront_offset 0
		.amdhsa_system_sgpr_workgroup_id_x 1
		.amdhsa_system_sgpr_workgroup_id_y 1
		.amdhsa_system_sgpr_workgroup_id_z 1
		.amdhsa_system_sgpr_workgroup_info 0
		.amdhsa_system_vgpr_workitem_id 0
		.amdhsa_next_free_vgpr 61
		.amdhsa_next_free_sgpr 42
		.amdhsa_accum_offset 64
		.amdhsa_reserve_vcc 1
		.amdhsa_reserve_flat_scratch 0
		.amdhsa_float_round_mode_32 0
		.amdhsa_float_round_mode_16_64 0
		.amdhsa_float_denorm_mode_32 3
		.amdhsa_float_denorm_mode_16_64 3
		.amdhsa_dx10_clamp 1
		.amdhsa_ieee_mode 1
		.amdhsa_fp16_overflow 0
		.amdhsa_tg_split 0
		.amdhsa_exception_fp_ieee_invalid_op 0
		.amdhsa_exception_fp_denorm_src 0
		.amdhsa_exception_fp_ieee_div_zero 0
		.amdhsa_exception_fp_ieee_overflow 0
		.amdhsa_exception_fp_ieee_underflow 0
		.amdhsa_exception_fp_ieee_inexact 0
		.amdhsa_exception_int_div_zero 0
	.end_amdhsa_kernel
	.section	.text._ZN4vllm25paged_attention_v2_kernelIttLi64ELi32ELi128ELNS_18Fp8KVCacheDataTypeE0ELb0ELi512EEEvPfS2_PT_PKS3_PKT0_S9_ifPKiSB_iPKfiiiSD_SD_iiiii,"axG",@progbits,_ZN4vllm25paged_attention_v2_kernelIttLi64ELi32ELi128ELNS_18Fp8KVCacheDataTypeE0ELb0ELi512EEEvPfS2_PT_PKS3_PKT0_S9_ifPKiSB_iPKfiiiSD_SD_iiiii,comdat
.Lfunc_end118:
	.size	_ZN4vllm25paged_attention_v2_kernelIttLi64ELi32ELi128ELNS_18Fp8KVCacheDataTypeE0ELb0ELi512EEEvPfS2_PT_PKS3_PKT0_S9_ifPKiSB_iPKfiiiSD_SD_iiiii, .Lfunc_end118-_ZN4vllm25paged_attention_v2_kernelIttLi64ELi32ELi128ELNS_18Fp8KVCacheDataTypeE0ELb0ELi512EEEvPfS2_PT_PKS3_PKT0_S9_ifPKiSB_iPKfiiiSD_SD_iiiii
                                        ; -- End function
	.section	.AMDGPU.csdata,"",@progbits
; Kernel info:
; codeLenInByte = 5904
; NumSgprs: 46
; NumVgprs: 61
; NumAgprs: 0
; TotalNumVgprs: 61
; ScratchSize: 0
; MemoryBound: 0
; FloatMode: 240
; IeeeMode: 1
; LDSByteSize: 144 bytes/workgroup (compile time only)
; SGPRBlocks: 5
; VGPRBlocks: 7
; NumSGPRsForWavesPerEU: 46
; NumVGPRsForWavesPerEU: 61
; AccumOffset: 64
; Occupancy: 8
; WaveLimiterHint : 1
; COMPUTE_PGM_RSRC2:SCRATCH_EN: 0
; COMPUTE_PGM_RSRC2:USER_SGPR: 6
; COMPUTE_PGM_RSRC2:TRAP_HANDLER: 0
; COMPUTE_PGM_RSRC2:TGID_X_EN: 1
; COMPUTE_PGM_RSRC2:TGID_Y_EN: 1
; COMPUTE_PGM_RSRC2:TGID_Z_EN: 1
; COMPUTE_PGM_RSRC2:TIDIG_COMP_CNT: 0
; COMPUTE_PGM_RSRC3_GFX90A:ACCUM_OFFSET: 15
; COMPUTE_PGM_RSRC3_GFX90A:TG_SPLIT: 0
	.section	.text._ZN4vllm25paged_attention_v2_kernelIttLi80ELi32ELi128ELNS_18Fp8KVCacheDataTypeE0ELb0ELi512EEEvPfS2_PT_PKS3_PKT0_S9_ifPKiSB_iPKfiiiSD_SD_iiiii,"axG",@progbits,_ZN4vllm25paged_attention_v2_kernelIttLi80ELi32ELi128ELNS_18Fp8KVCacheDataTypeE0ELb0ELi512EEEvPfS2_PT_PKS3_PKT0_S9_ifPKiSB_iPKfiiiSD_SD_iiiii,comdat
	.protected	_ZN4vllm25paged_attention_v2_kernelIttLi80ELi32ELi128ELNS_18Fp8KVCacheDataTypeE0ELb0ELi512EEEvPfS2_PT_PKS3_PKT0_S9_ifPKiSB_iPKfiiiSD_SD_iiiii ; -- Begin function _ZN4vllm25paged_attention_v2_kernelIttLi80ELi32ELi128ELNS_18Fp8KVCacheDataTypeE0ELb0ELi512EEEvPfS2_PT_PKS3_PKT0_S9_ifPKiSB_iPKfiiiSD_SD_iiiii
	.globl	_ZN4vllm25paged_attention_v2_kernelIttLi80ELi32ELi128ELNS_18Fp8KVCacheDataTypeE0ELb0ELi512EEEvPfS2_PT_PKS3_PKT0_S9_ifPKiSB_iPKfiiiSD_SD_iiiii
	.p2align	8
	.type	_ZN4vllm25paged_attention_v2_kernelIttLi80ELi32ELi128ELNS_18Fp8KVCacheDataTypeE0ELb0ELi512EEEvPfS2_PT_PKS3_PKT0_S9_ifPKiSB_iPKfiiiSD_SD_iiiii,@function
_ZN4vllm25paged_attention_v2_kernelIttLi80ELi32ELi128ELNS_18Fp8KVCacheDataTypeE0ELb0ELi512EEEvPfS2_PT_PKS3_PKT0_S9_ifPKiSB_iPKfiiiSD_SD_iiiii: ; @_ZN4vllm25paged_attention_v2_kernelIttLi80ELi32ELi128ELNS_18Fp8KVCacheDataTypeE0ELb0ELi512EEEvPfS2_PT_PKS3_PKT0_S9_ifPKiSB_iPKfiiiSD_SD_iiiii
; %bb.0:
	s_load_dwordx2 s[0:1], s[4:5], 0x40
	s_mov_b32 s24, s7
	s_ashr_i32 s25, s7, 31
	s_lshl_b64 s[2:3], s[24:25], 2
	s_waitcnt lgkmcnt(0)
	s_add_u32 s0, s0, s2
	s_addc_u32 s1, s1, s3
	s_load_dword s25, s[0:1], 0x0
	s_lshl_b32 s33, s8, 9
	s_waitcnt lgkmcnt(0)
	s_cmp_ge_i32 s33, s25
	s_cbranch_scc1 .LBB119_66
; %bb.1:
	s_load_dword s9, s[4:5], 0x90
	s_load_dwordx2 s[10:11], s[4:5], 0x30
	s_mov_b32 s40, 0
	s_waitcnt lgkmcnt(0)
	s_abs_i32 s2, s9
	s_abs_i32 s0, s10
	v_cvt_f32_u32_e32 v1, s0
	s_sub_i32 s3, 0, s0
	s_xor_b32 s1, s9, s10
	s_ashr_i32 s1, s1, 31
	v_rcp_iflag_f32_e32 v1, v1
	v_mul_f32_e32 v1, 0x4f7ffffe, v1
	v_cvt_u32_f32_e32 v1, v1
	v_readfirstlane_b32 s7, v1
	s_mul_i32 s3, s3, s7
	s_mul_hi_u32 s3, s7, s3
	s_add_i32 s7, s7, s3
	s_mul_hi_u32 s3, s2, s7
	s_mul_i32 s7, s3, s0
	s_sub_i32 s2, s2, s7
	s_add_i32 s10, s3, 1
	s_sub_i32 s7, s2, s0
	s_cmp_ge_u32 s2, s0
	s_cselect_b32 s3, s10, s3
	s_cselect_b32 s2, s7, s2
	s_add_i32 s7, s3, 1
	s_cmp_ge_u32 s2, s0
	s_cselect_b32 s0, s7, s3
	s_xor_b32 s0, s0, s1
	s_sub_i32 s10, s0, s1
	s_abs_i32 s2, s10
	v_cvt_f32_u32_e32 v1, s2
	s_load_dwordx2 s[0:1], s[4:5], 0x50
	s_sub_i32 s7, 0, s2
	s_abs_i32 s3, s6
	v_rcp_iflag_f32_e32 v1, v1
	v_mul_f32_e32 v1, 0x4f7ffffe, v1
	v_cvt_u32_f32_e32 v1, v1
	v_readfirstlane_b32 s12, v1
	s_mul_i32 s7, s7, s12
	s_mul_hi_u32 s7, s12, s7
	s_add_i32 s12, s12, s7
	s_waitcnt lgkmcnt(0)
	s_cmp_eq_u64 s[0:1], 0
	s_mul_hi_u32 s16, s3, s12
	s_cbranch_scc1 .LBB119_3
; %bb.2:
	s_ashr_i32 s7, s6, 31
	s_lshl_b64 s[12:13], s[6:7], 2
	s_add_u32 s0, s0, s12
	s_addc_u32 s1, s1, s13
	s_load_dword s40, s[0:1], 0x0
.LBB119_3:
	s_load_dwordx4 s[12:15], s[4:5], 0x58
	s_ashr_i32 s17, s6, 31
	s_ashr_i32 s18, s10, 31
	v_and_b32_e32 v2, 1, v0
	s_movk_i32 s7, 0x50
	s_mul_i32 s20, s6, 0x50
	v_cmp_gt_u32_e32 vcc, 20, v0
	v_lshlrev_b32_e32 v1, 3, v0
	s_and_saveexec_b64 s[0:1], vcc
	s_cbranch_execz .LBB119_5
; %bb.4:
	s_load_dwordx2 s[22:23], s[4:5], 0x18
	s_waitcnt lgkmcnt(0)
	s_mul_i32 s26, s24, s12
	s_ashr_i32 s27, s26, 31
	s_lshl_b64 s[26:27], s[26:27], 1
	v_lshlrev_b32_e32 v3, 2, v0
	s_add_u32 s10, s22, s26
	s_addc_u32 s12, s23, s27
	s_ashr_i32 s21, s20, 31
	s_lshl_b64 s[22:23], s[20:21], 1
	s_add_u32 s22, s10, s22
	s_addc_u32 s23, s12, s23
	global_load_dwordx2 v[4:5], v1, s[22:23]
	v_and_b32_e32 v3, 0xff8, v3
	v_mad_u32_u24 v3, v2, s7, v3
	s_waitcnt vmcnt(0)
	ds_write_b64 v3, v[4:5]
.LBB119_5:
	s_or_b64 exec, exec, s[0:1]
	s_add_i32 s0, s25, 31
	s_ashr_i32 s1, s0, 31
	s_lshr_b32 s1, s1, 27
	s_add_i32 s0, s0, s1
	s_lshl_b32 s10, s8, 4
	s_mul_i32 s1, s16, s2
	s_ashr_i32 s7, s0, 5
	s_add_i32 s0, s10, 16
	s_sub_i32 s1, s3, s1
	s_min_i32 s21, s0, s7
	s_xor_b32 s0, s17, s18
	s_add_i32 s3, s16, 1
	s_waitcnt lgkmcnt(0)
	s_sub_i32 s12, s1, s2
	s_cmp_ge_u32 s1, s2
	s_cselect_b32 s3, s3, s16
	s_cselect_b32 s1, s12, s1
	s_add_i32 s12, s3, 1
	s_cmp_ge_u32 s1, s2
	s_load_dwordx2 s[26:27], s[4:5], 0x38
	s_load_dword s2, s[4:5], 0x48
	v_lshrrev_b32_e32 v18, 6, v0
	s_cselect_b32 s1, s12, s3
	s_xor_b32 s1, s1, s0
	v_or_b32_e32 v6, s10, v18
	s_waitcnt lgkmcnt(0)
	s_mul_i32 s28, s24, s2
	s_sub_i32 s15, s1, s0
	s_ashr_i32 s29, s28, 31
	v_cmp_gt_i32_e64 s[0:1], s21, v6
	v_cmp_le_i32_e32 vcc, s21, v6
	v_mbcnt_lo_u32_b32 v4, -1, 0
	s_barrier
	s_waitcnt lgkmcnt(0)
                                        ; implicit-def: $sgpr36
                                        ; implicit-def: $vgpr21
                                        ; implicit-def: $vgpr20
	s_and_saveexec_b64 s[2:3], vcc
	s_xor_b64 s[2:3], exec, s[2:3]
; %bb.6:
	v_mbcnt_hi_u32_b32 v21, -1, v4
	v_and_b32_e32 v2, 64, v21
	v_add_u32_e32 v20, 64, v2
	s_mov_b32 s36, 0xff7fffff
                                        ; implicit-def: $vgpr2
                                        ; implicit-def: $vgpr4
; %bb.7:
	s_or_saveexec_b64 s[34:35], s[2:3]
	s_load_dwordx4 s[16:19], s[4:5], 0x0
	s_load_dwordx2 s[22:23], s[4:5], 0x10
	s_load_dwordx2 s[30:31], s[4:5], 0x28
	s_load_dword s12, s[4:5], 0x98
	v_mov_b32_e32 v22, s36
	s_mul_i32 s14, s15, s14
	v_ashrrev_i32_e32 v7, 31, v6
	v_lshlrev_b32_e32 v19, 5, v18
	s_xor_b64 exec, exec, s[34:35]
	s_cbranch_execz .LBB119_13
; %bb.8:
	s_load_dwordx2 s[2:3], s[4:5], 0x20
	s_ashr_i32 s15, s14, 31
	s_lshl_b64 s[4:5], s[14:15], 1
	v_bfe_u32 v3, v0, 1, 5
	v_lshlrev_b32_e32 v5, 4, v3
	s_waitcnt lgkmcnt(0)
	s_add_u32 s2, s2, s4
	s_addc_u32 s3, s3, s5
	v_mov_b32_e32 v8, s3
	v_add_co_u32_e32 v5, vcc, s2, v5
	v_addc_co_u32_e32 v8, vcc, 0, v8, vcc
	v_and_b32_e32 v9, 8, v1
	v_add_co_u32_e32 v23, vcc, v5, v9
	v_addc_co_u32_e32 v24, vcc, 0, v8, vcc
	v_mul_u32_u24_e32 v25, 0x50, v2
	v_cmp_eq_u32_e32 vcc, 0, v2
	s_sub_i32 s15, 1, s25
	v_lshlrev_b32_e32 v2, 2, v3
	s_lshl_b64 s[4:5], s[28:29], 2
	v_lshl_or_b32 v2, v18, 7, v2
	s_add_u32 s4, s26, s4
	v_add3_u32 v26, s33, v19, v3
	v_add_u32_e32 v27, 0xb0, v2
	v_lshlrev_b64 v[2:3], 2, v[6:7]
	s_addc_u32 s5, s27, s5
	v_mbcnt_hi_u32_b32 v21, -1, v4
	v_mov_b32_e32 v5, s5
	v_add_co_u32_e64 v2, s[4:5], s4, v2
	v_and_b32_e32 v4, 64, v21
	s_mov_b32 s41, s13
	v_cmp_neq_f32_e64 s[2:3], s40, 0
	v_addc_co_u32_e64 v3, s[4:5], v5, v3, s[4:5]
	s_mov_b64 s[36:37], 0
	v_mov_b32_e32 v22, 0xff7fffff
	s_movk_i32 s42, 0x1000
	v_xor_b32_e32 v28, 1, v21
	v_add_u32_e32 v20, 64, v4
	v_mov_b32_e32 v29, v6
	s_branch .LBB119_10
.LBB119_9:                              ;   in Loop: Header=BB119_10 Depth=1
	s_or_b64 exec, exec, s[38:39]
	v_add_u32_e32 v29, 2, v29
	v_cmp_le_i32_e64 s[4:5], s21, v29
	s_or_b64 s[36:37], s[4:5], s[36:37]
	v_add_co_u32_e64 v2, s[4:5], 8, v2
	v_add_u32_e32 v26, 64, v26
	v_add_u32_e32 v27, 0x100, v27
	v_addc_co_u32_e64 v3, s[4:5], 0, v3, s[4:5]
	s_andn2_b64 exec, exec, s[36:37]
	s_cbranch_execz .LBB119_12
.LBB119_10:                             ; =>This Inner Loop Header: Depth=1
	global_load_dword v4, v[2:3], off
	s_waitcnt vmcnt(0) lgkmcnt(0)
	v_mad_i64_i32 v[4:5], s[4:5], v4, s41, 0
	v_lshlrev_b64 v[4:5], 1, v[4:5]
	v_add_co_u32_e64 v4, s[4:5], v23, v4
	v_addc_co_u32_e64 v5, s[4:5], v24, v5, s[4:5]
	global_load_dwordx2 v[30:31], v[4:5], off
	global_load_dwordx2 v[32:33], v[4:5], off offset:512
	global_load_dwordx2 v[34:35], v[4:5], off offset:1024
	;; [unrolled: 1-line block ×7, first 2 shown]
	v_add_co_u32_e64 v38, s[4:5], s42, v4
	v_addc_co_u32_e64 v39, s[4:5], 0, v5, s[4:5]
	global_load_dwordx2 v[8:9], v[38:39], off
	global_load_dwordx2 v[4:5], v[38:39], off offset:512
	ds_read_b64 v[38:39], v25
	v_cmp_lt_i32_e64 s[4:5], v28, v20
	s_waitcnt lgkmcnt(0)
	v_lshrrev_b32_e32 v40, 16, v38
	v_and_b32_e32 v38, 0xffff, v38
	v_lshrrev_b32_e32 v41, 16, v39
	v_and_b32_e32 v39, 0xffff, v39
	;;#ASMSTART
	v_cvt_f32_f16 v38, v38;
	;;#ASMEND
	;;#ASMSTART
	v_cvt_f32_f16 v40, v40;
	;;#ASMEND
	s_waitcnt vmcnt(9)
	v_lshrrev_b32_e32 v42, 16, v30
	v_and_b32_e32 v30, 0xffff, v30
	v_lshrrev_b32_e32 v43, 16, v31
	v_and_b32_e32 v31, 0xffff, v31
	;;#ASMSTART
	v_cvt_f32_f16 v30, v30;
	;;#ASMEND
	;;#ASMSTART
	v_cvt_f32_f16 v42, v42;
	;;#ASMEND
	;; [unrolled: 3-line block ×3, first 2 shown]
	s_waitcnt vmcnt(2)
	v_lshrrev_b32_e32 v56, 16, v10
	v_and_b32_e32 v57, 0xffff, v10
	v_lshrrev_b32_e32 v58, 16, v11
	v_and_b32_e32 v59, 0xffff, v11
	;;#ASMSTART
	v_cvt_f32_f16 v41, v41;
	;;#ASMEND
	;;#ASMSTART
	v_cvt_f32_f16 v31, v31;
	;;#ASMEND
	;; [unrolled: 3-line block ×3, first 2 shown]
	ds_read_b64 v[10:11], v25 offset:8
	v_lshrrev_b32_e32 v44, 16, v32
	v_and_b32_e32 v32, 0xffff, v32
	v_lshrrev_b32_e32 v45, 16, v33
	v_and_b32_e32 v33, 0xffff, v33
	s_waitcnt vmcnt(1)
	v_lshrrev_b32_e32 v60, 16, v8
	v_and_b32_e32 v61, 0xffff, v8
	v_lshrrev_b32_e32 v62, 16, v9
	v_and_b32_e32 v63, 0xffff, v9
	s_waitcnt lgkmcnt(0)
	v_lshrrev_b32_e32 v8, 16, v10
	v_and_b32_e32 v9, 0xffff, v10
	v_lshrrev_b32_e32 v10, 16, v11
	v_and_b32_e32 v11, 0xffff, v11
	;;#ASMSTART
	v_cvt_f32_f16 v65, v9;
	;;#ASMEND
	;;#ASMSTART
	v_cvt_f32_f16 v66, v8;
	;;#ASMEND
	;; [unrolled: 3-line block ×8, first 2 shown]
	ds_read_b64 v[8:9], v25 offset:16
	v_mul_f32_e32 v32, v65, v32
	v_mul_f32_e32 v11, v11, v33
	v_lshrrev_b32_e32 v46, 16, v34
	v_and_b32_e32 v34, 0xffff, v34
	v_lshrrev_b32_e32 v47, 16, v35
	v_and_b32_e32 v35, 0xffff, v35
	v_mul_f32_e32 v44, v66, v44
	v_fmac_f32_e32 v32, v38, v30
	v_fmac_f32_e32 v11, v39, v31
	s_waitcnt lgkmcnt(0)
	v_lshrrev_b32_e32 v30, 16, v8
	v_and_b32_e32 v8, 0xffff, v8
	v_lshrrev_b32_e32 v31, 16, v9
	v_and_b32_e32 v9, 0xffff, v9
	v_fmac_f32_e32 v44, v40, v42
	;;#ASMSTART
	v_cvt_f32_f16 v33, v8;
	;;#ASMEND
	;;#ASMSTART
	v_cvt_f32_f16 v30, v30;
	;;#ASMEND
	;; [unrolled: 3-line block ×8, first 2 shown]
	ds_read_b64 v[8:9], v25 offset:24
	v_mul_f32_e32 v10, v10, v45
	v_fmac_f32_e32 v10, v41, v43
	v_lshrrev_b32_e32 v48, 16, v36
	v_and_b32_e32 v36, 0xffff, v36
	v_lshrrev_b32_e32 v49, 16, v37
	v_and_b32_e32 v37, 0xffff, v37
	v_fmac_f32_e32 v44, v30, v38
	v_fmac_f32_e32 v10, v31, v40
	s_waitcnt lgkmcnt(0)
	v_lshrrev_b32_e32 v30, 16, v8
	v_and_b32_e32 v8, 0xffff, v8
	v_lshrrev_b32_e32 v31, 16, v9
	v_and_b32_e32 v9, 0xffff, v9
	v_fmac_f32_e32 v32, v33, v34
	v_fmac_f32_e32 v11, v39, v35
	;;#ASMSTART
	v_cvt_f32_f16 v33, v8;
	;;#ASMEND
	;;#ASMSTART
	v_cvt_f32_f16 v30, v30;
	;;#ASMEND
	;;#ASMSTART
	v_cvt_f32_f16 v34, v36;
	;;#ASMEND
	;;#ASMSTART
	v_cvt_f32_f16 v35, v48;
	;;#ASMEND
	;;#ASMSTART
	v_cvt_f32_f16 v36, v9;
	;;#ASMEND
	;;#ASMSTART
	v_cvt_f32_f16 v31, v31;
	;;#ASMEND
	;;#ASMSTART
	v_cvt_f32_f16 v37, v37;
	;;#ASMEND
	;;#ASMSTART
	v_cvt_f32_f16 v38, v49;
	;;#ASMEND
	ds_read_b64 v[8:9], v25 offset:32
	v_lshrrev_b32_e32 v50, 16, v16
	v_and_b32_e32 v16, 0xffff, v16
	v_lshrrev_b32_e32 v51, 16, v17
	v_and_b32_e32 v17, 0xffff, v17
	v_fmac_f32_e32 v44, v30, v35
	v_fmac_f32_e32 v10, v31, v38
	s_waitcnt lgkmcnt(0)
	v_lshrrev_b32_e32 v30, 16, v8
	v_and_b32_e32 v8, 0xffff, v8
	v_lshrrev_b32_e32 v31, 16, v9
	v_and_b32_e32 v9, 0xffff, v9
	v_fmac_f32_e32 v32, v33, v34
	v_fmac_f32_e32 v11, v36, v37
	;;#ASMSTART
	v_cvt_f32_f16 v33, v8;
	;;#ASMEND
	;;#ASMSTART
	v_cvt_f32_f16 v30, v30;
	;;#ASMEND
	;;#ASMSTART
	v_cvt_f32_f16 v16, v16;
	;;#ASMEND
	;;#ASMSTART
	v_cvt_f32_f16 v34, v50;
	;;#ASMEND
	;;#ASMSTART
	v_cvt_f32_f16 v35, v9;
	;;#ASMEND
	;;#ASMSTART
	v_cvt_f32_f16 v31, v31;
	;;#ASMEND
	;;#ASMSTART
	v_cvt_f32_f16 v17, v17;
	;;#ASMEND
	;;#ASMSTART
	v_cvt_f32_f16 v36, v51;
	;;#ASMEND
	ds_read_b64 v[8:9], v25 offset:40
	v_lshrrev_b32_e32 v52, 16, v14
	v_and_b32_e32 v14, 0xffff, v14
	v_lshrrev_b32_e32 v53, 16, v15
	v_and_b32_e32 v15, 0xffff, v15
	v_fmac_f32_e32 v32, v33, v16
	v_fmac_f32_e32 v11, v35, v17
	s_waitcnt lgkmcnt(0)
	v_lshrrev_b32_e32 v16, 16, v8
	v_and_b32_e32 v8, 0xffff, v8
	v_lshrrev_b32_e32 v17, 16, v9
	v_and_b32_e32 v9, 0xffff, v9
	v_fmac_f32_e32 v44, v30, v34
	v_fmac_f32_e32 v10, v31, v36
	;;#ASMSTART
	v_cvt_f32_f16 v30, v8;
	;;#ASMEND
	;;#ASMSTART
	v_cvt_f32_f16 v16, v16;
	;;#ASMEND
	;;#ASMSTART
	v_cvt_f32_f16 v14, v14;
	;;#ASMEND
	;;#ASMSTART
	v_cvt_f32_f16 v31, v52;
	;;#ASMEND
	;;#ASMSTART
	v_cvt_f32_f16 v33, v9;
	;;#ASMEND
	;;#ASMSTART
	v_cvt_f32_f16 v17, v17;
	;;#ASMEND
	;;#ASMSTART
	v_cvt_f32_f16 v15, v15;
	;;#ASMEND
	;;#ASMSTART
	v_cvt_f32_f16 v34, v53;
	;;#ASMEND
	ds_read_b64 v[8:9], v25 offset:48
	v_lshrrev_b32_e32 v54, 16, v12
	v_and_b32_e32 v12, 0xffff, v12
	v_lshrrev_b32_e32 v55, 16, v13
	v_and_b32_e32 v13, 0xffff, v13
	v_fmac_f32_e32 v32, v30, v14
	v_fmac_f32_e32 v11, v33, v15
	s_waitcnt lgkmcnt(0)
	v_lshrrev_b32_e32 v14, 16, v8
	v_and_b32_e32 v8, 0xffff, v8
	v_lshrrev_b32_e32 v15, 16, v9
	v_and_b32_e32 v9, 0xffff, v9
	v_fmac_f32_e32 v44, v16, v31
	v_fmac_f32_e32 v10, v17, v34
	;;#ASMSTART
	v_cvt_f32_f16 v16, v8;
	;;#ASMEND
	;;#ASMSTART
	v_cvt_f32_f16 v14, v14;
	;;#ASMEND
	;;#ASMSTART
	v_cvt_f32_f16 v12, v12;
	;;#ASMEND
	;;#ASMSTART
	v_cvt_f32_f16 v17, v54;
	;;#ASMEND
	;;#ASMSTART
	v_cvt_f32_f16 v30, v9;
	;;#ASMEND
	;;#ASMSTART
	v_cvt_f32_f16 v15, v15;
	;;#ASMEND
	;;#ASMSTART
	v_cvt_f32_f16 v13, v13;
	;;#ASMEND
	;;#ASMSTART
	v_cvt_f32_f16 v31, v55;
	;;#ASMEND
	ds_read_b64 v[8:9], v25 offset:56
	v_fmac_f32_e32 v32, v16, v12
	v_fmac_f32_e32 v11, v30, v13
	;; [unrolled: 1-line block ×4, first 2 shown]
	s_waitcnt lgkmcnt(0)
	v_lshrrev_b32_e32 v12, 16, v8
	v_and_b32_e32 v8, 0xffff, v8
	v_lshrrev_b32_e32 v13, 16, v9
	v_and_b32_e32 v9, 0xffff, v9
	;;#ASMSTART
	v_cvt_f32_f16 v14, v8;
	;;#ASMEND
	;;#ASMSTART
	v_cvt_f32_f16 v12, v12;
	;;#ASMEND
	;; [unrolled: 3-line block ×8, first 2 shown]
	ds_read_b64 v[8:9], v25 offset:64
	v_fmac_f32_e32 v44, v12, v16
	v_fmac_f32_e32 v10, v13, v31
	;; [unrolled: 1-line block ×4, first 2 shown]
	s_waitcnt lgkmcnt(0)
	v_lshrrev_b32_e32 v12, 16, v8
	v_and_b32_e32 v8, 0xffff, v8
	v_lshrrev_b32_e32 v13, 16, v9
	v_and_b32_e32 v9, 0xffff, v9
	;;#ASMSTART
	v_cvt_f32_f16 v14, v8;
	;;#ASMEND
	;;#ASMSTART
	v_cvt_f32_f16 v12, v12;
	;;#ASMEND
	;; [unrolled: 3-line block ×8, first 2 shown]
	ds_read_b64 v[8:9], v25 offset:72
	s_waitcnt vmcnt(0)
	v_lshrrev_b32_e32 v64, 16, v4
	v_and_b32_e32 v4, 0xffff, v4
	v_fmac_f32_e32 v44, v12, v16
	v_fmac_f32_e32 v32, v14, v15
	s_waitcnt lgkmcnt(0)
	v_lshrrev_b32_e32 v12, 16, v8
	v_and_b32_e32 v8, 0xffff, v8
	;;#ASMSTART
	v_cvt_f32_f16 v8, v8;
	;;#ASMEND
	;;#ASMSTART
	v_cvt_f32_f16 v12, v12;
	;;#ASMEND
	;; [unrolled: 3-line block ×3, first 2 shown]
	v_fmac_f32_e32 v32, v8, v4
	v_lshrrev_b32_e32 v4, 16, v9
	v_and_b32_e32 v8, 0xffff, v9
	v_fmac_f32_e32 v11, v17, v30
	v_fmac_f32_e32 v10, v13, v31
	;;#ASMSTART
	v_cvt_f32_f16 v13, v64;
	;;#ASMEND
	v_fmac_f32_e32 v44, v12, v13
	;;#ASMSTART
	v_cvt_f32_f16 v8, v8;
	;;#ASMEND
	;;#ASMSTART
	v_cvt_f32_f16 v4, v4;
	;;#ASMEND
	v_lshrrev_b32_e32 v9, 16, v5
	v_and_b32_e32 v5, 0xffff, v5
	;;#ASMSTART
	v_cvt_f32_f16 v5, v5;
	;;#ASMEND
	;;#ASMSTART
	v_cvt_f32_f16 v9, v9;
	;;#ASMEND
	v_fmac_f32_e32 v11, v8, v5
	v_fmac_f32_e32 v10, v4, v9
	v_add_f32_e32 v4, v32, v44
	v_add_f32_e32 v4, v4, v11
	v_cndmask_b32_e64 v5, v21, v28, s[4:5]
	v_add_f32_e32 v4, v10, v4
	v_lshlrev_b32_e32 v5, 2, v5
	ds_bpermute_b32 v5, v5, v4
	s_and_saveexec_b64 s[38:39], vcc
	s_cbranch_execz .LBB119_9
; %bb.11:                               ;   in Loop: Header=BB119_10 Depth=1
	v_add_u32_e32 v8, s15, v26
	v_cvt_f32_i32_e32 v8, v8
	s_waitcnt lgkmcnt(0)
	v_add_f32_e32 v4, v4, v5
	v_cmp_gt_i32_e64 s[4:5], s25, v26
	v_max_f32_e32 v5, v22, v22
	v_mul_f32_e32 v8, s40, v8
	v_cndmask_b32_e64 v8, 0, v8, s[2:3]
	v_fmac_f32_e32 v8, s11, v4
	v_cndmask_b32_e64 v4, 0, v8, s[4:5]
	ds_write_b32 v27, v4
	v_max_f32_e32 v4, v5, v8
	v_cndmask_b32_e64 v22, v22, v4, s[4:5]
	s_branch .LBB119_9
.LBB119_12:
	s_or_b64 exec, exec, s[36:37]
.LBB119_13:
	s_or_b64 exec, exec, s[34:35]
	v_xor_b32_e32 v2, 32, v21
	v_cmp_lt_i32_e32 vcc, v2, v20
	v_cndmask_b32_e32 v2, v21, v2, vcc
	v_lshlrev_b32_e32 v2, 2, v2
	ds_bpermute_b32 v3, v2, v22
	s_waitcnt lgkmcnt(0)
	v_xor_b32_e32 v5, 16, v21
	v_max_f32_e32 v4, v22, v22
	v_cmp_lt_i32_e32 vcc, v5, v20
	v_xor_b32_e32 v8, 8, v21
	v_max_f32_e32 v3, v3, v3
	v_max_f32_e32 v4, v4, v3
	v_cndmask_b32_e32 v3, v21, v5, vcc
	v_lshlrev_b32_e32 v3, 2, v3
	ds_bpermute_b32 v5, v3, v4
	v_cmp_lt_i32_e32 vcc, v8, v20
	v_xor_b32_e32 v9, 4, v21
	v_xor_b32_e32 v10, 2, v21
	v_and_b32_e32 v16, 63, v0
	s_waitcnt lgkmcnt(0)
	v_max_f32_e32 v5, v5, v5
	v_max_f32_e32 v4, v4, v5
	v_cndmask_b32_e32 v5, v21, v8, vcc
	v_lshlrev_b32_e32 v5, 2, v5
	ds_bpermute_b32 v8, v5, v4
	v_cmp_lt_i32_e32 vcc, v9, v20
	s_waitcnt lgkmcnt(0)
	v_max_f32_e32 v8, v8, v8
	v_max_f32_e32 v4, v4, v8
	v_cndmask_b32_e32 v8, v21, v9, vcc
	v_lshlrev_b32_e32 v8, 2, v8
	ds_bpermute_b32 v9, v8, v4
	v_cmp_lt_i32_e32 vcc, v10, v20
	s_waitcnt lgkmcnt(0)
	v_max_f32_e32 v9, v9, v9
	v_max_f32_e32 v4, v4, v9
	v_cndmask_b32_e32 v9, v21, v10, vcc
	v_lshlrev_b32_e32 v17, 2, v9
	ds_bpermute_b32 v10, v17, v4
	v_cmp_eq_u32_e32 vcc, 0, v16
	v_lshlrev_b32_e32 v9, 2, v18
	s_and_saveexec_b64 s[2:3], vcc
	s_cbranch_execz .LBB119_15
; %bb.14:
	s_waitcnt lgkmcnt(0)
	v_max_f32_e32 v10, v10, v10
	v_max_f32_e32 v4, v4, v4
	;; [unrolled: 1-line block ×3, first 2 shown]
	ds_write_b32 v9, v4 offset:160
.LBB119_15:
	s_or_b64 exec, exec, s[2:3]
	v_cmp_gt_u32_e64 s[2:3], 2, v16
	v_mov_b32_e32 v4, 0xff7fffff
	s_waitcnt lgkmcnt(0)
	v_lshlrev_b32_e32 v10, 2, v16
	s_barrier
	s_and_saveexec_b64 s[4:5], s[2:3]
	s_cbranch_execz .LBB119_17
; %bb.16:
	ds_read_b32 v4, v10 offset:160
.LBB119_17:
	s_or_b64 exec, exec, s[4:5]
	v_xor_b32_e32 v11, 1, v21
	v_cmp_lt_i32_e64 s[4:5], v11, v20
	v_cndmask_b32_e64 v11, v21, v11, s[4:5]
	v_lshlrev_b32_e32 v20, 2, v11
	s_waitcnt lgkmcnt(0)
	ds_bpermute_b32 v11, v20, v4
	v_max_f32_e32 v4, v4, v4
	s_sub_i32 s4, s21, s10
	s_lshl_b32 s4, s4, 5
	s_add_i32 s4, s4, s33
	s_waitcnt lgkmcnt(0)
	v_max_f32_e32 v11, v11, v11
	v_max_f32_e32 v4, v4, v11
	v_lshlrev_b32_e32 v11, 2, v21
	v_and_b32_e32 v11, 0xffffff00, v11
	ds_bpermute_b32 v4, v11, v4
	s_min_i32 s38, s4, s25
	s_sub_i32 s15, s38, s33
	v_cmp_gt_i32_e64 s[4:5], s15, v0
	v_mov_b32_e32 v12, 0
	s_and_saveexec_b64 s[34:35], s[4:5]
	s_cbranch_execz .LBB119_21
; %bb.18:
	v_mov_b32_e32 v12, 0xb0
	v_lshl_add_u32 v13, v0, 2, v12
	s_mov_b64 s[36:37], 0
	v_mov_b32_e32 v12, 0
	v_mov_b32_e32 v14, v0
.LBB119_19:                             ; =>This Inner Loop Header: Depth=1
	ds_read_b32 v15, v13
	v_add_u32_e32 v14, 0x80, v14
	v_cmp_le_i32_e64 s[10:11], s15, v14
	s_or_b64 s[36:37], s[10:11], s[36:37]
	s_waitcnt lgkmcnt(0)
	v_sub_f32_e32 v15, v15, v4
	v_mul_f32_e32 v15, 0x3fb8aa3b, v15
	v_exp_f32_e32 v15, v15
	ds_write_b32 v13, v15
	v_add_f32_e32 v12, v12, v15
	v_add_u32_e32 v13, 0x200, v13
	s_andn2_b64 exec, exec, s[36:37]
	s_cbranch_execnz .LBB119_19
; %bb.20:
	s_or_b64 exec, exec, s[36:37]
.LBB119_21:
	s_or_b64 exec, exec, s[34:35]
	ds_bpermute_b32 v2, v2, v12
	s_waitcnt lgkmcnt(0)
	v_add_f32_e32 v2, v12, v2
	ds_bpermute_b32 v3, v3, v2
	s_waitcnt lgkmcnt(0)
	v_add_f32_e32 v2, v2, v3
	;; [unrolled: 3-line block ×6, first 2 shown]
	s_and_saveexec_b64 s[10:11], vcc
	s_cbranch_execz .LBB119_23
; %bb.22:
	ds_write_b32 v9, v2 offset:168
.LBB119_23:
	s_or_b64 exec, exec, s[10:11]
	s_waitcnt lgkmcnt(0)
	s_barrier
	s_and_saveexec_b64 s[10:11], s[2:3]
	s_cbranch_execz .LBB119_25
; %bb.24:
	ds_read_b32 v2, v10 offset:168
.LBB119_25:
	s_or_b64 exec, exec, s[10:11]
	s_waitcnt lgkmcnt(0)
	ds_bpermute_b32 v3, v20, v2
	s_waitcnt lgkmcnt(0)
	v_add_f32_e32 v2, v2, v3
	ds_bpermute_b32 v5, v11, v2
	s_and_saveexec_b64 s[2:3], s[4:5]
	s_cbranch_execz .LBB119_38
; %bb.26:
	s_waitcnt lgkmcnt(0)
	v_add_f32_e32 v2, 0x358637bd, v5
	v_div_scale_f32 v3, s[4:5], v2, v2, 1.0
	v_rcp_f32_e32 v8, v3
	v_div_scale_f32 v9, vcc, 1.0, v2, 1.0
	s_movk_i32 s4, 0x7f
	v_fma_f32 v10, -v3, v8, 1.0
	v_fmac_f32_e32 v8, v10, v8
	v_mul_f32_e32 v10, v9, v8
	v_fma_f32 v11, -v3, v10, v9
	v_fmac_f32_e32 v10, v11, v8
	v_fma_f32 v3, -v3, v10, v9
	v_div_fmas_f32 v3, v3, v8, v10
	v_div_fixup_f32 v2, v3, v2, 1.0
	v_xad_u32 v3, v0, -1, s38
	v_subrev_u32_e32 v8, s33, v3
	v_cmp_lt_u32_e32 vcc, s4, v8
	s_mov_b64 s[10:11], -1
	v_mov_b32_e32 v3, v0
	s_and_saveexec_b64 s[4:5], vcc
	s_cbranch_execz .LBB119_35
; %bb.27:
	v_lshrrev_b32_e32 v8, 7, v8
	v_add_u32_e32 v10, -1, v8
	v_lshrrev_b32_e32 v9, 1, v10
	v_mov_b32_e32 v3, v2
	v_add_u32_e32 v9, 1, v9
	v_cmp_lt_u32_e32 vcc, 13, v10
	v_mov_b32_e32 v12, 0
	s_and_saveexec_b64 s[10:11], vcc
	s_cbranch_execz .LBB119_31
; %bb.28:
	v_mov_b32_e32 v11, 0xb0
	v_and_b32_e32 v10, -8, v9
	v_lshl_add_u32 v11, v0, 2, v11
	s_mov_b32 s36, 0
	s_mov_b64 s[34:35], 0
.LBB119_29:                             ; =>This Inner Loop Header: Depth=1
	ds_read2st64_b32 v[12:13], v11 offset1:2
	ds_read2st64_b32 v[14:15], v11 offset0:4 offset1:6
	ds_read2st64_b32 v[22:23], v11 offset0:8 offset1:10
	;; [unrolled: 1-line block ×3, first 2 shown]
	v_add_u32_e32 v10, -8, v10
	s_waitcnt lgkmcnt(3)
	v_pk_mul_f32 v[12:13], v[2:3], v[12:13]
	s_waitcnt lgkmcnt(2)
	v_pk_mul_f32 v[14:15], v[2:3], v[14:15]
	ds_write2st64_b32 v11, v12, v13 offset1:2
	ds_write2st64_b32 v11, v14, v15 offset0:4 offset1:6
	ds_read2st64_b32 v[14:15], v11 offset0:16 offset1:18
	s_waitcnt lgkmcnt(4)
	v_pk_mul_f32 v[12:13], v[2:3], v[22:23]
	ds_write2st64_b32 v11, v12, v13 offset0:8 offset1:10
	s_waitcnt lgkmcnt(4)
	v_pk_mul_f32 v[12:13], v[2:3], v[24:25]
	ds_write2st64_b32 v11, v12, v13 offset0:12 offset1:14
	ds_read2st64_b32 v[12:13], v11 offset0:20 offset1:22
	s_waitcnt lgkmcnt(3)
	v_pk_mul_f32 v[14:15], v[2:3], v[14:15]
	ds_read2st64_b32 v[22:23], v11 offset0:24 offset1:26
	ds_write2st64_b32 v11, v14, v15 offset0:16 offset1:18
	ds_read2st64_b32 v[14:15], v11 offset0:28 offset1:30
	s_waitcnt lgkmcnt(3)
	v_pk_mul_f32 v[12:13], v[2:3], v[12:13]
	ds_write2st64_b32 v11, v12, v13 offset0:20 offset1:22
	s_waitcnt lgkmcnt(3)
	v_pk_mul_f32 v[12:13], v[2:3], v[22:23]
	ds_write2st64_b32 v11, v12, v13 offset0:24 offset1:26
	s_waitcnt lgkmcnt(2)
	v_pk_mul_f32 v[12:13], v[2:3], v[14:15]
	s_add_i32 s36, s36, 16
	v_cmp_eq_u32_e32 vcc, 0, v10
	ds_write2st64_b32 v11, v12, v13 offset0:28 offset1:30
	v_add_u32_e32 v11, 0x2000, v11
	s_or_b64 s[34:35], vcc, s[34:35]
	v_mov_b32_e32 v12, s36
	s_andn2_b64 exec, exec, s[34:35]
	s_cbranch_execnz .LBB119_29
; %bb.30:
	s_or_b64 exec, exec, s[34:35]
.LBB119_31:
	s_or_b64 exec, exec, s[10:11]
	v_and_b32_e32 v9, 7, v9
	v_cmp_ne_u32_e32 vcc, 0, v9
	s_and_saveexec_b64 s[10:11], vcc
	s_cbranch_execz .LBB119_34
; %bb.32:
	v_lshlrev_b32_e32 v10, 9, v12
	v_lshlrev_b32_e32 v11, 2, v0
	s_movk_i32 s34, 0xb0
	v_add3_u32 v10, v10, v11, s34
	s_mov_b64 s[34:35], 0
.LBB119_33:                             ; =>This Inner Loop Header: Depth=1
	ds_read2st64_b32 v[12:13], v10 offset1:2
	v_add_u32_e32 v9, -1, v9
	v_cmp_eq_u32_e32 vcc, 0, v9
	s_or_b64 s[34:35], vcc, s[34:35]
	s_waitcnt lgkmcnt(0)
	v_pk_mul_f32 v[12:13], v[2:3], v[12:13]
	ds_write2st64_b32 v10, v12, v13 offset1:2
	v_add_u32_e32 v10, 0x400, v10
	s_andn2_b64 exec, exec, s[34:35]
	s_cbranch_execnz .LBB119_33
.LBB119_34:
	s_or_b64 exec, exec, s[10:11]
	v_add_u32_e32 v8, 1, v8
	v_and_b32_e32 v9, 0x3fffffe, v8
	v_cmp_ne_u32_e32 vcc, v8, v9
	v_lshl_add_u32 v3, v9, 7, v0
	s_orn2_b64 s[10:11], vcc, exec
.LBB119_35:
	s_or_b64 exec, exec, s[4:5]
	s_and_b64 exec, exec, s[10:11]
	s_cbranch_execz .LBB119_38
; %bb.36:
	v_mov_b32_e32 v8, 0xb0
	v_lshl_add_u32 v8, v3, 2, v8
	s_mov_b64 s[4:5], 0
.LBB119_37:                             ; =>This Inner Loop Header: Depth=1
	ds_read_b32 v9, v8
	v_add_u32_e32 v3, 0x80, v3
	v_cmp_le_i32_e32 vcc, s15, v3
	s_or_b64 s[4:5], vcc, s[4:5]
	s_waitcnt lgkmcnt(0)
	v_mul_f32_e32 v9, v2, v9
	ds_write_b32 v8, v9
	v_add_u32_e32 v8, 0x200, v8
	s_andn2_b64 exec, exec, s[4:5]
	s_cbranch_execnz .LBB119_37
.LBB119_38:
	s_or_b64 exec, exec, s[2:3]
	s_mul_i32 s2, s12, s24
	v_cmp_eq_u32_e32 vcc, 0, v0
	s_mul_i32 s2, s2, s9
	s_waitcnt lgkmcnt(0)
	s_barrier
	s_and_saveexec_b64 s[4:5], vcc
	s_cbranch_execz .LBB119_40
; %bb.39:
	s_ashr_i32 s3, s2, 31
	s_lshl_b64 s[10:11], s[2:3], 2
	s_add_u32 s3, s18, s10
	s_mul_i32 s18, s12, s6
	s_addc_u32 s9, s19, s11
	s_ashr_i32 s19, s18, 31
	s_lshl_b64 s[18:19], s[18:19], 2
	s_add_u32 s3, s3, s18
	s_addc_u32 s6, s9, s19
	s_ashr_i32 s9, s8, 31
	s_lshl_b64 s[34:35], s[8:9], 2
	s_add_u32 s36, s3, s34
	s_addc_u32 s37, s6, s35
	s_add_u32 s3, s16, s10
	s_addc_u32 s6, s17, s11
	;; [unrolled: 2-line block ×3, first 2 shown]
	s_add_u32 s10, s3, s34
	v_mov_b32_e32 v2, 0
	s_addc_u32 s11, s6, s35
	global_store_dword v2, v4, s[36:37]
	global_store_dword v2, v5, s[10:11]
.LBB119_40:
	s_or_b64 exec, exec, s[4:5]
	v_mov_b32_e32 v22, 0
	v_and_b32_e32 v21, 3, v0
	v_mov_b32_e32 v11, 0
	v_mov_b32_e32 v10, 0
	;; [unrolled: 1-line block ×4, first 2 shown]
	s_and_saveexec_b64 s[4:5], s[0:1]
	s_cbranch_execz .LBB119_54
; %bb.41:
	s_ashr_i32 s15, s14, 31
	s_lshl_b64 s[0:1], s[14:15], 1
	s_add_u32 s9, s30, s0
	v_and_b32_e32 v3, 24, v1
	s_mov_b32 s3, s13
	s_addc_u32 s10, s31, s1
	s_add_i32 s13, s7, -1
	s_lshl_b64 s[0:1], s[28:29], 2
	v_and_b32_e32 v2, 0x1f8, v1
	v_add3_u32 v1, s33, v19, v3
	v_lshlrev_b32_e32 v3, 5, v21
	s_add_u32 s0, s26, s0
	v_lshl_or_b32 v3, v18, 7, v3
	v_lshlrev_b64 v[10:11], 2, v[6:7]
	s_addc_u32 s1, s27, s1
	v_mov_b32_e32 v8, 0
	v_or_b32_e32 v4, 0x800, v2
	v_add_u32_e32 v18, 0xb0, v3
	v_mov_b32_e32 v3, s1
	v_add_co_u32_e32 v12, vcc, s0, v10
	s_mov_b32 s14, s25
	s_mov_b32 s15, s25
	;; [unrolled: 1-line block ×7, first 2 shown]
	v_addc_co_u32_e32 v13, vcc, v3, v11, vcc
	s_mov_b64 s[6:7], 0
	v_mov_b32_e32 v7, s10
	v_lshlrev_b32_e32 v19, 1, v2
	s_mov_b32 s26, 0x5040100
	v_lshlrev_b32_e32 v23, 1, v4
	v_mov_b32_e32 v9, v8
	v_mov_b32_e32 v10, v8
	;; [unrolled: 1-line block ×4, first 2 shown]
	s_branch .LBB119_43
.LBB119_42:                             ;   in Loop: Header=BB119_43 Depth=1
	s_or_b64 exec, exec, s[0:1]
	s_waitcnt vmcnt(0)
	;;#ASMSTART
	v_pk_mul_f16 v2, v34, v2;

	;;#ASMEND
	;;#ASMSTART
	v_pk_mul_f16 v3, v33, v3;

	;;#ASMEND
	;;#ASMSTART
	v_pk_mul_f16 v4, v32, v4;

	;;#ASMEND
	;;#ASMSTART
	v_pk_mul_f16 v5, v31, v5;

	;;#ASMEND
	;;#ASMSTART
	v_pk_add_f16 v2, v2, v3;

	;;#ASMEND
	;;#ASMSTART
	v_pk_add_f16 v2, v2, v4;

	;;#ASMEND
	;; [unrolled: 4-line block ×3, first 2 shown]
	v_add_f32_e32 v24, v37, v38
	v_lshrrev_b32_e32 v3, 16, v2
	v_and_b32_e32 v2, 0xffff, v2
	v_add_u32_e32 v6, 2, v6
	v_add_f32_e32 v8, v8, v24
	v_add_f32_e32 v24, v39, v40
	;;#ASMSTART
	v_cvt_f32_f16 v2, v2;
	;;#ASMEND
	v_cmp_le_i32_e32 vcc, s21, v6
	v_add_f32_e32 v9, v9, v24
	v_add_f32_e32 v24, v41, v42
	;; [unrolled: 1-line block ×3, first 2 shown]
	;;#ASMSTART
	v_cvt_f32_f16 v3, v3;
	;;#ASMEND
	v_add_f32_e32 v2, v2, v3
	s_or_b64 s[6:7], vcc, s[6:7]
	v_add_co_u32_e32 v12, vcc, 8, v12
	v_add_f32_e32 v10, v10, v24
	v_add_f32_e32 v11, v11, v14
	;; [unrolled: 1-line block ×3, first 2 shown]
	v_add_u32_e32 v1, 64, v1
	v_add_u32_e32 v18, 0x100, v18
	v_addc_co_u32_e32 v13, vcc, 0, v13, vcc
	s_andn2_b64 exec, exec, s[6:7]
	s_cbranch_execz .LBB119_53
.LBB119_43:                             ; =>This Inner Loop Header: Depth=1
	global_load_dword v14, v[12:13], off
	ds_read2_b64 v[2:5], v18 offset1:1
	ds_read2_b64 v[24:27], v18 offset0:2 offset1:3
	v_or_b32_e32 v28, 5, v1
	v_or_b32_e32 v30, 7, v1
	s_waitcnt lgkmcnt(1)
	;;#ASMSTART
	v_cvt_f16_f32 v31, v2;

	;;#ASMEND
	;;#ASMSTART
	v_cvt_f16_f32 v32, v3;

	;;#ASMEND
	;; [unrolled: 4-line block ×4, first 2 shown]
	s_waitcnt lgkmcnt(0)
	;;#ASMSTART
	v_cvt_f16_f32 v38, v24;

	;;#ASMEND
	;;#ASMSTART
	v_cvt_f16_f32 v39, v25;

	;;#ASMEND
	;; [unrolled: 4-line block ×4, first 2 shown]
	v_add_u32_e32 v24, 1, v1
	v_or_b32_e32 v26, 3, v1
	v_or_b32_e32 v25, 2, v1
	;; [unrolled: 1-line block ×4, first 2 shown]
	s_waitcnt vmcnt(0)
	v_mad_i64_i32 v[2:3], s[0:1], v14, s3, 0
	v_lshlrev_b64 v[2:3], 1, v[2:3]
	v_add_co_u32_e32 v35, vcc, s9, v2
	v_addc_co_u32_e32 v36, vcc, v7, v3, vcc
	v_add_co_u32_e32 v14, vcc, v35, v19
	v_addc_co_u32_e32 v15, vcc, 0, v36, vcc
	global_load_dwordx4 v[2:5], v[14:15], off
	v_cmp_eq_u32_e32 vcc, s13, v6
	s_and_saveexec_b64 s[10:11], vcc
	s_cbranch_execz .LBB119_45
; %bb.44:                               ;   in Loop: Header=BB119_43 Depth=1
	s_waitcnt vmcnt(0)
	v_lshrrev_b32_e32 v34, 16, v5
	v_cmp_gt_i32_e64 s[0:1], s24, v30
	v_cndmask_b32_e64 v34, 0, v34, s[0:1]
	v_cmp_gt_i32_e64 s[0:1], s19, v29
	v_cndmask_b32_e64 v5, 0, v5, s[0:1]
	v_perm_b32 v5, v34, v5, s26
	v_lshrrev_b32_e32 v34, 16, v4
	v_cmp_gt_i32_e64 s[0:1], s18, v28
	v_cndmask_b32_e64 v34, 0, v34, s[0:1]
	v_cmp_gt_i32_e64 s[0:1], s17, v27
	v_cndmask_b32_e64 v4, 0, v4, s[0:1]
	v_perm_b32 v4, v34, v4, s26
	;; [unrolled: 6-line block ×4, first 2 shown]
.LBB119_45:                             ;   in Loop: Header=BB119_43 Depth=1
	s_or_b64 exec, exec, s[10:11]
	v_and_b32_e32 v31, 0xffff, v31
	v_lshl_or_b32 v34, v32, 16, v31
	v_and_b32_e32 v31, 0xffff, v33
	v_lshl_or_b32 v33, v37, 16, v31
	;; [unrolled: 2-line block ×3, first 2 shown]
	v_and_b32_e32 v31, 0xffff, v40
	s_waitcnt vmcnt(0)
	;;#ASMSTART
	v_pk_mul_f16 v2, v34, v2;

	;;#ASMEND
	v_lshl_or_b32 v31, v41, 16, v31
	;;#ASMSTART
	v_pk_mul_f16 v3, v33, v3;

	;;#ASMEND
	;;#ASMSTART
	v_pk_mul_f16 v4, v32, v4;

	;;#ASMEND
	;;#ASMSTART
	v_pk_mul_f16 v5, v31, v5;

	;;#ASMEND
	;;#ASMSTART
	v_pk_add_f16 v2, v2, v3;

	;;#ASMEND
	;;#ASMSTART
	v_pk_add_f16 v2, v2, v4;

	;;#ASMEND
	;; [unrolled: 4-line block ×3, first 2 shown]
	v_lshrrev_b32_e32 v3, 16, v2
	v_and_b32_e32 v2, 0xffff, v2
	;;#ASMSTART
	v_cvt_f32_f16 v37, v2;
	;;#ASMEND
	;;#ASMSTART
	v_cvt_f32_f16 v38, v3;
	;;#ASMEND
	global_load_dwordx4 v[2:5], v[14:15], off offset:1024
	s_and_saveexec_b64 s[10:11], vcc
	s_cbranch_execz .LBB119_47
; %bb.46:                               ;   in Loop: Header=BB119_43 Depth=1
	s_waitcnt vmcnt(0)
	v_lshrrev_b32_e32 v39, 16, v5
	v_cmp_gt_i32_e64 s[0:1], s24, v30
	v_cndmask_b32_e64 v39, 0, v39, s[0:1]
	v_cmp_gt_i32_e64 s[0:1], s19, v29
	v_cndmask_b32_e64 v5, 0, v5, s[0:1]
	v_perm_b32 v5, v39, v5, s26
	v_lshrrev_b32_e32 v39, 16, v4
	v_cmp_gt_i32_e64 s[0:1], s18, v28
	v_cndmask_b32_e64 v39, 0, v39, s[0:1]
	v_cmp_gt_i32_e64 s[0:1], s17, v27
	v_cndmask_b32_e64 v4, 0, v4, s[0:1]
	v_perm_b32 v4, v39, v4, s26
	;; [unrolled: 6-line block ×4, first 2 shown]
.LBB119_47:                             ;   in Loop: Header=BB119_43 Depth=1
	s_or_b64 exec, exec, s[10:11]
	s_waitcnt vmcnt(0)
	;;#ASMSTART
	v_pk_mul_f16 v2, v34, v2;

	;;#ASMEND
	;;#ASMSTART
	v_pk_mul_f16 v3, v33, v3;

	;;#ASMEND
	;; [unrolled: 4-line block ×4, first 2 shown]
	;;#ASMSTART
	v_pk_add_f16 v2, v2, v3;

	;;#ASMEND
	;;#ASMSTART
	v_pk_add_f16 v2, v2, v4;

	;;#ASMEND
	;; [unrolled: 4-line block ×3, first 2 shown]
	v_lshrrev_b32_e32 v3, 16, v2
	v_and_b32_e32 v2, 0xffff, v2
	;;#ASMSTART
	v_cvt_f32_f16 v39, v2;
	;;#ASMEND
	;;#ASMSTART
	v_cvt_f32_f16 v40, v3;
	;;#ASMEND
	global_load_dwordx4 v[2:5], v[14:15], off offset:2048
	s_and_saveexec_b64 s[10:11], vcc
	s_cbranch_execz .LBB119_49
; %bb.48:                               ;   in Loop: Header=BB119_43 Depth=1
	s_waitcnt vmcnt(0)
	v_lshrrev_b32_e32 v41, 16, v5
	v_cmp_gt_i32_e64 s[0:1], s24, v30
	v_cndmask_b32_e64 v41, 0, v41, s[0:1]
	v_cmp_gt_i32_e64 s[0:1], s19, v29
	v_cndmask_b32_e64 v5, 0, v5, s[0:1]
	v_perm_b32 v5, v41, v5, s26
	v_lshrrev_b32_e32 v41, 16, v4
	v_cmp_gt_i32_e64 s[0:1], s18, v28
	v_cndmask_b32_e64 v41, 0, v41, s[0:1]
	v_cmp_gt_i32_e64 s[0:1], s17, v27
	v_cndmask_b32_e64 v4, 0, v4, s[0:1]
	v_perm_b32 v4, v41, v4, s26
	;; [unrolled: 6-line block ×4, first 2 shown]
.LBB119_49:                             ;   in Loop: Header=BB119_43 Depth=1
	s_or_b64 exec, exec, s[10:11]
	s_waitcnt vmcnt(0)
	;;#ASMSTART
	v_pk_mul_f16 v2, v34, v2;

	;;#ASMEND
	;;#ASMSTART
	v_pk_mul_f16 v3, v33, v3;

	;;#ASMEND
	;; [unrolled: 4-line block ×4, first 2 shown]
	;;#ASMSTART
	v_pk_add_f16 v2, v2, v3;

	;;#ASMEND
	;;#ASMSTART
	v_pk_add_f16 v2, v2, v4;

	;;#ASMEND
	;; [unrolled: 4-line block ×3, first 2 shown]
	v_lshrrev_b32_e32 v3, 16, v2
	v_and_b32_e32 v2, 0xffff, v2
	;;#ASMSTART
	v_cvt_f32_f16 v41, v2;
	;;#ASMEND
	;;#ASMSTART
	v_cvt_f32_f16 v42, v3;
	;;#ASMEND
	global_load_dwordx4 v[2:5], v[14:15], off offset:3072
	s_and_saveexec_b64 s[10:11], vcc
	s_cbranch_execz .LBB119_51
; %bb.50:                               ;   in Loop: Header=BB119_43 Depth=1
	s_waitcnt vmcnt(0)
	v_lshrrev_b32_e32 v14, 16, v5
	v_cmp_gt_i32_e64 s[0:1], s24, v30
	v_cndmask_b32_e64 v14, 0, v14, s[0:1]
	v_cmp_gt_i32_e64 s[0:1], s19, v29
	v_cndmask_b32_e64 v5, 0, v5, s[0:1]
	v_perm_b32 v5, v14, v5, s26
	v_lshrrev_b32_e32 v14, 16, v4
	v_cmp_gt_i32_e64 s[0:1], s18, v28
	v_cndmask_b32_e64 v14, 0, v14, s[0:1]
	v_cmp_gt_i32_e64 s[0:1], s17, v27
	v_cndmask_b32_e64 v4, 0, v4, s[0:1]
	v_perm_b32 v4, v14, v4, s26
	;; [unrolled: 6-line block ×4, first 2 shown]
.LBB119_51:                             ;   in Loop: Header=BB119_43 Depth=1
	s_or_b64 exec, exec, s[10:11]
	s_waitcnt vmcnt(0)
	;;#ASMSTART
	v_pk_mul_f16 v2, v34, v2;

	;;#ASMEND
	;;#ASMSTART
	v_pk_mul_f16 v3, v33, v3;

	;;#ASMEND
	;; [unrolled: 4-line block ×4, first 2 shown]
	;;#ASMSTART
	v_pk_add_f16 v2, v2, v3;

	;;#ASMEND
	;;#ASMSTART
	v_pk_add_f16 v2, v2, v4;

	;;#ASMEND
	;; [unrolled: 4-line block ×3, first 2 shown]
	v_lshrrev_b32_e32 v3, 16, v2
	v_and_b32_e32 v2, 0xffff, v2
	;;#ASMSTART
	v_cvt_f32_f16 v14, v2;
	;;#ASMEND
	v_add_co_u32_e64 v2, s[0:1], v35, v23
	;;#ASMSTART
	v_cvt_f32_f16 v15, v3;
	;;#ASMEND
	v_addc_co_u32_e64 v3, s[0:1], 0, v36, s[0:1]
	global_load_dwordx4 v[2:5], v[2:3], off
	s_and_saveexec_b64 s[0:1], vcc
	s_cbranch_execz .LBB119_42
; %bb.52:                               ;   in Loop: Header=BB119_43 Depth=1
	s_waitcnt vmcnt(0)
	v_lshrrev_b32_e32 v35, 16, v5
	v_cmp_gt_i32_e32 vcc, s24, v30
	v_cndmask_b32_e32 v30, 0, v35, vcc
	v_cmp_gt_i32_e32 vcc, s19, v29
	v_cndmask_b32_e32 v5, 0, v5, vcc
	v_lshrrev_b32_e32 v29, 16, v4
	v_cmp_gt_i32_e32 vcc, s18, v28
	v_cndmask_b32_e32 v28, 0, v29, vcc
	v_cmp_gt_i32_e32 vcc, s17, v27
	v_cndmask_b32_e32 v4, 0, v4, vcc
	v_lshrrev_b32_e32 v27, 16, v3
	v_cmp_gt_i32_e32 vcc, s16, v26
	v_cndmask_b32_e32 v26, 0, v27, vcc
	v_cmp_gt_i32_e32 vcc, s15, v25
	v_cndmask_b32_e32 v3, 0, v3, vcc
	v_lshrrev_b32_e32 v25, 16, v2
	v_cmp_gt_i32_e32 vcc, s14, v24
	v_cndmask_b32_e32 v24, 0, v25, vcc
	v_cmp_gt_i32_e32 vcc, s25, v1
	v_cndmask_b32_e32 v2, 0, v2, vcc
	v_perm_b32 v5, v30, v5, s26
	v_perm_b32 v4, v28, v4, s26
	;; [unrolled: 1-line block ×4, first 2 shown]
	s_branch .LBB119_42
.LBB119_53:
	s_or_b64 exec, exec, s[6:7]
.LBB119_54:
	s_or_b64 exec, exec, s[4:5]
	ds_bpermute_b32 v2, v17, v8
	ds_bpermute_b32 v3, v17, v9
	ds_bpermute_b32 v4, v17, v10
	ds_bpermute_b32 v5, v17, v11
	ds_bpermute_b32 v1, v17, v22
	s_waitcnt lgkmcnt(0)
	v_pk_add_f32 v[2:3], v[8:9], v[2:3]
	ds_bpermute_b32 v6, v20, v2
	v_pk_add_f32 v[4:5], v[10:11], v[4:5]
	v_add_f32_e32 v1, v22, v1
	ds_bpermute_b32 v7, v20, v3
	ds_bpermute_b32 v8, v20, v4
	;; [unrolled: 1-line block ×4, first 2 shown]
	s_barrier
	s_waitcnt lgkmcnt(3)
	v_pk_add_f32 v[6:7], v[2:3], v[6:7]
	s_waitcnt lgkmcnt(0)
	v_pk_add_f32 v[2:3], v[4:5], v[8:9]
	v_add_f32_e32 v4, v1, v10
	v_and_b32_e32 v1, 0x3c3, v0
	v_cmp_eq_u32_e32 vcc, 64, v1
	s_and_saveexec_b64 s[0:1], vcc
	s_cbranch_execz .LBB119_56
; %bb.55:
	v_add_u32_e32 v5, 0xb0, v16
	ds_write2_b32 v5, v6, v7 offset1:16
	ds_write2_b32 v5, v2, v3 offset0:32 offset1:48
	ds_write_b32 v5, v4 offset:256
.LBB119_56:
	s_or_b64 exec, exec, s[0:1]
	v_cmp_gt_u32_e32 vcc, 64, v0
	s_waitcnt lgkmcnt(0)
	s_barrier
	s_and_saveexec_b64 s[0:1], vcc
	s_cbranch_execz .LBB119_64
; %bb.57:
	v_cmp_eq_u32_e32 vcc, 0, v21
	v_lshrrev_b32_e32 v5, 2, v0
	s_and_saveexec_b64 s[4:5], vcc
	s_cbranch_execnz .LBB119_67
; %bb.58:
	s_or_b64 exec, exec, s[4:5]
	s_and_saveexec_b64 s[4:5], vcc
	s_cbranch_execnz .LBB119_68
.LBB119_59:
	s_or_b64 exec, exec, s[4:5]
	s_and_saveexec_b64 s[4:5], vcc
	s_cbranch_execnz .LBB119_69
.LBB119_60:
	s_or_b64 exec, exec, s[4:5]
	s_and_saveexec_b64 s[4:5], vcc
	s_cbranch_execnz .LBB119_70
.LBB119_61:
	s_or_b64 exec, exec, s[4:5]
	s_and_saveexec_b64 s[4:5], vcc
	s_cbranch_execz .LBB119_63
.LBB119_62:
	v_mov_b32_e32 v8, 0xb0
	v_lshl_add_u32 v5, v5, 2, v8
	ds_read_b32 v5, v5 offset:256
	s_waitcnt lgkmcnt(0)
	v_add_f32_e32 v4, v4, v5
.LBB119_63:
	s_or_b64 exec, exec, s[4:5]
.LBB119_64:
	s_or_b64 exec, exec, s[0:1]
	v_cmp_eq_u32_e32 vcc, 0, v1
	s_barrier
	s_and_saveexec_b64 s[0:1], vcc
	s_cbranch_execz .LBB119_66
; %bb.65:
	s_mul_i32 s0, s2, 0x50
	s_ashr_i32 s1, s0, 31
	s_lshl_b64 s[0:1], s[0:1], 1
	s_add_u32 s2, s22, s0
	s_mul_i32 s0, s12, s20
	s_addc_u32 s3, s23, s1
	s_ashr_i32 s1, s0, 31
	s_lshl_b64 s[0:1], s[0:1], 1
	s_add_u32 s2, s2, s0
	s_mul_i32 s0, s8, 0x50
	s_addc_u32 s3, s3, s1
	s_ashr_i32 s1, s0, 31
	s_lshl_b64 s[0:1], s[0:1], 1
	s_add_u32 s0, s2, s0
	s_addc_u32 s1, s3, s1
	v_lshrrev_b32_e32 v0, 1, v0
	;;#ASMSTART
	v_cvt_f16_f32 v1, v6;

	;;#ASMEND
	global_store_short v0, v1, s[0:1]
	;;#ASMSTART
	v_cvt_f16_f32 v1, v7;

	;;#ASMEND
	global_store_short v0, v1, s[0:1] offset:32
	;;#ASMSTART
	v_cvt_f16_f32 v1, v2;

	;;#ASMEND
	global_store_short v0, v1, s[0:1] offset:64
	;; [unrolled: 5-line block ×4, first 2 shown]
.LBB119_66:
	s_endpgm
.LBB119_67:
	v_mov_b32_e32 v8, 0xb0
	v_lshl_add_u32 v8, v5, 2, v8
	ds_read_b32 v8, v8
	s_waitcnt lgkmcnt(0)
	v_add_f32_e32 v6, v6, v8
	s_or_b64 exec, exec, s[4:5]
	s_and_saveexec_b64 s[4:5], vcc
	s_cbranch_execz .LBB119_59
.LBB119_68:
	v_mov_b32_e32 v8, 0xb0
	v_lshl_add_u32 v8, v5, 2, v8
	ds_read_b32 v8, v8 offset:64
	s_waitcnt lgkmcnt(0)
	v_add_f32_e32 v7, v7, v8
	s_or_b64 exec, exec, s[4:5]
	s_and_saveexec_b64 s[4:5], vcc
	s_cbranch_execz .LBB119_60
.LBB119_69:
	v_mov_b32_e32 v8, 0xb0
	v_lshl_add_u32 v8, v5, 2, v8
	ds_read_b32 v8, v8 offset:128
	s_waitcnt lgkmcnt(0)
	v_add_f32_e32 v2, v2, v8
	s_or_b64 exec, exec, s[4:5]
	s_and_saveexec_b64 s[4:5], vcc
	s_cbranch_execz .LBB119_61
.LBB119_70:
	v_mov_b32_e32 v8, 0xb0
	v_lshl_add_u32 v8, v5, 2, v8
	ds_read_b32 v8, v8 offset:192
	s_waitcnt lgkmcnt(0)
	v_add_f32_e32 v3, v3, v8
	s_or_b64 exec, exec, s[4:5]
	s_and_saveexec_b64 s[4:5], vcc
	s_cbranch_execnz .LBB119_62
	s_branch .LBB119_63
	.section	.rodata,"a",@progbits
	.p2align	6, 0x0
	.amdhsa_kernel _ZN4vllm25paged_attention_v2_kernelIttLi80ELi32ELi128ELNS_18Fp8KVCacheDataTypeE0ELb0ELi512EEEvPfS2_PT_PKS3_PKT0_S9_ifPKiSB_iPKfiiiSD_SD_iiiii
		.amdhsa_group_segment_fixed_size 176
		.amdhsa_private_segment_fixed_size 0
		.amdhsa_kernarg_size 400
		.amdhsa_user_sgpr_count 6
		.amdhsa_user_sgpr_private_segment_buffer 1
		.amdhsa_user_sgpr_dispatch_ptr 0
		.amdhsa_user_sgpr_queue_ptr 0
		.amdhsa_user_sgpr_kernarg_segment_ptr 1
		.amdhsa_user_sgpr_dispatch_id 0
		.amdhsa_user_sgpr_flat_scratch_init 0
		.amdhsa_user_sgpr_kernarg_preload_length 0
		.amdhsa_user_sgpr_kernarg_preload_offset 0
		.amdhsa_user_sgpr_private_segment_size 0
		.amdhsa_uses_dynamic_stack 0
		.amdhsa_system_sgpr_private_segment_wavefront_offset 0
		.amdhsa_system_sgpr_workgroup_id_x 1
		.amdhsa_system_sgpr_workgroup_id_y 1
		.amdhsa_system_sgpr_workgroup_id_z 1
		.amdhsa_system_sgpr_workgroup_info 0
		.amdhsa_system_vgpr_workitem_id 0
		.amdhsa_next_free_vgpr 67
		.amdhsa_next_free_sgpr 43
		.amdhsa_accum_offset 68
		.amdhsa_reserve_vcc 1
		.amdhsa_reserve_flat_scratch 0
		.amdhsa_float_round_mode_32 0
		.amdhsa_float_round_mode_16_64 0
		.amdhsa_float_denorm_mode_32 3
		.amdhsa_float_denorm_mode_16_64 3
		.amdhsa_dx10_clamp 1
		.amdhsa_ieee_mode 1
		.amdhsa_fp16_overflow 0
		.amdhsa_tg_split 0
		.amdhsa_exception_fp_ieee_invalid_op 0
		.amdhsa_exception_fp_denorm_src 0
		.amdhsa_exception_fp_ieee_div_zero 0
		.amdhsa_exception_fp_ieee_overflow 0
		.amdhsa_exception_fp_ieee_underflow 0
		.amdhsa_exception_fp_ieee_inexact 0
		.amdhsa_exception_int_div_zero 0
	.end_amdhsa_kernel
	.section	.text._ZN4vllm25paged_attention_v2_kernelIttLi80ELi32ELi128ELNS_18Fp8KVCacheDataTypeE0ELb0ELi512EEEvPfS2_PT_PKS3_PKT0_S9_ifPKiSB_iPKfiiiSD_SD_iiiii,"axG",@progbits,_ZN4vllm25paged_attention_v2_kernelIttLi80ELi32ELi128ELNS_18Fp8KVCacheDataTypeE0ELb0ELi512EEEvPfS2_PT_PKS3_PKT0_S9_ifPKiSB_iPKfiiiSD_SD_iiiii,comdat
.Lfunc_end119:
	.size	_ZN4vllm25paged_attention_v2_kernelIttLi80ELi32ELi128ELNS_18Fp8KVCacheDataTypeE0ELb0ELi512EEEvPfS2_PT_PKS3_PKT0_S9_ifPKiSB_iPKfiiiSD_SD_iiiii, .Lfunc_end119-_ZN4vllm25paged_attention_v2_kernelIttLi80ELi32ELi128ELNS_18Fp8KVCacheDataTypeE0ELb0ELi512EEEvPfS2_PT_PKS3_PKT0_S9_ifPKiSB_iPKfiiiSD_SD_iiiii
                                        ; -- End function
	.section	.AMDGPU.csdata,"",@progbits
; Kernel info:
; codeLenInByte = 6680
; NumSgprs: 47
; NumVgprs: 67
; NumAgprs: 0
; TotalNumVgprs: 67
; ScratchSize: 0
; MemoryBound: 0
; FloatMode: 240
; IeeeMode: 1
; LDSByteSize: 176 bytes/workgroup (compile time only)
; SGPRBlocks: 5
; VGPRBlocks: 8
; NumSGPRsForWavesPerEU: 47
; NumVGPRsForWavesPerEU: 67
; AccumOffset: 68
; Occupancy: 7
; WaveLimiterHint : 1
; COMPUTE_PGM_RSRC2:SCRATCH_EN: 0
; COMPUTE_PGM_RSRC2:USER_SGPR: 6
; COMPUTE_PGM_RSRC2:TRAP_HANDLER: 0
; COMPUTE_PGM_RSRC2:TGID_X_EN: 1
; COMPUTE_PGM_RSRC2:TGID_Y_EN: 1
; COMPUTE_PGM_RSRC2:TGID_Z_EN: 1
; COMPUTE_PGM_RSRC2:TIDIG_COMP_CNT: 0
; COMPUTE_PGM_RSRC3_GFX90A:ACCUM_OFFSET: 16
; COMPUTE_PGM_RSRC3_GFX90A:TG_SPLIT: 0
	.section	.text._ZN4vllm25paged_attention_v2_kernelIttLi96ELi32ELi128ELNS_18Fp8KVCacheDataTypeE0ELb0ELi512EEEvPfS2_PT_PKS3_PKT0_S9_ifPKiSB_iPKfiiiSD_SD_iiiii,"axG",@progbits,_ZN4vllm25paged_attention_v2_kernelIttLi96ELi32ELi128ELNS_18Fp8KVCacheDataTypeE0ELb0ELi512EEEvPfS2_PT_PKS3_PKT0_S9_ifPKiSB_iPKfiiiSD_SD_iiiii,comdat
	.protected	_ZN4vllm25paged_attention_v2_kernelIttLi96ELi32ELi128ELNS_18Fp8KVCacheDataTypeE0ELb0ELi512EEEvPfS2_PT_PKS3_PKT0_S9_ifPKiSB_iPKfiiiSD_SD_iiiii ; -- Begin function _ZN4vllm25paged_attention_v2_kernelIttLi96ELi32ELi128ELNS_18Fp8KVCacheDataTypeE0ELb0ELi512EEEvPfS2_PT_PKS3_PKT0_S9_ifPKiSB_iPKfiiiSD_SD_iiiii
	.globl	_ZN4vllm25paged_attention_v2_kernelIttLi96ELi32ELi128ELNS_18Fp8KVCacheDataTypeE0ELb0ELi512EEEvPfS2_PT_PKS3_PKT0_S9_ifPKiSB_iPKfiiiSD_SD_iiiii
	.p2align	8
	.type	_ZN4vllm25paged_attention_v2_kernelIttLi96ELi32ELi128ELNS_18Fp8KVCacheDataTypeE0ELb0ELi512EEEvPfS2_PT_PKS3_PKT0_S9_ifPKiSB_iPKfiiiSD_SD_iiiii,@function
_ZN4vllm25paged_attention_v2_kernelIttLi96ELi32ELi128ELNS_18Fp8KVCacheDataTypeE0ELb0ELi512EEEvPfS2_PT_PKS3_PKT0_S9_ifPKiSB_iPKfiiiSD_SD_iiiii: ; @_ZN4vllm25paged_attention_v2_kernelIttLi96ELi32ELi128ELNS_18Fp8KVCacheDataTypeE0ELb0ELi512EEEvPfS2_PT_PKS3_PKT0_S9_ifPKiSB_iPKfiiiSD_SD_iiiii
; %bb.0:
	s_load_dwordx2 s[0:1], s[4:5], 0x40
	s_mov_b32 s24, s7
	s_ashr_i32 s25, s7, 31
	s_lshl_b64 s[2:3], s[24:25], 2
	s_waitcnt lgkmcnt(0)
	s_add_u32 s0, s0, s2
	s_addc_u32 s1, s1, s3
	s_load_dword s25, s[0:1], 0x0
	s_lshl_b32 s33, s8, 9
	s_waitcnt lgkmcnt(0)
	s_cmp_ge_i32 s33, s25
	s_cbranch_scc1 .LBB120_69
; %bb.1:
	s_load_dword s9, s[4:5], 0x90
	s_load_dwordx2 s[10:11], s[4:5], 0x30
	s_mov_b32 s40, 0
	s_waitcnt lgkmcnt(0)
	s_abs_i32 s2, s9
	s_abs_i32 s0, s10
	v_cvt_f32_u32_e32 v1, s0
	s_sub_i32 s3, 0, s0
	s_xor_b32 s1, s9, s10
	s_ashr_i32 s1, s1, 31
	v_rcp_iflag_f32_e32 v1, v1
	v_mul_f32_e32 v1, 0x4f7ffffe, v1
	v_cvt_u32_f32_e32 v1, v1
	v_readfirstlane_b32 s7, v1
	s_mul_i32 s3, s3, s7
	s_mul_hi_u32 s3, s7, s3
	s_add_i32 s7, s7, s3
	s_mul_hi_u32 s3, s2, s7
	s_mul_i32 s7, s3, s0
	s_sub_i32 s2, s2, s7
	s_add_i32 s10, s3, 1
	s_sub_i32 s7, s2, s0
	s_cmp_ge_u32 s2, s0
	s_cselect_b32 s3, s10, s3
	s_cselect_b32 s2, s7, s2
	s_add_i32 s7, s3, 1
	s_cmp_ge_u32 s2, s0
	s_cselect_b32 s0, s7, s3
	s_xor_b32 s0, s0, s1
	s_sub_i32 s10, s0, s1
	s_abs_i32 s2, s10
	v_cvt_f32_u32_e32 v1, s2
	s_load_dwordx2 s[0:1], s[4:5], 0x50
	s_sub_i32 s7, 0, s2
	s_abs_i32 s3, s6
	v_rcp_iflag_f32_e32 v1, v1
	v_mul_f32_e32 v1, 0x4f7ffffe, v1
	v_cvt_u32_f32_e32 v1, v1
	v_readfirstlane_b32 s12, v1
	s_mul_i32 s7, s7, s12
	s_mul_hi_u32 s7, s12, s7
	s_add_i32 s12, s12, s7
	s_waitcnt lgkmcnt(0)
	s_cmp_eq_u64 s[0:1], 0
	s_mul_hi_u32 s16, s3, s12
	s_cbranch_scc1 .LBB120_3
; %bb.2:
	s_ashr_i32 s7, s6, 31
	s_lshl_b64 s[12:13], s[6:7], 2
	s_add_u32 s0, s0, s12
	s_addc_u32 s1, s1, s13
	s_load_dword s40, s[0:1], 0x0
.LBB120_3:
	s_load_dwordx4 s[12:15], s[4:5], 0x58
	s_ashr_i32 s17, s6, 31
	s_ashr_i32 s18, s10, 31
	v_and_b32_e32 v2, 1, v0
	s_movk_i32 s7, 0x60
	s_mul_i32 s20, s6, 0x60
	v_cmp_gt_u32_e32 vcc, 24, v0
	v_lshlrev_b32_e32 v1, 3, v0
	s_and_saveexec_b64 s[0:1], vcc
	s_cbranch_execz .LBB120_5
; %bb.4:
	s_load_dwordx2 s[22:23], s[4:5], 0x18
	s_waitcnt lgkmcnt(0)
	s_mul_i32 s26, s24, s12
	s_ashr_i32 s27, s26, 31
	s_lshl_b64 s[26:27], s[26:27], 1
	v_lshlrev_b32_e32 v3, 2, v0
	s_add_u32 s10, s22, s26
	s_addc_u32 s12, s23, s27
	s_ashr_i32 s21, s20, 31
	s_lshl_b64 s[22:23], s[20:21], 1
	s_add_u32 s22, s10, s22
	s_addc_u32 s23, s12, s23
	global_load_dwordx2 v[4:5], v1, s[22:23]
	v_and_b32_e32 v3, 0xff8, v3
	v_mad_u32_u24 v3, v2, s7, v3
	s_waitcnt vmcnt(0)
	ds_write_b64 v3, v[4:5]
.LBB120_5:
	s_or_b64 exec, exec, s[0:1]
	s_add_i32 s0, s25, 31
	s_ashr_i32 s1, s0, 31
	s_lshr_b32 s1, s1, 27
	s_add_i32 s0, s0, s1
	s_lshl_b32 s10, s8, 4
	s_mul_i32 s1, s16, s2
	s_ashr_i32 s7, s0, 5
	s_add_i32 s0, s10, 16
	s_sub_i32 s1, s3, s1
	s_min_i32 s21, s0, s7
	s_xor_b32 s0, s17, s18
	s_add_i32 s3, s16, 1
	s_waitcnt lgkmcnt(0)
	s_sub_i32 s12, s1, s2
	s_cmp_ge_u32 s1, s2
	s_cselect_b32 s3, s3, s16
	s_cselect_b32 s1, s12, s1
	s_add_i32 s12, s3, 1
	s_cmp_ge_u32 s1, s2
	s_load_dwordx2 s[26:27], s[4:5], 0x38
	s_load_dword s2, s[4:5], 0x48
	v_lshrrev_b32_e32 v22, 6, v0
	s_cselect_b32 s1, s12, s3
	s_xor_b32 s1, s1, s0
	v_or_b32_e32 v6, s10, v22
	s_waitcnt lgkmcnt(0)
	s_mul_i32 s28, s24, s2
	s_sub_i32 s15, s1, s0
	s_ashr_i32 s29, s28, 31
	v_cmp_gt_i32_e64 s[0:1], s21, v6
	v_cmp_le_i32_e32 vcc, s21, v6
	v_mbcnt_lo_u32_b32 v4, -1, 0
	s_barrier
	s_waitcnt lgkmcnt(0)
                                        ; implicit-def: $sgpr36
                                        ; implicit-def: $vgpr24
                                        ; implicit-def: $vgpr25
	s_and_saveexec_b64 s[2:3], vcc
	s_xor_b64 s[2:3], exec, s[2:3]
; %bb.6:
	v_mbcnt_hi_u32_b32 v24, -1, v4
	v_and_b32_e32 v2, 64, v24
	v_add_u32_e32 v25, 64, v2
	s_mov_b32 s36, 0xff7fffff
                                        ; implicit-def: $vgpr2
                                        ; implicit-def: $vgpr4
; %bb.7:
	s_or_saveexec_b64 s[34:35], s[2:3]
	s_load_dwordx4 s[16:19], s[4:5], 0x0
	s_load_dwordx2 s[22:23], s[4:5], 0x10
	s_load_dwordx2 s[30:31], s[4:5], 0x28
	s_load_dword s12, s[4:5], 0x98
	v_mov_b32_e32 v26, s36
	s_mul_i32 s14, s15, s14
	v_ashrrev_i32_e32 v7, 31, v6
	v_lshlrev_b32_e32 v23, 5, v22
	s_xor_b64 exec, exec, s[34:35]
	s_cbranch_execz .LBB120_13
; %bb.8:
	s_load_dwordx2 s[2:3], s[4:5], 0x20
	s_ashr_i32 s15, s14, 31
	s_lshl_b64 s[4:5], s[14:15], 1
	v_bfe_u32 v3, v0, 1, 5
	v_lshlrev_b32_e32 v5, 4, v3
	s_waitcnt lgkmcnt(0)
	s_add_u32 s2, s2, s4
	s_addc_u32 s3, s3, s5
	v_mov_b32_e32 v8, s3
	v_add_co_u32_e32 v5, vcc, s2, v5
	v_addc_co_u32_e32 v8, vcc, 0, v8, vcc
	v_and_b32_e32 v9, 8, v1
	v_add_co_u32_e32 v27, vcc, v5, v9
	v_addc_co_u32_e32 v28, vcc, 0, v8, vcc
	v_mul_u32_u24_e32 v29, 0x60, v2
	v_cmp_eq_u32_e32 vcc, 0, v2
	s_sub_i32 s15, 1, s25
	v_lshlrev_b32_e32 v2, 2, v3
	s_lshl_b64 s[4:5], s[28:29], 2
	v_lshl_or_b32 v2, v22, 7, v2
	s_add_u32 s4, s26, s4
	v_add3_u32 v30, s33, v23, v3
	v_add_u32_e32 v31, 0xd0, v2
	v_lshlrev_b64 v[2:3], 2, v[6:7]
	s_addc_u32 s5, s27, s5
	v_mbcnt_hi_u32_b32 v24, -1, v4
	v_mov_b32_e32 v5, s5
	v_add_co_u32_e64 v2, s[4:5], s4, v2
	v_and_b32_e32 v4, 64, v24
	s_mov_b32 s41, s13
	v_cmp_neq_f32_e64 s[2:3], s40, 0
	v_addc_co_u32_e64 v3, s[4:5], v5, v3, s[4:5]
	s_mov_b64 s[36:37], 0
	v_mov_b32_e32 v26, 0xff7fffff
	s_movk_i32 s42, 0x1000
	v_xor_b32_e32 v32, 1, v24
	v_add_u32_e32 v25, 64, v4
	v_mov_b32_e32 v33, v6
	s_branch .LBB120_10
.LBB120_9:                              ;   in Loop: Header=BB120_10 Depth=1
	s_or_b64 exec, exec, s[38:39]
	v_add_u32_e32 v33, 2, v33
	v_cmp_le_i32_e64 s[4:5], s21, v33
	s_or_b64 s[36:37], s[4:5], s[36:37]
	v_add_co_u32_e64 v2, s[4:5], 8, v2
	v_add_u32_e32 v30, 64, v30
	v_add_u32_e32 v31, 0x100, v31
	v_addc_co_u32_e64 v3, s[4:5], 0, v3, s[4:5]
	s_andn2_b64 exec, exec, s[36:37]
	s_cbranch_execz .LBB120_12
.LBB120_10:                             ; =>This Inner Loop Header: Depth=1
	global_load_dword v4, v[2:3], off
	s_waitcnt vmcnt(0) lgkmcnt(0)
	v_mad_i64_i32 v[4:5], s[4:5], v4, s41, 0
	v_lshlrev_b64 v[4:5], 1, v[4:5]
	v_add_co_u32_e64 v4, s[4:5], v27, v4
	v_addc_co_u32_e64 v5, s[4:5], v28, v5, s[4:5]
	global_load_dwordx2 v[36:37], v[4:5], off
	global_load_dwordx2 v[40:41], v[4:5], off offset:512
	global_load_dwordx2 v[42:43], v[4:5], off offset:1024
	;; [unrolled: 1-line block ×7, first 2 shown]
	v_add_co_u32_e64 v34, s[4:5], s42, v4
	v_addc_co_u32_e64 v35, s[4:5], 0, v5, s[4:5]
	global_load_dwordx2 v[12:13], v[34:35], off
	global_load_dwordx2 v[10:11], v[34:35], off offset:512
	ds_read_b64 v[4:5], v29
	v_cmp_lt_i32_e64 s[4:5], v32, v25
	s_waitcnt lgkmcnt(0)
	v_lshrrev_b32_e32 v38, 16, v4
	v_and_b32_e32 v39, 0xffff, v4
	v_lshrrev_b32_e32 v54, 16, v5
	v_and_b32_e32 v55, 0xffff, v5
	global_load_dwordx2 v[8:9], v[34:35], off offset:1024
	global_load_dwordx2 v[4:5], v[34:35], off offset:1536
	;;#ASMSTART
	v_cvt_f32_f16 v34, v39;
	;;#ASMEND
	;;#ASMSTART
	v_cvt_f32_f16 v35, v38;
	;;#ASMEND
	s_waitcnt vmcnt(11)
	v_and_b32_e32 v61, 0xffff, v36
	v_lshrrev_b32_e32 v62, 16, v37
	v_and_b32_e32 v63, 0xffff, v37
	v_lshrrev_b32_e32 v56, 16, v36
	;;#ASMSTART
	v_cvt_f32_f16 v61, v61;
	;;#ASMEND
	;;#ASMSTART
	v_cvt_f32_f16 v64, v56;
	;;#ASMEND
	;; [unrolled: 3-line block ×3, first 2 shown]
	s_waitcnt vmcnt(4)
	v_lshrrev_b32_e32 v58, 16, v14
	v_and_b32_e32 v60, 0xffff, v14
	v_lshrrev_b32_e32 v57, 16, v15
	v_and_b32_e32 v59, 0xffff, v15
	;;#ASMSTART
	v_cvt_f32_f16 v66, v54;
	;;#ASMEND
	;;#ASMSTART
	v_cvt_f32_f16 v63, v63;
	;;#ASMEND
	;; [unrolled: 3-line block ×3, first 2 shown]
	ds_read_b64 v[14:15], v29 offset:8
	v_lshrrev_b32_e32 v36, 16, v40
	v_and_b32_e32 v37, 0xffff, v40
	v_lshrrev_b32_e32 v39, 16, v41
	v_and_b32_e32 v41, 0xffff, v41
	s_waitcnt lgkmcnt(0)
	v_and_b32_e32 v67, 0xffff, v14
	v_lshrrev_b32_e32 v14, 16, v14
	v_lshrrev_b32_e32 v68, 16, v15
	v_and_b32_e32 v15, 0xffff, v15
	;;#ASMSTART
	v_cvt_f32_f16 v67, v67;
	;;#ASMEND
	;;#ASMSTART
	v_cvt_f32_f16 v69, v14;
	;;#ASMEND
	;; [unrolled: 3-line block ×8, first 2 shown]
	ds_read_b64 v[14:15], v29 offset:16
	v_mul_f32_e32 v37, v67, v37
	v_mul_f32_e32 v36, v69, v36
	v_lshrrev_b32_e32 v38, 16, v42
	v_and_b32_e32 v40, 0xffff, v42
	v_lshrrev_b32_e32 v42, 16, v43
	v_and_b32_e32 v44, 0xffff, v43
	v_mul_f32_e32 v39, v68, v39
	v_fmac_f32_e32 v37, v34, v61
	v_fmac_f32_e32 v36, v35, v64
	s_waitcnt lgkmcnt(0)
	v_lshrrev_b32_e32 v34, 16, v14
	v_and_b32_e32 v14, 0xffff, v14
	v_lshrrev_b32_e32 v35, 16, v15
	v_and_b32_e32 v15, 0xffff, v15
	v_fmac_f32_e32 v39, v66, v62
	;;#ASMSTART
	v_cvt_f32_f16 v61, v14;
	;;#ASMEND
	;;#ASMSTART
	v_cvt_f32_f16 v34, v34;
	;;#ASMEND
	;; [unrolled: 3-line block ×8, first 2 shown]
	ds_read_b64 v[14:15], v29 offset:24
	v_mul_f32_e32 v41, v70, v41
	v_lshrrev_b32_e32 v43, 16, v46
	v_and_b32_e32 v45, 0xffff, v46
	v_fmac_f32_e32 v41, v65, v63
	v_fmac_f32_e32 v36, v34, v38
	;; [unrolled: 1-line block ×3, first 2 shown]
	s_waitcnt lgkmcnt(0)
	v_lshrrev_b32_e32 v34, 16, v14
	v_and_b32_e32 v14, 0xffff, v14
	v_lshrrev_b32_e32 v35, 16, v15
	v_and_b32_e32 v15, 0xffff, v15
	;; [unrolled: 2-line block ×3, first 2 shown]
	v_fmac_f32_e32 v37, v61, v40
	v_fmac_f32_e32 v41, v62, v44
	;;#ASMSTART
	v_cvt_f32_f16 v38, v14;
	;;#ASMEND
	;;#ASMSTART
	v_cvt_f32_f16 v34, v34;
	;;#ASMEND
	;; [unrolled: 3-line block ×8, first 2 shown]
	ds_read_b64 v[14:15], v29 offset:32
	v_lshrrev_b32_e32 v47, 16, v20
	v_and_b32_e32 v20, 0xffff, v20
	v_fmac_f32_e32 v36, v34, v42
	v_fmac_f32_e32 v39, v35, v45
	s_waitcnt lgkmcnt(0)
	v_lshrrev_b32_e32 v34, 16, v14
	v_and_b32_e32 v14, 0xffff, v14
	v_lshrrev_b32_e32 v35, 16, v15
	v_and_b32_e32 v15, 0xffff, v15
	;; [unrolled: 2-line block ×3, first 2 shown]
	v_fmac_f32_e32 v37, v38, v40
	v_fmac_f32_e32 v41, v43, v44
	;;#ASMSTART
	v_cvt_f32_f16 v38, v14;
	;;#ASMEND
	;;#ASMSTART
	v_cvt_f32_f16 v34, v34;
	;;#ASMEND
	;; [unrolled: 3-line block ×8, first 2 shown]
	ds_read_b64 v[14:15], v29 offset:40
	v_lshrrev_b32_e32 v21, 16, v18
	v_and_b32_e32 v18, 0xffff, v18
	v_lshrrev_b32_e32 v51, 16, v19
	v_and_b32_e32 v19, 0xffff, v19
	v_fmac_f32_e32 v37, v38, v20
	v_fmac_f32_e32 v36, v34, v40
	s_waitcnt lgkmcnt(0)
	v_lshrrev_b32_e32 v20, 16, v14
	v_and_b32_e32 v14, 0xffff, v14
	v_lshrrev_b32_e32 v34, 16, v15
	v_and_b32_e32 v15, 0xffff, v15
	v_fmac_f32_e32 v39, v35, v44
	;;#ASMSTART
	v_cvt_f32_f16 v35, v14;
	;;#ASMEND
	;;#ASMSTART
	v_cvt_f32_f16 v20, v20;
	;;#ASMEND
	;; [unrolled: 3-line block ×8, first 2 shown]
	ds_read_b64 v[14:15], v29 offset:48
	v_fmac_f32_e32 v41, v42, v43
	v_lshrrev_b32_e32 v52, 16, v16
	v_and_b32_e32 v53, 0xffff, v16
	v_lshrrev_b32_e32 v16, 16, v17
	v_and_b32_e32 v17, 0xffff, v17
	v_fmac_f32_e32 v37, v35, v18
	v_fmac_f32_e32 v41, v38, v19
	s_waitcnt lgkmcnt(0)
	v_lshrrev_b32_e32 v18, 16, v14
	v_and_b32_e32 v14, 0xffff, v14
	v_lshrrev_b32_e32 v19, 16, v15
	v_and_b32_e32 v15, 0xffff, v15
	v_fmac_f32_e32 v36, v20, v21
	v_fmac_f32_e32 v39, v34, v40
	;;#ASMSTART
	v_cvt_f32_f16 v20, v14;
	;;#ASMEND
	;;#ASMSTART
	v_cvt_f32_f16 v18, v18;
	;;#ASMEND
	;; [unrolled: 3-line block ×8, first 2 shown]
	ds_read_b64 v[14:15], v29 offset:56
	v_fmac_f32_e32 v41, v35, v17
	v_fmac_f32_e32 v39, v19, v16
	;; [unrolled: 1-line block ×4, first 2 shown]
	s_waitcnt lgkmcnt(0)
	v_lshrrev_b32_e32 v16, 16, v14
	v_and_b32_e32 v14, 0xffff, v14
	v_lshrrev_b32_e32 v17, 16, v15
	v_and_b32_e32 v15, 0xffff, v15
	;;#ASMSTART
	v_cvt_f32_f16 v18, v14;
	;;#ASMEND
	;;#ASMSTART
	v_cvt_f32_f16 v16, v16;
	;;#ASMEND
	;;#ASMSTART
	v_cvt_f32_f16 v19, v60;
	;;#ASMEND
	;;#ASMSTART
	v_cvt_f32_f16 v20, v58;
	;;#ASMEND
	;;#ASMSTART
	v_cvt_f32_f16 v21, v15;
	;;#ASMEND
	;;#ASMSTART
	v_cvt_f32_f16 v17, v17;
	;;#ASMEND
	;;#ASMSTART
	v_cvt_f32_f16 v34, v59;
	;;#ASMEND
	;;#ASMSTART
	v_cvt_f32_f16 v35, v57;
	;;#ASMEND
	ds_read_b64 v[14:15], v29 offset:64
	s_waitcnt vmcnt(3)
	v_lshrrev_b32_e32 v54, 16, v12
	v_and_b32_e32 v56, 0xffff, v12
	v_lshrrev_b32_e32 v12, 16, v13
	v_and_b32_e32 v13, 0xffff, v13
	v_fmac_f32_e32 v36, v16, v20
	v_fmac_f32_e32 v39, v17, v35
	s_waitcnt lgkmcnt(0)
	v_lshrrev_b32_e32 v16, 16, v14
	v_and_b32_e32 v14, 0xffff, v14
	v_lshrrev_b32_e32 v17, 16, v15
	v_and_b32_e32 v15, 0xffff, v15
	v_fmac_f32_e32 v37, v18, v19
	v_fmac_f32_e32 v41, v21, v34
	;;#ASMSTART
	v_cvt_f32_f16 v14, v14;
	;;#ASMEND
	;;#ASMSTART
	v_cvt_f32_f16 v16, v16;
	;;#ASMEND
	;; [unrolled: 3-line block ×8, first 2 shown]
	ds_read_b64 v[12:13], v29 offset:72
	s_waitcnt vmcnt(2)
	v_lshrrev_b32_e32 v55, 16, v10
	v_and_b32_e32 v10, 0xffff, v10
	v_fmac_f32_e32 v37, v14, v18
	v_fmac_f32_e32 v41, v15, v20
	s_waitcnt lgkmcnt(0)
	v_lshrrev_b32_e32 v14, 16, v12
	v_and_b32_e32 v12, 0xffff, v12
	;;#ASMSTART
	v_cvt_f32_f16 v12, v12;
	;;#ASMEND
	;;#ASMSTART
	v_cvt_f32_f16 v14, v14;
	;;#ASMEND
	;; [unrolled: 3-line block ×3, first 2 shown]
	v_lshrrev_b32_e32 v10, 16, v13
	v_and_b32_e32 v13, 0xffff, v13
	v_fmac_f32_e32 v36, v16, v19
	v_fmac_f32_e32 v39, v17, v21
	;;#ASMSTART
	v_cvt_f32_f16 v16, v55;
	;;#ASMEND
	;;#ASMSTART
	v_cvt_f32_f16 v13, v13;
	;;#ASMEND
	;; [unrolled: 3-line block ×3, first 2 shown]
	v_lshrrev_b32_e32 v10, 16, v11
	v_and_b32_e32 v11, 0xffff, v11
	;;#ASMSTART
	v_cvt_f32_f16 v18, v11;
	;;#ASMEND
	;;#ASMSTART
	v_cvt_f32_f16 v19, v10;
	;;#ASMEND
	ds_read_b64 v[10:11], v29 offset:80
	v_fmac_f32_e32 v37, v12, v15
	v_fmac_f32_e32 v41, v13, v18
	s_waitcnt vmcnt(1)
	v_lshrrev_b32_e32 v13, 16, v8
	v_and_b32_e32 v8, 0xffff, v8
	s_waitcnt lgkmcnt(0)
	v_lshrrev_b32_e32 v12, 16, v10
	v_and_b32_e32 v10, 0xffff, v10
	v_fmac_f32_e32 v36, v14, v16
	;;#ASMSTART
	v_cvt_f32_f16 v10, v10;
	;;#ASMEND
	;;#ASMSTART
	v_cvt_f32_f16 v12, v12;
	;;#ASMEND
	;; [unrolled: 3-line block ×3, first 2 shown]
	v_lshrrev_b32_e32 v8, 16, v11
	v_and_b32_e32 v11, 0xffff, v11
	;;#ASMSTART
	v_cvt_f32_f16 v13, v13;
	;;#ASMEND
	;;#ASMSTART
	v_cvt_f32_f16 v11, v11;
	;;#ASMEND
	;; [unrolled: 3-line block ×3, first 2 shown]
	v_lshrrev_b32_e32 v8, 16, v9
	v_and_b32_e32 v9, 0xffff, v9
	v_fmac_f32_e32 v39, v17, v19
	;;#ASMSTART
	v_cvt_f32_f16 v16, v9;
	;;#ASMEND
	;;#ASMSTART
	v_cvt_f32_f16 v17, v8;
	;;#ASMEND
	ds_read_b64 v[8:9], v29 offset:88
	v_fmac_f32_e32 v37, v10, v14
	v_fmac_f32_e32 v41, v11, v16
	s_waitcnt vmcnt(0)
	v_lshrrev_b32_e32 v11, 16, v4
	v_and_b32_e32 v4, 0xffff, v4
	s_waitcnt lgkmcnt(0)
	v_lshrrev_b32_e32 v10, 16, v8
	v_and_b32_e32 v8, 0xffff, v8
	;;#ASMSTART
	v_cvt_f32_f16 v8, v8;
	;;#ASMEND
	;;#ASMSTART
	v_cvt_f32_f16 v10, v10;
	;;#ASMEND
	;; [unrolled: 3-line block ×3, first 2 shown]
	v_fmac_f32_e32 v36, v12, v13
	v_fmac_f32_e32 v37, v8, v4
	v_lshrrev_b32_e32 v4, 16, v9
	v_and_b32_e32 v8, 0xffff, v9
	v_fmac_f32_e32 v39, v15, v17
	;;#ASMSTART
	v_cvt_f32_f16 v11, v11;
	;;#ASMEND
	v_fmac_f32_e32 v36, v10, v11
	;;#ASMSTART
	v_cvt_f32_f16 v8, v8;
	;;#ASMEND
	;;#ASMSTART
	v_cvt_f32_f16 v4, v4;
	;;#ASMEND
	v_lshrrev_b32_e32 v9, 16, v5
	v_and_b32_e32 v5, 0xffff, v5
	;;#ASMSTART
	v_cvt_f32_f16 v5, v5;
	;;#ASMEND
	;;#ASMSTART
	v_cvt_f32_f16 v9, v9;
	;;#ASMEND
	v_fmac_f32_e32 v41, v8, v5
	v_fmac_f32_e32 v39, v4, v9
	v_add_f32_e32 v4, v37, v36
	v_add_f32_e32 v4, v4, v41
	v_cndmask_b32_e64 v5, v24, v32, s[4:5]
	v_add_f32_e32 v4, v39, v4
	v_lshlrev_b32_e32 v5, 2, v5
	ds_bpermute_b32 v5, v5, v4
	s_and_saveexec_b64 s[38:39], vcc
	s_cbranch_execz .LBB120_9
; %bb.11:                               ;   in Loop: Header=BB120_10 Depth=1
	v_add_u32_e32 v8, s15, v30
	v_cvt_f32_i32_e32 v8, v8
	s_waitcnt lgkmcnt(0)
	v_add_f32_e32 v4, v4, v5
	v_cmp_gt_i32_e64 s[4:5], s25, v30
	v_max_f32_e32 v5, v26, v26
	v_mul_f32_e32 v8, s40, v8
	v_cndmask_b32_e64 v8, 0, v8, s[2:3]
	v_fmac_f32_e32 v8, s11, v4
	v_cndmask_b32_e64 v4, 0, v8, s[4:5]
	ds_write_b32 v31, v4
	v_max_f32_e32 v4, v5, v8
	v_cndmask_b32_e64 v26, v26, v4, s[4:5]
	s_branch .LBB120_9
.LBB120_12:
	s_or_b64 exec, exec, s[36:37]
.LBB120_13:
	s_or_b64 exec, exec, s[34:35]
	v_xor_b32_e32 v2, 32, v24
	v_cmp_lt_i32_e32 vcc, v2, v25
	v_cndmask_b32_e32 v2, v24, v2, vcc
	v_lshlrev_b32_e32 v2, 2, v2
	ds_bpermute_b32 v3, v2, v26
	s_waitcnt lgkmcnt(0)
	v_xor_b32_e32 v5, 16, v24
	v_max_f32_e32 v4, v26, v26
	v_cmp_lt_i32_e32 vcc, v5, v25
	v_xor_b32_e32 v8, 8, v24
	v_max_f32_e32 v3, v3, v3
	v_max_f32_e32 v4, v4, v3
	v_cndmask_b32_e32 v3, v24, v5, vcc
	v_lshlrev_b32_e32 v3, 2, v3
	ds_bpermute_b32 v5, v3, v4
	v_cmp_lt_i32_e32 vcc, v8, v25
	v_xor_b32_e32 v9, 4, v24
	v_xor_b32_e32 v10, 2, v24
	v_and_b32_e32 v18, 63, v0
	s_waitcnt lgkmcnt(0)
	v_max_f32_e32 v5, v5, v5
	v_max_f32_e32 v4, v4, v5
	v_cndmask_b32_e32 v5, v24, v8, vcc
	v_lshlrev_b32_e32 v5, 2, v5
	ds_bpermute_b32 v8, v5, v4
	v_cmp_lt_i32_e32 vcc, v9, v25
	s_waitcnt lgkmcnt(0)
	v_max_f32_e32 v8, v8, v8
	v_max_f32_e32 v4, v4, v8
	v_cndmask_b32_e32 v8, v24, v9, vcc
	v_lshlrev_b32_e32 v8, 2, v8
	ds_bpermute_b32 v9, v8, v4
	v_cmp_lt_i32_e32 vcc, v10, v25
	s_waitcnt lgkmcnt(0)
	v_max_f32_e32 v9, v9, v9
	v_max_f32_e32 v4, v4, v9
	v_cndmask_b32_e32 v9, v24, v10, vcc
	v_lshlrev_b32_e32 v19, 2, v9
	ds_bpermute_b32 v10, v19, v4
	v_cmp_eq_u32_e32 vcc, 0, v18
	v_lshlrev_b32_e32 v9, 2, v22
	s_and_saveexec_b64 s[2:3], vcc
	s_cbranch_execz .LBB120_15
; %bb.14:
	s_waitcnt lgkmcnt(0)
	v_max_f32_e32 v10, v10, v10
	v_max_f32_e32 v4, v4, v4
	v_max_f32_e32 v4, v4, v10
	ds_write_b32 v9, v4 offset:192
.LBB120_15:
	s_or_b64 exec, exec, s[2:3]
	v_cmp_gt_u32_e64 s[2:3], 2, v18
	v_mov_b32_e32 v4, 0xff7fffff
	s_waitcnt lgkmcnt(0)
	v_lshlrev_b32_e32 v10, 2, v18
	s_barrier
	s_and_saveexec_b64 s[4:5], s[2:3]
	s_cbranch_execz .LBB120_17
; %bb.16:
	ds_read_b32 v4, v10 offset:192
.LBB120_17:
	s_or_b64 exec, exec, s[4:5]
	v_xor_b32_e32 v11, 1, v24
	v_cmp_lt_i32_e64 s[4:5], v11, v25
	v_cndmask_b32_e64 v11, v24, v11, s[4:5]
	v_lshlrev_b32_e32 v20, 2, v11
	s_waitcnt lgkmcnt(0)
	ds_bpermute_b32 v11, v20, v4
	v_max_f32_e32 v4, v4, v4
	s_sub_i32 s4, s21, s10
	s_lshl_b32 s4, s4, 5
	s_add_i32 s4, s4, s33
	s_waitcnt lgkmcnt(0)
	v_max_f32_e32 v11, v11, v11
	v_max_f32_e32 v4, v4, v11
	v_lshlrev_b32_e32 v11, 2, v24
	v_and_b32_e32 v11, 0xffffff00, v11
	ds_bpermute_b32 v4, v11, v4
	s_min_i32 s38, s4, s25
	s_sub_i32 s15, s38, s33
	v_cmp_gt_i32_e64 s[4:5], s15, v0
	v_mov_b32_e32 v12, 0
	s_and_saveexec_b64 s[34:35], s[4:5]
	s_cbranch_execz .LBB120_21
; %bb.18:
	v_mov_b32_e32 v12, 0xd0
	v_lshl_add_u32 v13, v0, 2, v12
	s_mov_b64 s[36:37], 0
	v_mov_b32_e32 v12, 0
	v_mov_b32_e32 v14, v0
.LBB120_19:                             ; =>This Inner Loop Header: Depth=1
	ds_read_b32 v15, v13
	v_add_u32_e32 v14, 0x80, v14
	v_cmp_le_i32_e64 s[10:11], s15, v14
	s_or_b64 s[36:37], s[10:11], s[36:37]
	s_waitcnt lgkmcnt(0)
	v_sub_f32_e32 v15, v15, v4
	v_mul_f32_e32 v15, 0x3fb8aa3b, v15
	v_exp_f32_e32 v15, v15
	ds_write_b32 v13, v15
	v_add_f32_e32 v12, v12, v15
	v_add_u32_e32 v13, 0x200, v13
	s_andn2_b64 exec, exec, s[36:37]
	s_cbranch_execnz .LBB120_19
; %bb.20:
	s_or_b64 exec, exec, s[36:37]
.LBB120_21:
	s_or_b64 exec, exec, s[34:35]
	ds_bpermute_b32 v2, v2, v12
	s_waitcnt lgkmcnt(0)
	v_add_f32_e32 v2, v12, v2
	ds_bpermute_b32 v3, v3, v2
	s_waitcnt lgkmcnt(0)
	v_add_f32_e32 v2, v2, v3
	;; [unrolled: 3-line block ×6, first 2 shown]
	s_and_saveexec_b64 s[10:11], vcc
	s_cbranch_execz .LBB120_23
; %bb.22:
	ds_write_b32 v9, v2 offset:200
.LBB120_23:
	s_or_b64 exec, exec, s[10:11]
	s_waitcnt lgkmcnt(0)
	s_barrier
	s_and_saveexec_b64 s[10:11], s[2:3]
	s_cbranch_execz .LBB120_25
; %bb.24:
	ds_read_b32 v2, v10 offset:200
.LBB120_25:
	s_or_b64 exec, exec, s[10:11]
	s_waitcnt lgkmcnt(0)
	ds_bpermute_b32 v3, v20, v2
	s_waitcnt lgkmcnt(0)
	v_add_f32_e32 v2, v2, v3
	ds_bpermute_b32 v5, v11, v2
	s_and_saveexec_b64 s[2:3], s[4:5]
	s_cbranch_execz .LBB120_38
; %bb.26:
	s_waitcnt lgkmcnt(0)
	v_add_f32_e32 v2, 0x358637bd, v5
	v_div_scale_f32 v3, s[4:5], v2, v2, 1.0
	v_rcp_f32_e32 v8, v3
	v_div_scale_f32 v9, vcc, 1.0, v2, 1.0
	s_movk_i32 s4, 0x7f
	v_fma_f32 v10, -v3, v8, 1.0
	v_fmac_f32_e32 v8, v10, v8
	v_mul_f32_e32 v10, v9, v8
	v_fma_f32 v11, -v3, v10, v9
	v_fmac_f32_e32 v10, v11, v8
	v_fma_f32 v3, -v3, v10, v9
	v_div_fmas_f32 v3, v3, v8, v10
	v_div_fixup_f32 v2, v3, v2, 1.0
	v_xad_u32 v3, v0, -1, s38
	v_subrev_u32_e32 v8, s33, v3
	v_cmp_lt_u32_e32 vcc, s4, v8
	s_mov_b64 s[10:11], -1
	v_mov_b32_e32 v3, v0
	s_and_saveexec_b64 s[4:5], vcc
	s_cbranch_execz .LBB120_35
; %bb.27:
	v_lshrrev_b32_e32 v8, 7, v8
	v_add_u32_e32 v10, -1, v8
	v_lshrrev_b32_e32 v9, 1, v10
	v_mov_b32_e32 v3, v2
	v_add_u32_e32 v9, 1, v9
	v_cmp_lt_u32_e32 vcc, 13, v10
	v_mov_b32_e32 v12, 0
	s_and_saveexec_b64 s[10:11], vcc
	s_cbranch_execz .LBB120_31
; %bb.28:
	v_mov_b32_e32 v11, 0xd0
	v_and_b32_e32 v10, -8, v9
	v_lshl_add_u32 v11, v0, 2, v11
	s_mov_b32 s36, 0
	s_mov_b64 s[34:35], 0
.LBB120_29:                             ; =>This Inner Loop Header: Depth=1
	ds_read2st64_b32 v[12:13], v11 offset1:2
	ds_read2st64_b32 v[14:15], v11 offset0:4 offset1:6
	ds_read2st64_b32 v[16:17], v11 offset0:8 offset1:10
	ds_read2st64_b32 v[24:25], v11 offset0:12 offset1:14
	v_add_u32_e32 v10, -8, v10
	s_waitcnt lgkmcnt(3)
	v_pk_mul_f32 v[12:13], v[2:3], v[12:13]
	s_waitcnt lgkmcnt(2)
	v_pk_mul_f32 v[14:15], v[2:3], v[14:15]
	ds_write2st64_b32 v11, v12, v13 offset1:2
	ds_write2st64_b32 v11, v14, v15 offset0:4 offset1:6
	ds_read2st64_b32 v[14:15], v11 offset0:16 offset1:18
	s_waitcnt lgkmcnt(4)
	v_pk_mul_f32 v[12:13], v[2:3], v[16:17]
	ds_write2st64_b32 v11, v12, v13 offset0:8 offset1:10
	s_waitcnt lgkmcnt(4)
	v_pk_mul_f32 v[12:13], v[2:3], v[24:25]
	ds_write2st64_b32 v11, v12, v13 offset0:12 offset1:14
	ds_read2st64_b32 v[12:13], v11 offset0:20 offset1:22
	s_waitcnt lgkmcnt(3)
	v_pk_mul_f32 v[14:15], v[2:3], v[14:15]
	ds_read2st64_b32 v[16:17], v11 offset0:24 offset1:26
	ds_write2st64_b32 v11, v14, v15 offset0:16 offset1:18
	ds_read2st64_b32 v[14:15], v11 offset0:28 offset1:30
	s_waitcnt lgkmcnt(3)
	v_pk_mul_f32 v[12:13], v[2:3], v[12:13]
	ds_write2st64_b32 v11, v12, v13 offset0:20 offset1:22
	s_waitcnt lgkmcnt(3)
	v_pk_mul_f32 v[12:13], v[2:3], v[16:17]
	ds_write2st64_b32 v11, v12, v13 offset0:24 offset1:26
	s_waitcnt lgkmcnt(2)
	v_pk_mul_f32 v[12:13], v[2:3], v[14:15]
	s_add_i32 s36, s36, 16
	v_cmp_eq_u32_e32 vcc, 0, v10
	ds_write2st64_b32 v11, v12, v13 offset0:28 offset1:30
	v_add_u32_e32 v11, 0x2000, v11
	s_or_b64 s[34:35], vcc, s[34:35]
	v_mov_b32_e32 v12, s36
	s_andn2_b64 exec, exec, s[34:35]
	s_cbranch_execnz .LBB120_29
; %bb.30:
	s_or_b64 exec, exec, s[34:35]
.LBB120_31:
	s_or_b64 exec, exec, s[10:11]
	v_and_b32_e32 v9, 7, v9
	v_cmp_ne_u32_e32 vcc, 0, v9
	s_and_saveexec_b64 s[10:11], vcc
	s_cbranch_execz .LBB120_34
; %bb.32:
	v_lshlrev_b32_e32 v10, 9, v12
	v_lshlrev_b32_e32 v11, 2, v0
	s_movk_i32 s34, 0xd0
	v_add3_u32 v10, v10, v11, s34
	s_mov_b64 s[34:35], 0
.LBB120_33:                             ; =>This Inner Loop Header: Depth=1
	ds_read2st64_b32 v[12:13], v10 offset1:2
	v_add_u32_e32 v9, -1, v9
	v_cmp_eq_u32_e32 vcc, 0, v9
	s_or_b64 s[34:35], vcc, s[34:35]
	s_waitcnt lgkmcnt(0)
	v_pk_mul_f32 v[12:13], v[2:3], v[12:13]
	ds_write2st64_b32 v10, v12, v13 offset1:2
	v_add_u32_e32 v10, 0x400, v10
	s_andn2_b64 exec, exec, s[34:35]
	s_cbranch_execnz .LBB120_33
.LBB120_34:
	s_or_b64 exec, exec, s[10:11]
	v_add_u32_e32 v8, 1, v8
	v_and_b32_e32 v9, 0x3fffffe, v8
	v_cmp_ne_u32_e32 vcc, v8, v9
	v_lshl_add_u32 v3, v9, 7, v0
	s_orn2_b64 s[10:11], vcc, exec
.LBB120_35:
	s_or_b64 exec, exec, s[4:5]
	s_and_b64 exec, exec, s[10:11]
	s_cbranch_execz .LBB120_38
; %bb.36:
	v_mov_b32_e32 v8, 0xd0
	v_lshl_add_u32 v8, v3, 2, v8
	s_mov_b64 s[4:5], 0
.LBB120_37:                             ; =>This Inner Loop Header: Depth=1
	ds_read_b32 v9, v8
	v_add_u32_e32 v3, 0x80, v3
	v_cmp_le_i32_e32 vcc, s15, v3
	s_or_b64 s[4:5], vcc, s[4:5]
	s_waitcnt lgkmcnt(0)
	v_mul_f32_e32 v9, v2, v9
	ds_write_b32 v8, v9
	v_add_u32_e32 v8, 0x200, v8
	s_andn2_b64 exec, exec, s[4:5]
	s_cbranch_execnz .LBB120_37
.LBB120_38:
	s_or_b64 exec, exec, s[2:3]
	s_mul_i32 s2, s12, s24
	v_cmp_eq_u32_e32 vcc, 0, v0
	s_mul_i32 s2, s2, s9
	s_waitcnt lgkmcnt(0)
	s_barrier
	s_and_saveexec_b64 s[4:5], vcc
	s_cbranch_execz .LBB120_40
; %bb.39:
	s_ashr_i32 s3, s2, 31
	s_lshl_b64 s[10:11], s[2:3], 2
	s_add_u32 s3, s18, s10
	s_mul_i32 s18, s12, s6
	s_addc_u32 s9, s19, s11
	s_ashr_i32 s19, s18, 31
	s_lshl_b64 s[18:19], s[18:19], 2
	s_add_u32 s3, s3, s18
	s_addc_u32 s6, s9, s19
	s_ashr_i32 s9, s8, 31
	s_lshl_b64 s[34:35], s[8:9], 2
	s_add_u32 s36, s3, s34
	s_addc_u32 s37, s6, s35
	s_add_u32 s3, s16, s10
	s_addc_u32 s6, s17, s11
	;; [unrolled: 2-line block ×3, first 2 shown]
	s_add_u32 s10, s3, s34
	v_mov_b32_e32 v2, 0
	s_addc_u32 s11, s6, s35
	global_store_dword v2, v4, s[36:37]
	global_store_dword v2, v5, s[10:11]
.LBB120_40:
	s_or_b64 exec, exec, s[4:5]
	v_mov_b32_e32 v11, 0
	v_and_b32_e32 v21, 3, v0
	v_mov_b32_e32 v10, 0
	v_mov_b32_e32 v13, 0
	;; [unrolled: 1-line block ×5, first 2 shown]
	s_and_saveexec_b64 s[4:5], s[0:1]
	s_cbranch_execz .LBB120_56
; %bb.41:
	s_ashr_i32 s15, s14, 31
	s_lshl_b64 s[0:1], s[14:15], 1
	s_add_u32 s9, s30, s0
	v_and_b32_e32 v3, 24, v1
	s_mov_b32 s3, s13
	s_addc_u32 s10, s31, s1
	s_add_i32 s13, s7, -1
	s_lshl_b64 s[0:1], s[28:29], 2
	v_and_b32_e32 v2, 0x1f8, v1
	v_add3_u32 v1, s33, v23, v3
	v_lshlrev_b32_e32 v3, 5, v21
	s_add_u32 s0, s26, s0
	v_lshl_or_b32 v3, v22, 7, v3
	v_lshlrev_b64 v[12:13], 2, v[6:7]
	s_addc_u32 s1, s27, s1
	v_mov_b32_e32 v8, 0
	v_or_b32_e32 v4, 0x800, v2
	v_or_b32_e32 v10, 0xa00, v2
	v_add_u32_e32 v22, 0xd0, v3
	v_mov_b32_e32 v3, s1
	v_add_co_u32_e32 v14, vcc, s0, v12
	s_mov_b32 s14, s25
	s_mov_b32 s15, s25
	;; [unrolled: 1-line block ×7, first 2 shown]
	v_addc_co_u32_e32 v15, vcc, v3, v13, vcc
	s_mov_b64 s[6:7], 0
	v_mov_b32_e32 v7, s10
	v_lshlrev_b32_e32 v23, 1, v2
	s_mov_b32 s26, 0x5040100
	v_lshlrev_b32_e32 v24, 1, v4
	v_lshlrev_b32_e32 v25, 1, v10
	v_mov_b32_e32 v9, v8
	v_mov_b32_e32 v12, v8
	;; [unrolled: 1-line block ×5, first 2 shown]
	s_branch .LBB120_43
.LBB120_42:                             ;   in Loop: Header=BB120_43 Depth=1
	s_or_b64 exec, exec, s[0:1]
	s_waitcnt vmcnt(0)
	;;#ASMSTART
	v_pk_mul_f16 v2, v36, v2;

	;;#ASMEND
	;;#ASMSTART
	v_pk_mul_f16 v3, v35, v3;

	;;#ASMEND
	;;#ASMSTART
	v_pk_mul_f16 v4, v33, v4;

	;;#ASMEND
	;;#ASMSTART
	v_pk_mul_f16 v5, v31, v5;

	;;#ASMEND
	;;#ASMSTART
	v_pk_add_f16 v2, v2, v3;

	;;#ASMEND
	;;#ASMSTART
	v_pk_add_f16 v2, v2, v4;

	;;#ASMEND
	;; [unrolled: 4-line block ×3, first 2 shown]
	v_add_f32_e32 v26, v39, v40
	v_lshrrev_b32_e32 v3, 16, v2
	v_and_b32_e32 v2, 0xffff, v2
	v_add_u32_e32 v6, 2, v6
	v_add_f32_e32 v8, v8, v26
	v_add_f32_e32 v26, v41, v42
	;; [unrolled: 1-line block ×3, first 2 shown]
	;;#ASMSTART
	v_cvt_f32_f16 v2, v2;
	;;#ASMEND
	v_cmp_le_i32_e32 vcc, s21, v6
	v_add_f32_e32 v9, v9, v26
	v_add_f32_e32 v26, v43, v44
	;; [unrolled: 1-line block ×4, first 2 shown]
	;;#ASMSTART
	v_cvt_f32_f16 v3, v3;
	;;#ASMEND
	v_add_f32_e32 v2, v2, v3
	s_or_b64 s[6:7], vcc, s[6:7]
	v_add_co_u32_e32 v14, vcc, 8, v14
	v_add_f32_e32 v12, v12, v26
	v_add_f32_e32 v10, v10, v16
	;; [unrolled: 1-line block ×3, first 2 shown]
	v_add_u32_e32 v1, 64, v1
	v_add_u32_e32 v22, 0x100, v22
	v_addc_co_u32_e32 v15, vcc, 0, v15, vcc
	s_andn2_b64 exec, exec, s[6:7]
	s_cbranch_execz .LBB120_55
.LBB120_43:                             ; =>This Inner Loop Header: Depth=1
	global_load_dword v16, v[14:15], off
	ds_read2_b64 v[2:5], v22 offset1:1
	ds_read2_b64 v[26:29], v22 offset0:2 offset1:3
	v_or_b32_e32 v30, 5, v1
	v_or_b32_e32 v34, 7, v1
	s_waitcnt lgkmcnt(1)
	;;#ASMSTART
	v_cvt_f16_f32 v31, v2;

	;;#ASMEND
	;;#ASMSTART
	v_cvt_f16_f32 v33, v3;

	;;#ASMEND
	;;#ASMSTART
	v_cvt_f16_f32 v35, v4;

	;;#ASMEND
	;;#ASMSTART
	v_cvt_f16_f32 v39, v5;

	;;#ASMEND
	s_waitcnt lgkmcnt(0)
	;;#ASMSTART
	v_cvt_f16_f32 v40, v26;

	;;#ASMEND
	;;#ASMSTART
	v_cvt_f16_f32 v41, v27;

	;;#ASMEND
	;; [unrolled: 4-line block ×4, first 2 shown]
	v_add_u32_e32 v26, 1, v1
	v_or_b32_e32 v28, 3, v1
	v_or_b32_e32 v27, 2, v1
	;; [unrolled: 1-line block ×4, first 2 shown]
	s_waitcnt vmcnt(0)
	v_mad_i64_i32 v[2:3], s[0:1], v16, s3, 0
	v_lshlrev_b64 v[2:3], 1, v[2:3]
	v_add_co_u32_e32 v37, vcc, s9, v2
	v_addc_co_u32_e32 v38, vcc, v7, v3, vcc
	v_add_co_u32_e32 v16, vcc, v37, v23
	v_addc_co_u32_e32 v17, vcc, 0, v38, vcc
	global_load_dwordx4 v[2:5], v[16:17], off
	v_cmp_eq_u32_e32 vcc, s13, v6
	s_and_saveexec_b64 s[10:11], vcc
	s_cbranch_execz .LBB120_45
; %bb.44:                               ;   in Loop: Header=BB120_43 Depth=1
	s_waitcnt vmcnt(0)
	v_lshrrev_b32_e32 v36, 16, v5
	v_cmp_gt_i32_e64 s[0:1], s24, v34
	v_cndmask_b32_e64 v36, 0, v36, s[0:1]
	v_cmp_gt_i32_e64 s[0:1], s19, v32
	v_cndmask_b32_e64 v5, 0, v5, s[0:1]
	v_perm_b32 v5, v36, v5, s26
	v_lshrrev_b32_e32 v36, 16, v4
	v_cmp_gt_i32_e64 s[0:1], s18, v30
	v_cndmask_b32_e64 v36, 0, v36, s[0:1]
	v_cmp_gt_i32_e64 s[0:1], s17, v29
	v_cndmask_b32_e64 v4, 0, v4, s[0:1]
	v_perm_b32 v4, v36, v4, s26
	v_lshrrev_b32_e32 v36, 16, v3
	v_cmp_gt_i32_e64 s[0:1], s16, v28
	v_cndmask_b32_e64 v36, 0, v36, s[0:1]
	v_cmp_gt_i32_e64 s[0:1], s15, v27
	v_cndmask_b32_e64 v3, 0, v3, s[0:1]
	v_perm_b32 v3, v36, v3, s26
	v_lshrrev_b32_e32 v36, 16, v2
	v_cmp_gt_i32_e64 s[0:1], s14, v26
	v_cndmask_b32_e64 v36, 0, v36, s[0:1]
	v_cmp_gt_i32_e64 s[0:1], s25, v1
	v_cndmask_b32_e64 v2, 0, v2, s[0:1]
	v_perm_b32 v2, v36, v2, s26
.LBB120_45:                             ;   in Loop: Header=BB120_43 Depth=1
	s_or_b64 exec, exec, s[10:11]
	v_and_b32_e32 v31, 0xffff, v31
	v_lshl_or_b32 v36, v33, 16, v31
	v_and_b32_e32 v31, 0xffff, v35
	v_lshl_or_b32 v35, v39, 16, v31
	;; [unrolled: 2-line block ×3, first 2 shown]
	v_and_b32_e32 v31, 0xffff, v42
	s_waitcnt vmcnt(0)
	;;#ASMSTART
	v_pk_mul_f16 v2, v36, v2;

	;;#ASMEND
	v_lshl_or_b32 v31, v43, 16, v31
	;;#ASMSTART
	v_pk_mul_f16 v3, v35, v3;

	;;#ASMEND
	;;#ASMSTART
	v_pk_mul_f16 v4, v33, v4;

	;;#ASMEND
	;; [unrolled: 4-line block ×3, first 2 shown]
	;;#ASMSTART
	v_pk_add_f16 v2, v2, v3;

	;;#ASMEND
	;;#ASMSTART
	v_pk_add_f16 v2, v2, v4;

	;;#ASMEND
	;;#ASMSTART
	v_pk_add_f16 v2, v2, v5;

	;;#ASMEND
	v_lshrrev_b32_e32 v3, 16, v2
	v_and_b32_e32 v2, 0xffff, v2
	;;#ASMSTART
	v_cvt_f32_f16 v39, v2;
	;;#ASMEND
	;;#ASMSTART
	v_cvt_f32_f16 v40, v3;
	;;#ASMEND
	global_load_dwordx4 v[2:5], v[16:17], off offset:1024
	s_and_saveexec_b64 s[10:11], vcc
	s_cbranch_execz .LBB120_47
; %bb.46:                               ;   in Loop: Header=BB120_43 Depth=1
	s_waitcnt vmcnt(0)
	v_lshrrev_b32_e32 v41, 16, v5
	v_cmp_gt_i32_e64 s[0:1], s24, v34
	v_cndmask_b32_e64 v41, 0, v41, s[0:1]
	v_cmp_gt_i32_e64 s[0:1], s19, v32
	v_cndmask_b32_e64 v5, 0, v5, s[0:1]
	v_perm_b32 v5, v41, v5, s26
	v_lshrrev_b32_e32 v41, 16, v4
	v_cmp_gt_i32_e64 s[0:1], s18, v30
	v_cndmask_b32_e64 v41, 0, v41, s[0:1]
	v_cmp_gt_i32_e64 s[0:1], s17, v29
	v_cndmask_b32_e64 v4, 0, v4, s[0:1]
	v_perm_b32 v4, v41, v4, s26
	v_lshrrev_b32_e32 v41, 16, v3
	v_cmp_gt_i32_e64 s[0:1], s16, v28
	v_cndmask_b32_e64 v41, 0, v41, s[0:1]
	v_cmp_gt_i32_e64 s[0:1], s15, v27
	v_cndmask_b32_e64 v3, 0, v3, s[0:1]
	v_perm_b32 v3, v41, v3, s26
	v_lshrrev_b32_e32 v41, 16, v2
	v_cmp_gt_i32_e64 s[0:1], s14, v26
	v_cndmask_b32_e64 v41, 0, v41, s[0:1]
	v_cmp_gt_i32_e64 s[0:1], s25, v1
	v_cndmask_b32_e64 v2, 0, v2, s[0:1]
	v_perm_b32 v2, v41, v2, s26
.LBB120_47:                             ;   in Loop: Header=BB120_43 Depth=1
	s_or_b64 exec, exec, s[10:11]
	s_waitcnt vmcnt(0)
	;;#ASMSTART
	v_pk_mul_f16 v2, v36, v2;

	;;#ASMEND
	;;#ASMSTART
	v_pk_mul_f16 v3, v35, v3;

	;;#ASMEND
	;; [unrolled: 4-line block ×4, first 2 shown]
	;;#ASMSTART
	v_pk_add_f16 v2, v2, v3;

	;;#ASMEND
	;;#ASMSTART
	v_pk_add_f16 v2, v2, v4;

	;;#ASMEND
	;; [unrolled: 4-line block ×3, first 2 shown]
	v_lshrrev_b32_e32 v3, 16, v2
	v_and_b32_e32 v2, 0xffff, v2
	;;#ASMSTART
	v_cvt_f32_f16 v41, v2;
	;;#ASMEND
	;;#ASMSTART
	v_cvt_f32_f16 v42, v3;
	;;#ASMEND
	global_load_dwordx4 v[2:5], v[16:17], off offset:2048
	s_and_saveexec_b64 s[10:11], vcc
	s_cbranch_execz .LBB120_49
; %bb.48:                               ;   in Loop: Header=BB120_43 Depth=1
	s_waitcnt vmcnt(0)
	v_lshrrev_b32_e32 v43, 16, v5
	v_cmp_gt_i32_e64 s[0:1], s24, v34
	v_cndmask_b32_e64 v43, 0, v43, s[0:1]
	v_cmp_gt_i32_e64 s[0:1], s19, v32
	v_cndmask_b32_e64 v5, 0, v5, s[0:1]
	v_perm_b32 v5, v43, v5, s26
	v_lshrrev_b32_e32 v43, 16, v4
	v_cmp_gt_i32_e64 s[0:1], s18, v30
	v_cndmask_b32_e64 v43, 0, v43, s[0:1]
	v_cmp_gt_i32_e64 s[0:1], s17, v29
	v_cndmask_b32_e64 v4, 0, v4, s[0:1]
	v_perm_b32 v4, v43, v4, s26
	;; [unrolled: 6-line block ×4, first 2 shown]
.LBB120_49:                             ;   in Loop: Header=BB120_43 Depth=1
	s_or_b64 exec, exec, s[10:11]
	s_waitcnt vmcnt(0)
	;;#ASMSTART
	v_pk_mul_f16 v2, v36, v2;

	;;#ASMEND
	;;#ASMSTART
	v_pk_mul_f16 v3, v35, v3;

	;;#ASMEND
	;; [unrolled: 4-line block ×4, first 2 shown]
	;;#ASMSTART
	v_pk_add_f16 v2, v2, v3;

	;;#ASMEND
	;;#ASMSTART
	v_pk_add_f16 v2, v2, v4;

	;;#ASMEND
	;; [unrolled: 4-line block ×3, first 2 shown]
	v_lshrrev_b32_e32 v3, 16, v2
	v_and_b32_e32 v2, 0xffff, v2
	;;#ASMSTART
	v_cvt_f32_f16 v43, v2;
	;;#ASMEND
	;;#ASMSTART
	v_cvt_f32_f16 v44, v3;
	;;#ASMEND
	global_load_dwordx4 v[2:5], v[16:17], off offset:3072
	s_and_saveexec_b64 s[10:11], vcc
	s_cbranch_execz .LBB120_51
; %bb.50:                               ;   in Loop: Header=BB120_43 Depth=1
	s_waitcnt vmcnt(0)
	v_lshrrev_b32_e32 v16, 16, v5
	v_cmp_gt_i32_e64 s[0:1], s24, v34
	v_cndmask_b32_e64 v16, 0, v16, s[0:1]
	v_cmp_gt_i32_e64 s[0:1], s19, v32
	v_cndmask_b32_e64 v5, 0, v5, s[0:1]
	v_perm_b32 v5, v16, v5, s26
	v_lshrrev_b32_e32 v16, 16, v4
	v_cmp_gt_i32_e64 s[0:1], s18, v30
	v_cndmask_b32_e64 v16, 0, v16, s[0:1]
	v_cmp_gt_i32_e64 s[0:1], s17, v29
	v_cndmask_b32_e64 v4, 0, v4, s[0:1]
	v_perm_b32 v4, v16, v4, s26
	;; [unrolled: 6-line block ×4, first 2 shown]
.LBB120_51:                             ;   in Loop: Header=BB120_43 Depth=1
	s_or_b64 exec, exec, s[10:11]
	s_waitcnt vmcnt(0)
	;;#ASMSTART
	v_pk_mul_f16 v2, v36, v2;

	;;#ASMEND
	;;#ASMSTART
	v_pk_mul_f16 v3, v35, v3;

	;;#ASMEND
	;; [unrolled: 4-line block ×4, first 2 shown]
	;;#ASMSTART
	v_pk_add_f16 v2, v2, v3;

	;;#ASMEND
	;;#ASMSTART
	v_pk_add_f16 v2, v2, v4;

	;;#ASMEND
	;; [unrolled: 4-line block ×3, first 2 shown]
	v_lshrrev_b32_e32 v3, 16, v2
	v_and_b32_e32 v2, 0xffff, v2
	;;#ASMSTART
	v_cvt_f32_f16 v16, v2;
	;;#ASMEND
	v_add_co_u32_e64 v2, s[0:1], v37, v24
	;;#ASMSTART
	v_cvt_f32_f16 v17, v3;
	;;#ASMEND
	v_addc_co_u32_e64 v3, s[0:1], 0, v38, s[0:1]
	global_load_dwordx4 v[2:5], v[2:3], off
	s_and_saveexec_b64 s[10:11], vcc
	s_cbranch_execz .LBB120_53
; %bb.52:                               ;   in Loop: Header=BB120_43 Depth=1
	s_waitcnt vmcnt(0)
	v_lshrrev_b32_e32 v45, 16, v5
	v_cmp_gt_i32_e64 s[0:1], s24, v34
	v_cndmask_b32_e64 v45, 0, v45, s[0:1]
	v_cmp_gt_i32_e64 s[0:1], s19, v32
	v_cndmask_b32_e64 v5, 0, v5, s[0:1]
	v_perm_b32 v5, v45, v5, s26
	v_lshrrev_b32_e32 v45, 16, v4
	v_cmp_gt_i32_e64 s[0:1], s18, v30
	v_cndmask_b32_e64 v45, 0, v45, s[0:1]
	v_cmp_gt_i32_e64 s[0:1], s17, v29
	v_cndmask_b32_e64 v4, 0, v4, s[0:1]
	v_perm_b32 v4, v45, v4, s26
	;; [unrolled: 6-line block ×4, first 2 shown]
.LBB120_53:                             ;   in Loop: Header=BB120_43 Depth=1
	s_or_b64 exec, exec, s[10:11]
	s_waitcnt vmcnt(0)
	;;#ASMSTART
	v_pk_mul_f16 v2, v36, v2;

	;;#ASMEND
	;;#ASMSTART
	v_pk_mul_f16 v3, v35, v3;

	;;#ASMEND
	;; [unrolled: 4-line block ×4, first 2 shown]
	;;#ASMSTART
	v_pk_add_f16 v2, v2, v3;

	;;#ASMEND
	;;#ASMSTART
	v_pk_add_f16 v2, v2, v4;

	;;#ASMEND
	;; [unrolled: 4-line block ×3, first 2 shown]
	v_lshrrev_b32_e32 v3, 16, v2
	v_and_b32_e32 v2, 0xffff, v2
	;;#ASMSTART
	v_cvt_f32_f16 v45, v2;
	;;#ASMEND
	v_add_co_u32_e64 v2, s[0:1], v37, v25
	;;#ASMSTART
	v_cvt_f32_f16 v46, v3;
	;;#ASMEND
	v_addc_co_u32_e64 v3, s[0:1], 0, v38, s[0:1]
	global_load_dwordx4 v[2:5], v[2:3], off
	s_and_saveexec_b64 s[0:1], vcc
	s_cbranch_execz .LBB120_42
; %bb.54:                               ;   in Loop: Header=BB120_43 Depth=1
	s_waitcnt vmcnt(0)
	v_lshrrev_b32_e32 v37, 16, v5
	v_cmp_gt_i32_e32 vcc, s24, v34
	v_cndmask_b32_e32 v34, 0, v37, vcc
	v_cmp_gt_i32_e32 vcc, s19, v32
	v_cndmask_b32_e32 v5, 0, v5, vcc
	v_lshrrev_b32_e32 v32, 16, v4
	v_cmp_gt_i32_e32 vcc, s18, v30
	v_cndmask_b32_e32 v30, 0, v32, vcc
	v_cmp_gt_i32_e32 vcc, s17, v29
	v_cndmask_b32_e32 v4, 0, v4, vcc
	;; [unrolled: 5-line block ×4, first 2 shown]
	v_perm_b32 v5, v34, v5, s26
	v_perm_b32 v4, v30, v4, s26
	;; [unrolled: 1-line block ×4, first 2 shown]
	s_branch .LBB120_42
.LBB120_55:
	s_or_b64 exec, exec, s[6:7]
.LBB120_56:
	s_or_b64 exec, exec, s[4:5]
	ds_bpermute_b32 v2, v19, v8
	ds_bpermute_b32 v3, v19, v9
	;; [unrolled: 1-line block ×6, first 2 shown]
	s_waitcnt lgkmcnt(4)
	v_pk_add_f32 v[2:3], v[8:9], v[2:3]
	ds_bpermute_b32 v8, v20, v2
	s_waitcnt lgkmcnt(3)
	v_pk_add_f32 v[4:5], v[12:13], v[4:5]
	ds_bpermute_b32 v9, v20, v3
	s_waitcnt lgkmcnt(2)
	v_pk_add_f32 v[10:11], v[10:11], v[6:7]
	ds_bpermute_b32 v12, v20, v4
	ds_bpermute_b32 v13, v20, v5
	ds_bpermute_b32 v14, v20, v10
	;; [unrolled: 1-line block ×3, first 2 shown]
	v_and_b32_e32 v1, 0x3c3, v0
	s_waitcnt lgkmcnt(4)
	v_pk_add_f32 v[6:7], v[2:3], v[8:9]
	s_waitcnt lgkmcnt(2)
	v_pk_add_f32 v[4:5], v[4:5], v[12:13]
	v_cmp_eq_u32_e32 vcc, 64, v1
	s_waitcnt lgkmcnt(0)
	v_pk_add_f32 v[2:3], v[10:11], v[14:15]
	s_barrier
	s_and_saveexec_b64 s[0:1], vcc
	s_cbranch_execz .LBB120_58
; %bb.57:
	v_add_u32_e32 v8, 0xd0, v18
	ds_write2_b32 v8, v6, v7 offset1:16
	ds_write2_b32 v8, v4, v5 offset0:32 offset1:48
	ds_write2_b32 v8, v2, v3 offset0:64 offset1:80
.LBB120_58:
	s_or_b64 exec, exec, s[0:1]
	v_cmp_gt_u32_e32 vcc, 64, v0
	s_waitcnt lgkmcnt(0)
	s_barrier
	s_and_saveexec_b64 s[0:1], vcc
	s_cbranch_execz .LBB120_67
; %bb.59:
	v_cmp_eq_u32_e32 vcc, 0, v21
	v_lshrrev_b32_e32 v8, 2, v0
	s_and_saveexec_b64 s[4:5], vcc
	s_cbranch_execnz .LBB120_70
; %bb.60:
	s_or_b64 exec, exec, s[4:5]
	s_and_saveexec_b64 s[4:5], vcc
	s_cbranch_execnz .LBB120_71
.LBB120_61:
	s_or_b64 exec, exec, s[4:5]
	s_and_saveexec_b64 s[4:5], vcc
	s_cbranch_execnz .LBB120_72
.LBB120_62:
	s_or_b64 exec, exec, s[4:5]
	s_and_saveexec_b64 s[4:5], vcc
	s_cbranch_execnz .LBB120_73
.LBB120_63:
	s_or_b64 exec, exec, s[4:5]
	s_and_saveexec_b64 s[4:5], vcc
	s_cbranch_execnz .LBB120_74
.LBB120_64:
	s_or_b64 exec, exec, s[4:5]
	s_and_saveexec_b64 s[4:5], vcc
	s_cbranch_execz .LBB120_66
.LBB120_65:
	v_mov_b32_e32 v9, 0xd0
	v_lshl_add_u32 v8, v8, 2, v9
	ds_read_b32 v8, v8 offset:320
	s_waitcnt lgkmcnt(0)
	v_add_f32_e32 v3, v3, v8
.LBB120_66:
	s_or_b64 exec, exec, s[4:5]
.LBB120_67:
	s_or_b64 exec, exec, s[0:1]
	v_cmp_eq_u32_e32 vcc, 0, v1
	s_barrier
	s_and_saveexec_b64 s[0:1], vcc
	s_cbranch_execz .LBB120_69
; %bb.68:
	s_mul_i32 s0, s2, 0x60
	s_ashr_i32 s1, s0, 31
	s_lshl_b64 s[0:1], s[0:1], 1
	s_add_u32 s2, s22, s0
	s_mul_i32 s0, s12, s20
	s_addc_u32 s3, s23, s1
	s_ashr_i32 s1, s0, 31
	s_lshl_b64 s[0:1], s[0:1], 1
	s_add_u32 s2, s2, s0
	s_mul_i32 s0, s8, 0x60
	s_addc_u32 s3, s3, s1
	s_ashr_i32 s1, s0, 31
	s_lshl_b64 s[0:1], s[0:1], 1
	s_add_u32 s0, s2, s0
	s_addc_u32 s1, s3, s1
	v_lshrrev_b32_e32 v0, 1, v0
	;;#ASMSTART
	v_cvt_f16_f32 v1, v6;

	;;#ASMEND
	global_store_short v0, v1, s[0:1]
	;;#ASMSTART
	v_cvt_f16_f32 v1, v7;

	;;#ASMEND
	global_store_short v0, v1, s[0:1] offset:32
	;;#ASMSTART
	v_cvt_f16_f32 v1, v4;

	;;#ASMEND
	global_store_short v0, v1, s[0:1] offset:64
	;; [unrolled: 5-line block ×5, first 2 shown]
.LBB120_69:
	s_endpgm
.LBB120_70:
	v_mov_b32_e32 v9, 0xd0
	v_lshl_add_u32 v9, v8, 2, v9
	ds_read_b32 v9, v9
	s_waitcnt lgkmcnt(0)
	v_add_f32_e32 v6, v6, v9
	s_or_b64 exec, exec, s[4:5]
	s_and_saveexec_b64 s[4:5], vcc
	s_cbranch_execz .LBB120_61
.LBB120_71:
	v_mov_b32_e32 v9, 0xd0
	v_lshl_add_u32 v9, v8, 2, v9
	ds_read_b32 v9, v9 offset:64
	s_waitcnt lgkmcnt(0)
	v_add_f32_e32 v7, v7, v9
	s_or_b64 exec, exec, s[4:5]
	s_and_saveexec_b64 s[4:5], vcc
	s_cbranch_execz .LBB120_62
.LBB120_72:
	v_mov_b32_e32 v9, 0xd0
	v_lshl_add_u32 v9, v8, 2, v9
	ds_read_b32 v9, v9 offset:128
	s_waitcnt lgkmcnt(0)
	v_add_f32_e32 v4, v4, v9
	s_or_b64 exec, exec, s[4:5]
	s_and_saveexec_b64 s[4:5], vcc
	s_cbranch_execz .LBB120_63
.LBB120_73:
	v_mov_b32_e32 v9, 0xd0
	v_lshl_add_u32 v9, v8, 2, v9
	ds_read_b32 v9, v9 offset:192
	s_waitcnt lgkmcnt(0)
	v_add_f32_e32 v5, v5, v9
	s_or_b64 exec, exec, s[4:5]
	s_and_saveexec_b64 s[4:5], vcc
	s_cbranch_execz .LBB120_64
.LBB120_74:
	v_mov_b32_e32 v9, 0xd0
	v_lshl_add_u32 v9, v8, 2, v9
	ds_read_b32 v9, v9 offset:256
	s_waitcnt lgkmcnt(0)
	v_add_f32_e32 v2, v2, v9
	s_or_b64 exec, exec, s[4:5]
	s_and_saveexec_b64 s[4:5], vcc
	s_cbranch_execnz .LBB120_65
	s_branch .LBB120_66
	.section	.rodata,"a",@progbits
	.p2align	6, 0x0
	.amdhsa_kernel _ZN4vllm25paged_attention_v2_kernelIttLi96ELi32ELi128ELNS_18Fp8KVCacheDataTypeE0ELb0ELi512EEEvPfS2_PT_PKS3_PKT0_S9_ifPKiSB_iPKfiiiSD_SD_iiiii
		.amdhsa_group_segment_fixed_size 208
		.amdhsa_private_segment_fixed_size 0
		.amdhsa_kernarg_size 400
		.amdhsa_user_sgpr_count 6
		.amdhsa_user_sgpr_private_segment_buffer 1
		.amdhsa_user_sgpr_dispatch_ptr 0
		.amdhsa_user_sgpr_queue_ptr 0
		.amdhsa_user_sgpr_kernarg_segment_ptr 1
		.amdhsa_user_sgpr_dispatch_id 0
		.amdhsa_user_sgpr_flat_scratch_init 0
		.amdhsa_user_sgpr_kernarg_preload_length 0
		.amdhsa_user_sgpr_kernarg_preload_offset 0
		.amdhsa_user_sgpr_private_segment_size 0
		.amdhsa_uses_dynamic_stack 0
		.amdhsa_system_sgpr_private_segment_wavefront_offset 0
		.amdhsa_system_sgpr_workgroup_id_x 1
		.amdhsa_system_sgpr_workgroup_id_y 1
		.amdhsa_system_sgpr_workgroup_id_z 1
		.amdhsa_system_sgpr_workgroup_info 0
		.amdhsa_system_vgpr_workitem_id 0
		.amdhsa_next_free_vgpr 71
		.amdhsa_next_free_sgpr 43
		.amdhsa_accum_offset 72
		.amdhsa_reserve_vcc 1
		.amdhsa_reserve_flat_scratch 0
		.amdhsa_float_round_mode_32 0
		.amdhsa_float_round_mode_16_64 0
		.amdhsa_float_denorm_mode_32 3
		.amdhsa_float_denorm_mode_16_64 3
		.amdhsa_dx10_clamp 1
		.amdhsa_ieee_mode 1
		.amdhsa_fp16_overflow 0
		.amdhsa_tg_split 0
		.amdhsa_exception_fp_ieee_invalid_op 0
		.amdhsa_exception_fp_denorm_src 0
		.amdhsa_exception_fp_ieee_div_zero 0
		.amdhsa_exception_fp_ieee_overflow 0
		.amdhsa_exception_fp_ieee_underflow 0
		.amdhsa_exception_fp_ieee_inexact 0
		.amdhsa_exception_int_div_zero 0
	.end_amdhsa_kernel
	.section	.text._ZN4vllm25paged_attention_v2_kernelIttLi96ELi32ELi128ELNS_18Fp8KVCacheDataTypeE0ELb0ELi512EEEvPfS2_PT_PKS3_PKT0_S9_ifPKiSB_iPKfiiiSD_SD_iiiii,"axG",@progbits,_ZN4vllm25paged_attention_v2_kernelIttLi96ELi32ELi128ELNS_18Fp8KVCacheDataTypeE0ELb0ELi512EEEvPfS2_PT_PKS3_PKT0_S9_ifPKiSB_iPKfiiiSD_SD_iiiii,comdat
.Lfunc_end120:
	.size	_ZN4vllm25paged_attention_v2_kernelIttLi96ELi32ELi128ELNS_18Fp8KVCacheDataTypeE0ELb0ELi512EEEvPfS2_PT_PKS3_PKT0_S9_ifPKiSB_iPKfiiiSD_SD_iiiii, .Lfunc_end120-_ZN4vllm25paged_attention_v2_kernelIttLi96ELi32ELi128ELNS_18Fp8KVCacheDataTypeE0ELb0ELi512EEEvPfS2_PT_PKS3_PKT0_S9_ifPKiSB_iPKfiiiSD_SD_iiiii
                                        ; -- End function
	.section	.AMDGPU.csdata,"",@progbits
; Kernel info:
; codeLenInByte = 7424
; NumSgprs: 47
; NumVgprs: 71
; NumAgprs: 0
; TotalNumVgprs: 71
; ScratchSize: 0
; MemoryBound: 0
; FloatMode: 240
; IeeeMode: 1
; LDSByteSize: 208 bytes/workgroup (compile time only)
; SGPRBlocks: 5
; VGPRBlocks: 8
; NumSGPRsForWavesPerEU: 47
; NumVGPRsForWavesPerEU: 71
; AccumOffset: 72
; Occupancy: 7
; WaveLimiterHint : 1
; COMPUTE_PGM_RSRC2:SCRATCH_EN: 0
; COMPUTE_PGM_RSRC2:USER_SGPR: 6
; COMPUTE_PGM_RSRC2:TRAP_HANDLER: 0
; COMPUTE_PGM_RSRC2:TGID_X_EN: 1
; COMPUTE_PGM_RSRC2:TGID_Y_EN: 1
; COMPUTE_PGM_RSRC2:TGID_Z_EN: 1
; COMPUTE_PGM_RSRC2:TIDIG_COMP_CNT: 0
; COMPUTE_PGM_RSRC3_GFX90A:ACCUM_OFFSET: 17
; COMPUTE_PGM_RSRC3_GFX90A:TG_SPLIT: 0
	.section	.text._ZN4vllm25paged_attention_v2_kernelIttLi112ELi32ELi128ELNS_18Fp8KVCacheDataTypeE0ELb0ELi512EEEvPfS2_PT_PKS3_PKT0_S9_ifPKiSB_iPKfiiiSD_SD_iiiii,"axG",@progbits,_ZN4vllm25paged_attention_v2_kernelIttLi112ELi32ELi128ELNS_18Fp8KVCacheDataTypeE0ELb0ELi512EEEvPfS2_PT_PKS3_PKT0_S9_ifPKiSB_iPKfiiiSD_SD_iiiii,comdat
	.protected	_ZN4vllm25paged_attention_v2_kernelIttLi112ELi32ELi128ELNS_18Fp8KVCacheDataTypeE0ELb0ELi512EEEvPfS2_PT_PKS3_PKT0_S9_ifPKiSB_iPKfiiiSD_SD_iiiii ; -- Begin function _ZN4vllm25paged_attention_v2_kernelIttLi112ELi32ELi128ELNS_18Fp8KVCacheDataTypeE0ELb0ELi512EEEvPfS2_PT_PKS3_PKT0_S9_ifPKiSB_iPKfiiiSD_SD_iiiii
	.globl	_ZN4vllm25paged_attention_v2_kernelIttLi112ELi32ELi128ELNS_18Fp8KVCacheDataTypeE0ELb0ELi512EEEvPfS2_PT_PKS3_PKT0_S9_ifPKiSB_iPKfiiiSD_SD_iiiii
	.p2align	8
	.type	_ZN4vllm25paged_attention_v2_kernelIttLi112ELi32ELi128ELNS_18Fp8KVCacheDataTypeE0ELb0ELi512EEEvPfS2_PT_PKS3_PKT0_S9_ifPKiSB_iPKfiiiSD_SD_iiiii,@function
_ZN4vllm25paged_attention_v2_kernelIttLi112ELi32ELi128ELNS_18Fp8KVCacheDataTypeE0ELb0ELi512EEEvPfS2_PT_PKS3_PKT0_S9_ifPKiSB_iPKfiiiSD_SD_iiiii: ; @_ZN4vllm25paged_attention_v2_kernelIttLi112ELi32ELi128ELNS_18Fp8KVCacheDataTypeE0ELb0ELi512EEEvPfS2_PT_PKS3_PKT0_S9_ifPKiSB_iPKfiiiSD_SD_iiiii
; %bb.0:
	s_load_dwordx2 s[0:1], s[4:5], 0x40
	s_mov_b32 s24, s7
	s_ashr_i32 s25, s7, 31
	s_lshl_b64 s[2:3], s[24:25], 2
	s_waitcnt lgkmcnt(0)
	s_add_u32 s0, s0, s2
	s_addc_u32 s1, s1, s3
	s_load_dword s25, s[0:1], 0x0
	s_lshl_b32 s33, s8, 9
	s_waitcnt lgkmcnt(0)
	s_cmp_ge_i32 s33, s25
	s_cbranch_scc1 .LBB121_72
; %bb.1:
	s_load_dword s9, s[4:5], 0x90
	s_load_dwordx2 s[10:11], s[4:5], 0x30
	s_mov_b32 s40, 0
	s_waitcnt lgkmcnt(0)
	s_abs_i32 s2, s9
	s_abs_i32 s0, s10
	v_cvt_f32_u32_e32 v1, s0
	s_sub_i32 s3, 0, s0
	s_xor_b32 s1, s9, s10
	s_ashr_i32 s1, s1, 31
	v_rcp_iflag_f32_e32 v1, v1
	v_mul_f32_e32 v1, 0x4f7ffffe, v1
	v_cvt_u32_f32_e32 v1, v1
	v_readfirstlane_b32 s7, v1
	s_mul_i32 s3, s3, s7
	s_mul_hi_u32 s3, s7, s3
	s_add_i32 s7, s7, s3
	s_mul_hi_u32 s3, s2, s7
	s_mul_i32 s7, s3, s0
	s_sub_i32 s2, s2, s7
	s_add_i32 s10, s3, 1
	s_sub_i32 s7, s2, s0
	s_cmp_ge_u32 s2, s0
	s_cselect_b32 s3, s10, s3
	s_cselect_b32 s2, s7, s2
	s_add_i32 s7, s3, 1
	s_cmp_ge_u32 s2, s0
	s_cselect_b32 s0, s7, s3
	s_xor_b32 s0, s0, s1
	s_sub_i32 s10, s0, s1
	s_abs_i32 s2, s10
	v_cvt_f32_u32_e32 v1, s2
	s_load_dwordx2 s[0:1], s[4:5], 0x50
	s_sub_i32 s7, 0, s2
	s_abs_i32 s3, s6
	v_rcp_iflag_f32_e32 v1, v1
	v_mul_f32_e32 v1, 0x4f7ffffe, v1
	v_cvt_u32_f32_e32 v1, v1
	v_readfirstlane_b32 s12, v1
	s_mul_i32 s7, s7, s12
	s_mul_hi_u32 s7, s12, s7
	s_add_i32 s12, s12, s7
	s_waitcnt lgkmcnt(0)
	s_cmp_eq_u64 s[0:1], 0
	s_mul_hi_u32 s16, s3, s12
	s_cbranch_scc1 .LBB121_3
; %bb.2:
	s_ashr_i32 s7, s6, 31
	s_lshl_b64 s[12:13], s[6:7], 2
	s_add_u32 s0, s0, s12
	s_addc_u32 s1, s1, s13
	s_load_dword s40, s[0:1], 0x0
.LBB121_3:
	s_load_dwordx4 s[12:15], s[4:5], 0x58
	s_ashr_i32 s17, s6, 31
	s_ashr_i32 s18, s10, 31
	v_and_b32_e32 v2, 1, v0
	s_movk_i32 s7, 0x70
	s_mul_i32 s20, s6, 0x70
	v_cmp_gt_u32_e32 vcc, 28, v0
	v_lshlrev_b32_e32 v1, 3, v0
	s_and_saveexec_b64 s[0:1], vcc
	s_cbranch_execz .LBB121_5
; %bb.4:
	s_load_dwordx2 s[22:23], s[4:5], 0x18
	s_waitcnt lgkmcnt(0)
	s_mul_i32 s26, s24, s12
	s_ashr_i32 s27, s26, 31
	s_lshl_b64 s[26:27], s[26:27], 1
	v_lshlrev_b32_e32 v3, 2, v0
	s_add_u32 s10, s22, s26
	s_addc_u32 s12, s23, s27
	s_ashr_i32 s21, s20, 31
	s_lshl_b64 s[22:23], s[20:21], 1
	s_add_u32 s22, s10, s22
	s_addc_u32 s23, s12, s23
	global_load_dwordx2 v[4:5], v1, s[22:23]
	v_and_b32_e32 v3, 0xff8, v3
	v_mad_u32_u24 v3, v2, s7, v3
	s_waitcnt vmcnt(0)
	ds_write_b64 v3, v[4:5]
.LBB121_5:
	s_or_b64 exec, exec, s[0:1]
	s_add_i32 s0, s25, 31
	s_ashr_i32 s1, s0, 31
	s_lshr_b32 s1, s1, 27
	s_add_i32 s0, s0, s1
	s_lshl_b32 s10, s8, 4
	s_mul_i32 s1, s16, s2
	s_ashr_i32 s7, s0, 5
	s_add_i32 s0, s10, 16
	s_sub_i32 s1, s3, s1
	s_min_i32 s21, s0, s7
	s_xor_b32 s0, s17, s18
	s_add_i32 s3, s16, 1
	s_waitcnt lgkmcnt(0)
	s_sub_i32 s12, s1, s2
	s_cmp_ge_u32 s1, s2
	s_cselect_b32 s3, s3, s16
	s_cselect_b32 s1, s12, s1
	s_add_i32 s12, s3, 1
	s_cmp_ge_u32 s1, s2
	s_load_dwordx2 s[26:27], s[4:5], 0x38
	s_load_dword s2, s[4:5], 0x48
	v_lshrrev_b32_e32 v26, 6, v0
	s_cselect_b32 s1, s12, s3
	s_xor_b32 s1, s1, s0
	v_or_b32_e32 v6, s10, v26
	s_waitcnt lgkmcnt(0)
	s_mul_i32 s28, s24, s2
	s_sub_i32 s15, s1, s0
	s_ashr_i32 s29, s28, 31
	v_cmp_gt_i32_e64 s[0:1], s21, v6
	v_cmp_le_i32_e32 vcc, s21, v6
	v_mbcnt_lo_u32_b32 v4, -1, 0
	s_barrier
	s_waitcnt lgkmcnt(0)
                                        ; implicit-def: $sgpr36
                                        ; implicit-def: $vgpr28
                                        ; implicit-def: $vgpr29
	s_and_saveexec_b64 s[2:3], vcc
	s_xor_b64 s[2:3], exec, s[2:3]
; %bb.6:
	v_mbcnt_hi_u32_b32 v28, -1, v4
	v_and_b32_e32 v2, 64, v28
	v_add_u32_e32 v29, 64, v2
	s_mov_b32 s36, 0xff7fffff
                                        ; implicit-def: $vgpr2
                                        ; implicit-def: $vgpr4
; %bb.7:
	s_or_saveexec_b64 s[34:35], s[2:3]
	s_load_dwordx4 s[16:19], s[4:5], 0x0
	s_load_dwordx2 s[22:23], s[4:5], 0x10
	s_load_dwordx2 s[30:31], s[4:5], 0x28
	s_load_dword s12, s[4:5], 0x98
	v_mov_b32_e32 v30, s36
	s_mul_i32 s14, s15, s14
	v_ashrrev_i32_e32 v7, 31, v6
	v_lshlrev_b32_e32 v27, 5, v26
	s_xor_b64 exec, exec, s[34:35]
	s_cbranch_execz .LBB121_13
; %bb.8:
	s_load_dwordx2 s[2:3], s[4:5], 0x20
	s_ashr_i32 s15, s14, 31
	s_lshl_b64 s[4:5], s[14:15], 1
	v_bfe_u32 v3, v0, 1, 5
	v_lshlrev_b32_e32 v5, 4, v3
	s_waitcnt lgkmcnt(0)
	s_add_u32 s2, s2, s4
	s_addc_u32 s3, s3, s5
	v_mov_b32_e32 v8, s3
	v_add_co_u32_e32 v5, vcc, s2, v5
	v_addc_co_u32_e32 v8, vcc, 0, v8, vcc
	v_and_b32_e32 v9, 8, v1
	v_add_co_u32_e32 v31, vcc, v5, v9
	v_addc_co_u32_e32 v32, vcc, 0, v8, vcc
	v_mul_u32_u24_e32 v33, 0x70, v2
	v_cmp_eq_u32_e32 vcc, 0, v2
	s_sub_i32 s15, 1, s25
	v_lshlrev_b32_e32 v2, 2, v3
	s_lshl_b64 s[4:5], s[28:29], 2
	v_lshl_or_b32 v2, v26, 7, v2
	s_add_u32 s4, s26, s4
	v_add3_u32 v34, s33, v27, v3
	v_add_u32_e32 v35, 0xf0, v2
	v_lshlrev_b64 v[2:3], 2, v[6:7]
	s_addc_u32 s5, s27, s5
	v_mbcnt_hi_u32_b32 v28, -1, v4
	v_mov_b32_e32 v5, s5
	v_add_co_u32_e64 v2, s[4:5], s4, v2
	v_and_b32_e32 v4, 64, v28
	s_mov_b32 s41, s13
	v_cmp_neq_f32_e64 s[2:3], s40, 0
	v_addc_co_u32_e64 v3, s[4:5], v5, v3, s[4:5]
	s_mov_b64 s[36:37], 0
	v_mov_b32_e32 v30, 0xff7fffff
	s_movk_i32 s42, 0x1000
	v_xor_b32_e32 v36, 1, v28
	v_add_u32_e32 v29, 64, v4
	v_mov_b32_e32 v37, v6
	s_branch .LBB121_10
.LBB121_9:                              ;   in Loop: Header=BB121_10 Depth=1
	s_or_b64 exec, exec, s[38:39]
	v_add_u32_e32 v37, 2, v37
	v_cmp_le_i32_e64 s[4:5], s21, v37
	s_or_b64 s[36:37], s[4:5], s[36:37]
	v_add_co_u32_e64 v2, s[4:5], 8, v2
	v_add_u32_e32 v34, 64, v34
	v_add_u32_e32 v35, 0x100, v35
	v_addc_co_u32_e64 v3, s[4:5], 0, v3, s[4:5]
	s_andn2_b64 exec, exec, s[36:37]
	s_cbranch_execz .LBB121_12
.LBB121_10:                             ; =>This Inner Loop Header: Depth=1
	global_load_dword v4, v[2:3], off
	s_waitcnt vmcnt(0) lgkmcnt(0)
	v_mad_i64_i32 v[4:5], s[4:5], v4, s41, 0
	v_lshlrev_b64 v[4:5], 1, v[4:5]
	v_add_co_u32_e64 v4, s[4:5], v31, v4
	v_addc_co_u32_e64 v5, s[4:5], v32, v5, s[4:5]
	global_load_dwordx2 v[38:39], v[4:5], off
	global_load_dwordx2 v[40:41], v[4:5], off offset:512
	global_load_dwordx2 v[42:43], v[4:5], off offset:1024
	;; [unrolled: 1-line block ×7, first 2 shown]
	v_add_co_u32_e64 v46, s[4:5], s42, v4
	v_addc_co_u32_e64 v47, s[4:5], 0, v5, s[4:5]
	global_load_dwordx2 v[16:17], v[46:47], off
	ds_read_b64 v[4:5], v33
	v_cmp_lt_i32_e64 s[4:5], v36, v29
	s_waitcnt lgkmcnt(0)
	v_lshrrev_b32_e32 v48, 16, v4
	v_and_b32_e32 v49, 0xffff, v4
	v_lshrrev_b32_e32 v50, 16, v5
	v_and_b32_e32 v51, 0xffff, v5
	global_load_dwordx2 v[14:15], v[46:47], off offset:512
	global_load_dwordx2 v[12:13], v[46:47], off offset:1024
	;; [unrolled: 1-line block ×5, first 2 shown]
	;;#ASMSTART
	v_cvt_f32_f16 v46, v49;
	;;#ASMEND
	;;#ASMSTART
	v_cvt_f32_f16 v47, v48;
	;;#ASMEND
	s_waitcnt vmcnt(13)
	v_lshrrev_b32_e32 v48, 16, v38
	v_and_b32_e32 v38, 0xffff, v38
	v_lshrrev_b32_e32 v49, 16, v39
	v_and_b32_e32 v39, 0xffff, v39
	;;#ASMSTART
	v_cvt_f32_f16 v38, v38;
	;;#ASMEND
	;;#ASMSTART
	v_cvt_f32_f16 v48, v48;
	;;#ASMEND
	;; [unrolled: 3-line block ×3, first 2 shown]
	s_waitcnt vmcnt(6)
	v_lshrrev_b32_e32 v66, 16, v18
	v_and_b32_e32 v67, 0xffff, v18
	v_lshrrev_b32_e32 v68, 16, v19
	v_and_b32_e32 v69, 0xffff, v19
	;;#ASMSTART
	v_cvt_f32_f16 v50, v50;
	;;#ASMEND
	;;#ASMSTART
	v_cvt_f32_f16 v39, v39;
	;;#ASMEND
	;; [unrolled: 3-line block ×3, first 2 shown]
	ds_read_b64 v[18:19], v33 offset:8
	v_lshrrev_b32_e32 v52, 16, v40
	v_and_b32_e32 v40, 0xffff, v40
	v_lshrrev_b32_e32 v53, 16, v41
	v_and_b32_e32 v41, 0xffff, v41
	s_waitcnt vmcnt(5)
	v_lshrrev_b32_e32 v70, 16, v16
	v_and_b32_e32 v71, 0xffff, v16
	v_lshrrev_b32_e32 v72, 16, v17
	v_and_b32_e32 v73, 0xffff, v17
	s_waitcnt lgkmcnt(0)
	v_lshrrev_b32_e32 v16, 16, v18
	v_and_b32_e32 v17, 0xffff, v18
	v_lshrrev_b32_e32 v18, 16, v19
	v_and_b32_e32 v19, 0xffff, v19
	;; [unrolled: 2-line block ×4, first 2 shown]
	;;#ASMSTART
	v_cvt_f32_f16 v17, v17;
	;;#ASMEND
	;;#ASMSTART
	v_cvt_f32_f16 v74, v16;
	;;#ASMEND
	;; [unrolled: 3-line block ×8, first 2 shown]
	ds_read_b64 v[20:21], v33 offset:16
	v_mul_f32_e32 v16, v17, v16
	v_mul_f32_e32 v18, v19, v18
	v_lshrrev_b32_e32 v54, 16, v42
	v_and_b32_e32 v42, 0xffff, v42
	v_lshrrev_b32_e32 v55, 16, v43
	v_and_b32_e32 v43, 0xffff, v43
	v_mul_f32_e32 v17, v74, v40
	v_fmac_f32_e32 v16, v46, v38
	v_fmac_f32_e32 v18, v51, v39
	s_waitcnt lgkmcnt(0)
	v_lshrrev_b32_e32 v38, 16, v20
	v_and_b32_e32 v20, 0xffff, v20
	v_lshrrev_b32_e32 v39, 16, v21
	v_and_b32_e32 v21, 0xffff, v21
	v_mul_f32_e32 v19, v52, v41
	v_fmac_f32_e32 v17, v47, v48
	;;#ASMSTART
	v_cvt_f32_f16 v40, v20;
	;;#ASMEND
	;;#ASMSTART
	v_cvt_f32_f16 v38, v38;
	;;#ASMEND
	;; [unrolled: 3-line block ×8, first 2 shown]
	ds_read_b64 v[20:21], v33 offset:24
	v_fmac_f32_e32 v19, v50, v49
	v_lshrrev_b32_e32 v56, 16, v44
	v_and_b32_e32 v44, 0xffff, v44
	v_lshrrev_b32_e32 v57, 16, v45
	v_and_b32_e32 v45, 0xffff, v45
	v_fmac_f32_e32 v17, v38, v42
	v_fmac_f32_e32 v19, v39, v47
	s_waitcnt lgkmcnt(0)
	v_lshrrev_b32_e32 v38, 16, v20
	v_and_b32_e32 v20, 0xffff, v20
	v_lshrrev_b32_e32 v39, 16, v21
	v_and_b32_e32 v21, 0xffff, v21
	v_fmac_f32_e32 v16, v40, v41
	v_fmac_f32_e32 v18, v46, v43
	;;#ASMSTART
	v_cvt_f32_f16 v40, v20;
	;;#ASMEND
	;;#ASMSTART
	v_cvt_f32_f16 v38, v38;
	;;#ASMEND
	;;#ASMSTART
	v_cvt_f32_f16 v41, v44;
	;;#ASMEND
	;;#ASMSTART
	v_cvt_f32_f16 v42, v56;
	;;#ASMEND
	;;#ASMSTART
	v_cvt_f32_f16 v43, v21;
	;;#ASMEND
	;;#ASMSTART
	v_cvt_f32_f16 v39, v39;
	;;#ASMEND
	;;#ASMSTART
	v_cvt_f32_f16 v44, v45;
	;;#ASMEND
	;;#ASMSTART
	v_cvt_f32_f16 v45, v57;
	;;#ASMEND
	ds_read_b64 v[20:21], v33 offset:32
	v_lshrrev_b32_e32 v58, 16, v24
	v_and_b32_e32 v24, 0xffff, v24
	v_lshrrev_b32_e32 v59, 16, v25
	v_and_b32_e32 v25, 0xffff, v25
	v_fmac_f32_e32 v17, v38, v42
	v_fmac_f32_e32 v19, v39, v45
	s_waitcnt lgkmcnt(0)
	v_lshrrev_b32_e32 v38, 16, v20
	v_and_b32_e32 v20, 0xffff, v20
	v_lshrrev_b32_e32 v39, 16, v21
	v_and_b32_e32 v21, 0xffff, v21
	v_fmac_f32_e32 v16, v40, v41
	v_fmac_f32_e32 v18, v43, v44
	;;#ASMSTART
	v_cvt_f32_f16 v40, v20;
	;;#ASMEND
	;;#ASMSTART
	v_cvt_f32_f16 v38, v38;
	;;#ASMEND
	;;#ASMSTART
	v_cvt_f32_f16 v24, v24;
	;;#ASMEND
	;;#ASMSTART
	v_cvt_f32_f16 v41, v58;
	;;#ASMEND
	;;#ASMSTART
	v_cvt_f32_f16 v42, v21;
	;;#ASMEND
	;;#ASMSTART
	v_cvt_f32_f16 v39, v39;
	;;#ASMEND
	;;#ASMSTART
	v_cvt_f32_f16 v25, v25;
	;;#ASMEND
	;;#ASMSTART
	v_cvt_f32_f16 v43, v59;
	;;#ASMEND
	ds_read_b64 v[20:21], v33 offset:40
	;; [unrolled: 38-line block ×3, first 2 shown]
	v_fmac_f32_e32 v16, v38, v22
	v_fmac_f32_e32 v18, v40, v23
	v_fmac_f32_e32 v17, v24, v39
	v_fmac_f32_e32 v19, v25, v41
	s_waitcnt lgkmcnt(0)
	v_lshrrev_b32_e32 v22, 16, v20
	v_and_b32_e32 v20, 0xffff, v20
	v_lshrrev_b32_e32 v23, 16, v21
	v_and_b32_e32 v21, 0xffff, v21
	;;#ASMSTART
	v_cvt_f32_f16 v24, v20;
	;;#ASMEND
	;;#ASMSTART
	v_cvt_f32_f16 v22, v22;
	;;#ASMEND
	;;#ASMSTART
	v_cvt_f32_f16 v25, v63;
	;;#ASMEND
	;;#ASMSTART
	v_cvt_f32_f16 v38, v62;
	;;#ASMEND
	;;#ASMSTART
	v_cvt_f32_f16 v39, v21;
	;;#ASMEND
	;;#ASMSTART
	v_cvt_f32_f16 v23, v23;
	;;#ASMEND
	;;#ASMSTART
	v_cvt_f32_f16 v40, v65;
	;;#ASMEND
	;;#ASMSTART
	v_cvt_f32_f16 v41, v64;
	;;#ASMEND
	ds_read_b64 v[20:21], v33 offset:56
	v_fmac_f32_e32 v17, v22, v38
	v_fmac_f32_e32 v19, v23, v41
	v_fmac_f32_e32 v16, v24, v25
	v_fmac_f32_e32 v18, v39, v40
	s_waitcnt lgkmcnt(0)
	v_lshrrev_b32_e32 v22, 16, v20
	v_and_b32_e32 v20, 0xffff, v20
	v_lshrrev_b32_e32 v23, 16, v21
	v_and_b32_e32 v21, 0xffff, v21
	;;#ASMSTART
	v_cvt_f32_f16 v24, v20;
	;;#ASMEND
	;;#ASMSTART
	v_cvt_f32_f16 v22, v22;
	;;#ASMEND
	;;#ASMSTART
	v_cvt_f32_f16 v25, v67;
	;;#ASMEND
	;;#ASMSTART
	v_cvt_f32_f16 v38, v66;
	;;#ASMEND
	;;#ASMSTART
	v_cvt_f32_f16 v39, v21;
	;;#ASMEND
	;;#ASMSTART
	v_cvt_f32_f16 v23, v23;
	;;#ASMEND
	;;#ASMSTART
	v_cvt_f32_f16 v40, v69;
	;;#ASMEND
	;;#ASMSTART
	v_cvt_f32_f16 v41, v68;
	;;#ASMEND
	ds_read_b64 v[20:21], v33 offset:64
	;; [unrolled: 34-line block ×3, first 2 shown]
	v_fmac_f32_e32 v17, v22, v38
	v_fmac_f32_e32 v19, v23, v41
	s_waitcnt vmcnt(4)
	v_lshrrev_b32_e32 v23, 16, v14
	v_and_b32_e32 v14, 0xffff, v14
	s_waitcnt lgkmcnt(0)
	v_lshrrev_b32_e32 v22, 16, v20
	v_and_b32_e32 v20, 0xffff, v20
	v_fmac_f32_e32 v16, v24, v25
	;;#ASMSTART
	v_cvt_f32_f16 v20, v20;
	;;#ASMEND
	;;#ASMSTART
	v_cvt_f32_f16 v22, v22;
	;;#ASMEND
	;;#ASMSTART
	v_cvt_f32_f16 v24, v14;
	;;#ASMEND
	v_lshrrev_b32_e32 v14, 16, v21
	v_and_b32_e32 v21, 0xffff, v21
	;;#ASMSTART
	v_cvt_f32_f16 v23, v23;
	;;#ASMEND
	;;#ASMSTART
	v_cvt_f32_f16 v21, v21;
	;;#ASMEND
	;;#ASMSTART
	v_cvt_f32_f16 v25, v14;
	;;#ASMEND
	v_lshrrev_b32_e32 v14, 16, v15
	v_and_b32_e32 v15, 0xffff, v15
	v_fmac_f32_e32 v18, v39, v40
	;;#ASMSTART
	v_cvt_f32_f16 v38, v15;
	;;#ASMEND
	;;#ASMSTART
	v_cvt_f32_f16 v39, v14;
	;;#ASMEND
	ds_read_b64 v[14:15], v33 offset:80
	v_fmac_f32_e32 v16, v20, v24
	v_fmac_f32_e32 v18, v21, v38
	s_waitcnt vmcnt(3)
	v_lshrrev_b32_e32 v21, 16, v12
	v_and_b32_e32 v12, 0xffff, v12
	s_waitcnt lgkmcnt(0)
	v_lshrrev_b32_e32 v20, 16, v14
	v_and_b32_e32 v14, 0xffff, v14
	v_fmac_f32_e32 v17, v22, v23
	;;#ASMSTART
	v_cvt_f32_f16 v14, v14;
	;;#ASMEND
	;;#ASMSTART
	v_cvt_f32_f16 v20, v20;
	;;#ASMEND
	;;#ASMSTART
	v_cvt_f32_f16 v22, v12;
	;;#ASMEND
	v_lshrrev_b32_e32 v12, 16, v15
	v_and_b32_e32 v15, 0xffff, v15
	;;#ASMSTART
	v_cvt_f32_f16 v21, v21;
	;;#ASMEND
	;;#ASMSTART
	v_cvt_f32_f16 v15, v15;
	;;#ASMEND
	;;#ASMSTART
	v_cvt_f32_f16 v23, v12;
	;;#ASMEND
	v_lshrrev_b32_e32 v12, 16, v13
	v_and_b32_e32 v13, 0xffff, v13
	v_fmac_f32_e32 v19, v25, v39
	;;#ASMSTART
	v_cvt_f32_f16 v24, v13;
	;;#ASMEND
	;;#ASMSTART
	v_cvt_f32_f16 v25, v12;
	;;#ASMEND
	ds_read_b64 v[12:13], v33 offset:88
	;; [unrolled: 39-line block ×4, first 2 shown]
	v_fmac_f32_e32 v16, v10, v14
	v_fmac_f32_e32 v18, v11, v20
	s_waitcnt vmcnt(0)
	v_lshrrev_b32_e32 v11, 16, v4
	v_and_b32_e32 v4, 0xffff, v4
	s_waitcnt lgkmcnt(0)
	v_lshrrev_b32_e32 v10, 16, v8
	v_and_b32_e32 v8, 0xffff, v8
	;;#ASMSTART
	v_cvt_f32_f16 v8, v8;
	;;#ASMEND
	;;#ASMSTART
	v_cvt_f32_f16 v10, v10;
	;;#ASMEND
	;; [unrolled: 3-line block ×3, first 2 shown]
	v_fmac_f32_e32 v17, v12, v13
	v_fmac_f32_e32 v16, v8, v4
	v_lshrrev_b32_e32 v4, 16, v9
	v_and_b32_e32 v8, 0xffff, v9
	v_fmac_f32_e32 v19, v15, v21
	;;#ASMSTART
	v_cvt_f32_f16 v11, v11;
	;;#ASMEND
	v_fmac_f32_e32 v17, v10, v11
	;;#ASMSTART
	v_cvt_f32_f16 v8, v8;
	;;#ASMEND
	;;#ASMSTART
	v_cvt_f32_f16 v4, v4;
	;;#ASMEND
	v_lshrrev_b32_e32 v9, 16, v5
	v_and_b32_e32 v5, 0xffff, v5
	;;#ASMSTART
	v_cvt_f32_f16 v5, v5;
	;;#ASMEND
	;;#ASMSTART
	v_cvt_f32_f16 v9, v9;
	;;#ASMEND
	v_fmac_f32_e32 v18, v8, v5
	v_fmac_f32_e32 v19, v4, v9
	v_add_f32_e32 v4, v16, v17
	v_add_f32_e32 v4, v4, v18
	v_cndmask_b32_e64 v5, v28, v36, s[4:5]
	v_add_f32_e32 v4, v19, v4
	v_lshlrev_b32_e32 v5, 2, v5
	ds_bpermute_b32 v5, v5, v4
	s_and_saveexec_b64 s[38:39], vcc
	s_cbranch_execz .LBB121_9
; %bb.11:                               ;   in Loop: Header=BB121_10 Depth=1
	v_add_u32_e32 v8, s15, v34
	v_cvt_f32_i32_e32 v8, v8
	s_waitcnt lgkmcnt(0)
	v_add_f32_e32 v4, v4, v5
	v_cmp_gt_i32_e64 s[4:5], s25, v34
	v_max_f32_e32 v5, v30, v30
	v_mul_f32_e32 v8, s40, v8
	v_cndmask_b32_e64 v8, 0, v8, s[2:3]
	v_fmac_f32_e32 v8, s11, v4
	v_cndmask_b32_e64 v4, 0, v8, s[4:5]
	ds_write_b32 v35, v4
	v_max_f32_e32 v4, v5, v8
	v_cndmask_b32_e64 v30, v30, v4, s[4:5]
	s_branch .LBB121_9
.LBB121_12:
	s_or_b64 exec, exec, s[36:37]
.LBB121_13:
	s_or_b64 exec, exec, s[34:35]
	v_xor_b32_e32 v2, 32, v28
	v_cmp_lt_i32_e32 vcc, v2, v29
	v_cndmask_b32_e32 v2, v28, v2, vcc
	v_lshlrev_b32_e32 v2, 2, v2
	ds_bpermute_b32 v3, v2, v30
	s_waitcnt lgkmcnt(0)
	v_xor_b32_e32 v5, 16, v28
	v_max_f32_e32 v4, v30, v30
	v_cmp_lt_i32_e32 vcc, v5, v29
	v_xor_b32_e32 v8, 8, v28
	v_max_f32_e32 v3, v3, v3
	v_max_f32_e32 v4, v4, v3
	v_cndmask_b32_e32 v3, v28, v5, vcc
	v_lshlrev_b32_e32 v3, 2, v3
	ds_bpermute_b32 v5, v3, v4
	v_cmp_lt_i32_e32 vcc, v8, v29
	v_xor_b32_e32 v9, 4, v28
	v_xor_b32_e32 v10, 2, v28
	v_and_b32_e32 v18, 63, v0
	s_waitcnt lgkmcnt(0)
	v_max_f32_e32 v5, v5, v5
	v_max_f32_e32 v4, v4, v5
	v_cndmask_b32_e32 v5, v28, v8, vcc
	v_lshlrev_b32_e32 v5, 2, v5
	ds_bpermute_b32 v8, v5, v4
	v_cmp_lt_i32_e32 vcc, v9, v29
	s_waitcnt lgkmcnt(0)
	v_max_f32_e32 v8, v8, v8
	v_max_f32_e32 v4, v4, v8
	v_cndmask_b32_e32 v8, v28, v9, vcc
	v_lshlrev_b32_e32 v8, 2, v8
	ds_bpermute_b32 v9, v8, v4
	v_cmp_lt_i32_e32 vcc, v10, v29
	s_waitcnt lgkmcnt(0)
	v_max_f32_e32 v9, v9, v9
	v_max_f32_e32 v4, v4, v9
	v_cndmask_b32_e32 v9, v28, v10, vcc
	v_lshlrev_b32_e32 v19, 2, v9
	ds_bpermute_b32 v10, v19, v4
	v_cmp_eq_u32_e32 vcc, 0, v18
	v_lshlrev_b32_e32 v9, 2, v26
	s_and_saveexec_b64 s[2:3], vcc
	s_cbranch_execz .LBB121_15
; %bb.14:
	s_waitcnt lgkmcnt(0)
	v_max_f32_e32 v10, v10, v10
	v_max_f32_e32 v4, v4, v4
	;; [unrolled: 1-line block ×3, first 2 shown]
	ds_write_b32 v9, v4 offset:224
.LBB121_15:
	s_or_b64 exec, exec, s[2:3]
	v_cmp_gt_u32_e64 s[2:3], 2, v18
	v_mov_b32_e32 v4, 0xff7fffff
	s_waitcnt lgkmcnt(0)
	v_lshlrev_b32_e32 v10, 2, v18
	s_barrier
	s_and_saveexec_b64 s[4:5], s[2:3]
	s_cbranch_execz .LBB121_17
; %bb.16:
	ds_read_b32 v4, v10 offset:224
.LBB121_17:
	s_or_b64 exec, exec, s[4:5]
	v_xor_b32_e32 v11, 1, v28
	v_cmp_lt_i32_e64 s[4:5], v11, v29
	v_cndmask_b32_e64 v11, v28, v11, s[4:5]
	v_lshlrev_b32_e32 v20, 2, v11
	s_waitcnt lgkmcnt(0)
	ds_bpermute_b32 v11, v20, v4
	v_max_f32_e32 v4, v4, v4
	s_sub_i32 s4, s21, s10
	s_lshl_b32 s4, s4, 5
	s_add_i32 s4, s4, s33
	s_waitcnt lgkmcnt(0)
	v_max_f32_e32 v11, v11, v11
	v_max_f32_e32 v4, v4, v11
	v_lshlrev_b32_e32 v11, 2, v28
	v_and_b32_e32 v11, 0xffffff00, v11
	ds_bpermute_b32 v4, v11, v4
	s_min_i32 s38, s4, s25
	s_sub_i32 s15, s38, s33
	v_cmp_gt_i32_e64 s[4:5], s15, v0
	v_mov_b32_e32 v12, 0
	s_and_saveexec_b64 s[34:35], s[4:5]
	s_cbranch_execz .LBB121_21
; %bb.18:
	v_mov_b32_e32 v12, 0xf0
	v_lshl_add_u32 v13, v0, 2, v12
	s_mov_b64 s[36:37], 0
	v_mov_b32_e32 v12, 0
	v_mov_b32_e32 v14, v0
.LBB121_19:                             ; =>This Inner Loop Header: Depth=1
	ds_read_b32 v15, v13
	v_add_u32_e32 v14, 0x80, v14
	v_cmp_le_i32_e64 s[10:11], s15, v14
	s_or_b64 s[36:37], s[10:11], s[36:37]
	s_waitcnt lgkmcnt(0)
	v_sub_f32_e32 v15, v15, v4
	v_mul_f32_e32 v15, 0x3fb8aa3b, v15
	v_exp_f32_e32 v15, v15
	ds_write_b32 v13, v15
	v_add_f32_e32 v12, v12, v15
	v_add_u32_e32 v13, 0x200, v13
	s_andn2_b64 exec, exec, s[36:37]
	s_cbranch_execnz .LBB121_19
; %bb.20:
	s_or_b64 exec, exec, s[36:37]
.LBB121_21:
	s_or_b64 exec, exec, s[34:35]
	ds_bpermute_b32 v2, v2, v12
	s_waitcnt lgkmcnt(0)
	v_add_f32_e32 v2, v12, v2
	ds_bpermute_b32 v3, v3, v2
	s_waitcnt lgkmcnt(0)
	v_add_f32_e32 v2, v2, v3
	;; [unrolled: 3-line block ×6, first 2 shown]
	s_and_saveexec_b64 s[10:11], vcc
	s_cbranch_execz .LBB121_23
; %bb.22:
	ds_write_b32 v9, v2 offset:232
.LBB121_23:
	s_or_b64 exec, exec, s[10:11]
	s_waitcnt lgkmcnt(0)
	s_barrier
	s_and_saveexec_b64 s[10:11], s[2:3]
	s_cbranch_execz .LBB121_25
; %bb.24:
	ds_read_b32 v2, v10 offset:232
.LBB121_25:
	s_or_b64 exec, exec, s[10:11]
	s_waitcnt lgkmcnt(0)
	ds_bpermute_b32 v3, v20, v2
	s_waitcnt lgkmcnt(0)
	v_add_f32_e32 v2, v2, v3
	ds_bpermute_b32 v5, v11, v2
	s_and_saveexec_b64 s[2:3], s[4:5]
	s_cbranch_execz .LBB121_38
; %bb.26:
	s_waitcnt lgkmcnt(0)
	v_add_f32_e32 v2, 0x358637bd, v5
	v_div_scale_f32 v3, s[4:5], v2, v2, 1.0
	v_rcp_f32_e32 v8, v3
	v_div_scale_f32 v9, vcc, 1.0, v2, 1.0
	s_movk_i32 s4, 0x7f
	v_fma_f32 v10, -v3, v8, 1.0
	v_fmac_f32_e32 v8, v10, v8
	v_mul_f32_e32 v10, v9, v8
	v_fma_f32 v11, -v3, v10, v9
	v_fmac_f32_e32 v10, v11, v8
	v_fma_f32 v3, -v3, v10, v9
	v_div_fmas_f32 v3, v3, v8, v10
	v_div_fixup_f32 v2, v3, v2, 1.0
	v_xad_u32 v3, v0, -1, s38
	v_subrev_u32_e32 v8, s33, v3
	v_cmp_lt_u32_e32 vcc, s4, v8
	s_mov_b64 s[10:11], -1
	v_mov_b32_e32 v3, v0
	s_and_saveexec_b64 s[4:5], vcc
	s_cbranch_execz .LBB121_35
; %bb.27:
	v_lshrrev_b32_e32 v8, 7, v8
	v_add_u32_e32 v10, -1, v8
	v_lshrrev_b32_e32 v9, 1, v10
	v_mov_b32_e32 v3, v2
	v_add_u32_e32 v9, 1, v9
	v_cmp_lt_u32_e32 vcc, 13, v10
	v_mov_b32_e32 v12, 0
	s_and_saveexec_b64 s[10:11], vcc
	s_cbranch_execz .LBB121_31
; %bb.28:
	v_mov_b32_e32 v11, 0xf0
	v_and_b32_e32 v10, -8, v9
	v_lshl_add_u32 v11, v0, 2, v11
	s_mov_b32 s36, 0
	s_mov_b64 s[34:35], 0
.LBB121_29:                             ; =>This Inner Loop Header: Depth=1
	ds_read2st64_b32 v[12:13], v11 offset1:2
	ds_read2st64_b32 v[14:15], v11 offset0:4 offset1:6
	ds_read2st64_b32 v[16:17], v11 offset0:8 offset1:10
	;; [unrolled: 1-line block ×3, first 2 shown]
	v_add_u32_e32 v10, -8, v10
	s_waitcnt lgkmcnt(3)
	v_pk_mul_f32 v[12:13], v[2:3], v[12:13]
	s_waitcnt lgkmcnt(2)
	v_pk_mul_f32 v[14:15], v[2:3], v[14:15]
	ds_write2st64_b32 v11, v12, v13 offset1:2
	ds_write2st64_b32 v11, v14, v15 offset0:4 offset1:6
	ds_read2st64_b32 v[14:15], v11 offset0:16 offset1:18
	s_waitcnt lgkmcnt(4)
	v_pk_mul_f32 v[12:13], v[2:3], v[16:17]
	ds_write2st64_b32 v11, v12, v13 offset0:8 offset1:10
	s_waitcnt lgkmcnt(4)
	v_pk_mul_f32 v[12:13], v[2:3], v[22:23]
	ds_write2st64_b32 v11, v12, v13 offset0:12 offset1:14
	ds_read2st64_b32 v[12:13], v11 offset0:20 offset1:22
	s_waitcnt lgkmcnt(3)
	v_pk_mul_f32 v[14:15], v[2:3], v[14:15]
	ds_read2st64_b32 v[16:17], v11 offset0:24 offset1:26
	ds_write2st64_b32 v11, v14, v15 offset0:16 offset1:18
	ds_read2st64_b32 v[14:15], v11 offset0:28 offset1:30
	s_waitcnt lgkmcnt(3)
	v_pk_mul_f32 v[12:13], v[2:3], v[12:13]
	ds_write2st64_b32 v11, v12, v13 offset0:20 offset1:22
	s_waitcnt lgkmcnt(3)
	v_pk_mul_f32 v[12:13], v[2:3], v[16:17]
	ds_write2st64_b32 v11, v12, v13 offset0:24 offset1:26
	s_waitcnt lgkmcnt(2)
	v_pk_mul_f32 v[12:13], v[2:3], v[14:15]
	s_add_i32 s36, s36, 16
	v_cmp_eq_u32_e32 vcc, 0, v10
	ds_write2st64_b32 v11, v12, v13 offset0:28 offset1:30
	v_add_u32_e32 v11, 0x2000, v11
	s_or_b64 s[34:35], vcc, s[34:35]
	v_mov_b32_e32 v12, s36
	s_andn2_b64 exec, exec, s[34:35]
	s_cbranch_execnz .LBB121_29
; %bb.30:
	s_or_b64 exec, exec, s[34:35]
.LBB121_31:
	s_or_b64 exec, exec, s[10:11]
	v_and_b32_e32 v9, 7, v9
	v_cmp_ne_u32_e32 vcc, 0, v9
	s_and_saveexec_b64 s[10:11], vcc
	s_cbranch_execz .LBB121_34
; %bb.32:
	v_lshlrev_b32_e32 v10, 9, v12
	v_lshlrev_b32_e32 v11, 2, v0
	s_movk_i32 s34, 0xf0
	v_add3_u32 v10, v10, v11, s34
	s_mov_b64 s[34:35], 0
.LBB121_33:                             ; =>This Inner Loop Header: Depth=1
	ds_read2st64_b32 v[12:13], v10 offset1:2
	v_add_u32_e32 v9, -1, v9
	v_cmp_eq_u32_e32 vcc, 0, v9
	s_or_b64 s[34:35], vcc, s[34:35]
	s_waitcnt lgkmcnt(0)
	v_pk_mul_f32 v[12:13], v[2:3], v[12:13]
	ds_write2st64_b32 v10, v12, v13 offset1:2
	v_add_u32_e32 v10, 0x400, v10
	s_andn2_b64 exec, exec, s[34:35]
	s_cbranch_execnz .LBB121_33
.LBB121_34:
	s_or_b64 exec, exec, s[10:11]
	v_add_u32_e32 v8, 1, v8
	v_and_b32_e32 v9, 0x3fffffe, v8
	v_cmp_ne_u32_e32 vcc, v8, v9
	v_lshl_add_u32 v3, v9, 7, v0
	s_orn2_b64 s[10:11], vcc, exec
.LBB121_35:
	s_or_b64 exec, exec, s[4:5]
	s_and_b64 exec, exec, s[10:11]
	s_cbranch_execz .LBB121_38
; %bb.36:
	v_mov_b32_e32 v8, 0xf0
	v_lshl_add_u32 v8, v3, 2, v8
	s_mov_b64 s[4:5], 0
.LBB121_37:                             ; =>This Inner Loop Header: Depth=1
	ds_read_b32 v9, v8
	v_add_u32_e32 v3, 0x80, v3
	v_cmp_le_i32_e32 vcc, s15, v3
	s_or_b64 s[4:5], vcc, s[4:5]
	s_waitcnt lgkmcnt(0)
	v_mul_f32_e32 v9, v2, v9
	ds_write_b32 v8, v9
	v_add_u32_e32 v8, 0x200, v8
	s_andn2_b64 exec, exec, s[4:5]
	s_cbranch_execnz .LBB121_37
.LBB121_38:
	s_or_b64 exec, exec, s[2:3]
	s_mul_i32 s2, s12, s24
	v_cmp_eq_u32_e32 vcc, 0, v0
	s_mul_i32 s2, s2, s9
	s_waitcnt lgkmcnt(0)
	s_barrier
	s_and_saveexec_b64 s[4:5], vcc
	s_cbranch_execz .LBB121_40
; %bb.39:
	s_ashr_i32 s3, s2, 31
	s_lshl_b64 s[10:11], s[2:3], 2
	s_add_u32 s3, s18, s10
	s_mul_i32 s18, s12, s6
	s_addc_u32 s9, s19, s11
	s_ashr_i32 s19, s18, 31
	s_lshl_b64 s[18:19], s[18:19], 2
	s_add_u32 s3, s3, s18
	s_addc_u32 s6, s9, s19
	s_ashr_i32 s9, s8, 31
	s_lshl_b64 s[34:35], s[8:9], 2
	s_add_u32 s36, s3, s34
	s_addc_u32 s37, s6, s35
	s_add_u32 s3, s16, s10
	s_addc_u32 s6, s17, s11
	;; [unrolled: 2-line block ×3, first 2 shown]
	s_add_u32 s10, s3, s34
	v_mov_b32_e32 v2, 0
	s_addc_u32 s11, s6, s35
	global_store_dword v2, v4, s[36:37]
	global_store_dword v2, v5, s[10:11]
.LBB121_40:
	s_or_b64 exec, exec, s[4:5]
	v_mov_b32_e32 v22, 0
	v_and_b32_e32 v21, 3, v0
	v_mov_b32_e32 v11, 0
	v_mov_b32_e32 v10, 0
	;; [unrolled: 1-line block ×6, first 2 shown]
	s_and_saveexec_b64 s[4:5], s[0:1]
	s_cbranch_execz .LBB121_58
; %bb.41:
	s_ashr_i32 s15, s14, 31
	s_lshl_b64 s[0:1], s[14:15], 1
	s_add_u32 s9, s30, s0
	v_and_b32_e32 v3, 24, v1
	s_mov_b32 s3, s13
	s_addc_u32 s10, s31, s1
	s_add_i32 s13, s7, -1
	s_lshl_b64 s[0:1], s[28:29], 2
	v_and_b32_e32 v2, 0x1f8, v1
	v_add3_u32 v1, s33, v27, v3
	v_lshlrev_b32_e32 v3, 5, v21
	s_add_u32 s0, s26, s0
	v_lshl_or_b32 v3, v26, 7, v3
	v_lshlrev_b64 v[14:15], 2, v[6:7]
	s_addc_u32 s1, s27, s1
	v_mov_b32_e32 v8, 0
	v_or_b32_e32 v4, 0x800, v2
	v_or_b32_e32 v10, 0xa00, v2
	;; [unrolled: 1-line block ×3, first 2 shown]
	v_add_u32_e32 v23, 0xf0, v3
	v_mov_b32_e32 v3, s1
	v_add_co_u32_e32 v14, vcc, s0, v14
	s_mov_b32 s14, s25
	s_mov_b32 s15, s25
	;; [unrolled: 1-line block ×7, first 2 shown]
	v_addc_co_u32_e32 v15, vcc, v3, v15, vcc
	s_mov_b64 s[6:7], 0
	v_mov_b32_e32 v7, s10
	v_lshlrev_b32_e32 v24, 1, v2
	s_mov_b32 s26, 0x5040100
	v_lshlrev_b32_e32 v25, 1, v4
	v_lshlrev_b32_e32 v26, 1, v10
	;; [unrolled: 1-line block ×3, first 2 shown]
	v_mov_b32_e32 v9, v8
	v_mov_b32_e32 v12, v8
	;; [unrolled: 1-line block ×6, first 2 shown]
	s_branch .LBB121_43
.LBB121_42:                             ;   in Loop: Header=BB121_43 Depth=1
	s_or_b64 exec, exec, s[0:1]
	s_waitcnt vmcnt(0)
	;;#ASMSTART
	v_pk_mul_f16 v2, v36, v2;

	;;#ASMEND
	;;#ASMSTART
	v_pk_mul_f16 v3, v35, v3;

	;;#ASMEND
	;; [unrolled: 4-line block ×4, first 2 shown]
	;;#ASMSTART
	v_pk_add_f16 v2, v2, v3;

	;;#ASMEND
	;;#ASMSTART
	v_pk_add_f16 v2, v2, v4;

	;;#ASMEND
	;; [unrolled: 4-line block ×3, first 2 shown]
	v_add_f32_e32 v28, v41, v42
	v_add_f32_e32 v16, v16, v17
	v_lshrrev_b32_e32 v3, 16, v2
	v_and_b32_e32 v2, 0xffff, v2
	v_add_u32_e32 v6, 2, v6
	v_add_f32_e32 v8, v8, v28
	v_add_f32_e32 v28, v43, v44
	;; [unrolled: 1-line block ×4, first 2 shown]
	;;#ASMSTART
	v_cvt_f32_f16 v2, v2;
	;;#ASMEND
	v_cmp_le_i32_e32 vcc, s21, v6
	v_add_f32_e32 v9, v9, v28
	v_add_f32_e32 v28, v45, v46
	;; [unrolled: 1-line block ×4, first 2 shown]
	;;#ASMSTART
	v_cvt_f32_f16 v3, v3;
	;;#ASMEND
	v_add_f32_e32 v2, v2, v3
	s_or_b64 s[6:7], vcc, s[6:7]
	v_add_co_u32_e32 v14, vcc, 8, v14
	v_add_f32_e32 v12, v12, v28
	v_add_f32_e32 v11, v11, v16
	;; [unrolled: 1-line block ×3, first 2 shown]
	v_add_u32_e32 v1, 64, v1
	v_add_u32_e32 v23, 0x100, v23
	v_addc_co_u32_e32 v15, vcc, 0, v15, vcc
	s_andn2_b64 exec, exec, s[6:7]
	s_cbranch_execz .LBB121_57
.LBB121_43:                             ; =>This Inner Loop Header: Depth=1
	global_load_dword v16, v[14:15], off
	ds_read2_b64 v[2:5], v23 offset1:1
	ds_read2_b64 v[28:31], v23 offset0:2 offset1:3
	v_or_b32_e32 v32, 5, v1
	v_or_b32_e32 v38, 7, v1
	s_waitcnt lgkmcnt(1)
	;;#ASMSTART
	v_cvt_f16_f32 v33, v2;

	;;#ASMEND
	;;#ASMSTART
	v_cvt_f16_f32 v34, v3;

	;;#ASMEND
	;; [unrolled: 4-line block ×4, first 2 shown]
	s_waitcnt lgkmcnt(0)
	;;#ASMSTART
	v_cvt_f16_f32 v42, v28;

	;;#ASMEND
	;;#ASMSTART
	v_cvt_f16_f32 v43, v29;

	;;#ASMEND
	;; [unrolled: 4-line block ×4, first 2 shown]
	v_add_u32_e32 v28, 1, v1
	v_or_b32_e32 v30, 3, v1
	v_or_b32_e32 v29, 2, v1
	;; [unrolled: 1-line block ×4, first 2 shown]
	s_waitcnt vmcnt(0)
	v_mad_i64_i32 v[2:3], s[0:1], v16, s3, 0
	v_lshlrev_b64 v[2:3], 1, v[2:3]
	v_add_co_u32_e32 v39, vcc, s9, v2
	v_addc_co_u32_e32 v40, vcc, v7, v3, vcc
	v_add_co_u32_e32 v16, vcc, v39, v24
	v_addc_co_u32_e32 v17, vcc, 0, v40, vcc
	global_load_dwordx4 v[2:5], v[16:17], off
	v_cmp_eq_u32_e32 vcc, s13, v6
	s_and_saveexec_b64 s[10:11], vcc
	s_cbranch_execz .LBB121_45
; %bb.44:                               ;   in Loop: Header=BB121_43 Depth=1
	s_waitcnt vmcnt(0)
	v_lshrrev_b32_e32 v36, 16, v5
	v_cmp_gt_i32_e64 s[0:1], s24, v38
	v_cndmask_b32_e64 v36, 0, v36, s[0:1]
	v_cmp_gt_i32_e64 s[0:1], s19, v37
	v_cndmask_b32_e64 v5, 0, v5, s[0:1]
	v_perm_b32 v5, v36, v5, s26
	v_lshrrev_b32_e32 v36, 16, v4
	v_cmp_gt_i32_e64 s[0:1], s18, v32
	v_cndmask_b32_e64 v36, 0, v36, s[0:1]
	v_cmp_gt_i32_e64 s[0:1], s17, v31
	v_cndmask_b32_e64 v4, 0, v4, s[0:1]
	v_perm_b32 v4, v36, v4, s26
	;; [unrolled: 6-line block ×4, first 2 shown]
.LBB121_45:                             ;   in Loop: Header=BB121_43 Depth=1
	s_or_b64 exec, exec, s[10:11]
	v_and_b32_e32 v33, 0xffff, v33
	v_lshl_or_b32 v36, v34, 16, v33
	v_and_b32_e32 v33, 0xffff, v35
	v_lshl_or_b32 v35, v41, 16, v33
	;; [unrolled: 2-line block ×3, first 2 shown]
	v_and_b32_e32 v33, 0xffff, v44
	s_waitcnt vmcnt(0)
	;;#ASMSTART
	v_pk_mul_f16 v2, v36, v2;

	;;#ASMEND
	v_lshl_or_b32 v33, v45, 16, v33
	;;#ASMSTART
	v_pk_mul_f16 v3, v35, v3;

	;;#ASMEND
	;;#ASMSTART
	v_pk_mul_f16 v4, v34, v4;

	;;#ASMEND
	;; [unrolled: 4-line block ×3, first 2 shown]
	;;#ASMSTART
	v_pk_add_f16 v2, v2, v3;

	;;#ASMEND
	;;#ASMSTART
	v_pk_add_f16 v2, v2, v4;

	;;#ASMEND
	;; [unrolled: 4-line block ×3, first 2 shown]
	v_lshrrev_b32_e32 v3, 16, v2
	v_and_b32_e32 v2, 0xffff, v2
	;;#ASMSTART
	v_cvt_f32_f16 v41, v2;
	;;#ASMEND
	;;#ASMSTART
	v_cvt_f32_f16 v42, v3;
	;;#ASMEND
	global_load_dwordx4 v[2:5], v[16:17], off offset:1024
	s_and_saveexec_b64 s[10:11], vcc
	s_cbranch_execz .LBB121_47
; %bb.46:                               ;   in Loop: Header=BB121_43 Depth=1
	s_waitcnt vmcnt(0)
	v_lshrrev_b32_e32 v43, 16, v5
	v_cmp_gt_i32_e64 s[0:1], s24, v38
	v_cndmask_b32_e64 v43, 0, v43, s[0:1]
	v_cmp_gt_i32_e64 s[0:1], s19, v37
	v_cndmask_b32_e64 v5, 0, v5, s[0:1]
	v_perm_b32 v5, v43, v5, s26
	v_lshrrev_b32_e32 v43, 16, v4
	v_cmp_gt_i32_e64 s[0:1], s18, v32
	v_cndmask_b32_e64 v43, 0, v43, s[0:1]
	v_cmp_gt_i32_e64 s[0:1], s17, v31
	v_cndmask_b32_e64 v4, 0, v4, s[0:1]
	v_perm_b32 v4, v43, v4, s26
	;; [unrolled: 6-line block ×4, first 2 shown]
.LBB121_47:                             ;   in Loop: Header=BB121_43 Depth=1
	s_or_b64 exec, exec, s[10:11]
	s_waitcnt vmcnt(0)
	;;#ASMSTART
	v_pk_mul_f16 v2, v36, v2;

	;;#ASMEND
	;;#ASMSTART
	v_pk_mul_f16 v3, v35, v3;

	;;#ASMEND
	;; [unrolled: 4-line block ×4, first 2 shown]
	;;#ASMSTART
	v_pk_add_f16 v2, v2, v3;

	;;#ASMEND
	;;#ASMSTART
	v_pk_add_f16 v2, v2, v4;

	;;#ASMEND
	;; [unrolled: 4-line block ×3, first 2 shown]
	v_lshrrev_b32_e32 v3, 16, v2
	v_and_b32_e32 v2, 0xffff, v2
	;;#ASMSTART
	v_cvt_f32_f16 v43, v2;
	;;#ASMEND
	;;#ASMSTART
	v_cvt_f32_f16 v44, v3;
	;;#ASMEND
	global_load_dwordx4 v[2:5], v[16:17], off offset:2048
	s_and_saveexec_b64 s[10:11], vcc
	s_cbranch_execz .LBB121_49
; %bb.48:                               ;   in Loop: Header=BB121_43 Depth=1
	s_waitcnt vmcnt(0)
	v_lshrrev_b32_e32 v45, 16, v5
	v_cmp_gt_i32_e64 s[0:1], s24, v38
	v_cndmask_b32_e64 v45, 0, v45, s[0:1]
	v_cmp_gt_i32_e64 s[0:1], s19, v37
	v_cndmask_b32_e64 v5, 0, v5, s[0:1]
	v_perm_b32 v5, v45, v5, s26
	v_lshrrev_b32_e32 v45, 16, v4
	v_cmp_gt_i32_e64 s[0:1], s18, v32
	v_cndmask_b32_e64 v45, 0, v45, s[0:1]
	v_cmp_gt_i32_e64 s[0:1], s17, v31
	v_cndmask_b32_e64 v4, 0, v4, s[0:1]
	v_perm_b32 v4, v45, v4, s26
	;; [unrolled: 6-line block ×4, first 2 shown]
.LBB121_49:                             ;   in Loop: Header=BB121_43 Depth=1
	s_or_b64 exec, exec, s[10:11]
	s_waitcnt vmcnt(0)
	;;#ASMSTART
	v_pk_mul_f16 v2, v36, v2;

	;;#ASMEND
	;;#ASMSTART
	v_pk_mul_f16 v3, v35, v3;

	;;#ASMEND
	;; [unrolled: 4-line block ×4, first 2 shown]
	;;#ASMSTART
	v_pk_add_f16 v2, v2, v3;

	;;#ASMEND
	;;#ASMSTART
	v_pk_add_f16 v2, v2, v4;

	;;#ASMEND
	;; [unrolled: 4-line block ×3, first 2 shown]
	v_lshrrev_b32_e32 v3, 16, v2
	v_and_b32_e32 v2, 0xffff, v2
	;;#ASMSTART
	v_cvt_f32_f16 v45, v2;
	;;#ASMEND
	;;#ASMSTART
	v_cvt_f32_f16 v46, v3;
	;;#ASMEND
	global_load_dwordx4 v[2:5], v[16:17], off offset:3072
	s_and_saveexec_b64 s[10:11], vcc
	s_cbranch_execz .LBB121_51
; %bb.50:                               ;   in Loop: Header=BB121_43 Depth=1
	s_waitcnt vmcnt(0)
	v_lshrrev_b32_e32 v16, 16, v5
	v_cmp_gt_i32_e64 s[0:1], s24, v38
	v_cndmask_b32_e64 v16, 0, v16, s[0:1]
	v_cmp_gt_i32_e64 s[0:1], s19, v37
	v_cndmask_b32_e64 v5, 0, v5, s[0:1]
	v_perm_b32 v5, v16, v5, s26
	v_lshrrev_b32_e32 v16, 16, v4
	v_cmp_gt_i32_e64 s[0:1], s18, v32
	v_cndmask_b32_e64 v16, 0, v16, s[0:1]
	v_cmp_gt_i32_e64 s[0:1], s17, v31
	v_cndmask_b32_e64 v4, 0, v4, s[0:1]
	v_perm_b32 v4, v16, v4, s26
	;; [unrolled: 6-line block ×4, first 2 shown]
.LBB121_51:                             ;   in Loop: Header=BB121_43 Depth=1
	s_or_b64 exec, exec, s[10:11]
	s_waitcnt vmcnt(0)
	;;#ASMSTART
	v_pk_mul_f16 v2, v36, v2;

	;;#ASMEND
	;;#ASMSTART
	v_pk_mul_f16 v3, v35, v3;

	;;#ASMEND
	;; [unrolled: 4-line block ×4, first 2 shown]
	;;#ASMSTART
	v_pk_add_f16 v2, v2, v3;

	;;#ASMEND
	;;#ASMSTART
	v_pk_add_f16 v2, v2, v4;

	;;#ASMEND
	;;#ASMSTART
	v_pk_add_f16 v2, v2, v5;

	;;#ASMEND
	v_lshrrev_b32_e32 v3, 16, v2
	v_and_b32_e32 v2, 0xffff, v2
	;;#ASMSTART
	v_cvt_f32_f16 v16, v2;
	;;#ASMEND
	v_add_co_u32_e64 v2, s[0:1], v39, v25
	;;#ASMSTART
	v_cvt_f32_f16 v17, v3;
	;;#ASMEND
	v_addc_co_u32_e64 v3, s[0:1], 0, v40, s[0:1]
	global_load_dwordx4 v[2:5], v[2:3], off
	s_and_saveexec_b64 s[10:11], vcc
	s_cbranch_execz .LBB121_53
; %bb.52:                               ;   in Loop: Header=BB121_43 Depth=1
	s_waitcnt vmcnt(0)
	v_lshrrev_b32_e32 v47, 16, v5
	v_cmp_gt_i32_e64 s[0:1], s24, v38
	v_cndmask_b32_e64 v47, 0, v47, s[0:1]
	v_cmp_gt_i32_e64 s[0:1], s19, v37
	v_cndmask_b32_e64 v5, 0, v5, s[0:1]
	v_perm_b32 v5, v47, v5, s26
	v_lshrrev_b32_e32 v47, 16, v4
	v_cmp_gt_i32_e64 s[0:1], s18, v32
	v_cndmask_b32_e64 v47, 0, v47, s[0:1]
	v_cmp_gt_i32_e64 s[0:1], s17, v31
	v_cndmask_b32_e64 v4, 0, v4, s[0:1]
	v_perm_b32 v4, v47, v4, s26
	;; [unrolled: 6-line block ×4, first 2 shown]
.LBB121_53:                             ;   in Loop: Header=BB121_43 Depth=1
	s_or_b64 exec, exec, s[10:11]
	s_waitcnt vmcnt(0)
	;;#ASMSTART
	v_pk_mul_f16 v2, v36, v2;

	;;#ASMEND
	;;#ASMSTART
	v_pk_mul_f16 v3, v35, v3;

	;;#ASMEND
	;; [unrolled: 4-line block ×4, first 2 shown]
	;;#ASMSTART
	v_pk_add_f16 v2, v2, v3;

	;;#ASMEND
	;;#ASMSTART
	v_pk_add_f16 v2, v2, v4;

	;;#ASMEND
	;; [unrolled: 4-line block ×3, first 2 shown]
	v_lshrrev_b32_e32 v3, 16, v2
	v_and_b32_e32 v2, 0xffff, v2
	;;#ASMSTART
	v_cvt_f32_f16 v47, v2;
	;;#ASMEND
	v_add_co_u32_e64 v2, s[0:1], v39, v26
	;;#ASMSTART
	v_cvt_f32_f16 v48, v3;
	;;#ASMEND
	v_addc_co_u32_e64 v3, s[0:1], 0, v40, s[0:1]
	global_load_dwordx4 v[2:5], v[2:3], off
	s_and_saveexec_b64 s[10:11], vcc
	s_cbranch_execz .LBB121_55
; %bb.54:                               ;   in Loop: Header=BB121_43 Depth=1
	s_waitcnt vmcnt(0)
	v_lshrrev_b32_e32 v49, 16, v5
	v_cmp_gt_i32_e64 s[0:1], s24, v38
	v_cndmask_b32_e64 v49, 0, v49, s[0:1]
	v_cmp_gt_i32_e64 s[0:1], s19, v37
	v_cndmask_b32_e64 v5, 0, v5, s[0:1]
	v_perm_b32 v5, v49, v5, s26
	v_lshrrev_b32_e32 v49, 16, v4
	v_cmp_gt_i32_e64 s[0:1], s18, v32
	v_cndmask_b32_e64 v49, 0, v49, s[0:1]
	v_cmp_gt_i32_e64 s[0:1], s17, v31
	v_cndmask_b32_e64 v4, 0, v4, s[0:1]
	v_perm_b32 v4, v49, v4, s26
	;; [unrolled: 6-line block ×4, first 2 shown]
.LBB121_55:                             ;   in Loop: Header=BB121_43 Depth=1
	s_or_b64 exec, exec, s[10:11]
	s_waitcnt vmcnt(0)
	;;#ASMSTART
	v_pk_mul_f16 v2, v36, v2;

	;;#ASMEND
	;;#ASMSTART
	v_pk_mul_f16 v3, v35, v3;

	;;#ASMEND
	;; [unrolled: 4-line block ×4, first 2 shown]
	;;#ASMSTART
	v_pk_add_f16 v2, v2, v3;

	;;#ASMEND
	;;#ASMSTART
	v_pk_add_f16 v2, v2, v4;

	;;#ASMEND
	;; [unrolled: 4-line block ×3, first 2 shown]
	v_lshrrev_b32_e32 v3, 16, v2
	v_and_b32_e32 v2, 0xffff, v2
	;;#ASMSTART
	v_cvt_f32_f16 v49, v2;
	;;#ASMEND
	v_add_co_u32_e64 v2, s[0:1], v39, v27
	;;#ASMSTART
	v_cvt_f32_f16 v50, v3;
	;;#ASMEND
	v_addc_co_u32_e64 v3, s[0:1], 0, v40, s[0:1]
	global_load_dwordx4 v[2:5], v[2:3], off
	s_and_saveexec_b64 s[0:1], vcc
	s_cbranch_execz .LBB121_42
; %bb.56:                               ;   in Loop: Header=BB121_43 Depth=1
	s_waitcnt vmcnt(0)
	v_lshrrev_b32_e32 v39, 16, v5
	v_cmp_gt_i32_e32 vcc, s24, v38
	v_cndmask_b32_e32 v38, 0, v39, vcc
	v_cmp_gt_i32_e32 vcc, s19, v37
	v_cndmask_b32_e32 v5, 0, v5, vcc
	v_lshrrev_b32_e32 v37, 16, v4
	v_cmp_gt_i32_e32 vcc, s18, v32
	v_cndmask_b32_e32 v32, 0, v37, vcc
	v_cmp_gt_i32_e32 vcc, s17, v31
	v_cndmask_b32_e32 v4, 0, v4, vcc
	;; [unrolled: 5-line block ×4, first 2 shown]
	v_perm_b32 v5, v38, v5, s26
	v_perm_b32 v4, v32, v4, s26
	;; [unrolled: 1-line block ×4, first 2 shown]
	s_branch .LBB121_42
.LBB121_57:
	s_or_b64 exec, exec, s[6:7]
.LBB121_58:
	s_or_b64 exec, exec, s[4:5]
	ds_bpermute_b32 v2, v19, v8
	ds_bpermute_b32 v3, v19, v9
	ds_bpermute_b32 v1, v19, v22
	ds_bpermute_b32 v4, v19, v12
	ds_bpermute_b32 v5, v19, v13
	s_waitcnt lgkmcnt(0)
	v_pk_add_f32 v[2:3], v[8:9], v[2:3]
	ds_bpermute_b32 v8, v19, v10
	ds_bpermute_b32 v9, v19, v11
	v_add_f32_e32 v1, v22, v1
	ds_bpermute_b32 v6, v20, v2
	ds_bpermute_b32 v7, v20, v3
	v_pk_add_f32 v[4:5], v[12:13], v[4:5]
	s_waitcnt lgkmcnt(2)
	v_pk_add_f32 v[10:11], v[10:11], v[8:9]
	ds_bpermute_b32 v16, v20, v1
	ds_bpermute_b32 v12, v20, v4
	;; [unrolled: 1-line block ×5, first 2 shown]
	s_waitcnt lgkmcnt(5)
	v_pk_add_f32 v[8:9], v[2:3], v[6:7]
	s_waitcnt lgkmcnt(4)
	v_add_f32_e32 v6, v1, v16
	v_and_b32_e32 v1, 0x3c3, v0
	s_waitcnt lgkmcnt(2)
	v_pk_add_f32 v[4:5], v[4:5], v[12:13]
	s_waitcnt lgkmcnt(0)
	v_pk_add_f32 v[2:3], v[10:11], v[14:15]
	v_cmp_eq_u32_e32 vcc, 64, v1
	s_barrier
	s_and_saveexec_b64 s[0:1], vcc
	s_cbranch_execz .LBB121_60
; %bb.59:
	v_add_u32_e32 v7, 0xf0, v18
	ds_write2_b32 v7, v8, v9 offset1:16
	ds_write2_b32 v7, v4, v5 offset0:32 offset1:48
	ds_write2_b32 v7, v2, v3 offset0:64 offset1:80
	ds_write_b32 v7, v6 offset:384
.LBB121_60:
	s_or_b64 exec, exec, s[0:1]
	v_cmp_gt_u32_e32 vcc, 64, v0
	s_waitcnt lgkmcnt(0)
	s_barrier
	s_and_saveexec_b64 s[0:1], vcc
	s_cbranch_execz .LBB121_70
; %bb.61:
	v_cmp_eq_u32_e32 vcc, 0, v21
	v_lshrrev_b32_e32 v7, 2, v0
	s_and_saveexec_b64 s[4:5], vcc
	s_cbranch_execnz .LBB121_73
; %bb.62:
	s_or_b64 exec, exec, s[4:5]
	s_and_saveexec_b64 s[4:5], vcc
	s_cbranch_execnz .LBB121_74
.LBB121_63:
	s_or_b64 exec, exec, s[4:5]
	s_and_saveexec_b64 s[4:5], vcc
	s_cbranch_execnz .LBB121_75
.LBB121_64:
	s_or_b64 exec, exec, s[4:5]
	s_and_saveexec_b64 s[4:5], vcc
	s_cbranch_execnz .LBB121_76
.LBB121_65:
	s_or_b64 exec, exec, s[4:5]
	s_and_saveexec_b64 s[4:5], vcc
	s_cbranch_execnz .LBB121_77
.LBB121_66:
	s_or_b64 exec, exec, s[4:5]
	s_and_saveexec_b64 s[4:5], vcc
	s_cbranch_execnz .LBB121_78
.LBB121_67:
	s_or_b64 exec, exec, s[4:5]
	s_and_saveexec_b64 s[4:5], vcc
	s_cbranch_execz .LBB121_69
.LBB121_68:
	v_mov_b32_e32 v10, 0xf0
	v_lshl_add_u32 v7, v7, 2, v10
	ds_read_b32 v7, v7 offset:384
	s_waitcnt lgkmcnt(0)
	v_add_f32_e32 v6, v6, v7
.LBB121_69:
	s_or_b64 exec, exec, s[4:5]
.LBB121_70:
	s_or_b64 exec, exec, s[0:1]
	v_cmp_eq_u32_e32 vcc, 0, v1
	s_barrier
	s_and_saveexec_b64 s[0:1], vcc
	s_cbranch_execz .LBB121_72
; %bb.71:
	s_mul_i32 s0, s2, 0x70
	s_ashr_i32 s1, s0, 31
	s_lshl_b64 s[0:1], s[0:1], 1
	s_add_u32 s2, s22, s0
	s_mul_i32 s0, s12, s20
	s_addc_u32 s3, s23, s1
	s_ashr_i32 s1, s0, 31
	s_lshl_b64 s[0:1], s[0:1], 1
	s_add_u32 s2, s2, s0
	s_mul_i32 s0, s8, 0x70
	s_addc_u32 s3, s3, s1
	s_ashr_i32 s1, s0, 31
	s_lshl_b64 s[0:1], s[0:1], 1
	s_add_u32 s0, s2, s0
	s_addc_u32 s1, s3, s1
	v_lshrrev_b32_e32 v0, 1, v0
	;;#ASMSTART
	v_cvt_f16_f32 v1, v8;

	;;#ASMEND
	global_store_short v0, v1, s[0:1]
	;;#ASMSTART
	v_cvt_f16_f32 v1, v9;

	;;#ASMEND
	global_store_short v0, v1, s[0:1] offset:32
	;;#ASMSTART
	v_cvt_f16_f32 v1, v4;

	;;#ASMEND
	global_store_short v0, v1, s[0:1] offset:64
	;; [unrolled: 5-line block ×6, first 2 shown]
.LBB121_72:
	s_endpgm
.LBB121_73:
	v_mov_b32_e32 v10, 0xf0
	v_lshl_add_u32 v10, v7, 2, v10
	ds_read_b32 v10, v10
	s_waitcnt lgkmcnt(0)
	v_add_f32_e32 v8, v8, v10
	s_or_b64 exec, exec, s[4:5]
	s_and_saveexec_b64 s[4:5], vcc
	s_cbranch_execz .LBB121_63
.LBB121_74:
	v_mov_b32_e32 v10, 0xf0
	v_lshl_add_u32 v10, v7, 2, v10
	ds_read_b32 v10, v10 offset:64
	s_waitcnt lgkmcnt(0)
	v_add_f32_e32 v9, v9, v10
	s_or_b64 exec, exec, s[4:5]
	s_and_saveexec_b64 s[4:5], vcc
	s_cbranch_execz .LBB121_64
.LBB121_75:
	v_mov_b32_e32 v10, 0xf0
	v_lshl_add_u32 v10, v7, 2, v10
	ds_read_b32 v10, v10 offset:128
	s_waitcnt lgkmcnt(0)
	v_add_f32_e32 v4, v4, v10
	s_or_b64 exec, exec, s[4:5]
	s_and_saveexec_b64 s[4:5], vcc
	s_cbranch_execz .LBB121_65
.LBB121_76:
	v_mov_b32_e32 v10, 0xf0
	v_lshl_add_u32 v10, v7, 2, v10
	ds_read_b32 v10, v10 offset:192
	s_waitcnt lgkmcnt(0)
	v_add_f32_e32 v5, v5, v10
	s_or_b64 exec, exec, s[4:5]
	s_and_saveexec_b64 s[4:5], vcc
	s_cbranch_execz .LBB121_66
.LBB121_77:
	v_mov_b32_e32 v10, 0xf0
	v_lshl_add_u32 v10, v7, 2, v10
	ds_read_b32 v10, v10 offset:256
	s_waitcnt lgkmcnt(0)
	v_add_f32_e32 v2, v2, v10
	s_or_b64 exec, exec, s[4:5]
	s_and_saveexec_b64 s[4:5], vcc
	s_cbranch_execz .LBB121_67
.LBB121_78:
	v_mov_b32_e32 v10, 0xf0
	v_lshl_add_u32 v10, v7, 2, v10
	ds_read_b32 v10, v10 offset:320
	s_waitcnt lgkmcnt(0)
	v_add_f32_e32 v3, v3, v10
	s_or_b64 exec, exec, s[4:5]
	s_and_saveexec_b64 s[4:5], vcc
	s_cbranch_execnz .LBB121_68
	s_branch .LBB121_69
	.section	.rodata,"a",@progbits
	.p2align	6, 0x0
	.amdhsa_kernel _ZN4vllm25paged_attention_v2_kernelIttLi112ELi32ELi128ELNS_18Fp8KVCacheDataTypeE0ELb0ELi512EEEvPfS2_PT_PKS3_PKT0_S9_ifPKiSB_iPKfiiiSD_SD_iiiii
		.amdhsa_group_segment_fixed_size 240
		.amdhsa_private_segment_fixed_size 0
		.amdhsa_kernarg_size 400
		.amdhsa_user_sgpr_count 6
		.amdhsa_user_sgpr_private_segment_buffer 1
		.amdhsa_user_sgpr_dispatch_ptr 0
		.amdhsa_user_sgpr_queue_ptr 0
		.amdhsa_user_sgpr_kernarg_segment_ptr 1
		.amdhsa_user_sgpr_dispatch_id 0
		.amdhsa_user_sgpr_flat_scratch_init 0
		.amdhsa_user_sgpr_kernarg_preload_length 0
		.amdhsa_user_sgpr_kernarg_preload_offset 0
		.amdhsa_user_sgpr_private_segment_size 0
		.amdhsa_uses_dynamic_stack 0
		.amdhsa_system_sgpr_private_segment_wavefront_offset 0
		.amdhsa_system_sgpr_workgroup_id_x 1
		.amdhsa_system_sgpr_workgroup_id_y 1
		.amdhsa_system_sgpr_workgroup_id_z 1
		.amdhsa_system_sgpr_workgroup_info 0
		.amdhsa_system_vgpr_workitem_id 0
		.amdhsa_next_free_vgpr 75
		.amdhsa_next_free_sgpr 43
		.amdhsa_accum_offset 76
		.amdhsa_reserve_vcc 1
		.amdhsa_reserve_flat_scratch 0
		.amdhsa_float_round_mode_32 0
		.amdhsa_float_round_mode_16_64 0
		.amdhsa_float_denorm_mode_32 3
		.amdhsa_float_denorm_mode_16_64 3
		.amdhsa_dx10_clamp 1
		.amdhsa_ieee_mode 1
		.amdhsa_fp16_overflow 0
		.amdhsa_tg_split 0
		.amdhsa_exception_fp_ieee_invalid_op 0
		.amdhsa_exception_fp_denorm_src 0
		.amdhsa_exception_fp_ieee_div_zero 0
		.amdhsa_exception_fp_ieee_overflow 0
		.amdhsa_exception_fp_ieee_underflow 0
		.amdhsa_exception_fp_ieee_inexact 0
		.amdhsa_exception_int_div_zero 0
	.end_amdhsa_kernel
	.section	.text._ZN4vllm25paged_attention_v2_kernelIttLi112ELi32ELi128ELNS_18Fp8KVCacheDataTypeE0ELb0ELi512EEEvPfS2_PT_PKS3_PKT0_S9_ifPKiSB_iPKfiiiSD_SD_iiiii,"axG",@progbits,_ZN4vllm25paged_attention_v2_kernelIttLi112ELi32ELi128ELNS_18Fp8KVCacheDataTypeE0ELb0ELi512EEEvPfS2_PT_PKS3_PKT0_S9_ifPKiSB_iPKfiiiSD_SD_iiiii,comdat
.Lfunc_end121:
	.size	_ZN4vllm25paged_attention_v2_kernelIttLi112ELi32ELi128ELNS_18Fp8KVCacheDataTypeE0ELb0ELi512EEEvPfS2_PT_PKS3_PKT0_S9_ifPKiSB_iPKfiiiSD_SD_iiiii, .Lfunc_end121-_ZN4vllm25paged_attention_v2_kernelIttLi112ELi32ELi128ELNS_18Fp8KVCacheDataTypeE0ELb0ELi512EEEvPfS2_PT_PKS3_PKT0_S9_ifPKiSB_iPKfiiiSD_SD_iiiii
                                        ; -- End function
	.section	.AMDGPU.csdata,"",@progbits
; Kernel info:
; codeLenInByte = 8164
; NumSgprs: 47
; NumVgprs: 75
; NumAgprs: 0
; TotalNumVgprs: 75
; ScratchSize: 0
; MemoryBound: 0
; FloatMode: 240
; IeeeMode: 1
; LDSByteSize: 240 bytes/workgroup (compile time only)
; SGPRBlocks: 5
; VGPRBlocks: 9
; NumSGPRsForWavesPerEU: 47
; NumVGPRsForWavesPerEU: 75
; AccumOffset: 76
; Occupancy: 6
; WaveLimiterHint : 1
; COMPUTE_PGM_RSRC2:SCRATCH_EN: 0
; COMPUTE_PGM_RSRC2:USER_SGPR: 6
; COMPUTE_PGM_RSRC2:TRAP_HANDLER: 0
; COMPUTE_PGM_RSRC2:TGID_X_EN: 1
; COMPUTE_PGM_RSRC2:TGID_Y_EN: 1
; COMPUTE_PGM_RSRC2:TGID_Z_EN: 1
; COMPUTE_PGM_RSRC2:TIDIG_COMP_CNT: 0
; COMPUTE_PGM_RSRC3_GFX90A:ACCUM_OFFSET: 18
; COMPUTE_PGM_RSRC3_GFX90A:TG_SPLIT: 0
	.section	.text._ZN4vllm25paged_attention_v2_kernelIttLi120ELi32ELi128ELNS_18Fp8KVCacheDataTypeE0ELb0ELi512EEEvPfS2_PT_PKS3_PKT0_S9_ifPKiSB_iPKfiiiSD_SD_iiiii,"axG",@progbits,_ZN4vllm25paged_attention_v2_kernelIttLi120ELi32ELi128ELNS_18Fp8KVCacheDataTypeE0ELb0ELi512EEEvPfS2_PT_PKS3_PKT0_S9_ifPKiSB_iPKfiiiSD_SD_iiiii,comdat
	.protected	_ZN4vllm25paged_attention_v2_kernelIttLi120ELi32ELi128ELNS_18Fp8KVCacheDataTypeE0ELb0ELi512EEEvPfS2_PT_PKS3_PKT0_S9_ifPKiSB_iPKfiiiSD_SD_iiiii ; -- Begin function _ZN4vllm25paged_attention_v2_kernelIttLi120ELi32ELi128ELNS_18Fp8KVCacheDataTypeE0ELb0ELi512EEEvPfS2_PT_PKS3_PKT0_S9_ifPKiSB_iPKfiiiSD_SD_iiiii
	.globl	_ZN4vllm25paged_attention_v2_kernelIttLi120ELi32ELi128ELNS_18Fp8KVCacheDataTypeE0ELb0ELi512EEEvPfS2_PT_PKS3_PKT0_S9_ifPKiSB_iPKfiiiSD_SD_iiiii
	.p2align	8
	.type	_ZN4vllm25paged_attention_v2_kernelIttLi120ELi32ELi128ELNS_18Fp8KVCacheDataTypeE0ELb0ELi512EEEvPfS2_PT_PKS3_PKT0_S9_ifPKiSB_iPKfiiiSD_SD_iiiii,@function
_ZN4vllm25paged_attention_v2_kernelIttLi120ELi32ELi128ELNS_18Fp8KVCacheDataTypeE0ELb0ELi512EEEvPfS2_PT_PKS3_PKT0_S9_ifPKiSB_iPKfiiiSD_SD_iiiii: ; @_ZN4vllm25paged_attention_v2_kernelIttLi120ELi32ELi128ELNS_18Fp8KVCacheDataTypeE0ELb0ELi512EEEvPfS2_PT_PKS3_PKT0_S9_ifPKiSB_iPKfiiiSD_SD_iiiii
; %bb.0:
	s_load_dwordx2 s[0:1], s[4:5], 0x40
	s_mov_b32 s24, s7
	s_ashr_i32 s25, s7, 31
	s_lshl_b64 s[2:3], s[24:25], 2
	s_waitcnt lgkmcnt(0)
	s_add_u32 s0, s0, s2
	s_addc_u32 s1, s1, s3
	s_load_dword s25, s[0:1], 0x0
	s_lshl_b32 s40, s8, 9
	s_waitcnt lgkmcnt(0)
	s_cmp_ge_i32 s40, s25
	s_cbranch_scc1 .LBB122_84
; %bb.1:
	s_load_dword s9, s[4:5], 0x90
	s_load_dwordx2 s[10:11], s[4:5], 0x30
	s_waitcnt lgkmcnt(0)
	s_abs_i32 s2, s9
	s_abs_i32 s0, s10
	v_cvt_f32_u32_e32 v1, s0
	s_sub_i32 s3, 0, s0
	s_xor_b32 s1, s9, s10
	s_ashr_i32 s1, s1, 31
	v_rcp_iflag_f32_e32 v1, v1
	v_mul_f32_e32 v1, 0x4f7ffffe, v1
	v_cvt_u32_f32_e32 v1, v1
	v_readfirstlane_b32 s7, v1
	s_mul_i32 s3, s3, s7
	s_mul_hi_u32 s3, s7, s3
	s_add_i32 s7, s7, s3
	s_mul_hi_u32 s3, s2, s7
	s_mul_i32 s7, s3, s0
	s_sub_i32 s2, s2, s7
	s_add_i32 s10, s3, 1
	s_sub_i32 s7, s2, s0
	s_cmp_ge_u32 s2, s0
	s_cselect_b32 s3, s10, s3
	s_cselect_b32 s2, s7, s2
	s_add_i32 s7, s3, 1
	s_cmp_ge_u32 s2, s0
	s_cselect_b32 s0, s7, s3
	s_xor_b32 s0, s0, s1
	s_sub_i32 s12, s0, s1
	s_abs_i32 s2, s12
	v_cvt_f32_u32_e32 v1, s2
	s_load_dwordx2 s[0:1], s[4:5], 0x50
	s_sub_i32 s7, 0, s2
	s_abs_i32 s3, s6
	v_rcp_iflag_f32_e32 v1, v1
	s_mov_b32 s10, 0
	v_mul_f32_e32 v1, 0x4f7ffffe, v1
	v_cvt_u32_f32_e32 v1, v1
	v_readfirstlane_b32 s13, v1
	s_mul_i32 s7, s7, s13
	s_mul_hi_u32 s7, s13, s7
	s_add_i32 s13, s13, s7
	s_waitcnt lgkmcnt(0)
	s_cmp_eq_u64 s[0:1], 0
	s_mul_hi_u32 s16, s3, s13
	s_cbranch_scc1 .LBB122_3
; %bb.2:
	s_ashr_i32 s7, s6, 31
	s_lshl_b64 s[14:15], s[6:7], 2
	s_add_u32 s0, s0, s14
	s_addc_u32 s1, s1, s15
	s_load_dword s10, s[0:1], 0x0
.LBB122_3:
	s_ashr_i32 s18, s12, 31
	s_load_dwordx4 s[12:15], s[4:5], 0x58
	s_ashr_i32 s17, s6, 31
	v_and_b32_e32 v2, 1, v0
	s_movk_i32 s7, 0x78
	s_mul_i32 s20, s6, 0x78
	v_cmp_gt_u32_e32 vcc, 30, v0
	v_lshlrev_b32_e32 v1, 3, v0
	s_and_saveexec_b64 s[0:1], vcc
	s_cbranch_execz .LBB122_5
; %bb.4:
	s_load_dwordx2 s[22:23], s[4:5], 0x18
	s_waitcnt lgkmcnt(0)
	s_mul_i32 s26, s24, s12
	s_ashr_i32 s27, s26, 31
	s_lshl_b64 s[26:27], s[26:27], 1
	v_lshlrev_b32_e32 v3, 2, v0
	s_add_u32 s12, s22, s26
	s_addc_u32 s15, s23, s27
	s_ashr_i32 s21, s20, 31
	s_lshl_b64 s[22:23], s[20:21], 1
	s_add_u32 s22, s12, s22
	s_addc_u32 s23, s15, s23
	global_load_dwordx2 v[4:5], v1, s[22:23]
	v_and_b32_e32 v3, 0xff8, v3
	v_mad_u32_u24 v3, v2, s7, v3
	s_waitcnt vmcnt(0)
	ds_write_b64 v3, v[4:5]
.LBB122_5:
	s_or_b64 exec, exec, s[0:1]
	s_add_i32 s0, s25, 31
	s_ashr_i32 s1, s0, 31
	s_lshr_b32 s1, s1, 27
	s_add_i32 s0, s0, s1
	s_lshl_b32 s7, s8, 4
	s_mul_i32 s1, s16, s2
	s_waitcnt lgkmcnt(0)
	s_ashr_i32 s12, s0, 5
	s_add_i32 s0, s7, 16
	s_sub_i32 s1, s3, s1
	s_min_i32 s33, s0, s12
	s_xor_b32 s0, s17, s18
	s_add_i32 s3, s16, 1
	s_sub_i32 s15, s1, s2
	s_cmp_ge_u32 s1, s2
	s_cselect_b32 s3, s3, s16
	s_cselect_b32 s1, s15, s1
	s_add_i32 s15, s3, 1
	s_cmp_ge_u32 s1, s2
	s_load_dwordx2 s[26:27], s[4:5], 0x38
	s_load_dword s2, s[4:5], 0x48
	v_lshrrev_b32_e32 v38, 6, v0
	s_cselect_b32 s1, s15, s3
	s_xor_b32 s1, s1, s0
	v_or_b32_e32 v6, s7, v38
	s_waitcnt lgkmcnt(0)
	s_mul_i32 s28, s24, s2
	s_sub_i32 s15, s1, s0
	s_ashr_i32 s29, s28, 31
	v_cmp_gt_i32_e64 s[0:1], s33, v6
	v_cmp_le_i32_e32 vcc, s33, v6
	v_mbcnt_lo_u32_b32 v4, -1, 0
	s_barrier
	s_waitcnt lgkmcnt(0)
                                        ; implicit-def: $sgpr36
                                        ; implicit-def: $vgpr40
                                        ; implicit-def: $vgpr41
	s_and_saveexec_b64 s[2:3], vcc
	s_xor_b64 s[2:3], exec, s[2:3]
; %bb.6:
	v_mbcnt_hi_u32_b32 v40, -1, v4
	v_and_b32_e32 v2, 64, v40
	v_add_u32_e32 v41, 64, v2
	s_mov_b32 s36, 0xff7fffff
                                        ; implicit-def: $vgpr2
                                        ; implicit-def: $vgpr4
; %bb.7:
	s_or_saveexec_b64 s[34:35], s[2:3]
	s_load_dwordx4 s[16:19], s[4:5], 0x0
	s_load_dwordx2 s[22:23], s[4:5], 0x10
	s_load_dwordx2 s[30:31], s[4:5], 0x28
	s_load_dword s21, s[4:5], 0x98
	v_mov_b32_e32 v42, s36
	s_mul_i32 s14, s15, s14
	v_ashrrev_i32_e32 v7, 31, v6
	v_lshlrev_b32_e32 v39, 5, v38
	s_xor_b64 exec, exec, s[34:35]
	s_cbranch_execz .LBB122_13
; %bb.8:
	s_load_dwordx2 s[2:3], s[4:5], 0x20
	s_ashr_i32 s15, s14, 31
	s_lshl_b64 s[4:5], s[14:15], 1
	v_bfe_u32 v3, v0, 1, 5
	v_lshlrev_b32_e32 v5, 4, v3
	s_waitcnt lgkmcnt(0)
	s_add_u32 s2, s2, s4
	s_addc_u32 s3, s3, s5
	v_mov_b32_e32 v8, s3
	v_add_co_u32_e32 v5, vcc, s2, v5
	v_addc_co_u32_e32 v8, vcc, 0, v8, vcc
	v_and_b32_e32 v9, 8, v1
	v_add_co_u32_e32 v43, vcc, v5, v9
	v_addc_co_u32_e32 v44, vcc, 0, v8, vcc
	v_mul_u32_u24_e32 v45, 0x78, v2
	v_cmp_eq_u32_e32 vcc, 0, v2
	s_sub_i32 s15, 1, s25
	v_lshlrev_b32_e32 v2, 2, v3
	s_lshl_b64 s[4:5], s[28:29], 2
	v_lshl_or_b32 v2, v38, 7, v2
	s_add_u32 s4, s26, s4
	v_add3_u32 v46, s40, v39, v3
	v_add_u32_e32 v47, 0x100, v2
	v_lshlrev_b64 v[2:3], 2, v[6:7]
	s_addc_u32 s5, s27, s5
	v_mbcnt_hi_u32_b32 v40, -1, v4
	v_mov_b32_e32 v5, s5
	v_add_co_u32_e64 v2, s[4:5], s4, v2
	v_and_b32_e32 v4, 64, v40
	s_mov_b32 s41, s13
	v_cmp_neq_f32_e64 s[2:3], s10, 0
	v_addc_co_u32_e64 v3, s[4:5], v5, v3, s[4:5]
	s_mov_b64 s[36:37], 0
	v_mov_b32_e32 v42, 0xff7fffff
	s_movk_i32 s42, 0x1000
	v_xor_b32_e32 v48, 1, v40
	v_add_u32_e32 v41, 64, v4
	v_mov_b32_e32 v49, v6
	s_branch .LBB122_10
.LBB122_9:                              ;   in Loop: Header=BB122_10 Depth=1
	s_or_b64 exec, exec, s[38:39]
	v_add_u32_e32 v49, 2, v49
	v_cmp_le_i32_e64 s[4:5], s33, v49
	s_or_b64 s[36:37], s[4:5], s[36:37]
	v_add_co_u32_e64 v2, s[4:5], 8, v2
	v_add_u32_e32 v46, 64, v46
	v_add_u32_e32 v47, 0x100, v47
	v_addc_co_u32_e64 v3, s[4:5], 0, v3, s[4:5]
	s_andn2_b64 exec, exec, s[36:37]
	s_cbranch_execz .LBB122_12
.LBB122_10:                             ; =>This Inner Loop Header: Depth=1
	global_load_dword v4, v[2:3], off
	s_waitcnt vmcnt(0) lgkmcnt(0)
	v_mad_i64_i32 v[4:5], s[4:5], v4, s41, 0
	v_lshlrev_b64 v[4:5], 1, v[4:5]
	v_add_co_u32_e64 v4, s[4:5], v43, v4
	v_addc_co_u32_e64 v5, s[4:5], v44, v5, s[4:5]
	global_load_dwordx2 v[34:35], v[4:5], off
	global_load_dwordx2 v[32:33], v[4:5], off offset:512
	global_load_dwordx2 v[30:31], v[4:5], off offset:1024
	;; [unrolled: 1-line block ×7, first 2 shown]
	v_add_co_u32_e64 v36, s[4:5], s42, v4
	v_addc_co_u32_e64 v37, s[4:5], 0, v5, s[4:5]
	global_load_dwordx2 v[18:19], v[36:37], off
	ds_read_b64 v[4:5], v45
	v_cmp_lt_i32_e64 s[4:5], v48, v41
	s_waitcnt lgkmcnt(0)
	v_lshrrev_b32_e32 v50, 16, v4
	v_and_b32_e32 v51, 0xffff, v4
	v_lshrrev_b32_e32 v52, 16, v5
	v_and_b32_e32 v53, 0xffff, v5
	global_load_dwordx2 v[10:11], v[36:37], off offset:512
	global_load_dwordx2 v[8:9], v[36:37], off offset:1024
	;; [unrolled: 1-line block ×6, first 2 shown]
	;;#ASMSTART
	v_cvt_f32_f16 v36, v51;
	;;#ASMEND
	;;#ASMSTART
	v_cvt_f32_f16 v37, v50;
	;;#ASMEND
	s_waitcnt vmcnt(14)
	v_lshrrev_b32_e32 v50, 16, v34
	v_and_b32_e32 v34, 0xffff, v34
	v_lshrrev_b32_e32 v51, 16, v35
	v_and_b32_e32 v35, 0xffff, v35
	;;#ASMSTART
	v_cvt_f32_f16 v34, v34;
	;;#ASMEND
	;;#ASMSTART
	v_cvt_f32_f16 v50, v50;
	;;#ASMEND
	;; [unrolled: 3-line block ×3, first 2 shown]
	s_waitcnt vmcnt(7)
	v_lshrrev_b32_e32 v68, 16, v20
	v_and_b32_e32 v69, 0xffff, v20
	v_lshrrev_b32_e32 v70, 16, v21
	v_and_b32_e32 v71, 0xffff, v21
	;;#ASMSTART
	v_cvt_f32_f16 v52, v52;
	;;#ASMEND
	;;#ASMSTART
	v_cvt_f32_f16 v35, v35;
	;;#ASMEND
	;; [unrolled: 3-line block ×3, first 2 shown]
	ds_read_b64 v[20:21], v45 offset:8
	v_lshrrev_b32_e32 v54, 16, v32
	v_and_b32_e32 v32, 0xffff, v32
	v_lshrrev_b32_e32 v55, 16, v33
	v_and_b32_e32 v33, 0xffff, v33
	s_waitcnt vmcnt(6)
	v_lshrrev_b32_e32 v72, 16, v18
	v_and_b32_e32 v73, 0xffff, v18
	v_lshrrev_b32_e32 v74, 16, v19
	v_and_b32_e32 v75, 0xffff, v19
	s_waitcnt lgkmcnt(0)
	v_lshrrev_b32_e32 v18, 16, v20
	v_and_b32_e32 v19, 0xffff, v20
	v_lshrrev_b32_e32 v20, 16, v21
	v_and_b32_e32 v21, 0xffff, v21
	;; [unrolled: 2-line block ×4, first 2 shown]
	;;#ASMSTART
	v_cvt_f32_f16 v19, v19;
	;;#ASMEND
	;;#ASMSTART
	v_cvt_f32_f16 v76, v18;
	;;#ASMEND
	;; [unrolled: 3-line block ×8, first 2 shown]
	ds_read_b64 v[22:23], v45 offset:16
	v_lshrrev_b32_e32 v56, 16, v30
	v_and_b32_e32 v30, 0xffff, v30
	v_lshrrev_b32_e32 v57, 16, v31
	v_and_b32_e32 v31, 0xffff, v31
	v_mul_f32_e32 v18, v19, v18
	v_mul_f32_e32 v19, v76, v32
	;; [unrolled: 1-line block ×4, first 2 shown]
	s_waitcnt lgkmcnt(0)
	v_lshrrev_b32_e32 v32, 16, v22
	v_and_b32_e32 v22, 0xffff, v22
	v_lshrrev_b32_e32 v33, 16, v23
	v_and_b32_e32 v23, 0xffff, v23
	v_fmac_f32_e32 v18, v36, v34
	v_fmac_f32_e32 v19, v37, v50
	;; [unrolled: 1-line block ×3, first 2 shown]
	;;#ASMSTART
	v_cvt_f32_f16 v34, v22;
	;;#ASMEND
	;;#ASMSTART
	v_cvt_f32_f16 v32, v32;
	;;#ASMEND
	;; [unrolled: 3-line block ×8, first 2 shown]
	ds_read_b64 v[22:23], v45 offset:24
	v_lshrrev_b32_e32 v58, 16, v28
	v_and_b32_e32 v28, 0xffff, v28
	v_lshrrev_b32_e32 v59, 16, v29
	v_and_b32_e32 v29, 0xffff, v29
	v_fmac_f32_e32 v21, v52, v51
	v_fmac_f32_e32 v18, v34, v30
	;; [unrolled: 1-line block ×3, first 2 shown]
	s_waitcnt lgkmcnt(0)
	v_lshrrev_b32_e32 v30, 16, v22
	v_and_b32_e32 v22, 0xffff, v22
	v_lshrrev_b32_e32 v31, 16, v23
	v_and_b32_e32 v23, 0xffff, v23
	v_fmac_f32_e32 v19, v32, v35
	v_fmac_f32_e32 v21, v33, v37
	;;#ASMSTART
	v_cvt_f32_f16 v32, v22;
	;;#ASMEND
	;;#ASMSTART
	v_cvt_f32_f16 v30, v30;
	;;#ASMEND
	;; [unrolled: 3-line block ×8, first 2 shown]
	ds_read_b64 v[22:23], v45 offset:32
	v_lshrrev_b32_e32 v60, 16, v26
	v_and_b32_e32 v26, 0xffff, v26
	v_lshrrev_b32_e32 v61, 16, v27
	v_and_b32_e32 v27, 0xffff, v27
	v_fmac_f32_e32 v18, v32, v28
	v_fmac_f32_e32 v20, v34, v29
	s_waitcnt lgkmcnt(0)
	v_lshrrev_b32_e32 v28, 16, v22
	v_and_b32_e32 v22, 0xffff, v22
	v_lshrrev_b32_e32 v29, 16, v23
	v_and_b32_e32 v23, 0xffff, v23
	v_fmac_f32_e32 v19, v30, v33
	v_fmac_f32_e32 v21, v31, v35
	;;#ASMSTART
	v_cvt_f32_f16 v30, v22;
	;;#ASMEND
	;;#ASMSTART
	v_cvt_f32_f16 v28, v28;
	;;#ASMEND
	;; [unrolled: 3-line block ×8, first 2 shown]
	ds_read_b64 v[22:23], v45 offset:40
	v_lshrrev_b32_e32 v62, 16, v24
	v_and_b32_e32 v24, 0xffff, v24
	v_lshrrev_b32_e32 v63, 16, v25
	v_and_b32_e32 v25, 0xffff, v25
	v_fmac_f32_e32 v18, v30, v26
	v_fmac_f32_e32 v20, v32, v27
	s_waitcnt lgkmcnt(0)
	v_lshrrev_b32_e32 v26, 16, v22
	v_and_b32_e32 v22, 0xffff, v22
	v_lshrrev_b32_e32 v27, 16, v23
	v_and_b32_e32 v23, 0xffff, v23
	v_fmac_f32_e32 v19, v28, v31
	v_fmac_f32_e32 v21, v29, v33
	;;#ASMSTART
	v_cvt_f32_f16 v28, v22;
	;;#ASMEND
	;;#ASMSTART
	v_cvt_f32_f16 v26, v26;
	;;#ASMEND
	;;#ASMSTART
	v_cvt_f32_f16 v24, v24;
	;;#ASMEND
	;;#ASMSTART
	v_cvt_f32_f16 v29, v62;
	;;#ASMEND
	;;#ASMSTART
	v_cvt_f32_f16 v30, v23;
	;;#ASMEND
	;;#ASMSTART
	v_cvt_f32_f16 v27, v27;
	;;#ASMEND
	;;#ASMSTART
	v_cvt_f32_f16 v25, v25;
	;;#ASMEND
	;;#ASMSTART
	v_cvt_f32_f16 v31, v63;
	;;#ASMEND
	ds_read_b64 v[22:23], v45 offset:48
	v_fmac_f32_e32 v18, v28, v24
	v_fmac_f32_e32 v20, v30, v25
	v_fmac_f32_e32 v19, v26, v29
	v_fmac_f32_e32 v21, v27, v31
	s_waitcnt lgkmcnt(0)
	v_lshrrev_b32_e32 v24, 16, v22
	v_and_b32_e32 v22, 0xffff, v22
	v_lshrrev_b32_e32 v25, 16, v23
	v_and_b32_e32 v23, 0xffff, v23
	;;#ASMSTART
	v_cvt_f32_f16 v26, v22;
	;;#ASMEND
	;;#ASMSTART
	v_cvt_f32_f16 v24, v24;
	;;#ASMEND
	;;#ASMSTART
	v_cvt_f32_f16 v27, v65;
	;;#ASMEND
	;;#ASMSTART
	v_cvt_f32_f16 v28, v64;
	;;#ASMEND
	;;#ASMSTART
	v_cvt_f32_f16 v29, v23;
	;;#ASMEND
	;;#ASMSTART
	v_cvt_f32_f16 v25, v25;
	;;#ASMEND
	;;#ASMSTART
	v_cvt_f32_f16 v30, v67;
	;;#ASMEND
	;;#ASMSTART
	v_cvt_f32_f16 v31, v66;
	;;#ASMEND
	ds_read_b64 v[22:23], v45 offset:56
	v_fmac_f32_e32 v19, v24, v28
	v_fmac_f32_e32 v21, v25, v31
	v_fmac_f32_e32 v18, v26, v27
	v_fmac_f32_e32 v20, v29, v30
	s_waitcnt lgkmcnt(0)
	v_lshrrev_b32_e32 v24, 16, v22
	v_and_b32_e32 v22, 0xffff, v22
	v_lshrrev_b32_e32 v25, 16, v23
	v_and_b32_e32 v23, 0xffff, v23
	;; [unrolled: 34-line block ×3, first 2 shown]
	;;#ASMSTART
	v_cvt_f32_f16 v26, v22;
	;;#ASMEND
	;;#ASMSTART
	v_cvt_f32_f16 v24, v24;
	;;#ASMEND
	;; [unrolled: 3-line block ×8, first 2 shown]
	ds_read_b64 v[22:23], v45 offset:72
	v_fmac_f32_e32 v19, v24, v28
	v_fmac_f32_e32 v21, v25, v31
	s_waitcnt vmcnt(5)
	v_lshrrev_b32_e32 v25, 16, v10
	v_and_b32_e32 v10, 0xffff, v10
	s_waitcnt lgkmcnt(0)
	v_lshrrev_b32_e32 v24, 16, v22
	v_and_b32_e32 v22, 0xffff, v22
	v_fmac_f32_e32 v18, v26, v27
	;;#ASMSTART
	v_cvt_f32_f16 v22, v22;
	;;#ASMEND
	;;#ASMSTART
	v_cvt_f32_f16 v24, v24;
	;;#ASMEND
	;;#ASMSTART
	v_cvt_f32_f16 v26, v10;
	;;#ASMEND
	v_lshrrev_b32_e32 v10, 16, v23
	v_and_b32_e32 v23, 0xffff, v23
	;;#ASMSTART
	v_cvt_f32_f16 v25, v25;
	;;#ASMEND
	;;#ASMSTART
	v_cvt_f32_f16 v23, v23;
	;;#ASMEND
	;;#ASMSTART
	v_cvt_f32_f16 v27, v10;
	;;#ASMEND
	v_lshrrev_b32_e32 v10, 16, v11
	v_and_b32_e32 v11, 0xffff, v11
	v_fmac_f32_e32 v20, v29, v30
	;;#ASMSTART
	v_cvt_f32_f16 v28, v11;
	;;#ASMEND
	;;#ASMSTART
	v_cvt_f32_f16 v29, v10;
	;;#ASMEND
	ds_read_b64 v[10:11], v45 offset:80
	v_fmac_f32_e32 v18, v22, v26
	v_fmac_f32_e32 v20, v23, v28
	s_waitcnt vmcnt(4)
	v_lshrrev_b32_e32 v23, 16, v8
	v_and_b32_e32 v8, 0xffff, v8
	s_waitcnt lgkmcnt(0)
	v_lshrrev_b32_e32 v22, 16, v10
	v_and_b32_e32 v10, 0xffff, v10
	v_fmac_f32_e32 v19, v24, v25
	;;#ASMSTART
	v_cvt_f32_f16 v10, v10;
	;;#ASMEND
	;;#ASMSTART
	v_cvt_f32_f16 v22, v22;
	;;#ASMEND
	;;#ASMSTART
	v_cvt_f32_f16 v24, v8;
	;;#ASMEND
	v_lshrrev_b32_e32 v8, 16, v11
	v_and_b32_e32 v11, 0xffff, v11
	;;#ASMSTART
	v_cvt_f32_f16 v23, v23;
	;;#ASMEND
	;;#ASMSTART
	v_cvt_f32_f16 v11, v11;
	;;#ASMEND
	;;#ASMSTART
	v_cvt_f32_f16 v25, v8;
	;;#ASMEND
	v_lshrrev_b32_e32 v8, 16, v9
	v_and_b32_e32 v9, 0xffff, v9
	v_fmac_f32_e32 v21, v27, v29
	;;#ASMSTART
	v_cvt_f32_f16 v26, v9;
	;;#ASMEND
	;;#ASMSTART
	v_cvt_f32_f16 v27, v8;
	;;#ASMEND
	;; [unrolled: 39-line block ×3, first 2 shown]
	ds_read_b64 v[4:5], v45 offset:96
	v_fmac_f32_e32 v18, v8, v22
	v_fmac_f32_e32 v19, v10, v11
	;; [unrolled: 1-line block ×3, first 2 shown]
	s_waitcnt vmcnt(2)
	v_and_b32_e32 v10, 0xffff, v16
	s_waitcnt lgkmcnt(0)
	v_lshrrev_b32_e32 v8, 16, v4
	v_and_b32_e32 v4, 0xffff, v4
	;;#ASMSTART
	v_cvt_f32_f16 v9, v4;
	;;#ASMEND
	v_lshrrev_b32_e32 v4, 16, v16
	;;#ASMSTART
	v_cvt_f32_f16 v8, v8;
	;;#ASMEND
	;;#ASMSTART
	v_cvt_f32_f16 v10, v10;
	;;#ASMEND
	;; [unrolled: 3-line block ×3, first 2 shown]
	v_lshrrev_b32_e32 v4, 16, v5
	v_and_b32_e32 v5, 0xffff, v5
	;;#ASMSTART
	v_cvt_f32_f16 v16, v5;
	;;#ASMEND
	;;#ASMSTART
	v_cvt_f32_f16 v22, v4;
	;;#ASMEND
	v_lshrrev_b32_e32 v4, 16, v17
	v_and_b32_e32 v5, 0xffff, v17
	v_fmac_f32_e32 v21, v23, v25
	;;#ASMSTART
	v_cvt_f32_f16 v17, v5;
	;;#ASMEND
	;;#ASMSTART
	v_cvt_f32_f16 v23, v4;
	;;#ASMEND
	ds_read_b64 v[4:5], v45 offset:104
	v_fmac_f32_e32 v19, v8, v11
	v_fmac_f32_e32 v18, v9, v10
	s_waitcnt vmcnt(1)
	v_and_b32_e32 v10, 0xffff, v14
	v_fmac_f32_e32 v20, v16, v17
	s_waitcnt lgkmcnt(0)
	v_lshrrev_b32_e32 v8, 16, v4
	v_and_b32_e32 v4, 0xffff, v4
	;;#ASMSTART
	v_cvt_f32_f16 v9, v4;
	;;#ASMEND
	v_lshrrev_b32_e32 v4, 16, v14
	;;#ASMSTART
	v_cvt_f32_f16 v8, v8;
	;;#ASMEND
	;;#ASMSTART
	v_cvt_f32_f16 v10, v10;
	;;#ASMEND
	;; [unrolled: 3-line block ×3, first 2 shown]
	v_lshrrev_b32_e32 v4, 16, v5
	v_and_b32_e32 v5, 0xffff, v5
	;;#ASMSTART
	v_cvt_f32_f16 v14, v5;
	;;#ASMEND
	;;#ASMSTART
	v_cvt_f32_f16 v16, v4;
	;;#ASMEND
	v_lshrrev_b32_e32 v4, 16, v15
	v_and_b32_e32 v5, 0xffff, v15
	;;#ASMSTART
	v_cvt_f32_f16 v15, v5;
	;;#ASMEND
	;;#ASMSTART
	v_cvt_f32_f16 v17, v4;
	;;#ASMEND
	ds_read_b64 v[4:5], v45 offset:112
	v_fmac_f32_e32 v19, v8, v11
	v_fmac_f32_e32 v18, v9, v10
	s_waitcnt vmcnt(0)
	v_lshrrev_b32_e32 v9, 16, v12
	v_and_b32_e32 v10, 0xffff, v12
	s_waitcnt lgkmcnt(0)
	v_lshrrev_b32_e32 v8, 16, v4
	v_and_b32_e32 v4, 0xffff, v4
	;;#ASMSTART
	v_cvt_f32_f16 v4, v4;
	;;#ASMEND
	v_fmac_f32_e32 v21, v22, v23
	;;#ASMSTART
	v_cvt_f32_f16 v8, v8;
	;;#ASMEND
	;;#ASMSTART
	v_cvt_f32_f16 v10, v10;
	;;#ASMEND
	;; [unrolled: 3-line block ×3, first 2 shown]
	v_fmac_f32_e32 v18, v4, v10
	v_lshrrev_b32_e32 v4, 16, v5
	v_and_b32_e32 v5, 0xffff, v5
	v_fmac_f32_e32 v20, v14, v15
	v_fmac_f32_e32 v21, v16, v17
	;; [unrolled: 1-line block ×3, first 2 shown]
	;;#ASMSTART
	v_cvt_f32_f16 v5, v5;
	;;#ASMEND
	;;#ASMSTART
	v_cvt_f32_f16 v4, v4;
	;;#ASMEND
	v_lshrrev_b32_e32 v8, 16, v13
	v_and_b32_e32 v9, 0xffff, v13
	;;#ASMSTART
	v_cvt_f32_f16 v9, v9;
	;;#ASMEND
	;;#ASMSTART
	v_cvt_f32_f16 v8, v8;
	;;#ASMEND
	v_fmac_f32_e32 v20, v5, v9
	v_fmac_f32_e32 v21, v4, v8
	v_add_f32_e32 v4, v18, v19
	v_add_f32_e32 v4, v4, v20
	v_cndmask_b32_e64 v5, v40, v48, s[4:5]
	v_add_f32_e32 v4, v21, v4
	v_lshlrev_b32_e32 v5, 2, v5
	ds_bpermute_b32 v5, v5, v4
	s_and_saveexec_b64 s[38:39], vcc
	s_cbranch_execz .LBB122_9
; %bb.11:                               ;   in Loop: Header=BB122_10 Depth=1
	v_add_u32_e32 v8, s15, v46
	v_cvt_f32_i32_e32 v8, v8
	s_waitcnt lgkmcnt(0)
	v_add_f32_e32 v4, v4, v5
	v_cmp_gt_i32_e64 s[4:5], s25, v46
	v_max_f32_e32 v5, v42, v42
	v_mul_f32_e32 v8, s10, v8
	v_cndmask_b32_e64 v8, 0, v8, s[2:3]
	v_fmac_f32_e32 v8, s11, v4
	v_cndmask_b32_e64 v4, 0, v8, s[4:5]
	ds_write_b32 v47, v4
	v_max_f32_e32 v4, v5, v8
	v_cndmask_b32_e64 v42, v42, v4, s[4:5]
	s_branch .LBB122_9
.LBB122_12:
	s_or_b64 exec, exec, s[36:37]
.LBB122_13:
	s_or_b64 exec, exec, s[34:35]
	v_xor_b32_e32 v2, 32, v40
	v_cmp_lt_i32_e32 vcc, v2, v41
	v_cndmask_b32_e32 v2, v40, v2, vcc
	v_lshlrev_b32_e32 v2, 2, v2
	ds_bpermute_b32 v3, v2, v42
	s_waitcnt lgkmcnt(0)
	v_xor_b32_e32 v5, 16, v40
	v_max_f32_e32 v4, v42, v42
	v_cmp_lt_i32_e32 vcc, v5, v41
	v_xor_b32_e32 v8, 8, v40
	v_max_f32_e32 v3, v3, v3
	v_max_f32_e32 v4, v4, v3
	v_cndmask_b32_e32 v3, v40, v5, vcc
	v_lshlrev_b32_e32 v3, 2, v3
	ds_bpermute_b32 v5, v3, v4
	v_cmp_lt_i32_e32 vcc, v8, v41
	v_xor_b32_e32 v9, 4, v40
	v_xor_b32_e32 v10, 2, v40
	s_waitcnt lgkmcnt(0)
	v_max_f32_e32 v5, v5, v5
	v_max_f32_e32 v4, v4, v5
	v_cndmask_b32_e32 v5, v40, v8, vcc
	v_lshlrev_b32_e32 v8, 2, v5
	ds_bpermute_b32 v5, v8, v4
	v_cmp_lt_i32_e32 vcc, v9, v41
	s_waitcnt lgkmcnt(0)
	v_max_f32_e32 v5, v5, v5
	v_max_f32_e32 v4, v4, v5
	v_cndmask_b32_e32 v5, v40, v9, vcc
	v_lshlrev_b32_e32 v9, 2, v5
	ds_bpermute_b32 v5, v9, v4
	v_cmp_lt_i32_e32 vcc, v10, v41
	s_waitcnt lgkmcnt(0)
	v_max_f32_e32 v5, v5, v5
	v_max_f32_e32 v5, v4, v5
	v_cndmask_b32_e32 v4, v40, v10, vcc
	v_lshlrev_b32_e32 v20, 2, v4
	ds_bpermute_b32 v11, v20, v5
	v_and_b32_e32 v4, 63, v0
	v_cmp_eq_u32_e32 vcc, 0, v4
	v_lshlrev_b32_e32 v10, 2, v38
	s_and_saveexec_b64 s[2:3], vcc
	s_cbranch_execz .LBB122_15
; %bb.14:
	s_waitcnt lgkmcnt(0)
	v_max_f32_e32 v11, v11, v11
	v_max_f32_e32 v5, v5, v5
	;; [unrolled: 1-line block ×3, first 2 shown]
	ds_write_b32 v10, v5 offset:240
.LBB122_15:
	s_or_b64 exec, exec, s[2:3]
	v_cmp_gt_u32_e64 s[2:3], 2, v4
	v_mov_b32_e32 v5, 0xff7fffff
	s_waitcnt lgkmcnt(0)
	v_lshlrev_b32_e32 v11, 2, v4
	s_barrier
	s_and_saveexec_b64 s[4:5], s[2:3]
	s_cbranch_execz .LBB122_17
; %bb.16:
	ds_read_b32 v5, v11 offset:240
.LBB122_17:
	s_or_b64 exec, exec, s[4:5]
	v_xor_b32_e32 v12, 1, v40
	v_cmp_lt_i32_e64 s[4:5], v12, v41
	v_cndmask_b32_e64 v12, v40, v12, s[4:5]
	v_lshlrev_b32_e32 v21, 2, v12
	s_waitcnt lgkmcnt(0)
	ds_bpermute_b32 v12, v21, v5
	v_max_f32_e32 v5, v5, v5
	s_sub_i32 s4, s33, s7
	s_lshl_b32 s4, s4, 5
	s_add_i32 s4, s4, s40
	s_waitcnt lgkmcnt(0)
	v_max_f32_e32 v12, v12, v12
	v_max_f32_e32 v5, v5, v12
	v_lshlrev_b32_e32 v12, 2, v40
	v_and_b32_e32 v12, 0xffffff00, v12
	ds_bpermute_b32 v5, v12, v5
	s_min_i32 s15, s4, s25
	s_sub_i32 s7, s15, s40
	v_cmp_gt_i32_e64 s[4:5], s7, v0
	v_mov_b32_e32 v13, 0
	s_and_saveexec_b64 s[34:35], s[4:5]
	s_cbranch_execz .LBB122_21
; %bb.18:
	v_mov_b32_e32 v13, 0x100
	v_lshl_add_u32 v14, v0, 2, v13
	s_mov_b64 s[36:37], 0
	v_mov_b32_e32 v13, 0
	v_mov_b32_e32 v15, v0
.LBB122_19:                             ; =>This Inner Loop Header: Depth=1
	ds_read_b32 v16, v14
	v_add_u32_e32 v15, 0x80, v15
	v_cmp_le_i32_e64 s[10:11], s7, v15
	s_or_b64 s[36:37], s[10:11], s[36:37]
	s_waitcnt lgkmcnt(0)
	v_sub_f32_e32 v16, v16, v5
	v_mul_f32_e32 v16, 0x3fb8aa3b, v16
	v_exp_f32_e32 v16, v16
	ds_write_b32 v14, v16
	v_add_f32_e32 v13, v13, v16
	v_add_u32_e32 v14, 0x200, v14
	s_andn2_b64 exec, exec, s[36:37]
	s_cbranch_execnz .LBB122_19
; %bb.20:
	s_or_b64 exec, exec, s[36:37]
.LBB122_21:
	s_or_b64 exec, exec, s[34:35]
	ds_bpermute_b32 v2, v2, v13
	s_waitcnt lgkmcnt(0)
	v_add_f32_e32 v2, v13, v2
	ds_bpermute_b32 v3, v3, v2
	s_waitcnt lgkmcnt(0)
	v_add_f32_e32 v2, v2, v3
	;; [unrolled: 3-line block ×6, first 2 shown]
	s_and_saveexec_b64 s[10:11], vcc
	s_cbranch_execz .LBB122_23
; %bb.22:
	ds_write_b32 v10, v2 offset:248
.LBB122_23:
	s_or_b64 exec, exec, s[10:11]
	s_waitcnt lgkmcnt(0)
	s_barrier
	s_and_saveexec_b64 s[10:11], s[2:3]
	s_cbranch_execz .LBB122_25
; %bb.24:
	ds_read_b32 v2, v11 offset:248
.LBB122_25:
	s_or_b64 exec, exec, s[10:11]
	s_waitcnt lgkmcnt(0)
	ds_bpermute_b32 v3, v21, v2
	s_waitcnt lgkmcnt(0)
	v_add_f32_e32 v2, v2, v3
	ds_bpermute_b32 v8, v12, v2
	s_and_saveexec_b64 s[2:3], s[4:5]
	s_cbranch_execz .LBB122_38
; %bb.26:
	s_waitcnt lgkmcnt(0)
	v_add_f32_e32 v2, 0x358637bd, v8
	v_div_scale_f32 v3, s[4:5], v2, v2, 1.0
	v_rcp_f32_e32 v9, v3
	v_div_scale_f32 v10, vcc, 1.0, v2, 1.0
	s_movk_i32 s4, 0x7f
	v_fma_f32 v11, -v3, v9, 1.0
	v_fmac_f32_e32 v9, v11, v9
	v_mul_f32_e32 v11, v10, v9
	v_fma_f32 v12, -v3, v11, v10
	v_fmac_f32_e32 v11, v12, v9
	v_fma_f32 v3, -v3, v11, v10
	v_div_fmas_f32 v3, v3, v9, v11
	v_div_fixup_f32 v2, v3, v2, 1.0
	v_xad_u32 v3, v0, -1, s15
	v_subrev_u32_e32 v9, s40, v3
	v_cmp_lt_u32_e32 vcc, s4, v9
	s_mov_b64 s[10:11], -1
	v_mov_b32_e32 v3, v0
	s_and_saveexec_b64 s[4:5], vcc
	s_cbranch_execz .LBB122_35
; %bb.27:
	v_lshrrev_b32_e32 v9, 7, v9
	v_add_u32_e32 v11, -1, v9
	v_lshrrev_b32_e32 v10, 1, v11
	v_mov_b32_e32 v3, v2
	v_add_u32_e32 v10, 1, v10
	v_cmp_lt_u32_e32 vcc, 13, v11
	v_mov_b32_e32 v13, 0
	s_and_saveexec_b64 s[10:11], vcc
	s_cbranch_execz .LBB122_31
; %bb.28:
	v_mov_b32_e32 v12, 0x100
	v_and_b32_e32 v11, -8, v10
	v_lshl_add_u32 v12, v0, 2, v12
	s_mov_b32 s15, 0
	s_mov_b64 s[34:35], 0
.LBB122_29:                             ; =>This Inner Loop Header: Depth=1
	ds_read2st64_b32 v[14:15], v12 offset1:2
	ds_read2st64_b32 v[16:17], v12 offset0:4 offset1:6
	ds_read2st64_b32 v[18:19], v12 offset0:8 offset1:10
	;; [unrolled: 1-line block ×3, first 2 shown]
	v_add_u32_e32 v11, -8, v11
	s_waitcnt lgkmcnt(3)
	v_pk_mul_f32 v[14:15], v[2:3], v[14:15]
	s_waitcnt lgkmcnt(2)
	v_pk_mul_f32 v[16:17], v[2:3], v[16:17]
	ds_write2st64_b32 v12, v14, v15 offset1:2
	ds_write2st64_b32 v12, v16, v17 offset0:4 offset1:6
	ds_read2st64_b32 v[16:17], v12 offset0:16 offset1:18
	s_waitcnt lgkmcnt(4)
	v_pk_mul_f32 v[14:15], v[2:3], v[18:19]
	ds_write2st64_b32 v12, v14, v15 offset0:8 offset1:10
	s_waitcnt lgkmcnt(4)
	v_pk_mul_f32 v[14:15], v[2:3], v[22:23]
	ds_write2st64_b32 v12, v14, v15 offset0:12 offset1:14
	ds_read2st64_b32 v[14:15], v12 offset0:20 offset1:22
	s_waitcnt lgkmcnt(3)
	v_pk_mul_f32 v[16:17], v[2:3], v[16:17]
	ds_read2st64_b32 v[18:19], v12 offset0:24 offset1:26
	ds_write2st64_b32 v12, v16, v17 offset0:16 offset1:18
	ds_read2st64_b32 v[16:17], v12 offset0:28 offset1:30
	s_waitcnt lgkmcnt(3)
	v_pk_mul_f32 v[14:15], v[2:3], v[14:15]
	ds_write2st64_b32 v12, v14, v15 offset0:20 offset1:22
	s_waitcnt lgkmcnt(3)
	v_pk_mul_f32 v[14:15], v[2:3], v[18:19]
	ds_write2st64_b32 v12, v14, v15 offset0:24 offset1:26
	s_waitcnt lgkmcnt(2)
	v_pk_mul_f32 v[14:15], v[2:3], v[16:17]
	s_add_i32 s15, s15, 16
	v_cmp_eq_u32_e32 vcc, 0, v11
	ds_write2st64_b32 v12, v14, v15 offset0:28 offset1:30
	v_add_u32_e32 v12, 0x2000, v12
	s_or_b64 s[34:35], vcc, s[34:35]
	v_mov_b32_e32 v13, s15
	s_andn2_b64 exec, exec, s[34:35]
	s_cbranch_execnz .LBB122_29
; %bb.30:
	s_or_b64 exec, exec, s[34:35]
.LBB122_31:
	s_or_b64 exec, exec, s[10:11]
	v_and_b32_e32 v10, 7, v10
	v_cmp_ne_u32_e32 vcc, 0, v10
	s_and_saveexec_b64 s[10:11], vcc
	s_cbranch_execz .LBB122_34
; %bb.32:
	v_lshlrev_b32_e32 v11, 9, v13
	v_lshlrev_b32_e32 v12, 2, v0
	s_movk_i32 s15, 0x100
	v_add3_u32 v11, v11, v12, s15
	s_mov_b64 s[34:35], 0
.LBB122_33:                             ; =>This Inner Loop Header: Depth=1
	ds_read2st64_b32 v[12:13], v11 offset1:2
	v_add_u32_e32 v10, -1, v10
	v_cmp_eq_u32_e32 vcc, 0, v10
	s_or_b64 s[34:35], vcc, s[34:35]
	s_waitcnt lgkmcnt(0)
	v_pk_mul_f32 v[12:13], v[2:3], v[12:13]
	ds_write2st64_b32 v11, v12, v13 offset1:2
	v_add_u32_e32 v11, 0x400, v11
	s_andn2_b64 exec, exec, s[34:35]
	s_cbranch_execnz .LBB122_33
.LBB122_34:
	s_or_b64 exec, exec, s[10:11]
	v_add_u32_e32 v9, 1, v9
	v_and_b32_e32 v10, 0x3fffffe, v9
	v_cmp_ne_u32_e32 vcc, v9, v10
	v_lshl_add_u32 v3, v10, 7, v0
	s_orn2_b64 s[10:11], vcc, exec
.LBB122_35:
	s_or_b64 exec, exec, s[4:5]
	s_and_b64 exec, exec, s[10:11]
	s_cbranch_execz .LBB122_38
; %bb.36:
	v_mov_b32_e32 v9, 0x100
	v_lshl_add_u32 v9, v3, 2, v9
	s_mov_b64 s[4:5], 0
.LBB122_37:                             ; =>This Inner Loop Header: Depth=1
	ds_read_b32 v10, v9
	v_add_u32_e32 v3, 0x80, v3
	v_cmp_le_i32_e32 vcc, s7, v3
	s_or_b64 s[4:5], vcc, s[4:5]
	s_waitcnt lgkmcnt(0)
	v_mul_f32_e32 v10, v2, v10
	ds_write_b32 v9, v10
	v_add_u32_e32 v9, 0x200, v9
	s_andn2_b64 exec, exec, s[4:5]
	s_cbranch_execnz .LBB122_37
.LBB122_38:
	s_or_b64 exec, exec, s[2:3]
	s_mul_i32 s2, s21, s24
	v_cmp_eq_u32_e32 vcc, 0, v0
	s_mul_i32 s4, s2, s9
	s_waitcnt lgkmcnt(0)
	s_barrier
	s_and_saveexec_b64 s[2:3], vcc
	s_cbranch_execz .LBB122_40
; %bb.39:
	s_ashr_i32 s5, s4, 31
	s_lshl_b64 s[10:11], s[4:5], 2
	s_add_u32 s5, s18, s10
	s_mul_i32 s6, s21, s6
	s_addc_u32 s9, s19, s11
	s_ashr_i32 s7, s6, 31
	s_lshl_b64 s[6:7], s[6:7], 2
	s_add_u32 s5, s5, s6
	s_addc_u32 s15, s9, s7
	s_ashr_i32 s9, s8, 31
	s_lshl_b64 s[18:19], s[8:9], 2
	s_add_u32 s34, s5, s18
	s_addc_u32 s35, s15, s19
	s_add_u32 s5, s16, s10
	s_addc_u32 s9, s17, s11
	s_add_u32 s5, s5, s6
	s_addc_u32 s7, s9, s7
	s_add_u32 s6, s5, s18
	v_mov_b32_e32 v2, 0
	s_addc_u32 s7, s7, s19
	global_store_dword v2, v5, s[34:35]
	global_store_dword v2, v8, s[6:7]
.LBB122_40:
	s_or_b64 exec, exec, s[2:3]
	v_mov_b32_e32 v11, 0
	v_lshrrev_b32_e32 v23, 2, v4
	v_and_b32_e32 v22, 3, v0
	v_mov_b32_e32 v10, v11
	v_mov_b32_e32 v13, v11
	;; [unrolled: 1-line block ×7, first 2 shown]
	s_and_saveexec_b64 s[6:7], s[0:1]
	s_cbranch_execz .LBB122_62
; %bb.41:
	s_ashr_i32 s15, s14, 31
	s_lshl_b64 s[0:1], s[14:15], 1
	s_add_u32 s9, s30, s0
	v_or_b32_e32 v3, 0x70, v23
	s_movk_i32 s0, 0x78
	v_and_b32_e32 v1, 24, v1
	s_addc_u32 s2, s31, s1
	s_add_i32 s14, s12, -1
	v_cmp_gt_u32_e32 vcc, s0, v3
	s_lshl_b64 s[0:1], s[28:29], 2
	v_lshl_or_b32 v14, v3, 5, v1
	v_lshlrev_b32_e32 v3, 5, v22
	s_add_u32 s0, s26, s0
	v_lshl_or_b32 v2, v23, 5, v1
	v_lshl_or_b32 v3, v38, 7, v3
	v_lshlrev_b64 v[16:17], 2, v[6:7]
	s_addc_u32 s1, s27, s1
	v_mov_b32_e32 v8, 0
	v_or_b32_e32 v4, 0x800, v2
	v_or_b32_e32 v10, 0xa00, v2
	;; [unrolled: 1-line block ×3, first 2 shown]
	v_add_u32_e32 v24, 0x100, v3
	v_mov_b32_e32 v3, s1
	v_add_co_u32_e64 v16, s[0:1], s0, v16
	s_mov_b32 s5, s13
	s_mov_b32 s15, s25
	;; [unrolled: 1-line block ×8, first 2 shown]
	v_add3_u32 v1, s40, v39, v1
	v_addc_co_u32_e64 v17, s[0:1], v3, v17, s[0:1]
	s_mov_b64 s[10:11], 0
	v_mov_b32_e32 v7, s2
	v_lshlrev_b32_e32 v25, 1, v2
	s_mov_b32 s26, 0x5040100
	v_lshlrev_b32_e32 v26, 1, v4
	v_lshlrev_b32_e32 v27, 1, v10
	;; [unrolled: 1-line block ×4, first 2 shown]
	v_mov_b32_e32 v9, v8
	v_mov_b32_e32 v14, v8
	;; [unrolled: 1-line block ×7, first 2 shown]
	s_branch .LBB122_44
.LBB122_42:                             ;   in Loop: Header=BB122_44 Depth=1
	s_or_b64 exec, exec, s[2:3]
	s_waitcnt vmcnt(0)
	;;#ASMSTART
	v_pk_mul_f16 v2, v35, v2;

	;;#ASMEND
	;;#ASMSTART
	v_pk_mul_f16 v3, v34, v3;

	;;#ASMEND
	;; [unrolled: 4-line block ×4, first 2 shown]
	;;#ASMSTART
	v_pk_add_f16 v2, v2, v3;

	;;#ASMEND
	;;#ASMSTART
	v_pk_add_f16 v2, v2, v4;

	;;#ASMEND
	;; [unrolled: 4-line block ×3, first 2 shown]
	v_lshrrev_b32_e32 v3, 16, v2
	v_and_b32_e32 v2, 0xffff, v2
	;;#ASMSTART
	v_cvt_f32_f16 v2, v2;
	;;#ASMEND
	;;#ASMSTART
	v_cvt_f32_f16 v3, v3;
	;;#ASMEND
	v_add_f32_e32 v2, v2, v3
	v_add_f32_e32 v11, v11, v2
.LBB122_43:                             ;   in Loop: Header=BB122_44 Depth=1
	s_or_b64 exec, exec, s[12:13]
	v_add_u32_e32 v6, 2, v6
	v_cmp_le_i32_e64 s[0:1], s33, v6
	s_or_b64 s[10:11], s[0:1], s[10:11]
	v_add_co_u32_e64 v16, s[0:1], 8, v16
	v_add_u32_e32 v1, 64, v1
	v_add_u32_e32 v24, 0x100, v24
	v_addc_co_u32_e64 v17, s[0:1], 0, v17, s[0:1]
	s_andn2_b64 exec, exec, s[10:11]
	s_cbranch_execz .LBB122_61
.LBB122_44:                             ; =>This Inner Loop Header: Depth=1
	global_load_dword v18, v[16:17], off
	ds_read2_b64 v[2:5], v24 offset1:1
	ds_read2_b64 v[38:41], v24 offset0:2 offset1:3
	s_waitcnt lgkmcnt(1)
	;;#ASMSTART
	v_cvt_f16_f32 v30, v2;

	;;#ASMEND
	;;#ASMSTART
	v_cvt_f16_f32 v31, v3;

	;;#ASMEND
	;; [unrolled: 4-line block ×4, first 2 shown]
	s_waitcnt lgkmcnt(0)
	;;#ASMSTART
	v_cvt_f16_f32 v37, v38;

	;;#ASMEND
	;;#ASMSTART
	v_cvt_f16_f32 v38, v39;

	;;#ASMEND
	;;#ASMSTART
	v_cvt_f16_f32 v39, v40;

	;;#ASMEND
	;;#ASMSTART
	v_cvt_f16_f32 v40, v41;

	;;#ASMEND
	s_waitcnt vmcnt(0)
	v_mad_i64_i32 v[2:3], s[0:1], v18, s5, 0
	v_lshlrev_b64 v[2:3], 1, v[2:3]
	v_add_co_u32_e64 v32, s[0:1], s9, v2
	v_addc_co_u32_e64 v33, s[0:1], v7, v3, s[0:1]
	v_add_co_u32_e64 v18, s[0:1], v32, v25
	v_addc_co_u32_e64 v19, s[0:1], 0, v33, s[0:1]
	global_load_dwordx4 v[2:5], v[18:19], off
	v_cmp_eq_u32_e64 s[0:1], s14, v6
	s_and_saveexec_b64 s[12:13], s[0:1]
	s_cbranch_execz .LBB122_46
; %bb.45:                               ;   in Loop: Header=BB122_44 Depth=1
	v_or_b32_e32 v45, 7, v1
	v_or_b32_e32 v46, 6, v1
	s_waitcnt vmcnt(0)
	v_lshrrev_b32_e32 v47, 16, v5
	v_cmp_gt_i32_e64 s[2:3], s30, v45
	v_cndmask_b32_e64 v45, 0, v47, s[2:3]
	v_cmp_gt_i32_e64 s[2:3], s24, v46
	v_or_b32_e32 v43, 5, v1
	v_cndmask_b32_e64 v5, 0, v5, s[2:3]
	v_or_b32_e32 v44, 4, v1
	v_perm_b32 v5, v45, v5, s26
	v_lshrrev_b32_e32 v45, 16, v4
	v_cmp_gt_i32_e64 s[2:3], s19, v43
	v_cndmask_b32_e64 v43, 0, v45, s[2:3]
	v_cmp_gt_i32_e64 s[2:3], s18, v44
	v_or_b32_e32 v41, 3, v1
	v_cndmask_b32_e64 v4, 0, v4, s[2:3]
	v_or_b32_e32 v42, 2, v1
	v_perm_b32 v4, v43, v4, s26
	v_lshrrev_b32_e32 v43, 16, v3
	v_cmp_gt_i32_e64 s[2:3], s17, v41
	v_cndmask_b32_e64 v41, 0, v43, s[2:3]
	v_cmp_gt_i32_e64 s[2:3], s16, v42
	v_add_u32_e32 v35, 1, v1
	v_cndmask_b32_e64 v3, 0, v3, s[2:3]
	v_perm_b32 v3, v41, v3, s26
	v_lshrrev_b32_e32 v41, 16, v2
	v_cmp_gt_i32_e64 s[2:3], s15, v35
	v_cndmask_b32_e64 v35, 0, v41, s[2:3]
	v_cmp_gt_i32_e64 s[2:3], s25, v1
	v_cndmask_b32_e64 v2, 0, v2, s[2:3]
	v_perm_b32 v2, v35, v2, s26
.LBB122_46:                             ;   in Loop: Header=BB122_44 Depth=1
	s_or_b64 exec, exec, s[12:13]
	v_and_b32_e32 v30, 0xffff, v30
	v_lshl_or_b32 v35, v31, 16, v30
	v_and_b32_e32 v30, 0xffff, v34
	v_lshl_or_b32 v34, v36, 16, v30
	;; [unrolled: 2-line block ×3, first 2 shown]
	v_and_b32_e32 v30, 0xffff, v39
	s_waitcnt vmcnt(0)
	;;#ASMSTART
	v_pk_mul_f16 v2, v35, v2;

	;;#ASMEND
	v_lshl_or_b32 v30, v40, 16, v30
	;;#ASMSTART
	v_pk_mul_f16 v3, v34, v3;

	;;#ASMEND
	;;#ASMSTART
	v_pk_mul_f16 v4, v31, v4;

	;;#ASMEND
	;; [unrolled: 4-line block ×3, first 2 shown]
	;;#ASMSTART
	v_pk_add_f16 v2, v2, v3;

	;;#ASMEND
	;;#ASMSTART
	v_pk_add_f16 v2, v2, v4;

	;;#ASMEND
	;; [unrolled: 4-line block ×3, first 2 shown]
	v_lshrrev_b32_e32 v3, 16, v2
	v_and_b32_e32 v2, 0xffff, v2
	;;#ASMSTART
	v_cvt_f32_f16 v36, v2;
	;;#ASMEND
	;;#ASMSTART
	v_cvt_f32_f16 v37, v3;
	;;#ASMEND
	global_load_dwordx4 v[2:5], v[18:19], off offset:1024
	s_and_saveexec_b64 s[12:13], s[0:1]
	s_cbranch_execz .LBB122_48
; %bb.47:                               ;   in Loop: Header=BB122_44 Depth=1
	v_or_b32_e32 v43, 7, v1
	v_or_b32_e32 v44, 6, v1
	s_waitcnt vmcnt(0)
	v_lshrrev_b32_e32 v45, 16, v5
	v_cmp_gt_i32_e64 s[2:3], s30, v43
	v_cndmask_b32_e64 v43, 0, v45, s[2:3]
	v_cmp_gt_i32_e64 s[2:3], s24, v44
	v_or_b32_e32 v41, 5, v1
	v_cndmask_b32_e64 v5, 0, v5, s[2:3]
	v_or_b32_e32 v42, 4, v1
	v_perm_b32 v5, v43, v5, s26
	v_lshrrev_b32_e32 v43, 16, v4
	v_cmp_gt_i32_e64 s[2:3], s19, v41
	v_cndmask_b32_e64 v41, 0, v43, s[2:3]
	v_cmp_gt_i32_e64 s[2:3], s18, v42
	v_or_b32_e32 v39, 3, v1
	v_cndmask_b32_e64 v4, 0, v4, s[2:3]
	v_or_b32_e32 v40, 2, v1
	v_perm_b32 v4, v41, v4, s26
	v_lshrrev_b32_e32 v41, 16, v3
	v_cmp_gt_i32_e64 s[2:3], s17, v39
	v_cndmask_b32_e64 v39, 0, v41, s[2:3]
	v_cmp_gt_i32_e64 s[2:3], s16, v40
	v_add_u32_e32 v38, 1, v1
	v_cndmask_b32_e64 v3, 0, v3, s[2:3]
	v_perm_b32 v3, v39, v3, s26
	v_lshrrev_b32_e32 v39, 16, v2
	v_cmp_gt_i32_e64 s[2:3], s15, v38
	v_cndmask_b32_e64 v38, 0, v39, s[2:3]
	v_cmp_gt_i32_e64 s[2:3], s25, v1
	v_cndmask_b32_e64 v2, 0, v2, s[2:3]
	v_perm_b32 v2, v38, v2, s26
.LBB122_48:                             ;   in Loop: Header=BB122_44 Depth=1
	s_or_b64 exec, exec, s[12:13]
	s_waitcnt vmcnt(0)
	;;#ASMSTART
	v_pk_mul_f16 v2, v35, v2;

	;;#ASMEND
	;;#ASMSTART
	v_pk_mul_f16 v3, v34, v3;

	;;#ASMEND
	;; [unrolled: 4-line block ×4, first 2 shown]
	;;#ASMSTART
	v_pk_add_f16 v2, v2, v3;

	;;#ASMEND
	;;#ASMSTART
	v_pk_add_f16 v2, v2, v4;

	;;#ASMEND
	;; [unrolled: 4-line block ×3, first 2 shown]
	v_lshrrev_b32_e32 v3, 16, v2
	v_and_b32_e32 v2, 0xffff, v2
	;;#ASMSTART
	v_cvt_f32_f16 v38, v2;
	;;#ASMEND
	;;#ASMSTART
	v_cvt_f32_f16 v39, v3;
	;;#ASMEND
	global_load_dwordx4 v[2:5], v[18:19], off offset:2048
	s_and_saveexec_b64 s[12:13], s[0:1]
	s_cbranch_execz .LBB122_50
; %bb.49:                               ;   in Loop: Header=BB122_44 Depth=1
	v_or_b32_e32 v45, 7, v1
	v_or_b32_e32 v46, 6, v1
	s_waitcnt vmcnt(0)
	v_lshrrev_b32_e32 v47, 16, v5
	v_cmp_gt_i32_e64 s[2:3], s30, v45
	v_cndmask_b32_e64 v45, 0, v47, s[2:3]
	v_cmp_gt_i32_e64 s[2:3], s24, v46
	v_or_b32_e32 v43, 5, v1
	v_cndmask_b32_e64 v5, 0, v5, s[2:3]
	v_or_b32_e32 v44, 4, v1
	v_perm_b32 v5, v45, v5, s26
	v_lshrrev_b32_e32 v45, 16, v4
	v_cmp_gt_i32_e64 s[2:3], s19, v43
	v_cndmask_b32_e64 v43, 0, v45, s[2:3]
	v_cmp_gt_i32_e64 s[2:3], s18, v44
	v_or_b32_e32 v41, 3, v1
	v_cndmask_b32_e64 v4, 0, v4, s[2:3]
	v_or_b32_e32 v42, 2, v1
	v_perm_b32 v4, v43, v4, s26
	v_lshrrev_b32_e32 v43, 16, v3
	v_cmp_gt_i32_e64 s[2:3], s17, v41
	v_cndmask_b32_e64 v41, 0, v43, s[2:3]
	v_cmp_gt_i32_e64 s[2:3], s16, v42
	v_add_u32_e32 v40, 1, v1
	v_cndmask_b32_e64 v3, 0, v3, s[2:3]
	v_perm_b32 v3, v41, v3, s26
	v_lshrrev_b32_e32 v41, 16, v2
	v_cmp_gt_i32_e64 s[2:3], s15, v40
	v_cndmask_b32_e64 v40, 0, v41, s[2:3]
	v_cmp_gt_i32_e64 s[2:3], s25, v1
	v_cndmask_b32_e64 v2, 0, v2, s[2:3]
	v_perm_b32 v2, v40, v2, s26
.LBB122_50:                             ;   in Loop: Header=BB122_44 Depth=1
	s_or_b64 exec, exec, s[12:13]
	s_waitcnt vmcnt(0)
	;;#ASMSTART
	v_pk_mul_f16 v2, v35, v2;

	;;#ASMEND
	;;#ASMSTART
	v_pk_mul_f16 v3, v34, v3;

	;;#ASMEND
	;; [unrolled: 4-line block ×4, first 2 shown]
	;;#ASMSTART
	v_pk_add_f16 v2, v2, v3;

	;;#ASMEND
	;;#ASMSTART
	v_pk_add_f16 v2, v2, v4;

	;;#ASMEND
	;; [unrolled: 4-line block ×3, first 2 shown]
	v_lshrrev_b32_e32 v3, 16, v2
	v_and_b32_e32 v2, 0xffff, v2
	;;#ASMSTART
	v_cvt_f32_f16 v40, v2;
	;;#ASMEND
	;;#ASMSTART
	v_cvt_f32_f16 v41, v3;
	;;#ASMEND
	global_load_dwordx4 v[2:5], v[18:19], off offset:3072
	s_and_saveexec_b64 s[12:13], s[0:1]
	s_cbranch_execz .LBB122_52
; %bb.51:                               ;   in Loop: Header=BB122_44 Depth=1
	v_or_b32_e32 v45, 7, v1
	v_or_b32_e32 v46, 6, v1
	s_waitcnt vmcnt(0)
	v_lshrrev_b32_e32 v47, 16, v5
	v_cmp_gt_i32_e64 s[2:3], s30, v45
	v_cndmask_b32_e64 v45, 0, v47, s[2:3]
	v_cmp_gt_i32_e64 s[2:3], s24, v46
	v_or_b32_e32 v43, 5, v1
	v_cndmask_b32_e64 v5, 0, v5, s[2:3]
	v_or_b32_e32 v44, 4, v1
	v_perm_b32 v5, v45, v5, s26
	v_lshrrev_b32_e32 v45, 16, v4
	v_cmp_gt_i32_e64 s[2:3], s19, v43
	v_cndmask_b32_e64 v43, 0, v45, s[2:3]
	v_cmp_gt_i32_e64 s[2:3], s18, v44
	v_or_b32_e32 v19, 3, v1
	v_cndmask_b32_e64 v4, 0, v4, s[2:3]
	v_or_b32_e32 v42, 2, v1
	v_perm_b32 v4, v43, v4, s26
	v_lshrrev_b32_e32 v43, 16, v3
	v_cmp_gt_i32_e64 s[2:3], s17, v19
	v_cndmask_b32_e64 v19, 0, v43, s[2:3]
	v_cmp_gt_i32_e64 s[2:3], s16, v42
	v_add_u32_e32 v18, 1, v1
	v_cndmask_b32_e64 v3, 0, v3, s[2:3]
	v_perm_b32 v3, v19, v3, s26
	v_lshrrev_b32_e32 v19, 16, v2
	v_cmp_gt_i32_e64 s[2:3], s15, v18
	v_cndmask_b32_e64 v18, 0, v19, s[2:3]
	v_cmp_gt_i32_e64 s[2:3], s25, v1
	v_cndmask_b32_e64 v2, 0, v2, s[2:3]
	v_perm_b32 v2, v18, v2, s26
.LBB122_52:                             ;   in Loop: Header=BB122_44 Depth=1
	s_or_b64 exec, exec, s[12:13]
	s_waitcnt vmcnt(0)
	;;#ASMSTART
	v_pk_mul_f16 v2, v35, v2;

	;;#ASMEND
	;;#ASMSTART
	v_pk_mul_f16 v3, v34, v3;

	;;#ASMEND
	;; [unrolled: 4-line block ×4, first 2 shown]
	;;#ASMSTART
	v_pk_add_f16 v2, v2, v3;

	;;#ASMEND
	;;#ASMSTART
	v_pk_add_f16 v2, v2, v4;

	;;#ASMEND
	;; [unrolled: 4-line block ×3, first 2 shown]
	v_lshrrev_b32_e32 v3, 16, v2
	v_and_b32_e32 v2, 0xffff, v2
	;;#ASMSTART
	v_cvt_f32_f16 v18, v2;
	;;#ASMEND
	v_add_co_u32_e64 v2, s[2:3], v32, v26
	;;#ASMSTART
	v_cvt_f32_f16 v19, v3;
	;;#ASMEND
	v_addc_co_u32_e64 v3, s[2:3], 0, v33, s[2:3]
	global_load_dwordx4 v[2:5], v[2:3], off
	s_and_saveexec_b64 s[12:13], s[0:1]
	s_cbranch_execz .LBB122_54
; %bb.53:                               ;   in Loop: Header=BB122_44 Depth=1
	v_or_b32_e32 v47, 7, v1
	v_or_b32_e32 v48, 6, v1
	s_waitcnt vmcnt(0)
	v_lshrrev_b32_e32 v49, 16, v5
	v_cmp_gt_i32_e64 s[2:3], s30, v47
	v_cndmask_b32_e64 v47, 0, v49, s[2:3]
	v_cmp_gt_i32_e64 s[2:3], s24, v48
	v_or_b32_e32 v45, 5, v1
	v_cndmask_b32_e64 v5, 0, v5, s[2:3]
	v_or_b32_e32 v46, 4, v1
	v_perm_b32 v5, v47, v5, s26
	v_lshrrev_b32_e32 v47, 16, v4
	v_cmp_gt_i32_e64 s[2:3], s19, v45
	v_cndmask_b32_e64 v45, 0, v47, s[2:3]
	v_cmp_gt_i32_e64 s[2:3], s18, v46
	v_or_b32_e32 v43, 3, v1
	v_cndmask_b32_e64 v4, 0, v4, s[2:3]
	v_or_b32_e32 v44, 2, v1
	v_perm_b32 v4, v45, v4, s26
	v_lshrrev_b32_e32 v45, 16, v3
	v_cmp_gt_i32_e64 s[2:3], s17, v43
	v_cndmask_b32_e64 v43, 0, v45, s[2:3]
	v_cmp_gt_i32_e64 s[2:3], s16, v44
	v_add_u32_e32 v42, 1, v1
	v_cndmask_b32_e64 v3, 0, v3, s[2:3]
	v_perm_b32 v3, v43, v3, s26
	v_lshrrev_b32_e32 v43, 16, v2
	v_cmp_gt_i32_e64 s[2:3], s15, v42
	v_cndmask_b32_e64 v42, 0, v43, s[2:3]
	v_cmp_gt_i32_e64 s[2:3], s25, v1
	v_cndmask_b32_e64 v2, 0, v2, s[2:3]
	v_perm_b32 v2, v42, v2, s26
.LBB122_54:                             ;   in Loop: Header=BB122_44 Depth=1
	s_or_b64 exec, exec, s[12:13]
	s_waitcnt vmcnt(0)
	;;#ASMSTART
	v_pk_mul_f16 v2, v35, v2;

	;;#ASMEND
	;;#ASMSTART
	v_pk_mul_f16 v3, v34, v3;

	;;#ASMEND
	;; [unrolled: 4-line block ×4, first 2 shown]
	;;#ASMSTART
	v_pk_add_f16 v2, v2, v3;

	;;#ASMEND
	;;#ASMSTART
	v_pk_add_f16 v2, v2, v4;

	;;#ASMEND
	;; [unrolled: 4-line block ×3, first 2 shown]
	v_lshrrev_b32_e32 v3, 16, v2
	v_and_b32_e32 v2, 0xffff, v2
	;;#ASMSTART
	v_cvt_f32_f16 v42, v2;
	;;#ASMEND
	v_add_co_u32_e64 v2, s[2:3], v32, v27
	;;#ASMSTART
	v_cvt_f32_f16 v43, v3;
	;;#ASMEND
	v_addc_co_u32_e64 v3, s[2:3], 0, v33, s[2:3]
	global_load_dwordx4 v[2:5], v[2:3], off
	s_and_saveexec_b64 s[12:13], s[0:1]
	s_cbranch_execz .LBB122_56
; %bb.55:                               ;   in Loop: Header=BB122_44 Depth=1
	v_or_b32_e32 v49, 7, v1
	v_or_b32_e32 v50, 6, v1
	s_waitcnt vmcnt(0)
	v_lshrrev_b32_e32 v51, 16, v5
	v_cmp_gt_i32_e64 s[2:3], s30, v49
	v_cndmask_b32_e64 v49, 0, v51, s[2:3]
	v_cmp_gt_i32_e64 s[2:3], s24, v50
	v_or_b32_e32 v47, 5, v1
	v_cndmask_b32_e64 v5, 0, v5, s[2:3]
	v_or_b32_e32 v48, 4, v1
	v_perm_b32 v5, v49, v5, s26
	v_lshrrev_b32_e32 v49, 16, v4
	v_cmp_gt_i32_e64 s[2:3], s19, v47
	v_cndmask_b32_e64 v47, 0, v49, s[2:3]
	v_cmp_gt_i32_e64 s[2:3], s18, v48
	v_or_b32_e32 v45, 3, v1
	v_cndmask_b32_e64 v4, 0, v4, s[2:3]
	v_or_b32_e32 v46, 2, v1
	v_perm_b32 v4, v47, v4, s26
	v_lshrrev_b32_e32 v47, 16, v3
	v_cmp_gt_i32_e64 s[2:3], s17, v45
	v_cndmask_b32_e64 v45, 0, v47, s[2:3]
	v_cmp_gt_i32_e64 s[2:3], s16, v46
	v_add_u32_e32 v44, 1, v1
	v_cndmask_b32_e64 v3, 0, v3, s[2:3]
	v_perm_b32 v3, v45, v3, s26
	v_lshrrev_b32_e32 v45, 16, v2
	v_cmp_gt_i32_e64 s[2:3], s15, v44
	v_cndmask_b32_e64 v44, 0, v45, s[2:3]
	v_cmp_gt_i32_e64 s[2:3], s25, v1
	v_cndmask_b32_e64 v2, 0, v2, s[2:3]
	v_perm_b32 v2, v44, v2, s26
.LBB122_56:                             ;   in Loop: Header=BB122_44 Depth=1
	s_or_b64 exec, exec, s[12:13]
	s_waitcnt vmcnt(0)
	;;#ASMSTART
	v_pk_mul_f16 v2, v35, v2;

	;;#ASMEND
	;;#ASMSTART
	v_pk_mul_f16 v3, v34, v3;

	;;#ASMEND
	;; [unrolled: 4-line block ×4, first 2 shown]
	;;#ASMSTART
	v_pk_add_f16 v2, v2, v3;

	;;#ASMEND
	;;#ASMSTART
	v_pk_add_f16 v2, v2, v4;

	;;#ASMEND
	;; [unrolled: 4-line block ×3, first 2 shown]
	v_lshrrev_b32_e32 v3, 16, v2
	v_and_b32_e32 v2, 0xffff, v2
	;;#ASMSTART
	v_cvt_f32_f16 v44, v2;
	;;#ASMEND
	v_add_co_u32_e64 v2, s[2:3], v32, v28
	;;#ASMSTART
	v_cvt_f32_f16 v45, v3;
	;;#ASMEND
	v_addc_co_u32_e64 v3, s[2:3], 0, v33, s[2:3]
	global_load_dwordx4 v[2:5], v[2:3], off
	s_and_saveexec_b64 s[12:13], s[0:1]
	s_cbranch_execz .LBB122_58
; %bb.57:                               ;   in Loop: Header=BB122_44 Depth=1
	v_or_b32_e32 v51, 7, v1
	v_or_b32_e32 v52, 6, v1
	s_waitcnt vmcnt(0)
	v_lshrrev_b32_e32 v53, 16, v5
	v_cmp_gt_i32_e64 s[2:3], s30, v51
	v_cndmask_b32_e64 v51, 0, v53, s[2:3]
	v_cmp_gt_i32_e64 s[2:3], s24, v52
	v_or_b32_e32 v49, 5, v1
	v_cndmask_b32_e64 v5, 0, v5, s[2:3]
	v_or_b32_e32 v50, 4, v1
	v_perm_b32 v5, v51, v5, s26
	v_lshrrev_b32_e32 v51, 16, v4
	v_cmp_gt_i32_e64 s[2:3], s19, v49
	v_cndmask_b32_e64 v49, 0, v51, s[2:3]
	v_cmp_gt_i32_e64 s[2:3], s18, v50
	v_or_b32_e32 v47, 3, v1
	v_cndmask_b32_e64 v4, 0, v4, s[2:3]
	v_or_b32_e32 v48, 2, v1
	v_perm_b32 v4, v49, v4, s26
	v_lshrrev_b32_e32 v49, 16, v3
	v_cmp_gt_i32_e64 s[2:3], s17, v47
	v_cndmask_b32_e64 v47, 0, v49, s[2:3]
	v_cmp_gt_i32_e64 s[2:3], s16, v48
	v_add_u32_e32 v46, 1, v1
	v_cndmask_b32_e64 v3, 0, v3, s[2:3]
	v_perm_b32 v3, v47, v3, s26
	v_lshrrev_b32_e32 v47, 16, v2
	v_cmp_gt_i32_e64 s[2:3], s15, v46
	v_cndmask_b32_e64 v46, 0, v47, s[2:3]
	v_cmp_gt_i32_e64 s[2:3], s25, v1
	v_cndmask_b32_e64 v2, 0, v2, s[2:3]
	v_perm_b32 v2, v46, v2, s26
.LBB122_58:                             ;   in Loop: Header=BB122_44 Depth=1
	s_or_b64 exec, exec, s[12:13]
	s_waitcnt vmcnt(0)
	;;#ASMSTART
	v_pk_mul_f16 v2, v35, v2;

	;;#ASMEND
	;;#ASMSTART
	v_pk_mul_f16 v3, v34, v3;

	;;#ASMEND
	;; [unrolled: 4-line block ×4, first 2 shown]
	;;#ASMSTART
	v_pk_add_f16 v2, v2, v3;

	;;#ASMEND
	;;#ASMSTART
	v_pk_add_f16 v2, v2, v4;

	;;#ASMEND
	;;#ASMSTART
	v_pk_add_f16 v2, v2, v5;

	;;#ASMEND
	v_add_f32_e32 v36, v36, v37
	v_add_f32_e32 v18, v18, v19
	v_lshrrev_b32_e32 v3, 16, v2
	v_and_b32_e32 v2, 0xffff, v2
	v_add_f32_e32 v8, v8, v36
	v_add_f32_e32 v36, v38, v39
	;; [unrolled: 1-line block ×4, first 2 shown]
	;;#ASMSTART
	v_cvt_f32_f16 v2, v2;
	;;#ASMEND
	v_add_f32_e32 v9, v9, v36
	v_add_f32_e32 v36, v40, v41
	;; [unrolled: 1-line block ×4, first 2 shown]
	;;#ASMSTART
	v_cvt_f32_f16 v3, v3;
	;;#ASMEND
	v_add_f32_e32 v2, v2, v3
	v_add_f32_e32 v14, v14, v36
	;; [unrolled: 1-line block ×4, first 2 shown]
	s_and_saveexec_b64 s[12:13], vcc
	s_cbranch_execz .LBB122_43
; %bb.59:                               ;   in Loop: Header=BB122_44 Depth=1
	v_add_co_u32_e64 v2, s[2:3], v32, v29
	v_addc_co_u32_e64 v3, s[2:3], 0, v33, s[2:3]
	global_load_dwordx4 v[2:5], v[2:3], off
	s_and_saveexec_b64 s[2:3], s[0:1]
	s_cbranch_execz .LBB122_42
; %bb.60:                               ;   in Loop: Header=BB122_44 Depth=1
	v_or_b32_e32 v37, 7, v1
	v_or_b32_e32 v38, 6, v1
	s_waitcnt vmcnt(0)
	v_lshrrev_b32_e32 v39, 16, v5
	v_cmp_gt_i32_e64 s[0:1], s30, v37
	v_cndmask_b32_e64 v37, 0, v39, s[0:1]
	v_cmp_gt_i32_e64 s[0:1], s24, v38
	v_or_b32_e32 v33, 5, v1
	v_cndmask_b32_e64 v5, 0, v5, s[0:1]
	v_or_b32_e32 v36, 4, v1
	v_perm_b32 v5, v37, v5, s26
	v_lshrrev_b32_e32 v37, 16, v4
	v_cmp_gt_i32_e64 s[0:1], s19, v33
	v_cndmask_b32_e64 v33, 0, v37, s[0:1]
	v_cmp_gt_i32_e64 s[0:1], s18, v36
	v_or_b32_e32 v19, 3, v1
	v_cndmask_b32_e64 v4, 0, v4, s[0:1]
	v_or_b32_e32 v32, 2, v1
	v_perm_b32 v4, v33, v4, s26
	v_lshrrev_b32_e32 v33, 16, v3
	v_cmp_gt_i32_e64 s[0:1], s17, v19
	v_cndmask_b32_e64 v19, 0, v33, s[0:1]
	v_cmp_gt_i32_e64 s[0:1], s16, v32
	v_add_u32_e32 v18, 1, v1
	v_cndmask_b32_e64 v3, 0, v3, s[0:1]
	v_perm_b32 v3, v19, v3, s26
	v_lshrrev_b32_e32 v19, 16, v2
	v_cmp_gt_i32_e64 s[0:1], s15, v18
	v_cndmask_b32_e64 v18, 0, v19, s[0:1]
	v_cmp_gt_i32_e64 s[0:1], s25, v1
	v_cndmask_b32_e64 v2, 0, v2, s[0:1]
	v_perm_b32 v2, v18, v2, s26
	s_branch .LBB122_42
.LBB122_61:
	s_or_b64 exec, exec, s[10:11]
.LBB122_62:
	s_or_b64 exec, exec, s[6:7]
	ds_bpermute_b32 v2, v20, v8
	ds_bpermute_b32 v3, v20, v9
	;; [unrolled: 1-line block ×6, first 2 shown]
	s_waitcnt lgkmcnt(4)
	v_pk_add_f32 v[2:3], v[8:9], v[2:3]
	ds_bpermute_b32 v8, v20, v12
	ds_bpermute_b32 v9, v20, v13
	s_waitcnt lgkmcnt(4)
	v_pk_add_f32 v[4:5], v[14:15], v[4:5]
	s_waitcnt lgkmcnt(2)
	v_pk_add_f32 v[10:11], v[10:11], v[16:17]
	ds_bpermute_b32 v6, v21, v2
	ds_bpermute_b32 v7, v21, v3
	s_waitcnt lgkmcnt(2)
	v_pk_add_f32 v[12:13], v[12:13], v[8:9]
	ds_bpermute_b32 v14, v21, v4
	ds_bpermute_b32 v15, v21, v5
	;; [unrolled: 1-line block ×6, first 2 shown]
	v_and_b32_e32 v1, 0x3c0, v0
	s_waitcnt lgkmcnt(6)
	v_pk_add_f32 v[8:9], v[2:3], v[6:7]
	s_waitcnt lgkmcnt(4)
	v_pk_add_f32 v[6:7], v[4:5], v[14:15]
	;; [unrolled: 2-line block ×4, first 2 shown]
	v_cmp_eq_u32_e32 vcc, 64, v1
	s_barrier
	s_and_saveexec_b64 s[2:3], vcc
	s_cbranch_execz .LBB122_67
; %bb.63:
	v_cmp_eq_u32_e32 vcc, 0, v22
	s_and_saveexec_b64 s[0:1], vcc
	s_cbranch_execz .LBB122_65
; %bb.64:
	v_mov_b32_e32 v1, 0x100
	v_lshl_add_u32 v1, v23, 2, v1
	ds_write2_b32 v1, v8, v9 offset1:16
	ds_write2_b32 v1, v6, v7 offset0:32 offset1:48
	ds_write2_b32 v1, v4, v5 offset0:64 offset1:80
	ds_write_b32 v1, v2 offset:384
.LBB122_65:
	s_or_b64 exec, exec, s[0:1]
	v_or_b32_e32 v1, 0x70, v23
	s_movk_i32 s0, 0x78
	v_cmp_gt_u32_e64 s[0:1], s0, v1
	s_and_b64 s[0:1], vcc, s[0:1]
	s_and_b64 exec, exec, s[0:1]
	s_cbranch_execz .LBB122_67
; %bb.66:
	v_mov_b32_e32 v1, 0x100
	v_lshl_add_u32 v1, v23, 2, v1
	ds_write_b32 v1, v3 offset:448
.LBB122_67:
	s_or_b64 exec, exec, s[2:3]
	v_cmp_gt_u32_e32 vcc, 64, v0
	v_lshrrev_b32_e32 v0, 2, v0
	s_waitcnt lgkmcnt(0)
	s_barrier
	s_and_saveexec_b64 s[6:7], vcc
	s_cbranch_execz .LBB122_79
; %bb.68:
	v_cmp_eq_u32_e64 s[0:1], 0, v22
	s_and_saveexec_b64 s[2:3], s[0:1]
	s_cbranch_execnz .LBB122_85
; %bb.69:
	s_or_b64 exec, exec, s[2:3]
	s_and_saveexec_b64 s[2:3], s[0:1]
	s_cbranch_execnz .LBB122_86
.LBB122_70:
	s_or_b64 exec, exec, s[2:3]
	s_and_saveexec_b64 s[2:3], s[0:1]
	s_cbranch_execnz .LBB122_87
.LBB122_71:
	s_or_b64 exec, exec, s[2:3]
	s_and_saveexec_b64 s[2:3], s[0:1]
	s_cbranch_execnz .LBB122_88
.LBB122_72:
	s_or_b64 exec, exec, s[2:3]
	s_and_saveexec_b64 s[2:3], s[0:1]
	s_cbranch_execnz .LBB122_89
.LBB122_73:
	s_or_b64 exec, exec, s[2:3]
	s_and_saveexec_b64 s[2:3], s[0:1]
	s_cbranch_execnz .LBB122_90
.LBB122_74:
	s_or_b64 exec, exec, s[2:3]
	s_and_saveexec_b64 s[2:3], s[0:1]
	s_cbranch_execz .LBB122_76
.LBB122_75:
	v_mov_b32_e32 v1, 0x100
	v_lshl_add_u32 v1, v0, 2, v1
	ds_read_b32 v1, v1 offset:384
	s_waitcnt lgkmcnt(0)
	v_add_f32_e32 v2, v2, v1
.LBB122_76:
	s_or_b64 exec, exec, s[2:3]
	v_or_b32_e32 v1, 0x70, v0
	s_movk_i32 s2, 0x78
	v_cmp_gt_u32_e64 s[2:3], s2, v1
	s_and_b64 s[2:3], s[0:1], s[2:3]
	s_and_saveexec_b64 s[0:1], s[2:3]
	s_cbranch_execz .LBB122_78
; %bb.77:
	v_mov_b32_e32 v1, 0x100
	v_lshl_add_u32 v1, v0, 2, v1
	ds_read_b32 v1, v1 offset:448
	s_waitcnt lgkmcnt(0)
	v_add_f32_e32 v3, v3, v1
.LBB122_78:
	s_or_b64 exec, exec, s[0:1]
.LBB122_79:
	s_or_b64 exec, exec, s[6:7]
	s_barrier
	s_and_saveexec_b64 s[0:1], vcc
	s_cbranch_execz .LBB122_84
; %bb.80:
	s_mul_i32 s0, s4, 0x78
	s_ashr_i32 s1, s0, 31
	s_lshl_b64 s[0:1], s[0:1], 1
	s_add_u32 s2, s22, s0
	s_mul_i32 s0, s21, s20
	s_addc_u32 s3, s23, s1
	s_ashr_i32 s1, s0, 31
	s_lshl_b64 s[0:1], s[0:1], 1
	s_add_u32 s2, s2, s0
	s_mul_i32 s0, s8, 0x78
	s_addc_u32 s3, s3, s1
	s_ashr_i32 s1, s0, 31
	s_lshl_b64 s[0:1], s[0:1], 1
	s_add_u32 s2, s2, s0
	s_movk_i32 s5, 0x78
	s_addc_u32 s3, s3, s1
	v_cmp_eq_u32_e32 vcc, 0, v22
	v_lshlrev_b32_e32 v1, 1, v0
	s_and_saveexec_b64 s[0:1], vcc
	s_cbranch_execz .LBB122_82
; %bb.81:
	;;#ASMSTART
	v_cvt_f16_f32 v8, v8;

	;;#ASMEND
	global_store_short v1, v8, s[2:3]
	;;#ASMSTART
	v_cvt_f16_f32 v8, v9;

	;;#ASMEND
	global_store_short v1, v8, s[2:3] offset:32
	;;#ASMSTART
	v_cvt_f16_f32 v6, v6;

	;;#ASMEND
	global_store_short v1, v6, s[2:3] offset:64
	;; [unrolled: 5-line block ×6, first 2 shown]
.LBB122_82:
	s_or_b64 exec, exec, s[0:1]
	v_or_b32_e32 v0, 0x70, v0
	v_cmp_gt_u32_e64 s[0:1], s5, v0
	s_and_b64 s[0:1], vcc, s[0:1]
	s_and_b64 exec, exec, s[0:1]
	s_cbranch_execz .LBB122_84
; %bb.83:
	;;#ASMSTART
	v_cvt_f16_f32 v0, v3;

	;;#ASMEND
	global_store_short v1, v0, s[2:3] offset:224
.LBB122_84:
	s_endpgm
.LBB122_85:
	v_mov_b32_e32 v1, 0x100
	v_lshl_add_u32 v1, v0, 2, v1
	ds_read_b32 v1, v1
	s_waitcnt lgkmcnt(0)
	v_add_f32_e32 v8, v8, v1
	s_or_b64 exec, exec, s[2:3]
	s_and_saveexec_b64 s[2:3], s[0:1]
	s_cbranch_execz .LBB122_70
.LBB122_86:
	v_mov_b32_e32 v1, 0x100
	v_lshl_add_u32 v1, v0, 2, v1
	ds_read_b32 v1, v1 offset:64
	s_waitcnt lgkmcnt(0)
	v_add_f32_e32 v9, v9, v1
	s_or_b64 exec, exec, s[2:3]
	s_and_saveexec_b64 s[2:3], s[0:1]
	s_cbranch_execz .LBB122_71
.LBB122_87:
	v_mov_b32_e32 v1, 0x100
	v_lshl_add_u32 v1, v0, 2, v1
	ds_read_b32 v1, v1 offset:128
	s_waitcnt lgkmcnt(0)
	v_add_f32_e32 v6, v6, v1
	s_or_b64 exec, exec, s[2:3]
	s_and_saveexec_b64 s[2:3], s[0:1]
	s_cbranch_execz .LBB122_72
.LBB122_88:
	v_mov_b32_e32 v1, 0x100
	v_lshl_add_u32 v1, v0, 2, v1
	ds_read_b32 v1, v1 offset:192
	s_waitcnt lgkmcnt(0)
	v_add_f32_e32 v7, v7, v1
	s_or_b64 exec, exec, s[2:3]
	s_and_saveexec_b64 s[2:3], s[0:1]
	s_cbranch_execz .LBB122_73
.LBB122_89:
	v_mov_b32_e32 v1, 0x100
	v_lshl_add_u32 v1, v0, 2, v1
	ds_read_b32 v1, v1 offset:256
	s_waitcnt lgkmcnt(0)
	v_add_f32_e32 v4, v4, v1
	s_or_b64 exec, exec, s[2:3]
	s_and_saveexec_b64 s[2:3], s[0:1]
	s_cbranch_execz .LBB122_74
.LBB122_90:
	v_mov_b32_e32 v1, 0x100
	v_lshl_add_u32 v1, v0, 2, v1
	ds_read_b32 v1, v1 offset:320
	s_waitcnt lgkmcnt(0)
	v_add_f32_e32 v5, v5, v1
	s_or_b64 exec, exec, s[2:3]
	s_and_saveexec_b64 s[2:3], s[0:1]
	s_cbranch_execnz .LBB122_75
	s_branch .LBB122_76
	.section	.rodata,"a",@progbits
	.p2align	6, 0x0
	.amdhsa_kernel _ZN4vllm25paged_attention_v2_kernelIttLi120ELi32ELi128ELNS_18Fp8KVCacheDataTypeE0ELb0ELi512EEEvPfS2_PT_PKS3_PKT0_S9_ifPKiSB_iPKfiiiSD_SD_iiiii
		.amdhsa_group_segment_fixed_size 256
		.amdhsa_private_segment_fixed_size 0
		.amdhsa_kernarg_size 400
		.amdhsa_user_sgpr_count 6
		.amdhsa_user_sgpr_private_segment_buffer 1
		.amdhsa_user_sgpr_dispatch_ptr 0
		.amdhsa_user_sgpr_queue_ptr 0
		.amdhsa_user_sgpr_kernarg_segment_ptr 1
		.amdhsa_user_sgpr_dispatch_id 0
		.amdhsa_user_sgpr_flat_scratch_init 0
		.amdhsa_user_sgpr_kernarg_preload_length 0
		.amdhsa_user_sgpr_kernarg_preload_offset 0
		.amdhsa_user_sgpr_private_segment_size 0
		.amdhsa_uses_dynamic_stack 0
		.amdhsa_system_sgpr_private_segment_wavefront_offset 0
		.amdhsa_system_sgpr_workgroup_id_x 1
		.amdhsa_system_sgpr_workgroup_id_y 1
		.amdhsa_system_sgpr_workgroup_id_z 1
		.amdhsa_system_sgpr_workgroup_info 0
		.amdhsa_system_vgpr_workitem_id 0
		.amdhsa_next_free_vgpr 77
		.amdhsa_next_free_sgpr 43
		.amdhsa_accum_offset 80
		.amdhsa_reserve_vcc 1
		.amdhsa_reserve_flat_scratch 0
		.amdhsa_float_round_mode_32 0
		.amdhsa_float_round_mode_16_64 0
		.amdhsa_float_denorm_mode_32 3
		.amdhsa_float_denorm_mode_16_64 3
		.amdhsa_dx10_clamp 1
		.amdhsa_ieee_mode 1
		.amdhsa_fp16_overflow 0
		.amdhsa_tg_split 0
		.amdhsa_exception_fp_ieee_invalid_op 0
		.amdhsa_exception_fp_denorm_src 0
		.amdhsa_exception_fp_ieee_div_zero 0
		.amdhsa_exception_fp_ieee_overflow 0
		.amdhsa_exception_fp_ieee_underflow 0
		.amdhsa_exception_fp_ieee_inexact 0
		.amdhsa_exception_int_div_zero 0
	.end_amdhsa_kernel
	.section	.text._ZN4vllm25paged_attention_v2_kernelIttLi120ELi32ELi128ELNS_18Fp8KVCacheDataTypeE0ELb0ELi512EEEvPfS2_PT_PKS3_PKT0_S9_ifPKiSB_iPKfiiiSD_SD_iiiii,"axG",@progbits,_ZN4vllm25paged_attention_v2_kernelIttLi120ELi32ELi128ELNS_18Fp8KVCacheDataTypeE0ELb0ELi512EEEvPfS2_PT_PKS3_PKT0_S9_ifPKiSB_iPKfiiiSD_SD_iiiii,comdat
.Lfunc_end122:
	.size	_ZN4vllm25paged_attention_v2_kernelIttLi120ELi32ELi128ELNS_18Fp8KVCacheDataTypeE0ELb0ELi512EEEvPfS2_PT_PKS3_PKT0_S9_ifPKiSB_iPKfiiiSD_SD_iiiii, .Lfunc_end122-_ZN4vllm25paged_attention_v2_kernelIttLi120ELi32ELi128ELNS_18Fp8KVCacheDataTypeE0ELb0ELi512EEEvPfS2_PT_PKS3_PKT0_S9_ifPKiSB_iPKfiiiSD_SD_iiiii
                                        ; -- End function
	.section	.AMDGPU.csdata,"",@progbits
; Kernel info:
; codeLenInByte = 9224
; NumSgprs: 47
; NumVgprs: 77
; NumAgprs: 0
; TotalNumVgprs: 77
; ScratchSize: 0
; MemoryBound: 0
; FloatMode: 240
; IeeeMode: 1
; LDSByteSize: 256 bytes/workgroup (compile time only)
; SGPRBlocks: 5
; VGPRBlocks: 9
; NumSGPRsForWavesPerEU: 47
; NumVGPRsForWavesPerEU: 77
; AccumOffset: 80
; Occupancy: 6
; WaveLimiterHint : 1
; COMPUTE_PGM_RSRC2:SCRATCH_EN: 0
; COMPUTE_PGM_RSRC2:USER_SGPR: 6
; COMPUTE_PGM_RSRC2:TRAP_HANDLER: 0
; COMPUTE_PGM_RSRC2:TGID_X_EN: 1
; COMPUTE_PGM_RSRC2:TGID_Y_EN: 1
; COMPUTE_PGM_RSRC2:TGID_Z_EN: 1
; COMPUTE_PGM_RSRC2:TIDIG_COMP_CNT: 0
; COMPUTE_PGM_RSRC3_GFX90A:ACCUM_OFFSET: 19
; COMPUTE_PGM_RSRC3_GFX90A:TG_SPLIT: 0
	.section	.text._ZN4vllm25paged_attention_v2_kernelIttLi128ELi32ELi128ELNS_18Fp8KVCacheDataTypeE0ELb0ELi512EEEvPfS2_PT_PKS3_PKT0_S9_ifPKiSB_iPKfiiiSD_SD_iiiii,"axG",@progbits,_ZN4vllm25paged_attention_v2_kernelIttLi128ELi32ELi128ELNS_18Fp8KVCacheDataTypeE0ELb0ELi512EEEvPfS2_PT_PKS3_PKT0_S9_ifPKiSB_iPKfiiiSD_SD_iiiii,comdat
	.protected	_ZN4vllm25paged_attention_v2_kernelIttLi128ELi32ELi128ELNS_18Fp8KVCacheDataTypeE0ELb0ELi512EEEvPfS2_PT_PKS3_PKT0_S9_ifPKiSB_iPKfiiiSD_SD_iiiii ; -- Begin function _ZN4vllm25paged_attention_v2_kernelIttLi128ELi32ELi128ELNS_18Fp8KVCacheDataTypeE0ELb0ELi512EEEvPfS2_PT_PKS3_PKT0_S9_ifPKiSB_iPKfiiiSD_SD_iiiii
	.globl	_ZN4vllm25paged_attention_v2_kernelIttLi128ELi32ELi128ELNS_18Fp8KVCacheDataTypeE0ELb0ELi512EEEvPfS2_PT_PKS3_PKT0_S9_ifPKiSB_iPKfiiiSD_SD_iiiii
	.p2align	8
	.type	_ZN4vllm25paged_attention_v2_kernelIttLi128ELi32ELi128ELNS_18Fp8KVCacheDataTypeE0ELb0ELi512EEEvPfS2_PT_PKS3_PKT0_S9_ifPKiSB_iPKfiiiSD_SD_iiiii,@function
_ZN4vllm25paged_attention_v2_kernelIttLi128ELi32ELi128ELNS_18Fp8KVCacheDataTypeE0ELb0ELi512EEEvPfS2_PT_PKS3_PKT0_S9_ifPKiSB_iPKfiiiSD_SD_iiiii: ; @_ZN4vllm25paged_attention_v2_kernelIttLi128ELi32ELi128ELNS_18Fp8KVCacheDataTypeE0ELb0ELi512EEEvPfS2_PT_PKS3_PKT0_S9_ifPKiSB_iPKfiiiSD_SD_iiiii
; %bb.0:
	s_load_dwordx2 s[0:1], s[4:5], 0x40
	s_mov_b32 s24, s7
	s_ashr_i32 s25, s7, 31
	s_lshl_b64 s[2:3], s[24:25], 2
	s_waitcnt lgkmcnt(0)
	s_add_u32 s0, s0, s2
	s_addc_u32 s1, s1, s3
	s_load_dword s25, s[0:1], 0x0
	s_lshl_b32 s33, s8, 9
	s_waitcnt lgkmcnt(0)
	s_cmp_ge_i32 s33, s25
	s_cbranch_scc1 .LBB123_75
; %bb.1:
	s_load_dword s9, s[4:5], 0x90
	s_load_dwordx2 s[10:11], s[4:5], 0x30
	s_mov_b32 s40, 0
	s_waitcnt lgkmcnt(0)
	s_abs_i32 s2, s9
	s_abs_i32 s0, s10
	v_cvt_f32_u32_e32 v1, s0
	s_sub_i32 s3, 0, s0
	s_xor_b32 s1, s9, s10
	s_ashr_i32 s1, s1, 31
	v_rcp_iflag_f32_e32 v1, v1
	v_mul_f32_e32 v1, 0x4f7ffffe, v1
	v_cvt_u32_f32_e32 v1, v1
	v_readfirstlane_b32 s7, v1
	s_mul_i32 s3, s3, s7
	s_mul_hi_u32 s3, s7, s3
	s_add_i32 s7, s7, s3
	s_mul_hi_u32 s3, s2, s7
	s_mul_i32 s7, s3, s0
	s_sub_i32 s2, s2, s7
	s_add_i32 s10, s3, 1
	s_sub_i32 s7, s2, s0
	s_cmp_ge_u32 s2, s0
	s_cselect_b32 s3, s10, s3
	s_cselect_b32 s2, s7, s2
	s_add_i32 s7, s3, 1
	s_cmp_ge_u32 s2, s0
	s_cselect_b32 s0, s7, s3
	s_xor_b32 s0, s0, s1
	s_sub_i32 s10, s0, s1
	s_abs_i32 s2, s10
	v_cvt_f32_u32_e32 v1, s2
	s_load_dwordx2 s[0:1], s[4:5], 0x50
	s_sub_i32 s7, 0, s2
	s_abs_i32 s3, s6
	v_rcp_iflag_f32_e32 v1, v1
	v_mul_f32_e32 v1, 0x4f7ffffe, v1
	v_cvt_u32_f32_e32 v1, v1
	v_readfirstlane_b32 s12, v1
	s_mul_i32 s7, s7, s12
	s_mul_hi_u32 s7, s12, s7
	s_add_i32 s12, s12, s7
	s_waitcnt lgkmcnt(0)
	s_cmp_eq_u64 s[0:1], 0
	s_mul_hi_u32 s16, s3, s12
	s_cbranch_scc1 .LBB123_3
; %bb.2:
	s_ashr_i32 s7, s6, 31
	s_lshl_b64 s[12:13], s[6:7], 2
	s_add_u32 s0, s0, s12
	s_addc_u32 s1, s1, s13
	s_load_dword s40, s[0:1], 0x0
.LBB123_3:
	s_load_dwordx4 s[12:15], s[4:5], 0x58
	s_ashr_i32 s17, s6, 31
	s_ashr_i32 s18, s10, 31
	v_and_b32_e32 v2, 1, v0
	s_lshl_b32 s20, s6, 7
	v_cmp_gt_u32_e32 vcc, 32, v0
	v_lshlrev_b32_e32 v1, 3, v0
	s_and_saveexec_b64 s[0:1], vcc
	s_cbranch_execz .LBB123_5
; %bb.4:
	s_load_dwordx2 s[22:23], s[4:5], 0x18
	s_waitcnt lgkmcnt(0)
	s_mul_i32 s26, s24, s12
	s_ashr_i32 s27, s26, 31
	s_lshl_b64 s[26:27], s[26:27], 1
	v_lshlrev_b32_e32 v3, 2, v0
	s_add_u32 s7, s22, s26
	s_addc_u32 s10, s23, s27
	s_ashr_i32 s21, s20, 31
	s_lshl_b64 s[22:23], s[20:21], 1
	s_add_u32 s22, s7, s22
	s_addc_u32 s23, s10, s23
	global_load_dwordx2 v[4:5], v1, s[22:23]
	v_and_b32_e32 v3, 0xff8, v3
	v_lshl_add_u32 v3, v2, 7, v3
	s_waitcnt vmcnt(0)
	ds_write_b64 v3, v[4:5]
.LBB123_5:
	s_or_b64 exec, exec, s[0:1]
	s_add_i32 s0, s25, 31
	s_ashr_i32 s1, s0, 31
	s_lshr_b32 s1, s1, 27
	s_add_i32 s0, s0, s1
	s_lshl_b32 s10, s8, 4
	s_mul_i32 s1, s16, s2
	s_ashr_i32 s7, s0, 5
	s_add_i32 s0, s10, 16
	s_sub_i32 s1, s3, s1
	s_min_i32 s21, s0, s7
	s_xor_b32 s0, s17, s18
	s_add_i32 s3, s16, 1
	s_waitcnt lgkmcnt(0)
	s_sub_i32 s12, s1, s2
	s_cmp_ge_u32 s1, s2
	s_cselect_b32 s3, s3, s16
	s_cselect_b32 s1, s12, s1
	s_add_i32 s12, s3, 1
	s_cmp_ge_u32 s1, s2
	s_load_dwordx2 s[26:27], s[4:5], 0x38
	s_load_dword s2, s[4:5], 0x48
	v_lshrrev_b32_e32 v30, 6, v0
	s_cselect_b32 s1, s12, s3
	s_xor_b32 s1, s1, s0
	v_or_b32_e32 v6, s10, v30
	s_waitcnt lgkmcnt(0)
	s_mul_i32 s28, s24, s2
	s_sub_i32 s15, s1, s0
	s_ashr_i32 s29, s28, 31
	v_cmp_gt_i32_e64 s[0:1], s21, v6
	v_cmp_le_i32_e32 vcc, s21, v6
	v_mbcnt_lo_u32_b32 v4, -1, 0
	s_barrier
	s_waitcnt lgkmcnt(0)
                                        ; implicit-def: $sgpr36
                                        ; implicit-def: $vgpr32
                                        ; implicit-def: $vgpr33
	s_and_saveexec_b64 s[2:3], vcc
	s_xor_b64 s[2:3], exec, s[2:3]
; %bb.6:
	v_mbcnt_hi_u32_b32 v32, -1, v4
	v_and_b32_e32 v2, 64, v32
	v_add_u32_e32 v33, 64, v2
	s_mov_b32 s36, 0xff7fffff
                                        ; implicit-def: $vgpr2
                                        ; implicit-def: $vgpr4
; %bb.7:
	s_or_saveexec_b64 s[34:35], s[2:3]
	s_load_dwordx4 s[16:19], s[4:5], 0x0
	s_load_dwordx2 s[22:23], s[4:5], 0x10
	s_load_dwordx2 s[30:31], s[4:5], 0x28
	s_load_dword s12, s[4:5], 0x98
	v_mov_b32_e32 v34, s36
	s_mul_i32 s14, s15, s14
	v_ashrrev_i32_e32 v7, 31, v6
	v_lshlrev_b32_e32 v31, 5, v30
	s_xor_b64 exec, exec, s[34:35]
	s_cbranch_execz .LBB123_13
; %bb.8:
	s_load_dwordx2 s[2:3], s[4:5], 0x20
	s_ashr_i32 s15, s14, 31
	s_lshl_b64 s[4:5], s[14:15], 1
	v_bfe_u32 v3, v0, 1, 5
	v_lshlrev_b32_e32 v5, 4, v3
	s_waitcnt lgkmcnt(0)
	s_add_u32 s2, s2, s4
	s_addc_u32 s3, s3, s5
	v_mov_b32_e32 v8, s3
	v_add_co_u32_e32 v5, vcc, s2, v5
	v_addc_co_u32_e32 v8, vcc, 0, v8, vcc
	v_and_b32_e32 v9, 8, v1
	v_add_co_u32_e32 v35, vcc, v5, v9
	v_addc_co_u32_e32 v36, vcc, 0, v8, vcc
	v_lshlrev_b32_e32 v37, 7, v2
	v_cmp_eq_u32_e32 vcc, 0, v2
	s_sub_i32 s15, 1, s25
	v_lshlrev_b32_e32 v2, 2, v3
	s_lshl_b64 s[4:5], s[28:29], 2
	v_lshl_or_b32 v2, v30, 7, v2
	s_add_u32 s4, s26, s4
	v_add3_u32 v38, s33, v31, v3
	v_add_u32_e32 v39, 0x110, v2
	v_lshlrev_b64 v[2:3], 2, v[6:7]
	s_addc_u32 s5, s27, s5
	v_mbcnt_hi_u32_b32 v32, -1, v4
	v_mov_b32_e32 v5, s5
	v_add_co_u32_e64 v2, s[4:5], s4, v2
	v_and_b32_e32 v4, 64, v32
	s_mov_b32 s41, s13
	v_cmp_neq_f32_e64 s[2:3], s40, 0
	v_addc_co_u32_e64 v3, s[4:5], v5, v3, s[4:5]
	s_mov_b64 s[36:37], 0
	v_mov_b32_e32 v34, 0xff7fffff
	s_movk_i32 s42, 0x1000
	v_xor_b32_e32 v40, 1, v32
	v_add_u32_e32 v33, 64, v4
	v_mov_b32_e32 v41, v6
	s_branch .LBB123_10
.LBB123_9:                              ;   in Loop: Header=BB123_10 Depth=1
	s_or_b64 exec, exec, s[38:39]
	v_add_u32_e32 v41, 2, v41
	v_cmp_le_i32_e64 s[4:5], s21, v41
	s_or_b64 s[36:37], s[4:5], s[36:37]
	v_add_co_u32_e64 v2, s[4:5], 8, v2
	v_add_u32_e32 v38, 64, v38
	v_add_u32_e32 v39, 0x100, v39
	v_addc_co_u32_e64 v3, s[4:5], 0, v3, s[4:5]
	s_andn2_b64 exec, exec, s[36:37]
	s_cbranch_execz .LBB123_12
.LBB123_10:                             ; =>This Inner Loop Header: Depth=1
	global_load_dword v4, v[2:3], off
	s_waitcnt vmcnt(0) lgkmcnt(0)
	v_mad_i64_i32 v[4:5], s[4:5], v4, s41, 0
	v_lshlrev_b64 v[4:5], 1, v[4:5]
	v_add_co_u32_e64 v4, s[4:5], v35, v4
	v_addc_co_u32_e64 v5, s[4:5], v36, v5, s[4:5]
	global_load_dwordx2 v[44:45], v[4:5], off
	global_load_dwordx2 v[46:47], v[4:5], off offset:512
	global_load_dwordx2 v[48:49], v[4:5], off offset:1024
	;; [unrolled: 1-line block ×7, first 2 shown]
	v_add_co_u32_e64 v42, s[4:5], s42, v4
	v_addc_co_u32_e64 v43, s[4:5], 0, v5, s[4:5]
	global_load_dwordx2 v[20:21], v[42:43], off
	ds_read_b64 v[4:5], v37
	v_cmp_lt_i32_e64 s[4:5], v40, v33
	s_waitcnt lgkmcnt(0)
	v_lshrrev_b32_e32 v52, 16, v4
	v_and_b32_e32 v53, 0xffff, v4
	v_lshrrev_b32_e32 v54, 16, v5
	v_and_b32_e32 v55, 0xffff, v5
	global_load_dwordx2 v[18:19], v[42:43], off offset:512
	global_load_dwordx2 v[16:17], v[42:43], off offset:1024
	;; [unrolled: 1-line block ×7, first 2 shown]
	;;#ASMSTART
	v_cvt_f32_f16 v42, v53;
	;;#ASMEND
	;;#ASMSTART
	v_cvt_f32_f16 v43, v52;
	;;#ASMEND
	s_waitcnt vmcnt(15)
	v_lshrrev_b32_e32 v52, 16, v44
	v_and_b32_e32 v44, 0xffff, v44
	v_lshrrev_b32_e32 v53, 16, v45
	v_and_b32_e32 v45, 0xffff, v45
	;;#ASMSTART
	v_cvt_f32_f16 v44, v44;
	;;#ASMEND
	;;#ASMSTART
	v_cvt_f32_f16 v52, v52;
	;;#ASMEND
	;; [unrolled: 3-line block ×3, first 2 shown]
	s_waitcnt vmcnt(8)
	v_lshrrev_b32_e32 v70, 16, v22
	v_and_b32_e32 v71, 0xffff, v22
	v_lshrrev_b32_e32 v72, 16, v23
	v_and_b32_e32 v73, 0xffff, v23
	;;#ASMSTART
	v_cvt_f32_f16 v54, v54;
	;;#ASMEND
	;;#ASMSTART
	v_cvt_f32_f16 v45, v45;
	;;#ASMEND
	;; [unrolled: 3-line block ×3, first 2 shown]
	ds_read_b64 v[22:23], v37 offset:8
	v_lshrrev_b32_e32 v56, 16, v46
	v_and_b32_e32 v46, 0xffff, v46
	v_lshrrev_b32_e32 v57, 16, v47
	v_and_b32_e32 v47, 0xffff, v47
	s_waitcnt vmcnt(7)
	v_lshrrev_b32_e32 v74, 16, v20
	v_and_b32_e32 v75, 0xffff, v20
	v_lshrrev_b32_e32 v76, 16, v21
	v_and_b32_e32 v77, 0xffff, v21
	s_waitcnt lgkmcnt(0)
	v_and_b32_e32 v20, 0xffff, v22
	v_lshrrev_b32_e32 v21, 16, v22
	v_lshrrev_b32_e32 v22, 16, v23
	v_and_b32_e32 v23, 0xffff, v23
	v_lshrrev_b32_e32 v66, 16, v24
	v_and_b32_e32 v67, 0xffff, v24
	;; [unrolled: 2-line block ×3, first 2 shown]
	;;#ASMSTART
	v_cvt_f32_f16 v20, v20;
	;;#ASMEND
	;;#ASMSTART
	v_cvt_f32_f16 v21, v21;
	;;#ASMEND
	;; [unrolled: 3-line block ×8, first 2 shown]
	ds_read_b64 v[24:25], v37 offset:16
	v_mul_f32_e32 v20, v20, v46
	v_mul_f32_e32 v21, v21, v56
	v_lshrrev_b32_e32 v58, 16, v48
	v_and_b32_e32 v48, 0xffff, v48
	v_lshrrev_b32_e32 v59, 16, v49
	v_and_b32_e32 v49, 0xffff, v49
	v_mul_f32_e32 v22, v23, v22
	v_fmac_f32_e32 v20, v42, v44
	v_fmac_f32_e32 v21, v43, v52
	s_waitcnt lgkmcnt(0)
	v_lshrrev_b32_e32 v42, 16, v24
	v_and_b32_e32 v24, 0xffff, v24
	v_lshrrev_b32_e32 v43, 16, v25
	v_and_b32_e32 v25, 0xffff, v25
	v_mul_f32_e32 v23, v78, v47
	v_fmac_f32_e32 v22, v55, v45
	;;#ASMSTART
	v_cvt_f32_f16 v44, v24;
	;;#ASMEND
	;;#ASMSTART
	v_cvt_f32_f16 v42, v42;
	;;#ASMEND
	;;#ASMSTART
	v_cvt_f32_f16 v45, v48;
	;;#ASMEND
	;;#ASMSTART
	v_cvt_f32_f16 v46, v58;
	;;#ASMEND
	;;#ASMSTART
	v_cvt_f32_f16 v47, v25;
	;;#ASMEND
	;;#ASMSTART
	v_cvt_f32_f16 v43, v43;
	;;#ASMEND
	;;#ASMSTART
	v_cvt_f32_f16 v48, v49;
	;;#ASMEND
	;;#ASMSTART
	v_cvt_f32_f16 v49, v59;
	;;#ASMEND
	ds_read_b64 v[24:25], v37 offset:24
	v_fmac_f32_e32 v23, v54, v53
	v_fmac_f32_e32 v21, v42, v46
	;; [unrolled: 1-line block ×3, first 2 shown]
	v_lshrrev_b32_e32 v60, 16, v50
	s_waitcnt lgkmcnt(0)
	v_lshrrev_b32_e32 v42, 16, v24
	v_and_b32_e32 v24, 0xffff, v24
	v_lshrrev_b32_e32 v43, 16, v25
	v_and_b32_e32 v25, 0xffff, v25
	v_and_b32_e32 v50, 0xffff, v50
	v_lshrrev_b32_e32 v61, 16, v51
	v_and_b32_e32 v51, 0xffff, v51
	v_fmac_f32_e32 v20, v44, v45
	v_fmac_f32_e32 v22, v47, v48
	;;#ASMSTART
	v_cvt_f32_f16 v44, v24;
	;;#ASMEND
	;;#ASMSTART
	v_cvt_f32_f16 v42, v42;
	;;#ASMEND
	;; [unrolled: 3-line block ×8, first 2 shown]
	ds_read_b64 v[24:25], v37 offset:32
	v_lshrrev_b32_e32 v62, 16, v28
	v_and_b32_e32 v28, 0xffff, v28
	v_lshrrev_b32_e32 v63, 16, v29
	v_and_b32_e32 v29, 0xffff, v29
	v_fmac_f32_e32 v21, v42, v46
	v_fmac_f32_e32 v23, v43, v49
	s_waitcnt lgkmcnt(0)
	v_lshrrev_b32_e32 v42, 16, v24
	v_and_b32_e32 v24, 0xffff, v24
	v_lshrrev_b32_e32 v43, 16, v25
	v_and_b32_e32 v25, 0xffff, v25
	v_fmac_f32_e32 v20, v44, v45
	v_fmac_f32_e32 v22, v47, v48
	;;#ASMSTART
	v_cvt_f32_f16 v44, v24;
	;;#ASMEND
	;;#ASMSTART
	v_cvt_f32_f16 v42, v42;
	;;#ASMEND
	;; [unrolled: 3-line block ×8, first 2 shown]
	ds_read_b64 v[24:25], v37 offset:40
	v_lshrrev_b32_e32 v64, 16, v26
	v_and_b32_e32 v26, 0xffff, v26
	v_lshrrev_b32_e32 v65, 16, v27
	v_and_b32_e32 v27, 0xffff, v27
	v_fmac_f32_e32 v20, v44, v28
	v_fmac_f32_e32 v22, v46, v29
	s_waitcnt lgkmcnt(0)
	v_lshrrev_b32_e32 v28, 16, v24
	v_and_b32_e32 v24, 0xffff, v24
	v_lshrrev_b32_e32 v29, 16, v25
	v_and_b32_e32 v25, 0xffff, v25
	v_fmac_f32_e32 v21, v42, v45
	v_fmac_f32_e32 v23, v43, v47
	;;#ASMSTART
	v_cvt_f32_f16 v42, v24;
	;;#ASMEND
	;;#ASMSTART
	v_cvt_f32_f16 v28, v28;
	;;#ASMEND
	;;#ASMSTART
	v_cvt_f32_f16 v26, v26;
	;;#ASMEND
	;;#ASMSTART
	v_cvt_f32_f16 v43, v64;
	;;#ASMEND
	;;#ASMSTART
	v_cvt_f32_f16 v44, v25;
	;;#ASMEND
	;;#ASMSTART
	v_cvt_f32_f16 v29, v29;
	;;#ASMEND
	;;#ASMSTART
	v_cvt_f32_f16 v27, v27;
	;;#ASMEND
	;;#ASMSTART
	v_cvt_f32_f16 v45, v65;
	;;#ASMEND
	ds_read_b64 v[24:25], v37 offset:48
	v_fmac_f32_e32 v20, v42, v26
	v_fmac_f32_e32 v22, v44, v27
	v_fmac_f32_e32 v21, v28, v43
	v_fmac_f32_e32 v23, v29, v45
	s_waitcnt lgkmcnt(0)
	v_lshrrev_b32_e32 v26, 16, v24
	v_and_b32_e32 v24, 0xffff, v24
	v_lshrrev_b32_e32 v27, 16, v25
	v_and_b32_e32 v25, 0xffff, v25
	;;#ASMSTART
	v_cvt_f32_f16 v28, v24;
	;;#ASMEND
	;;#ASMSTART
	v_cvt_f32_f16 v26, v26;
	;;#ASMEND
	;;#ASMSTART
	v_cvt_f32_f16 v29, v67;
	;;#ASMEND
	;;#ASMSTART
	v_cvt_f32_f16 v42, v66;
	;;#ASMEND
	;;#ASMSTART
	v_cvt_f32_f16 v43, v25;
	;;#ASMEND
	;;#ASMSTART
	v_cvt_f32_f16 v27, v27;
	;;#ASMEND
	;;#ASMSTART
	v_cvt_f32_f16 v44, v69;
	;;#ASMEND
	;;#ASMSTART
	v_cvt_f32_f16 v45, v68;
	;;#ASMEND
	ds_read_b64 v[24:25], v37 offset:56
	v_fmac_f32_e32 v21, v26, v42
	v_fmac_f32_e32 v23, v27, v45
	v_fmac_f32_e32 v20, v28, v29
	v_fmac_f32_e32 v22, v43, v44
	s_waitcnt lgkmcnt(0)
	v_lshrrev_b32_e32 v26, 16, v24
	v_and_b32_e32 v24, 0xffff, v24
	v_lshrrev_b32_e32 v27, 16, v25
	v_and_b32_e32 v25, 0xffff, v25
	;; [unrolled: 34-line block ×3, first 2 shown]
	;;#ASMSTART
	v_cvt_f32_f16 v28, v24;
	;;#ASMEND
	;;#ASMSTART
	v_cvt_f32_f16 v26, v26;
	;;#ASMEND
	;;#ASMSTART
	v_cvt_f32_f16 v29, v75;
	;;#ASMEND
	;;#ASMSTART
	v_cvt_f32_f16 v42, v74;
	;;#ASMEND
	;;#ASMSTART
	v_cvt_f32_f16 v43, v25;
	;;#ASMEND
	;;#ASMSTART
	v_cvt_f32_f16 v27, v27;
	;;#ASMEND
	;;#ASMSTART
	v_cvt_f32_f16 v44, v77;
	;;#ASMEND
	;;#ASMSTART
	v_cvt_f32_f16 v45, v76;
	;;#ASMEND
	ds_read_b64 v[24:25], v37 offset:72
	v_fmac_f32_e32 v21, v26, v42
	v_fmac_f32_e32 v23, v27, v45
	s_waitcnt vmcnt(6)
	v_lshrrev_b32_e32 v27, 16, v18
	v_and_b32_e32 v18, 0xffff, v18
	s_waitcnt lgkmcnt(0)
	v_lshrrev_b32_e32 v26, 16, v24
	v_and_b32_e32 v24, 0xffff, v24
	v_fmac_f32_e32 v20, v28, v29
	;;#ASMSTART
	v_cvt_f32_f16 v24, v24;
	;;#ASMEND
	;;#ASMSTART
	v_cvt_f32_f16 v26, v26;
	;;#ASMEND
	;;#ASMSTART
	v_cvt_f32_f16 v28, v18;
	;;#ASMEND
	v_lshrrev_b32_e32 v18, 16, v25
	v_and_b32_e32 v25, 0xffff, v25
	;;#ASMSTART
	v_cvt_f32_f16 v27, v27;
	;;#ASMEND
	;;#ASMSTART
	v_cvt_f32_f16 v25, v25;
	;;#ASMEND
	;;#ASMSTART
	v_cvt_f32_f16 v29, v18;
	;;#ASMEND
	v_lshrrev_b32_e32 v18, 16, v19
	v_and_b32_e32 v19, 0xffff, v19
	v_fmac_f32_e32 v22, v43, v44
	;;#ASMSTART
	v_cvt_f32_f16 v42, v19;
	;;#ASMEND
	;;#ASMSTART
	v_cvt_f32_f16 v43, v18;
	;;#ASMEND
	ds_read_b64 v[18:19], v37 offset:80
	v_fmac_f32_e32 v20, v24, v28
	v_fmac_f32_e32 v22, v25, v42
	s_waitcnt vmcnt(5)
	v_lshrrev_b32_e32 v25, 16, v16
	v_and_b32_e32 v16, 0xffff, v16
	s_waitcnt lgkmcnt(0)
	v_lshrrev_b32_e32 v24, 16, v18
	v_and_b32_e32 v18, 0xffff, v18
	v_fmac_f32_e32 v21, v26, v27
	;;#ASMSTART
	v_cvt_f32_f16 v18, v18;
	;;#ASMEND
	;;#ASMSTART
	v_cvt_f32_f16 v24, v24;
	;;#ASMEND
	;;#ASMSTART
	v_cvt_f32_f16 v26, v16;
	;;#ASMEND
	v_lshrrev_b32_e32 v16, 16, v19
	v_and_b32_e32 v19, 0xffff, v19
	;;#ASMSTART
	v_cvt_f32_f16 v25, v25;
	;;#ASMEND
	;;#ASMSTART
	v_cvt_f32_f16 v19, v19;
	;;#ASMEND
	;;#ASMSTART
	v_cvt_f32_f16 v27, v16;
	;;#ASMEND
	v_lshrrev_b32_e32 v16, 16, v17
	v_and_b32_e32 v17, 0xffff, v17
	v_fmac_f32_e32 v23, v29, v43
	;;#ASMSTART
	v_cvt_f32_f16 v28, v17;
	;;#ASMEND
	;;#ASMSTART
	v_cvt_f32_f16 v29, v16;
	;;#ASMEND
	;; [unrolled: 39-line block ×6, first 2 shown]
	ds_read_b64 v[8:9], v37 offset:120
	v_fmac_f32_e32 v20, v10, v14
	v_fmac_f32_e32 v22, v11, v16
	s_waitcnt vmcnt(0)
	v_lshrrev_b32_e32 v11, 16, v4
	v_and_b32_e32 v4, 0xffff, v4
	s_waitcnt lgkmcnt(0)
	v_lshrrev_b32_e32 v10, 16, v8
	v_and_b32_e32 v8, 0xffff, v8
	;;#ASMSTART
	v_cvt_f32_f16 v8, v8;
	;;#ASMEND
	;;#ASMSTART
	v_cvt_f32_f16 v10, v10;
	;;#ASMEND
	;; [unrolled: 3-line block ×3, first 2 shown]
	v_fmac_f32_e32 v21, v12, v13
	v_fmac_f32_e32 v20, v8, v4
	v_lshrrev_b32_e32 v4, 16, v9
	v_and_b32_e32 v8, 0xffff, v9
	v_fmac_f32_e32 v23, v15, v17
	;;#ASMSTART
	v_cvt_f32_f16 v11, v11;
	;;#ASMEND
	v_fmac_f32_e32 v21, v10, v11
	;;#ASMSTART
	v_cvt_f32_f16 v8, v8;
	;;#ASMEND
	;;#ASMSTART
	v_cvt_f32_f16 v4, v4;
	;;#ASMEND
	v_lshrrev_b32_e32 v9, 16, v5
	v_and_b32_e32 v5, 0xffff, v5
	;;#ASMSTART
	v_cvt_f32_f16 v5, v5;
	;;#ASMEND
	;;#ASMSTART
	v_cvt_f32_f16 v9, v9;
	;;#ASMEND
	v_fmac_f32_e32 v22, v8, v5
	v_fmac_f32_e32 v23, v4, v9
	v_add_f32_e32 v4, v20, v21
	v_add_f32_e32 v4, v4, v22
	v_cndmask_b32_e64 v5, v32, v40, s[4:5]
	v_add_f32_e32 v4, v23, v4
	v_lshlrev_b32_e32 v5, 2, v5
	ds_bpermute_b32 v5, v5, v4
	s_and_saveexec_b64 s[38:39], vcc
	s_cbranch_execz .LBB123_9
; %bb.11:                               ;   in Loop: Header=BB123_10 Depth=1
	v_add_u32_e32 v8, s15, v38
	v_cvt_f32_i32_e32 v8, v8
	s_waitcnt lgkmcnt(0)
	v_add_f32_e32 v4, v4, v5
	v_cmp_gt_i32_e64 s[4:5], s25, v38
	v_max_f32_e32 v5, v34, v34
	v_mul_f32_e32 v8, s40, v8
	v_cndmask_b32_e64 v8, 0, v8, s[2:3]
	v_fmac_f32_e32 v8, s11, v4
	v_cndmask_b32_e64 v4, 0, v8, s[4:5]
	ds_write_b32 v39, v4
	v_max_f32_e32 v4, v5, v8
	v_cndmask_b32_e64 v34, v34, v4, s[4:5]
	s_branch .LBB123_9
.LBB123_12:
	s_or_b64 exec, exec, s[36:37]
.LBB123_13:
	s_or_b64 exec, exec, s[34:35]
	v_xor_b32_e32 v2, 32, v32
	v_cmp_lt_i32_e32 vcc, v2, v33
	v_cndmask_b32_e32 v2, v32, v2, vcc
	v_lshlrev_b32_e32 v2, 2, v2
	ds_bpermute_b32 v3, v2, v34
	s_waitcnt lgkmcnt(0)
	v_xor_b32_e32 v5, 16, v32
	v_max_f32_e32 v4, v34, v34
	v_cmp_lt_i32_e32 vcc, v5, v33
	v_xor_b32_e32 v8, 8, v32
	v_max_f32_e32 v3, v3, v3
	v_max_f32_e32 v4, v4, v3
	v_cndmask_b32_e32 v3, v32, v5, vcc
	v_lshlrev_b32_e32 v3, 2, v3
	ds_bpermute_b32 v5, v3, v4
	v_cmp_lt_i32_e32 vcc, v8, v33
	v_xor_b32_e32 v9, 4, v32
	v_xor_b32_e32 v10, 2, v32
	v_and_b32_e32 v20, 63, v0
	s_waitcnt lgkmcnt(0)
	v_max_f32_e32 v5, v5, v5
	v_max_f32_e32 v4, v4, v5
	v_cndmask_b32_e32 v5, v32, v8, vcc
	v_lshlrev_b32_e32 v5, 2, v5
	ds_bpermute_b32 v8, v5, v4
	v_cmp_lt_i32_e32 vcc, v9, v33
	s_waitcnt lgkmcnt(0)
	v_max_f32_e32 v8, v8, v8
	v_max_f32_e32 v4, v4, v8
	v_cndmask_b32_e32 v8, v32, v9, vcc
	v_lshlrev_b32_e32 v8, 2, v8
	ds_bpermute_b32 v9, v8, v4
	v_cmp_lt_i32_e32 vcc, v10, v33
	s_waitcnt lgkmcnt(0)
	v_max_f32_e32 v9, v9, v9
	v_max_f32_e32 v4, v4, v9
	v_cndmask_b32_e32 v9, v32, v10, vcc
	v_lshlrev_b32_e32 v21, 2, v9
	ds_bpermute_b32 v10, v21, v4
	v_cmp_eq_u32_e32 vcc, 0, v20
	v_lshlrev_b32_e32 v9, 2, v30
	s_and_saveexec_b64 s[2:3], vcc
	s_cbranch_execz .LBB123_15
; %bb.14:
	s_waitcnt lgkmcnt(0)
	v_max_f32_e32 v10, v10, v10
	v_max_f32_e32 v4, v4, v4
	;; [unrolled: 1-line block ×3, first 2 shown]
	ds_write_b32 v9, v4 offset:256
.LBB123_15:
	s_or_b64 exec, exec, s[2:3]
	v_cmp_gt_u32_e64 s[2:3], 2, v20
	v_mov_b32_e32 v4, 0xff7fffff
	s_waitcnt lgkmcnt(0)
	v_lshlrev_b32_e32 v10, 2, v20
	s_barrier
	s_and_saveexec_b64 s[4:5], s[2:3]
	s_cbranch_execz .LBB123_17
; %bb.16:
	ds_read_b32 v4, v10 offset:256
.LBB123_17:
	s_or_b64 exec, exec, s[4:5]
	v_xor_b32_e32 v11, 1, v32
	v_cmp_lt_i32_e64 s[4:5], v11, v33
	v_cndmask_b32_e64 v11, v32, v11, s[4:5]
	v_lshlrev_b32_e32 v22, 2, v11
	s_waitcnt lgkmcnt(0)
	ds_bpermute_b32 v11, v22, v4
	v_max_f32_e32 v4, v4, v4
	s_sub_i32 s4, s21, s10
	s_lshl_b32 s4, s4, 5
	s_add_i32 s4, s4, s33
	s_waitcnt lgkmcnt(0)
	v_max_f32_e32 v11, v11, v11
	v_max_f32_e32 v4, v4, v11
	v_lshlrev_b32_e32 v11, 2, v32
	v_and_b32_e32 v11, 0xffffff00, v11
	ds_bpermute_b32 v4, v11, v4
	s_min_i32 s38, s4, s25
	s_sub_i32 s15, s38, s33
	v_cmp_gt_i32_e64 s[4:5], s15, v0
	v_mov_b32_e32 v12, 0
	s_and_saveexec_b64 s[34:35], s[4:5]
	s_cbranch_execz .LBB123_21
; %bb.18:
	v_mov_b32_e32 v12, 0x110
	v_lshl_add_u32 v13, v0, 2, v12
	s_mov_b64 s[36:37], 0
	v_mov_b32_e32 v12, 0
	v_mov_b32_e32 v14, v0
.LBB123_19:                             ; =>This Inner Loop Header: Depth=1
	ds_read_b32 v15, v13
	v_add_u32_e32 v14, 0x80, v14
	v_cmp_le_i32_e64 s[10:11], s15, v14
	s_or_b64 s[36:37], s[10:11], s[36:37]
	s_waitcnt lgkmcnt(0)
	v_sub_f32_e32 v15, v15, v4
	v_mul_f32_e32 v15, 0x3fb8aa3b, v15
	v_exp_f32_e32 v15, v15
	ds_write_b32 v13, v15
	v_add_f32_e32 v12, v12, v15
	v_add_u32_e32 v13, 0x200, v13
	s_andn2_b64 exec, exec, s[36:37]
	s_cbranch_execnz .LBB123_19
; %bb.20:
	s_or_b64 exec, exec, s[36:37]
.LBB123_21:
	s_or_b64 exec, exec, s[34:35]
	ds_bpermute_b32 v2, v2, v12
	s_waitcnt lgkmcnt(0)
	v_add_f32_e32 v2, v12, v2
	ds_bpermute_b32 v3, v3, v2
	s_waitcnt lgkmcnt(0)
	v_add_f32_e32 v2, v2, v3
	;; [unrolled: 3-line block ×6, first 2 shown]
	s_and_saveexec_b64 s[10:11], vcc
	s_cbranch_execz .LBB123_23
; %bb.22:
	ds_write_b32 v9, v2 offset:264
.LBB123_23:
	s_or_b64 exec, exec, s[10:11]
	s_waitcnt lgkmcnt(0)
	s_barrier
	s_and_saveexec_b64 s[10:11], s[2:3]
	s_cbranch_execz .LBB123_25
; %bb.24:
	ds_read_b32 v2, v10 offset:264
.LBB123_25:
	s_or_b64 exec, exec, s[10:11]
	s_waitcnt lgkmcnt(0)
	ds_bpermute_b32 v3, v22, v2
	s_waitcnt lgkmcnt(0)
	v_add_f32_e32 v2, v2, v3
	ds_bpermute_b32 v5, v11, v2
	s_and_saveexec_b64 s[2:3], s[4:5]
	s_cbranch_execz .LBB123_38
; %bb.26:
	s_waitcnt lgkmcnt(0)
	v_add_f32_e32 v2, 0x358637bd, v5
	v_div_scale_f32 v3, s[4:5], v2, v2, 1.0
	v_rcp_f32_e32 v8, v3
	v_div_scale_f32 v9, vcc, 1.0, v2, 1.0
	s_movk_i32 s4, 0x7f
	v_fma_f32 v10, -v3, v8, 1.0
	v_fmac_f32_e32 v8, v10, v8
	v_mul_f32_e32 v10, v9, v8
	v_fma_f32 v11, -v3, v10, v9
	v_fmac_f32_e32 v10, v11, v8
	v_fma_f32 v3, -v3, v10, v9
	v_div_fmas_f32 v3, v3, v8, v10
	v_div_fixup_f32 v2, v3, v2, 1.0
	v_xad_u32 v3, v0, -1, s38
	v_subrev_u32_e32 v8, s33, v3
	v_cmp_lt_u32_e32 vcc, s4, v8
	s_mov_b64 s[10:11], -1
	v_mov_b32_e32 v3, v0
	s_and_saveexec_b64 s[4:5], vcc
	s_cbranch_execz .LBB123_35
; %bb.27:
	v_lshrrev_b32_e32 v8, 7, v8
	v_add_u32_e32 v10, -1, v8
	v_lshrrev_b32_e32 v9, 1, v10
	v_mov_b32_e32 v3, v2
	v_add_u32_e32 v9, 1, v9
	v_cmp_lt_u32_e32 vcc, 13, v10
	v_mov_b32_e32 v12, 0
	s_and_saveexec_b64 s[10:11], vcc
	s_cbranch_execz .LBB123_31
; %bb.28:
	v_mov_b32_e32 v11, 0x110
	v_and_b32_e32 v10, -8, v9
	v_lshl_add_u32 v11, v0, 2, v11
	s_mov_b32 s36, 0
	s_mov_b64 s[34:35], 0
.LBB123_29:                             ; =>This Inner Loop Header: Depth=1
	ds_read2st64_b32 v[12:13], v11 offset1:2
	ds_read2st64_b32 v[14:15], v11 offset0:4 offset1:6
	ds_read2st64_b32 v[16:17], v11 offset0:8 offset1:10
	;; [unrolled: 1-line block ×3, first 2 shown]
	v_add_u32_e32 v10, -8, v10
	s_waitcnt lgkmcnt(3)
	v_pk_mul_f32 v[12:13], v[2:3], v[12:13]
	s_waitcnt lgkmcnt(2)
	v_pk_mul_f32 v[14:15], v[2:3], v[14:15]
	ds_write2st64_b32 v11, v12, v13 offset1:2
	ds_write2st64_b32 v11, v14, v15 offset0:4 offset1:6
	ds_read2st64_b32 v[14:15], v11 offset0:16 offset1:18
	s_waitcnt lgkmcnt(4)
	v_pk_mul_f32 v[12:13], v[2:3], v[16:17]
	ds_write2st64_b32 v11, v12, v13 offset0:8 offset1:10
	s_waitcnt lgkmcnt(4)
	v_pk_mul_f32 v[12:13], v[2:3], v[18:19]
	ds_write2st64_b32 v11, v12, v13 offset0:12 offset1:14
	ds_read2st64_b32 v[12:13], v11 offset0:20 offset1:22
	s_waitcnt lgkmcnt(3)
	v_pk_mul_f32 v[14:15], v[2:3], v[14:15]
	ds_read2st64_b32 v[16:17], v11 offset0:24 offset1:26
	ds_write2st64_b32 v11, v14, v15 offset0:16 offset1:18
	ds_read2st64_b32 v[14:15], v11 offset0:28 offset1:30
	s_waitcnt lgkmcnt(3)
	v_pk_mul_f32 v[12:13], v[2:3], v[12:13]
	ds_write2st64_b32 v11, v12, v13 offset0:20 offset1:22
	s_waitcnt lgkmcnt(3)
	v_pk_mul_f32 v[12:13], v[2:3], v[16:17]
	ds_write2st64_b32 v11, v12, v13 offset0:24 offset1:26
	s_waitcnt lgkmcnt(2)
	v_pk_mul_f32 v[12:13], v[2:3], v[14:15]
	s_add_i32 s36, s36, 16
	v_cmp_eq_u32_e32 vcc, 0, v10
	ds_write2st64_b32 v11, v12, v13 offset0:28 offset1:30
	v_add_u32_e32 v11, 0x2000, v11
	s_or_b64 s[34:35], vcc, s[34:35]
	v_mov_b32_e32 v12, s36
	s_andn2_b64 exec, exec, s[34:35]
	s_cbranch_execnz .LBB123_29
; %bb.30:
	s_or_b64 exec, exec, s[34:35]
.LBB123_31:
	s_or_b64 exec, exec, s[10:11]
	v_and_b32_e32 v9, 7, v9
	v_cmp_ne_u32_e32 vcc, 0, v9
	s_and_saveexec_b64 s[10:11], vcc
	s_cbranch_execz .LBB123_34
; %bb.32:
	v_lshlrev_b32_e32 v10, 9, v12
	v_lshlrev_b32_e32 v11, 2, v0
	s_movk_i32 s34, 0x110
	v_add3_u32 v10, v10, v11, s34
	s_mov_b64 s[34:35], 0
.LBB123_33:                             ; =>This Inner Loop Header: Depth=1
	ds_read2st64_b32 v[12:13], v10 offset1:2
	v_add_u32_e32 v9, -1, v9
	v_cmp_eq_u32_e32 vcc, 0, v9
	s_or_b64 s[34:35], vcc, s[34:35]
	s_waitcnt lgkmcnt(0)
	v_pk_mul_f32 v[12:13], v[2:3], v[12:13]
	ds_write2st64_b32 v10, v12, v13 offset1:2
	v_add_u32_e32 v10, 0x400, v10
	s_andn2_b64 exec, exec, s[34:35]
	s_cbranch_execnz .LBB123_33
.LBB123_34:
	s_or_b64 exec, exec, s[10:11]
	v_add_u32_e32 v8, 1, v8
	v_and_b32_e32 v9, 0x3fffffe, v8
	v_cmp_ne_u32_e32 vcc, v8, v9
	v_lshl_add_u32 v3, v9, 7, v0
	s_orn2_b64 s[10:11], vcc, exec
.LBB123_35:
	s_or_b64 exec, exec, s[4:5]
	s_and_b64 exec, exec, s[10:11]
	s_cbranch_execz .LBB123_38
; %bb.36:
	v_mov_b32_e32 v8, 0x110
	v_lshl_add_u32 v8, v3, 2, v8
	s_mov_b64 s[4:5], 0
.LBB123_37:                             ; =>This Inner Loop Header: Depth=1
	ds_read_b32 v9, v8
	v_add_u32_e32 v3, 0x80, v3
	v_cmp_le_i32_e32 vcc, s15, v3
	s_or_b64 s[4:5], vcc, s[4:5]
	s_waitcnt lgkmcnt(0)
	v_mul_f32_e32 v9, v2, v9
	ds_write_b32 v8, v9
	v_add_u32_e32 v8, 0x200, v8
	s_andn2_b64 exec, exec, s[4:5]
	s_cbranch_execnz .LBB123_37
.LBB123_38:
	s_or_b64 exec, exec, s[2:3]
	s_mul_i32 s2, s12, s24
	v_cmp_eq_u32_e32 vcc, 0, v0
	s_mul_i32 s2, s2, s9
	s_waitcnt lgkmcnt(0)
	s_barrier
	s_and_saveexec_b64 s[4:5], vcc
	s_cbranch_execz .LBB123_40
; %bb.39:
	s_ashr_i32 s3, s2, 31
	s_lshl_b64 s[10:11], s[2:3], 2
	s_add_u32 s3, s18, s10
	s_mul_i32 s18, s12, s6
	s_addc_u32 s9, s19, s11
	s_ashr_i32 s19, s18, 31
	s_lshl_b64 s[18:19], s[18:19], 2
	s_add_u32 s3, s3, s18
	s_addc_u32 s6, s9, s19
	s_ashr_i32 s9, s8, 31
	s_lshl_b64 s[34:35], s[8:9], 2
	s_add_u32 s36, s3, s34
	s_addc_u32 s37, s6, s35
	s_add_u32 s3, s16, s10
	s_addc_u32 s6, s17, s11
	s_add_u32 s3, s3, s18
	s_addc_u32 s6, s6, s19
	s_add_u32 s10, s3, s34
	v_mov_b32_e32 v2, 0
	s_addc_u32 s11, s6, s35
	global_store_dword v2, v4, s[36:37]
	global_store_dword v2, v5, s[10:11]
.LBB123_40:
	s_or_b64 exec, exec, s[4:5]
	v_mov_b32_e32 v11, 0
	v_and_b32_e32 v23, 3, v0
	v_mov_b32_e32 v10, 0
	v_mov_b32_e32 v13, 0
	;; [unrolled: 1-line block ×7, first 2 shown]
	s_and_saveexec_b64 s[4:5], s[0:1]
	s_cbranch_execz .LBB123_60
; %bb.41:
	s_ashr_i32 s15, s14, 31
	s_lshl_b64 s[0:1], s[14:15], 1
	s_add_u32 s9, s30, s0
	v_and_b32_e32 v3, 24, v1
	s_mov_b32 s3, s13
	s_addc_u32 s10, s31, s1
	s_add_i32 s13, s7, -1
	s_lshl_b64 s[0:1], s[28:29], 2
	v_and_b32_e32 v2, 0x1f8, v1
	v_add3_u32 v1, s33, v31, v3
	v_lshlrev_b32_e32 v3, 5, v23
	s_add_u32 s0, s26, s0
	v_lshl_or_b32 v3, v30, 7, v3
	v_lshlrev_b64 v[16:17], 2, v[6:7]
	s_addc_u32 s1, s27, s1
	v_mov_b32_e32 v8, 0
	v_or_b32_e32 v4, 0x800, v2
	v_or_b32_e32 v10, 0xa00, v2
	;; [unrolled: 1-line block ×4, first 2 shown]
	v_add_u32_e32 v24, 0x110, v3
	v_mov_b32_e32 v3, s1
	v_add_co_u32_e32 v16, vcc, s0, v16
	s_mov_b32 s14, s25
	s_mov_b32 s15, s25
	;; [unrolled: 1-line block ×7, first 2 shown]
	v_addc_co_u32_e32 v17, vcc, v3, v17, vcc
	s_mov_b64 s[6:7], 0
	v_mov_b32_e32 v7, s10
	v_lshlrev_b32_e32 v25, 1, v2
	s_mov_b32 s26, 0x5040100
	v_lshlrev_b32_e32 v26, 1, v4
	v_lshlrev_b32_e32 v27, 1, v10
	;; [unrolled: 1-line block ×4, first 2 shown]
	v_mov_b32_e32 v9, v8
	v_mov_b32_e32 v14, v8
	;; [unrolled: 1-line block ×7, first 2 shown]
	s_branch .LBB123_43
.LBB123_42:                             ;   in Loop: Header=BB123_43 Depth=1
	s_or_b64 exec, exec, s[0:1]
	s_waitcnt vmcnt(0)
	;;#ASMSTART
	v_pk_mul_f16 v2, v38, v2;

	;;#ASMEND
	;;#ASMSTART
	v_pk_mul_f16 v3, v37, v3;

	;;#ASMEND
	;; [unrolled: 4-line block ×4, first 2 shown]
	;;#ASMSTART
	v_pk_add_f16 v2, v2, v3;

	;;#ASMEND
	;;#ASMSTART
	v_pk_add_f16 v2, v2, v4;

	;;#ASMEND
	v_add_f32_e32 v18, v18, v19
	;;#ASMSTART
	v_pk_add_f16 v2, v2, v5;

	;;#ASMEND
	v_add_f32_e32 v30, v43, v44
	v_add_f32_e32 v15, v15, v18
	;; [unrolled: 1-line block ×3, first 2 shown]
	v_lshrrev_b32_e32 v3, 16, v2
	v_and_b32_e32 v2, 0xffff, v2
	v_add_u32_e32 v6, 2, v6
	v_add_f32_e32 v8, v8, v30
	v_add_f32_e32 v30, v45, v46
	;; [unrolled: 1-line block ×4, first 2 shown]
	;;#ASMSTART
	v_cvt_f32_f16 v2, v2;
	;;#ASMEND
	v_cmp_le_i32_e32 vcc, s21, v6
	v_add_f32_e32 v9, v9, v30
	v_add_f32_e32 v30, v47, v48
	v_add_f32_e32 v13, v13, v18
	v_add_f32_e32 v18, v53, v54
	;;#ASMSTART
	v_cvt_f32_f16 v3, v3;
	;;#ASMEND
	v_add_f32_e32 v2, v2, v3
	s_or_b64 s[6:7], vcc, s[6:7]
	v_add_co_u32_e32 v16, vcc, 8, v16
	v_add_f32_e32 v14, v14, v30
	v_add_f32_e32 v10, v10, v18
	;; [unrolled: 1-line block ×3, first 2 shown]
	v_add_u32_e32 v1, 64, v1
	v_add_u32_e32 v24, 0x100, v24
	v_addc_co_u32_e32 v17, vcc, 0, v17, vcc
	s_andn2_b64 exec, exec, s[6:7]
	s_cbranch_execz .LBB123_59
.LBB123_43:                             ; =>This Inner Loop Header: Depth=1
	global_load_dword v18, v[16:17], off
	ds_read2_b64 v[2:5], v24 offset1:1
	ds_read2_b64 v[30:33], v24 offset0:2 offset1:3
	v_or_b32_e32 v34, 5, v1
	v_or_b32_e32 v40, 7, v1
	s_waitcnt lgkmcnt(1)
	;;#ASMSTART
	v_cvt_f16_f32 v35, v2;

	;;#ASMEND
	;;#ASMSTART
	v_cvt_f16_f32 v36, v3;

	;;#ASMEND
	;; [unrolled: 4-line block ×4, first 2 shown]
	s_waitcnt lgkmcnt(0)
	;;#ASMSTART
	v_cvt_f16_f32 v44, v30;

	;;#ASMEND
	;;#ASMSTART
	v_cvt_f16_f32 v45, v31;

	;;#ASMEND
	;; [unrolled: 4-line block ×4, first 2 shown]
	v_add_u32_e32 v30, 1, v1
	v_or_b32_e32 v32, 3, v1
	v_or_b32_e32 v31, 2, v1
	;; [unrolled: 1-line block ×4, first 2 shown]
	s_waitcnt vmcnt(0)
	v_mad_i64_i32 v[2:3], s[0:1], v18, s3, 0
	v_lshlrev_b64 v[2:3], 1, v[2:3]
	v_add_co_u32_e32 v41, vcc, s9, v2
	v_addc_co_u32_e32 v42, vcc, v7, v3, vcc
	v_add_co_u32_e32 v18, vcc, v41, v25
	v_addc_co_u32_e32 v19, vcc, 0, v42, vcc
	global_load_dwordx4 v[2:5], v[18:19], off
	v_cmp_eq_u32_e32 vcc, s13, v6
	s_and_saveexec_b64 s[10:11], vcc
	s_cbranch_execz .LBB123_45
; %bb.44:                               ;   in Loop: Header=BB123_43 Depth=1
	s_waitcnt vmcnt(0)
	v_lshrrev_b32_e32 v38, 16, v5
	v_cmp_gt_i32_e64 s[0:1], s24, v40
	v_cndmask_b32_e64 v38, 0, v38, s[0:1]
	v_cmp_gt_i32_e64 s[0:1], s19, v39
	v_cndmask_b32_e64 v5, 0, v5, s[0:1]
	v_perm_b32 v5, v38, v5, s26
	v_lshrrev_b32_e32 v38, 16, v4
	v_cmp_gt_i32_e64 s[0:1], s18, v34
	v_cndmask_b32_e64 v38, 0, v38, s[0:1]
	v_cmp_gt_i32_e64 s[0:1], s17, v33
	v_cndmask_b32_e64 v4, 0, v4, s[0:1]
	v_perm_b32 v4, v38, v4, s26
	;; [unrolled: 6-line block ×4, first 2 shown]
.LBB123_45:                             ;   in Loop: Header=BB123_43 Depth=1
	s_or_b64 exec, exec, s[10:11]
	v_and_b32_e32 v35, 0xffff, v35
	v_lshl_or_b32 v38, v36, 16, v35
	v_and_b32_e32 v35, 0xffff, v37
	v_lshl_or_b32 v37, v43, 16, v35
	;; [unrolled: 2-line block ×3, first 2 shown]
	v_and_b32_e32 v35, 0xffff, v46
	s_waitcnt vmcnt(0)
	;;#ASMSTART
	v_pk_mul_f16 v2, v38, v2;

	;;#ASMEND
	v_lshl_or_b32 v35, v47, 16, v35
	;;#ASMSTART
	v_pk_mul_f16 v3, v37, v3;

	;;#ASMEND
	;;#ASMSTART
	v_pk_mul_f16 v4, v36, v4;

	;;#ASMEND
	;; [unrolled: 4-line block ×3, first 2 shown]
	;;#ASMSTART
	v_pk_add_f16 v2, v2, v3;

	;;#ASMEND
	;;#ASMSTART
	v_pk_add_f16 v2, v2, v4;

	;;#ASMEND
	;; [unrolled: 4-line block ×3, first 2 shown]
	v_lshrrev_b32_e32 v3, 16, v2
	v_and_b32_e32 v2, 0xffff, v2
	;;#ASMSTART
	v_cvt_f32_f16 v43, v2;
	;;#ASMEND
	;;#ASMSTART
	v_cvt_f32_f16 v44, v3;
	;;#ASMEND
	global_load_dwordx4 v[2:5], v[18:19], off offset:1024
	s_and_saveexec_b64 s[10:11], vcc
	s_cbranch_execz .LBB123_47
; %bb.46:                               ;   in Loop: Header=BB123_43 Depth=1
	s_waitcnt vmcnt(0)
	v_lshrrev_b32_e32 v45, 16, v5
	v_cmp_gt_i32_e64 s[0:1], s24, v40
	v_cndmask_b32_e64 v45, 0, v45, s[0:1]
	v_cmp_gt_i32_e64 s[0:1], s19, v39
	v_cndmask_b32_e64 v5, 0, v5, s[0:1]
	v_perm_b32 v5, v45, v5, s26
	v_lshrrev_b32_e32 v45, 16, v4
	v_cmp_gt_i32_e64 s[0:1], s18, v34
	v_cndmask_b32_e64 v45, 0, v45, s[0:1]
	v_cmp_gt_i32_e64 s[0:1], s17, v33
	v_cndmask_b32_e64 v4, 0, v4, s[0:1]
	v_perm_b32 v4, v45, v4, s26
	;; [unrolled: 6-line block ×4, first 2 shown]
.LBB123_47:                             ;   in Loop: Header=BB123_43 Depth=1
	s_or_b64 exec, exec, s[10:11]
	s_waitcnt vmcnt(0)
	;;#ASMSTART
	v_pk_mul_f16 v2, v38, v2;

	;;#ASMEND
	;;#ASMSTART
	v_pk_mul_f16 v3, v37, v3;

	;;#ASMEND
	;; [unrolled: 4-line block ×4, first 2 shown]
	;;#ASMSTART
	v_pk_add_f16 v2, v2, v3;

	;;#ASMEND
	;;#ASMSTART
	v_pk_add_f16 v2, v2, v4;

	;;#ASMEND
	;; [unrolled: 4-line block ×3, first 2 shown]
	v_lshrrev_b32_e32 v3, 16, v2
	v_and_b32_e32 v2, 0xffff, v2
	;;#ASMSTART
	v_cvt_f32_f16 v45, v2;
	;;#ASMEND
	;;#ASMSTART
	v_cvt_f32_f16 v46, v3;
	;;#ASMEND
	global_load_dwordx4 v[2:5], v[18:19], off offset:2048
	s_and_saveexec_b64 s[10:11], vcc
	s_cbranch_execz .LBB123_49
; %bb.48:                               ;   in Loop: Header=BB123_43 Depth=1
	s_waitcnt vmcnt(0)
	v_lshrrev_b32_e32 v47, 16, v5
	v_cmp_gt_i32_e64 s[0:1], s24, v40
	v_cndmask_b32_e64 v47, 0, v47, s[0:1]
	v_cmp_gt_i32_e64 s[0:1], s19, v39
	v_cndmask_b32_e64 v5, 0, v5, s[0:1]
	v_perm_b32 v5, v47, v5, s26
	v_lshrrev_b32_e32 v47, 16, v4
	v_cmp_gt_i32_e64 s[0:1], s18, v34
	v_cndmask_b32_e64 v47, 0, v47, s[0:1]
	v_cmp_gt_i32_e64 s[0:1], s17, v33
	v_cndmask_b32_e64 v4, 0, v4, s[0:1]
	v_perm_b32 v4, v47, v4, s26
	;; [unrolled: 6-line block ×4, first 2 shown]
.LBB123_49:                             ;   in Loop: Header=BB123_43 Depth=1
	s_or_b64 exec, exec, s[10:11]
	s_waitcnt vmcnt(0)
	;;#ASMSTART
	v_pk_mul_f16 v2, v38, v2;

	;;#ASMEND
	;;#ASMSTART
	v_pk_mul_f16 v3, v37, v3;

	;;#ASMEND
	;; [unrolled: 4-line block ×4, first 2 shown]
	;;#ASMSTART
	v_pk_add_f16 v2, v2, v3;

	;;#ASMEND
	;;#ASMSTART
	v_pk_add_f16 v2, v2, v4;

	;;#ASMEND
	;; [unrolled: 4-line block ×3, first 2 shown]
	v_lshrrev_b32_e32 v3, 16, v2
	v_and_b32_e32 v2, 0xffff, v2
	;;#ASMSTART
	v_cvt_f32_f16 v47, v2;
	;;#ASMEND
	;;#ASMSTART
	v_cvt_f32_f16 v48, v3;
	;;#ASMEND
	global_load_dwordx4 v[2:5], v[18:19], off offset:3072
	s_and_saveexec_b64 s[10:11], vcc
	s_cbranch_execz .LBB123_51
; %bb.50:                               ;   in Loop: Header=BB123_43 Depth=1
	s_waitcnt vmcnt(0)
	v_lshrrev_b32_e32 v18, 16, v5
	v_cmp_gt_i32_e64 s[0:1], s24, v40
	v_cndmask_b32_e64 v18, 0, v18, s[0:1]
	v_cmp_gt_i32_e64 s[0:1], s19, v39
	v_cndmask_b32_e64 v5, 0, v5, s[0:1]
	v_perm_b32 v5, v18, v5, s26
	v_lshrrev_b32_e32 v18, 16, v4
	v_cmp_gt_i32_e64 s[0:1], s18, v34
	v_cndmask_b32_e64 v18, 0, v18, s[0:1]
	v_cmp_gt_i32_e64 s[0:1], s17, v33
	v_cndmask_b32_e64 v4, 0, v4, s[0:1]
	v_perm_b32 v4, v18, v4, s26
	;; [unrolled: 6-line block ×4, first 2 shown]
.LBB123_51:                             ;   in Loop: Header=BB123_43 Depth=1
	s_or_b64 exec, exec, s[10:11]
	s_waitcnt vmcnt(0)
	;;#ASMSTART
	v_pk_mul_f16 v2, v38, v2;

	;;#ASMEND
	;;#ASMSTART
	v_pk_mul_f16 v3, v37, v3;

	;;#ASMEND
	;; [unrolled: 4-line block ×4, first 2 shown]
	;;#ASMSTART
	v_pk_add_f16 v2, v2, v3;

	;;#ASMEND
	;;#ASMSTART
	v_pk_add_f16 v2, v2, v4;

	;;#ASMEND
	;; [unrolled: 4-line block ×3, first 2 shown]
	v_lshrrev_b32_e32 v3, 16, v2
	v_and_b32_e32 v2, 0xffff, v2
	;;#ASMSTART
	v_cvt_f32_f16 v18, v2;
	;;#ASMEND
	v_add_co_u32_e64 v2, s[0:1], v41, v26
	;;#ASMSTART
	v_cvt_f32_f16 v19, v3;
	;;#ASMEND
	v_addc_co_u32_e64 v3, s[0:1], 0, v42, s[0:1]
	global_load_dwordx4 v[2:5], v[2:3], off
	s_and_saveexec_b64 s[10:11], vcc
	s_cbranch_execz .LBB123_53
; %bb.52:                               ;   in Loop: Header=BB123_43 Depth=1
	s_waitcnt vmcnt(0)
	v_lshrrev_b32_e32 v49, 16, v5
	v_cmp_gt_i32_e64 s[0:1], s24, v40
	v_cndmask_b32_e64 v49, 0, v49, s[0:1]
	v_cmp_gt_i32_e64 s[0:1], s19, v39
	v_cndmask_b32_e64 v5, 0, v5, s[0:1]
	v_perm_b32 v5, v49, v5, s26
	v_lshrrev_b32_e32 v49, 16, v4
	v_cmp_gt_i32_e64 s[0:1], s18, v34
	v_cndmask_b32_e64 v49, 0, v49, s[0:1]
	v_cmp_gt_i32_e64 s[0:1], s17, v33
	v_cndmask_b32_e64 v4, 0, v4, s[0:1]
	v_perm_b32 v4, v49, v4, s26
	;; [unrolled: 6-line block ×4, first 2 shown]
.LBB123_53:                             ;   in Loop: Header=BB123_43 Depth=1
	s_or_b64 exec, exec, s[10:11]
	s_waitcnt vmcnt(0)
	;;#ASMSTART
	v_pk_mul_f16 v2, v38, v2;

	;;#ASMEND
	;;#ASMSTART
	v_pk_mul_f16 v3, v37, v3;

	;;#ASMEND
	;; [unrolled: 4-line block ×4, first 2 shown]
	;;#ASMSTART
	v_pk_add_f16 v2, v2, v3;

	;;#ASMEND
	;;#ASMSTART
	v_pk_add_f16 v2, v2, v4;

	;;#ASMEND
	;; [unrolled: 4-line block ×3, first 2 shown]
	v_lshrrev_b32_e32 v3, 16, v2
	v_and_b32_e32 v2, 0xffff, v2
	;;#ASMSTART
	v_cvt_f32_f16 v49, v2;
	;;#ASMEND
	v_add_co_u32_e64 v2, s[0:1], v41, v27
	;;#ASMSTART
	v_cvt_f32_f16 v50, v3;
	;;#ASMEND
	v_addc_co_u32_e64 v3, s[0:1], 0, v42, s[0:1]
	global_load_dwordx4 v[2:5], v[2:3], off
	s_and_saveexec_b64 s[10:11], vcc
	s_cbranch_execz .LBB123_55
; %bb.54:                               ;   in Loop: Header=BB123_43 Depth=1
	s_waitcnt vmcnt(0)
	v_lshrrev_b32_e32 v51, 16, v5
	v_cmp_gt_i32_e64 s[0:1], s24, v40
	v_cndmask_b32_e64 v51, 0, v51, s[0:1]
	v_cmp_gt_i32_e64 s[0:1], s19, v39
	v_cndmask_b32_e64 v5, 0, v5, s[0:1]
	v_perm_b32 v5, v51, v5, s26
	v_lshrrev_b32_e32 v51, 16, v4
	v_cmp_gt_i32_e64 s[0:1], s18, v34
	v_cndmask_b32_e64 v51, 0, v51, s[0:1]
	v_cmp_gt_i32_e64 s[0:1], s17, v33
	v_cndmask_b32_e64 v4, 0, v4, s[0:1]
	v_perm_b32 v4, v51, v4, s26
	;; [unrolled: 6-line block ×4, first 2 shown]
.LBB123_55:                             ;   in Loop: Header=BB123_43 Depth=1
	s_or_b64 exec, exec, s[10:11]
	s_waitcnt vmcnt(0)
	;;#ASMSTART
	v_pk_mul_f16 v2, v38, v2;

	;;#ASMEND
	;;#ASMSTART
	v_pk_mul_f16 v3, v37, v3;

	;;#ASMEND
	;; [unrolled: 4-line block ×4, first 2 shown]
	;;#ASMSTART
	v_pk_add_f16 v2, v2, v3;

	;;#ASMEND
	;;#ASMSTART
	v_pk_add_f16 v2, v2, v4;

	;;#ASMEND
	;; [unrolled: 4-line block ×3, first 2 shown]
	v_lshrrev_b32_e32 v3, 16, v2
	v_and_b32_e32 v2, 0xffff, v2
	;;#ASMSTART
	v_cvt_f32_f16 v51, v2;
	;;#ASMEND
	v_add_co_u32_e64 v2, s[0:1], v41, v28
	;;#ASMSTART
	v_cvt_f32_f16 v52, v3;
	;;#ASMEND
	v_addc_co_u32_e64 v3, s[0:1], 0, v42, s[0:1]
	global_load_dwordx4 v[2:5], v[2:3], off
	s_and_saveexec_b64 s[10:11], vcc
	s_cbranch_execz .LBB123_57
; %bb.56:                               ;   in Loop: Header=BB123_43 Depth=1
	s_waitcnt vmcnt(0)
	v_lshrrev_b32_e32 v53, 16, v5
	v_cmp_gt_i32_e64 s[0:1], s24, v40
	v_cndmask_b32_e64 v53, 0, v53, s[0:1]
	v_cmp_gt_i32_e64 s[0:1], s19, v39
	v_cndmask_b32_e64 v5, 0, v5, s[0:1]
	v_perm_b32 v5, v53, v5, s26
	v_lshrrev_b32_e32 v53, 16, v4
	v_cmp_gt_i32_e64 s[0:1], s18, v34
	v_cndmask_b32_e64 v53, 0, v53, s[0:1]
	v_cmp_gt_i32_e64 s[0:1], s17, v33
	v_cndmask_b32_e64 v4, 0, v4, s[0:1]
	v_perm_b32 v4, v53, v4, s26
	;; [unrolled: 6-line block ×4, first 2 shown]
.LBB123_57:                             ;   in Loop: Header=BB123_43 Depth=1
	s_or_b64 exec, exec, s[10:11]
	s_waitcnt vmcnt(0)
	;;#ASMSTART
	v_pk_mul_f16 v2, v38, v2;

	;;#ASMEND
	;;#ASMSTART
	v_pk_mul_f16 v3, v37, v3;

	;;#ASMEND
	;; [unrolled: 4-line block ×4, first 2 shown]
	;;#ASMSTART
	v_pk_add_f16 v2, v2, v3;

	;;#ASMEND
	;;#ASMSTART
	v_pk_add_f16 v2, v2, v4;

	;;#ASMEND
	;; [unrolled: 4-line block ×3, first 2 shown]
	v_lshrrev_b32_e32 v3, 16, v2
	v_and_b32_e32 v2, 0xffff, v2
	;;#ASMSTART
	v_cvt_f32_f16 v53, v2;
	;;#ASMEND
	v_add_co_u32_e64 v2, s[0:1], v41, v29
	;;#ASMSTART
	v_cvt_f32_f16 v54, v3;
	;;#ASMEND
	v_addc_co_u32_e64 v3, s[0:1], 0, v42, s[0:1]
	global_load_dwordx4 v[2:5], v[2:3], off
	s_and_saveexec_b64 s[0:1], vcc
	s_cbranch_execz .LBB123_42
; %bb.58:                               ;   in Loop: Header=BB123_43 Depth=1
	s_waitcnt vmcnt(0)
	v_lshrrev_b32_e32 v41, 16, v5
	v_cmp_gt_i32_e32 vcc, s24, v40
	v_cndmask_b32_e32 v40, 0, v41, vcc
	v_cmp_gt_i32_e32 vcc, s19, v39
	v_cndmask_b32_e32 v5, 0, v5, vcc
	v_lshrrev_b32_e32 v39, 16, v4
	v_cmp_gt_i32_e32 vcc, s18, v34
	v_cndmask_b32_e32 v34, 0, v39, vcc
	v_cmp_gt_i32_e32 vcc, s17, v33
	v_cndmask_b32_e32 v4, 0, v4, vcc
	;; [unrolled: 5-line block ×4, first 2 shown]
	v_perm_b32 v5, v40, v5, s26
	v_perm_b32 v4, v34, v4, s26
	;; [unrolled: 1-line block ×4, first 2 shown]
	s_branch .LBB123_42
.LBB123_59:
	s_or_b64 exec, exec, s[6:7]
.LBB123_60:
	s_or_b64 exec, exec, s[4:5]
	ds_bpermute_b32 v2, v21, v8
	ds_bpermute_b32 v3, v21, v9
	;; [unrolled: 1-line block ×6, first 2 shown]
	s_waitcnt lgkmcnt(4)
	v_pk_add_f32 v[2:3], v[8:9], v[2:3]
	ds_bpermute_b32 v8, v21, v12
	ds_bpermute_b32 v9, v21, v13
	s_waitcnt lgkmcnt(4)
	v_pk_add_f32 v[4:5], v[14:15], v[4:5]
	s_waitcnt lgkmcnt(2)
	v_pk_add_f32 v[10:11], v[10:11], v[16:17]
	ds_bpermute_b32 v6, v22, v2
	ds_bpermute_b32 v7, v22, v3
	s_waitcnt lgkmcnt(2)
	v_pk_add_f32 v[12:13], v[12:13], v[8:9]
	ds_bpermute_b32 v14, v22, v4
	ds_bpermute_b32 v15, v22, v5
	;; [unrolled: 1-line block ×6, first 2 shown]
	v_and_b32_e32 v1, 0x3c3, v0
	s_waitcnt lgkmcnt(6)
	v_pk_add_f32 v[8:9], v[2:3], v[6:7]
	s_waitcnt lgkmcnt(4)
	v_pk_add_f32 v[6:7], v[4:5], v[14:15]
	;; [unrolled: 2-line block ×4, first 2 shown]
	v_cmp_eq_u32_e32 vcc, 64, v1
	s_barrier
	s_and_saveexec_b64 s[0:1], vcc
	s_cbranch_execz .LBB123_62
; %bb.61:
	v_add_u32_e32 v10, 0x110, v20
	ds_write2_b32 v10, v8, v9 offset1:16
	ds_write2_b32 v10, v6, v7 offset0:32 offset1:48
	ds_write2_b32 v10, v4, v5 offset0:64 offset1:80
	;; [unrolled: 1-line block ×3, first 2 shown]
.LBB123_62:
	s_or_b64 exec, exec, s[0:1]
	v_cmp_gt_u32_e32 vcc, 64, v0
	s_waitcnt lgkmcnt(0)
	s_barrier
	s_and_saveexec_b64 s[0:1], vcc
	s_cbranch_execz .LBB123_73
; %bb.63:
	v_cmp_eq_u32_e32 vcc, 0, v23
	v_lshrrev_b32_e32 v10, 2, v0
	s_and_saveexec_b64 s[4:5], vcc
	s_cbranch_execnz .LBB123_76
; %bb.64:
	s_or_b64 exec, exec, s[4:5]
	s_and_saveexec_b64 s[4:5], vcc
	s_cbranch_execnz .LBB123_77
.LBB123_65:
	s_or_b64 exec, exec, s[4:5]
	s_and_saveexec_b64 s[4:5], vcc
	s_cbranch_execnz .LBB123_78
.LBB123_66:
	s_or_b64 exec, exec, s[4:5]
	s_and_saveexec_b64 s[4:5], vcc
	s_cbranch_execnz .LBB123_79
.LBB123_67:
	s_or_b64 exec, exec, s[4:5]
	s_and_saveexec_b64 s[4:5], vcc
	s_cbranch_execnz .LBB123_80
.LBB123_68:
	s_or_b64 exec, exec, s[4:5]
	s_and_saveexec_b64 s[4:5], vcc
	s_cbranch_execnz .LBB123_81
.LBB123_69:
	s_or_b64 exec, exec, s[4:5]
	s_and_saveexec_b64 s[4:5], vcc
	s_cbranch_execnz .LBB123_82
.LBB123_70:
	s_or_b64 exec, exec, s[4:5]
	s_and_saveexec_b64 s[4:5], vcc
	s_cbranch_execz .LBB123_72
.LBB123_71:
	v_mov_b32_e32 v11, 0x110
	v_lshl_add_u32 v10, v10, 2, v11
	ds_read_b32 v10, v10 offset:448
	s_waitcnt lgkmcnt(0)
	v_add_f32_e32 v3, v3, v10
.LBB123_72:
	s_or_b64 exec, exec, s[4:5]
.LBB123_73:
	s_or_b64 exec, exec, s[0:1]
	v_cmp_eq_u32_e32 vcc, 0, v1
	s_barrier
	s_and_saveexec_b64 s[0:1], vcc
	s_cbranch_execz .LBB123_75
; %bb.74:
	s_lshl_b32 s0, s2, 7
	s_ashr_i32 s1, s0, 31
	s_lshl_b64 s[0:1], s[0:1], 1
	s_add_u32 s2, s22, s0
	s_mul_i32 s0, s12, s20
	s_addc_u32 s3, s23, s1
	s_ashr_i32 s1, s0, 31
	s_lshl_b64 s[0:1], s[0:1], 1
	s_add_u32 s2, s2, s0
	s_addc_u32 s3, s3, s1
	s_lshl_b32 s0, s8, 7
	s_ashr_i32 s1, s0, 31
	s_lshl_b64 s[0:1], s[0:1], 1
	s_add_u32 s0, s2, s0
	s_addc_u32 s1, s3, s1
	v_lshrrev_b32_e32 v0, 1, v0
	;;#ASMSTART
	v_cvt_f16_f32 v1, v8;

	;;#ASMEND
	global_store_short v0, v1, s[0:1]
	;;#ASMSTART
	v_cvt_f16_f32 v1, v9;

	;;#ASMEND
	global_store_short v0, v1, s[0:1] offset:32
	;;#ASMSTART
	v_cvt_f16_f32 v1, v6;

	;;#ASMEND
	global_store_short v0, v1, s[0:1] offset:64
	;; [unrolled: 5-line block ×7, first 2 shown]
.LBB123_75:
	s_endpgm
.LBB123_76:
	v_mov_b32_e32 v11, 0x110
	v_lshl_add_u32 v11, v10, 2, v11
	ds_read_b32 v11, v11
	s_waitcnt lgkmcnt(0)
	v_add_f32_e32 v8, v8, v11
	s_or_b64 exec, exec, s[4:5]
	s_and_saveexec_b64 s[4:5], vcc
	s_cbranch_execz .LBB123_65
.LBB123_77:
	v_mov_b32_e32 v11, 0x110
	v_lshl_add_u32 v11, v10, 2, v11
	ds_read_b32 v11, v11 offset:64
	s_waitcnt lgkmcnt(0)
	v_add_f32_e32 v9, v9, v11
	s_or_b64 exec, exec, s[4:5]
	s_and_saveexec_b64 s[4:5], vcc
	s_cbranch_execz .LBB123_66
.LBB123_78:
	v_mov_b32_e32 v11, 0x110
	v_lshl_add_u32 v11, v10, 2, v11
	ds_read_b32 v11, v11 offset:128
	s_waitcnt lgkmcnt(0)
	v_add_f32_e32 v6, v6, v11
	s_or_b64 exec, exec, s[4:5]
	s_and_saveexec_b64 s[4:5], vcc
	s_cbranch_execz .LBB123_67
.LBB123_79:
	v_mov_b32_e32 v11, 0x110
	v_lshl_add_u32 v11, v10, 2, v11
	ds_read_b32 v11, v11 offset:192
	s_waitcnt lgkmcnt(0)
	v_add_f32_e32 v7, v7, v11
	s_or_b64 exec, exec, s[4:5]
	s_and_saveexec_b64 s[4:5], vcc
	s_cbranch_execz .LBB123_68
.LBB123_80:
	v_mov_b32_e32 v11, 0x110
	v_lshl_add_u32 v11, v10, 2, v11
	ds_read_b32 v11, v11 offset:256
	s_waitcnt lgkmcnt(0)
	v_add_f32_e32 v4, v4, v11
	s_or_b64 exec, exec, s[4:5]
	s_and_saveexec_b64 s[4:5], vcc
	s_cbranch_execz .LBB123_69
.LBB123_81:
	v_mov_b32_e32 v11, 0x110
	v_lshl_add_u32 v11, v10, 2, v11
	ds_read_b32 v11, v11 offset:320
	s_waitcnt lgkmcnt(0)
	v_add_f32_e32 v5, v5, v11
	s_or_b64 exec, exec, s[4:5]
	s_and_saveexec_b64 s[4:5], vcc
	s_cbranch_execz .LBB123_70
.LBB123_82:
	v_mov_b32_e32 v11, 0x110
	v_lshl_add_u32 v11, v10, 2, v11
	ds_read_b32 v11, v11 offset:384
	s_waitcnt lgkmcnt(0)
	v_add_f32_e32 v2, v2, v11
	s_or_b64 exec, exec, s[4:5]
	s_and_saveexec_b64 s[4:5], vcc
	s_cbranch_execnz .LBB123_71
	s_branch .LBB123_72
	.section	.rodata,"a",@progbits
	.p2align	6, 0x0
	.amdhsa_kernel _ZN4vllm25paged_attention_v2_kernelIttLi128ELi32ELi128ELNS_18Fp8KVCacheDataTypeE0ELb0ELi512EEEvPfS2_PT_PKS3_PKT0_S9_ifPKiSB_iPKfiiiSD_SD_iiiii
		.amdhsa_group_segment_fixed_size 272
		.amdhsa_private_segment_fixed_size 0
		.amdhsa_kernarg_size 400
		.amdhsa_user_sgpr_count 6
		.amdhsa_user_sgpr_private_segment_buffer 1
		.amdhsa_user_sgpr_dispatch_ptr 0
		.amdhsa_user_sgpr_queue_ptr 0
		.amdhsa_user_sgpr_kernarg_segment_ptr 1
		.amdhsa_user_sgpr_dispatch_id 0
		.amdhsa_user_sgpr_flat_scratch_init 0
		.amdhsa_user_sgpr_kernarg_preload_length 0
		.amdhsa_user_sgpr_kernarg_preload_offset 0
		.amdhsa_user_sgpr_private_segment_size 0
		.amdhsa_uses_dynamic_stack 0
		.amdhsa_system_sgpr_private_segment_wavefront_offset 0
		.amdhsa_system_sgpr_workgroup_id_x 1
		.amdhsa_system_sgpr_workgroup_id_y 1
		.amdhsa_system_sgpr_workgroup_id_z 1
		.amdhsa_system_sgpr_workgroup_info 0
		.amdhsa_system_vgpr_workitem_id 0
		.amdhsa_next_free_vgpr 79
		.amdhsa_next_free_sgpr 43
		.amdhsa_accum_offset 80
		.amdhsa_reserve_vcc 1
		.amdhsa_reserve_flat_scratch 0
		.amdhsa_float_round_mode_32 0
		.amdhsa_float_round_mode_16_64 0
		.amdhsa_float_denorm_mode_32 3
		.amdhsa_float_denorm_mode_16_64 3
		.amdhsa_dx10_clamp 1
		.amdhsa_ieee_mode 1
		.amdhsa_fp16_overflow 0
		.amdhsa_tg_split 0
		.amdhsa_exception_fp_ieee_invalid_op 0
		.amdhsa_exception_fp_denorm_src 0
		.amdhsa_exception_fp_ieee_div_zero 0
		.amdhsa_exception_fp_ieee_overflow 0
		.amdhsa_exception_fp_ieee_underflow 0
		.amdhsa_exception_fp_ieee_inexact 0
		.amdhsa_exception_int_div_zero 0
	.end_amdhsa_kernel
	.section	.text._ZN4vllm25paged_attention_v2_kernelIttLi128ELi32ELi128ELNS_18Fp8KVCacheDataTypeE0ELb0ELi512EEEvPfS2_PT_PKS3_PKT0_S9_ifPKiSB_iPKfiiiSD_SD_iiiii,"axG",@progbits,_ZN4vllm25paged_attention_v2_kernelIttLi128ELi32ELi128ELNS_18Fp8KVCacheDataTypeE0ELb0ELi512EEEvPfS2_PT_PKS3_PKT0_S9_ifPKiSB_iPKfiiiSD_SD_iiiii,comdat
.Lfunc_end123:
	.size	_ZN4vllm25paged_attention_v2_kernelIttLi128ELi32ELi128ELNS_18Fp8KVCacheDataTypeE0ELb0ELi512EEEvPfS2_PT_PKS3_PKT0_S9_ifPKiSB_iPKfiiiSD_SD_iiiii, .Lfunc_end123-_ZN4vllm25paged_attention_v2_kernelIttLi128ELi32ELi128ELNS_18Fp8KVCacheDataTypeE0ELb0ELi512EEEvPfS2_PT_PKS3_PKT0_S9_ifPKiSB_iPKfiiiSD_SD_iiiii
                                        ; -- End function
	.section	.AMDGPU.csdata,"",@progbits
; Kernel info:
; codeLenInByte = 8884
; NumSgprs: 47
; NumVgprs: 79
; NumAgprs: 0
; TotalNumVgprs: 79
; ScratchSize: 0
; MemoryBound: 0
; FloatMode: 240
; IeeeMode: 1
; LDSByteSize: 272 bytes/workgroup (compile time only)
; SGPRBlocks: 5
; VGPRBlocks: 9
; NumSGPRsForWavesPerEU: 47
; NumVGPRsForWavesPerEU: 79
; AccumOffset: 80
; Occupancy: 6
; WaveLimiterHint : 1
; COMPUTE_PGM_RSRC2:SCRATCH_EN: 0
; COMPUTE_PGM_RSRC2:USER_SGPR: 6
; COMPUTE_PGM_RSRC2:TRAP_HANDLER: 0
; COMPUTE_PGM_RSRC2:TGID_X_EN: 1
; COMPUTE_PGM_RSRC2:TGID_Y_EN: 1
; COMPUTE_PGM_RSRC2:TGID_Z_EN: 1
; COMPUTE_PGM_RSRC2:TIDIG_COMP_CNT: 0
; COMPUTE_PGM_RSRC3_GFX90A:ACCUM_OFFSET: 19
; COMPUTE_PGM_RSRC3_GFX90A:TG_SPLIT: 0
	.section	.text._ZN4vllm25paged_attention_v2_kernelIttLi192ELi32ELi128ELNS_18Fp8KVCacheDataTypeE0ELb0ELi512EEEvPfS2_PT_PKS3_PKT0_S9_ifPKiSB_iPKfiiiSD_SD_iiiii,"axG",@progbits,_ZN4vllm25paged_attention_v2_kernelIttLi192ELi32ELi128ELNS_18Fp8KVCacheDataTypeE0ELb0ELi512EEEvPfS2_PT_PKS3_PKT0_S9_ifPKiSB_iPKfiiiSD_SD_iiiii,comdat
	.protected	_ZN4vllm25paged_attention_v2_kernelIttLi192ELi32ELi128ELNS_18Fp8KVCacheDataTypeE0ELb0ELi512EEEvPfS2_PT_PKS3_PKT0_S9_ifPKiSB_iPKfiiiSD_SD_iiiii ; -- Begin function _ZN4vllm25paged_attention_v2_kernelIttLi192ELi32ELi128ELNS_18Fp8KVCacheDataTypeE0ELb0ELi512EEEvPfS2_PT_PKS3_PKT0_S9_ifPKiSB_iPKfiiiSD_SD_iiiii
	.globl	_ZN4vllm25paged_attention_v2_kernelIttLi192ELi32ELi128ELNS_18Fp8KVCacheDataTypeE0ELb0ELi512EEEvPfS2_PT_PKS3_PKT0_S9_ifPKiSB_iPKfiiiSD_SD_iiiii
	.p2align	8
	.type	_ZN4vllm25paged_attention_v2_kernelIttLi192ELi32ELi128ELNS_18Fp8KVCacheDataTypeE0ELb0ELi512EEEvPfS2_PT_PKS3_PKT0_S9_ifPKiSB_iPKfiiiSD_SD_iiiii,@function
_ZN4vllm25paged_attention_v2_kernelIttLi192ELi32ELi128ELNS_18Fp8KVCacheDataTypeE0ELb0ELi512EEEvPfS2_PT_PKS3_PKT0_S9_ifPKiSB_iPKfiiiSD_SD_iiiii: ; @_ZN4vllm25paged_attention_v2_kernelIttLi192ELi32ELi128ELNS_18Fp8KVCacheDataTypeE0ELb0ELi512EEEvPfS2_PT_PKS3_PKT0_S9_ifPKiSB_iPKfiiiSD_SD_iiiii
; %bb.0:
	s_load_dwordx2 s[0:1], s[4:5], 0x40
	s_mov_b32 s24, s7
	s_ashr_i32 s25, s7, 31
	s_lshl_b64 s[2:3], s[24:25], 2
	s_waitcnt lgkmcnt(0)
	s_add_u32 s0, s0, s2
	s_addc_u32 s1, s1, s3
	s_load_dword s25, s[0:1], 0x0
	s_lshl_b32 s33, s8, 9
	s_waitcnt lgkmcnt(0)
	s_cmp_ge_i32 s33, s25
	s_cbranch_scc1 .LBB124_89
; %bb.1:
	s_load_dword s9, s[4:5], 0x90
	s_load_dwordx2 s[10:11], s[4:5], 0x30
	s_mov_b32 s40, 0
	s_waitcnt lgkmcnt(0)
	s_abs_i32 s2, s9
	s_abs_i32 s0, s10
	v_cvt_f32_u32_e32 v1, s0
	s_sub_i32 s3, 0, s0
	s_xor_b32 s1, s9, s10
	s_ashr_i32 s1, s1, 31
	v_rcp_iflag_f32_e32 v1, v1
	v_mul_f32_e32 v1, 0x4f7ffffe, v1
	v_cvt_u32_f32_e32 v1, v1
	v_readfirstlane_b32 s7, v1
	s_mul_i32 s3, s3, s7
	s_mul_hi_u32 s3, s7, s3
	s_add_i32 s7, s7, s3
	s_mul_hi_u32 s3, s2, s7
	s_mul_i32 s7, s3, s0
	s_sub_i32 s2, s2, s7
	s_add_i32 s10, s3, 1
	s_sub_i32 s7, s2, s0
	s_cmp_ge_u32 s2, s0
	s_cselect_b32 s3, s10, s3
	s_cselect_b32 s2, s7, s2
	s_add_i32 s7, s3, 1
	s_cmp_ge_u32 s2, s0
	s_cselect_b32 s0, s7, s3
	s_xor_b32 s0, s0, s1
	s_sub_i32 s10, s0, s1
	s_abs_i32 s2, s10
	v_cvt_f32_u32_e32 v1, s2
	s_load_dwordx2 s[0:1], s[4:5], 0x50
	s_sub_i32 s7, 0, s2
	s_abs_i32 s3, s6
	v_rcp_iflag_f32_e32 v1, v1
	v_mul_f32_e32 v1, 0x4f7ffffe, v1
	v_cvt_u32_f32_e32 v1, v1
	v_readfirstlane_b32 s12, v1
	s_mul_i32 s7, s7, s12
	s_mul_hi_u32 s7, s12, s7
	s_add_i32 s12, s12, s7
	s_waitcnt lgkmcnt(0)
	s_cmp_eq_u64 s[0:1], 0
	s_mul_hi_u32 s16, s3, s12
	s_cbranch_scc1 .LBB124_3
; %bb.2:
	s_ashr_i32 s7, s6, 31
	s_lshl_b64 s[12:13], s[6:7], 2
	s_add_u32 s0, s0, s12
	s_addc_u32 s1, s1, s13
	s_load_dword s40, s[0:1], 0x0
.LBB124_3:
	s_load_dwordx4 s[12:15], s[4:5], 0x58
	s_ashr_i32 s17, s6, 31
	s_ashr_i32 s18, s10, 31
	v_and_b32_e32 v2, 1, v0
	s_movk_i32 s7, 0xc0
	s_mul_i32 s20, s6, 0xc0
	v_cmp_gt_u32_e32 vcc, 48, v0
	v_lshlrev_b32_e32 v1, 3, v0
	s_and_saveexec_b64 s[0:1], vcc
	s_cbranch_execz .LBB124_5
; %bb.4:
	s_load_dwordx2 s[22:23], s[4:5], 0x18
	s_waitcnt lgkmcnt(0)
	s_mul_i32 s26, s24, s12
	s_ashr_i32 s27, s26, 31
	s_lshl_b64 s[26:27], s[26:27], 1
	v_lshlrev_b32_e32 v3, 2, v0
	s_add_u32 s10, s22, s26
	s_addc_u32 s12, s23, s27
	s_ashr_i32 s21, s20, 31
	s_lshl_b64 s[22:23], s[20:21], 1
	s_add_u32 s22, s10, s22
	s_addc_u32 s23, s12, s23
	global_load_dwordx2 v[4:5], v1, s[22:23]
	v_and_b32_e32 v3, 0xff8, v3
	v_mad_u32_u24 v3, v2, s7, v3
	s_waitcnt vmcnt(0)
	ds_write_b64 v3, v[4:5]
.LBB124_5:
	s_or_b64 exec, exec, s[0:1]
	s_add_i32 s0, s25, 31
	s_ashr_i32 s1, s0, 31
	s_lshr_b32 s1, s1, 27
	s_add_i32 s0, s0, s1
	s_lshl_b32 s10, s8, 4
	s_mul_i32 s1, s16, s2
	s_ashr_i32 s7, s0, 5
	s_add_i32 s0, s10, 16
	s_sub_i32 s1, s3, s1
	s_min_i32 s21, s0, s7
	s_xor_b32 s0, s17, s18
	s_add_i32 s3, s16, 1
	s_waitcnt lgkmcnt(0)
	s_sub_i32 s12, s1, s2
	s_cmp_ge_u32 s1, s2
	s_cselect_b32 s3, s3, s16
	s_cselect_b32 s1, s12, s1
	s_add_i32 s12, s3, 1
	s_cmp_ge_u32 s1, s2
	s_load_dwordx2 s[26:27], s[4:5], 0x38
	s_load_dword s2, s[4:5], 0x48
	v_lshrrev_b32_e32 v52, 6, v0
	s_cselect_b32 s1, s12, s3
	s_xor_b32 s1, s1, s0
	v_or_b32_e32 v6, s10, v52
	s_waitcnt lgkmcnt(0)
	s_mul_i32 s28, s24, s2
	s_sub_i32 s15, s1, s0
	s_ashr_i32 s29, s28, 31
	v_cmp_gt_i32_e64 s[0:1], s21, v6
	v_cmp_le_i32_e32 vcc, s21, v6
	v_mbcnt_lo_u32_b32 v4, -1, 0
	s_barrier
	s_waitcnt lgkmcnt(0)
                                        ; implicit-def: $sgpr36
                                        ; implicit-def: $vgpr54
                                        ; implicit-def: $vgpr55
	s_and_saveexec_b64 s[2:3], vcc
	s_xor_b64 s[2:3], exec, s[2:3]
; %bb.6:
	v_mbcnt_hi_u32_b32 v54, -1, v4
	v_and_b32_e32 v2, 64, v54
	v_add_u32_e32 v55, 64, v2
	s_mov_b32 s36, 0xff7fffff
                                        ; implicit-def: $vgpr2
                                        ; implicit-def: $vgpr4
; %bb.7:
	s_or_saveexec_b64 s[34:35], s[2:3]
	s_load_dwordx4 s[16:19], s[4:5], 0x0
	s_load_dwordx2 s[22:23], s[4:5], 0x10
	s_load_dwordx2 s[30:31], s[4:5], 0x28
	s_load_dword s12, s[4:5], 0x98
	v_mov_b32_e32 v56, s36
	s_mul_i32 s14, s15, s14
	v_ashrrev_i32_e32 v7, 31, v6
	v_lshlrev_b32_e32 v53, 5, v52
	s_xor_b64 exec, exec, s[34:35]
	s_cbranch_execz .LBB124_13
; %bb.8:
	s_load_dwordx2 s[2:3], s[4:5], 0x20
	s_ashr_i32 s15, s14, 31
	s_lshl_b64 s[4:5], s[14:15], 1
	v_bfe_u32 v3, v0, 1, 5
	v_lshlrev_b32_e32 v5, 4, v3
	s_waitcnt lgkmcnt(0)
	s_add_u32 s2, s2, s4
	s_addc_u32 s3, s3, s5
	v_mov_b32_e32 v8, s3
	v_add_co_u32_e32 v5, vcc, s2, v5
	v_addc_co_u32_e32 v8, vcc, 0, v8, vcc
	v_and_b32_e32 v9, 8, v1
	v_add_co_u32_e32 v57, vcc, v5, v9
	v_addc_co_u32_e32 v58, vcc, 0, v8, vcc
	v_mul_u32_u24_e32 v59, 0xc0, v2
	v_cmp_eq_u32_e32 vcc, 0, v2
	s_sub_i32 s15, 1, s25
	v_lshlrev_b32_e32 v2, 2, v3
	s_lshl_b64 s[4:5], s[28:29], 2
	v_lshl_or_b32 v2, v52, 7, v2
	s_add_u32 s4, s26, s4
	v_add3_u32 v60, s33, v53, v3
	v_add_u32_e32 v61, 0x190, v2
	v_lshlrev_b64 v[2:3], 2, v[6:7]
	s_addc_u32 s5, s27, s5
	v_mbcnt_hi_u32_b32 v54, -1, v4
	v_mov_b32_e32 v5, s5
	v_add_co_u32_e64 v2, s[4:5], s4, v2
	v_and_b32_e32 v4, 64, v54
	s_mov_b32 s41, s13
	v_cmp_neq_f32_e64 s[2:3], s40, 0
	v_addc_co_u32_e64 v3, s[4:5], v5, v3, s[4:5]
	s_mov_b64 s[36:37], 0
	v_mov_b32_e32 v56, 0xff7fffff
	s_movk_i32 s42, 0x1000
	s_movk_i32 s43, 0x2000
	v_xor_b32_e32 v62, 1, v54
	v_add_u32_e32 v55, 64, v4
	v_mov_b32_e32 v63, v6
	s_branch .LBB124_10
.LBB124_9:                              ;   in Loop: Header=BB124_10 Depth=1
	s_or_b64 exec, exec, s[38:39]
	v_add_u32_e32 v63, 2, v63
	v_cmp_le_i32_e64 s[4:5], s21, v63
	s_or_b64 s[36:37], s[4:5], s[36:37]
	v_add_co_u32_e64 v2, s[4:5], 8, v2
	v_add_u32_e32 v60, 64, v60
	v_add_u32_e32 v61, 0x100, v61
	v_addc_co_u32_e64 v3, s[4:5], 0, v3, s[4:5]
	s_andn2_b64 exec, exec, s[36:37]
	s_cbranch_execz .LBB124_12
.LBB124_10:                             ; =>This Inner Loop Header: Depth=1
	global_load_dword v4, v[2:3], off
	s_waitcnt vmcnt(0) lgkmcnt(0)
	v_mad_i64_i32 v[4:5], s[4:5], v4, s41, 0
	v_lshlrev_b64 v[4:5], 1, v[4:5]
	v_add_co_u32_e64 v4, s[4:5], v57, v4
	v_addc_co_u32_e64 v5, s[4:5], v58, v5, s[4:5]
	global_load_dwordx2 v[66:67], v[4:5], off
	global_load_dwordx2 v[48:49], v[4:5], off offset:512
	global_load_dwordx2 v[50:51], v[4:5], off offset:1024
	;; [unrolled: 1-line block ×7, first 2 shown]
	v_add_co_u32_e64 v64, s[4:5], s43, v4
	v_addc_co_u32_e64 v65, s[4:5], 0, v5, s[4:5]
	global_load_dwordx2 v[36:37], v[64:65], off offset:-4096
	ds_read_b64 v[8:9], v59
	v_add_co_u32_e64 v4, s[4:5], s42, v4
	v_addc_co_u32_e64 v5, s[4:5], 0, v5, s[4:5]
	s_waitcnt lgkmcnt(0)
	v_lshrrev_b32_e32 v68, 16, v8
	v_and_b32_e32 v69, 0xffff, v8
	v_lshrrev_b32_e32 v72, 16, v9
	v_and_b32_e32 v73, 0xffff, v9
	global_load_dwordx2 v[34:35], v[4:5], off offset:512
	global_load_dwordx2 v[32:33], v[4:5], off offset:1024
	;; [unrolled: 1-line block ×7, first 2 shown]
	global_load_dwordx2 v[20:21], v[64:65], off
	global_load_dwordx2 v[18:19], v[64:65], off offset:512
	global_load_dwordx2 v[16:17], v[64:65], off offset:1024
                                        ; kill: killed $vgpr4 killed $vgpr5
	global_load_dwordx2 v[14:15], v[64:65], off offset:1536
	global_load_dwordx2 v[12:13], v[64:65], off offset:2048
	;; [unrolled: 1-line block ×5, first 2 shown]
	;;#ASMSTART
	v_cvt_f32_f16 v74, v69;
	;;#ASMEND
	;;#ASMSTART
	v_cvt_f32_f16 v65, v68;
	;;#ASMEND
	v_cmp_lt_i32_e64 s[4:5], v62, v55
	s_waitcnt vmcnt(23)
	v_lshrrev_b32_e32 v75, 16, v66
	v_and_b32_e32 v76, 0xffff, v66
	v_lshrrev_b32_e32 v77, 16, v67
	v_and_b32_e32 v78, 0xffff, v67
	s_waitcnt vmcnt(19)
	v_lshrrev_b32_e32 v67, 16, v44
	v_and_b32_e32 v70, 0xffff, v44
	v_lshrrev_b32_e32 v80, 16, v45
	v_and_b32_e32 v81, 0xffff, v45
	;;#ASMSTART
	v_cvt_f32_f16 v76, v76;
	;;#ASMEND
	;;#ASMSTART
	v_cvt_f32_f16 v75, v75;
	;;#ASMEND
	;; [unrolled: 3-line block ×6, first 2 shown]
	ds_read_b64 v[44:45], v59 offset:8
	s_waitcnt vmcnt(18)
	v_lshrrev_b32_e32 v82, 16, v42
	v_and_b32_e32 v83, 0xffff, v42
	v_and_b32_e32 v79, 0xffff, v48
	v_lshrrev_b32_e32 v68, 16, v48
	s_waitcnt lgkmcnt(0)
	v_and_b32_e32 v42, 0xffff, v44
	v_lshrrev_b32_e32 v44, 16, v44
	;;#ASMSTART
	v_cvt_f32_f16 v42, v42;
	;;#ASMEND
	;;#ASMSTART
	v_cvt_f32_f16 v44, v44;
	;;#ASMEND
	;; [unrolled: 3-line block ×3, first 2 shown]
	v_mul_f32_e32 v42, v42, v79
	v_lshrrev_b32_e32 v69, 16, v49
	s_waitcnt vmcnt(17)
	v_lshrrev_b32_e32 v79, 16, v40
	v_fmac_f32_e32 v42, v74, v76
	v_and_b32_e32 v74, 0xffff, v40
	s_waitcnt vmcnt(16)
	v_lshrrev_b32_e32 v85, 16, v38
	v_and_b32_e32 v86, 0xffff, v38
	v_lshrrev_b32_e32 v87, 16, v39
	v_and_b32_e32 v88, 0xffff, v39
	;; [unrolled: 2-line block ×3, first 2 shown]
	;;#ASMSTART
	v_cvt_f32_f16 v38, v68;
	;;#ASMEND
	v_and_b32_e32 v71, 0xffff, v49
	v_mul_f32_e32 v38, v44, v38
	;;#ASMSTART
	v_cvt_f32_f16 v40, v40;
	;;#ASMEND
	;;#ASMSTART
	v_cvt_f32_f16 v68, v39;
	;;#ASMEND
	;; [unrolled: 3-line block ×4, first 2 shown]
	ds_read_b64 v[44:45], v59 offset:16
	v_and_b32_e32 v48, 0xffff, v50
	v_lshrrev_b32_e32 v49, 16, v50
	v_lshrrev_b32_e32 v50, 16, v51
	v_and_b32_e32 v51, 0xffff, v51
	v_mul_f32_e32 v39, v40, v39
	v_mul_f32_e32 v40, v68, v69
	s_waitcnt lgkmcnt(0)
	v_lshrrev_b32_e32 v68, 16, v44
	v_and_b32_e32 v44, 0xffff, v44
	v_lshrrev_b32_e32 v69, 16, v45
	v_and_b32_e32 v45, 0xffff, v45
	v_fmac_f32_e32 v40, v72, v77
	;;#ASMSTART
	v_cvt_f32_f16 v71, v44;
	;;#ASMEND
	;;#ASMSTART
	v_cvt_f32_f16 v68, v68;
	;;#ASMEND
	;; [unrolled: 3-line block ×8, first 2 shown]
	ds_read_b64 v[44:45], v59 offset:24
	v_fmac_f32_e32 v38, v65, v75
	v_lshrrev_b32_e32 v64, 16, v46
	v_and_b32_e32 v46, 0xffff, v46
	v_lshrrev_b32_e32 v66, 16, v47
	v_and_b32_e32 v47, 0xffff, v47
	v_fmac_f32_e32 v39, v73, v78
	v_fmac_f32_e32 v42, v71, v48
	;; [unrolled: 1-line block ×3, first 2 shown]
	s_waitcnt lgkmcnt(0)
	v_lshrrev_b32_e32 v48, 16, v44
	v_and_b32_e32 v44, 0xffff, v44
	v_lshrrev_b32_e32 v49, 16, v45
	v_and_b32_e32 v45, 0xffff, v45
	v_fmac_f32_e32 v39, v72, v51
	v_fmac_f32_e32 v40, v69, v50
	;;#ASMSTART
	v_cvt_f32_f16 v50, v44;
	;;#ASMEND
	;;#ASMSTART
	v_cvt_f32_f16 v48, v48;
	;;#ASMEND
	;; [unrolled: 3-line block ×8, first 2 shown]
	ds_read_b64 v[44:45], v59 offset:32
	v_fmac_f32_e32 v42, v50, v46
	v_fmac_f32_e32 v39, v64, v47
	;; [unrolled: 1-line block ×4, first 2 shown]
	s_waitcnt lgkmcnt(0)
	v_lshrrev_b32_e32 v46, 16, v44
	v_and_b32_e32 v44, 0xffff, v44
	v_lshrrev_b32_e32 v47, 16, v45
	v_and_b32_e32 v45, 0xffff, v45
	;;#ASMSTART
	v_cvt_f32_f16 v48, v44;
	;;#ASMEND
	;;#ASMSTART
	v_cvt_f32_f16 v46, v46;
	;;#ASMEND
	;; [unrolled: 3-line block ×8, first 2 shown]
	ds_read_b64 v[44:45], v59 offset:40
	v_lshrrev_b32_e32 v84, 16, v43
	v_and_b32_e32 v43, 0xffff, v43
	v_fmac_f32_e32 v38, v46, v50
	v_fmac_f32_e32 v40, v47, v66
	s_waitcnt lgkmcnt(0)
	v_lshrrev_b32_e32 v46, 16, v44
	v_and_b32_e32 v44, 0xffff, v44
	v_lshrrev_b32_e32 v47, 16, v45
	v_and_b32_e32 v45, 0xffff, v45
	v_fmac_f32_e32 v42, v48, v49
	v_fmac_f32_e32 v39, v51, v64
	;;#ASMSTART
	v_cvt_f32_f16 v48, v44;
	;;#ASMEND
	;;#ASMSTART
	v_cvt_f32_f16 v46, v46;
	;;#ASMEND
	;; [unrolled: 3-line block ×8, first 2 shown]
	ds_read_b64 v[44:45], v59 offset:48
	v_lshrrev_b32_e32 v76, 16, v41
	v_and_b32_e32 v41, 0xffff, v41
	v_fmac_f32_e32 v38, v46, v50
	v_fmac_f32_e32 v39, v51, v43
	s_waitcnt lgkmcnt(0)
	v_lshrrev_b32_e32 v43, 16, v44
	v_and_b32_e32 v44, 0xffff, v44
	v_lshrrev_b32_e32 v46, 16, v45
	v_and_b32_e32 v45, 0xffff, v45
	v_fmac_f32_e32 v42, v48, v49
	v_fmac_f32_e32 v40, v47, v64
	;;#ASMSTART
	v_cvt_f32_f16 v47, v44;
	;;#ASMEND
	;;#ASMSTART
	v_cvt_f32_f16 v43, v43;
	;;#ASMEND
	;; [unrolled: 3-line block ×8, first 2 shown]
	ds_read_b64 v[44:45], v59 offset:56
	v_fmac_f32_e32 v38, v43, v49
	v_fmac_f32_e32 v39, v50, v41
	;; [unrolled: 1-line block ×4, first 2 shown]
	s_waitcnt lgkmcnt(0)
	v_lshrrev_b32_e32 v41, 16, v44
	v_and_b32_e32 v43, 0xffff, v44
	v_lshrrev_b32_e32 v44, 16, v45
	v_and_b32_e32 v45, 0xffff, v45
	;;#ASMSTART
	v_cvt_f32_f16 v43, v43;
	;;#ASMEND
	;;#ASMSTART
	v_cvt_f32_f16 v41, v41;
	;;#ASMEND
	;; [unrolled: 3-line block ×8, first 2 shown]
	ds_read_b64 v[44:45], v59 offset:64
	s_waitcnt vmcnt(15)
	v_lshrrev_b32_e32 v65, 16, v36
	v_fmac_f32_e32 v42, v43, v46
	v_fmac_f32_e32 v38, v41, v47
	v_and_b32_e32 v36, 0xffff, v36
	s_waitcnt lgkmcnt(0)
	v_lshrrev_b32_e32 v41, 16, v44
	v_and_b32_e32 v43, 0xffff, v44
	;;#ASMSTART
	v_cvt_f32_f16 v43, v43;
	;;#ASMEND
	;;#ASMSTART
	v_cvt_f32_f16 v41, v41;
	;;#ASMEND
	;; [unrolled: 3-line block ×3, first 2 shown]
	v_lshrrev_b32_e32 v36, 16, v45
	v_and_b32_e32 v45, 0xffff, v45
	;;#ASMSTART
	v_cvt_f32_f16 v46, v65;
	;;#ASMEND
	;;#ASMSTART
	v_cvt_f32_f16 v45, v45;
	;;#ASMEND
	;; [unrolled: 3-line block ×3, first 2 shown]
	v_lshrrev_b32_e32 v36, 16, v37
	v_and_b32_e32 v37, 0xffff, v37
	v_fmac_f32_e32 v39, v48, v50
	v_fmac_f32_e32 v40, v49, v51
	;;#ASMSTART
	v_cvt_f32_f16 v48, v37;
	;;#ASMEND
	;;#ASMSTART
	v_cvt_f32_f16 v49, v36;
	;;#ASMEND
	ds_read_b64 v[36:37], v59 offset:72
	v_fmac_f32_e32 v42, v43, v44
	v_fmac_f32_e32 v38, v41, v46
	s_waitcnt vmcnt(14)
	v_lshrrev_b32_e32 v43, 16, v34
	v_and_b32_e32 v34, 0xffff, v34
	s_waitcnt lgkmcnt(0)
	v_lshrrev_b32_e32 v41, 16, v36
	v_and_b32_e32 v36, 0xffff, v36
	;;#ASMSTART
	v_cvt_f32_f16 v36, v36;
	;;#ASMEND
	;;#ASMSTART
	v_cvt_f32_f16 v41, v41;
	;;#ASMEND
	;; [unrolled: 3-line block ×3, first 2 shown]
	v_lshrrev_b32_e32 v34, 16, v37
	v_and_b32_e32 v37, 0xffff, v37
	v_fmac_f32_e32 v39, v45, v48
	;;#ASMSTART
	v_cvt_f32_f16 v43, v43;
	;;#ASMEND
	;;#ASMSTART
	v_cvt_f32_f16 v37, v37;
	;;#ASMEND
	;;#ASMSTART
	v_cvt_f32_f16 v45, v34;
	;;#ASMEND
	v_lshrrev_b32_e32 v34, 16, v35
	v_and_b32_e32 v35, 0xffff, v35
	v_fmac_f32_e32 v40, v47, v49
	;;#ASMSTART
	v_cvt_f32_f16 v46, v35;
	;;#ASMEND
	;;#ASMSTART
	v_cvt_f32_f16 v47, v34;
	;;#ASMEND
	ds_read_b64 v[34:35], v59 offset:80
	v_fmac_f32_e32 v42, v36, v44
	v_fmac_f32_e32 v39, v37, v46
	s_waitcnt vmcnt(13)
	v_lshrrev_b32_e32 v37, 16, v32
	v_and_b32_e32 v32, 0xffff, v32
	s_waitcnt lgkmcnt(0)
	v_lshrrev_b32_e32 v36, 16, v34
	v_and_b32_e32 v34, 0xffff, v34
	v_fmac_f32_e32 v38, v41, v43
	;;#ASMSTART
	v_cvt_f32_f16 v34, v34;
	;;#ASMEND
	;;#ASMSTART
	v_cvt_f32_f16 v36, v36;
	;;#ASMEND
	;;#ASMSTART
	v_cvt_f32_f16 v41, v32;
	;;#ASMEND
	v_lshrrev_b32_e32 v32, 16, v35
	v_and_b32_e32 v35, 0xffff, v35
	;;#ASMSTART
	v_cvt_f32_f16 v37, v37;
	;;#ASMEND
	;;#ASMSTART
	v_cvt_f32_f16 v35, v35;
	;;#ASMEND
	;;#ASMSTART
	v_cvt_f32_f16 v43, v32;
	;;#ASMEND
	v_lshrrev_b32_e32 v32, 16, v33
	v_and_b32_e32 v33, 0xffff, v33
	v_fmac_f32_e32 v40, v45, v47
	;;#ASMSTART
	v_cvt_f32_f16 v44, v33;
	;;#ASMEND
	;;#ASMSTART
	v_cvt_f32_f16 v45, v32;
	;;#ASMEND
	ds_read_b64 v[32:33], v59 offset:88
	v_fmac_f32_e32 v42, v34, v41
	v_fmac_f32_e32 v39, v35, v44
	s_waitcnt vmcnt(12)
	v_lshrrev_b32_e32 v35, 16, v30
	v_and_b32_e32 v30, 0xffff, v30
	s_waitcnt lgkmcnt(0)
	v_lshrrev_b32_e32 v34, 16, v32
	v_and_b32_e32 v32, 0xffff, v32
	v_fmac_f32_e32 v38, v36, v37
	;;#ASMSTART
	v_cvt_f32_f16 v32, v32;
	;;#ASMEND
	;;#ASMSTART
	v_cvt_f32_f16 v34, v34;
	;;#ASMEND
	;;#ASMSTART
	v_cvt_f32_f16 v36, v30;
	;;#ASMEND
	v_lshrrev_b32_e32 v30, 16, v33
	v_and_b32_e32 v33, 0xffff, v33
	;;#ASMSTART
	v_cvt_f32_f16 v35, v35;
	;;#ASMEND
	;;#ASMSTART
	v_cvt_f32_f16 v33, v33;
	;;#ASMEND
	;;#ASMSTART
	v_cvt_f32_f16 v37, v30;
	;;#ASMEND
	v_lshrrev_b32_e32 v30, 16, v31
	v_and_b32_e32 v31, 0xffff, v31
	v_fmac_f32_e32 v40, v43, v45
	;;#ASMSTART
	v_cvt_f32_f16 v41, v31;
	;;#ASMEND
	;;#ASMSTART
	v_cvt_f32_f16 v43, v30;
	;;#ASMEND
	ds_read_b64 v[30:31], v59 offset:96
	v_fmac_f32_e32 v42, v32, v36
	v_fmac_f32_e32 v39, v33, v41
	s_waitcnt vmcnt(11)
	v_lshrrev_b32_e32 v33, 16, v28
	v_and_b32_e32 v28, 0xffff, v28
	s_waitcnt lgkmcnt(0)
	v_lshrrev_b32_e32 v32, 16, v30
	v_and_b32_e32 v30, 0xffff, v30
	v_fmac_f32_e32 v38, v34, v35
	;;#ASMSTART
	v_cvt_f32_f16 v30, v30;
	;;#ASMEND
	;;#ASMSTART
	v_cvt_f32_f16 v32, v32;
	;;#ASMEND
	;;#ASMSTART
	v_cvt_f32_f16 v34, v28;
	;;#ASMEND
	v_lshrrev_b32_e32 v28, 16, v31
	v_and_b32_e32 v31, 0xffff, v31
	;;#ASMSTART
	v_cvt_f32_f16 v33, v33;
	;;#ASMEND
	;;#ASMSTART
	v_cvt_f32_f16 v31, v31;
	;;#ASMEND
	;;#ASMSTART
	v_cvt_f32_f16 v35, v28;
	;;#ASMEND
	v_lshrrev_b32_e32 v28, 16, v29
	v_and_b32_e32 v29, 0xffff, v29
	v_fmac_f32_e32 v40, v37, v43
	;;#ASMSTART
	v_cvt_f32_f16 v36, v29;
	;;#ASMEND
	;;#ASMSTART
	v_cvt_f32_f16 v37, v28;
	;;#ASMEND
	ds_read_b64 v[28:29], v59 offset:104
	v_fmac_f32_e32 v42, v30, v34
	v_fmac_f32_e32 v39, v31, v36
	s_waitcnt vmcnt(10)
	v_lshrrev_b32_e32 v31, 16, v26
	v_and_b32_e32 v26, 0xffff, v26
	s_waitcnt lgkmcnt(0)
	v_lshrrev_b32_e32 v30, 16, v28
	v_and_b32_e32 v28, 0xffff, v28
	v_fmac_f32_e32 v38, v32, v33
	;;#ASMSTART
	v_cvt_f32_f16 v28, v28;
	;;#ASMEND
	;;#ASMSTART
	v_cvt_f32_f16 v30, v30;
	;;#ASMEND
	;;#ASMSTART
	v_cvt_f32_f16 v32, v26;
	;;#ASMEND
	v_lshrrev_b32_e32 v26, 16, v29
	v_and_b32_e32 v29, 0xffff, v29
	;;#ASMSTART
	v_cvt_f32_f16 v31, v31;
	;;#ASMEND
	;;#ASMSTART
	v_cvt_f32_f16 v29, v29;
	;;#ASMEND
	;;#ASMSTART
	v_cvt_f32_f16 v33, v26;
	;;#ASMEND
	v_lshrrev_b32_e32 v26, 16, v27
	v_and_b32_e32 v27, 0xffff, v27
	v_fmac_f32_e32 v40, v35, v37
	;;#ASMSTART
	v_cvt_f32_f16 v34, v27;
	;;#ASMEND
	;;#ASMSTART
	v_cvt_f32_f16 v35, v26;
	;;#ASMEND
	ds_read_b64 v[26:27], v59 offset:112
	v_fmac_f32_e32 v42, v28, v32
	v_fmac_f32_e32 v39, v29, v34
	s_waitcnt vmcnt(9)
	v_lshrrev_b32_e32 v29, 16, v24
	v_and_b32_e32 v24, 0xffff, v24
	s_waitcnt lgkmcnt(0)
	v_lshrrev_b32_e32 v28, 16, v26
	v_and_b32_e32 v26, 0xffff, v26
	v_fmac_f32_e32 v38, v30, v31
	;;#ASMSTART
	v_cvt_f32_f16 v26, v26;
	;;#ASMEND
	;;#ASMSTART
	v_cvt_f32_f16 v28, v28;
	;;#ASMEND
	;;#ASMSTART
	v_cvt_f32_f16 v30, v24;
	;;#ASMEND
	v_lshrrev_b32_e32 v24, 16, v27
	v_and_b32_e32 v27, 0xffff, v27
	;;#ASMSTART
	v_cvt_f32_f16 v29, v29;
	;;#ASMEND
	;;#ASMSTART
	v_cvt_f32_f16 v27, v27;
	;;#ASMEND
	;;#ASMSTART
	v_cvt_f32_f16 v31, v24;
	;;#ASMEND
	v_lshrrev_b32_e32 v24, 16, v25
	v_and_b32_e32 v25, 0xffff, v25
	v_fmac_f32_e32 v40, v33, v35
	;;#ASMSTART
	v_cvt_f32_f16 v32, v25;
	;;#ASMEND
	;;#ASMSTART
	v_cvt_f32_f16 v33, v24;
	;;#ASMEND
	ds_read_b64 v[24:25], v59 offset:120
	v_fmac_f32_e32 v42, v26, v30
	v_fmac_f32_e32 v39, v27, v32
	s_waitcnt vmcnt(8)
	v_lshrrev_b32_e32 v27, 16, v22
	v_and_b32_e32 v22, 0xffff, v22
	s_waitcnt lgkmcnt(0)
	v_lshrrev_b32_e32 v26, 16, v24
	v_and_b32_e32 v24, 0xffff, v24
	v_fmac_f32_e32 v38, v28, v29
	;;#ASMSTART
	v_cvt_f32_f16 v24, v24;
	;;#ASMEND
	;;#ASMSTART
	v_cvt_f32_f16 v26, v26;
	;;#ASMEND
	;;#ASMSTART
	v_cvt_f32_f16 v28, v22;
	;;#ASMEND
	v_lshrrev_b32_e32 v22, 16, v25
	v_and_b32_e32 v25, 0xffff, v25
	;;#ASMSTART
	v_cvt_f32_f16 v27, v27;
	;;#ASMEND
	;;#ASMSTART
	v_cvt_f32_f16 v25, v25;
	;;#ASMEND
	;;#ASMSTART
	v_cvt_f32_f16 v29, v22;
	;;#ASMEND
	v_lshrrev_b32_e32 v22, 16, v23
	v_and_b32_e32 v23, 0xffff, v23
	v_fmac_f32_e32 v40, v31, v33
	;;#ASMSTART
	v_cvt_f32_f16 v30, v23;
	;;#ASMEND
	;;#ASMSTART
	v_cvt_f32_f16 v31, v22;
	;;#ASMEND
	ds_read_b64 v[22:23], v59 offset:128
	v_fmac_f32_e32 v42, v24, v28
	v_fmac_f32_e32 v39, v25, v30
	s_waitcnt vmcnt(7)
	v_lshrrev_b32_e32 v25, 16, v20
	v_and_b32_e32 v20, 0xffff, v20
	s_waitcnt lgkmcnt(0)
	v_lshrrev_b32_e32 v24, 16, v22
	v_and_b32_e32 v22, 0xffff, v22
	v_fmac_f32_e32 v38, v26, v27
	;;#ASMSTART
	v_cvt_f32_f16 v22, v22;
	;;#ASMEND
	;;#ASMSTART
	v_cvt_f32_f16 v24, v24;
	;;#ASMEND
	;;#ASMSTART
	v_cvt_f32_f16 v26, v20;
	;;#ASMEND
	v_lshrrev_b32_e32 v20, 16, v23
	v_and_b32_e32 v23, 0xffff, v23
	;;#ASMSTART
	v_cvt_f32_f16 v25, v25;
	;;#ASMEND
	;;#ASMSTART
	v_cvt_f32_f16 v23, v23;
	;;#ASMEND
	;;#ASMSTART
	v_cvt_f32_f16 v27, v20;
	;;#ASMEND
	v_lshrrev_b32_e32 v20, 16, v21
	v_and_b32_e32 v21, 0xffff, v21
	v_fmac_f32_e32 v40, v29, v31
	;;#ASMSTART
	v_cvt_f32_f16 v28, v21;
	;;#ASMEND
	;;#ASMSTART
	v_cvt_f32_f16 v29, v20;
	;;#ASMEND
	ds_read_b64 v[20:21], v59 offset:136
	v_fmac_f32_e32 v42, v22, v26
	v_fmac_f32_e32 v39, v23, v28
	s_waitcnt vmcnt(6)
	v_lshrrev_b32_e32 v23, 16, v18
	v_and_b32_e32 v18, 0xffff, v18
	s_waitcnt lgkmcnt(0)
	v_lshrrev_b32_e32 v22, 16, v20
	v_and_b32_e32 v20, 0xffff, v20
	v_fmac_f32_e32 v38, v24, v25
	;;#ASMSTART
	v_cvt_f32_f16 v20, v20;
	;;#ASMEND
	;;#ASMSTART
	v_cvt_f32_f16 v22, v22;
	;;#ASMEND
	;;#ASMSTART
	v_cvt_f32_f16 v24, v18;
	;;#ASMEND
	v_lshrrev_b32_e32 v18, 16, v21
	v_and_b32_e32 v21, 0xffff, v21
	;;#ASMSTART
	v_cvt_f32_f16 v23, v23;
	;;#ASMEND
	;;#ASMSTART
	v_cvt_f32_f16 v21, v21;
	;;#ASMEND
	;;#ASMSTART
	v_cvt_f32_f16 v25, v18;
	;;#ASMEND
	v_lshrrev_b32_e32 v18, 16, v19
	v_and_b32_e32 v19, 0xffff, v19
	v_fmac_f32_e32 v40, v27, v29
	;;#ASMSTART
	v_cvt_f32_f16 v26, v19;
	;;#ASMEND
	;;#ASMSTART
	v_cvt_f32_f16 v27, v18;
	;;#ASMEND
	ds_read_b64 v[18:19], v59 offset:144
	v_fmac_f32_e32 v42, v20, v24
	v_fmac_f32_e32 v39, v21, v26
	s_waitcnt vmcnt(5)
	v_lshrrev_b32_e32 v21, 16, v16
	v_and_b32_e32 v16, 0xffff, v16
	s_waitcnt lgkmcnt(0)
	v_lshrrev_b32_e32 v20, 16, v18
	v_and_b32_e32 v18, 0xffff, v18
	v_fmac_f32_e32 v38, v22, v23
	;;#ASMSTART
	v_cvt_f32_f16 v18, v18;
	;;#ASMEND
	;;#ASMSTART
	v_cvt_f32_f16 v20, v20;
	;;#ASMEND
	;;#ASMSTART
	v_cvt_f32_f16 v22, v16;
	;;#ASMEND
	v_lshrrev_b32_e32 v16, 16, v19
	v_and_b32_e32 v19, 0xffff, v19
	;;#ASMSTART
	v_cvt_f32_f16 v21, v21;
	;;#ASMEND
	;;#ASMSTART
	v_cvt_f32_f16 v19, v19;
	;;#ASMEND
	;;#ASMSTART
	v_cvt_f32_f16 v23, v16;
	;;#ASMEND
	v_lshrrev_b32_e32 v16, 16, v17
	v_and_b32_e32 v17, 0xffff, v17
	v_fmac_f32_e32 v40, v25, v27
	;;#ASMSTART
	v_cvt_f32_f16 v24, v17;
	;;#ASMEND
	;;#ASMSTART
	v_cvt_f32_f16 v25, v16;
	;;#ASMEND
	ds_read_b64 v[16:17], v59 offset:152
	v_fmac_f32_e32 v42, v18, v22
	v_fmac_f32_e32 v39, v19, v24
	s_waitcnt vmcnt(4)
	v_lshrrev_b32_e32 v19, 16, v14
	v_and_b32_e32 v14, 0xffff, v14
	s_waitcnt lgkmcnt(0)
	v_lshrrev_b32_e32 v18, 16, v16
	v_and_b32_e32 v16, 0xffff, v16
	v_fmac_f32_e32 v38, v20, v21
	;;#ASMSTART
	v_cvt_f32_f16 v16, v16;
	;;#ASMEND
	;;#ASMSTART
	v_cvt_f32_f16 v18, v18;
	;;#ASMEND
	;;#ASMSTART
	v_cvt_f32_f16 v20, v14;
	;;#ASMEND
	v_lshrrev_b32_e32 v14, 16, v17
	v_and_b32_e32 v17, 0xffff, v17
	;;#ASMSTART
	v_cvt_f32_f16 v19, v19;
	;;#ASMEND
	;;#ASMSTART
	v_cvt_f32_f16 v17, v17;
	;;#ASMEND
	;;#ASMSTART
	v_cvt_f32_f16 v21, v14;
	;;#ASMEND
	v_lshrrev_b32_e32 v14, 16, v15
	v_and_b32_e32 v15, 0xffff, v15
	v_fmac_f32_e32 v40, v23, v25
	;;#ASMSTART
	v_cvt_f32_f16 v22, v15;
	;;#ASMEND
	;;#ASMSTART
	v_cvt_f32_f16 v23, v14;
	;;#ASMEND
	ds_read_b64 v[14:15], v59 offset:160
	v_fmac_f32_e32 v42, v16, v20
	v_fmac_f32_e32 v39, v17, v22
	s_waitcnt vmcnt(3)
	v_lshrrev_b32_e32 v17, 16, v12
	v_and_b32_e32 v12, 0xffff, v12
	s_waitcnt lgkmcnt(0)
	v_lshrrev_b32_e32 v16, 16, v14
	v_and_b32_e32 v14, 0xffff, v14
	v_fmac_f32_e32 v38, v18, v19
	;;#ASMSTART
	v_cvt_f32_f16 v14, v14;
	;;#ASMEND
	;;#ASMSTART
	v_cvt_f32_f16 v16, v16;
	;;#ASMEND
	;;#ASMSTART
	v_cvt_f32_f16 v18, v12;
	;;#ASMEND
	v_lshrrev_b32_e32 v12, 16, v15
	v_and_b32_e32 v15, 0xffff, v15
	;;#ASMSTART
	v_cvt_f32_f16 v17, v17;
	;;#ASMEND
	;;#ASMSTART
	v_cvt_f32_f16 v15, v15;
	;;#ASMEND
	;;#ASMSTART
	v_cvt_f32_f16 v19, v12;
	;;#ASMEND
	v_lshrrev_b32_e32 v12, 16, v13
	v_and_b32_e32 v13, 0xffff, v13
	v_fmac_f32_e32 v40, v21, v23
	;;#ASMSTART
	v_cvt_f32_f16 v20, v13;
	;;#ASMEND
	;;#ASMSTART
	v_cvt_f32_f16 v21, v12;
	;;#ASMEND
	ds_read_b64 v[12:13], v59 offset:168
	v_fmac_f32_e32 v42, v14, v18
	v_fmac_f32_e32 v39, v15, v20
	s_waitcnt vmcnt(2)
	v_lshrrev_b32_e32 v15, 16, v10
	v_and_b32_e32 v10, 0xffff, v10
	s_waitcnt lgkmcnt(0)
	v_lshrrev_b32_e32 v14, 16, v12
	v_and_b32_e32 v12, 0xffff, v12
	v_fmac_f32_e32 v38, v16, v17
	;;#ASMSTART
	v_cvt_f32_f16 v12, v12;
	;;#ASMEND
	;;#ASMSTART
	v_cvt_f32_f16 v14, v14;
	;;#ASMEND
	;;#ASMSTART
	v_cvt_f32_f16 v16, v10;
	;;#ASMEND
	v_lshrrev_b32_e32 v10, 16, v13
	v_and_b32_e32 v13, 0xffff, v13
	;;#ASMSTART
	v_cvt_f32_f16 v15, v15;
	;;#ASMEND
	;;#ASMSTART
	v_cvt_f32_f16 v13, v13;
	;;#ASMEND
	;;#ASMSTART
	v_cvt_f32_f16 v17, v10;
	;;#ASMEND
	v_lshrrev_b32_e32 v10, 16, v11
	v_and_b32_e32 v11, 0xffff, v11
	v_fmac_f32_e32 v40, v19, v21
	;;#ASMSTART
	v_cvt_f32_f16 v18, v11;
	;;#ASMEND
	;;#ASMSTART
	v_cvt_f32_f16 v19, v10;
	;;#ASMEND
	ds_read_b64 v[10:11], v59 offset:176
	v_fmac_f32_e32 v42, v12, v16
	v_fmac_f32_e32 v39, v13, v18
	s_waitcnt vmcnt(1)
	v_lshrrev_b32_e32 v13, 16, v8
	v_and_b32_e32 v8, 0xffff, v8
	s_waitcnt lgkmcnt(0)
	v_lshrrev_b32_e32 v12, 16, v10
	v_and_b32_e32 v10, 0xffff, v10
	v_fmac_f32_e32 v38, v14, v15
	;;#ASMSTART
	v_cvt_f32_f16 v10, v10;
	;;#ASMEND
	;;#ASMSTART
	v_cvt_f32_f16 v12, v12;
	;;#ASMEND
	;;#ASMSTART
	v_cvt_f32_f16 v14, v8;
	;;#ASMEND
	v_lshrrev_b32_e32 v8, 16, v11
	v_and_b32_e32 v11, 0xffff, v11
	;;#ASMSTART
	v_cvt_f32_f16 v13, v13;
	;;#ASMEND
	;;#ASMSTART
	v_cvt_f32_f16 v11, v11;
	;;#ASMEND
	;; [unrolled: 3-line block ×3, first 2 shown]
	v_lshrrev_b32_e32 v8, 16, v9
	v_and_b32_e32 v9, 0xffff, v9
	v_fmac_f32_e32 v40, v17, v19
	;;#ASMSTART
	v_cvt_f32_f16 v16, v9;
	;;#ASMEND
	;;#ASMSTART
	v_cvt_f32_f16 v17, v8;
	;;#ASMEND
	ds_read_b64 v[8:9], v59 offset:184
	v_fmac_f32_e32 v42, v10, v14
	v_fmac_f32_e32 v39, v11, v16
	s_waitcnt vmcnt(0)
	v_lshrrev_b32_e32 v11, 16, v4
	v_and_b32_e32 v4, 0xffff, v4
	s_waitcnt lgkmcnt(0)
	v_lshrrev_b32_e32 v10, 16, v8
	v_and_b32_e32 v8, 0xffff, v8
	;;#ASMSTART
	v_cvt_f32_f16 v8, v8;
	;;#ASMEND
	;;#ASMSTART
	v_cvt_f32_f16 v10, v10;
	;;#ASMEND
	;; [unrolled: 3-line block ×3, first 2 shown]
	v_fmac_f32_e32 v38, v12, v13
	v_fmac_f32_e32 v42, v8, v4
	v_lshrrev_b32_e32 v4, 16, v9
	v_and_b32_e32 v8, 0xffff, v9
	v_fmac_f32_e32 v40, v15, v17
	;;#ASMSTART
	v_cvt_f32_f16 v11, v11;
	;;#ASMEND
	v_fmac_f32_e32 v38, v10, v11
	;;#ASMSTART
	v_cvt_f32_f16 v8, v8;
	;;#ASMEND
	;;#ASMSTART
	v_cvt_f32_f16 v4, v4;
	;;#ASMEND
	v_lshrrev_b32_e32 v9, 16, v5
	v_and_b32_e32 v5, 0xffff, v5
	;;#ASMSTART
	v_cvt_f32_f16 v5, v5;
	;;#ASMEND
	;;#ASMSTART
	v_cvt_f32_f16 v9, v9;
	;;#ASMEND
	v_fmac_f32_e32 v39, v8, v5
	v_fmac_f32_e32 v40, v4, v9
	v_add_f32_e32 v4, v42, v38
	v_add_f32_e32 v4, v4, v39
	v_cndmask_b32_e64 v5, v54, v62, s[4:5]
	v_add_f32_e32 v4, v40, v4
	v_lshlrev_b32_e32 v5, 2, v5
	ds_bpermute_b32 v5, v5, v4
	s_and_saveexec_b64 s[38:39], vcc
	s_cbranch_execz .LBB124_9
; %bb.11:                               ;   in Loop: Header=BB124_10 Depth=1
	v_add_u32_e32 v8, s15, v60
	v_cvt_f32_i32_e32 v8, v8
	s_waitcnt lgkmcnt(0)
	v_add_f32_e32 v4, v4, v5
	v_cmp_gt_i32_e64 s[4:5], s25, v60
	v_max_f32_e32 v5, v56, v56
	v_mul_f32_e32 v8, s40, v8
	v_cndmask_b32_e64 v8, 0, v8, s[2:3]
	v_fmac_f32_e32 v8, s11, v4
	v_cndmask_b32_e64 v4, 0, v8, s[4:5]
	ds_write_b32 v61, v4
	v_max_f32_e32 v4, v5, v8
	v_cndmask_b32_e64 v56, v56, v4, s[4:5]
	s_branch .LBB124_9
.LBB124_12:
	s_or_b64 exec, exec, s[36:37]
.LBB124_13:
	s_or_b64 exec, exec, s[34:35]
	v_xor_b32_e32 v2, 32, v54
	v_cmp_lt_i32_e32 vcc, v2, v55
	v_cndmask_b32_e32 v2, v54, v2, vcc
	v_lshlrev_b32_e32 v2, 2, v2
	ds_bpermute_b32 v3, v2, v56
	s_waitcnt lgkmcnt(0)
	v_xor_b32_e32 v5, 16, v54
	v_max_f32_e32 v4, v56, v56
	v_cmp_lt_i32_e32 vcc, v5, v55
	v_xor_b32_e32 v8, 8, v54
	v_max_f32_e32 v3, v3, v3
	v_max_f32_e32 v4, v4, v3
	v_cndmask_b32_e32 v3, v54, v5, vcc
	v_lshlrev_b32_e32 v3, 2, v3
	ds_bpermute_b32 v5, v3, v4
	v_cmp_lt_i32_e32 vcc, v8, v55
	v_xor_b32_e32 v9, 4, v54
	v_xor_b32_e32 v10, 2, v54
	v_and_b32_e32 v24, 63, v0
	s_waitcnt lgkmcnt(0)
	v_max_f32_e32 v5, v5, v5
	v_max_f32_e32 v4, v4, v5
	v_cndmask_b32_e32 v5, v54, v8, vcc
	v_lshlrev_b32_e32 v5, 2, v5
	ds_bpermute_b32 v8, v5, v4
	v_cmp_lt_i32_e32 vcc, v9, v55
	s_waitcnt lgkmcnt(0)
	v_max_f32_e32 v8, v8, v8
	v_max_f32_e32 v4, v4, v8
	v_cndmask_b32_e32 v8, v54, v9, vcc
	v_lshlrev_b32_e32 v8, 2, v8
	ds_bpermute_b32 v9, v8, v4
	v_cmp_lt_i32_e32 vcc, v10, v55
	s_waitcnt lgkmcnt(0)
	v_max_f32_e32 v9, v9, v9
	v_max_f32_e32 v4, v4, v9
	v_cndmask_b32_e32 v9, v54, v10, vcc
	v_lshlrev_b32_e32 v25, 2, v9
	ds_bpermute_b32 v10, v25, v4
	v_cmp_eq_u32_e32 vcc, 0, v24
	v_lshlrev_b32_e32 v9, 2, v52
	s_and_saveexec_b64 s[2:3], vcc
	s_cbranch_execz .LBB124_15
; %bb.14:
	s_waitcnt lgkmcnt(0)
	v_max_f32_e32 v10, v10, v10
	v_max_f32_e32 v4, v4, v4
	;; [unrolled: 1-line block ×3, first 2 shown]
	ds_write_b32 v9, v4 offset:384
.LBB124_15:
	s_or_b64 exec, exec, s[2:3]
	v_cmp_gt_u32_e64 s[2:3], 2, v24
	v_mov_b32_e32 v4, 0xff7fffff
	s_waitcnt lgkmcnt(0)
	v_lshlrev_b32_e32 v10, 2, v24
	s_barrier
	s_and_saveexec_b64 s[4:5], s[2:3]
	s_cbranch_execz .LBB124_17
; %bb.16:
	ds_read_b32 v4, v10 offset:384
.LBB124_17:
	s_or_b64 exec, exec, s[4:5]
	v_xor_b32_e32 v11, 1, v54
	v_cmp_lt_i32_e64 s[4:5], v11, v55
	v_cndmask_b32_e64 v11, v54, v11, s[4:5]
	v_lshlrev_b32_e32 v26, 2, v11
	s_waitcnt lgkmcnt(0)
	ds_bpermute_b32 v11, v26, v4
	v_max_f32_e32 v4, v4, v4
	s_sub_i32 s4, s21, s10
	s_lshl_b32 s4, s4, 5
	s_add_i32 s4, s4, s33
	s_waitcnt lgkmcnt(0)
	v_max_f32_e32 v11, v11, v11
	v_max_f32_e32 v4, v4, v11
	v_lshlrev_b32_e32 v11, 2, v54
	v_and_b32_e32 v11, 0xffffff00, v11
	ds_bpermute_b32 v4, v11, v4
	s_min_i32 s38, s4, s25
	s_sub_i32 s15, s38, s33
	v_cmp_gt_i32_e64 s[4:5], s15, v0
	v_mov_b32_e32 v12, 0
	s_and_saveexec_b64 s[34:35], s[4:5]
	s_cbranch_execz .LBB124_21
; %bb.18:
	v_mov_b32_e32 v12, 0x190
	v_lshl_add_u32 v13, v0, 2, v12
	s_mov_b64 s[36:37], 0
	v_mov_b32_e32 v12, 0
	v_mov_b32_e32 v14, v0
.LBB124_19:                             ; =>This Inner Loop Header: Depth=1
	ds_read_b32 v15, v13
	v_add_u32_e32 v14, 0x80, v14
	v_cmp_le_i32_e64 s[10:11], s15, v14
	s_or_b64 s[36:37], s[10:11], s[36:37]
	s_waitcnt lgkmcnt(0)
	v_sub_f32_e32 v15, v15, v4
	v_mul_f32_e32 v15, 0x3fb8aa3b, v15
	v_exp_f32_e32 v15, v15
	ds_write_b32 v13, v15
	v_add_f32_e32 v12, v12, v15
	v_add_u32_e32 v13, 0x200, v13
	s_andn2_b64 exec, exec, s[36:37]
	s_cbranch_execnz .LBB124_19
; %bb.20:
	s_or_b64 exec, exec, s[36:37]
.LBB124_21:
	s_or_b64 exec, exec, s[34:35]
	ds_bpermute_b32 v2, v2, v12
	s_waitcnt lgkmcnt(0)
	v_add_f32_e32 v2, v12, v2
	ds_bpermute_b32 v3, v3, v2
	s_waitcnt lgkmcnt(0)
	v_add_f32_e32 v2, v2, v3
	;; [unrolled: 3-line block ×6, first 2 shown]
	s_and_saveexec_b64 s[10:11], vcc
	s_cbranch_execz .LBB124_23
; %bb.22:
	ds_write_b32 v9, v2 offset:392
.LBB124_23:
	s_or_b64 exec, exec, s[10:11]
	s_waitcnt lgkmcnt(0)
	s_barrier
	s_and_saveexec_b64 s[10:11], s[2:3]
	s_cbranch_execz .LBB124_25
; %bb.24:
	ds_read_b32 v2, v10 offset:392
.LBB124_25:
	s_or_b64 exec, exec, s[10:11]
	s_waitcnt lgkmcnt(0)
	ds_bpermute_b32 v3, v26, v2
	s_waitcnt lgkmcnt(0)
	v_add_f32_e32 v2, v2, v3
	ds_bpermute_b32 v5, v11, v2
	s_and_saveexec_b64 s[2:3], s[4:5]
	s_cbranch_execz .LBB124_38
; %bb.26:
	s_waitcnt lgkmcnt(0)
	v_add_f32_e32 v2, 0x358637bd, v5
	v_div_scale_f32 v3, s[4:5], v2, v2, 1.0
	v_rcp_f32_e32 v8, v3
	v_div_scale_f32 v9, vcc, 1.0, v2, 1.0
	s_movk_i32 s4, 0x7f
	v_fma_f32 v10, -v3, v8, 1.0
	v_fmac_f32_e32 v8, v10, v8
	v_mul_f32_e32 v10, v9, v8
	v_fma_f32 v11, -v3, v10, v9
	v_fmac_f32_e32 v10, v11, v8
	v_fma_f32 v3, -v3, v10, v9
	v_div_fmas_f32 v3, v3, v8, v10
	v_div_fixup_f32 v2, v3, v2, 1.0
	v_xad_u32 v3, v0, -1, s38
	v_subrev_u32_e32 v8, s33, v3
	v_cmp_lt_u32_e32 vcc, s4, v8
	s_mov_b64 s[10:11], -1
	v_mov_b32_e32 v3, v0
	s_and_saveexec_b64 s[4:5], vcc
	s_cbranch_execz .LBB124_35
; %bb.27:
	v_lshrrev_b32_e32 v8, 7, v8
	v_add_u32_e32 v10, -1, v8
	v_lshrrev_b32_e32 v9, 1, v10
	v_mov_b32_e32 v3, v2
	v_add_u32_e32 v9, 1, v9
	v_cmp_lt_u32_e32 vcc, 13, v10
	v_mov_b32_e32 v12, 0
	s_and_saveexec_b64 s[10:11], vcc
	s_cbranch_execz .LBB124_31
; %bb.28:
	v_mov_b32_e32 v11, 0x190
	v_and_b32_e32 v10, -8, v9
	v_lshl_add_u32 v11, v0, 2, v11
	s_mov_b32 s36, 0
	s_mov_b64 s[34:35], 0
.LBB124_29:                             ; =>This Inner Loop Header: Depth=1
	ds_read2st64_b32 v[12:13], v11 offset1:2
	ds_read2st64_b32 v[14:15], v11 offset0:4 offset1:6
	ds_read2st64_b32 v[16:17], v11 offset0:8 offset1:10
	;; [unrolled: 1-line block ×3, first 2 shown]
	v_add_u32_e32 v10, -8, v10
	s_waitcnt lgkmcnt(3)
	v_pk_mul_f32 v[12:13], v[2:3], v[12:13]
	s_waitcnt lgkmcnt(2)
	v_pk_mul_f32 v[14:15], v[2:3], v[14:15]
	ds_write2st64_b32 v11, v12, v13 offset1:2
	ds_write2st64_b32 v11, v14, v15 offset0:4 offset1:6
	ds_read2st64_b32 v[14:15], v11 offset0:16 offset1:18
	s_waitcnt lgkmcnt(4)
	v_pk_mul_f32 v[12:13], v[2:3], v[16:17]
	ds_write2st64_b32 v11, v12, v13 offset0:8 offset1:10
	s_waitcnt lgkmcnt(4)
	v_pk_mul_f32 v[12:13], v[2:3], v[18:19]
	ds_write2st64_b32 v11, v12, v13 offset0:12 offset1:14
	ds_read2st64_b32 v[12:13], v11 offset0:20 offset1:22
	s_waitcnt lgkmcnt(3)
	v_pk_mul_f32 v[14:15], v[2:3], v[14:15]
	ds_read2st64_b32 v[16:17], v11 offset0:24 offset1:26
	ds_write2st64_b32 v11, v14, v15 offset0:16 offset1:18
	ds_read2st64_b32 v[14:15], v11 offset0:28 offset1:30
	s_waitcnt lgkmcnt(3)
	v_pk_mul_f32 v[12:13], v[2:3], v[12:13]
	ds_write2st64_b32 v11, v12, v13 offset0:20 offset1:22
	s_waitcnt lgkmcnt(3)
	v_pk_mul_f32 v[12:13], v[2:3], v[16:17]
	ds_write2st64_b32 v11, v12, v13 offset0:24 offset1:26
	s_waitcnt lgkmcnt(2)
	v_pk_mul_f32 v[12:13], v[2:3], v[14:15]
	s_add_i32 s36, s36, 16
	v_cmp_eq_u32_e32 vcc, 0, v10
	ds_write2st64_b32 v11, v12, v13 offset0:28 offset1:30
	v_add_u32_e32 v11, 0x2000, v11
	s_or_b64 s[34:35], vcc, s[34:35]
	v_mov_b32_e32 v12, s36
	s_andn2_b64 exec, exec, s[34:35]
	s_cbranch_execnz .LBB124_29
; %bb.30:
	s_or_b64 exec, exec, s[34:35]
.LBB124_31:
	s_or_b64 exec, exec, s[10:11]
	v_and_b32_e32 v9, 7, v9
	v_cmp_ne_u32_e32 vcc, 0, v9
	s_and_saveexec_b64 s[10:11], vcc
	s_cbranch_execz .LBB124_34
; %bb.32:
	v_lshlrev_b32_e32 v10, 9, v12
	v_lshlrev_b32_e32 v11, 2, v0
	s_movk_i32 s34, 0x190
	v_add3_u32 v10, v10, v11, s34
	s_mov_b64 s[34:35], 0
.LBB124_33:                             ; =>This Inner Loop Header: Depth=1
	ds_read2st64_b32 v[12:13], v10 offset1:2
	v_add_u32_e32 v9, -1, v9
	v_cmp_eq_u32_e32 vcc, 0, v9
	s_or_b64 s[34:35], vcc, s[34:35]
	s_waitcnt lgkmcnt(0)
	v_pk_mul_f32 v[12:13], v[2:3], v[12:13]
	ds_write2st64_b32 v10, v12, v13 offset1:2
	v_add_u32_e32 v10, 0x400, v10
	s_andn2_b64 exec, exec, s[34:35]
	s_cbranch_execnz .LBB124_33
.LBB124_34:
	s_or_b64 exec, exec, s[10:11]
	v_add_u32_e32 v8, 1, v8
	v_and_b32_e32 v9, 0x3fffffe, v8
	v_cmp_ne_u32_e32 vcc, v8, v9
	v_lshl_add_u32 v3, v9, 7, v0
	s_orn2_b64 s[10:11], vcc, exec
.LBB124_35:
	s_or_b64 exec, exec, s[4:5]
	s_and_b64 exec, exec, s[10:11]
	s_cbranch_execz .LBB124_38
; %bb.36:
	v_mov_b32_e32 v8, 0x190
	v_lshl_add_u32 v8, v3, 2, v8
	s_mov_b64 s[4:5], 0
.LBB124_37:                             ; =>This Inner Loop Header: Depth=1
	ds_read_b32 v9, v8
	v_add_u32_e32 v3, 0x80, v3
	v_cmp_le_i32_e32 vcc, s15, v3
	s_or_b64 s[4:5], vcc, s[4:5]
	s_waitcnt lgkmcnt(0)
	v_mul_f32_e32 v9, v2, v9
	ds_write_b32 v8, v9
	v_add_u32_e32 v8, 0x200, v8
	s_andn2_b64 exec, exec, s[4:5]
	s_cbranch_execnz .LBB124_37
.LBB124_38:
	s_or_b64 exec, exec, s[2:3]
	s_mul_i32 s2, s12, s24
	v_cmp_eq_u32_e32 vcc, 0, v0
	s_mul_i32 s2, s2, s9
	s_waitcnt lgkmcnt(0)
	s_barrier
	s_and_saveexec_b64 s[4:5], vcc
	s_cbranch_execz .LBB124_40
; %bb.39:
	s_ashr_i32 s3, s2, 31
	s_lshl_b64 s[10:11], s[2:3], 2
	s_add_u32 s3, s18, s10
	s_mul_i32 s18, s12, s6
	s_addc_u32 s9, s19, s11
	s_ashr_i32 s19, s18, 31
	s_lshl_b64 s[18:19], s[18:19], 2
	s_add_u32 s3, s3, s18
	s_addc_u32 s6, s9, s19
	s_ashr_i32 s9, s8, 31
	s_lshl_b64 s[34:35], s[8:9], 2
	s_add_u32 s36, s3, s34
	s_addc_u32 s37, s6, s35
	s_add_u32 s3, s16, s10
	s_addc_u32 s6, s17, s11
	;; [unrolled: 2-line block ×3, first 2 shown]
	s_add_u32 s10, s3, s34
	v_mov_b32_e32 v2, 0
	s_addc_u32 s11, s6, s35
	global_store_dword v2, v4, s[36:37]
	global_store_dword v2, v5, s[10:11]
.LBB124_40:
	s_or_b64 exec, exec, s[4:5]
	v_mov_b32_e32 v9, 0
	v_and_b32_e32 v27, 3, v0
	v_mov_b32_e32 v8, 0
	v_mov_b32_e32 v11, 0
	;; [unrolled: 1-line block ×11, first 2 shown]
	s_and_saveexec_b64 s[4:5], s[0:1]
	s_cbranch_execz .LBB124_68
; %bb.41:
	s_ashr_i32 s15, s14, 31
	s_lshl_b64 s[0:1], s[14:15], 1
	s_add_u32 s9, s30, s0
	v_and_b32_e32 v3, 24, v1
	s_mov_b32 s3, s13
	s_addc_u32 s10, s31, s1
	s_add_i32 s13, s7, -1
	s_lshl_b64 s[0:1], s[28:29], 2
	v_and_b32_e32 v2, 0x1f8, v1
	v_add3_u32 v1, s33, v53, v3
	v_lshlrev_b32_e32 v3, 5, v27
	s_add_u32 s0, s26, s0
	v_lshl_or_b32 v3, v52, 7, v3
	v_lshlrev_b64 v[20:21], 2, v[6:7]
	s_addc_u32 s1, s27, s1
	v_mov_b32_e32 v9, 0
	v_or_b32_e32 v4, 0x800, v2
	v_or_b32_e32 v8, 0xa00, v2
	;; [unrolled: 1-line block ×8, first 2 shown]
	v_add_u32_e32 v28, 0x190, v3
	v_mov_b32_e32 v3, s1
	v_add_co_u32_e32 v20, vcc, s0, v20
	s_mov_b32 s14, s25
	s_mov_b32 s15, s25
	;; [unrolled: 1-line block ×7, first 2 shown]
	v_addc_co_u32_e32 v21, vcc, v3, v21, vcc
	s_mov_b64 s[6:7], 0
	v_lshlrev_b32_e32 v7, 1, v2
	s_mov_b32 s26, 0x5040100
	v_lshlrev_b32_e32 v29, 1, v4
	v_lshlrev_b32_e32 v30, 1, v8
	;; [unrolled: 1-line block ×8, first 2 shown]
	v_mov_b32_e32 v37, s10
	v_mov_b32_e32 v8, v9
	;; [unrolled: 1-line block ×12, first 2 shown]
	s_branch .LBB124_43
.LBB124_42:                             ;   in Loop: Header=BB124_43 Depth=1
	s_or_b64 exec, exec, s[0:1]
	v_add_f32_e32 v38, v69, v70
	s_waitcnt vmcnt(0)
	;;#ASMSTART
	v_pk_mul_f16 v2, v46, v2;

	;;#ASMEND
	v_add_f32_e32 v8, v8, v38
	v_add_f32_e32 v38, v67, v68
	;;#ASMSTART
	v_pk_mul_f16 v3, v45, v3;

	;;#ASMEND
	;;#ASMSTART
	v_pk_mul_f16 v4, v44, v4;

	;;#ASMEND
	;;#ASMSTART
	v_pk_mul_f16 v5, v42, v5;

	;;#ASMEND
	;;#ASMSTART
	v_pk_add_f16 v2, v2, v3;

	;;#ASMEND
	v_add_f32_e32 v11, v11, v38
	v_add_f32_e32 v38, v65, v66
	;;#ASMSTART
	v_pk_add_f16 v2, v2, v4;

	;;#ASMEND
	v_add_f32_e32 v10, v10, v38
	v_add_f32_e32 v38, v63, v64
	;; [unrolled: 1-line block ×3, first 2 shown]
	;;#ASMSTART
	v_pk_add_f16 v2, v2, v5;

	;;#ASMEND
	v_add_f32_e32 v13, v13, v38
	v_add_f32_e32 v38, v61, v62
	;; [unrolled: 1-line block ×4, first 2 shown]
	v_lshrrev_b32_e32 v3, 16, v2
	v_and_b32_e32 v2, 0xffff, v2
	v_add_u32_e32 v6, 2, v6
	v_add_f32_e32 v12, v12, v38
	v_add_f32_e32 v38, v59, v60
	v_add_f32_e32 v16, v16, v22
	v_add_f32_e32 v22, v53, v54
	;;#ASMSTART
	v_cvt_f32_f16 v2, v2;
	;;#ASMEND
	v_cmp_le_i32_e32 vcc, s21, v6
	v_add_f32_e32 v15, v15, v38
	v_add_f32_e32 v38, v57, v58
	;; [unrolled: 1-line block ×4, first 2 shown]
	;;#ASMSTART
	v_cvt_f32_f16 v3, v3;
	;;#ASMEND
	v_add_f32_e32 v2, v2, v3
	s_or_b64 s[6:7], vcc, s[6:7]
	v_add_co_u32_e32 v20, vcc, 8, v20
	v_add_f32_e32 v14, v14, v38
	v_add_f32_e32 v18, v18, v22
	v_add_f32_e32 v9, v9, v2
	v_add_u32_e32 v1, 64, v1
	v_add_u32_e32 v28, 0x100, v28
	v_addc_co_u32_e32 v21, vcc, 0, v21, vcc
	s_andn2_b64 exec, exec, s[6:7]
	s_cbranch_execz .LBB124_67
.LBB124_43:                             ; =>This Inner Loop Header: Depth=1
	global_load_dword v22, v[20:21], off
	ds_read2_b64 v[2:5], v28 offset1:1
	ds_read2_b64 v[38:41], v28 offset0:2 offset1:3
	v_or_b32_e32 v43, 5, v1
	v_or_b32_e32 v48, 7, v1
	s_waitcnt lgkmcnt(1)
	;;#ASMSTART
	v_cvt_f16_f32 v42, v2;

	;;#ASMEND
	;;#ASMSTART
	v_cvt_f16_f32 v44, v3;

	;;#ASMEND
	;; [unrolled: 4-line block ×4, first 2 shown]
	s_waitcnt lgkmcnt(0)
	;;#ASMSTART
	v_cvt_f16_f32 v52, v38;

	;;#ASMEND
	;;#ASMSTART
	v_cvt_f16_f32 v53, v39;

	;;#ASMEND
	;; [unrolled: 4-line block ×4, first 2 shown]
	v_add_u32_e32 v38, 1, v1
	v_or_b32_e32 v40, 3, v1
	v_or_b32_e32 v39, 2, v1
	;; [unrolled: 1-line block ×4, first 2 shown]
	s_waitcnt vmcnt(0)
	v_mad_i64_i32 v[2:3], s[0:1], v22, s3, 0
	v_lshlrev_b64 v[2:3], 1, v[2:3]
	v_add_co_u32_e32 v49, vcc, s9, v2
	v_addc_co_u32_e32 v50, vcc, v37, v3, vcc
	v_add_co_u32_e32 v22, vcc, v49, v7
	v_addc_co_u32_e32 v23, vcc, 0, v50, vcc
	global_load_dwordx4 v[2:5], v[22:23], off
	v_cmp_eq_u32_e32 vcc, s13, v6
	s_and_saveexec_b64 s[10:11], vcc
	s_cbranch_execz .LBB124_45
; %bb.44:                               ;   in Loop: Header=BB124_43 Depth=1
	s_waitcnt vmcnt(0)
	v_lshrrev_b32_e32 v46, 16, v5
	v_cmp_gt_i32_e64 s[0:1], s24, v48
	v_cndmask_b32_e64 v46, 0, v46, s[0:1]
	v_cmp_gt_i32_e64 s[0:1], s19, v47
	v_cndmask_b32_e64 v5, 0, v5, s[0:1]
	v_perm_b32 v5, v46, v5, s26
	v_lshrrev_b32_e32 v46, 16, v4
	v_cmp_gt_i32_e64 s[0:1], s18, v43
	v_cndmask_b32_e64 v46, 0, v46, s[0:1]
	v_cmp_gt_i32_e64 s[0:1], s17, v41
	v_cndmask_b32_e64 v4, 0, v4, s[0:1]
	v_perm_b32 v4, v46, v4, s26
	;; [unrolled: 6-line block ×4, first 2 shown]
.LBB124_45:                             ;   in Loop: Header=BB124_43 Depth=1
	s_or_b64 exec, exec, s[10:11]
	v_and_b32_e32 v42, 0xffff, v42
	v_lshl_or_b32 v46, v44, 16, v42
	v_and_b32_e32 v42, 0xffff, v45
	v_lshl_or_b32 v45, v51, 16, v42
	;; [unrolled: 2-line block ×3, first 2 shown]
	v_and_b32_e32 v42, 0xffff, v54
	s_waitcnt vmcnt(0)
	;;#ASMSTART
	v_pk_mul_f16 v2, v46, v2;

	;;#ASMEND
	v_lshl_or_b32 v42, v55, 16, v42
	;;#ASMSTART
	v_pk_mul_f16 v3, v45, v3;

	;;#ASMEND
	;;#ASMSTART
	v_pk_mul_f16 v4, v44, v4;

	;;#ASMEND
	;; [unrolled: 4-line block ×3, first 2 shown]
	;;#ASMSTART
	v_pk_add_f16 v2, v2, v3;

	;;#ASMEND
	;;#ASMSTART
	v_pk_add_f16 v2, v2, v4;

	;;#ASMEND
	;;#ASMSTART
	v_pk_add_f16 v2, v2, v5;

	;;#ASMEND
	v_lshrrev_b32_e32 v3, 16, v2
	v_and_b32_e32 v2, 0xffff, v2
	;;#ASMSTART
	v_cvt_f32_f16 v51, v2;
	;;#ASMEND
	;;#ASMSTART
	v_cvt_f32_f16 v52, v3;
	;;#ASMEND
	global_load_dwordx4 v[2:5], v[22:23], off offset:1024
	s_and_saveexec_b64 s[10:11], vcc
	s_cbranch_execz .LBB124_47
; %bb.46:                               ;   in Loop: Header=BB124_43 Depth=1
	s_waitcnt vmcnt(0)
	v_lshrrev_b32_e32 v53, 16, v5
	v_cmp_gt_i32_e64 s[0:1], s24, v48
	v_cndmask_b32_e64 v53, 0, v53, s[0:1]
	v_cmp_gt_i32_e64 s[0:1], s19, v47
	v_cndmask_b32_e64 v5, 0, v5, s[0:1]
	v_perm_b32 v5, v53, v5, s26
	v_lshrrev_b32_e32 v53, 16, v4
	v_cmp_gt_i32_e64 s[0:1], s18, v43
	v_cndmask_b32_e64 v53, 0, v53, s[0:1]
	v_cmp_gt_i32_e64 s[0:1], s17, v41
	v_cndmask_b32_e64 v4, 0, v4, s[0:1]
	v_perm_b32 v4, v53, v4, s26
	;; [unrolled: 6-line block ×4, first 2 shown]
.LBB124_47:                             ;   in Loop: Header=BB124_43 Depth=1
	s_or_b64 exec, exec, s[10:11]
	s_waitcnt vmcnt(0)
	;;#ASMSTART
	v_pk_mul_f16 v2, v46, v2;

	;;#ASMEND
	;;#ASMSTART
	v_pk_mul_f16 v3, v45, v3;

	;;#ASMEND
	;;#ASMSTART
	v_pk_mul_f16 v4, v44, v4;

	;;#ASMEND
	;;#ASMSTART
	v_pk_mul_f16 v5, v42, v5;

	;;#ASMEND
	;;#ASMSTART
	v_pk_add_f16 v2, v2, v3;

	;;#ASMEND
	;;#ASMSTART
	v_pk_add_f16 v2, v2, v4;

	;;#ASMEND
	;; [unrolled: 4-line block ×3, first 2 shown]
	v_lshrrev_b32_e32 v3, 16, v2
	v_and_b32_e32 v2, 0xffff, v2
	;;#ASMSTART
	v_cvt_f32_f16 v53, v2;
	;;#ASMEND
	;;#ASMSTART
	v_cvt_f32_f16 v54, v3;
	;;#ASMEND
	global_load_dwordx4 v[2:5], v[22:23], off offset:2048
	s_and_saveexec_b64 s[10:11], vcc
	s_cbranch_execz .LBB124_49
; %bb.48:                               ;   in Loop: Header=BB124_43 Depth=1
	s_waitcnt vmcnt(0)
	v_lshrrev_b32_e32 v55, 16, v5
	v_cmp_gt_i32_e64 s[0:1], s24, v48
	v_cndmask_b32_e64 v55, 0, v55, s[0:1]
	v_cmp_gt_i32_e64 s[0:1], s19, v47
	v_cndmask_b32_e64 v5, 0, v5, s[0:1]
	v_perm_b32 v5, v55, v5, s26
	v_lshrrev_b32_e32 v55, 16, v4
	v_cmp_gt_i32_e64 s[0:1], s18, v43
	v_cndmask_b32_e64 v55, 0, v55, s[0:1]
	v_cmp_gt_i32_e64 s[0:1], s17, v41
	v_cndmask_b32_e64 v4, 0, v4, s[0:1]
	v_perm_b32 v4, v55, v4, s26
	;; [unrolled: 6-line block ×4, first 2 shown]
.LBB124_49:                             ;   in Loop: Header=BB124_43 Depth=1
	s_or_b64 exec, exec, s[10:11]
	s_waitcnt vmcnt(0)
	;;#ASMSTART
	v_pk_mul_f16 v2, v46, v2;

	;;#ASMEND
	;;#ASMSTART
	v_pk_mul_f16 v3, v45, v3;

	;;#ASMEND
	;; [unrolled: 4-line block ×4, first 2 shown]
	;;#ASMSTART
	v_pk_add_f16 v2, v2, v3;

	;;#ASMEND
	;;#ASMSTART
	v_pk_add_f16 v2, v2, v4;

	;;#ASMEND
	;; [unrolled: 4-line block ×3, first 2 shown]
	v_lshrrev_b32_e32 v3, 16, v2
	v_and_b32_e32 v2, 0xffff, v2
	;;#ASMSTART
	v_cvt_f32_f16 v55, v2;
	;;#ASMEND
	;;#ASMSTART
	v_cvt_f32_f16 v56, v3;
	;;#ASMEND
	global_load_dwordx4 v[2:5], v[22:23], off offset:3072
	s_and_saveexec_b64 s[10:11], vcc
	s_cbranch_execz .LBB124_51
; %bb.50:                               ;   in Loop: Header=BB124_43 Depth=1
	s_waitcnt vmcnt(0)
	v_lshrrev_b32_e32 v22, 16, v5
	v_cmp_gt_i32_e64 s[0:1], s24, v48
	v_cndmask_b32_e64 v22, 0, v22, s[0:1]
	v_cmp_gt_i32_e64 s[0:1], s19, v47
	v_cndmask_b32_e64 v5, 0, v5, s[0:1]
	v_perm_b32 v5, v22, v5, s26
	v_lshrrev_b32_e32 v22, 16, v4
	v_cmp_gt_i32_e64 s[0:1], s18, v43
	v_cndmask_b32_e64 v22, 0, v22, s[0:1]
	v_cmp_gt_i32_e64 s[0:1], s17, v41
	v_cndmask_b32_e64 v4, 0, v4, s[0:1]
	v_perm_b32 v4, v22, v4, s26
	;; [unrolled: 6-line block ×4, first 2 shown]
.LBB124_51:                             ;   in Loop: Header=BB124_43 Depth=1
	s_or_b64 exec, exec, s[10:11]
	s_waitcnt vmcnt(0)
	;;#ASMSTART
	v_pk_mul_f16 v2, v46, v2;

	;;#ASMEND
	;;#ASMSTART
	v_pk_mul_f16 v3, v45, v3;

	;;#ASMEND
	;; [unrolled: 4-line block ×4, first 2 shown]
	;;#ASMSTART
	v_pk_add_f16 v2, v2, v3;

	;;#ASMEND
	;;#ASMSTART
	v_pk_add_f16 v2, v2, v4;

	;;#ASMEND
	;; [unrolled: 4-line block ×3, first 2 shown]
	v_lshrrev_b32_e32 v3, 16, v2
	v_and_b32_e32 v2, 0xffff, v2
	;;#ASMSTART
	v_cvt_f32_f16 v22, v2;
	;;#ASMEND
	v_add_co_u32_e64 v2, s[0:1], v49, v29
	;;#ASMSTART
	v_cvt_f32_f16 v23, v3;
	;;#ASMEND
	v_addc_co_u32_e64 v3, s[0:1], 0, v50, s[0:1]
	global_load_dwordx4 v[2:5], v[2:3], off
	s_and_saveexec_b64 s[10:11], vcc
	s_cbranch_execz .LBB124_53
; %bb.52:                               ;   in Loop: Header=BB124_43 Depth=1
	s_waitcnt vmcnt(0)
	v_lshrrev_b32_e32 v57, 16, v5
	v_cmp_gt_i32_e64 s[0:1], s24, v48
	v_cndmask_b32_e64 v57, 0, v57, s[0:1]
	v_cmp_gt_i32_e64 s[0:1], s19, v47
	v_cndmask_b32_e64 v5, 0, v5, s[0:1]
	v_perm_b32 v5, v57, v5, s26
	v_lshrrev_b32_e32 v57, 16, v4
	v_cmp_gt_i32_e64 s[0:1], s18, v43
	v_cndmask_b32_e64 v57, 0, v57, s[0:1]
	v_cmp_gt_i32_e64 s[0:1], s17, v41
	v_cndmask_b32_e64 v4, 0, v4, s[0:1]
	v_perm_b32 v4, v57, v4, s26
	;; [unrolled: 6-line block ×4, first 2 shown]
.LBB124_53:                             ;   in Loop: Header=BB124_43 Depth=1
	s_or_b64 exec, exec, s[10:11]
	s_waitcnt vmcnt(0)
	;;#ASMSTART
	v_pk_mul_f16 v2, v46, v2;

	;;#ASMEND
	;;#ASMSTART
	v_pk_mul_f16 v3, v45, v3;

	;;#ASMEND
	;; [unrolled: 4-line block ×4, first 2 shown]
	;;#ASMSTART
	v_pk_add_f16 v2, v2, v3;

	;;#ASMEND
	;;#ASMSTART
	v_pk_add_f16 v2, v2, v4;

	;;#ASMEND
	;; [unrolled: 4-line block ×3, first 2 shown]
	v_lshrrev_b32_e32 v3, 16, v2
	v_and_b32_e32 v2, 0xffff, v2
	;;#ASMSTART
	v_cvt_f32_f16 v57, v2;
	;;#ASMEND
	v_add_co_u32_e64 v2, s[0:1], v49, v30
	;;#ASMSTART
	v_cvt_f32_f16 v58, v3;
	;;#ASMEND
	v_addc_co_u32_e64 v3, s[0:1], 0, v50, s[0:1]
	global_load_dwordx4 v[2:5], v[2:3], off
	s_and_saveexec_b64 s[10:11], vcc
	s_cbranch_execz .LBB124_55
; %bb.54:                               ;   in Loop: Header=BB124_43 Depth=1
	s_waitcnt vmcnt(0)
	v_lshrrev_b32_e32 v59, 16, v5
	v_cmp_gt_i32_e64 s[0:1], s24, v48
	v_cndmask_b32_e64 v59, 0, v59, s[0:1]
	v_cmp_gt_i32_e64 s[0:1], s19, v47
	v_cndmask_b32_e64 v5, 0, v5, s[0:1]
	v_perm_b32 v5, v59, v5, s26
	v_lshrrev_b32_e32 v59, 16, v4
	v_cmp_gt_i32_e64 s[0:1], s18, v43
	v_cndmask_b32_e64 v59, 0, v59, s[0:1]
	v_cmp_gt_i32_e64 s[0:1], s17, v41
	v_cndmask_b32_e64 v4, 0, v4, s[0:1]
	v_perm_b32 v4, v59, v4, s26
	;; [unrolled: 6-line block ×4, first 2 shown]
.LBB124_55:                             ;   in Loop: Header=BB124_43 Depth=1
	s_or_b64 exec, exec, s[10:11]
	s_waitcnt vmcnt(0)
	;;#ASMSTART
	v_pk_mul_f16 v2, v46, v2;

	;;#ASMEND
	;;#ASMSTART
	v_pk_mul_f16 v3, v45, v3;

	;;#ASMEND
	;; [unrolled: 4-line block ×4, first 2 shown]
	;;#ASMSTART
	v_pk_add_f16 v2, v2, v3;

	;;#ASMEND
	;;#ASMSTART
	v_pk_add_f16 v2, v2, v4;

	;;#ASMEND
	;; [unrolled: 4-line block ×3, first 2 shown]
	v_lshrrev_b32_e32 v3, 16, v2
	v_and_b32_e32 v2, 0xffff, v2
	;;#ASMSTART
	v_cvt_f32_f16 v59, v2;
	;;#ASMEND
	v_add_co_u32_e64 v2, s[0:1], v49, v31
	;;#ASMSTART
	v_cvt_f32_f16 v60, v3;
	;;#ASMEND
	v_addc_co_u32_e64 v3, s[0:1], 0, v50, s[0:1]
	global_load_dwordx4 v[2:5], v[2:3], off
	s_and_saveexec_b64 s[10:11], vcc
	s_cbranch_execz .LBB124_57
; %bb.56:                               ;   in Loop: Header=BB124_43 Depth=1
	s_waitcnt vmcnt(0)
	v_lshrrev_b32_e32 v61, 16, v5
	v_cmp_gt_i32_e64 s[0:1], s24, v48
	v_cndmask_b32_e64 v61, 0, v61, s[0:1]
	v_cmp_gt_i32_e64 s[0:1], s19, v47
	v_cndmask_b32_e64 v5, 0, v5, s[0:1]
	v_perm_b32 v5, v61, v5, s26
	v_lshrrev_b32_e32 v61, 16, v4
	v_cmp_gt_i32_e64 s[0:1], s18, v43
	v_cndmask_b32_e64 v61, 0, v61, s[0:1]
	v_cmp_gt_i32_e64 s[0:1], s17, v41
	v_cndmask_b32_e64 v4, 0, v4, s[0:1]
	v_perm_b32 v4, v61, v4, s26
	;; [unrolled: 6-line block ×4, first 2 shown]
.LBB124_57:                             ;   in Loop: Header=BB124_43 Depth=1
	s_or_b64 exec, exec, s[10:11]
	s_waitcnt vmcnt(0)
	;;#ASMSTART
	v_pk_mul_f16 v2, v46, v2;

	;;#ASMEND
	;;#ASMSTART
	v_pk_mul_f16 v3, v45, v3;

	;;#ASMEND
	;; [unrolled: 4-line block ×4, first 2 shown]
	;;#ASMSTART
	v_pk_add_f16 v2, v2, v3;

	;;#ASMEND
	;;#ASMSTART
	v_pk_add_f16 v2, v2, v4;

	;;#ASMEND
	;; [unrolled: 4-line block ×3, first 2 shown]
	v_lshrrev_b32_e32 v3, 16, v2
	v_and_b32_e32 v2, 0xffff, v2
	;;#ASMSTART
	v_cvt_f32_f16 v61, v2;
	;;#ASMEND
	v_add_co_u32_e64 v2, s[0:1], v49, v32
	;;#ASMSTART
	v_cvt_f32_f16 v62, v3;
	;;#ASMEND
	v_addc_co_u32_e64 v3, s[0:1], 0, v50, s[0:1]
	global_load_dwordx4 v[2:5], v[2:3], off
	s_and_saveexec_b64 s[10:11], vcc
	s_cbranch_execz .LBB124_59
; %bb.58:                               ;   in Loop: Header=BB124_43 Depth=1
	s_waitcnt vmcnt(0)
	v_lshrrev_b32_e32 v63, 16, v5
	v_cmp_gt_i32_e64 s[0:1], s24, v48
	v_cndmask_b32_e64 v63, 0, v63, s[0:1]
	v_cmp_gt_i32_e64 s[0:1], s19, v47
	v_cndmask_b32_e64 v5, 0, v5, s[0:1]
	v_perm_b32 v5, v63, v5, s26
	v_lshrrev_b32_e32 v63, 16, v4
	v_cmp_gt_i32_e64 s[0:1], s18, v43
	v_cndmask_b32_e64 v63, 0, v63, s[0:1]
	v_cmp_gt_i32_e64 s[0:1], s17, v41
	v_cndmask_b32_e64 v4, 0, v4, s[0:1]
	v_perm_b32 v4, v63, v4, s26
	;; [unrolled: 6-line block ×4, first 2 shown]
.LBB124_59:                             ;   in Loop: Header=BB124_43 Depth=1
	s_or_b64 exec, exec, s[10:11]
	s_waitcnt vmcnt(0)
	;;#ASMSTART
	v_pk_mul_f16 v2, v46, v2;

	;;#ASMEND
	;;#ASMSTART
	v_pk_mul_f16 v3, v45, v3;

	;;#ASMEND
	;; [unrolled: 4-line block ×4, first 2 shown]
	;;#ASMSTART
	v_pk_add_f16 v2, v2, v3;

	;;#ASMEND
	;;#ASMSTART
	v_pk_add_f16 v2, v2, v4;

	;;#ASMEND
	;; [unrolled: 4-line block ×3, first 2 shown]
	v_lshrrev_b32_e32 v3, 16, v2
	v_and_b32_e32 v2, 0xffff, v2
	;;#ASMSTART
	v_cvt_f32_f16 v63, v2;
	;;#ASMEND
	v_add_co_u32_e64 v2, s[0:1], v49, v33
	;;#ASMSTART
	v_cvt_f32_f16 v64, v3;
	;;#ASMEND
	v_addc_co_u32_e64 v3, s[0:1], 0, v50, s[0:1]
	global_load_dwordx4 v[2:5], v[2:3], off
	s_and_saveexec_b64 s[10:11], vcc
	s_cbranch_execz .LBB124_61
; %bb.60:                               ;   in Loop: Header=BB124_43 Depth=1
	s_waitcnt vmcnt(0)
	v_lshrrev_b32_e32 v65, 16, v5
	v_cmp_gt_i32_e64 s[0:1], s24, v48
	v_cndmask_b32_e64 v65, 0, v65, s[0:1]
	v_cmp_gt_i32_e64 s[0:1], s19, v47
	v_cndmask_b32_e64 v5, 0, v5, s[0:1]
	v_perm_b32 v5, v65, v5, s26
	v_lshrrev_b32_e32 v65, 16, v4
	v_cmp_gt_i32_e64 s[0:1], s18, v43
	v_cndmask_b32_e64 v65, 0, v65, s[0:1]
	v_cmp_gt_i32_e64 s[0:1], s17, v41
	v_cndmask_b32_e64 v4, 0, v4, s[0:1]
	v_perm_b32 v4, v65, v4, s26
	v_lshrrev_b32_e32 v65, 16, v3
	v_cmp_gt_i32_e64 s[0:1], s16, v40
	v_cndmask_b32_e64 v65, 0, v65, s[0:1]
	v_cmp_gt_i32_e64 s[0:1], s15, v39
	v_cndmask_b32_e64 v3, 0, v3, s[0:1]
	v_perm_b32 v3, v65, v3, s26
	v_lshrrev_b32_e32 v65, 16, v2
	v_cmp_gt_i32_e64 s[0:1], s14, v38
	v_cndmask_b32_e64 v65, 0, v65, s[0:1]
	v_cmp_gt_i32_e64 s[0:1], s25, v1
	v_cndmask_b32_e64 v2, 0, v2, s[0:1]
	v_perm_b32 v2, v65, v2, s26
.LBB124_61:                             ;   in Loop: Header=BB124_43 Depth=1
	s_or_b64 exec, exec, s[10:11]
	s_waitcnt vmcnt(0)
	;;#ASMSTART
	v_pk_mul_f16 v2, v46, v2;

	;;#ASMEND
	;;#ASMSTART
	v_pk_mul_f16 v3, v45, v3;

	;;#ASMEND
	;; [unrolled: 4-line block ×4, first 2 shown]
	;;#ASMSTART
	v_pk_add_f16 v2, v2, v3;

	;;#ASMEND
	;;#ASMSTART
	v_pk_add_f16 v2, v2, v4;

	;;#ASMEND
	;; [unrolled: 4-line block ×3, first 2 shown]
	v_lshrrev_b32_e32 v3, 16, v2
	v_and_b32_e32 v2, 0xffff, v2
	;;#ASMSTART
	v_cvt_f32_f16 v65, v2;
	;;#ASMEND
	v_add_co_u32_e64 v2, s[0:1], v49, v34
	;;#ASMSTART
	v_cvt_f32_f16 v66, v3;
	;;#ASMEND
	v_addc_co_u32_e64 v3, s[0:1], 0, v50, s[0:1]
	global_load_dwordx4 v[2:5], v[2:3], off
	s_and_saveexec_b64 s[10:11], vcc
	s_cbranch_execz .LBB124_63
; %bb.62:                               ;   in Loop: Header=BB124_43 Depth=1
	s_waitcnt vmcnt(0)
	v_lshrrev_b32_e32 v67, 16, v5
	v_cmp_gt_i32_e64 s[0:1], s24, v48
	v_cndmask_b32_e64 v67, 0, v67, s[0:1]
	v_cmp_gt_i32_e64 s[0:1], s19, v47
	v_cndmask_b32_e64 v5, 0, v5, s[0:1]
	v_perm_b32 v5, v67, v5, s26
	v_lshrrev_b32_e32 v67, 16, v4
	v_cmp_gt_i32_e64 s[0:1], s18, v43
	v_cndmask_b32_e64 v67, 0, v67, s[0:1]
	v_cmp_gt_i32_e64 s[0:1], s17, v41
	v_cndmask_b32_e64 v4, 0, v4, s[0:1]
	v_perm_b32 v4, v67, v4, s26
	;; [unrolled: 6-line block ×4, first 2 shown]
.LBB124_63:                             ;   in Loop: Header=BB124_43 Depth=1
	s_or_b64 exec, exec, s[10:11]
	s_waitcnt vmcnt(0)
	;;#ASMSTART
	v_pk_mul_f16 v2, v46, v2;

	;;#ASMEND
	;;#ASMSTART
	v_pk_mul_f16 v3, v45, v3;

	;;#ASMEND
	;; [unrolled: 4-line block ×4, first 2 shown]
	;;#ASMSTART
	v_pk_add_f16 v2, v2, v3;

	;;#ASMEND
	;;#ASMSTART
	v_pk_add_f16 v2, v2, v4;

	;;#ASMEND
	;; [unrolled: 4-line block ×3, first 2 shown]
	v_lshrrev_b32_e32 v3, 16, v2
	v_and_b32_e32 v2, 0xffff, v2
	;;#ASMSTART
	v_cvt_f32_f16 v67, v2;
	;;#ASMEND
	v_add_co_u32_e64 v2, s[0:1], v49, v35
	;;#ASMSTART
	v_cvt_f32_f16 v68, v3;
	;;#ASMEND
	v_addc_co_u32_e64 v3, s[0:1], 0, v50, s[0:1]
	global_load_dwordx4 v[2:5], v[2:3], off
	s_and_saveexec_b64 s[10:11], vcc
	s_cbranch_execz .LBB124_65
; %bb.64:                               ;   in Loop: Header=BB124_43 Depth=1
	s_waitcnt vmcnt(0)
	v_lshrrev_b32_e32 v69, 16, v5
	v_cmp_gt_i32_e64 s[0:1], s24, v48
	v_cndmask_b32_e64 v69, 0, v69, s[0:1]
	v_cmp_gt_i32_e64 s[0:1], s19, v47
	v_cndmask_b32_e64 v5, 0, v5, s[0:1]
	v_perm_b32 v5, v69, v5, s26
	v_lshrrev_b32_e32 v69, 16, v4
	v_cmp_gt_i32_e64 s[0:1], s18, v43
	v_cndmask_b32_e64 v69, 0, v69, s[0:1]
	v_cmp_gt_i32_e64 s[0:1], s17, v41
	v_cndmask_b32_e64 v4, 0, v4, s[0:1]
	v_perm_b32 v4, v69, v4, s26
	;; [unrolled: 6-line block ×4, first 2 shown]
.LBB124_65:                             ;   in Loop: Header=BB124_43 Depth=1
	s_or_b64 exec, exec, s[10:11]
	s_waitcnt vmcnt(0)
	;;#ASMSTART
	v_pk_mul_f16 v2, v46, v2;

	;;#ASMEND
	;;#ASMSTART
	v_pk_mul_f16 v3, v45, v3;

	;;#ASMEND
	;; [unrolled: 4-line block ×4, first 2 shown]
	;;#ASMSTART
	v_pk_add_f16 v2, v2, v3;

	;;#ASMEND
	;;#ASMSTART
	v_pk_add_f16 v2, v2, v4;

	;;#ASMEND
	;; [unrolled: 4-line block ×3, first 2 shown]
	v_lshrrev_b32_e32 v3, 16, v2
	v_and_b32_e32 v2, 0xffff, v2
	;;#ASMSTART
	v_cvt_f32_f16 v69, v2;
	;;#ASMEND
	v_add_co_u32_e64 v2, s[0:1], v49, v36
	;;#ASMSTART
	v_cvt_f32_f16 v70, v3;
	;;#ASMEND
	v_addc_co_u32_e64 v3, s[0:1], 0, v50, s[0:1]
	global_load_dwordx4 v[2:5], v[2:3], off
	s_and_saveexec_b64 s[0:1], vcc
	s_cbranch_execz .LBB124_42
; %bb.66:                               ;   in Loop: Header=BB124_43 Depth=1
	s_waitcnt vmcnt(0)
	v_lshrrev_b32_e32 v49, 16, v5
	v_cmp_gt_i32_e32 vcc, s24, v48
	v_cndmask_b32_e32 v48, 0, v49, vcc
	v_cmp_gt_i32_e32 vcc, s19, v47
	v_cndmask_b32_e32 v5, 0, v5, vcc
	v_lshrrev_b32_e32 v47, 16, v4
	v_cmp_gt_i32_e32 vcc, s18, v43
	v_cndmask_b32_e32 v43, 0, v47, vcc
	v_cmp_gt_i32_e32 vcc, s17, v41
	v_cndmask_b32_e32 v4, 0, v4, vcc
	v_lshrrev_b32_e32 v41, 16, v3
	v_cmp_gt_i32_e32 vcc, s16, v40
	v_cndmask_b32_e32 v40, 0, v41, vcc
	v_cmp_gt_i32_e32 vcc, s15, v39
	v_cndmask_b32_e32 v3, 0, v3, vcc
	v_lshrrev_b32_e32 v39, 16, v2
	v_cmp_gt_i32_e32 vcc, s14, v38
	v_cndmask_b32_e32 v38, 0, v39, vcc
	v_cmp_gt_i32_e32 vcc, s25, v1
	v_cndmask_b32_e32 v2, 0, v2, vcc
	v_perm_b32 v5, v48, v5, s26
	v_perm_b32 v4, v43, v4, s26
	;; [unrolled: 1-line block ×4, first 2 shown]
	s_branch .LBB124_42
.LBB124_67:
	s_or_b64 exec, exec, s[6:7]
.LBB124_68:
	s_or_b64 exec, exec, s[4:5]
	ds_bpermute_b32 v2, v25, v18
	ds_bpermute_b32 v3, v25, v19
	;; [unrolled: 1-line block ×6, first 2 shown]
	s_waitcnt lgkmcnt(4)
	v_pk_add_f32 v[2:3], v[18:19], v[2:3]
	ds_bpermute_b32 v6, v26, v2
	ds_bpermute_b32 v7, v26, v3
	;; [unrolled: 1-line block ×6, first 2 shown]
	s_waitcnt lgkmcnt(4)
	v_pk_add_f32 v[2:3], v[2:3], v[6:7]
	v_pk_add_f32 v[4:5], v[16:17], v[4:5]
	s_waitcnt lgkmcnt(2)
	v_pk_add_f32 v[6:7], v[14:15], v[18:19]
	ds_bpermute_b32 v14, v25, v12
	ds_bpermute_b32 v15, v25, v13
	;; [unrolled: 1-line block ×4, first 2 shown]
	v_pk_add_f32 v[20:21], v[10:11], v[20:21]
	ds_bpermute_b32 v16, v26, v4
	s_waitcnt lgkmcnt(3)
	v_pk_add_f32 v[14:15], v[12:13], v[14:15]
	ds_bpermute_b32 v22, v26, v14
	ds_bpermute_b32 v23, v26, v15
	;; [unrolled: 1-line block ×5, first 2 shown]
	v_pk_add_f32 v[8:9], v[8:9], v[30:31]
	s_waitcnt lgkmcnt(6)
	v_pk_add_f32 v[10:11], v[6:7], v[18:19]
	s_waitcnt lgkmcnt(3)
	v_pk_add_f32 v[6:7], v[14:15], v[22:23]
	ds_bpermute_b32 v14, v26, v8
	ds_bpermute_b32 v15, v26, v9
	v_and_b32_e32 v1, 0x3c3, v0
	s_waitcnt lgkmcnt(4)
	v_pk_add_f32 v[12:13], v[4:5], v[16:17]
	s_waitcnt lgkmcnt(2)
	v_pk_add_f32 v[4:5], v[20:21], v[28:29]
	v_cmp_ne_u32_e32 vcc, 64, v1
	s_waitcnt lgkmcnt(0)
	s_barrier
	s_and_saveexec_b64 s[0:1], vcc
	s_xor_b64 s[0:1], exec, s[0:1]
; %bb.69:
                                        ; implicit-def: $vgpr24
; %bb.70:
	s_or_saveexec_b64 s[0:1], s[0:1]
	v_pk_add_f32 v[8:9], v[8:9], v[14:15]
	s_xor_b64 exec, exec, s[0:1]
	s_cbranch_execz .LBB124_72
; %bb.71:
	v_add_u32_e32 v14, 0x190, v24
	ds_write2_b32 v14, v2, v3 offset1:16
	ds_write2_b32 v14, v12, v13 offset0:32 offset1:48
	ds_write2_b32 v14, v10, v11 offset0:64 offset1:80
	;; [unrolled: 1-line block ×5, first 2 shown]
.LBB124_72:
	s_or_b64 exec, exec, s[0:1]
	v_cmp_gt_u32_e32 vcc, 64, v0
	s_waitcnt lgkmcnt(0)
	s_barrier
	s_and_saveexec_b64 s[0:1], vcc
	s_cbranch_execz .LBB124_87
; %bb.73:
	v_cmp_eq_u32_e32 vcc, 0, v27
	v_lshrrev_b32_e32 v14, 2, v0
	s_and_saveexec_b64 s[4:5], vcc
	s_cbranch_execnz .LBB124_90
; %bb.74:
	s_or_b64 exec, exec, s[4:5]
	s_and_saveexec_b64 s[4:5], vcc
	s_cbranch_execnz .LBB124_91
.LBB124_75:
	s_or_b64 exec, exec, s[4:5]
	s_and_saveexec_b64 s[4:5], vcc
	s_cbranch_execnz .LBB124_92
.LBB124_76:
	s_or_b64 exec, exec, s[4:5]
	s_and_saveexec_b64 s[4:5], vcc
	s_cbranch_execnz .LBB124_93
.LBB124_77:
	s_or_b64 exec, exec, s[4:5]
	s_and_saveexec_b64 s[4:5], vcc
	s_cbranch_execnz .LBB124_94
.LBB124_78:
	s_or_b64 exec, exec, s[4:5]
	s_and_saveexec_b64 s[4:5], vcc
	s_cbranch_execnz .LBB124_95
.LBB124_79:
	s_or_b64 exec, exec, s[4:5]
	s_and_saveexec_b64 s[4:5], vcc
	s_cbranch_execnz .LBB124_96
.LBB124_80:
	s_or_b64 exec, exec, s[4:5]
	s_and_saveexec_b64 s[4:5], vcc
	s_cbranch_execnz .LBB124_97
.LBB124_81:
	s_or_b64 exec, exec, s[4:5]
	s_and_saveexec_b64 s[4:5], vcc
	s_cbranch_execnz .LBB124_98
.LBB124_82:
	s_or_b64 exec, exec, s[4:5]
	s_and_saveexec_b64 s[4:5], vcc
	s_cbranch_execnz .LBB124_99
.LBB124_83:
	s_or_b64 exec, exec, s[4:5]
	s_and_saveexec_b64 s[4:5], vcc
	s_cbranch_execnz .LBB124_100
.LBB124_84:
	s_or_b64 exec, exec, s[4:5]
	s_and_saveexec_b64 s[4:5], vcc
	s_cbranch_execz .LBB124_86
.LBB124_85:
	v_mov_b32_e32 v15, 0x190
	v_lshl_add_u32 v14, v14, 2, v15
	ds_read_b32 v14, v14 offset:704
	s_waitcnt lgkmcnt(0)
	v_add_f32_e32 v9, v9, v14
.LBB124_86:
	s_or_b64 exec, exec, s[4:5]
.LBB124_87:
	s_or_b64 exec, exec, s[0:1]
	v_cmp_eq_u32_e32 vcc, 0, v1
	s_barrier
	s_and_saveexec_b64 s[0:1], vcc
	s_cbranch_execz .LBB124_89
; %bb.88:
	s_mul_i32 s0, s2, 0xc0
	s_ashr_i32 s1, s0, 31
	s_lshl_b64 s[0:1], s[0:1], 1
	s_add_u32 s2, s22, s0
	s_mul_i32 s0, s12, s20
	s_addc_u32 s3, s23, s1
	s_ashr_i32 s1, s0, 31
	s_lshl_b64 s[0:1], s[0:1], 1
	s_add_u32 s2, s2, s0
	s_mul_i32 s0, s8, 0xc0
	s_addc_u32 s3, s3, s1
	s_ashr_i32 s1, s0, 31
	s_lshl_b64 s[0:1], s[0:1], 1
	s_add_u32 s0, s2, s0
	s_addc_u32 s1, s3, s1
	v_lshrrev_b32_e32 v0, 1, v0
	;;#ASMSTART
	v_cvt_f16_f32 v1, v2;

	;;#ASMEND
	global_store_short v0, v1, s[0:1]
	;;#ASMSTART
	v_cvt_f16_f32 v1, v3;

	;;#ASMEND
	global_store_short v0, v1, s[0:1] offset:32
	;;#ASMSTART
	v_cvt_f16_f32 v1, v12;

	;;#ASMEND
	global_store_short v0, v1, s[0:1] offset:64
	;; [unrolled: 5-line block ×11, first 2 shown]
.LBB124_89:
	s_endpgm
.LBB124_90:
	v_mov_b32_e32 v15, 0x190
	v_lshl_add_u32 v15, v14, 2, v15
	ds_read_b32 v15, v15
	s_waitcnt lgkmcnt(0)
	v_add_f32_e32 v2, v2, v15
	s_or_b64 exec, exec, s[4:5]
	s_and_saveexec_b64 s[4:5], vcc
	s_cbranch_execz .LBB124_75
.LBB124_91:
	v_mov_b32_e32 v15, 0x190
	v_lshl_add_u32 v15, v14, 2, v15
	ds_read_b32 v15, v15 offset:64
	s_waitcnt lgkmcnt(0)
	v_add_f32_e32 v3, v3, v15
	s_or_b64 exec, exec, s[4:5]
	s_and_saveexec_b64 s[4:5], vcc
	s_cbranch_execz .LBB124_76
.LBB124_92:
	v_mov_b32_e32 v15, 0x190
	v_lshl_add_u32 v15, v14, 2, v15
	ds_read_b32 v15, v15 offset:128
	s_waitcnt lgkmcnt(0)
	v_add_f32_e32 v12, v12, v15
	s_or_b64 exec, exec, s[4:5]
	s_and_saveexec_b64 s[4:5], vcc
	s_cbranch_execz .LBB124_77
.LBB124_93:
	v_mov_b32_e32 v15, 0x190
	v_lshl_add_u32 v15, v14, 2, v15
	ds_read_b32 v15, v15 offset:192
	s_waitcnt lgkmcnt(0)
	v_add_f32_e32 v13, v13, v15
	s_or_b64 exec, exec, s[4:5]
	s_and_saveexec_b64 s[4:5], vcc
	s_cbranch_execz .LBB124_78
.LBB124_94:
	v_mov_b32_e32 v15, 0x190
	v_lshl_add_u32 v15, v14, 2, v15
	ds_read_b32 v15, v15 offset:256
	s_waitcnt lgkmcnt(0)
	v_add_f32_e32 v10, v10, v15
	s_or_b64 exec, exec, s[4:5]
	s_and_saveexec_b64 s[4:5], vcc
	s_cbranch_execz .LBB124_79
.LBB124_95:
	v_mov_b32_e32 v15, 0x190
	v_lshl_add_u32 v15, v14, 2, v15
	ds_read_b32 v15, v15 offset:320
	s_waitcnt lgkmcnt(0)
	v_add_f32_e32 v11, v11, v15
	s_or_b64 exec, exec, s[4:5]
	s_and_saveexec_b64 s[4:5], vcc
	s_cbranch_execz .LBB124_80
.LBB124_96:
	v_mov_b32_e32 v15, 0x190
	v_lshl_add_u32 v15, v14, 2, v15
	ds_read_b32 v15, v15 offset:384
	s_waitcnt lgkmcnt(0)
	v_add_f32_e32 v6, v6, v15
	s_or_b64 exec, exec, s[4:5]
	s_and_saveexec_b64 s[4:5], vcc
	s_cbranch_execz .LBB124_81
.LBB124_97:
	v_mov_b32_e32 v15, 0x190
	v_lshl_add_u32 v15, v14, 2, v15
	ds_read_b32 v15, v15 offset:448
	s_waitcnt lgkmcnt(0)
	v_add_f32_e32 v7, v7, v15
	s_or_b64 exec, exec, s[4:5]
	s_and_saveexec_b64 s[4:5], vcc
	s_cbranch_execz .LBB124_82
.LBB124_98:
	v_mov_b32_e32 v15, 0x190
	v_lshl_add_u32 v15, v14, 2, v15
	ds_read_b32 v15, v15 offset:512
	s_waitcnt lgkmcnt(0)
	v_add_f32_e32 v4, v4, v15
	s_or_b64 exec, exec, s[4:5]
	s_and_saveexec_b64 s[4:5], vcc
	s_cbranch_execz .LBB124_83
.LBB124_99:
	v_mov_b32_e32 v15, 0x190
	v_lshl_add_u32 v15, v14, 2, v15
	ds_read_b32 v15, v15 offset:576
	s_waitcnt lgkmcnt(0)
	v_add_f32_e32 v5, v5, v15
	s_or_b64 exec, exec, s[4:5]
	s_and_saveexec_b64 s[4:5], vcc
	s_cbranch_execz .LBB124_84
.LBB124_100:
	v_mov_b32_e32 v15, 0x190
	v_lshl_add_u32 v15, v14, 2, v15
	ds_read_b32 v15, v15 offset:640
	s_waitcnt lgkmcnt(0)
	v_add_f32_e32 v8, v8, v15
	s_or_b64 exec, exec, s[4:5]
	s_and_saveexec_b64 s[4:5], vcc
	s_cbranch_execnz .LBB124_85
	s_branch .LBB124_86
	.section	.rodata,"a",@progbits
	.p2align	6, 0x0
	.amdhsa_kernel _ZN4vllm25paged_attention_v2_kernelIttLi192ELi32ELi128ELNS_18Fp8KVCacheDataTypeE0ELb0ELi512EEEvPfS2_PT_PKS3_PKT0_S9_ifPKiSB_iPKfiiiSD_SD_iiiii
		.amdhsa_group_segment_fixed_size 400
		.amdhsa_private_segment_fixed_size 0
		.amdhsa_kernarg_size 400
		.amdhsa_user_sgpr_count 6
		.amdhsa_user_sgpr_private_segment_buffer 1
		.amdhsa_user_sgpr_dispatch_ptr 0
		.amdhsa_user_sgpr_queue_ptr 0
		.amdhsa_user_sgpr_kernarg_segment_ptr 1
		.amdhsa_user_sgpr_dispatch_id 0
		.amdhsa_user_sgpr_flat_scratch_init 0
		.amdhsa_user_sgpr_kernarg_preload_length 0
		.amdhsa_user_sgpr_kernarg_preload_offset 0
		.amdhsa_user_sgpr_private_segment_size 0
		.amdhsa_uses_dynamic_stack 0
		.amdhsa_system_sgpr_private_segment_wavefront_offset 0
		.amdhsa_system_sgpr_workgroup_id_x 1
		.amdhsa_system_sgpr_workgroup_id_y 1
		.amdhsa_system_sgpr_workgroup_id_z 1
		.amdhsa_system_sgpr_workgroup_info 0
		.amdhsa_system_vgpr_workitem_id 0
		.amdhsa_next_free_vgpr 89
		.amdhsa_next_free_sgpr 44
		.amdhsa_accum_offset 92
		.amdhsa_reserve_vcc 1
		.amdhsa_reserve_flat_scratch 0
		.amdhsa_float_round_mode_32 0
		.amdhsa_float_round_mode_16_64 0
		.amdhsa_float_denorm_mode_32 3
		.amdhsa_float_denorm_mode_16_64 3
		.amdhsa_dx10_clamp 1
		.amdhsa_ieee_mode 1
		.amdhsa_fp16_overflow 0
		.amdhsa_tg_split 0
		.amdhsa_exception_fp_ieee_invalid_op 0
		.amdhsa_exception_fp_denorm_src 0
		.amdhsa_exception_fp_ieee_div_zero 0
		.amdhsa_exception_fp_ieee_overflow 0
		.amdhsa_exception_fp_ieee_underflow 0
		.amdhsa_exception_fp_ieee_inexact 0
		.amdhsa_exception_int_div_zero 0
	.end_amdhsa_kernel
	.section	.text._ZN4vllm25paged_attention_v2_kernelIttLi192ELi32ELi128ELNS_18Fp8KVCacheDataTypeE0ELb0ELi512EEEvPfS2_PT_PKS3_PKT0_S9_ifPKiSB_iPKfiiiSD_SD_iiiii,"axG",@progbits,_ZN4vllm25paged_attention_v2_kernelIttLi192ELi32ELi128ELNS_18Fp8KVCacheDataTypeE0ELb0ELi512EEEvPfS2_PT_PKS3_PKT0_S9_ifPKiSB_iPKfiiiSD_SD_iiiii,comdat
.Lfunc_end124:
	.size	_ZN4vllm25paged_attention_v2_kernelIttLi192ELi32ELi128ELNS_18Fp8KVCacheDataTypeE0ELb0ELi512EEEvPfS2_PT_PKS3_PKT0_S9_ifPKiSB_iPKfiiiSD_SD_iiiii, .Lfunc_end124-_ZN4vllm25paged_attention_v2_kernelIttLi192ELi32ELi128ELNS_18Fp8KVCacheDataTypeE0ELb0ELi512EEEvPfS2_PT_PKS3_PKT0_S9_ifPKiSB_iPKfiiiSD_SD_iiiii
                                        ; -- End function
	.section	.AMDGPU.csdata,"",@progbits
; Kernel info:
; codeLenInByte = 11896
; NumSgprs: 48
; NumVgprs: 89
; NumAgprs: 0
; TotalNumVgprs: 89
; ScratchSize: 0
; MemoryBound: 0
; FloatMode: 240
; IeeeMode: 1
; LDSByteSize: 400 bytes/workgroup (compile time only)
; SGPRBlocks: 5
; VGPRBlocks: 11
; NumSGPRsForWavesPerEU: 48
; NumVGPRsForWavesPerEU: 89
; AccumOffset: 92
; Occupancy: 5
; WaveLimiterHint : 1
; COMPUTE_PGM_RSRC2:SCRATCH_EN: 0
; COMPUTE_PGM_RSRC2:USER_SGPR: 6
; COMPUTE_PGM_RSRC2:TRAP_HANDLER: 0
; COMPUTE_PGM_RSRC2:TGID_X_EN: 1
; COMPUTE_PGM_RSRC2:TGID_Y_EN: 1
; COMPUTE_PGM_RSRC2:TGID_Z_EN: 1
; COMPUTE_PGM_RSRC2:TIDIG_COMP_CNT: 0
; COMPUTE_PGM_RSRC3_GFX90A:ACCUM_OFFSET: 22
; COMPUTE_PGM_RSRC3_GFX90A:TG_SPLIT: 0
	.section	.text._ZN4vllm25paged_attention_v2_kernelIttLi256ELi32ELi128ELNS_18Fp8KVCacheDataTypeE0ELb0ELi512EEEvPfS2_PT_PKS3_PKT0_S9_ifPKiSB_iPKfiiiSD_SD_iiiii,"axG",@progbits,_ZN4vllm25paged_attention_v2_kernelIttLi256ELi32ELi128ELNS_18Fp8KVCacheDataTypeE0ELb0ELi512EEEvPfS2_PT_PKS3_PKT0_S9_ifPKiSB_iPKfiiiSD_SD_iiiii,comdat
	.protected	_ZN4vllm25paged_attention_v2_kernelIttLi256ELi32ELi128ELNS_18Fp8KVCacheDataTypeE0ELb0ELi512EEEvPfS2_PT_PKS3_PKT0_S9_ifPKiSB_iPKfiiiSD_SD_iiiii ; -- Begin function _ZN4vllm25paged_attention_v2_kernelIttLi256ELi32ELi128ELNS_18Fp8KVCacheDataTypeE0ELb0ELi512EEEvPfS2_PT_PKS3_PKT0_S9_ifPKiSB_iPKfiiiSD_SD_iiiii
	.globl	_ZN4vllm25paged_attention_v2_kernelIttLi256ELi32ELi128ELNS_18Fp8KVCacheDataTypeE0ELb0ELi512EEEvPfS2_PT_PKS3_PKT0_S9_ifPKiSB_iPKfiiiSD_SD_iiiii
	.p2align	8
	.type	_ZN4vllm25paged_attention_v2_kernelIttLi256ELi32ELi128ELNS_18Fp8KVCacheDataTypeE0ELb0ELi512EEEvPfS2_PT_PKS3_PKT0_S9_ifPKiSB_iPKfiiiSD_SD_iiiii,@function
_ZN4vllm25paged_attention_v2_kernelIttLi256ELi32ELi128ELNS_18Fp8KVCacheDataTypeE0ELb0ELi512EEEvPfS2_PT_PKS3_PKT0_S9_ifPKiSB_iPKfiiiSD_SD_iiiii: ; @_ZN4vllm25paged_attention_v2_kernelIttLi256ELi32ELi128ELNS_18Fp8KVCacheDataTypeE0ELb0ELi512EEEvPfS2_PT_PKS3_PKT0_S9_ifPKiSB_iPKfiiiSD_SD_iiiii
; %bb.0:
	s_load_dwordx2 s[0:1], s[4:5], 0x40
	s_mov_b32 s26, s7
	s_ashr_i32 s27, s7, 31
	s_lshl_b64 s[2:3], s[26:27], 2
	s_waitcnt lgkmcnt(0)
	s_add_u32 s0, s0, s2
	s_addc_u32 s1, s1, s3
	s_load_dword s27, s[0:1], 0x0
	s_lshl_b32 s33, s8, 9
	s_waitcnt lgkmcnt(0)
	s_cmp_ge_i32 s33, s27
	s_cbranch_scc1 .LBB125_101
; %bb.1:
	s_load_dword s9, s[4:5], 0x90
	s_load_dwordx2 s[12:13], s[4:5], 0x30
	s_waitcnt lgkmcnt(0)
	s_abs_i32 s2, s9
	s_abs_i32 s0, s12
	v_cvt_f32_u32_e32 v1, s0
	s_sub_i32 s3, 0, s0
	s_xor_b32 s1, s9, s12
	s_ashr_i32 s1, s1, 31
	v_rcp_iflag_f32_e32 v1, v1
	s_mov_b32 s12, 0
	v_mul_f32_e32 v1, 0x4f7ffffe, v1
	v_cvt_u32_f32_e32 v1, v1
	v_readfirstlane_b32 s7, v1
	s_mul_i32 s3, s3, s7
	s_mul_hi_u32 s3, s7, s3
	s_add_i32 s7, s7, s3
	s_mul_hi_u32 s3, s2, s7
	s_mul_i32 s7, s3, s0
	s_sub_i32 s2, s2, s7
	s_add_i32 s10, s3, 1
	s_sub_i32 s7, s2, s0
	s_cmp_ge_u32 s2, s0
	s_cselect_b32 s3, s10, s3
	s_cselect_b32 s2, s7, s2
	s_add_i32 s7, s3, 1
	s_cmp_ge_u32 s2, s0
	s_cselect_b32 s0, s7, s3
	s_xor_b32 s0, s0, s1
	s_sub_i32 s2, s0, s1
	s_abs_i32 s10, s2
	v_cvt_f32_u32_e32 v1, s10
	s_load_dwordx2 s[0:1], s[4:5], 0x50
	s_sub_i32 s3, 0, s10
	s_abs_i32 s11, s6
	v_rcp_iflag_f32_e32 v1, v1
	v_mul_f32_e32 v1, 0x4f7ffffe, v1
	v_cvt_u32_f32_e32 v1, v1
	v_readfirstlane_b32 s7, v1
	s_mul_i32 s3, s3, s7
	s_mul_hi_u32 s3, s7, s3
	s_add_i32 s7, s7, s3
	s_waitcnt lgkmcnt(0)
	s_cmp_eq_u64 s[0:1], 0
	s_mul_hi_u32 s20, s11, s7
	s_cbranch_scc1 .LBB125_3
; %bb.2:
	s_ashr_i32 s7, s6, 31
	s_lshl_b64 s[14:15], s[6:7], 2
	s_add_u32 s0, s0, s14
	s_addc_u32 s1, s1, s15
	s_load_dword s12, s[0:1], 0x0
.LBB125_3:
	s_load_dwordx4 s[16:19], s[4:5], 0x58
	s_ashr_i32 s21, s6, 31
	s_ashr_i32 s22, s2, 31
	v_and_b32_e32 v2, 1, v0
	s_lshl_b32 s14, s6, 8
	v_cmp_gt_u32_e64 s[0:1], 64, v0
	v_lshlrev_b32_e32 v66, 3, v0
	s_and_saveexec_b64 s[2:3], s[0:1]
	s_cbranch_execz .LBB125_5
; %bb.4:
	s_load_dwordx2 s[24:25], s[4:5], 0x18
	s_waitcnt lgkmcnt(0)
	s_mul_i32 s28, s26, s16
	s_ashr_i32 s29, s28, 31
	s_lshl_b64 s[28:29], s[28:29], 1
	v_lshlrev_b32_e32 v1, 2, v0
	s_add_u32 s7, s24, s28
	s_addc_u32 s16, s25, s29
	s_ashr_i32 s15, s14, 31
	s_lshl_b64 s[24:25], s[14:15], 1
	s_add_u32 s24, s7, s24
	s_addc_u32 s25, s16, s25
	global_load_dwordx2 v[4:5], v66, s[24:25]
	v_and_b32_e32 v1, 0xff8, v1
	v_lshl_add_u32 v1, v2, 8, v1
	s_waitcnt vmcnt(0)
	ds_write_b64 v1, v[4:5]
.LBB125_5:
	s_or_b64 exec, exec, s[2:3]
	s_add_i32 s2, s27, 31
	s_ashr_i32 s3, s2, 31
	s_lshr_b32 s3, s3, 27
	s_add_i32 s2, s2, s3
	s_lshl_b32 s7, s8, 4
	s_mul_i32 s3, s20, s10
	s_ashr_i32 s42, s2, 5
	s_add_i32 s2, s7, 16
	s_sub_i32 s3, s11, s3
	s_waitcnt lgkmcnt(0)
	s_min_i32 s16, s2, s42
	s_xor_b32 s2, s21, s22
	s_add_i32 s11, s20, 1
	s_sub_i32 s15, s3, s10
	s_cmp_ge_u32 s3, s10
	s_cselect_b32 s11, s11, s20
	s_cselect_b32 s3, s15, s3
	s_add_i32 s15, s11, 1
	s_cmp_ge_u32 s3, s10
	s_load_dwordx2 s[28:29], s[4:5], 0x38
	s_load_dword s10, s[4:5], 0x48
	v_lshrrev_b32_e32 v67, 6, v0
	s_cselect_b32 s3, s15, s11
	s_xor_b32 s3, s3, s2
	v_or_b32_e32 v6, s7, v67
	s_waitcnt lgkmcnt(0)
	s_mul_i32 s30, s26, s10
	s_sub_i32 s19, s3, s2
	s_ashr_i32 s31, s30, 31
	v_cmp_gt_i32_e64 s[2:3], s16, v6
	v_cmp_le_i32_e32 vcc, s16, v6
	v_mbcnt_lo_u32_b32 v4, -1, 0
	s_barrier
	s_waitcnt lgkmcnt(0)
                                        ; implicit-def: $sgpr38
                                        ; implicit-def: $vgpr69
                                        ; implicit-def: $vgpr70
	s_and_saveexec_b64 s[10:11], vcc
	s_xor_b64 s[10:11], exec, s[10:11]
; %bb.6:
	v_mbcnt_hi_u32_b32 v69, -1, v4
	v_and_b32_e32 v1, 64, v69
	v_add_u32_e32 v70, 64, v1
	s_mov_b32 s38, 0xff7fffff
                                        ; implicit-def: $vgpr2
                                        ; implicit-def: $vgpr4
; %bb.7:
	s_or_saveexec_b64 s[36:37], s[10:11]
	s_load_dwordx4 s[20:23], s[4:5], 0x0
	s_load_dwordx2 s[24:25], s[4:5], 0x10
	s_load_dwordx2 s[34:35], s[4:5], 0x28
	s_load_dword s15, s[4:5], 0x98
	v_mov_b32_e32 v1, s38
	s_mul_i32 s18, s19, s18
	v_ashrrev_i32_e32 v7, 31, v6
	v_lshlrev_b32_e32 v68, 5, v67
	s_xor_b64 exec, exec, s[36:37]
	s_cbranch_execz .LBB125_13
; %bb.8:
	s_load_dwordx2 s[4:5], s[4:5], 0x20
	s_ashr_i32 s19, s18, 31
	s_lshl_b64 s[10:11], s[18:19], 1
	v_bfe_u32 v1, v0, 1, 5
	v_lshlrev_b32_e32 v3, 4, v1
	s_waitcnt lgkmcnt(0)
	s_add_u32 s4, s4, s10
	s_addc_u32 s5, s5, s11
	v_mov_b32_e32 v5, s5
	v_add_co_u32_e32 v3, vcc, s4, v3
	v_addc_co_u32_e32 v5, vcc, 0, v5, vcc
	v_and_b32_e32 v8, 8, v66
	v_add_co_u32_e32 v71, vcc, v3, v8
	s_sub_i32 s19, 1, s27
	s_lshl_b64 s[10:11], s[30:31], 2
	v_addc_co_u32_e32 v72, vcc, 0, v5, vcc
	v_add3_u32 v74, s33, v68, v1
	v_lshlrev_b32_e32 v1, 2, v1
	s_add_u32 s10, s28, s10
	v_lshlrev_b32_e32 v73, 8, v2
	v_cmp_eq_u32_e32 vcc, 0, v2
	v_lshl_or_b32 v1, v67, 7, v1
	v_lshlrev_b64 v[2:3], 2, v[6:7]
	s_addc_u32 s11, s29, s11
	v_mbcnt_hi_u32_b32 v69, -1, v4
	v_add_u32_e32 v75, 0x210, v1
	v_mov_b32_e32 v1, s11
	v_add_co_u32_e64 v2, s[10:11], s10, v2
	v_and_b32_e32 v4, 64, v69
	s_mov_b32 s43, s17
	v_cmp_neq_f32_e64 s[4:5], s12, 0
	v_addc_co_u32_e64 v3, s[10:11], v1, v3, s[10:11]
	s_mov_b64 s[38:39], 0
	v_mov_b32_e32 v1, 0xff7fffff
	s_movk_i32 s44, 0x1000
	s_movk_i32 s45, 0x2000
	;; [unrolled: 1-line block ×3, first 2 shown]
	v_xor_b32_e32 v76, 1, v69
	v_add_u32_e32 v70, 64, v4
	v_mov_b32_e32 v77, v6
	s_branch .LBB125_10
.LBB125_9:                              ;   in Loop: Header=BB125_10 Depth=1
	s_or_b64 exec, exec, s[40:41]
	v_add_u32_e32 v77, 2, v77
	v_cmp_le_i32_e64 s[10:11], s16, v77
	s_or_b64 s[38:39], s[10:11], s[38:39]
	v_add_co_u32_e64 v2, s[10:11], 8, v2
	v_add_u32_e32 v74, 64, v74
	v_add_u32_e32 v75, 0x100, v75
	v_addc_co_u32_e64 v3, s[10:11], 0, v3, s[10:11]
	s_andn2_b64 exec, exec, s[38:39]
	s_cbranch_execz .LBB125_12
.LBB125_10:                             ; =>This Inner Loop Header: Depth=1
	global_load_dword v4, v[2:3], off
	s_waitcnt vmcnt(0) lgkmcnt(0)
	v_mad_i64_i32 v[4:5], s[10:11], v4, s43, 0
	v_lshlrev_b64 v[4:5], 1, v[4:5]
	v_add_co_u32_e64 v4, s[10:11], v71, v4
	v_addc_co_u32_e64 v5, s[10:11], v72, v5, s[10:11]
	global_load_dwordx2 v[78:79], v[4:5], off
	global_load_dwordx2 v[62:63], v[4:5], off offset:512
	global_load_dwordx2 v[80:81], v[4:5], off offset:1024
	global_load_dwordx2 v[64:65], v[4:5], off offset:1536
	global_load_dwordx2 v[60:61], v[4:5], off offset:2048
	global_load_dwordx2 v[58:59], v[4:5], off offset:2560
	global_load_dwordx2 v[56:57], v[4:5], off offset:3072
	ds_read_b64 v[8:9], v73
	global_load_dwordx2 v[52:53], v[4:5], off offset:3584
	s_waitcnt lgkmcnt(0)
	v_lshrrev_b32_e32 v82, 16, v8
	v_and_b32_e32 v83, 0xffff, v8
	v_add_co_u32_e64 v8, s[10:11], s44, v4
	v_lshrrev_b32_e32 v84, 16, v9
	v_and_b32_e32 v85, 0xffff, v9
	v_addc_co_u32_e64 v9, s[10:11], 0, v5, s[10:11]
	v_add_co_u32_e64 v54, s[10:11], s45, v4
	v_addc_co_u32_e64 v55, s[10:11], 0, v5, s[10:11]
	v_add_co_u32_e64 v4, s[10:11], s46, v4
	v_addc_co_u32_e64 v5, s[10:11], 0, v5, s[10:11]
	global_load_dwordx2 v[50:51], v[8:9], off offset:512
	global_load_dwordx2 v[48:49], v[8:9], off offset:1024
	;; [unrolled: 1-line block ×4, first 2 shown]
	global_load_dwordx2 v[36:37], v[54:55], off
	global_load_dwordx2 v[34:35], v[54:55], off offset:512
	global_load_dwordx2 v[32:33], v[54:55], off offset:1024
	global_load_dwordx2 v[30:31], v[54:55], off offset:1536
	global_load_dwordx2 v[28:29], v[54:55], off offset:2048
	global_load_dwordx2 v[26:27], v[54:55], off offset:2560
	global_load_dwordx2 v[24:25], v[54:55], off offset:3072
	global_load_dwordx2 v[22:23], v[54:55], off offset:3584
	global_load_dwordx2 v[42:43], v[8:9], off offset:2560
	global_load_dwordx2 v[40:41], v[8:9], off offset:3072
	global_load_dwordx2 v[38:39], v[8:9], off offset:3584
	global_load_dwordx2 v[20:21], v[4:5], off
	global_load_dwordx2 v[18:19], v[4:5], off offset:512
	global_load_dwordx2 v[16:17], v[4:5], off offset:1024
	;; [unrolled: 1-line block ×6, first 2 shown]
	s_nop 0
	global_load_dwordx2 v[54:55], v[54:55], off offset:-4096
	s_nop 0
	global_load_dwordx2 v[4:5], v[4:5], off offset:3584
	;;#ASMSTART
	v_cvt_f32_f16 v83, v83;
	;;#ASMEND
	;;#ASMSTART
	v_cvt_f32_f16 v82, v82;
	;;#ASMEND
	v_cmp_lt_i32_e64 s[10:11], v76, v70
	s_waitcnt vmcnt(31)
	v_lshrrev_b32_e32 v86, 16, v78
	v_and_b32_e32 v78, 0xffff, v78
	v_lshrrev_b32_e32 v87, 16, v79
	v_and_b32_e32 v79, 0xffff, v79
	s_waitcnt vmcnt(30)
	v_and_b32_e32 v88, 0xffff, v62
	s_waitcnt vmcnt(26)
	v_and_b32_e32 v100, 0xffff, v59
	v_lshrrev_b32_e32 v101, 16, v59
	s_waitcnt vmcnt(25)
	v_and_b32_e32 v102, 0xffff, v56
	v_lshrrev_b32_e32 v103, 16, v56
	v_and_b32_e32 v104, 0xffff, v57
	v_lshrrev_b32_e32 v105, 16, v57
	;;#ASMSTART
	v_cvt_f32_f16 v59, v78;
	;;#ASMEND
	;;#ASMSTART
	v_cvt_f32_f16 v78, v86;
	;;#ASMEND
	;; [unrolled: 3-line block ×6, first 2 shown]
	ds_read_b64 v[56:57], v73 offset:8
	v_and_b32_e32 v98, 0xffff, v58
	v_lshrrev_b32_e32 v99, 16, v58
	v_and_b32_e32 v94, 0xffff, v60
	v_lshrrev_b32_e32 v95, 16, v60
	s_waitcnt lgkmcnt(0)
	v_and_b32_e32 v58, 0xffff, v56
	v_lshrrev_b32_e32 v56, 16, v56
	v_and_b32_e32 v96, 0xffff, v61
	v_lshrrev_b32_e32 v97, 16, v61
	v_lshrrev_b32_e32 v60, 16, v57
	v_and_b32_e32 v61, 0xffff, v57
	;;#ASMSTART
	v_cvt_f32_f16 v57, v58;
	;;#ASMEND
	;;#ASMSTART
	v_cvt_f32_f16 v58, v56;
	;;#ASMEND
	;; [unrolled: 3-line block ×3, first 2 shown]
	v_lshrrev_b32_e32 v62, 16, v62
	v_mul_f32_e32 v56, v57, v56
	;;#ASMSTART
	v_cvt_f32_f16 v57, v62;
	;;#ASMEND
	v_and_b32_e32 v89, 0xffff, v63
	v_lshrrev_b32_e32 v63, 16, v63
	v_mul_f32_e32 v57, v58, v57
	;;#ASMSTART
	v_cvt_f32_f16 v58, v61;
	;;#ASMEND
	;;#ASMSTART
	v_cvt_f32_f16 v62, v60;
	;;#ASMEND
	;; [unrolled: 3-line block ×3, first 2 shown]
	v_mul_f32_e32 v58, v58, v60
	;;#ASMSTART
	v_cvt_f32_f16 v63, v63;
	;;#ASMEND
	ds_read_b64 v[60:61], v73 offset:16
	v_and_b32_e32 v90, 0xffff, v80
	v_lshrrev_b32_e32 v80, 16, v80
	v_and_b32_e32 v91, 0xffff, v81
	v_lshrrev_b32_e32 v81, 16, v81
	v_fmac_f32_e32 v56, v83, v59
	v_mul_f32_e32 v59, v62, v63
	s_waitcnt lgkmcnt(0)
	v_and_b32_e32 v62, 0xffff, v60
	v_lshrrev_b32_e32 v60, 16, v60
	v_lshrrev_b32_e32 v63, 16, v61
	v_and_b32_e32 v61, 0xffff, v61
	v_fmac_f32_e32 v57, v82, v78
	v_fmac_f32_e32 v58, v85, v79
	;;#ASMSTART
	v_cvt_f32_f16 v62, v62;
	;;#ASMEND
	;;#ASMSTART
	v_cvt_f32_f16 v78, v60;
	;;#ASMEND
	;; [unrolled: 3-line block ×8, first 2 shown]
	ds_read_b64 v[60:61], v73 offset:24
	v_fmac_f32_e32 v59, v84, v86
	v_and_b32_e32 v92, 0xffff, v64
	v_lshrrev_b32_e32 v64, 16, v64
	v_and_b32_e32 v93, 0xffff, v65
	v_lshrrev_b32_e32 v65, 16, v65
	v_fmac_f32_e32 v56, v62, v79
	v_fmac_f32_e32 v59, v63, v81
	s_waitcnt lgkmcnt(0)
	v_and_b32_e32 v62, 0xffff, v60
	v_lshrrev_b32_e32 v60, 16, v60
	v_lshrrev_b32_e32 v63, 16, v61
	v_and_b32_e32 v61, 0xffff, v61
	v_fmac_f32_e32 v57, v78, v80
	;;#ASMSTART
	v_cvt_f32_f16 v62, v62;
	;;#ASMEND
	;;#ASMSTART
	v_cvt_f32_f16 v78, v60;
	;;#ASMEND
	;; [unrolled: 3-line block ×8, first 2 shown]
	ds_read_b64 v[60:61], v73 offset:32
	v_fmac_f32_e32 v58, v82, v83
	v_fmac_f32_e32 v56, v62, v79
	;; [unrolled: 1-line block ×4, first 2 shown]
	s_waitcnt lgkmcnt(0)
	v_and_b32_e32 v62, 0xffff, v60
	v_lshrrev_b32_e32 v60, 16, v60
	v_lshrrev_b32_e32 v63, 16, v61
	v_and_b32_e32 v61, 0xffff, v61
	v_fmac_f32_e32 v58, v80, v81
	;;#ASMSTART
	v_cvt_f32_f16 v62, v62;
	;;#ASMEND
	;;#ASMSTART
	v_cvt_f32_f16 v64, v60;
	;;#ASMEND
	;; [unrolled: 3-line block ×8, first 2 shown]
	ds_read_b64 v[60:61], v73 offset:40
	v_fmac_f32_e32 v56, v62, v65
	v_fmac_f32_e32 v59, v63, v81
	;; [unrolled: 1-line block ×4, first 2 shown]
	s_waitcnt lgkmcnt(0)
	v_and_b32_e32 v62, 0xffff, v60
	v_lshrrev_b32_e32 v60, 16, v60
	v_lshrrev_b32_e32 v63, 16, v61
	v_and_b32_e32 v61, 0xffff, v61
	;;#ASMSTART
	v_cvt_f32_f16 v62, v62;
	;;#ASMEND
	;;#ASMSTART
	v_cvt_f32_f16 v64, v60;
	;;#ASMEND
	;; [unrolled: 3-line block ×8, first 2 shown]
	ds_read_b64 v[60:61], v73 offset:48
	v_fmac_f32_e32 v56, v62, v65
	v_fmac_f32_e32 v59, v63, v81
	;; [unrolled: 1-line block ×4, first 2 shown]
	s_waitcnt lgkmcnt(0)
	v_and_b32_e32 v62, 0xffff, v60
	v_lshrrev_b32_e32 v60, 16, v60
	v_lshrrev_b32_e32 v63, 16, v61
	v_and_b32_e32 v61, 0xffff, v61
	;;#ASMSTART
	v_cvt_f32_f16 v62, v62;
	;;#ASMEND
	;;#ASMSTART
	v_cvt_f32_f16 v64, v60;
	;;#ASMEND
	;; [unrolled: 3-line block ×8, first 2 shown]
	ds_read_b64 v[60:61], v73 offset:56
	s_waitcnt vmcnt(24)
	v_and_b32_e32 v87, 0xffff, v52
	v_lshrrev_b32_e32 v52, 16, v52
	v_fmac_f32_e32 v56, v62, v65
	v_fmac_f32_e32 v57, v64, v78
	s_waitcnt lgkmcnt(0)
	v_and_b32_e32 v62, 0xffff, v60
	v_lshrrev_b32_e32 v60, 16, v60
	v_fmac_f32_e32 v59, v63, v81
	;;#ASMSTART
	v_cvt_f32_f16 v62, v62;
	;;#ASMEND
	;;#ASMSTART
	v_cvt_f32_f16 v60, v60;
	;;#ASMEND
	;; [unrolled: 3-line block ×4, first 2 shown]
	v_lshrrev_b32_e32 v52, 16, v61
	v_and_b32_e32 v61, 0xffff, v61
	;;#ASMSTART
	v_cvt_f32_f16 v61, v61;
	;;#ASMEND
	;;#ASMSTART
	v_cvt_f32_f16 v65, v52;
	;;#ASMEND
	v_and_b32_e32 v52, 0xffff, v53
	;;#ASMSTART
	v_cvt_f32_f16 v78, v52;
	;;#ASMEND
	v_lshrrev_b32_e32 v52, 16, v53
	v_fmac_f32_e32 v58, v79, v80
	;;#ASMSTART
	v_cvt_f32_f16 v79, v52;
	;;#ASMEND
	ds_read_b64 v[52:53], v73 offset:64
	v_fmac_f32_e32 v57, v60, v64
	v_fmac_f32_e32 v58, v61, v78
	;; [unrolled: 1-line block ×4, first 2 shown]
	s_waitcnt lgkmcnt(0)
	v_and_b32_e32 v60, 0xffff, v52
	v_lshrrev_b32_e32 v52, 16, v52
	;;#ASMSTART
	v_cvt_f32_f16 v60, v60;
	;;#ASMEND
	;;#ASMSTART
	v_cvt_f32_f16 v61, v52;
	;;#ASMEND
	s_waitcnt vmcnt(1)
	v_and_b32_e32 v52, 0xffff, v54
	;;#ASMSTART
	v_cvt_f32_f16 v62, v52;
	;;#ASMEND
	v_lshrrev_b32_e32 v52, 16, v54
	;;#ASMSTART
	v_cvt_f32_f16 v54, v52;
	;;#ASMEND
	v_lshrrev_b32_e32 v52, 16, v53
	v_and_b32_e32 v53, 0xffff, v53
	;;#ASMSTART
	v_cvt_f32_f16 v63, v53;
	;;#ASMEND
	;;#ASMSTART
	v_cvt_f32_f16 v64, v52;
	;;#ASMEND
	v_and_b32_e32 v52, 0xffff, v55
	;;#ASMSTART
	v_cvt_f32_f16 v65, v52;
	;;#ASMEND
	v_lshrrev_b32_e32 v52, 16, v55
	;;#ASMSTART
	v_cvt_f32_f16 v55, v52;
	;;#ASMEND
	ds_read_b64 v[52:53], v73 offset:72
	v_fmac_f32_e32 v57, v61, v54
	v_fmac_f32_e32 v59, v64, v55
	v_and_b32_e32 v55, 0xffff, v50
	v_lshrrev_b32_e32 v50, 16, v50
	s_waitcnt lgkmcnt(0)
	v_and_b32_e32 v54, 0xffff, v52
	v_lshrrev_b32_e32 v52, 16, v52
	v_fmac_f32_e32 v56, v60, v62
	;;#ASMSTART
	v_cvt_f32_f16 v54, v54;
	;;#ASMEND
	;;#ASMSTART
	v_cvt_f32_f16 v52, v52;
	;;#ASMEND
	;; [unrolled: 3-line block ×4, first 2 shown]
	v_lshrrev_b32_e32 v50, 16, v53
	v_and_b32_e32 v53, 0xffff, v53
	v_lshrrev_b32_e32 v61, 16, v51
	v_and_b32_e32 v51, 0xffff, v51
	v_fmac_f32_e32 v58, v63, v65
	;;#ASMSTART
	v_cvt_f32_f16 v53, v53;
	;;#ASMEND
	;;#ASMSTART
	v_cvt_f32_f16 v62, v50;
	;;#ASMEND
	;; [unrolled: 3-line block ×4, first 2 shown]
	ds_read_b64 v[50:51], v73 offset:80
	v_fmac_f32_e32 v57, v52, v60
	v_fmac_f32_e32 v58, v53, v63
	v_and_b32_e32 v53, 0xffff, v48
	v_lshrrev_b32_e32 v48, 16, v48
	s_waitcnt lgkmcnt(0)
	v_lshrrev_b32_e32 v52, 16, v50
	v_and_b32_e32 v50, 0xffff, v50
	v_fmac_f32_e32 v56, v54, v55
	;;#ASMSTART
	v_cvt_f32_f16 v50, v50;
	;;#ASMEND
	;;#ASMSTART
	v_cvt_f32_f16 v52, v52;
	;;#ASMEND
	;; [unrolled: 3-line block ×4, first 2 shown]
	v_lshrrev_b32_e32 v48, 16, v51
	v_and_b32_e32 v51, 0xffff, v51
	;;#ASMSTART
	v_cvt_f32_f16 v51, v51;
	;;#ASMEND
	;;#ASMSTART
	v_cvt_f32_f16 v55, v48;
	;;#ASMEND
	v_lshrrev_b32_e32 v48, 16, v49
	v_and_b32_e32 v49, 0xffff, v49
	v_fmac_f32_e32 v59, v62, v61
	;;#ASMSTART
	v_cvt_f32_f16 v60, v49;
	;;#ASMEND
	;;#ASMSTART
	v_cvt_f32_f16 v61, v48;
	;;#ASMEND
	ds_read_b64 v[48:49], v73 offset:88
	v_fmac_f32_e32 v56, v50, v53
	v_fmac_f32_e32 v58, v51, v60
	v_lshrrev_b32_e32 v51, 16, v46
	v_and_b32_e32 v46, 0xffff, v46
	s_waitcnt lgkmcnt(0)
	v_lshrrev_b32_e32 v50, 16, v48
	v_and_b32_e32 v48, 0xffff, v48
	v_fmac_f32_e32 v57, v52, v54
	;;#ASMSTART
	v_cvt_f32_f16 v48, v48;
	;;#ASMEND
	;;#ASMSTART
	v_cvt_f32_f16 v50, v50;
	;;#ASMEND
	;;#ASMSTART
	v_cvt_f32_f16 v52, v46;
	;;#ASMEND
	v_lshrrev_b32_e32 v46, 16, v49
	v_and_b32_e32 v49, 0xffff, v49
	;;#ASMSTART
	v_cvt_f32_f16 v51, v51;
	;;#ASMEND
	;;#ASMSTART
	v_cvt_f32_f16 v49, v49;
	;;#ASMEND
	;;#ASMSTART
	v_cvt_f32_f16 v53, v46;
	;;#ASMEND
	v_lshrrev_b32_e32 v46, 16, v47
	v_and_b32_e32 v47, 0xffff, v47
	v_fmac_f32_e32 v59, v55, v61
	;;#ASMSTART
	v_cvt_f32_f16 v54, v47;
	;;#ASMEND
	;;#ASMSTART
	v_cvt_f32_f16 v55, v46;
	;;#ASMEND
	ds_read_b64 v[46:47], v73 offset:96
	v_fmac_f32_e32 v56, v48, v52
	v_fmac_f32_e32 v58, v49, v54
	v_lshrrev_b32_e32 v49, 16, v44
	v_and_b32_e32 v44, 0xffff, v44
	s_waitcnt lgkmcnt(0)
	v_lshrrev_b32_e32 v48, 16, v46
	v_and_b32_e32 v46, 0xffff, v46
	v_fmac_f32_e32 v57, v50, v51
	;;#ASMSTART
	v_cvt_f32_f16 v46, v46;
	;;#ASMEND
	;;#ASMSTART
	v_cvt_f32_f16 v48, v48;
	;;#ASMEND
	;;#ASMSTART
	v_cvt_f32_f16 v50, v44;
	;;#ASMEND
	v_lshrrev_b32_e32 v44, 16, v47
	v_and_b32_e32 v47, 0xffff, v47
	;;#ASMSTART
	v_cvt_f32_f16 v49, v49;
	;;#ASMEND
	;; [unrolled: 38-line block ×20, first 2 shown]
	;;#ASMSTART
	v_cvt_f32_f16 v11, v11;
	;;#ASMEND
	;;#ASMSTART
	v_cvt_f32_f16 v15, v8;
	;;#ASMEND
	v_lshrrev_b32_e32 v8, 16, v9
	v_and_b32_e32 v9, 0xffff, v9
	v_fmac_f32_e32 v59, v17, v19
	;;#ASMSTART
	v_cvt_f32_f16 v16, v9;
	;;#ASMEND
	;;#ASMSTART
	v_cvt_f32_f16 v17, v8;
	;;#ASMEND
	ds_read_b64 v[8:9], v73 offset:248
	v_fmac_f32_e32 v56, v10, v14
	v_fmac_f32_e32 v58, v11, v16
	s_waitcnt vmcnt(0)
	v_lshrrev_b32_e32 v11, 16, v4
	v_and_b32_e32 v4, 0xffff, v4
	s_waitcnt lgkmcnt(0)
	v_lshrrev_b32_e32 v10, 16, v8
	v_and_b32_e32 v8, 0xffff, v8
	;;#ASMSTART
	v_cvt_f32_f16 v8, v8;
	;;#ASMEND
	;;#ASMSTART
	v_cvt_f32_f16 v10, v10;
	;;#ASMEND
	;; [unrolled: 3-line block ×3, first 2 shown]
	v_fmac_f32_e32 v57, v12, v13
	v_fmac_f32_e32 v56, v8, v4
	v_lshrrev_b32_e32 v4, 16, v9
	v_and_b32_e32 v8, 0xffff, v9
	v_fmac_f32_e32 v59, v15, v17
	;;#ASMSTART
	v_cvt_f32_f16 v11, v11;
	;;#ASMEND
	v_fmac_f32_e32 v57, v10, v11
	;;#ASMSTART
	v_cvt_f32_f16 v8, v8;
	;;#ASMEND
	;;#ASMSTART
	v_cvt_f32_f16 v4, v4;
	;;#ASMEND
	v_lshrrev_b32_e32 v9, 16, v5
	v_and_b32_e32 v5, 0xffff, v5
	;;#ASMSTART
	v_cvt_f32_f16 v5, v5;
	;;#ASMEND
	;;#ASMSTART
	v_cvt_f32_f16 v9, v9;
	;;#ASMEND
	v_fmac_f32_e32 v58, v8, v5
	v_fmac_f32_e32 v59, v4, v9
	v_add_f32_e32 v4, v56, v57
	v_add_f32_e32 v4, v4, v58
	v_cndmask_b32_e64 v5, v69, v76, s[10:11]
	v_add_f32_e32 v4, v59, v4
	v_lshlrev_b32_e32 v5, 2, v5
	ds_bpermute_b32 v5, v5, v4
	s_and_saveexec_b64 s[40:41], vcc
	s_cbranch_execz .LBB125_9
; %bb.11:                               ;   in Loop: Header=BB125_10 Depth=1
	v_add_u32_e32 v8, s19, v74
	v_cvt_f32_i32_e32 v8, v8
	s_waitcnt lgkmcnt(0)
	v_add_f32_e32 v4, v4, v5
	v_cmp_gt_i32_e64 s[10:11], s27, v74
	v_max_f32_e32 v5, v1, v1
	v_mul_f32_e32 v8, s12, v8
	v_cndmask_b32_e64 v8, 0, v8, s[4:5]
	v_fmac_f32_e32 v8, s13, v4
	v_cndmask_b32_e64 v4, 0, v8, s[10:11]
	ds_write_b32 v75, v4
	v_max_f32_e32 v4, v5, v8
	v_cndmask_b32_e64 v1, v1, v4, s[10:11]
	s_branch .LBB125_9
.LBB125_12:
	s_or_b64 exec, exec, s[38:39]
.LBB125_13:
	s_or_b64 exec, exec, s[36:37]
	v_xor_b32_e32 v2, 32, v69
	v_cmp_lt_i32_e32 vcc, v2, v70
	v_cndmask_b32_e32 v2, v69, v2, vcc
	v_lshlrev_b32_e32 v2, 2, v2
	ds_bpermute_b32 v3, v2, v1
	v_xor_b32_e32 v4, 16, v69
	v_max_f32_e32 v1, v1, v1
	v_cmp_lt_i32_e32 vcc, v4, v70
	s_waitcnt lgkmcnt(0)
	v_xor_b32_e32 v5, 8, v69
	v_max_f32_e32 v3, v3, v3
	v_max_f32_e32 v1, v1, v3
	v_cndmask_b32_e32 v3, v69, v4, vcc
	v_lshlrev_b32_e32 v3, 2, v3
	ds_bpermute_b32 v4, v3, v1
	v_cmp_lt_i32_e32 vcc, v5, v70
	v_xor_b32_e32 v8, 4, v69
	v_xor_b32_e32 v9, 2, v69
	s_waitcnt lgkmcnt(0)
	v_max_f32_e32 v4, v4, v4
	v_max_f32_e32 v1, v1, v4
	v_cndmask_b32_e32 v4, v69, v5, vcc
	v_lshlrev_b32_e32 v5, 2, v4
	ds_bpermute_b32 v4, v5, v1
	v_cmp_lt_i32_e32 vcc, v8, v70
	s_waitcnt lgkmcnt(0)
	v_max_f32_e32 v4, v4, v4
	v_max_f32_e32 v1, v1, v4
	v_cndmask_b32_e32 v4, v69, v8, vcc
	v_lshlrev_b32_e32 v8, 2, v4
	ds_bpermute_b32 v4, v8, v1
	v_cmp_lt_i32_e32 vcc, v9, v70
	s_waitcnt lgkmcnt(0)
	v_max_f32_e32 v4, v4, v4
	v_max_f32_e32 v4, v1, v4
	v_cndmask_b32_e32 v1, v69, v9, vcc
	v_lshlrev_b32_e32 v28, 2, v1
	ds_bpermute_b32 v10, v28, v4
	v_and_b32_e32 v1, 63, v0
	v_cmp_eq_u32_e32 vcc, 0, v1
	v_lshlrev_b32_e32 v9, 2, v67
	s_and_saveexec_b64 s[4:5], vcc
	s_cbranch_execz .LBB125_15
; %bb.14:
	s_waitcnt lgkmcnt(0)
	v_max_f32_e32 v10, v10, v10
	v_max_f32_e32 v4, v4, v4
	;; [unrolled: 1-line block ×3, first 2 shown]
	ds_write_b32 v9, v4 offset:512
.LBB125_15:
	s_or_b64 exec, exec, s[4:5]
	v_cmp_gt_u32_e64 s[4:5], 2, v1
	v_mov_b32_e32 v4, 0xff7fffff
	s_waitcnt lgkmcnt(0)
	v_lshlrev_b32_e32 v10, 2, v1
	s_barrier
	s_and_saveexec_b64 s[10:11], s[4:5]
	s_cbranch_execz .LBB125_17
; %bb.16:
	ds_read_b32 v4, v10 offset:512
.LBB125_17:
	s_or_b64 exec, exec, s[10:11]
	v_xor_b32_e32 v11, 1, v69
	v_cmp_lt_i32_e64 s[10:11], v11, v70
	v_cndmask_b32_e64 v11, v69, v11, s[10:11]
	v_lshlrev_b32_e32 v29, 2, v11
	s_waitcnt lgkmcnt(0)
	ds_bpermute_b32 v11, v29, v4
	v_max_f32_e32 v4, v4, v4
	s_sub_i32 s7, s16, s7
	s_lshl_b32 s7, s7, 5
	s_add_i32 s7, s7, s33
	s_waitcnt lgkmcnt(0)
	v_max_f32_e32 v11, v11, v11
	v_max_f32_e32 v4, v4, v11
	v_lshlrev_b32_e32 v11, 2, v69
	v_and_b32_e32 v11, 0xffffff00, v11
	ds_bpermute_b32 v4, v11, v4
	s_min_i32 s19, s7, s27
	s_sub_i32 s7, s19, s33
	v_cmp_gt_i32_e64 s[10:11], s7, v0
	v_mov_b32_e32 v12, 0
	s_and_saveexec_b64 s[36:37], s[10:11]
	s_cbranch_execz .LBB125_21
; %bb.18:
	v_mov_b32_e32 v12, 0x210
	v_lshl_add_u32 v13, v0, 2, v12
	s_mov_b64 s[38:39], 0
	v_mov_b32_e32 v12, 0
	v_mov_b32_e32 v14, v0
.LBB125_19:                             ; =>This Inner Loop Header: Depth=1
	ds_read_b32 v15, v13
	v_add_u32_e32 v14, 0x80, v14
	v_cmp_le_i32_e64 s[12:13], s7, v14
	s_or_b64 s[38:39], s[12:13], s[38:39]
	s_waitcnt lgkmcnt(0)
	v_sub_f32_e32 v15, v15, v4
	v_mul_f32_e32 v15, 0x3fb8aa3b, v15
	v_exp_f32_e32 v15, v15
	ds_write_b32 v13, v15
	v_add_f32_e32 v12, v12, v15
	v_add_u32_e32 v13, 0x200, v13
	s_andn2_b64 exec, exec, s[38:39]
	s_cbranch_execnz .LBB125_19
; %bb.20:
	s_or_b64 exec, exec, s[38:39]
.LBB125_21:
	s_or_b64 exec, exec, s[36:37]
	ds_bpermute_b32 v2, v2, v12
	s_waitcnt lgkmcnt(0)
	v_add_f32_e32 v2, v12, v2
	ds_bpermute_b32 v3, v3, v2
	s_waitcnt lgkmcnt(0)
	v_add_f32_e32 v2, v2, v3
	;; [unrolled: 3-line block ×6, first 2 shown]
	s_and_saveexec_b64 s[12:13], vcc
	s_cbranch_execz .LBB125_23
; %bb.22:
	ds_write_b32 v9, v2 offset:520
.LBB125_23:
	s_or_b64 exec, exec, s[12:13]
	s_waitcnt lgkmcnt(0)
	s_barrier
	s_and_saveexec_b64 s[12:13], s[4:5]
	s_cbranch_execz .LBB125_25
; %bb.24:
	ds_read_b32 v2, v10 offset:520
.LBB125_25:
	s_or_b64 exec, exec, s[12:13]
	s_waitcnt lgkmcnt(0)
	ds_bpermute_b32 v3, v29, v2
	s_waitcnt lgkmcnt(0)
	v_add_f32_e32 v2, v2, v3
	ds_bpermute_b32 v5, v11, v2
	s_and_saveexec_b64 s[4:5], s[10:11]
	s_cbranch_execz .LBB125_38
; %bb.26:
	s_waitcnt lgkmcnt(0)
	v_add_f32_e32 v2, 0x358637bd, v5
	v_div_scale_f32 v3, s[10:11], v2, v2, 1.0
	v_rcp_f32_e32 v8, v3
	v_div_scale_f32 v9, vcc, 1.0, v2, 1.0
	s_movk_i32 s10, 0x7f
	v_fma_f32 v10, -v3, v8, 1.0
	v_fmac_f32_e32 v8, v10, v8
	v_mul_f32_e32 v10, v9, v8
	v_fma_f32 v11, -v3, v10, v9
	v_fmac_f32_e32 v10, v11, v8
	v_fma_f32 v3, -v3, v10, v9
	v_div_fmas_f32 v3, v3, v8, v10
	v_div_fixup_f32 v2, v3, v2, 1.0
	v_xad_u32 v3, v0, -1, s19
	v_subrev_u32_e32 v8, s33, v3
	v_cmp_lt_u32_e32 vcc, s10, v8
	s_mov_b64 s[12:13], -1
	v_mov_b32_e32 v3, v0
	s_and_saveexec_b64 s[10:11], vcc
	s_cbranch_execz .LBB125_35
; %bb.27:
	v_lshrrev_b32_e32 v8, 7, v8
	v_add_u32_e32 v10, -1, v8
	v_lshrrev_b32_e32 v9, 1, v10
	v_mov_b32_e32 v3, v2
	v_add_u32_e32 v9, 1, v9
	v_cmp_lt_u32_e32 vcc, 13, v10
	v_mov_b32_e32 v12, 0
	s_and_saveexec_b64 s[12:13], vcc
	s_cbranch_execz .LBB125_31
; %bb.28:
	v_mov_b32_e32 v11, 0x210
	v_and_b32_e32 v10, -8, v9
	v_lshl_add_u32 v11, v0, 2, v11
	s_mov_b32 s19, 0
	s_mov_b64 s[36:37], 0
.LBB125_29:                             ; =>This Inner Loop Header: Depth=1
	ds_read2st64_b32 v[12:13], v11 offset1:2
	ds_read2st64_b32 v[14:15], v11 offset0:4 offset1:6
	ds_read2st64_b32 v[16:17], v11 offset0:8 offset1:10
	;; [unrolled: 1-line block ×3, first 2 shown]
	v_add_u32_e32 v10, -8, v10
	s_waitcnt lgkmcnt(3)
	v_pk_mul_f32 v[12:13], v[2:3], v[12:13]
	s_waitcnt lgkmcnt(2)
	v_pk_mul_f32 v[14:15], v[2:3], v[14:15]
	ds_write2st64_b32 v11, v12, v13 offset1:2
	ds_write2st64_b32 v11, v14, v15 offset0:4 offset1:6
	ds_read2st64_b32 v[14:15], v11 offset0:16 offset1:18
	s_waitcnt lgkmcnt(4)
	v_pk_mul_f32 v[12:13], v[2:3], v[16:17]
	ds_write2st64_b32 v11, v12, v13 offset0:8 offset1:10
	s_waitcnt lgkmcnt(4)
	v_pk_mul_f32 v[12:13], v[2:3], v[18:19]
	ds_write2st64_b32 v11, v12, v13 offset0:12 offset1:14
	ds_read2st64_b32 v[12:13], v11 offset0:20 offset1:22
	s_waitcnt lgkmcnt(3)
	v_pk_mul_f32 v[14:15], v[2:3], v[14:15]
	ds_read2st64_b32 v[16:17], v11 offset0:24 offset1:26
	ds_write2st64_b32 v11, v14, v15 offset0:16 offset1:18
	ds_read2st64_b32 v[14:15], v11 offset0:28 offset1:30
	s_waitcnt lgkmcnt(3)
	v_pk_mul_f32 v[12:13], v[2:3], v[12:13]
	ds_write2st64_b32 v11, v12, v13 offset0:20 offset1:22
	s_waitcnt lgkmcnt(3)
	v_pk_mul_f32 v[12:13], v[2:3], v[16:17]
	ds_write2st64_b32 v11, v12, v13 offset0:24 offset1:26
	s_waitcnt lgkmcnt(2)
	v_pk_mul_f32 v[12:13], v[2:3], v[14:15]
	s_add_i32 s19, s19, 16
	v_cmp_eq_u32_e32 vcc, 0, v10
	ds_write2st64_b32 v11, v12, v13 offset0:28 offset1:30
	v_add_u32_e32 v11, 0x2000, v11
	s_or_b64 s[36:37], vcc, s[36:37]
	v_mov_b32_e32 v12, s19
	s_andn2_b64 exec, exec, s[36:37]
	s_cbranch_execnz .LBB125_29
; %bb.30:
	s_or_b64 exec, exec, s[36:37]
.LBB125_31:
	s_or_b64 exec, exec, s[12:13]
	v_and_b32_e32 v9, 7, v9
	v_cmp_ne_u32_e32 vcc, 0, v9
	s_and_saveexec_b64 s[12:13], vcc
	s_cbranch_execz .LBB125_34
; %bb.32:
	v_lshlrev_b32_e32 v10, 9, v12
	v_lshlrev_b32_e32 v11, 2, v0
	s_movk_i32 s19, 0x210
	v_add3_u32 v10, v10, v11, s19
	s_mov_b64 s[36:37], 0
.LBB125_33:                             ; =>This Inner Loop Header: Depth=1
	ds_read2st64_b32 v[12:13], v10 offset1:2
	v_add_u32_e32 v9, -1, v9
	v_cmp_eq_u32_e32 vcc, 0, v9
	s_or_b64 s[36:37], vcc, s[36:37]
	s_waitcnt lgkmcnt(0)
	v_pk_mul_f32 v[12:13], v[2:3], v[12:13]
	ds_write2st64_b32 v10, v12, v13 offset1:2
	v_add_u32_e32 v10, 0x400, v10
	s_andn2_b64 exec, exec, s[36:37]
	s_cbranch_execnz .LBB125_33
.LBB125_34:
	s_or_b64 exec, exec, s[12:13]
	v_add_u32_e32 v8, 1, v8
	v_and_b32_e32 v9, 0x3fffffe, v8
	v_cmp_ne_u32_e32 vcc, v8, v9
	v_lshl_add_u32 v3, v9, 7, v0
	s_orn2_b64 s[12:13], vcc, exec
.LBB125_35:
	s_or_b64 exec, exec, s[10:11]
	s_and_b64 exec, exec, s[12:13]
	s_cbranch_execz .LBB125_38
; %bb.36:
	v_mov_b32_e32 v8, 0x210
	v_lshl_add_u32 v8, v3, 2, v8
	s_mov_b64 s[10:11], 0
.LBB125_37:                             ; =>This Inner Loop Header: Depth=1
	ds_read_b32 v9, v8
	v_add_u32_e32 v3, 0x80, v3
	v_cmp_le_i32_e32 vcc, s7, v3
	s_or_b64 s[10:11], vcc, s[10:11]
	s_waitcnt lgkmcnt(0)
	v_mul_f32_e32 v9, v2, v9
	ds_write_b32 v8, v9
	v_add_u32_e32 v8, 0x200, v8
	s_andn2_b64 exec, exec, s[10:11]
	s_cbranch_execnz .LBB125_37
.LBB125_38:
	s_or_b64 exec, exec, s[4:5]
	s_mul_i32 s4, s15, s26
	v_cmp_eq_u32_e32 vcc, 0, v0
	s_mul_i32 s4, s4, s9
	s_waitcnt lgkmcnt(0)
	s_barrier
	s_and_saveexec_b64 s[10:11], vcc
	s_cbranch_execz .LBB125_40
; %bb.39:
	s_ashr_i32 s5, s4, 31
	s_lshl_b64 s[12:13], s[4:5], 2
	s_add_u32 s5, s22, s12
	s_mul_i32 s6, s15, s6
	s_addc_u32 s9, s23, s13
	s_ashr_i32 s7, s6, 31
	s_lshl_b64 s[6:7], s[6:7], 2
	s_add_u32 s5, s5, s6
	s_addc_u32 s19, s9, s7
	s_ashr_i32 s9, s8, 31
	s_lshl_b64 s[22:23], s[8:9], 2
	s_add_u32 s36, s5, s22
	s_addc_u32 s37, s19, s23
	s_add_u32 s5, s20, s12
	s_addc_u32 s9, s21, s13
	;; [unrolled: 2-line block ×3, first 2 shown]
	s_add_u32 s6, s5, s22
	v_mov_b32_e32 v2, 0
	s_addc_u32 s7, s7, s23
	global_store_dword v2, v4, s[36:37]
	global_store_dword v2, v5, s[6:7]
.LBB125_40:
	s_or_b64 exec, exec, s[10:11]
	v_mov_b32_e32 v22, 0
	v_and_b32_e32 v30, 3, v0
	v_mov_b32_e32 v23, 0
	v_mov_b32_e32 v20, 0
	;; [unrolled: 1-line block ×15, first 2 shown]
	s_and_saveexec_b64 s[6:7], s[2:3]
	s_cbranch_execz .LBB125_76
; %bb.41:
	s_ashr_i32 s19, s18, 31
	s_lshl_b64 s[2:3], s[18:19], 1
	s_add_u32 s9, s34, s2
	v_and_b32_e32 v3, 24, v66
	s_addc_u32 s12, s35, s3
	s_add_i32 s42, s42, -1
	s_lshl_b64 s[2:3], s[30:31], 2
	v_add3_u32 v31, s33, v68, v3
	v_lshlrev_b32_e32 v3, 5, v30
	s_add_u32 s2, s28, s2
	v_and_b32_e32 v2, 0x1f8, v66
	v_lshl_or_b32 v3, v67, 7, v3
	v_lshlrev_b64 v[24:25], 2, v[6:7]
	s_addc_u32 s3, s29, s3
	v_mov_b32_e32 v9, 0
	v_or_b32_e32 v4, 0x800, v2
	v_or_b32_e32 v8, 0xa00, v2
	;; [unrolled: 1-line block ×12, first 2 shown]
	v_add_u32_e32 v32, 0x210, v3
	v_mov_b32_e32 v3, s3
	v_add_co_u32_e32 v24, vcc, s2, v24
	s_mov_b32 s5, s17
	s_mov_b32 s17, s27
	;; [unrolled: 1-line block ×8, first 2 shown]
	v_addc_co_u32_e32 v25, vcc, v3, v25, vcc
	s_mov_b64 s[10:11], 0
	v_lshlrev_b32_e32 v7, 1, v2
	s_mov_b32 s26, 0x5040100
	v_lshlrev_b32_e32 v33, 1, v4
	v_lshlrev_b32_e32 v34, 1, v8
	;; [unrolled: 1-line block ×12, first 2 shown]
	v_mov_b32_e32 v45, s12
	v_mov_b32_e32 v8, v9
	;; [unrolled: 1-line block ×16, first 2 shown]
	s_branch .LBB125_43
.LBB125_42:                             ;   in Loop: Header=BB125_43 Depth=1
	s_or_b64 exec, exec, s[2:3]
	v_add_f32_e32 v46, v85, v86
	v_add_f32_e32 v8, v8, v46
	;; [unrolled: 1-line block ×9, first 2 shown]
	s_waitcnt vmcnt(0)
	;;#ASMSTART
	v_pk_mul_f16 v2, v52, v2;

	;;#ASMEND
	v_add_f32_e32 v12, v12, v46
	v_add_f32_e32 v46, v75, v76
	;;#ASMSTART
	v_pk_mul_f16 v3, v51, v3;

	;;#ASMEND
	;;#ASMSTART
	v_pk_mul_f16 v4, v50, v4;

	;;#ASMEND
	;; [unrolled: 4-line block ×3, first 2 shown]
	;;#ASMSTART
	v_pk_add_f16 v2, v2, v3;

	;;#ASMEND
	v_add_f32_e32 v15, v15, v46
	v_add_f32_e32 v46, v73, v74
	;;#ASMSTART
	v_pk_add_f16 v2, v2, v4;

	;;#ASMEND
	v_add_f32_e32 v14, v14, v46
	v_add_f32_e32 v46, v71, v72
	;; [unrolled: 1-line block ×3, first 2 shown]
	;;#ASMSTART
	v_pk_add_f16 v2, v2, v5;

	;;#ASMEND
	v_add_f32_e32 v17, v17, v46
	v_add_f32_e32 v46, v69, v70
	;; [unrolled: 1-line block ×4, first 2 shown]
	v_lshrrev_b32_e32 v3, 16, v2
	v_and_b32_e32 v2, 0xffff, v2
	v_add_u32_e32 v6, 2, v6
	v_add_f32_e32 v16, v16, v46
	v_add_f32_e32 v46, v67, v68
	;; [unrolled: 1-line block ×4, first 2 shown]
	;;#ASMSTART
	v_cvt_f32_f16 v2, v2;
	;;#ASMEND
	v_cmp_le_i32_e32 vcc, s16, v6
	v_add_f32_e32 v19, v19, v46
	v_add_f32_e32 v46, v65, v66
	;; [unrolled: 1-line block ×4, first 2 shown]
	;;#ASMSTART
	v_cvt_f32_f16 v3, v3;
	;;#ASMEND
	v_add_f32_e32 v2, v2, v3
	s_or_b64 s[10:11], vcc, s[10:11]
	v_add_co_u32_e32 v24, vcc, 8, v24
	v_add_f32_e32 v18, v18, v46
	v_add_f32_e32 v22, v22, v26
	;; [unrolled: 1-line block ×3, first 2 shown]
	v_add_u32_e32 v31, 64, v31
	v_add_u32_e32 v32, 0x100, v32
	v_addc_co_u32_e32 v25, vcc, 0, v25, vcc
	s_andn2_b64 exec, exec, s[10:11]
	s_cbranch_execz .LBB125_75
.LBB125_43:                             ; =>This Inner Loop Header: Depth=1
	global_load_dword v26, v[24:25], off
	ds_read2_b64 v[2:5], v32 offset1:1
	ds_read2_b64 v[52:55], v32 offset0:2 offset1:3
	v_add_u32_e32 v46, 1, v31
	v_or_b32_e32 v49, 3, v31
	s_waitcnt lgkmcnt(1)
	;;#ASMSTART
	v_cvt_f16_f32 v48, v2;

	;;#ASMEND
	;;#ASMSTART
	v_cvt_f16_f32 v50, v3;

	;;#ASMEND
	;; [unrolled: 4-line block ×4, first 2 shown]
	s_waitcnt lgkmcnt(0)
	;;#ASMSTART
	v_cvt_f16_f32 v60, v52;

	;;#ASMEND
	;;#ASMSTART
	v_cvt_f16_f32 v61, v53;

	;;#ASMEND
	;; [unrolled: 4-line block ×4, first 2 shown]
	v_or_b32_e32 v47, 2, v31
	v_or_b32_e32 v54, 5, v31
	;; [unrolled: 1-line block ×5, first 2 shown]
	s_waitcnt vmcnt(0)
	v_mad_i64_i32 v[2:3], s[2:3], v26, s5, 0
	v_lshlrev_b64 v[2:3], 1, v[2:3]
	v_add_co_u32_e32 v57, vcc, s9, v2
	v_addc_co_u32_e32 v58, vcc, v45, v3, vcc
	v_add_co_u32_e32 v26, vcc, v57, v7
	v_addc_co_u32_e32 v27, vcc, 0, v58, vcc
	global_load_dwordx4 v[2:5], v[26:27], off
	v_cmp_eq_u32_e32 vcc, s42, v6
	s_and_saveexec_b64 s[12:13], vcc
	s_cbranch_execz .LBB125_45
; %bb.44:                               ;   in Loop: Header=BB125_43 Depth=1
	s_waitcnt vmcnt(0)
	v_lshrrev_b32_e32 v52, 16, v5
	v_cmp_gt_i32_e64 s[2:3], s23, v56
	v_cndmask_b32_e64 v52, 0, v52, s[2:3]
	v_cmp_gt_i32_e64 s[2:3], s22, v55
	v_cndmask_b32_e64 v5, 0, v5, s[2:3]
	v_perm_b32 v5, v52, v5, s26
	v_lshrrev_b32_e32 v52, 16, v4
	v_cmp_gt_i32_e64 s[2:3], s21, v54
	v_cndmask_b32_e64 v52, 0, v52, s[2:3]
	v_cmp_gt_i32_e64 s[2:3], s20, v53
	v_cndmask_b32_e64 v4, 0, v4, s[2:3]
	v_perm_b32 v4, v52, v4, s26
	v_lshrrev_b32_e32 v52, 16, v3
	v_cmp_gt_i32_e64 s[2:3], s19, v49
	v_cndmask_b32_e64 v52, 0, v52, s[2:3]
	v_cmp_gt_i32_e64 s[2:3], s18, v47
	v_cndmask_b32_e64 v3, 0, v3, s[2:3]
	v_perm_b32 v3, v52, v3, s26
	v_lshrrev_b32_e32 v52, 16, v2
	v_cmp_gt_i32_e64 s[2:3], s17, v46
	v_cndmask_b32_e64 v52, 0, v52, s[2:3]
	v_cmp_gt_i32_e64 s[2:3], s27, v31
	v_cndmask_b32_e64 v2, 0, v2, s[2:3]
	v_perm_b32 v2, v52, v2, s26
.LBB125_45:                             ;   in Loop: Header=BB125_43 Depth=1
	s_or_b64 exec, exec, s[12:13]
	v_and_b32_e32 v48, 0xffff, v48
	v_lshl_or_b32 v52, v50, 16, v48
	v_and_b32_e32 v48, 0xffff, v51
	v_lshl_or_b32 v51, v59, 16, v48
	;; [unrolled: 2-line block ×3, first 2 shown]
	v_and_b32_e32 v48, 0xffff, v62
	s_waitcnt vmcnt(0)
	;;#ASMSTART
	v_pk_mul_f16 v2, v52, v2;

	;;#ASMEND
	v_lshl_or_b32 v48, v63, 16, v48
	;;#ASMSTART
	v_pk_mul_f16 v3, v51, v3;

	;;#ASMEND
	;;#ASMSTART
	v_pk_mul_f16 v4, v50, v4;

	;;#ASMEND
	;; [unrolled: 4-line block ×3, first 2 shown]
	;;#ASMSTART
	v_pk_add_f16 v2, v2, v3;

	;;#ASMEND
	;;#ASMSTART
	v_pk_add_f16 v2, v2, v4;

	;;#ASMEND
	;; [unrolled: 4-line block ×3, first 2 shown]
	v_lshrrev_b32_e32 v3, 16, v2
	v_and_b32_e32 v2, 0xffff, v2
	;;#ASMSTART
	v_cvt_f32_f16 v59, v2;
	;;#ASMEND
	;;#ASMSTART
	v_cvt_f32_f16 v60, v3;
	;;#ASMEND
	global_load_dwordx4 v[2:5], v[26:27], off offset:1024
	s_and_saveexec_b64 s[12:13], vcc
	s_cbranch_execz .LBB125_47
; %bb.46:                               ;   in Loop: Header=BB125_43 Depth=1
	s_waitcnt vmcnt(0)
	v_lshrrev_b32_e32 v61, 16, v5
	v_cmp_gt_i32_e64 s[2:3], s23, v56
	v_cndmask_b32_e64 v61, 0, v61, s[2:3]
	v_cmp_gt_i32_e64 s[2:3], s22, v55
	v_cndmask_b32_e64 v5, 0, v5, s[2:3]
	v_perm_b32 v5, v61, v5, s26
	v_lshrrev_b32_e32 v61, 16, v4
	v_cmp_gt_i32_e64 s[2:3], s21, v54
	v_cndmask_b32_e64 v61, 0, v61, s[2:3]
	v_cmp_gt_i32_e64 s[2:3], s20, v53
	v_cndmask_b32_e64 v4, 0, v4, s[2:3]
	v_perm_b32 v4, v61, v4, s26
	;; [unrolled: 6-line block ×4, first 2 shown]
.LBB125_47:                             ;   in Loop: Header=BB125_43 Depth=1
	s_or_b64 exec, exec, s[12:13]
	s_waitcnt vmcnt(0)
	;;#ASMSTART
	v_pk_mul_f16 v2, v52, v2;

	;;#ASMEND
	;;#ASMSTART
	v_pk_mul_f16 v3, v51, v3;

	;;#ASMEND
	;; [unrolled: 4-line block ×4, first 2 shown]
	;;#ASMSTART
	v_pk_add_f16 v2, v2, v3;

	;;#ASMEND
	;;#ASMSTART
	v_pk_add_f16 v2, v2, v4;

	;;#ASMEND
	;; [unrolled: 4-line block ×3, first 2 shown]
	v_lshrrev_b32_e32 v3, 16, v2
	v_and_b32_e32 v2, 0xffff, v2
	;;#ASMSTART
	v_cvt_f32_f16 v61, v2;
	;;#ASMEND
	;;#ASMSTART
	v_cvt_f32_f16 v62, v3;
	;;#ASMEND
	global_load_dwordx4 v[2:5], v[26:27], off offset:2048
	s_and_saveexec_b64 s[12:13], vcc
	s_cbranch_execz .LBB125_49
; %bb.48:                               ;   in Loop: Header=BB125_43 Depth=1
	s_waitcnt vmcnt(0)
	v_lshrrev_b32_e32 v63, 16, v5
	v_cmp_gt_i32_e64 s[2:3], s23, v56
	v_cndmask_b32_e64 v63, 0, v63, s[2:3]
	v_cmp_gt_i32_e64 s[2:3], s22, v55
	v_cndmask_b32_e64 v5, 0, v5, s[2:3]
	v_perm_b32 v5, v63, v5, s26
	v_lshrrev_b32_e32 v63, 16, v4
	v_cmp_gt_i32_e64 s[2:3], s21, v54
	v_cndmask_b32_e64 v63, 0, v63, s[2:3]
	v_cmp_gt_i32_e64 s[2:3], s20, v53
	v_cndmask_b32_e64 v4, 0, v4, s[2:3]
	v_perm_b32 v4, v63, v4, s26
	;; [unrolled: 6-line block ×4, first 2 shown]
.LBB125_49:                             ;   in Loop: Header=BB125_43 Depth=1
	s_or_b64 exec, exec, s[12:13]
	s_waitcnt vmcnt(0)
	;;#ASMSTART
	v_pk_mul_f16 v2, v52, v2;

	;;#ASMEND
	;;#ASMSTART
	v_pk_mul_f16 v3, v51, v3;

	;;#ASMEND
	;; [unrolled: 4-line block ×4, first 2 shown]
	;;#ASMSTART
	v_pk_add_f16 v2, v2, v3;

	;;#ASMEND
	;;#ASMSTART
	v_pk_add_f16 v2, v2, v4;

	;;#ASMEND
	;; [unrolled: 4-line block ×3, first 2 shown]
	v_lshrrev_b32_e32 v3, 16, v2
	v_and_b32_e32 v2, 0xffff, v2
	;;#ASMSTART
	v_cvt_f32_f16 v63, v2;
	;;#ASMEND
	;;#ASMSTART
	v_cvt_f32_f16 v64, v3;
	;;#ASMEND
	global_load_dwordx4 v[2:5], v[26:27], off offset:3072
	s_and_saveexec_b64 s[12:13], vcc
	s_cbranch_execz .LBB125_51
; %bb.50:                               ;   in Loop: Header=BB125_43 Depth=1
	s_waitcnt vmcnt(0)
	v_lshrrev_b32_e32 v26, 16, v5
	v_cmp_gt_i32_e64 s[2:3], s23, v56
	v_cndmask_b32_e64 v26, 0, v26, s[2:3]
	v_cmp_gt_i32_e64 s[2:3], s22, v55
	v_cndmask_b32_e64 v5, 0, v5, s[2:3]
	v_perm_b32 v5, v26, v5, s26
	v_lshrrev_b32_e32 v26, 16, v4
	v_cmp_gt_i32_e64 s[2:3], s21, v54
	v_cndmask_b32_e64 v26, 0, v26, s[2:3]
	v_cmp_gt_i32_e64 s[2:3], s20, v53
	v_cndmask_b32_e64 v4, 0, v4, s[2:3]
	v_perm_b32 v4, v26, v4, s26
	;; [unrolled: 6-line block ×4, first 2 shown]
.LBB125_51:                             ;   in Loop: Header=BB125_43 Depth=1
	s_or_b64 exec, exec, s[12:13]
	s_waitcnt vmcnt(0)
	;;#ASMSTART
	v_pk_mul_f16 v2, v52, v2;

	;;#ASMEND
	;;#ASMSTART
	v_pk_mul_f16 v3, v51, v3;

	;;#ASMEND
	;; [unrolled: 4-line block ×4, first 2 shown]
	;;#ASMSTART
	v_pk_add_f16 v2, v2, v3;

	;;#ASMEND
	;;#ASMSTART
	v_pk_add_f16 v2, v2, v4;

	;;#ASMEND
	;; [unrolled: 4-line block ×3, first 2 shown]
	v_lshrrev_b32_e32 v3, 16, v2
	v_and_b32_e32 v2, 0xffff, v2
	;;#ASMSTART
	v_cvt_f32_f16 v26, v2;
	;;#ASMEND
	v_add_co_u32_e64 v2, s[2:3], v57, v33
	;;#ASMSTART
	v_cvt_f32_f16 v27, v3;
	;;#ASMEND
	v_addc_co_u32_e64 v3, s[2:3], 0, v58, s[2:3]
	global_load_dwordx4 v[2:5], v[2:3], off
	s_and_saveexec_b64 s[12:13], vcc
	s_cbranch_execz .LBB125_53
; %bb.52:                               ;   in Loop: Header=BB125_43 Depth=1
	s_waitcnt vmcnt(0)
	v_lshrrev_b32_e32 v65, 16, v5
	v_cmp_gt_i32_e64 s[2:3], s23, v56
	v_cndmask_b32_e64 v65, 0, v65, s[2:3]
	v_cmp_gt_i32_e64 s[2:3], s22, v55
	v_cndmask_b32_e64 v5, 0, v5, s[2:3]
	v_perm_b32 v5, v65, v5, s26
	v_lshrrev_b32_e32 v65, 16, v4
	v_cmp_gt_i32_e64 s[2:3], s21, v54
	v_cndmask_b32_e64 v65, 0, v65, s[2:3]
	v_cmp_gt_i32_e64 s[2:3], s20, v53
	v_cndmask_b32_e64 v4, 0, v4, s[2:3]
	v_perm_b32 v4, v65, v4, s26
	;; [unrolled: 6-line block ×4, first 2 shown]
.LBB125_53:                             ;   in Loop: Header=BB125_43 Depth=1
	s_or_b64 exec, exec, s[12:13]
	s_waitcnt vmcnt(0)
	;;#ASMSTART
	v_pk_mul_f16 v2, v52, v2;

	;;#ASMEND
	;;#ASMSTART
	v_pk_mul_f16 v3, v51, v3;

	;;#ASMEND
	;; [unrolled: 4-line block ×4, first 2 shown]
	;;#ASMSTART
	v_pk_add_f16 v2, v2, v3;

	;;#ASMEND
	;;#ASMSTART
	v_pk_add_f16 v2, v2, v4;

	;;#ASMEND
	;; [unrolled: 4-line block ×3, first 2 shown]
	v_lshrrev_b32_e32 v3, 16, v2
	v_and_b32_e32 v2, 0xffff, v2
	;;#ASMSTART
	v_cvt_f32_f16 v65, v2;
	;;#ASMEND
	v_add_co_u32_e64 v2, s[2:3], v57, v34
	;;#ASMSTART
	v_cvt_f32_f16 v66, v3;
	;;#ASMEND
	v_addc_co_u32_e64 v3, s[2:3], 0, v58, s[2:3]
	global_load_dwordx4 v[2:5], v[2:3], off
	s_and_saveexec_b64 s[12:13], vcc
	s_cbranch_execz .LBB125_55
; %bb.54:                               ;   in Loop: Header=BB125_43 Depth=1
	s_waitcnt vmcnt(0)
	v_lshrrev_b32_e32 v67, 16, v5
	v_cmp_gt_i32_e64 s[2:3], s23, v56
	v_cndmask_b32_e64 v67, 0, v67, s[2:3]
	v_cmp_gt_i32_e64 s[2:3], s22, v55
	v_cndmask_b32_e64 v5, 0, v5, s[2:3]
	v_perm_b32 v5, v67, v5, s26
	v_lshrrev_b32_e32 v67, 16, v4
	v_cmp_gt_i32_e64 s[2:3], s21, v54
	v_cndmask_b32_e64 v67, 0, v67, s[2:3]
	v_cmp_gt_i32_e64 s[2:3], s20, v53
	v_cndmask_b32_e64 v4, 0, v4, s[2:3]
	v_perm_b32 v4, v67, v4, s26
	;; [unrolled: 6-line block ×4, first 2 shown]
.LBB125_55:                             ;   in Loop: Header=BB125_43 Depth=1
	s_or_b64 exec, exec, s[12:13]
	s_waitcnt vmcnt(0)
	;;#ASMSTART
	v_pk_mul_f16 v2, v52, v2;

	;;#ASMEND
	;;#ASMSTART
	v_pk_mul_f16 v3, v51, v3;

	;;#ASMEND
	;; [unrolled: 4-line block ×4, first 2 shown]
	;;#ASMSTART
	v_pk_add_f16 v2, v2, v3;

	;;#ASMEND
	;;#ASMSTART
	v_pk_add_f16 v2, v2, v4;

	;;#ASMEND
	;; [unrolled: 4-line block ×3, first 2 shown]
	v_lshrrev_b32_e32 v3, 16, v2
	v_and_b32_e32 v2, 0xffff, v2
	;;#ASMSTART
	v_cvt_f32_f16 v67, v2;
	;;#ASMEND
	v_add_co_u32_e64 v2, s[2:3], v57, v35
	;;#ASMSTART
	v_cvt_f32_f16 v68, v3;
	;;#ASMEND
	v_addc_co_u32_e64 v3, s[2:3], 0, v58, s[2:3]
	global_load_dwordx4 v[2:5], v[2:3], off
	s_and_saveexec_b64 s[12:13], vcc
	s_cbranch_execz .LBB125_57
; %bb.56:                               ;   in Loop: Header=BB125_43 Depth=1
	s_waitcnt vmcnt(0)
	v_lshrrev_b32_e32 v69, 16, v5
	v_cmp_gt_i32_e64 s[2:3], s23, v56
	v_cndmask_b32_e64 v69, 0, v69, s[2:3]
	v_cmp_gt_i32_e64 s[2:3], s22, v55
	v_cndmask_b32_e64 v5, 0, v5, s[2:3]
	v_perm_b32 v5, v69, v5, s26
	v_lshrrev_b32_e32 v69, 16, v4
	v_cmp_gt_i32_e64 s[2:3], s21, v54
	v_cndmask_b32_e64 v69, 0, v69, s[2:3]
	v_cmp_gt_i32_e64 s[2:3], s20, v53
	v_cndmask_b32_e64 v4, 0, v4, s[2:3]
	v_perm_b32 v4, v69, v4, s26
	;; [unrolled: 6-line block ×4, first 2 shown]
.LBB125_57:                             ;   in Loop: Header=BB125_43 Depth=1
	s_or_b64 exec, exec, s[12:13]
	s_waitcnt vmcnt(0)
	;;#ASMSTART
	v_pk_mul_f16 v2, v52, v2;

	;;#ASMEND
	;;#ASMSTART
	v_pk_mul_f16 v3, v51, v3;

	;;#ASMEND
	;; [unrolled: 4-line block ×4, first 2 shown]
	;;#ASMSTART
	v_pk_add_f16 v2, v2, v3;

	;;#ASMEND
	;;#ASMSTART
	v_pk_add_f16 v2, v2, v4;

	;;#ASMEND
	;; [unrolled: 4-line block ×3, first 2 shown]
	v_lshrrev_b32_e32 v3, 16, v2
	v_and_b32_e32 v2, 0xffff, v2
	;;#ASMSTART
	v_cvt_f32_f16 v69, v2;
	;;#ASMEND
	v_add_co_u32_e64 v2, s[2:3], v57, v36
	;;#ASMSTART
	v_cvt_f32_f16 v70, v3;
	;;#ASMEND
	v_addc_co_u32_e64 v3, s[2:3], 0, v58, s[2:3]
	global_load_dwordx4 v[2:5], v[2:3], off
	s_and_saveexec_b64 s[12:13], vcc
	s_cbranch_execz .LBB125_59
; %bb.58:                               ;   in Loop: Header=BB125_43 Depth=1
	s_waitcnt vmcnt(0)
	v_lshrrev_b32_e32 v71, 16, v5
	v_cmp_gt_i32_e64 s[2:3], s23, v56
	v_cndmask_b32_e64 v71, 0, v71, s[2:3]
	v_cmp_gt_i32_e64 s[2:3], s22, v55
	v_cndmask_b32_e64 v5, 0, v5, s[2:3]
	v_perm_b32 v5, v71, v5, s26
	v_lshrrev_b32_e32 v71, 16, v4
	v_cmp_gt_i32_e64 s[2:3], s21, v54
	v_cndmask_b32_e64 v71, 0, v71, s[2:3]
	v_cmp_gt_i32_e64 s[2:3], s20, v53
	v_cndmask_b32_e64 v4, 0, v4, s[2:3]
	v_perm_b32 v4, v71, v4, s26
	;; [unrolled: 6-line block ×4, first 2 shown]
.LBB125_59:                             ;   in Loop: Header=BB125_43 Depth=1
	s_or_b64 exec, exec, s[12:13]
	s_waitcnt vmcnt(0)
	;;#ASMSTART
	v_pk_mul_f16 v2, v52, v2;

	;;#ASMEND
	;;#ASMSTART
	v_pk_mul_f16 v3, v51, v3;

	;;#ASMEND
	;; [unrolled: 4-line block ×4, first 2 shown]
	;;#ASMSTART
	v_pk_add_f16 v2, v2, v3;

	;;#ASMEND
	;;#ASMSTART
	v_pk_add_f16 v2, v2, v4;

	;;#ASMEND
	;; [unrolled: 4-line block ×3, first 2 shown]
	v_lshrrev_b32_e32 v3, 16, v2
	v_and_b32_e32 v2, 0xffff, v2
	;;#ASMSTART
	v_cvt_f32_f16 v71, v2;
	;;#ASMEND
	v_add_co_u32_e64 v2, s[2:3], v57, v37
	;;#ASMSTART
	v_cvt_f32_f16 v72, v3;
	;;#ASMEND
	v_addc_co_u32_e64 v3, s[2:3], 0, v58, s[2:3]
	global_load_dwordx4 v[2:5], v[2:3], off
	s_and_saveexec_b64 s[12:13], vcc
	s_cbranch_execz .LBB125_61
; %bb.60:                               ;   in Loop: Header=BB125_43 Depth=1
	s_waitcnt vmcnt(0)
	v_lshrrev_b32_e32 v73, 16, v5
	v_cmp_gt_i32_e64 s[2:3], s23, v56
	v_cndmask_b32_e64 v73, 0, v73, s[2:3]
	v_cmp_gt_i32_e64 s[2:3], s22, v55
	v_cndmask_b32_e64 v5, 0, v5, s[2:3]
	v_perm_b32 v5, v73, v5, s26
	v_lshrrev_b32_e32 v73, 16, v4
	v_cmp_gt_i32_e64 s[2:3], s21, v54
	v_cndmask_b32_e64 v73, 0, v73, s[2:3]
	v_cmp_gt_i32_e64 s[2:3], s20, v53
	v_cndmask_b32_e64 v4, 0, v4, s[2:3]
	v_perm_b32 v4, v73, v4, s26
	;; [unrolled: 6-line block ×4, first 2 shown]
.LBB125_61:                             ;   in Loop: Header=BB125_43 Depth=1
	s_or_b64 exec, exec, s[12:13]
	s_waitcnt vmcnt(0)
	;;#ASMSTART
	v_pk_mul_f16 v2, v52, v2;

	;;#ASMEND
	;;#ASMSTART
	v_pk_mul_f16 v3, v51, v3;

	;;#ASMEND
	;; [unrolled: 4-line block ×4, first 2 shown]
	;;#ASMSTART
	v_pk_add_f16 v2, v2, v3;

	;;#ASMEND
	;;#ASMSTART
	v_pk_add_f16 v2, v2, v4;

	;;#ASMEND
	;; [unrolled: 4-line block ×3, first 2 shown]
	v_lshrrev_b32_e32 v3, 16, v2
	v_and_b32_e32 v2, 0xffff, v2
	;;#ASMSTART
	v_cvt_f32_f16 v73, v2;
	;;#ASMEND
	v_add_co_u32_e64 v2, s[2:3], v57, v38
	;;#ASMSTART
	v_cvt_f32_f16 v74, v3;
	;;#ASMEND
	v_addc_co_u32_e64 v3, s[2:3], 0, v58, s[2:3]
	global_load_dwordx4 v[2:5], v[2:3], off
	s_and_saveexec_b64 s[12:13], vcc
	s_cbranch_execz .LBB125_63
; %bb.62:                               ;   in Loop: Header=BB125_43 Depth=1
	s_waitcnt vmcnt(0)
	v_lshrrev_b32_e32 v75, 16, v5
	v_cmp_gt_i32_e64 s[2:3], s23, v56
	v_cndmask_b32_e64 v75, 0, v75, s[2:3]
	v_cmp_gt_i32_e64 s[2:3], s22, v55
	v_cndmask_b32_e64 v5, 0, v5, s[2:3]
	v_perm_b32 v5, v75, v5, s26
	v_lshrrev_b32_e32 v75, 16, v4
	v_cmp_gt_i32_e64 s[2:3], s21, v54
	v_cndmask_b32_e64 v75, 0, v75, s[2:3]
	v_cmp_gt_i32_e64 s[2:3], s20, v53
	v_cndmask_b32_e64 v4, 0, v4, s[2:3]
	v_perm_b32 v4, v75, v4, s26
	;; [unrolled: 6-line block ×4, first 2 shown]
.LBB125_63:                             ;   in Loop: Header=BB125_43 Depth=1
	s_or_b64 exec, exec, s[12:13]
	s_waitcnt vmcnt(0)
	;;#ASMSTART
	v_pk_mul_f16 v2, v52, v2;

	;;#ASMEND
	;;#ASMSTART
	v_pk_mul_f16 v3, v51, v3;

	;;#ASMEND
	;; [unrolled: 4-line block ×4, first 2 shown]
	;;#ASMSTART
	v_pk_add_f16 v2, v2, v3;

	;;#ASMEND
	;;#ASMSTART
	v_pk_add_f16 v2, v2, v4;

	;;#ASMEND
	;; [unrolled: 4-line block ×3, first 2 shown]
	v_lshrrev_b32_e32 v3, 16, v2
	v_and_b32_e32 v2, 0xffff, v2
	;;#ASMSTART
	v_cvt_f32_f16 v75, v2;
	;;#ASMEND
	v_add_co_u32_e64 v2, s[2:3], v57, v39
	;;#ASMSTART
	v_cvt_f32_f16 v76, v3;
	;;#ASMEND
	v_addc_co_u32_e64 v3, s[2:3], 0, v58, s[2:3]
	global_load_dwordx4 v[2:5], v[2:3], off
	s_and_saveexec_b64 s[12:13], vcc
	s_cbranch_execz .LBB125_65
; %bb.64:                               ;   in Loop: Header=BB125_43 Depth=1
	s_waitcnt vmcnt(0)
	v_lshrrev_b32_e32 v77, 16, v5
	v_cmp_gt_i32_e64 s[2:3], s23, v56
	v_cndmask_b32_e64 v77, 0, v77, s[2:3]
	v_cmp_gt_i32_e64 s[2:3], s22, v55
	v_cndmask_b32_e64 v5, 0, v5, s[2:3]
	v_perm_b32 v5, v77, v5, s26
	v_lshrrev_b32_e32 v77, 16, v4
	v_cmp_gt_i32_e64 s[2:3], s21, v54
	v_cndmask_b32_e64 v77, 0, v77, s[2:3]
	v_cmp_gt_i32_e64 s[2:3], s20, v53
	v_cndmask_b32_e64 v4, 0, v4, s[2:3]
	v_perm_b32 v4, v77, v4, s26
	;; [unrolled: 6-line block ×4, first 2 shown]
.LBB125_65:                             ;   in Loop: Header=BB125_43 Depth=1
	s_or_b64 exec, exec, s[12:13]
	s_waitcnt vmcnt(0)
	;;#ASMSTART
	v_pk_mul_f16 v2, v52, v2;

	;;#ASMEND
	;;#ASMSTART
	v_pk_mul_f16 v3, v51, v3;

	;;#ASMEND
	;; [unrolled: 4-line block ×4, first 2 shown]
	;;#ASMSTART
	v_pk_add_f16 v2, v2, v3;

	;;#ASMEND
	;;#ASMSTART
	v_pk_add_f16 v2, v2, v4;

	;;#ASMEND
	;;#ASMSTART
	v_pk_add_f16 v2, v2, v5;

	;;#ASMEND
	v_lshrrev_b32_e32 v3, 16, v2
	v_and_b32_e32 v2, 0xffff, v2
	;;#ASMSTART
	v_cvt_f32_f16 v77, v2;
	;;#ASMEND
	v_add_co_u32_e64 v2, s[2:3], v57, v40
	;;#ASMSTART
	v_cvt_f32_f16 v78, v3;
	;;#ASMEND
	v_addc_co_u32_e64 v3, s[2:3], 0, v58, s[2:3]
	global_load_dwordx4 v[2:5], v[2:3], off
	s_and_saveexec_b64 s[12:13], vcc
	s_cbranch_execz .LBB125_67
; %bb.66:                               ;   in Loop: Header=BB125_43 Depth=1
	s_waitcnt vmcnt(0)
	v_lshrrev_b32_e32 v79, 16, v5
	v_cmp_gt_i32_e64 s[2:3], s23, v56
	v_cndmask_b32_e64 v79, 0, v79, s[2:3]
	v_cmp_gt_i32_e64 s[2:3], s22, v55
	v_cndmask_b32_e64 v5, 0, v5, s[2:3]
	v_perm_b32 v5, v79, v5, s26
	v_lshrrev_b32_e32 v79, 16, v4
	v_cmp_gt_i32_e64 s[2:3], s21, v54
	v_cndmask_b32_e64 v79, 0, v79, s[2:3]
	v_cmp_gt_i32_e64 s[2:3], s20, v53
	v_cndmask_b32_e64 v4, 0, v4, s[2:3]
	v_perm_b32 v4, v79, v4, s26
	;; [unrolled: 6-line block ×4, first 2 shown]
.LBB125_67:                             ;   in Loop: Header=BB125_43 Depth=1
	s_or_b64 exec, exec, s[12:13]
	s_waitcnt vmcnt(0)
	;;#ASMSTART
	v_pk_mul_f16 v2, v52, v2;

	;;#ASMEND
	;;#ASMSTART
	v_pk_mul_f16 v3, v51, v3;

	;;#ASMEND
	;;#ASMSTART
	v_pk_mul_f16 v4, v50, v4;

	;;#ASMEND
	;;#ASMSTART
	v_pk_mul_f16 v5, v48, v5;

	;;#ASMEND
	;;#ASMSTART
	v_pk_add_f16 v2, v2, v3;

	;;#ASMEND
	;;#ASMSTART
	v_pk_add_f16 v2, v2, v4;

	;;#ASMEND
	;; [unrolled: 4-line block ×3, first 2 shown]
	v_lshrrev_b32_e32 v3, 16, v2
	v_and_b32_e32 v2, 0xffff, v2
	;;#ASMSTART
	v_cvt_f32_f16 v79, v2;
	;;#ASMEND
	v_add_co_u32_e64 v2, s[2:3], v57, v41
	;;#ASMSTART
	v_cvt_f32_f16 v80, v3;
	;;#ASMEND
	v_addc_co_u32_e64 v3, s[2:3], 0, v58, s[2:3]
	global_load_dwordx4 v[2:5], v[2:3], off
	s_and_saveexec_b64 s[12:13], vcc
	s_cbranch_execz .LBB125_69
; %bb.68:                               ;   in Loop: Header=BB125_43 Depth=1
	s_waitcnt vmcnt(0)
	v_lshrrev_b32_e32 v81, 16, v5
	v_cmp_gt_i32_e64 s[2:3], s23, v56
	v_cndmask_b32_e64 v81, 0, v81, s[2:3]
	v_cmp_gt_i32_e64 s[2:3], s22, v55
	v_cndmask_b32_e64 v5, 0, v5, s[2:3]
	v_perm_b32 v5, v81, v5, s26
	v_lshrrev_b32_e32 v81, 16, v4
	v_cmp_gt_i32_e64 s[2:3], s21, v54
	v_cndmask_b32_e64 v81, 0, v81, s[2:3]
	v_cmp_gt_i32_e64 s[2:3], s20, v53
	v_cndmask_b32_e64 v4, 0, v4, s[2:3]
	v_perm_b32 v4, v81, v4, s26
	;; [unrolled: 6-line block ×4, first 2 shown]
.LBB125_69:                             ;   in Loop: Header=BB125_43 Depth=1
	s_or_b64 exec, exec, s[12:13]
	s_waitcnt vmcnt(0)
	;;#ASMSTART
	v_pk_mul_f16 v2, v52, v2;

	;;#ASMEND
	;;#ASMSTART
	v_pk_mul_f16 v3, v51, v3;

	;;#ASMEND
	;; [unrolled: 4-line block ×4, first 2 shown]
	;;#ASMSTART
	v_pk_add_f16 v2, v2, v3;

	;;#ASMEND
	;;#ASMSTART
	v_pk_add_f16 v2, v2, v4;

	;;#ASMEND
	;; [unrolled: 4-line block ×3, first 2 shown]
	v_lshrrev_b32_e32 v3, 16, v2
	v_and_b32_e32 v2, 0xffff, v2
	;;#ASMSTART
	v_cvt_f32_f16 v81, v2;
	;;#ASMEND
	v_add_co_u32_e64 v2, s[2:3], v57, v42
	;;#ASMSTART
	v_cvt_f32_f16 v82, v3;
	;;#ASMEND
	v_addc_co_u32_e64 v3, s[2:3], 0, v58, s[2:3]
	global_load_dwordx4 v[2:5], v[2:3], off
	s_and_saveexec_b64 s[12:13], vcc
	s_cbranch_execz .LBB125_71
; %bb.70:                               ;   in Loop: Header=BB125_43 Depth=1
	s_waitcnt vmcnt(0)
	v_lshrrev_b32_e32 v83, 16, v5
	v_cmp_gt_i32_e64 s[2:3], s23, v56
	v_cndmask_b32_e64 v83, 0, v83, s[2:3]
	v_cmp_gt_i32_e64 s[2:3], s22, v55
	v_cndmask_b32_e64 v5, 0, v5, s[2:3]
	v_perm_b32 v5, v83, v5, s26
	v_lshrrev_b32_e32 v83, 16, v4
	v_cmp_gt_i32_e64 s[2:3], s21, v54
	v_cndmask_b32_e64 v83, 0, v83, s[2:3]
	v_cmp_gt_i32_e64 s[2:3], s20, v53
	v_cndmask_b32_e64 v4, 0, v4, s[2:3]
	v_perm_b32 v4, v83, v4, s26
	;; [unrolled: 6-line block ×4, first 2 shown]
.LBB125_71:                             ;   in Loop: Header=BB125_43 Depth=1
	s_or_b64 exec, exec, s[12:13]
	s_waitcnt vmcnt(0)
	;;#ASMSTART
	v_pk_mul_f16 v2, v52, v2;

	;;#ASMEND
	;;#ASMSTART
	v_pk_mul_f16 v3, v51, v3;

	;;#ASMEND
	;; [unrolled: 4-line block ×4, first 2 shown]
	;;#ASMSTART
	v_pk_add_f16 v2, v2, v3;

	;;#ASMEND
	;;#ASMSTART
	v_pk_add_f16 v2, v2, v4;

	;;#ASMEND
	;; [unrolled: 4-line block ×3, first 2 shown]
	v_lshrrev_b32_e32 v3, 16, v2
	v_and_b32_e32 v2, 0xffff, v2
	;;#ASMSTART
	v_cvt_f32_f16 v83, v2;
	;;#ASMEND
	v_add_co_u32_e64 v2, s[2:3], v57, v43
	;;#ASMSTART
	v_cvt_f32_f16 v84, v3;
	;;#ASMEND
	v_addc_co_u32_e64 v3, s[2:3], 0, v58, s[2:3]
	global_load_dwordx4 v[2:5], v[2:3], off
	s_and_saveexec_b64 s[12:13], vcc
	s_cbranch_execz .LBB125_73
; %bb.72:                               ;   in Loop: Header=BB125_43 Depth=1
	s_waitcnt vmcnt(0)
	v_lshrrev_b32_e32 v85, 16, v5
	v_cmp_gt_i32_e64 s[2:3], s23, v56
	v_cndmask_b32_e64 v85, 0, v85, s[2:3]
	v_cmp_gt_i32_e64 s[2:3], s22, v55
	v_cndmask_b32_e64 v5, 0, v5, s[2:3]
	v_perm_b32 v5, v85, v5, s26
	v_lshrrev_b32_e32 v85, 16, v4
	v_cmp_gt_i32_e64 s[2:3], s21, v54
	v_cndmask_b32_e64 v85, 0, v85, s[2:3]
	v_cmp_gt_i32_e64 s[2:3], s20, v53
	v_cndmask_b32_e64 v4, 0, v4, s[2:3]
	v_perm_b32 v4, v85, v4, s26
	;; [unrolled: 6-line block ×4, first 2 shown]
.LBB125_73:                             ;   in Loop: Header=BB125_43 Depth=1
	s_or_b64 exec, exec, s[12:13]
	s_waitcnt vmcnt(0)
	;;#ASMSTART
	v_pk_mul_f16 v2, v52, v2;

	;;#ASMEND
	;;#ASMSTART
	v_pk_mul_f16 v3, v51, v3;

	;;#ASMEND
	;; [unrolled: 4-line block ×4, first 2 shown]
	;;#ASMSTART
	v_pk_add_f16 v2, v2, v3;

	;;#ASMEND
	;;#ASMSTART
	v_pk_add_f16 v2, v2, v4;

	;;#ASMEND
	;; [unrolled: 4-line block ×3, first 2 shown]
	v_lshrrev_b32_e32 v3, 16, v2
	v_and_b32_e32 v2, 0xffff, v2
	;;#ASMSTART
	v_cvt_f32_f16 v85, v2;
	;;#ASMEND
	v_add_co_u32_e64 v2, s[2:3], v57, v44
	;;#ASMSTART
	v_cvt_f32_f16 v86, v3;
	;;#ASMEND
	v_addc_co_u32_e64 v3, s[2:3], 0, v58, s[2:3]
	global_load_dwordx4 v[2:5], v[2:3], off
	s_and_saveexec_b64 s[2:3], vcc
	s_cbranch_execz .LBB125_42
; %bb.74:                               ;   in Loop: Header=BB125_43 Depth=1
	s_waitcnt vmcnt(0)
	v_lshrrev_b32_e32 v57, 16, v5
	v_cmp_gt_i32_e32 vcc, s23, v56
	v_cndmask_b32_e32 v56, 0, v57, vcc
	v_cmp_gt_i32_e32 vcc, s22, v55
	v_cndmask_b32_e32 v5, 0, v5, vcc
	v_lshrrev_b32_e32 v55, 16, v4
	v_cmp_gt_i32_e32 vcc, s21, v54
	v_cndmask_b32_e32 v54, 0, v55, vcc
	v_cmp_gt_i32_e32 vcc, s20, v53
	v_cndmask_b32_e32 v4, 0, v4, vcc
	;; [unrolled: 5-line block ×4, first 2 shown]
	v_perm_b32 v5, v56, v5, s26
	v_perm_b32 v4, v54, v4, s26
	;; [unrolled: 1-line block ×4, first 2 shown]
	s_branch .LBB125_42
.LBB125_75:
	s_or_b64 exec, exec, s[10:11]
.LBB125_76:
	s_or_b64 exec, exec, s[6:7]
	ds_bpermute_b32 v4, v28, v20
	ds_bpermute_b32 v5, v28, v21
	;; [unrolled: 1-line block ×6, first 2 shown]
	s_waitcnt lgkmcnt(4)
	v_pk_add_f32 v[4:5], v[20:21], v[4:5]
	ds_bpermute_b32 v20, v29, v4
	ds_bpermute_b32 v21, v29, v5
	s_waitcnt lgkmcnt(4)
	v_pk_add_f32 v[2:3], v[22:23], v[2:3]
	ds_bpermute_b32 v6, v29, v2
	ds_bpermute_b32 v7, v29, v3
	;; [unrolled: 1-line block ×4, first 2 shown]
	s_waitcnt lgkmcnt(4)
	v_pk_add_f32 v[4:5], v[4:5], v[20:21]
	ds_bpermute_b32 v20, v28, v14
	ds_bpermute_b32 v21, v28, v15
	s_waitcnt lgkmcnt(4)
	v_pk_add_f32 v[2:3], v[2:3], v[6:7]
	s_waitcnt lgkmcnt(2)
	v_pk_add_f32 v[6:7], v[18:19], v[22:23]
	ds_bpermute_b32 v22, v28, v16
	ds_bpermute_b32 v23, v28, v17
	;; [unrolled: 1-line block ×4, first 2 shown]
	s_waitcnt lgkmcnt(4)
	v_pk_add_f32 v[14:15], v[14:15], v[20:21]
	ds_bpermute_b32 v20, v28, v12
	ds_bpermute_b32 v21, v28, v13
	s_waitcnt lgkmcnt(4)
	v_pk_add_f32 v[16:17], v[16:17], v[22:23]
	ds_bpermute_b32 v26, v28, v8
	ds_bpermute_b32 v27, v28, v9
	;; [unrolled: 4-line block ×4, first 2 shown]
	v_pk_add_f32 v[10:11], v[10:11], v[24:25]
	ds_bpermute_b32 v22, v29, v14
	ds_bpermute_b32 v23, v29, v15
	;; [unrolled: 1-line block ×4, first 2 shown]
	s_waitcnt lgkmcnt(8)
	v_pk_add_f32 v[8:9], v[8:9], v[26:27]
	s_waitcnt lgkmcnt(6)
	v_pk_add_f32 v[16:17], v[16:17], v[18:19]
	ds_bpermute_b32 v18, v29, v8
	ds_bpermute_b32 v19, v29, v9
	s_waitcnt lgkmcnt(6)
	v_pk_add_f32 v[12:13], v[12:13], v[20:21]
	v_and_b32_e32 v20, 0x3c3, v0
	s_waitcnt lgkmcnt(4)
	v_pk_add_f32 v[14:15], v[14:15], v[22:23]
	s_waitcnt lgkmcnt(2)
	v_pk_add_f32 v[10:11], v[10:11], v[24:25]
	v_cmp_ne_u32_e32 vcc, 64, v20
	s_waitcnt lgkmcnt(0)
	s_barrier
	s_and_saveexec_b64 s[2:3], vcc
	s_xor_b64 s[2:3], exec, s[2:3]
; %bb.77:
                                        ; implicit-def: $vgpr1
; %bb.78:
	s_or_saveexec_b64 s[2:3], s[2:3]
	v_pk_add_f32 v[8:9], v[8:9], v[18:19]
	s_xor_b64 exec, exec, s[2:3]
	s_cbranch_execz .LBB125_80
; %bb.79:
	v_add_u32_e32 v1, 0x210, v1
	ds_write2_b32 v1, v2, v3 offset1:16
	ds_write2_b32 v1, v4, v5 offset0:32 offset1:48
	ds_write2_b32 v1, v6, v7 offset0:64 offset1:80
	;; [unrolled: 1-line block ×7, first 2 shown]
.LBB125_80:
	s_or_b64 exec, exec, s[2:3]
	s_waitcnt lgkmcnt(0)
	s_barrier
	s_and_saveexec_b64 s[2:3], s[0:1]
	s_cbranch_execz .LBB125_99
; %bb.81:
	v_cmp_eq_u32_e32 vcc, 0, v30
	v_lshrrev_b32_e32 v1, 2, v0
	s_and_saveexec_b64 s[0:1], vcc
	s_cbranch_execnz .LBB125_102
; %bb.82:
	s_or_b64 exec, exec, s[0:1]
	s_and_saveexec_b64 s[0:1], vcc
	s_cbranch_execnz .LBB125_103
.LBB125_83:
	s_or_b64 exec, exec, s[0:1]
	s_and_saveexec_b64 s[0:1], vcc
	s_cbranch_execnz .LBB125_104
.LBB125_84:
	s_or_b64 exec, exec, s[0:1]
	s_and_saveexec_b64 s[0:1], vcc
	s_cbranch_execnz .LBB125_105
.LBB125_85:
	s_or_b64 exec, exec, s[0:1]
	s_and_saveexec_b64 s[0:1], vcc
	s_cbranch_execnz .LBB125_106
.LBB125_86:
	s_or_b64 exec, exec, s[0:1]
	s_and_saveexec_b64 s[0:1], vcc
	s_cbranch_execnz .LBB125_107
.LBB125_87:
	s_or_b64 exec, exec, s[0:1]
	s_and_saveexec_b64 s[0:1], vcc
	s_cbranch_execnz .LBB125_108
.LBB125_88:
	s_or_b64 exec, exec, s[0:1]
	s_and_saveexec_b64 s[0:1], vcc
	s_cbranch_execnz .LBB125_109
.LBB125_89:
	s_or_b64 exec, exec, s[0:1]
	s_and_saveexec_b64 s[0:1], vcc
	s_cbranch_execnz .LBB125_110
.LBB125_90:
	s_or_b64 exec, exec, s[0:1]
	s_and_saveexec_b64 s[0:1], vcc
	s_cbranch_execnz .LBB125_111
.LBB125_91:
	s_or_b64 exec, exec, s[0:1]
	s_and_saveexec_b64 s[0:1], vcc
	s_cbranch_execnz .LBB125_112
.LBB125_92:
	s_or_b64 exec, exec, s[0:1]
	s_and_saveexec_b64 s[0:1], vcc
	s_cbranch_execnz .LBB125_113
.LBB125_93:
	s_or_b64 exec, exec, s[0:1]
	s_and_saveexec_b64 s[0:1], vcc
	s_cbranch_execnz .LBB125_114
.LBB125_94:
	s_or_b64 exec, exec, s[0:1]
	s_and_saveexec_b64 s[0:1], vcc
	s_cbranch_execnz .LBB125_115
.LBB125_95:
	s_or_b64 exec, exec, s[0:1]
	s_and_saveexec_b64 s[0:1], vcc
	s_cbranch_execnz .LBB125_116
.LBB125_96:
	s_or_b64 exec, exec, s[0:1]
	s_and_saveexec_b64 s[0:1], vcc
	s_cbranch_execz .LBB125_98
.LBB125_97:
	v_mov_b32_e32 v18, 0x210
	v_lshl_add_u32 v1, v1, 2, v18
	ds_read_b32 v1, v1 offset:960
	s_waitcnt lgkmcnt(0)
	v_add_f32_e32 v9, v9, v1
.LBB125_98:
	s_or_b64 exec, exec, s[0:1]
.LBB125_99:
	s_or_b64 exec, exec, s[2:3]
	v_cmp_eq_u32_e32 vcc, 0, v20
	s_barrier
	s_and_saveexec_b64 s[0:1], vcc
	s_cbranch_execz .LBB125_101
; %bb.100:
	s_lshl_b32 s0, s4, 8
	s_ashr_i32 s1, s0, 31
	s_lshl_b64 s[0:1], s[0:1], 1
	s_add_u32 s2, s24, s0
	s_mul_i32 s0, s15, s14
	s_addc_u32 s3, s25, s1
	s_ashr_i32 s1, s0, 31
	s_lshl_b64 s[0:1], s[0:1], 1
	s_add_u32 s2, s2, s0
	s_addc_u32 s3, s3, s1
	s_lshl_b32 s0, s8, 8
	s_ashr_i32 s1, s0, 31
	s_lshl_b64 s[0:1], s[0:1], 1
	s_add_u32 s0, s2, s0
	s_addc_u32 s1, s3, s1
	v_lshrrev_b32_e32 v0, 1, v0
	;;#ASMSTART
	v_cvt_f16_f32 v1, v2;

	;;#ASMEND
	global_store_short v0, v1, s[0:1]
	;;#ASMSTART
	v_cvt_f16_f32 v1, v3;

	;;#ASMEND
	global_store_short v0, v1, s[0:1] offset:32
	;;#ASMSTART
	v_cvt_f16_f32 v1, v4;

	;;#ASMEND
	global_store_short v0, v1, s[0:1] offset:64
	;;#ASMSTART
	v_cvt_f16_f32 v1, v5;

	;;#ASMEND
	global_store_short v0, v1, s[0:1] offset:96
	;;#ASMSTART
	v_cvt_f16_f32 v1, v6;

	;;#ASMEND
	global_store_short v0, v1, s[0:1] offset:128
	;;#ASMSTART
	v_cvt_f16_f32 v1, v7;

	;;#ASMEND
	global_store_short v0, v1, s[0:1] offset:160
	;;#ASMSTART
	v_cvt_f16_f32 v1, v16;

	;;#ASMEND
	global_store_short v0, v1, s[0:1] offset:192
	;;#ASMSTART
	v_cvt_f16_f32 v1, v17;

	;;#ASMEND
	global_store_short v0, v1, s[0:1] offset:224
	;;#ASMSTART
	v_cvt_f16_f32 v1, v14;

	;;#ASMEND
	global_store_short v0, v1, s[0:1] offset:256
	;;#ASMSTART
	v_cvt_f16_f32 v1, v15;

	;;#ASMEND
	global_store_short v0, v1, s[0:1] offset:288
	;;#ASMSTART
	v_cvt_f16_f32 v1, v12;

	;;#ASMEND
	global_store_short v0, v1, s[0:1] offset:320
	;;#ASMSTART
	v_cvt_f16_f32 v1, v13;

	;;#ASMEND
	global_store_short v0, v1, s[0:1] offset:352
	;;#ASMSTART
	v_cvt_f16_f32 v1, v10;

	;;#ASMEND
	global_store_short v0, v1, s[0:1] offset:384
	;;#ASMSTART
	v_cvt_f16_f32 v1, v11;

	;;#ASMEND
	global_store_short v0, v1, s[0:1] offset:416
	;;#ASMSTART
	v_cvt_f16_f32 v1, v8;

	;;#ASMEND
	global_store_short v0, v1, s[0:1] offset:448
	;;#ASMSTART
	v_cvt_f16_f32 v1, v9;

	;;#ASMEND
	global_store_short v0, v1, s[0:1] offset:480
.LBB125_101:
	s_endpgm
.LBB125_102:
	v_mov_b32_e32 v18, 0x210
	v_lshl_add_u32 v18, v1, 2, v18
	ds_read_b32 v18, v18
	s_waitcnt lgkmcnt(0)
	v_add_f32_e32 v2, v2, v18
	s_or_b64 exec, exec, s[0:1]
	s_and_saveexec_b64 s[0:1], vcc
	s_cbranch_execz .LBB125_83
.LBB125_103:
	v_mov_b32_e32 v18, 0x210
	v_lshl_add_u32 v18, v1, 2, v18
	ds_read_b32 v18, v18 offset:64
	s_waitcnt lgkmcnt(0)
	v_add_f32_e32 v3, v3, v18
	s_or_b64 exec, exec, s[0:1]
	s_and_saveexec_b64 s[0:1], vcc
	s_cbranch_execz .LBB125_84
.LBB125_104:
	v_mov_b32_e32 v18, 0x210
	v_lshl_add_u32 v18, v1, 2, v18
	ds_read_b32 v18, v18 offset:128
	s_waitcnt lgkmcnt(0)
	v_add_f32_e32 v4, v4, v18
	s_or_b64 exec, exec, s[0:1]
	s_and_saveexec_b64 s[0:1], vcc
	s_cbranch_execz .LBB125_85
.LBB125_105:
	v_mov_b32_e32 v18, 0x210
	v_lshl_add_u32 v18, v1, 2, v18
	ds_read_b32 v18, v18 offset:192
	s_waitcnt lgkmcnt(0)
	v_add_f32_e32 v5, v5, v18
	s_or_b64 exec, exec, s[0:1]
	s_and_saveexec_b64 s[0:1], vcc
	s_cbranch_execz .LBB125_86
.LBB125_106:
	v_mov_b32_e32 v18, 0x210
	v_lshl_add_u32 v18, v1, 2, v18
	ds_read_b32 v18, v18 offset:256
	s_waitcnt lgkmcnt(0)
	v_add_f32_e32 v6, v6, v18
	s_or_b64 exec, exec, s[0:1]
	s_and_saveexec_b64 s[0:1], vcc
	s_cbranch_execz .LBB125_87
.LBB125_107:
	v_mov_b32_e32 v18, 0x210
	v_lshl_add_u32 v18, v1, 2, v18
	ds_read_b32 v18, v18 offset:320
	s_waitcnt lgkmcnt(0)
	v_add_f32_e32 v7, v7, v18
	s_or_b64 exec, exec, s[0:1]
	s_and_saveexec_b64 s[0:1], vcc
	s_cbranch_execz .LBB125_88
.LBB125_108:
	v_mov_b32_e32 v18, 0x210
	v_lshl_add_u32 v18, v1, 2, v18
	ds_read_b32 v18, v18 offset:384
	s_waitcnt lgkmcnt(0)
	v_add_f32_e32 v16, v16, v18
	s_or_b64 exec, exec, s[0:1]
	s_and_saveexec_b64 s[0:1], vcc
	s_cbranch_execz .LBB125_89
.LBB125_109:
	v_mov_b32_e32 v18, 0x210
	v_lshl_add_u32 v18, v1, 2, v18
	ds_read_b32 v18, v18 offset:448
	s_waitcnt lgkmcnt(0)
	v_add_f32_e32 v17, v17, v18
	s_or_b64 exec, exec, s[0:1]
	s_and_saveexec_b64 s[0:1], vcc
	s_cbranch_execz .LBB125_90
.LBB125_110:
	v_mov_b32_e32 v18, 0x210
	v_lshl_add_u32 v18, v1, 2, v18
	ds_read_b32 v18, v18 offset:512
	s_waitcnt lgkmcnt(0)
	v_add_f32_e32 v14, v14, v18
	s_or_b64 exec, exec, s[0:1]
	s_and_saveexec_b64 s[0:1], vcc
	s_cbranch_execz .LBB125_91
.LBB125_111:
	v_mov_b32_e32 v18, 0x210
	v_lshl_add_u32 v18, v1, 2, v18
	ds_read_b32 v18, v18 offset:576
	s_waitcnt lgkmcnt(0)
	v_add_f32_e32 v15, v15, v18
	s_or_b64 exec, exec, s[0:1]
	s_and_saveexec_b64 s[0:1], vcc
	s_cbranch_execz .LBB125_92
.LBB125_112:
	v_mov_b32_e32 v18, 0x210
	v_lshl_add_u32 v18, v1, 2, v18
	ds_read_b32 v18, v18 offset:640
	s_waitcnt lgkmcnt(0)
	v_add_f32_e32 v12, v12, v18
	s_or_b64 exec, exec, s[0:1]
	s_and_saveexec_b64 s[0:1], vcc
	s_cbranch_execz .LBB125_93
.LBB125_113:
	v_mov_b32_e32 v18, 0x210
	v_lshl_add_u32 v18, v1, 2, v18
	ds_read_b32 v18, v18 offset:704
	s_waitcnt lgkmcnt(0)
	v_add_f32_e32 v13, v13, v18
	s_or_b64 exec, exec, s[0:1]
	s_and_saveexec_b64 s[0:1], vcc
	s_cbranch_execz .LBB125_94
.LBB125_114:
	v_mov_b32_e32 v18, 0x210
	v_lshl_add_u32 v18, v1, 2, v18
	ds_read_b32 v18, v18 offset:768
	s_waitcnt lgkmcnt(0)
	v_add_f32_e32 v10, v10, v18
	s_or_b64 exec, exec, s[0:1]
	s_and_saveexec_b64 s[0:1], vcc
	s_cbranch_execz .LBB125_95
.LBB125_115:
	v_mov_b32_e32 v18, 0x210
	v_lshl_add_u32 v18, v1, 2, v18
	ds_read_b32 v18, v18 offset:832
	s_waitcnt lgkmcnt(0)
	v_add_f32_e32 v11, v11, v18
	s_or_b64 exec, exec, s[0:1]
	s_and_saveexec_b64 s[0:1], vcc
	s_cbranch_execz .LBB125_96
.LBB125_116:
	v_mov_b32_e32 v18, 0x210
	v_lshl_add_u32 v18, v1, 2, v18
	ds_read_b32 v18, v18 offset:896
	s_waitcnt lgkmcnt(0)
	v_add_f32_e32 v8, v8, v18
	s_or_b64 exec, exec, s[0:1]
	s_and_saveexec_b64 s[0:1], vcc
	s_cbranch_execnz .LBB125_97
	s_branch .LBB125_98
	.section	.rodata,"a",@progbits
	.p2align	6, 0x0
	.amdhsa_kernel _ZN4vllm25paged_attention_v2_kernelIttLi256ELi32ELi128ELNS_18Fp8KVCacheDataTypeE0ELb0ELi512EEEvPfS2_PT_PKS3_PKT0_S9_ifPKiSB_iPKfiiiSD_SD_iiiii
		.amdhsa_group_segment_fixed_size 528
		.amdhsa_private_segment_fixed_size 0
		.amdhsa_kernarg_size 400
		.amdhsa_user_sgpr_count 6
		.amdhsa_user_sgpr_private_segment_buffer 1
		.amdhsa_user_sgpr_dispatch_ptr 0
		.amdhsa_user_sgpr_queue_ptr 0
		.amdhsa_user_sgpr_kernarg_segment_ptr 1
		.amdhsa_user_sgpr_dispatch_id 0
		.amdhsa_user_sgpr_flat_scratch_init 0
		.amdhsa_user_sgpr_kernarg_preload_length 0
		.amdhsa_user_sgpr_kernarg_preload_offset 0
		.amdhsa_user_sgpr_private_segment_size 0
		.amdhsa_uses_dynamic_stack 0
		.amdhsa_system_sgpr_private_segment_wavefront_offset 0
		.amdhsa_system_sgpr_workgroup_id_x 1
		.amdhsa_system_sgpr_workgroup_id_y 1
		.amdhsa_system_sgpr_workgroup_id_z 1
		.amdhsa_system_sgpr_workgroup_info 0
		.amdhsa_system_vgpr_workitem_id 0
		.amdhsa_next_free_vgpr 106
		.amdhsa_next_free_sgpr 47
		.amdhsa_accum_offset 108
		.amdhsa_reserve_vcc 1
		.amdhsa_reserve_flat_scratch 0
		.amdhsa_float_round_mode_32 0
		.amdhsa_float_round_mode_16_64 0
		.amdhsa_float_denorm_mode_32 3
		.amdhsa_float_denorm_mode_16_64 3
		.amdhsa_dx10_clamp 1
		.amdhsa_ieee_mode 1
		.amdhsa_fp16_overflow 0
		.amdhsa_tg_split 0
		.amdhsa_exception_fp_ieee_invalid_op 0
		.amdhsa_exception_fp_denorm_src 0
		.amdhsa_exception_fp_ieee_div_zero 0
		.amdhsa_exception_fp_ieee_overflow 0
		.amdhsa_exception_fp_ieee_underflow 0
		.amdhsa_exception_fp_ieee_inexact 0
		.amdhsa_exception_int_div_zero 0
	.end_amdhsa_kernel
	.section	.text._ZN4vllm25paged_attention_v2_kernelIttLi256ELi32ELi128ELNS_18Fp8KVCacheDataTypeE0ELb0ELi512EEEvPfS2_PT_PKS3_PKT0_S9_ifPKiSB_iPKfiiiSD_SD_iiiii,"axG",@progbits,_ZN4vllm25paged_attention_v2_kernelIttLi256ELi32ELi128ELNS_18Fp8KVCacheDataTypeE0ELb0ELi512EEEvPfS2_PT_PKS3_PKT0_S9_ifPKiSB_iPKfiiiSD_SD_iiiii,comdat
.Lfunc_end125:
	.size	_ZN4vllm25paged_attention_v2_kernelIttLi256ELi32ELi128ELNS_18Fp8KVCacheDataTypeE0ELb0ELi512EEEvPfS2_PT_PKS3_PKT0_S9_ifPKiSB_iPKfiiiSD_SD_iiiii, .Lfunc_end125-_ZN4vllm25paged_attention_v2_kernelIttLi256ELi32ELi128ELNS_18Fp8KVCacheDataTypeE0ELb0ELi512EEEvPfS2_PT_PKS3_PKT0_S9_ifPKiSB_iPKfiiiSD_SD_iiiii
                                        ; -- End function
	.section	.AMDGPU.csdata,"",@progbits
; Kernel info:
; codeLenInByte = 14784
; NumSgprs: 51
; NumVgprs: 106
; NumAgprs: 0
; TotalNumVgprs: 106
; ScratchSize: 0
; MemoryBound: 0
; FloatMode: 240
; IeeeMode: 1
; LDSByteSize: 528 bytes/workgroup (compile time only)
; SGPRBlocks: 6
; VGPRBlocks: 13
; NumSGPRsForWavesPerEU: 51
; NumVGPRsForWavesPerEU: 106
; AccumOffset: 108
; Occupancy: 4
; WaveLimiterHint : 1
; COMPUTE_PGM_RSRC2:SCRATCH_EN: 0
; COMPUTE_PGM_RSRC2:USER_SGPR: 6
; COMPUTE_PGM_RSRC2:TRAP_HANDLER: 0
; COMPUTE_PGM_RSRC2:TGID_X_EN: 1
; COMPUTE_PGM_RSRC2:TGID_Y_EN: 1
; COMPUTE_PGM_RSRC2:TGID_Z_EN: 1
; COMPUTE_PGM_RSRC2:TIDIG_COMP_CNT: 0
; COMPUTE_PGM_RSRC3_GFX90A:ACCUM_OFFSET: 26
; COMPUTE_PGM_RSRC3_GFX90A:TG_SPLIT: 0
	.section	.text._ZN4vllm25paged_attention_v2_kernelI14__hip_bfloat16S1_Li32ELi8ELi128ELNS_18Fp8KVCacheDataTypeE0ELb1ELi512EEEvPfS3_PT_PKS4_PKT0_SA_ifPKiSC_iPKfiiiSE_SE_iiiii,"axG",@progbits,_ZN4vllm25paged_attention_v2_kernelI14__hip_bfloat16S1_Li32ELi8ELi128ELNS_18Fp8KVCacheDataTypeE0ELb1ELi512EEEvPfS3_PT_PKS4_PKT0_SA_ifPKiSC_iPKfiiiSE_SE_iiiii,comdat
	.protected	_ZN4vllm25paged_attention_v2_kernelI14__hip_bfloat16S1_Li32ELi8ELi128ELNS_18Fp8KVCacheDataTypeE0ELb1ELi512EEEvPfS3_PT_PKS4_PKT0_SA_ifPKiSC_iPKfiiiSE_SE_iiiii ; -- Begin function _ZN4vllm25paged_attention_v2_kernelI14__hip_bfloat16S1_Li32ELi8ELi128ELNS_18Fp8KVCacheDataTypeE0ELb1ELi512EEEvPfS3_PT_PKS4_PKT0_SA_ifPKiSC_iPKfiiiSE_SE_iiiii
	.globl	_ZN4vllm25paged_attention_v2_kernelI14__hip_bfloat16S1_Li32ELi8ELi128ELNS_18Fp8KVCacheDataTypeE0ELb1ELi512EEEvPfS3_PT_PKS4_PKT0_SA_ifPKiSC_iPKfiiiSE_SE_iiiii
	.p2align	8
	.type	_ZN4vllm25paged_attention_v2_kernelI14__hip_bfloat16S1_Li32ELi8ELi128ELNS_18Fp8KVCacheDataTypeE0ELb1ELi512EEEvPfS3_PT_PKS4_PKT0_SA_ifPKiSC_iPKfiiiSE_SE_iiiii,@function
_ZN4vllm25paged_attention_v2_kernelI14__hip_bfloat16S1_Li32ELi8ELi128ELNS_18Fp8KVCacheDataTypeE0ELb1ELi512EEEvPfS3_PT_PKS4_PKT0_SA_ifPKiSC_iPKfiiiSE_SE_iiiii: ; @_ZN4vllm25paged_attention_v2_kernelI14__hip_bfloat16S1_Li32ELi8ELi128ELNS_18Fp8KVCacheDataTypeE0ELb1ELi512EEEvPfS3_PT_PKS4_PKT0_SA_ifPKiSC_iPKfiiiSE_SE_iiiii
; %bb.0:
	s_load_dwordx2 s[0:1], s[4:5], 0x40
	s_mov_b32 s28, s7
	s_ashr_i32 s29, s7, 31
	s_lshl_b64 s[2:3], s[28:29], 2
	s_waitcnt lgkmcnt(0)
	s_add_u32 s0, s0, s2
	s_addc_u32 s1, s1, s3
	s_load_dword s29, s[0:1], 0x0
	s_lshl_b32 s49, s8, 9
	s_waitcnt lgkmcnt(0)
	s_cmp_ge_i32 s49, s29
	s_cbranch_scc1 .LBB126_131
; %bb.1:
	s_load_dword s9, s[4:5], 0x90
	s_load_dwordx2 s[38:39], s[4:5], 0x30
	s_waitcnt lgkmcnt(0)
	s_abs_i32 s2, s9
	s_abs_i32 s0, s38
	v_cvt_f32_u32_e32 v1, s0
	s_sub_i32 s3, 0, s0
	s_xor_b32 s1, s9, s38
	s_ashr_i32 s1, s1, 31
	v_rcp_iflag_f32_e32 v1, v1
	v_mul_f32_e32 v1, 0x4f7ffffe, v1
	v_cvt_u32_f32_e32 v1, v1
	v_readfirstlane_b32 s7, v1
	s_mul_i32 s3, s3, s7
	s_mul_hi_u32 s3, s7, s3
	s_add_i32 s7, s7, s3
	s_mul_hi_u32 s3, s2, s7
	s_mul_i32 s7, s3, s0
	s_sub_i32 s2, s2, s7
	s_add_i32 s10, s3, 1
	s_sub_i32 s7, s2, s0
	s_cmp_ge_u32 s2, s0
	s_cselect_b32 s3, s10, s3
	s_cselect_b32 s2, s7, s2
	s_add_i32 s7, s3, 1
	s_cmp_ge_u32 s2, s0
	s_cselect_b32 s0, s7, s3
	s_xor_b32 s0, s0, s1
	s_sub_i32 s16, s0, s1
	s_abs_i32 s2, s16
	v_cvt_f32_u32_e32 v1, s2
	s_load_dwordx2 s[0:1], s[4:5], 0x50
	s_sub_i32 s10, 0, s2
	s_abs_i32 s3, s6
	v_rcp_iflag_f32_e32 v1, v1
	s_mov_b32 s7, 0
	v_mul_f32_e32 v1, 0x4f7ffffe, v1
	v_cvt_u32_f32_e32 v1, v1
	v_readfirstlane_b32 s11, v1
	s_mul_i32 s10, s10, s11
	s_mul_hi_u32 s10, s11, s10
	s_add_i32 s11, s11, s10
	s_waitcnt lgkmcnt(0)
	s_cmp_eq_u64 s[0:1], 0
	s_mul_hi_u32 s10, s3, s11
	s_cbranch_scc1 .LBB126_3
; %bb.2:
	s_ashr_i32 s7, s6, 31
	s_lshl_b64 s[12:13], s[6:7], 2
	s_add_u32 s0, s0, s12
	s_addc_u32 s1, s1, s13
	s_load_dword s7, s[0:1], 0x0
.LBB126_3:
	s_load_dwordx4 s[12:15], s[4:5], 0x58
	s_ashr_i32 s11, s6, 31
	s_waitcnt lgkmcnt(0)
	s_ashr_i32 s15, s16, 31
	v_and_b32_e32 v2, 7, v0
	s_lshl_b32 s24, s6, 5
	v_cmp_gt_u32_e32 vcc, 32, v0
	s_and_saveexec_b64 s[0:1], vcc
	s_cbranch_execz .LBB126_5
; %bb.4:
	s_load_dwordx2 s[16:17], s[4:5], 0x18
	s_mul_i32 s18, s28, s12
	s_ashr_i32 s19, s18, 31
	s_lshl_b64 s[18:19], s[18:19], 1
	v_lshlrev_b32_e32 v1, 1, v0
	s_waitcnt lgkmcnt(0)
	s_add_u32 s12, s16, s18
	s_addc_u32 s18, s17, s19
	s_ashr_i32 s25, s24, 31
	s_lshl_b64 s[16:17], s[24:25], 1
	s_add_u32 s16, s12, s16
	s_addc_u32 s17, s18, s17
	global_load_ushort v1, v1, s[16:17]
	v_lshrrev_b32_e32 v3, 2, v0
	v_and_b32_e32 v3, 0xfe, v3
	v_lshl_add_u32 v3, v2, 3, v3
	s_waitcnt vmcnt(0)
	ds_write_b16 v3, v1
.LBB126_5:
	s_or_b64 exec, exec, s[0:1]
	s_mul_i32 s1, s10, s2
	s_sub_i32 s1, s3, s1
	s_xor_b32 s0, s11, s15
	s_add_i32 s3, s10, 1
	s_sub_i32 s11, s1, s2
	s_load_dwordx4 s[16:19], s[4:5], 0x78
	s_cmp_ge_u32 s1, s2
	s_cselect_b32 s3, s3, s10
	s_cselect_b32 s1, s11, s1
	s_load_dword s11, s[4:5], 0x88
	s_add_i32 s10, s3, 1
	s_cmp_ge_u32 s1, s2
	s_cselect_b32 s1, s10, s3
	s_waitcnt lgkmcnt(0)
	s_abs_i32 s25, s19
	v_cvt_f32_u32_e32 v1, s25
	s_xor_b32 s1, s1, s0
	s_sub_i32 s2, s1, s0
	s_sub_i32 s0, 0, s25
	v_rcp_iflag_f32_e32 v1, v1
	s_add_i32 s12, s29, -1
	s_abs_i32 s3, s12
	v_mul_f32_e32 v1, 0x4f7ffffe, v1
	v_cvt_u32_f32_e32 v1, v1
	s_barrier
	v_readfirstlane_b32 s33, v1
	s_mul_i32 s0, s0, s33
	s_mul_hi_u32 s0, s33, s0
	s_add_i32 s33, s33, s0
	s_cmp_lt_i32 s11, 0
	s_mul_hi_u32 s10, s3, s33
	s_cbranch_scc0 .LBB126_7
; %bb.6:
	s_mul_i32 s0, s16, s38
	s_add_i32 s0, s2, s0
	s_mul_i32 s0, s0, s11
	s_sub_i32 s46, 1, s0
	s_mov_b64 s[0:1], 0
	s_branch .LBB126_8
.LBB126_7:
	s_mov_b64 s[0:1], -1
                                        ; implicit-def: $sgpr46
.LBB126_8:
	s_load_dwordx2 s[30:31], s[4:5], 0x38
	s_ashr_i32 s12, s12, 31
	s_andn2_b64 vcc, exec, s[0:1]
	s_ashr_i32 s19, s19, 31
	s_cbranch_vccnz .LBB126_10
; %bb.9:
	s_mul_i32 s0, s9, s16
	s_add_i32 s0, s0, s6
	s_mul_i32 s0, s0, s11
	s_add_i32 s46, s0, 1
.LBB126_10:
	s_load_dword s0, s[4:5], 0x48
	s_load_dwordx2 s[36:37], s[4:5], 0x28
	s_load_dword s16, s[4:5], 0x98
	s_load_dwordx4 s[20:23], s[4:5], 0x0
	s_load_dwordx2 s[26:27], s[4:5], 0x10
	s_mul_i32 s1, s10, s25
	s_waitcnt lgkmcnt(0)
	s_mul_i32 s34, s28, s0
	s_sub_i32 s1, s3, s1
	s_ashr_i32 s35, s34, 31
	s_xor_b32 s0, s12, s19
	s_add_i32 s3, s10, 1
	s_sub_i32 s11, s1, s25
	s_cmp_ge_u32 s1, s25
	s_cselect_b32 s3, s3, s10
	s_cselect_b32 s1, s11, s1
	s_add_i32 s10, s3, 1
	s_cmp_ge_u32 s1, s25
	s_cselect_b32 s1, s10, s3
	s_xor_b32 s1, s1, s0
	s_sub_i32 s48, s1, s0
	s_add_i32 s0, s29, 7
	s_ashr_i32 s1, s0, 31
	s_lshr_b32 s1, s1, 29
	s_add_i32 s0, s0, s1
	s_lshl_b32 s38, s8, 6
	s_ashr_i32 s12, s0, 3
	s_add_i32 s0, s38, 64
	v_lshrrev_b32_e32 v4, 6, v0
	s_min_i32 s47, s0, s12
	v_or_b32_e32 v10, s38, v4
	v_cmp_gt_i32_e64 s[0:1], s47, v10
	v_mov_b32_e32 v13, 0xff7fffff
	s_mul_i32 s14, s2, s14
	v_ashrrev_i32_e32 v11, 31, v10
	v_lshl_add_u32 v1, v4, 3, s49
	v_mbcnt_lo_u32_b32 v5, -1, 0
	s_and_saveexec_b64 s[40:41], s[0:1]
	s_cbranch_execz .LBB126_20
; %bb.11:
	s_load_dwordx2 s[2:3], s[4:5], 0x20
	s_ashr_i32 s15, s14, 31
	s_sub_i32 s50, s48, s17
	s_lshl_b64 s[4:5], s[14:15], 1
	v_bfe_u32 v6, v0, 3, 3
	s_waitcnt lgkmcnt(0)
	s_add_u32 s2, s2, s4
	s_addc_u32 s3, s3, s5
	s_abs_i32 s15, s18
	v_cvt_f32_u32_e32 v8, s15
	v_lshlrev_b32_e32 v3, 4, v6
	v_mov_b32_e32 v7, s3
	v_add_co_u32_e64 v3, s[2:3], s2, v3
	v_rcp_iflag_f32_e32 v12, v8
	v_addc_co_u32_e64 v9, s[2:3], 0, v7, s[2:3]
	v_lshlrev_b32_e32 v7, 1, v2
	v_add_co_u32_e64 v7, s[2:3], v3, v7
	v_mul_f32_e32 v3, 0x4f7ffffe, v12
	v_cvt_u32_f32_e32 v3, v3
	s_sub_i32 s4, 0, s15
	v_cmp_eq_u32_e32 vcc, 0, v2
	v_addc_co_u32_e64 v8, s[2:3], 0, v9, s[2:3]
	v_lshlrev_b32_e32 v9, 3, v2
	v_mul_lo_u32 v2, s4, v3
	s_lshl_b64 s[4:5], s[34:35], 2
	v_mul_hi_u32 v2, v3, v2
	s_add_u32 s4, s30, s4
	v_add_u32_e32 v12, v3, v2
	v_lshlrev_b64 v[2:3], 2, v[10:11]
	s_addc_u32 s5, s31, s5
	v_mov_b32_e32 v13, s5
	v_add_co_u32_e64 v2, s[4:5], s4, v2
	v_addc_co_u32_e64 v3, s[4:5], v13, v3, s[4:5]
	v_lshlrev_b32_e32 v13, 2, v6
	v_lshl_or_b32 v13, v4, 5, v13
	v_add_u32_e32 v15, 0x50, v13
	v_subrev_u32_e32 v13, s29, v6
	v_mbcnt_hi_u32_b32 v18, -1, v5
	v_add_u32_e32 v16, 1, v13
	v_and_b32_e32 v13, 64, v18
	s_mov_b32 s51, s13
	v_cmp_neq_f32_e64 s[2:3], s7, 0
	v_lshl_add_u32 v14, v4, 3, s49
	s_mov_b64 s[42:43], 0
	v_mov_b32_e32 v17, 0xff7fffff
	v_add_u32_e32 v19, 64, v13
	v_xor_b32_e32 v20, 4, v18
	v_xor_b32_e32 v21, 2, v18
	;; [unrolled: 1-line block ×3, first 2 shown]
	v_mov_b32_e32 v13, 0xff7fffff
	v_mov_b32_e32 v23, v10
	s_branch .LBB126_14
.LBB126_12:                             ;   in Loop: Header=BB126_14 Depth=1
	s_or_b64 exec, exec, s[44:45]
.LBB126_13:                             ;   in Loop: Header=BB126_14 Depth=1
	s_or_b64 exec, exec, s[10:11]
	v_add_co_u32_e64 v2, s[4:5], 8, v2
	v_add_u32_e32 v23, 2, v23
	v_addc_co_u32_e64 v3, s[4:5], 0, v3, s[4:5]
	v_cmp_le_i32_e64 s[4:5], s47, v23
	v_add_u32_e32 v14, 16, v14
	s_or_b64 s[42:43], s[4:5], s[42:43]
	v_add_u32_e32 v15, 64, v15
	s_andn2_b64 exec, exec, s[42:43]
	s_cbranch_execz .LBB126_19
.LBB126_14:                             ; =>This Inner Loop Header: Depth=1
	s_waitcnt lgkmcnt(0)
	v_sub_u32_e32 v25, 0, v14
	v_max_i32_e32 v25, v14, v25
	v_mul_hi_u32 v26, v25, s33
	v_mul_lo_u32 v27, v26, s25
	v_sub_u32_e32 v25, v25, v27
	v_add_u32_e32 v27, 1, v26
	v_cmp_le_u32_e64 s[4:5], s25, v25
	v_cndmask_b32_e64 v26, v26, v27, s[4:5]
	v_subrev_u32_e32 v27, s25, v25
	v_cndmask_b32_e64 v25, v25, v27, s[4:5]
	v_ashrrev_i32_e32 v24, 31, v14
	v_add_u32_e32 v27, 1, v26
	v_cmp_le_u32_e64 s[4:5], s25, v25
	v_xor_b32_e32 v24, s19, v24
	v_cndmask_b32_e64 v25, v26, v27, s[4:5]
	v_xor_b32_e32 v25, v25, v24
	v_sub_u32_e32 v24, v25, v24
	v_add_u32_e32 v25, s46, v24
	v_sub_u32_e32 v27, 0, v25
	v_ashrrev_i32_e32 v26, 31, v25
	v_max_i32_e32 v25, v25, v27
	v_mul_hi_u32 v27, v25, v12
	v_mul_lo_u32 v27, v27, s15
	v_sub_u32_e32 v25, v25, v27
	v_subrev_u32_e32 v27, s15, v25
	v_cmp_le_u32_e64 s[4:5], s15, v25
	v_cndmask_b32_e64 v25, v25, v27, s[4:5]
	v_subrev_u32_e32 v27, s15, v25
	v_cmp_le_u32_e64 s[4:5], s15, v25
	v_cndmask_b32_e64 v25, v25, v27, s[4:5]
	v_xor_b32_e32 v25, v25, v26
	v_sub_u32_e32 v25, v25, v26
	v_cmp_ne_u32_e64 s[4:5], 0, v25
	v_cmp_ge_i32_e64 s[10:11], s50, v24
	s_and_b64 s[4:5], s[4:5], s[10:11]
	s_and_b64 s[44:45], vcc, s[4:5]
	s_and_saveexec_b64 s[10:11], s[44:45]
	s_cbranch_execz .LBB126_16
; %bb.15:                               ;   in Loop: Header=BB126_14 Depth=1
	ds_write_b32 v15, v17
.LBB126_16:                             ;   in Loop: Header=BB126_14 Depth=1
	s_or_b64 exec, exec, s[10:11]
	s_xor_b64 s[4:5], s[4:5], -1
	s_and_saveexec_b64 s[10:11], s[4:5]
	s_cbranch_execz .LBB126_13
; %bb.17:                               ;   in Loop: Header=BB126_14 Depth=1
	global_load_dword v24, v[2:3], off
	s_waitcnt vmcnt(0)
	v_mad_i64_i32 v[24:25], s[4:5], v24, s51, 0
	v_lshlrev_b64 v[24:25], 1, v[24:25]
	v_add_co_u32_e64 v24, s[4:5], v7, v24
	v_addc_co_u32_e64 v25, s[4:5], v8, v25, s[4:5]
	global_load_ushort v26, v[24:25], off
	global_load_ushort v27, v[24:25], off offset:128
	global_load_ushort v28, v[24:25], off offset:256
	;; [unrolled: 1-line block ×3, first 2 shown]
	ds_read_b64 v[24:25], v9
	v_cmp_lt_i32_e64 s[4:5], v20, v19
	v_cndmask_b32_e64 v30, v18, v20, s[4:5]
	v_lshlrev_b32_e32 v30, 2, v30
	v_cmp_lt_i32_e64 s[4:5], v21, v19
	s_waitcnt lgkmcnt(0)
	v_lshlrev_b32_e32 v31, 16, v24
	v_and_b32_e32 v24, 0xffff0000, v24
	v_lshlrev_b32_e32 v32, 16, v25
	v_and_b32_e32 v25, 0xffff0000, v25
	s_waitcnt vmcnt(3)
	v_lshlrev_b32_e32 v26, 16, v26
	s_waitcnt vmcnt(2)
	v_lshlrev_b32_e32 v27, 16, v27
	v_mul_f32_e32 v24, v24, v27
	s_waitcnt vmcnt(1)
	v_lshlrev_b32_e32 v28, 16, v28
	v_fmac_f32_e32 v24, v31, v26
	v_fmac_f32_e32 v24, v32, v28
	s_waitcnt vmcnt(0)
	v_lshlrev_b32_e32 v26, 16, v29
	v_fmac_f32_e32 v24, v25, v26
	ds_bpermute_b32 v25, v30, v24
	v_cndmask_b32_e64 v26, v18, v21, s[4:5]
	v_lshlrev_b32_e32 v26, 2, v26
	v_cmp_lt_i32_e64 s[4:5], v22, v19
	s_waitcnt lgkmcnt(0)
	v_add_f32_e32 v24, v24, v25
	ds_bpermute_b32 v25, v26, v24
	v_cndmask_b32_e64 v26, v18, v22, s[4:5]
	v_lshlrev_b32_e32 v26, 2, v26
	s_waitcnt lgkmcnt(0)
	v_add_f32_e32 v24, v24, v25
	ds_bpermute_b32 v25, v26, v24
	s_and_saveexec_b64 s[44:45], vcc
	s_cbranch_execz .LBB126_12
; %bb.18:                               ;   in Loop: Header=BB126_14 Depth=1
	v_add_u32_e32 v26, v16, v14
	v_cvt_f32_i32_e32 v26, v26
	s_waitcnt lgkmcnt(0)
	v_add_f32_e32 v24, v24, v25
	v_add_u32_e32 v27, v6, v14
	v_cmp_gt_i32_e64 s[4:5], s29, v27
	v_mul_f32_e32 v25, s7, v26
	v_cndmask_b32_e64 v25, 0, v25, s[2:3]
	v_fmac_f32_e32 v25, s39, v24
	v_cndmask_b32_e64 v24, 0, v25, s[4:5]
	ds_write_b32 v15, v24
	v_max_f32_e32 v24, v13, v13
	v_max_f32_e32 v24, v24, v25
	v_cndmask_b32_e64 v13, v13, v24, s[4:5]
	s_branch .LBB126_12
.LBB126_19:
	s_or_b64 exec, exec, s[42:43]
.LBB126_20:
	s_or_b64 exec, exec, s[40:41]
	v_mbcnt_hi_u32_b32 v2, -1, v5
	v_and_b32_e32 v3, 64, v2
	v_add_u32_e32 v3, 64, v3
	v_xor_b32_e32 v5, 32, v2
	v_cmp_lt_i32_e32 vcc, v5, v3
	v_cndmask_b32_e32 v5, v2, v5, vcc
	v_lshlrev_b32_e32 v7, 2, v5
	ds_bpermute_b32 v5, v7, v13
	v_xor_b32_e32 v8, 16, v2
	v_max_f32_e32 v6, v13, v13
	v_cmp_lt_i32_e32 vcc, v8, v3
	v_and_b32_e32 v14, 63, v0
	s_waitcnt lgkmcnt(0)
	v_max_f32_e32 v5, v5, v5
	v_max_f32_e32 v5, v6, v5
	v_cndmask_b32_e32 v6, v2, v8, vcc
	v_lshlrev_b32_e32 v9, 2, v6
	ds_bpermute_b32 v6, v9, v5
	v_xor_b32_e32 v8, 8, v2
	v_cmp_lt_i32_e32 vcc, v8, v3
	s_waitcnt lgkmcnt(0)
	v_max_f32_e32 v6, v6, v6
	v_max_f32_e32 v5, v5, v6
	v_cndmask_b32_e32 v6, v2, v8, vcc
	v_lshlrev_b32_e32 v12, 2, v6
	ds_bpermute_b32 v8, v12, v5
	v_cmp_eq_u32_e32 vcc, 0, v14
	v_lshlrev_b32_e32 v6, 2, v4
	s_and_saveexec_b64 s[2:3], vcc
	s_cbranch_execz .LBB126_22
; %bb.21:
	s_waitcnt lgkmcnt(0)
	v_max_f32_e32 v8, v8, v8
	v_max_f32_e32 v5, v5, v5
	;; [unrolled: 1-line block ×3, first 2 shown]
	ds_write_b32 v6, v5 offset:64
.LBB126_22:
	s_or_b64 exec, exec, s[2:3]
	v_cmp_gt_u32_e64 s[2:3], 2, v14
	v_mov_b32_e32 v5, 0xff7fffff
	s_waitcnt lgkmcnt(0)
	v_lshlrev_b32_e32 v8, 2, v14
	s_barrier
	s_and_saveexec_b64 s[4:5], s[2:3]
	s_cbranch_execz .LBB126_24
; %bb.23:
	ds_read_b32 v5, v8 offset:64
.LBB126_24:
	s_or_b64 exec, exec, s[4:5]
	v_xor_b32_e32 v13, 1, v2
	v_cmp_lt_i32_e64 s[4:5], v13, v3
	v_cndmask_b32_e64 v13, v2, v13, s[4:5]
	v_lshlrev_b32_e32 v13, 2, v13
	s_waitcnt lgkmcnt(0)
	ds_bpermute_b32 v15, v13, v5
	v_max_f32_e32 v5, v5, v5
	s_sub_i32 s4, s47, s38
	s_lshl_b32 s4, s4, 3
	s_add_i32 s4, s4, s49
	s_waitcnt lgkmcnt(0)
	v_max_f32_e32 v15, v15, v15
	v_max_f32_e32 v5, v5, v15
	v_lshlrev_b32_e32 v15, 2, v2
	v_and_b32_e32 v15, 0x100, v15
	ds_bpermute_b32 v5, v15, v5
	s_min_i32 s15, s4, s29
	s_sub_i32 s7, s15, s49
	v_cmp_gt_i32_e64 s[4:5], s7, v0
	v_mov_b32_e32 v16, 0
	s_and_saveexec_b64 s[38:39], s[4:5]
	s_cbranch_execz .LBB126_28
; %bb.25:
	v_mov_b32_e32 v16, 0x50
	v_lshl_add_u32 v17, v0, 2, v16
	s_mov_b64 s[40:41], 0
	v_mov_b32_e32 v16, 0
	v_mov_b32_e32 v18, v0
.LBB126_26:                             ; =>This Inner Loop Header: Depth=1
	ds_read_b32 v19, v17
	v_add_u32_e32 v18, 0x80, v18
	v_cmp_le_i32_e64 s[10:11], s7, v18
	s_or_b64 s[40:41], s[10:11], s[40:41]
	s_waitcnt lgkmcnt(0)
	v_sub_f32_e32 v19, v19, v5
	v_mul_f32_e32 v19, 0x3fb8aa3b, v19
	v_exp_f32_e32 v19, v19
	ds_write_b32 v17, v19
	v_add_f32_e32 v16, v16, v19
	v_add_u32_e32 v17, 0x200, v17
	s_andn2_b64 exec, exec, s[40:41]
	s_cbranch_execnz .LBB126_26
; %bb.27:
	s_or_b64 exec, exec, s[40:41]
.LBB126_28:
	s_or_b64 exec, exec, s[38:39]
	ds_bpermute_b32 v7, v7, v16
	s_waitcnt lgkmcnt(0)
	v_add_f32_e32 v7, v16, v7
	ds_bpermute_b32 v9, v9, v7
	s_waitcnt lgkmcnt(0)
	v_add_f32_e32 v7, v7, v9
	ds_bpermute_b32 v9, v12, v7
	v_xor_b32_e32 v12, 4, v2
	v_cmp_lt_i32_e64 s[10:11], v12, v3
	v_cndmask_b32_e64 v12, v2, v12, s[10:11]
	v_lshlrev_b32_e32 v12, 2, v12
	s_waitcnt lgkmcnt(0)
	v_add_f32_e32 v7, v7, v9
	ds_bpermute_b32 v9, v12, v7
	v_xor_b32_e32 v12, 2, v2
	v_cmp_lt_i32_e64 s[10:11], v12, v3
	v_cndmask_b32_e64 v2, v2, v12, s[10:11]
	v_lshlrev_b32_e32 v2, 2, v2
	s_waitcnt lgkmcnt(0)
	v_add_f32_e32 v3, v7, v9
	ds_bpermute_b32 v2, v2, v3
	s_waitcnt lgkmcnt(0)
	v_add_f32_e32 v2, v3, v2
	ds_bpermute_b32 v3, v13, v2
	s_waitcnt lgkmcnt(0)
	v_add_f32_e32 v2, v2, v3
	s_and_saveexec_b64 s[10:11], vcc
	s_cbranch_execz .LBB126_30
; %bb.29:
	ds_write_b32 v6, v2 offset:72
.LBB126_30:
	s_or_b64 exec, exec, s[10:11]
	s_waitcnt lgkmcnt(0)
	s_barrier
	s_and_saveexec_b64 s[10:11], s[2:3]
	s_cbranch_execz .LBB126_32
; %bb.31:
	ds_read_b32 v2, v8 offset:72
.LBB126_32:
	s_or_b64 exec, exec, s[10:11]
	s_waitcnt lgkmcnt(0)
	ds_bpermute_b32 v3, v13, v2
	s_waitcnt lgkmcnt(0)
	v_add_f32_e32 v2, v2, v3
	ds_bpermute_b32 v6, v15, v2
	s_and_saveexec_b64 s[2:3], s[4:5]
	s_cbranch_execz .LBB126_45
; %bb.33:
	s_waitcnt lgkmcnt(0)
	v_add_f32_e32 v2, 0x358637bd, v6
	v_div_scale_f32 v3, s[4:5], v2, v2, 1.0
	v_rcp_f32_e32 v7, v3
	v_div_scale_f32 v8, vcc, 1.0, v2, 1.0
	s_movk_i32 s4, 0x7f
	v_fma_f32 v9, -v3, v7, 1.0
	v_fmac_f32_e32 v7, v9, v7
	v_mul_f32_e32 v9, v8, v7
	v_fma_f32 v12, -v3, v9, v8
	v_fmac_f32_e32 v9, v12, v7
	v_fma_f32 v3, -v3, v9, v8
	v_div_fmas_f32 v3, v3, v7, v9
	v_div_fixup_f32 v2, v3, v2, 1.0
	v_xad_u32 v3, v0, -1, s15
	v_subrev_u32_e32 v7, s49, v3
	v_cmp_lt_u32_e32 vcc, s4, v7
	s_mov_b64 s[10:11], -1
	v_mov_b32_e32 v3, v0
	s_and_saveexec_b64 s[4:5], vcc
	s_cbranch_execz .LBB126_42
; %bb.34:
	v_lshrrev_b32_e32 v7, 7, v7
	v_add_u32_e32 v9, -1, v7
	v_lshrrev_b32_e32 v8, 1, v9
	v_mov_b32_e32 v3, v2
	v_add_u32_e32 v8, 1, v8
	v_cmp_lt_u32_e32 vcc, 13, v9
	v_mov_b32_e32 v13, 0
	s_and_saveexec_b64 s[10:11], vcc
	s_cbranch_execz .LBB126_38
; %bb.35:
	v_mov_b32_e32 v12, 0x50
	v_and_b32_e32 v9, -8, v8
	v_lshl_add_u32 v12, v0, 2, v12
	s_mov_b32 s15, 0
	s_mov_b64 s[38:39], 0
.LBB126_36:                             ; =>This Inner Loop Header: Depth=1
	ds_read2st64_b32 v[16:17], v12 offset1:2
	ds_read2st64_b32 v[18:19], v12 offset0:4 offset1:6
	ds_read2st64_b32 v[20:21], v12 offset0:8 offset1:10
	;; [unrolled: 1-line block ×3, first 2 shown]
	v_add_u32_e32 v9, -8, v9
	s_waitcnt lgkmcnt(3)
	v_pk_mul_f32 v[16:17], v[2:3], v[16:17]
	s_waitcnt lgkmcnt(2)
	v_pk_mul_f32 v[18:19], v[2:3], v[18:19]
	ds_write2st64_b32 v12, v16, v17 offset1:2
	ds_write2st64_b32 v12, v18, v19 offset0:4 offset1:6
	ds_read2st64_b32 v[18:19], v12 offset0:16 offset1:18
	s_waitcnt lgkmcnt(4)
	v_pk_mul_f32 v[16:17], v[2:3], v[20:21]
	ds_write2st64_b32 v12, v16, v17 offset0:8 offset1:10
	s_waitcnt lgkmcnt(4)
	v_pk_mul_f32 v[16:17], v[2:3], v[22:23]
	ds_write2st64_b32 v12, v16, v17 offset0:12 offset1:14
	ds_read2st64_b32 v[16:17], v12 offset0:20 offset1:22
	s_waitcnt lgkmcnt(3)
	v_pk_mul_f32 v[18:19], v[2:3], v[18:19]
	ds_read2st64_b32 v[20:21], v12 offset0:24 offset1:26
	ds_write2st64_b32 v12, v18, v19 offset0:16 offset1:18
	ds_read2st64_b32 v[18:19], v12 offset0:28 offset1:30
	s_waitcnt lgkmcnt(3)
	v_pk_mul_f32 v[16:17], v[2:3], v[16:17]
	ds_write2st64_b32 v12, v16, v17 offset0:20 offset1:22
	s_waitcnt lgkmcnt(3)
	v_pk_mul_f32 v[16:17], v[2:3], v[20:21]
	ds_write2st64_b32 v12, v16, v17 offset0:24 offset1:26
	s_waitcnt lgkmcnt(2)
	v_pk_mul_f32 v[16:17], v[2:3], v[18:19]
	s_add_i32 s15, s15, 16
	v_cmp_eq_u32_e32 vcc, 0, v9
	ds_write2st64_b32 v12, v16, v17 offset0:28 offset1:30
	v_add_u32_e32 v12, 0x2000, v12
	s_or_b64 s[38:39], vcc, s[38:39]
	v_mov_b32_e32 v13, s15
	s_andn2_b64 exec, exec, s[38:39]
	s_cbranch_execnz .LBB126_36
; %bb.37:
	s_or_b64 exec, exec, s[38:39]
.LBB126_38:
	s_or_b64 exec, exec, s[10:11]
	v_and_b32_e32 v8, 7, v8
	v_cmp_ne_u32_e32 vcc, 0, v8
	s_and_saveexec_b64 s[10:11], vcc
	s_cbranch_execz .LBB126_41
; %bb.39:
	v_lshlrev_b32_e32 v9, 9, v13
	v_lshlrev_b32_e32 v12, 2, v0
	s_movk_i32 s15, 0x50
	v_add3_u32 v9, v9, v12, s15
	s_mov_b64 s[38:39], 0
.LBB126_40:                             ; =>This Inner Loop Header: Depth=1
	ds_read2st64_b32 v[12:13], v9 offset1:2
	v_add_u32_e32 v8, -1, v8
	v_cmp_eq_u32_e32 vcc, 0, v8
	s_or_b64 s[38:39], vcc, s[38:39]
	s_waitcnt lgkmcnt(0)
	v_pk_mul_f32 v[12:13], v[2:3], v[12:13]
	ds_write2st64_b32 v9, v12, v13 offset1:2
	v_add_u32_e32 v9, 0x400, v9
	s_andn2_b64 exec, exec, s[38:39]
	s_cbranch_execnz .LBB126_40
.LBB126_41:
	s_or_b64 exec, exec, s[10:11]
	v_add_u32_e32 v7, 1, v7
	v_and_b32_e32 v8, 0x3fffffe, v7
	v_cmp_ne_u32_e32 vcc, v7, v8
	v_lshl_add_u32 v3, v8, 7, v0
	s_orn2_b64 s[10:11], vcc, exec
.LBB126_42:
	s_or_b64 exec, exec, s[4:5]
	s_and_b64 exec, exec, s[10:11]
	s_cbranch_execz .LBB126_45
; %bb.43:
	v_mov_b32_e32 v7, 0x50
	v_lshl_add_u32 v7, v3, 2, v7
	s_mov_b64 s[4:5], 0
.LBB126_44:                             ; =>This Inner Loop Header: Depth=1
	ds_read_b32 v8, v7
	v_add_u32_e32 v3, 0x80, v3
	v_cmp_le_i32_e32 vcc, s7, v3
	s_or_b64 s[4:5], vcc, s[4:5]
	s_waitcnt lgkmcnt(0)
	v_mul_f32_e32 v8, v2, v8
	ds_write_b32 v7, v8
	v_add_u32_e32 v7, 0x200, v7
	s_andn2_b64 exec, exec, s[4:5]
	s_cbranch_execnz .LBB126_44
.LBB126_45:
	s_or_b64 exec, exec, s[2:3]
	s_mul_i32 s2, s16, s28
	v_cmp_eq_u32_e32 vcc, 0, v0
	s_mul_i32 s4, s2, s9
	s_waitcnt lgkmcnt(0)
	s_barrier
	s_and_saveexec_b64 s[2:3], vcc
	s_cbranch_execz .LBB126_47
; %bb.46:
	s_ashr_i32 s5, s4, 31
	s_lshl_b64 s[10:11], s[4:5], 2
	s_add_u32 s5, s22, s10
	s_mul_i32 s6, s16, s6
	s_addc_u32 s9, s23, s11
	s_ashr_i32 s7, s6, 31
	s_lshl_b64 s[6:7], s[6:7], 2
	s_add_u32 s5, s5, s6
	s_addc_u32 s15, s9, s7
	s_ashr_i32 s9, s8, 31
	s_lshl_b64 s[22:23], s[8:9], 2
	s_add_u32 s38, s5, s22
	s_addc_u32 s39, s15, s23
	s_add_u32 s5, s20, s10
	s_addc_u32 s9, s21, s11
	;; [unrolled: 2-line block ×3, first 2 shown]
	s_add_u32 s6, s5, s22
	v_mov_b32_e32 v2, 0
	s_addc_u32 s7, s7, s23
	global_store_dword v2, v5, s[38:39]
	global_store_dword v2, v6, s[6:7]
.LBB126_47:
	s_or_b64 exec, exec, s[2:3]
	v_mov_b32_e32 v15, 0
	s_and_saveexec_b64 s[6:7], s[0:1]
	s_cbranch_execz .LBB126_121
; %bb.48:
	s_ashr_i32 s15, s14, 31
	s_sub_i32 s5, s48, s17
	s_lshl_b64 s[0:1], s[14:15], 1
	s_add_u32 s0, s36, s0
	s_addc_u32 s1, s37, s1
	s_abs_i32 s9, s18
	v_cvt_f32_u32_e32 v2, s9
	v_lshlrev_b32_e32 v3, 4, v14
	v_mov_b32_e32 v5, s1
	v_add_co_u32_e64 v16, s[0:1], s0, v3
	v_rcp_iflag_f32_e32 v2, v2
	v_addc_co_u32_e64 v17, s[0:1], 0, v5, s[0:1]
	s_sub_i32 s0, 0, s9
	v_mul_f32_e32 v2, 0x4f7ffffe, v2
	v_cvt_u32_f32_e32 v2, v2
	s_add_i32 s18, s12, -1
	v_cmp_gt_u32_e32 vcc, 32, v14
	s_mov_b32 s17, s13
	v_mul_lo_u32 v3, s0, v2
	s_lshl_b64 s[0:1], s[34:35], 2
	v_mul_hi_u32 v3, v2, v3
	s_add_u32 s0, s30, s0
	v_add_u32_e32 v18, v2, v3
	v_lshlrev_b64 v[2:3], 2, v[10:11]
	s_addc_u32 s1, s31, s1
	v_mov_b32_e32 v5, s1
	v_add_co_u32_e64 v12, s[0:1], s0, v2
	v_mov_b32_e32 v2, 0x50
	v_addc_co_u32_e64 v13, s[0:1], v5, v3, s[0:1]
	v_lshl_add_u32 v11, v4, 5, v2
	s_mov_b64 s[10:11], 0
	v_mov_b32_e32 v19, 0
	s_mov_b32 s20, 0x7f800000
	s_movk_i32 s21, 0x7fff
	v_mov_b32_e32 v15, 0
	s_branch .LBB126_52
.LBB126_49:                             ;   in Loop: Header=BB126_52 Depth=1
	s_or_b64 exec, exec, s[14:15]
	v_and_b32_e32 v6, 0xffff0000, v8
	v_and_b32_e32 v9, 0xffff0000, v20
	;; [unrolled: 1-line block ×8, first 2 shown]
	v_pk_add_f32 v[2:3], v[2:3], v[8:9]
	v_pk_add_f32 v[4:5], v[4:5], v[6:7]
	v_add_f32_e32 v2, v2, v3
	v_add_f32_e32 v2, v2, v4
	;; [unrolled: 1-line block ×4, first 2 shown]
.LBB126_50:                             ;   in Loop: Header=BB126_52 Depth=1
	s_or_b64 exec, exec, s[12:13]
.LBB126_51:                             ;   in Loop: Header=BB126_52 Depth=1
	s_or_b64 exec, exec, s[2:3]
	v_add_co_u32_e64 v12, s[0:1], 8, v12
	v_add_u32_e32 v10, 2, v10
	v_addc_co_u32_e64 v13, s[0:1], 0, v13, s[0:1]
	v_cmp_le_i32_e64 s[0:1], s47, v10
	v_add_u32_e32 v1, 16, v1
	s_or_b64 s[10:11], s[0:1], s[10:11]
	v_add_u32_e32 v11, 64, v11
	s_andn2_b64 exec, exec, s[10:11]
	s_cbranch_execz .LBB126_120
.LBB126_52:                             ; =>This Inner Loop Header: Depth=1
	v_sub_u32_e32 v3, 0, v1
	v_max_i32_e32 v3, v1, v3
	v_mul_hi_u32 v4, v3, s33
	v_mul_lo_u32 v5, v4, s25
	v_sub_u32_e32 v3, v3, v5
	v_add_u32_e32 v5, 1, v4
	v_cmp_le_u32_e64 s[0:1], s25, v3
	v_cndmask_b32_e64 v4, v4, v5, s[0:1]
	v_subrev_u32_e32 v5, s25, v3
	v_cndmask_b32_e64 v3, v3, v5, s[0:1]
	v_ashrrev_i32_e32 v2, 31, v1
	v_add_u32_e32 v5, 1, v4
	v_cmp_le_u32_e64 s[0:1], s25, v3
	v_xor_b32_e32 v2, s19, v2
	v_cndmask_b32_e64 v3, v4, v5, s[0:1]
	v_xor_b32_e32 v3, v3, v2
	v_sub_u32_e32 v2, v3, v2
	v_add_u32_e32 v3, s46, v2
	v_sub_u32_e32 v5, 0, v3
	v_ashrrev_i32_e32 v4, 31, v3
	v_max_i32_e32 v3, v3, v5
	v_mul_hi_u32 v5, v3, v18
	v_mul_lo_u32 v5, v5, s9
	v_sub_u32_e32 v3, v3, v5
	v_subrev_u32_e32 v5, s9, v3
	v_cmp_le_u32_e64 s[0:1], s9, v3
	v_cndmask_b32_e64 v3, v3, v5, s[0:1]
	v_subrev_u32_e32 v5, s9, v3
	v_cmp_le_u32_e64 s[0:1], s9, v3
	v_cndmask_b32_e64 v3, v3, v5, s[0:1]
	v_xor_b32_e32 v3, v3, v4
	v_sub_u32_e32 v3, v3, v4
	v_cmp_eq_u32_e64 s[0:1], 0, v3
	v_cmp_lt_i32_e64 s[2:3], s5, v2
	s_or_b64 s[0:1], s[0:1], s[2:3]
	s_and_saveexec_b64 s[2:3], s[0:1]
	s_cbranch_execz .LBB126_51
; %bb.53:                               ;   in Loop: Header=BB126_52 Depth=1
	global_load_dword v24, v[12:13], off
	ds_read2_b64 v[6:9], v11 offset1:1
	ds_read2_b64 v[2:5], v11 offset0:2 offset1:3
                                        ; implicit-def: $vgpr23
	s_waitcnt lgkmcnt(1)
	v_and_b32_e32 v20, 0x7f800000, v6
	v_cmp_ne_u32_e64 s[0:1], s20, v20
	s_and_saveexec_b64 s[12:13], s[0:1]
	s_xor_b64 s[0:1], exec, s[12:13]
; %bb.54:                               ;   in Loop: Header=BB126_52 Depth=1
	v_bfe_u32 v20, v6, 16, 1
	v_add3_u32 v23, v6, v20, s21
; %bb.55:                               ;   in Loop: Header=BB126_52 Depth=1
	s_andn2_saveexec_b64 s[12:13], s[0:1]
; %bb.56:                               ;   in Loop: Header=BB126_52 Depth=1
	v_or_b32_e32 v20, 0x10000, v6
	v_cmp_eq_u32_sdwa s[0:1], v6, v19 src0_sel:WORD_0 src1_sel:DWORD
	v_cndmask_b32_e64 v23, v20, v6, s[0:1]
; %bb.57:                               ;   in Loop: Header=BB126_52 Depth=1
	s_or_b64 exec, exec, s[12:13]
	v_and_b32_e32 v6, 0x7f800000, v7
	v_cmp_ne_u32_e64 s[0:1], s20, v6
                                        ; implicit-def: $vgpr22
	s_and_saveexec_b64 s[12:13], s[0:1]
	s_xor_b64 s[0:1], exec, s[12:13]
; %bb.58:                               ;   in Loop: Header=BB126_52 Depth=1
	v_bfe_u32 v6, v7, 16, 1
	v_add3_u32 v22, v7, v6, s21
; %bb.59:                               ;   in Loop: Header=BB126_52 Depth=1
	s_andn2_saveexec_b64 s[12:13], s[0:1]
; %bb.60:                               ;   in Loop: Header=BB126_52 Depth=1
	v_or_b32_e32 v6, 0x10000, v7
	v_cmp_eq_u32_sdwa s[0:1], v7, v19 src0_sel:WORD_0 src1_sel:DWORD
	v_cndmask_b32_e64 v22, v6, v7, s[0:1]
; %bb.61:                               ;   in Loop: Header=BB126_52 Depth=1
	s_or_b64 exec, exec, s[12:13]
	v_and_b32_e32 v6, 0x7f800000, v8
	v_cmp_ne_u32_e64 s[0:1], s20, v6
                                        ; implicit-def: $vgpr21
	s_and_saveexec_b64 s[12:13], s[0:1]
	s_xor_b64 s[0:1], exec, s[12:13]
; %bb.62:                               ;   in Loop: Header=BB126_52 Depth=1
	v_bfe_u32 v6, v8, 16, 1
	v_add3_u32 v21, v8, v6, s21
; %bb.63:                               ;   in Loop: Header=BB126_52 Depth=1
	s_andn2_saveexec_b64 s[12:13], s[0:1]
; %bb.64:                               ;   in Loop: Header=BB126_52 Depth=1
	v_or_b32_e32 v6, 0x10000, v8
	v_cmp_eq_u32_sdwa s[0:1], v8, v19 src0_sel:WORD_0 src1_sel:DWORD
	v_cndmask_b32_e64 v21, v6, v8, s[0:1]
; %bb.65:                               ;   in Loop: Header=BB126_52 Depth=1
	s_or_b64 exec, exec, s[12:13]
	v_and_b32_e32 v6, 0x7f800000, v9
	v_cmp_ne_u32_e64 s[0:1], s20, v6
                                        ; implicit-def: $vgpr20
	s_and_saveexec_b64 s[12:13], s[0:1]
	s_xor_b64 s[0:1], exec, s[12:13]
; %bb.66:                               ;   in Loop: Header=BB126_52 Depth=1
	v_bfe_u32 v6, v9, 16, 1
	v_add3_u32 v20, v9, v6, s21
                                        ; implicit-def: $vgpr6_vgpr7_vgpr8_vgpr9
; %bb.67:                               ;   in Loop: Header=BB126_52 Depth=1
	s_andn2_saveexec_b64 s[12:13], s[0:1]
; %bb.68:                               ;   in Loop: Header=BB126_52 Depth=1
	v_or_b32_e32 v6, 0x10000, v9
	v_cmp_eq_u32_sdwa s[0:1], v9, v19 src0_sel:WORD_0 src1_sel:DWORD
	v_cndmask_b32_e64 v20, v6, v9, s[0:1]
; %bb.69:                               ;   in Loop: Header=BB126_52 Depth=1
	s_or_b64 exec, exec, s[12:13]
	s_waitcnt lgkmcnt(0)
	v_and_b32_e32 v6, 0x7f800000, v2
	v_cmp_ne_u32_e64 s[0:1], s20, v6
                                        ; implicit-def: $vgpr9
	s_and_saveexec_b64 s[12:13], s[0:1]
	s_xor_b64 s[0:1], exec, s[12:13]
; %bb.70:                               ;   in Loop: Header=BB126_52 Depth=1
	v_bfe_u32 v6, v2, 16, 1
	v_add3_u32 v9, v2, v6, s21
; %bb.71:                               ;   in Loop: Header=BB126_52 Depth=1
	s_andn2_saveexec_b64 s[12:13], s[0:1]
; %bb.72:                               ;   in Loop: Header=BB126_52 Depth=1
	v_or_b32_e32 v6, 0x10000, v2
	v_cmp_eq_u32_sdwa s[0:1], v2, v19 src0_sel:WORD_0 src1_sel:DWORD
	v_cndmask_b32_e64 v9, v6, v2, s[0:1]
; %bb.73:                               ;   in Loop: Header=BB126_52 Depth=1
	s_or_b64 exec, exec, s[12:13]
	v_and_b32_e32 v2, 0x7f800000, v3
	v_cmp_ne_u32_e64 s[0:1], s20, v2
                                        ; implicit-def: $vgpr8
	s_and_saveexec_b64 s[12:13], s[0:1]
	s_xor_b64 s[0:1], exec, s[12:13]
; %bb.74:                               ;   in Loop: Header=BB126_52 Depth=1
	v_bfe_u32 v2, v3, 16, 1
	v_add3_u32 v8, v3, v2, s21
; %bb.75:                               ;   in Loop: Header=BB126_52 Depth=1
	s_andn2_saveexec_b64 s[12:13], s[0:1]
; %bb.76:                               ;   in Loop: Header=BB126_52 Depth=1
	v_or_b32_e32 v2, 0x10000, v3
	v_cmp_eq_u32_sdwa s[0:1], v3, v19 src0_sel:WORD_0 src1_sel:DWORD
	v_cndmask_b32_e64 v8, v2, v3, s[0:1]
; %bb.77:                               ;   in Loop: Header=BB126_52 Depth=1
	s_or_b64 exec, exec, s[12:13]
	v_and_b32_e32 v2, 0x7f800000, v4
	v_cmp_ne_u32_e64 s[0:1], s20, v2
                                        ; implicit-def: $vgpr7
	s_and_saveexec_b64 s[12:13], s[0:1]
	s_xor_b64 s[0:1], exec, s[12:13]
; %bb.78:                               ;   in Loop: Header=BB126_52 Depth=1
	v_bfe_u32 v2, v4, 16, 1
	v_add3_u32 v7, v4, v2, s21
; %bb.79:                               ;   in Loop: Header=BB126_52 Depth=1
	s_andn2_saveexec_b64 s[12:13], s[0:1]
; %bb.80:                               ;   in Loop: Header=BB126_52 Depth=1
	v_or_b32_e32 v2, 0x10000, v4
	v_cmp_eq_u32_sdwa s[0:1], v4, v19 src0_sel:WORD_0 src1_sel:DWORD
	v_cndmask_b32_e64 v7, v2, v4, s[0:1]
; %bb.81:                               ;   in Loop: Header=BB126_52 Depth=1
	s_or_b64 exec, exec, s[12:13]
	v_and_b32_e32 v2, 0x7f800000, v5
	v_cmp_ne_u32_e64 s[0:1], s20, v2
                                        ; implicit-def: $vgpr6
	s_and_saveexec_b64 s[12:13], s[0:1]
	s_xor_b64 s[0:1], exec, s[12:13]
	s_cbranch_execnz .LBB126_84
; %bb.82:                               ;   in Loop: Header=BB126_52 Depth=1
	s_andn2_saveexec_b64 s[12:13], s[0:1]
	s_cbranch_execnz .LBB126_85
.LBB126_83:                             ;   in Loop: Header=BB126_52 Depth=1
	s_or_b64 exec, exec, s[12:13]
	s_and_saveexec_b64 s[12:13], vcc
	s_cbranch_execz .LBB126_50
	s_branch .LBB126_86
.LBB126_84:                             ;   in Loop: Header=BB126_52 Depth=1
	v_bfe_u32 v2, v5, 16, 1
	v_add3_u32 v6, v5, v2, s21
                                        ; implicit-def: $vgpr2_vgpr3_vgpr4_vgpr5
	s_andn2_saveexec_b64 s[12:13], s[0:1]
	s_cbranch_execz .LBB126_83
.LBB126_85:                             ;   in Loop: Header=BB126_52 Depth=1
	v_or_b32_e32 v2, 0x10000, v5
	v_cmp_eq_u32_sdwa s[0:1], v5, v19 src0_sel:WORD_0 src1_sel:DWORD
	v_cndmask_b32_e64 v6, v2, v5, s[0:1]
	s_or_b64 exec, exec, s[12:13]
	s_and_saveexec_b64 s[12:13], vcc
	s_cbranch_execz .LBB126_50
.LBB126_86:                             ;   in Loop: Header=BB126_52 Depth=1
	s_waitcnt vmcnt(0)
	v_mad_i64_i32 v[2:3], s[0:1], v24, s17, 0
	v_lshlrev_b64 v[2:3], 1, v[2:3]
	v_add_co_u32_e64 v2, s[0:1], v16, v2
	v_addc_co_u32_e64 v3, s[0:1], v17, v3, s[0:1]
	global_load_dwordx4 v[2:5], v[2:3], off
	v_cmp_eq_u32_e64 s[0:1], s18, v10
	s_waitcnt vmcnt(0)
	v_lshrrev_b32_e32 v27, 16, v2
	v_lshrrev_b32_e32 v26, 16, v3
	;; [unrolled: 1-line block ×4, first 2 shown]
	s_and_saveexec_b64 s[14:15], s[0:1]
	s_cbranch_execz .LBB126_88
; %bb.87:                               ;   in Loop: Header=BB126_52 Depth=1
	v_cmp_gt_i32_e64 s[0:1], s29, v1
	v_add_u32_e32 v28, 1, v1
	v_cndmask_b32_e64 v2, 0, v2, s[0:1]
	v_cmp_gt_i32_e64 s[0:1], s29, v28
	v_add_u32_e32 v28, 2, v1
	v_cndmask_b32_e64 v27, 0, v27, s[0:1]
	;; [unrolled: 3-line block ×7, first 2 shown]
	v_cmp_gt_i32_e64 s[0:1], s29, v28
	v_cndmask_b32_e64 v24, 0, v24, s[0:1]
.LBB126_88:                             ;   in Loop: Header=BB126_52 Depth=1
	s_or_b64 exec, exec, s[14:15]
	v_and_b32_e32 v23, 0xffff0000, v23
	v_lshlrev_b32_e32 v2, 16, v2
	v_mul_f32_e32 v23, v23, v2
	v_and_b32_e32 v2, 0x7f800000, v23
	v_cmp_ne_u32_e64 s[0:1], s20, v2
                                        ; implicit-def: $vgpr2
	s_and_saveexec_b64 s[14:15], s[0:1]
	s_xor_b64 s[0:1], exec, s[14:15]
; %bb.89:                               ;   in Loop: Header=BB126_52 Depth=1
	v_bfe_u32 v2, v23, 16, 1
	v_add3_u32 v2, v23, v2, s21
                                        ; implicit-def: $vgpr23
; %bb.90:                               ;   in Loop: Header=BB126_52 Depth=1
	s_andn2_saveexec_b64 s[14:15], s[0:1]
; %bb.91:                               ;   in Loop: Header=BB126_52 Depth=1
	v_or_b32_e32 v2, 0x10000, v23
	v_cmp_eq_u32_sdwa s[0:1], v23, v19 src0_sel:WORD_0 src1_sel:DWORD
	v_cndmask_b32_e64 v2, v2, v23, s[0:1]
; %bb.92:                               ;   in Loop: Header=BB126_52 Depth=1
	s_or_b64 exec, exec, s[14:15]
	v_and_b32_e32 v22, 0xffff0000, v22
	v_lshlrev_b32_e32 v23, 16, v27
	v_mul_f32_e32 v23, v22, v23
	v_and_b32_e32 v22, 0x7f800000, v23
	v_cmp_ne_u32_e64 s[0:1], s20, v22
                                        ; implicit-def: $vgpr22
	s_and_saveexec_b64 s[14:15], s[0:1]
	s_xor_b64 s[0:1], exec, s[14:15]
; %bb.93:                               ;   in Loop: Header=BB126_52 Depth=1
	v_bfe_u32 v22, v23, 16, 1
	v_add3_u32 v22, v23, v22, s21
                                        ; implicit-def: $vgpr23
; %bb.94:                               ;   in Loop: Header=BB126_52 Depth=1
	s_andn2_saveexec_b64 s[14:15], s[0:1]
; %bb.95:                               ;   in Loop: Header=BB126_52 Depth=1
	v_or_b32_e32 v22, 0x10000, v23
	v_cmp_eq_u32_sdwa s[0:1], v23, v19 src0_sel:WORD_0 src1_sel:DWORD
	v_cndmask_b32_e64 v22, v22, v23, s[0:1]
; %bb.96:                               ;   in Loop: Header=BB126_52 Depth=1
	s_or_b64 exec, exec, s[14:15]
	v_and_b32_e32 v21, 0xffff0000, v21
	v_lshlrev_b32_e32 v3, 16, v3
	v_mul_f32_e32 v21, v21, v3
	v_and_b32_e32 v3, 0x7f800000, v21
	v_cmp_ne_u32_e64 s[0:1], s20, v3
                                        ; implicit-def: $vgpr3
	s_and_saveexec_b64 s[14:15], s[0:1]
	s_xor_b64 s[0:1], exec, s[14:15]
; %bb.97:                               ;   in Loop: Header=BB126_52 Depth=1
	v_bfe_u32 v3, v21, 16, 1
	v_add3_u32 v3, v21, v3, s21
                                        ; implicit-def: $vgpr21
; %bb.98:                               ;   in Loop: Header=BB126_52 Depth=1
	s_andn2_saveexec_b64 s[14:15], s[0:1]
; %bb.99:                               ;   in Loop: Header=BB126_52 Depth=1
	v_or_b32_e32 v3, 0x10000, v21
	v_cmp_eq_u32_sdwa s[0:1], v21, v19 src0_sel:WORD_0 src1_sel:DWORD
	v_cndmask_b32_e64 v3, v3, v21, s[0:1]
; %bb.100:                              ;   in Loop: Header=BB126_52 Depth=1
	s_or_b64 exec, exec, s[14:15]
	v_and_b32_e32 v20, 0xffff0000, v20
	v_lshlrev_b32_e32 v21, 16, v26
	v_mul_f32_e32 v21, v20, v21
	v_and_b32_e32 v20, 0x7f800000, v21
	v_cmp_ne_u32_e64 s[0:1], s20, v20
                                        ; implicit-def: $vgpr20
	s_and_saveexec_b64 s[14:15], s[0:1]
	s_xor_b64 s[0:1], exec, s[14:15]
; %bb.101:                              ;   in Loop: Header=BB126_52 Depth=1
	v_bfe_u32 v20, v21, 16, 1
	v_add3_u32 v20, v21, v20, s21
                                        ; implicit-def: $vgpr21
; %bb.102:                              ;   in Loop: Header=BB126_52 Depth=1
	s_andn2_saveexec_b64 s[14:15], s[0:1]
; %bb.103:                              ;   in Loop: Header=BB126_52 Depth=1
	v_or_b32_e32 v20, 0x10000, v21
	v_cmp_eq_u32_sdwa s[0:1], v21, v19 src0_sel:WORD_0 src1_sel:DWORD
	v_cndmask_b32_e64 v20, v20, v21, s[0:1]
; %bb.104:                              ;   in Loop: Header=BB126_52 Depth=1
	s_or_b64 exec, exec, s[14:15]
	v_and_b32_e32 v9, 0xffff0000, v9
	v_lshlrev_b32_e32 v4, 16, v4
	v_mul_f32_e32 v9, v9, v4
	v_and_b32_e32 v4, 0x7f800000, v9
	v_cmp_ne_u32_e64 s[0:1], s20, v4
                                        ; implicit-def: $vgpr4
	s_and_saveexec_b64 s[14:15], s[0:1]
	s_xor_b64 s[0:1], exec, s[14:15]
; %bb.105:                              ;   in Loop: Header=BB126_52 Depth=1
	v_bfe_u32 v4, v9, 16, 1
	v_add3_u32 v4, v9, v4, s21
                                        ; implicit-def: $vgpr9
; %bb.106:                              ;   in Loop: Header=BB126_52 Depth=1
	s_andn2_saveexec_b64 s[14:15], s[0:1]
; %bb.107:                              ;   in Loop: Header=BB126_52 Depth=1
	v_or_b32_e32 v4, 0x10000, v9
	v_cmp_eq_u32_sdwa s[0:1], v9, v19 src0_sel:WORD_0 src1_sel:DWORD
	v_cndmask_b32_e64 v4, v4, v9, s[0:1]
; %bb.108:                              ;   in Loop: Header=BB126_52 Depth=1
	s_or_b64 exec, exec, s[14:15]
	v_and_b32_e32 v8, 0xffff0000, v8
	v_lshlrev_b32_e32 v9, 16, v25
	v_mul_f32_e32 v9, v8, v9
	v_and_b32_e32 v8, 0x7f800000, v9
	v_cmp_ne_u32_e64 s[0:1], s20, v8
                                        ; implicit-def: $vgpr8
	s_and_saveexec_b64 s[14:15], s[0:1]
	s_xor_b64 s[0:1], exec, s[14:15]
; %bb.109:                              ;   in Loop: Header=BB126_52 Depth=1
	v_bfe_u32 v8, v9, 16, 1
	v_add3_u32 v8, v9, v8, s21
                                        ; implicit-def: $vgpr9
; %bb.110:                              ;   in Loop: Header=BB126_52 Depth=1
	s_andn2_saveexec_b64 s[14:15], s[0:1]
; %bb.111:                              ;   in Loop: Header=BB126_52 Depth=1
	v_or_b32_e32 v8, 0x10000, v9
	v_cmp_eq_u32_sdwa s[0:1], v9, v19 src0_sel:WORD_0 src1_sel:DWORD
	v_cndmask_b32_e64 v8, v8, v9, s[0:1]
; %bb.112:                              ;   in Loop: Header=BB126_52 Depth=1
	s_or_b64 exec, exec, s[14:15]
	v_and_b32_e32 v7, 0xffff0000, v7
	v_lshlrev_b32_e32 v5, 16, v5
	v_mul_f32_e32 v7, v7, v5
	v_and_b32_e32 v5, 0x7f800000, v7
	v_cmp_ne_u32_e64 s[0:1], s20, v5
                                        ; implicit-def: $vgpr5
	s_and_saveexec_b64 s[14:15], s[0:1]
	s_xor_b64 s[0:1], exec, s[14:15]
; %bb.113:                              ;   in Loop: Header=BB126_52 Depth=1
	v_bfe_u32 v5, v7, 16, 1
	v_add3_u32 v5, v7, v5, s21
                                        ; implicit-def: $vgpr7
; %bb.114:                              ;   in Loop: Header=BB126_52 Depth=1
	s_andn2_saveexec_b64 s[14:15], s[0:1]
; %bb.115:                              ;   in Loop: Header=BB126_52 Depth=1
	v_or_b32_e32 v5, 0x10000, v7
	v_cmp_eq_u32_sdwa s[0:1], v7, v19 src0_sel:WORD_0 src1_sel:DWORD
	v_cndmask_b32_e64 v5, v5, v7, s[0:1]
; %bb.116:                              ;   in Loop: Header=BB126_52 Depth=1
	s_or_b64 exec, exec, s[14:15]
	v_and_b32_e32 v6, 0xffff0000, v6
	v_lshlrev_b32_e32 v7, 16, v24
	v_mul_f32_e32 v6, v6, v7
	v_and_b32_e32 v7, 0x7f800000, v6
	v_cmp_ne_u32_e64 s[0:1], s20, v7
                                        ; implicit-def: $vgpr7
	s_and_saveexec_b64 s[14:15], s[0:1]
	s_xor_b64 s[0:1], exec, s[14:15]
; %bb.117:                              ;   in Loop: Header=BB126_52 Depth=1
	v_bfe_u32 v7, v6, 16, 1
	v_add3_u32 v7, v6, v7, s21
                                        ; implicit-def: $vgpr6
; %bb.118:                              ;   in Loop: Header=BB126_52 Depth=1
	s_andn2_saveexec_b64 s[14:15], s[0:1]
	s_cbranch_execz .LBB126_49
; %bb.119:                              ;   in Loop: Header=BB126_52 Depth=1
	v_or_b32_e32 v7, 0x10000, v6
	v_cmp_eq_u32_sdwa s[0:1], v6, v19 src0_sel:WORD_0 src1_sel:DWORD
	v_cndmask_b32_e64 v7, v7, v6, s[0:1]
	s_branch .LBB126_49
.LBB126_120:
	s_or_b64 exec, exec, s[10:11]
.LBB126_121:
	s_or_b64 exec, exec, s[6:7]
	v_and_b32_e32 v1, 0x3c0, v0
	v_cmp_eq_u32_e64 s[0:1], 64, v1
	v_cmp_gt_u32_e32 vcc, 32, v14
	s_and_b64 s[2:3], s[0:1], vcc
	s_barrier
	s_and_saveexec_b64 s[0:1], s[2:3]
	s_cbranch_execz .LBB126_123
; %bb.122:
	v_mov_b32_e32 v1, 0x50
	v_lshl_add_u32 v1, v14, 2, v1
	ds_write_b32 v1, v15
.LBB126_123:
	s_or_b64 exec, exec, s[0:1]
	v_cmp_gt_u32_e64 s[0:1], 64, v0
	s_and_b64 s[0:1], s[0:1], vcc
	s_waitcnt lgkmcnt(0)
	s_barrier
	s_and_saveexec_b64 s[2:3], s[0:1]
	s_cbranch_execz .LBB126_125
; %bb.124:
	v_mov_b32_e32 v0, 0x50
	v_lshl_add_u32 v0, v14, 2, v0
	ds_read_b32 v0, v0
	s_waitcnt lgkmcnt(0)
	v_add_f32_e32 v15, v15, v0
.LBB126_125:
	s_or_b64 exec, exec, s[2:3]
	s_barrier
	s_and_saveexec_b64 s[2:3], s[0:1]
	s_cbranch_execz .LBB126_131
; %bb.126:
	s_mov_b32 s0, 0x7f800000
	v_and_b32_e32 v0, 0x7f800000, v15
	v_cmp_ne_u32_e32 vcc, s0, v0
                                        ; implicit-def: $vgpr0
	s_and_saveexec_b64 s[0:1], vcc
	s_xor_b64 s[0:1], exec, s[0:1]
; %bb.127:
	v_bfe_u32 v0, v15, 16, 1
	s_movk_i32 s2, 0x7fff
	v_add3_u32 v0, v15, v0, s2
                                        ; implicit-def: $vgpr15
; %bb.128:
	s_andn2_saveexec_b64 s[0:1], s[0:1]
; %bb.129:
	v_mov_b32_e32 v0, 0
	v_or_b32_e32 v1, 0x10000, v15
	v_cmp_eq_u32_sdwa vcc, v15, v0 src0_sel:WORD_0 src1_sel:DWORD
	v_cndmask_b32_e32 v0, v1, v15, vcc
; %bb.130:
	s_or_b64 exec, exec, s[0:1]
	s_lshl_b32 s0, s4, 5
	s_ashr_i32 s1, s0, 31
	s_lshl_b64 s[0:1], s[0:1], 1
	s_add_u32 s2, s26, s0
	s_mul_i32 s0, s16, s24
	s_addc_u32 s3, s27, s1
	s_ashr_i32 s1, s0, 31
	s_lshl_b64 s[0:1], s[0:1], 1
	s_add_u32 s2, s2, s0
	s_addc_u32 s3, s3, s1
	s_lshl_b32 s0, s8, 5
	s_ashr_i32 s1, s0, 31
	s_lshl_b64 s[0:1], s[0:1], 1
	s_add_u32 s0, s2, s0
	s_addc_u32 s1, s3, s1
	v_lshlrev_b32_e32 v1, 1, v14
	global_store_short_d16_hi v1, v0, s[0:1]
.LBB126_131:
	s_endpgm
	.section	.rodata,"a",@progbits
	.p2align	6, 0x0
	.amdhsa_kernel _ZN4vllm25paged_attention_v2_kernelI14__hip_bfloat16S1_Li32ELi8ELi128ELNS_18Fp8KVCacheDataTypeE0ELb1ELi512EEEvPfS3_PT_PKS4_PKT0_SA_ifPKiSC_iPKfiiiSE_SE_iiiii
		.amdhsa_group_segment_fixed_size 80
		.amdhsa_private_segment_fixed_size 0
		.amdhsa_kernarg_size 400
		.amdhsa_user_sgpr_count 6
		.amdhsa_user_sgpr_private_segment_buffer 1
		.amdhsa_user_sgpr_dispatch_ptr 0
		.amdhsa_user_sgpr_queue_ptr 0
		.amdhsa_user_sgpr_kernarg_segment_ptr 1
		.amdhsa_user_sgpr_dispatch_id 0
		.amdhsa_user_sgpr_flat_scratch_init 0
		.amdhsa_user_sgpr_kernarg_preload_length 0
		.amdhsa_user_sgpr_kernarg_preload_offset 0
		.amdhsa_user_sgpr_private_segment_size 0
		.amdhsa_uses_dynamic_stack 0
		.amdhsa_system_sgpr_private_segment_wavefront_offset 0
		.amdhsa_system_sgpr_workgroup_id_x 1
		.amdhsa_system_sgpr_workgroup_id_y 1
		.amdhsa_system_sgpr_workgroup_id_z 1
		.amdhsa_system_sgpr_workgroup_info 0
		.amdhsa_system_vgpr_workitem_id 0
		.amdhsa_next_free_vgpr 33
		.amdhsa_next_free_sgpr 52
		.amdhsa_accum_offset 36
		.amdhsa_reserve_vcc 1
		.amdhsa_reserve_flat_scratch 0
		.amdhsa_float_round_mode_32 0
		.amdhsa_float_round_mode_16_64 0
		.amdhsa_float_denorm_mode_32 3
		.amdhsa_float_denorm_mode_16_64 3
		.amdhsa_dx10_clamp 1
		.amdhsa_ieee_mode 1
		.amdhsa_fp16_overflow 0
		.amdhsa_tg_split 0
		.amdhsa_exception_fp_ieee_invalid_op 0
		.amdhsa_exception_fp_denorm_src 0
		.amdhsa_exception_fp_ieee_div_zero 0
		.amdhsa_exception_fp_ieee_overflow 0
		.amdhsa_exception_fp_ieee_underflow 0
		.amdhsa_exception_fp_ieee_inexact 0
		.amdhsa_exception_int_div_zero 0
	.end_amdhsa_kernel
	.section	.text._ZN4vllm25paged_attention_v2_kernelI14__hip_bfloat16S1_Li32ELi8ELi128ELNS_18Fp8KVCacheDataTypeE0ELb1ELi512EEEvPfS3_PT_PKS4_PKT0_SA_ifPKiSC_iPKfiiiSE_SE_iiiii,"axG",@progbits,_ZN4vllm25paged_attention_v2_kernelI14__hip_bfloat16S1_Li32ELi8ELi128ELNS_18Fp8KVCacheDataTypeE0ELb1ELi512EEEvPfS3_PT_PKS4_PKT0_SA_ifPKiSC_iPKfiiiSE_SE_iiiii,comdat
.Lfunc_end126:
	.size	_ZN4vllm25paged_attention_v2_kernelI14__hip_bfloat16S1_Li32ELi8ELi128ELNS_18Fp8KVCacheDataTypeE0ELb1ELi512EEEvPfS3_PT_PKS4_PKT0_SA_ifPKiSC_iPKfiiiSE_SE_iiiii, .Lfunc_end126-_ZN4vllm25paged_attention_v2_kernelI14__hip_bfloat16S1_Li32ELi8ELi128ELNS_18Fp8KVCacheDataTypeE0ELb1ELi512EEEvPfS3_PT_PKS4_PKT0_SA_ifPKiSC_iPKfiiiSE_SE_iiiii
                                        ; -- End function
	.section	.AMDGPU.csdata,"",@progbits
; Kernel info:
; codeLenInByte = 5684
; NumSgprs: 56
; NumVgprs: 33
; NumAgprs: 0
; TotalNumVgprs: 33
; ScratchSize: 0
; MemoryBound: 0
; FloatMode: 240
; IeeeMode: 1
; LDSByteSize: 80 bytes/workgroup (compile time only)
; SGPRBlocks: 6
; VGPRBlocks: 4
; NumSGPRsForWavesPerEU: 56
; NumVGPRsForWavesPerEU: 33
; AccumOffset: 36
; Occupancy: 8
; WaveLimiterHint : 1
; COMPUTE_PGM_RSRC2:SCRATCH_EN: 0
; COMPUTE_PGM_RSRC2:USER_SGPR: 6
; COMPUTE_PGM_RSRC2:TRAP_HANDLER: 0
; COMPUTE_PGM_RSRC2:TGID_X_EN: 1
; COMPUTE_PGM_RSRC2:TGID_Y_EN: 1
; COMPUTE_PGM_RSRC2:TGID_Z_EN: 1
; COMPUTE_PGM_RSRC2:TIDIG_COMP_CNT: 0
; COMPUTE_PGM_RSRC3_GFX90A:ACCUM_OFFSET: 8
; COMPUTE_PGM_RSRC3_GFX90A:TG_SPLIT: 0
	.section	.text._ZN4vllm32paged_attention_v2_reduce_kernelI14__hip_bfloat16Li32ELi128ELi512EEEvPT_PKfS5_PKS2_PKii,"axG",@progbits,_ZN4vllm32paged_attention_v2_reduce_kernelI14__hip_bfloat16Li32ELi128ELi512EEEvPT_PKfS5_PKS2_PKii,comdat
	.protected	_ZN4vllm32paged_attention_v2_reduce_kernelI14__hip_bfloat16Li32ELi128ELi512EEEvPT_PKfS5_PKS2_PKii ; -- Begin function _ZN4vllm32paged_attention_v2_reduce_kernelI14__hip_bfloat16Li32ELi128ELi512EEEvPT_PKfS5_PKS2_PKii
	.globl	_ZN4vllm32paged_attention_v2_reduce_kernelI14__hip_bfloat16Li32ELi128ELi512EEEvPT_PKfS5_PKS2_PKii
	.p2align	8
	.type	_ZN4vllm32paged_attention_v2_reduce_kernelI14__hip_bfloat16Li32ELi128ELi512EEEvPT_PKfS5_PKS2_PKii,@function
_ZN4vllm32paged_attention_v2_reduce_kernelI14__hip_bfloat16Li32ELi128ELi512EEEvPT_PKfS5_PKS2_PKii: ; @_ZN4vllm32paged_attention_v2_reduce_kernelI14__hip_bfloat16Li32ELi128ELi512EEEvPT_PKfS5_PKS2_PKii
; %bb.0:
	s_load_dwordx4 s[8:11], s[4:5], 0x18
	s_add_u32 s12, s4, 48
	s_mov_b32 s14, s7
	s_addc_u32 s13, s5, 0
	s_ashr_i32 s15, s7, 31
	s_lshl_b64 s[0:1], s[14:15], 2
	s_waitcnt lgkmcnt(0)
	s_add_u32 s0, s10, s0
	s_addc_u32 s1, s11, s1
	s_load_dword s24, s[0:1], 0x0
	s_load_dwordx2 s[10:11], s[4:5], 0x0
	s_load_dword s7, s[4:5], 0x28
	s_load_dword s15, s[4:5], 0x30
	s_waitcnt lgkmcnt(0)
	s_add_i32 s0, s24, -1
	s_cmpk_gt_u32 s0, 0x1ff
	s_mov_b64 s[0:1], -1
	s_cbranch_scc0 .LBB127_29
; %bb.1:
	s_add_i32 s0, s24, 0x1ff
	s_load_dwordx2 s[20:21], s[4:5], 0x8
	s_ashr_i32 s1, s0, 31
	s_lshr_b32 s1, s1, 23
	s_add_i32 s0, s0, s1
	s_mul_i32 s22, s15, s14
	s_ashr_i32 s23, s0, 9
	s_mul_i32 s16, s22, s7
	s_mul_i32 s18, s6, s7
	s_ashr_i32 s17, s16, 31
	s_ashr_i32 s19, s18, 31
	v_cmp_gt_i32_e32 vcc, s23, v0
	v_mov_b32_e32 v5, 0xff7fffff
	v_lshlrev_b32_e32 v1, 2, v0
	s_and_saveexec_b64 s[2:3], vcc
	s_cbranch_execz .LBB127_5
; %bb.2:
	s_load_dword s25, s[12:13], 0xc
	s_load_dwordx2 s[0:1], s[4:5], 0x10
	s_lshl_b64 s[4:5], s[16:17], 2
	s_lshl_b64 s[26:27], s[18:19], 2
	s_mov_b32 s28, 0
	s_waitcnt lgkmcnt(0)
	s_and_b32 s25, s25, 0xffff
	s_add_u32 s4, s4, s26
	s_addc_u32 s5, s5, s27
	s_add_u32 s0, s0, s4
	s_addc_u32 s1, s1, s5
	v_mov_b32_e32 v3, s1
	v_add_co_u32_e64 v2, s[0:1], s0, v1
	v_addc_co_u32_e64 v3, s[0:1], 0, v3, s[0:1]
	s_lshl_b32 s26, s25, 2
	v_add_u32_e32 v4, 16, v1
	s_mov_b64 s[4:5], 0
	v_mov_b32_e32 v5, 0xff7fffff
	v_mov_b32_e32 v6, s28
	;; [unrolled: 1-line block ×3, first 2 shown]
.LBB127_3:                              ; =>This Inner Loop Header: Depth=1
	global_load_dword v8, v[2:3], off
	v_add_co_u32_e64 v2, s[0:1], s26, v2
	v_add_u32_e32 v7, s25, v7
	v_addc_co_u32_e64 v3, s[0:1], v3, v6, s[0:1]
	v_max_f32_e32 v5, v5, v5
	v_cmp_le_i32_e64 s[0:1], s23, v7
	s_or_b64 s[4:5], s[0:1], s[4:5]
	s_waitcnt vmcnt(0)
	ds_write_b32 v4, v8
	v_max_f32_e32 v8, v8, v8
	v_add_u32_e32 v4, s26, v4
	v_max_f32_e32 v5, v5, v8
	s_andn2_b64 exec, exec, s[4:5]
	s_cbranch_execnz .LBB127_3
; %bb.4:
	s_or_b64 exec, exec, s[4:5]
.LBB127_5:
	s_or_b64 exec, exec, s[2:3]
	v_mbcnt_lo_u32_b32 v2, -1, 0
	v_mbcnt_hi_u32_b32 v2, -1, v2
	v_and_b32_e32 v3, 64, v2
	v_add_u32_e32 v6, 64, v3
	v_xor_b32_e32 v3, 32, v2
	v_cmp_lt_i32_e64 s[0:1], v3, v6
	v_cndmask_b32_e64 v3, v2, v3, s[0:1]
	v_lshlrev_b32_e32 v4, 2, v3
	ds_bpermute_b32 v3, v4, v5
	v_xor_b32_e32 v7, 16, v2
	v_max_f32_e32 v5, v5, v5
	v_cmp_lt_i32_e64 s[0:1], v7, v6
	v_xor_b32_e32 v8, 8, v2
	s_waitcnt lgkmcnt(0)
	v_max_f32_e32 v3, v3, v3
	v_max_f32_e32 v3, v5, v3
	v_cndmask_b32_e64 v5, v2, v7, s[0:1]
	v_lshlrev_b32_e32 v5, 2, v5
	ds_bpermute_b32 v7, v5, v3
	v_cmp_lt_i32_e64 s[0:1], v8, v6
	v_xor_b32_e32 v9, 4, v2
	v_xor_b32_e32 v10, 2, v2
	v_lshrrev_b32_e32 v13, 6, v0
	s_waitcnt lgkmcnt(0)
	v_max_f32_e32 v7, v7, v7
	v_max_f32_e32 v3, v3, v7
	v_cndmask_b32_e64 v7, v2, v8, s[0:1]
	v_lshlrev_b32_e32 v7, 2, v7
	ds_bpermute_b32 v8, v7, v3
	v_cmp_lt_i32_e64 s[0:1], v9, v6
	s_waitcnt lgkmcnt(0)
	s_barrier
	v_max_f32_e32 v8, v8, v8
	v_max_f32_e32 v3, v3, v8
	v_cndmask_b32_e64 v8, v2, v9, s[0:1]
	v_lshlrev_b32_e32 v8, 2, v8
	ds_bpermute_b32 v9, v8, v3
	v_cmp_lt_i32_e64 s[0:1], v10, v6
	s_waitcnt lgkmcnt(0)
	v_max_f32_e32 v9, v9, v9
	v_max_f32_e32 v11, v3, v9
	v_cndmask_b32_e64 v3, v2, v10, s[0:1]
	v_lshlrev_b32_e32 v9, 2, v3
	ds_bpermute_b32 v10, v9, v11
	v_and_b32_e32 v3, 63, v0
	s_waitcnt lgkmcnt(0)
	v_max_f32_e32 v10, v10, v10
	v_max_f32_e32 v11, v11, v10
	v_xor_b32_e32 v10, 1, v2
	v_cmp_lt_i32_e64 s[0:1], v10, v6
	v_cndmask_b32_e64 v6, v2, v10, s[0:1]
	v_lshlrev_b32_e32 v6, 2, v6
	ds_bpermute_b32 v12, v6, v11
	v_cmp_eq_u32_e64 s[0:1], 0, v3
	v_lshlrev_b32_e32 v10, 2, v13
	s_and_saveexec_b64 s[2:3], s[0:1]
	s_cbranch_execz .LBB127_7
; %bb.6:
	s_waitcnt lgkmcnt(0)
	v_max_f32_e32 v12, v12, v12
	v_max_f32_e32 v11, v11, v11
	;; [unrolled: 1-line block ×3, first 2 shown]
	ds_write_b32 v10, v11
.LBB127_7:
	s_or_b64 exec, exec, s[2:3]
	v_cmp_gt_u32_e64 s[2:3], 2, v3
	s_waitcnt lgkmcnt(0)
	v_mov_b32_e32 v12, 0xff7fffff
	v_lshlrev_b32_e32 v11, 2, v3
	s_barrier
	s_and_saveexec_b64 s[4:5], s[2:3]
	s_cbranch_execz .LBB127_9
; %bb.8:
	ds_read_b32 v12, v11
.LBB127_9:
	s_or_b64 exec, exec, s[4:5]
	s_waitcnt lgkmcnt(0)
	ds_bpermute_b32 v3, v6, v12
	v_max_f32_e32 v12, v12, v12
	v_lshlrev_b32_e32 v2, 2, v2
	s_lshl_b32 s25, s23, 2
	v_mov_b32_e32 v14, 0
	s_waitcnt lgkmcnt(0)
	v_max_f32_e32 v3, v3, v3
	v_max_f32_e32 v3, v12, v3
	v_and_b32_e32 v12, 0x100, v2
	ds_bpermute_b32 v13, v12, v3
	s_and_saveexec_b64 s[4:5], vcc
	s_cbranch_execz .LBB127_13
; %bb.10:
	s_load_dword s30, s[12:13], 0xc
	s_lshl_b64 s[26:27], s[16:17], 2
	s_lshl_b64 s[28:29], s[18:19], 2
	s_mov_b32 s31, 0
	v_mov_b32_e32 v14, 0
	s_waitcnt lgkmcnt(0)
	s_and_b32 s17, s30, 0xffff
	s_add_u32 s19, s26, s28
	s_addc_u32 s26, s27, s29
	s_add_u32 s19, s20, s19
	s_addc_u32 s20, s21, s26
	v_mov_b32_e32 v3, s20
	v_add_co_u32_e32 v2, vcc, s19, v1
	v_addc_co_u32_e32 v3, vcc, 0, v3, vcc
	s_lshl_b32 s19, s17, 2
	v_add_u32_e32 v1, 16, v1
	s_mov_b64 s[20:21], 0
	s_mov_b32 s26, 0x3fb8aa3b
	s_mov_b32 s27, 0xc2ce8ed0
	;; [unrolled: 1-line block ×3, first 2 shown]
	v_mov_b32_e32 v15, 0x7f800000
	v_mov_b32_e32 v16, s31
	;; [unrolled: 1-line block ×3, first 2 shown]
.LBB127_11:                             ; =>This Inner Loop Header: Depth=1
	global_load_dword v18, v[2:3], off
	ds_read_b32 v19, v1
	v_add_co_u32_e32 v2, vcc, s19, v2
	v_add_u32_e32 v17, s17, v17
	v_addc_co_u32_e32 v3, vcc, v3, v16, vcc
	s_waitcnt lgkmcnt(0)
	v_sub_f32_e32 v19, v19, v13
	v_mul_f32_e32 v21, 0x3fb8aa3b, v19
	v_fma_f32 v22, v19, s26, -v21
	v_rndne_f32_e32 v23, v21
	v_fmac_f32_e32 v22, 0x32a5705f, v19
	v_sub_f32_e32 v21, v21, v23
	v_add_f32_e32 v21, v21, v22
	v_cvt_i32_f32_e32 v23, v23
	v_exp_f32_e32 v21, v21
	v_cmp_le_i32_e32 vcc, s23, v17
	s_or_b64 s[20:21], vcc, s[20:21]
	v_cmp_ngt_f32_e32 vcc, s27, v19
	v_ldexp_f32 v21, v21, v23
	v_cndmask_b32_e32 v21, 0, v21, vcc
	v_cmp_nlt_f32_e32 vcc, s28, v19
	v_cndmask_b32_e32 v19, v15, v21, vcc
	v_add_u32_e32 v20, s25, v1
	v_add_u32_e32 v1, s19, v1
	s_waitcnt vmcnt(0)
	v_mul_f32_e32 v21, v18, v19
	v_fmac_f32_e32 v14, v18, v19
	ds_write_b32 v20, v21
	s_andn2_b64 exec, exec, s[20:21]
	s_cbranch_execnz .LBB127_11
; %bb.12:
	s_or_b64 exec, exec, s[20:21]
.LBB127_13:
	s_or_b64 exec, exec, s[4:5]
	ds_bpermute_b32 v1, v4, v14
	s_waitcnt lgkmcnt(0)
	s_barrier
	v_add_f32_e32 v1, v14, v1
	ds_bpermute_b32 v2, v5, v1
	s_waitcnt lgkmcnt(0)
	v_add_f32_e32 v1, v1, v2
	ds_bpermute_b32 v2, v7, v1
	s_waitcnt lgkmcnt(0)
	;; [unrolled: 3-line block ×5, first 2 shown]
	v_add_f32_e32 v1, v1, v2
	s_and_saveexec_b64 s[4:5], s[0:1]
	s_cbranch_execz .LBB127_15
; %bb.14:
	ds_write_b32 v10, v1 offset:8
.LBB127_15:
	s_or_b64 exec, exec, s[4:5]
	s_waitcnt lgkmcnt(0)
	s_barrier
	s_and_saveexec_b64 s[0:1], s[2:3]
	s_cbranch_execz .LBB127_17
; %bb.16:
	ds_read_b32 v1, v11 offset:8
.LBB127_17:
	s_or_b64 exec, exec, s[0:1]
	s_waitcnt lgkmcnt(0)
	ds_bpermute_b32 v2, v6, v1
	v_cmp_gt_u32_e32 vcc, 32, v0
	s_waitcnt lgkmcnt(0)
	v_add_f32_e32 v1, v1, v2
	ds_bpermute_b32 v2, v12, v1
	s_and_saveexec_b64 s[0:1], vcc
	s_cbranch_execz .LBB127_28
; %bb.18:
	s_cmp_gt_i32 s24, 0
	s_mov_b32 s4, 0
	s_cbranch_scc1 .LBB127_20
; %bb.19:
	v_mov_b32_e32 v1, 0
	v_mov_b32_e32 v4, s4
	s_cbranch_execz .LBB127_21
	s_branch .LBB127_23
.LBB127_20:
                                        ; implicit-def: $sgpr4
	v_mov_b32_e32 v4, s4
.LBB127_21:
	s_waitcnt lgkmcnt(0)
	v_add_f32_e32 v1, 0x358637bd, v2
	v_div_scale_f32 v2, s[2:3], v1, v1, 1.0
	v_rcp_f32_e32 v3, v2
	s_lshl_b32 s4, s16, 5
	s_lshl_b32 s16, s18, 5
	s_ashr_i32 s5, s4, 31
	v_fma_f32 v4, -v2, v3, 1.0
	v_fmac_f32_e32 v3, v4, v3
	v_div_scale_f32 v4, vcc, 1.0, v1, 1.0
	v_mul_f32_e32 v5, v4, v3
	s_ashr_i32 s17, s16, 31
	s_max_i32 s2, s23, 1
	v_fma_f32 v6, -v2, v5, v4
	s_add_i32 s3, s25, 16
	s_lshl_b64 s[4:5], s[4:5], 1
	s_lshl_b64 s[16:17], s[16:17], 1
	v_fmac_f32_e32 v5, v6, v3
	s_add_u32 s4, s4, s16
	v_fma_f32 v2, -v2, v5, v4
	s_addc_u32 s5, s5, s17
	v_div_fmas_f32 v2, v2, v3, v5
	s_add_u32 s4, s8, s4
	v_div_fixup_f32 v5, v2, v1, 1.0
	v_lshlrev_b32_e32 v2, 1, v0
	s_addc_u32 s5, s9, s5
	v_mov_b32_e32 v1, 0
	v_mov_b32_e32 v3, s5
	v_add_co_u32_e32 v2, vcc, s4, v2
	v_addc_co_u32_e32 v3, vcc, 0, v3, vcc
	v_mov_b32_e32 v4, v1
.LBB127_22:                             ; =>This Inner Loop Header: Depth=1
	global_load_ushort v6, v[2:3], off
	v_mov_b32_e32 v7, s3
	ds_read_b32 v7, v7
	s_add_i32 s2, s2, -1
	v_add_co_u32_e32 v2, vcc, 64, v2
	s_add_i32 s3, s3, 4
	v_addc_co_u32_e32 v3, vcc, 0, v3, vcc
	s_cmp_eq_u32 s2, 0
	s_waitcnt vmcnt(0)
	v_lshlrev_b32_e32 v6, 16, v6
	s_waitcnt lgkmcnt(0)
	v_mul_f32_e32 v6, v7, v6
	v_fmac_f32_e32 v4, v5, v6
	s_cbranch_scc0 .LBB127_22
.LBB127_23:
	s_mov_b32 s2, 0x7f800000
	s_waitcnt lgkmcnt(0)
	v_and_b32_e32 v2, 0x7f800000, v4
	v_cmp_ne_u32_e32 vcc, s2, v2
                                        ; implicit-def: $vgpr2
	s_and_saveexec_b64 s[2:3], vcc
	s_xor_b64 s[2:3], exec, s[2:3]
; %bb.24:
	v_bfe_u32 v2, v4, 16, 1
	s_movk_i32 s4, 0x7fff
	v_add3_u32 v2, v4, v2, s4
                                        ; implicit-def: $vgpr4
; %bb.25:
	s_andn2_saveexec_b64 s[2:3], s[2:3]
; %bb.26:
	v_mov_b32_e32 v2, 0
	v_or_b32_e32 v3, 0x10000, v4
	v_cmp_eq_u32_sdwa vcc, v4, v2 src0_sel:WORD_0 src1_sel:DWORD
	v_cndmask_b32_e32 v2, v3, v4, vcc
; %bb.27:
	s_or_b64 exec, exec, s[2:3]
	s_lshl_b32 s2, s22, 5
	s_ashr_i32 s3, s2, 31
	s_lshl_b64 s[2:3], s[2:3], 1
	s_add_u32 s4, s10, s2
	s_addc_u32 s5, s11, s3
	s_lshl_b32 s2, s6, 5
	s_ashr_i32 s3, s2, 31
	s_lshl_b64 s[2:3], s[2:3], 1
	s_add_u32 s2, s4, s2
	s_addc_u32 s3, s5, s3
	v_lshlrev_b64 v[4:5], 1, v[0:1]
	v_mov_b32_e32 v1, s3
	v_add_co_u32_e32 v4, vcc, s2, v4
	v_addc_co_u32_e32 v5, vcc, v1, v5, vcc
	global_store_short_d16_hi v[4:5], v2, off
.LBB127_28:
	s_or_b64 exec, exec, s[0:1]
	s_mov_b64 s[0:1], 0
.LBB127_29:
	s_and_b64 vcc, exec, s[0:1]
	s_cbranch_vccz .LBB127_38
; %bb.30:
	v_cmp_gt_u32_e32 vcc, 32, v0
	s_and_saveexec_b64 s[0:1], vcc
	s_cbranch_execz .LBB127_38
; %bb.31:
	s_mul_i32 s15, s15, s14
	s_lshl_b32 s0, s15, 5
	s_ashr_i32 s1, s0, 31
	s_lshl_b64 s[0:1], s[0:1], 1
	s_add_u32 s2, s10, s0
	s_addc_u32 s3, s11, s1
	s_lshl_b32 s0, s6, 5
	s_ashr_i32 s1, s0, 31
	s_lshl_b64 s[0:1], s[0:1], 1
	s_add_u32 s4, s2, s0
	s_mul_i32 s0, s7, s15
	s_addc_u32 s10, s3, s1
	s_lshl_b32 s0, s0, 5
	s_ashr_i32 s1, s0, 31
	s_lshl_b64 s[0:1], s[0:1], 1
	s_add_u32 s2, s8, s0
	s_mul_i32 s6, s6, s7
	s_addc_u32 s3, s9, s1
	s_lshl_b32 s0, s6, 5
	s_load_dword s6, s[12:13], 0xc
	s_ashr_i32 s1, s0, 31
	s_lshl_b64 s[0:1], s[0:1], 1
	s_add_u32 s5, s2, s0
	s_addc_u32 s7, s3, s1
	s_waitcnt lgkmcnt(0)
	s_and_b32 s6, s6, 0xffff
	v_cvt_f32_u32_e32 v1, s6
	v_add_u32_e32 v2, s6, v0
	v_mov_b32_e32 v4, s6
	v_cmp_gt_u32_e32 vcc, 32, v2
	v_rcp_iflag_f32_e32 v1, v1
	s_cmp_eq_u32 s6, 1
	v_max_u32_e32 v3, 32, v2
	v_addc_co_u32_e64 v2, s[0:1], v0, v4, vcc
	v_mul_f32_e32 v1, 0x4f7ffffe, v1
	v_cvt_u32_f32_e32 v1, v1
	s_cselect_b64 s[2:3], -1, 0
	s_sub_i32 s0, 0, s6
	v_sub_u32_e32 v2, v3, v2
	v_mul_lo_u32 v3, s0, v1
	v_mul_hi_u32 v3, v1, v3
	v_add_u32_e32 v1, v1, v3
	v_mul_hi_u32 v1, v2, v1
	v_mul_lo_u32 v3, v1, s6
	v_sub_u32_e32 v2, v2, v3
	v_add_u32_e32 v3, 1, v1
	v_cmp_le_u32_e64 s[0:1], s6, v2
	v_cndmask_b32_e64 v1, v1, v3, s[0:1]
	v_subrev_u32_e32 v3, s6, v2
	v_cndmask_b32_e64 v2, v2, v3, s[0:1]
	v_add_u32_e32 v3, 1, v1
	v_cmp_le_u32_e64 s[0:1], s6, v2
	v_cndmask_b32_e64 v1, v1, v3, s[0:1]
	v_addc_co_u32_e32 v1, vcc, 1, v1, vcc
	v_cmp_lt_u32_e32 vcc, 15, v1
	s_and_b64 s[8:9], vcc, s[2:3]
	s_mov_b64 s[2:3], -1
	s_and_saveexec_b64 s[0:1], s[8:9]
	s_cbranch_execz .LBB127_35
; %bb.32:
	v_and_b32_e32 v4, -16, v1
	s_mov_b64 s[2:3], 0
	v_mov_b32_e32 v3, 0
	v_mov_b32_e32 v5, s7
	;; [unrolled: 1-line block ×5, first 2 shown]
.LBB127_33:                             ; =>This Inner Loop Header: Depth=1
	v_lshlrev_b64 v[16:17], 1, v[2:3]
	v_add_co_u32_e32 v18, vcc, s5, v16
	v_addc_co_u32_e32 v19, vcc, v5, v17, vcc
	global_load_dwordx4 v[8:11], v[18:19], off
	global_load_dwordx4 v[12:15], v[18:19], off offset:16
	v_add_co_u32_e32 v16, vcc, s4, v16
	v_add_u32_e32 v7, -16, v7
	v_addc_co_u32_e32 v17, vcc, v6, v17, vcc
	v_cmp_eq_u32_e32 vcc, 0, v7
	v_add_u32_e32 v2, 16, v2
	s_or_b64 s[2:3], vcc, s[2:3]
	s_waitcnt vmcnt(1)
	global_store_dwordx4 v[16:17], v[8:11], off
	s_waitcnt vmcnt(1)
	global_store_dwordx4 v[16:17], v[12:15], off offset:16
	s_andn2_b64 exec, exec, s[2:3]
	s_cbranch_execnz .LBB127_33
; %bb.34:
	s_or_b64 exec, exec, s[2:3]
	v_cmp_ne_u32_e32 vcc, v1, v4
	v_add_u32_e32 v0, v0, v4
	s_orn2_b64 s[2:3], vcc, exec
.LBB127_35:
	s_or_b64 exec, exec, s[0:1]
	s_and_b64 exec, exec, s[2:3]
	s_cbranch_execz .LBB127_38
; %bb.36:
	s_mov_b32 s3, 0
	v_mov_b32_e32 v1, 0
	v_lshlrev_b64 v[2:3], 1, v[0:1]
	s_lshl_b32 s2, s6, 1
	s_mov_b64 s[0:1], 0
	v_mov_b32_e32 v1, s7
	v_mov_b32_e32 v4, s10
	v_mov_b32_e32 v5, s3
.LBB127_37:                             ; =>This Inner Loop Header: Depth=1
	v_add_co_u32_e32 v6, vcc, s5, v2
	v_addc_co_u32_e32 v7, vcc, v1, v3, vcc
	global_load_ushort v8, v[6:7], off
	v_add_co_u32_e32 v6, vcc, s4, v2
	v_addc_co_u32_e32 v7, vcc, v4, v3, vcc
	v_add_co_u32_e32 v2, vcc, s2, v2
	v_add_u32_e32 v0, s6, v0
	v_addc_co_u32_e32 v3, vcc, v3, v5, vcc
	v_cmp_lt_u32_e32 vcc, 31, v0
	s_or_b64 s[0:1], vcc, s[0:1]
	s_waitcnt vmcnt(0)
	global_store_short v[6:7], v8, off
	s_andn2_b64 exec, exec, s[0:1]
	s_cbranch_execnz .LBB127_37
.LBB127_38:
	s_endpgm
	.section	.rodata,"a",@progbits
	.p2align	6, 0x0
	.amdhsa_kernel _ZN4vllm32paged_attention_v2_reduce_kernelI14__hip_bfloat16Li32ELi128ELi512EEEvPT_PKfS5_PKS2_PKii
		.amdhsa_group_segment_fixed_size 16
		.amdhsa_private_segment_fixed_size 0
		.amdhsa_kernarg_size 304
		.amdhsa_user_sgpr_count 6
		.amdhsa_user_sgpr_private_segment_buffer 1
		.amdhsa_user_sgpr_dispatch_ptr 0
		.amdhsa_user_sgpr_queue_ptr 0
		.amdhsa_user_sgpr_kernarg_segment_ptr 1
		.amdhsa_user_sgpr_dispatch_id 0
		.amdhsa_user_sgpr_flat_scratch_init 0
		.amdhsa_user_sgpr_kernarg_preload_length 0
		.amdhsa_user_sgpr_kernarg_preload_offset 0
		.amdhsa_user_sgpr_private_segment_size 0
		.amdhsa_uses_dynamic_stack 0
		.amdhsa_system_sgpr_private_segment_wavefront_offset 0
		.amdhsa_system_sgpr_workgroup_id_x 1
		.amdhsa_system_sgpr_workgroup_id_y 1
		.amdhsa_system_sgpr_workgroup_id_z 0
		.amdhsa_system_sgpr_workgroup_info 0
		.amdhsa_system_vgpr_workitem_id 0
		.amdhsa_next_free_vgpr 24
		.amdhsa_next_free_sgpr 32
		.amdhsa_accum_offset 24
		.amdhsa_reserve_vcc 1
		.amdhsa_reserve_flat_scratch 0
		.amdhsa_float_round_mode_32 0
		.amdhsa_float_round_mode_16_64 0
		.amdhsa_float_denorm_mode_32 3
		.amdhsa_float_denorm_mode_16_64 3
		.amdhsa_dx10_clamp 1
		.amdhsa_ieee_mode 1
		.amdhsa_fp16_overflow 0
		.amdhsa_tg_split 0
		.amdhsa_exception_fp_ieee_invalid_op 0
		.amdhsa_exception_fp_denorm_src 0
		.amdhsa_exception_fp_ieee_div_zero 0
		.amdhsa_exception_fp_ieee_overflow 0
		.amdhsa_exception_fp_ieee_underflow 0
		.amdhsa_exception_fp_ieee_inexact 0
		.amdhsa_exception_int_div_zero 0
	.end_amdhsa_kernel
	.section	.text._ZN4vllm32paged_attention_v2_reduce_kernelI14__hip_bfloat16Li32ELi128ELi512EEEvPT_PKfS5_PKS2_PKii,"axG",@progbits,_ZN4vllm32paged_attention_v2_reduce_kernelI14__hip_bfloat16Li32ELi128ELi512EEEvPT_PKfS5_PKS2_PKii,comdat
.Lfunc_end127:
	.size	_ZN4vllm32paged_attention_v2_reduce_kernelI14__hip_bfloat16Li32ELi128ELi512EEEvPT_PKfS5_PKS2_PKii, .Lfunc_end127-_ZN4vllm32paged_attention_v2_reduce_kernelI14__hip_bfloat16Li32ELi128ELi512EEEvPT_PKfS5_PKS2_PKii
                                        ; -- End function
	.section	.AMDGPU.csdata,"",@progbits
; Kernel info:
; codeLenInByte = 2236
; NumSgprs: 36
; NumVgprs: 24
; NumAgprs: 0
; TotalNumVgprs: 24
; ScratchSize: 0
; MemoryBound: 0
; FloatMode: 240
; IeeeMode: 1
; LDSByteSize: 16 bytes/workgroup (compile time only)
; SGPRBlocks: 4
; VGPRBlocks: 2
; NumSGPRsForWavesPerEU: 36
; NumVGPRsForWavesPerEU: 24
; AccumOffset: 24
; Occupancy: 8
; WaveLimiterHint : 0
; COMPUTE_PGM_RSRC2:SCRATCH_EN: 0
; COMPUTE_PGM_RSRC2:USER_SGPR: 6
; COMPUTE_PGM_RSRC2:TRAP_HANDLER: 0
; COMPUTE_PGM_RSRC2:TGID_X_EN: 1
; COMPUTE_PGM_RSRC2:TGID_Y_EN: 1
; COMPUTE_PGM_RSRC2:TGID_Z_EN: 0
; COMPUTE_PGM_RSRC2:TIDIG_COMP_CNT: 0
; COMPUTE_PGM_RSRC3_GFX90A:ACCUM_OFFSET: 5
; COMPUTE_PGM_RSRC3_GFX90A:TG_SPLIT: 0
	.section	.text._ZN4vllm25paged_attention_v2_kernelI14__hip_bfloat16S1_Li64ELi8ELi128ELNS_18Fp8KVCacheDataTypeE0ELb1ELi512EEEvPfS3_PT_PKS4_PKT0_SA_ifPKiSC_iPKfiiiSE_SE_iiiii,"axG",@progbits,_ZN4vllm25paged_attention_v2_kernelI14__hip_bfloat16S1_Li64ELi8ELi128ELNS_18Fp8KVCacheDataTypeE0ELb1ELi512EEEvPfS3_PT_PKS4_PKT0_SA_ifPKiSC_iPKfiiiSE_SE_iiiii,comdat
	.protected	_ZN4vllm25paged_attention_v2_kernelI14__hip_bfloat16S1_Li64ELi8ELi128ELNS_18Fp8KVCacheDataTypeE0ELb1ELi512EEEvPfS3_PT_PKS4_PKT0_SA_ifPKiSC_iPKfiiiSE_SE_iiiii ; -- Begin function _ZN4vllm25paged_attention_v2_kernelI14__hip_bfloat16S1_Li64ELi8ELi128ELNS_18Fp8KVCacheDataTypeE0ELb1ELi512EEEvPfS3_PT_PKS4_PKT0_SA_ifPKiSC_iPKfiiiSE_SE_iiiii
	.globl	_ZN4vllm25paged_attention_v2_kernelI14__hip_bfloat16S1_Li64ELi8ELi128ELNS_18Fp8KVCacheDataTypeE0ELb1ELi512EEEvPfS3_PT_PKS4_PKT0_SA_ifPKiSC_iPKfiiiSE_SE_iiiii
	.p2align	8
	.type	_ZN4vllm25paged_attention_v2_kernelI14__hip_bfloat16S1_Li64ELi8ELi128ELNS_18Fp8KVCacheDataTypeE0ELb1ELi512EEEvPfS3_PT_PKS4_PKT0_SA_ifPKiSC_iPKfiiiSE_SE_iiiii,@function
_ZN4vllm25paged_attention_v2_kernelI14__hip_bfloat16S1_Li64ELi8ELi128ELNS_18Fp8KVCacheDataTypeE0ELb1ELi512EEEvPfS3_PT_PKS4_PKT0_SA_ifPKiSC_iPKfiiiSE_SE_iiiii: ; @_ZN4vllm25paged_attention_v2_kernelI14__hip_bfloat16S1_Li64ELi8ELi128ELNS_18Fp8KVCacheDataTypeE0ELb1ELi512EEEvPfS3_PT_PKS4_PKT0_SA_ifPKiSC_iPKfiiiSE_SE_iiiii
; %bb.0:
	s_load_dwordx2 s[0:1], s[4:5], 0x40
	s_mov_b32 s30, s7
	s_ashr_i32 s31, s7, 31
	s_lshl_b64 s[2:3], s[30:31], 2
	s_waitcnt lgkmcnt(0)
	s_add_u32 s0, s0, s2
	s_addc_u32 s1, s1, s3
	s_load_dword s31, s[0:1], 0x0
	s_lshl_b32 s52, s8, 9
	s_waitcnt lgkmcnt(0)
	s_cmp_ge_i32 s52, s31
	s_cbranch_scc1 .LBB128_129
; %bb.1:
	s_load_dword s9, s[4:5], 0x90
	s_load_dwordx2 s[40:41], s[4:5], 0x30
	s_waitcnt lgkmcnt(0)
	s_abs_i32 s2, s9
	s_abs_i32 s0, s40
	v_cvt_f32_u32_e32 v1, s0
	s_sub_i32 s3, 0, s0
	s_xor_b32 s1, s9, s40
	s_ashr_i32 s1, s1, 31
	v_rcp_iflag_f32_e32 v1, v1
	v_mul_f32_e32 v1, 0x4f7ffffe, v1
	v_cvt_u32_f32_e32 v1, v1
	v_readfirstlane_b32 s7, v1
	s_mul_i32 s3, s3, s7
	s_mul_hi_u32 s3, s7, s3
	s_add_i32 s7, s7, s3
	s_mul_hi_u32 s3, s2, s7
	s_mul_i32 s7, s3, s0
	s_sub_i32 s2, s2, s7
	s_add_i32 s10, s3, 1
	s_sub_i32 s7, s2, s0
	s_cmp_ge_u32 s2, s0
	s_cselect_b32 s3, s10, s3
	s_cselect_b32 s2, s7, s2
	s_add_i32 s7, s3, 1
	s_cmp_ge_u32 s2, s0
	s_cselect_b32 s0, s7, s3
	s_xor_b32 s0, s0, s1
	s_sub_i32 s2, s0, s1
	s_abs_i32 s10, s2
	v_cvt_f32_u32_e32 v1, s10
	s_load_dwordx2 s[0:1], s[4:5], 0x50
	s_sub_i32 s3, 0, s10
	s_abs_i32 s11, s6
	v_rcp_iflag_f32_e32 v1, v1
	s_mov_b32 s7, 0
	v_mul_f32_e32 v1, 0x4f7ffffe, v1
	v_cvt_u32_f32_e32 v1, v1
	v_readfirstlane_b32 s12, v1
	s_mul_i32 s3, s3, s12
	s_mul_hi_u32 s3, s12, s3
	s_add_i32 s12, s12, s3
	s_waitcnt lgkmcnt(0)
	s_cmp_eq_u64 s[0:1], 0
	s_mul_hi_u32 s12, s11, s12
	s_cbranch_scc1 .LBB128_3
; %bb.2:
	s_ashr_i32 s7, s6, 31
	s_lshl_b64 s[14:15], s[6:7], 2
	s_add_u32 s0, s0, s14
	s_addc_u32 s1, s1, s15
	s_load_dword s7, s[0:1], 0x0
.LBB128_3:
	s_load_dwordx4 s[16:19], s[4:5], 0x58
	s_ashr_i32 s13, s6, 31
	s_waitcnt lgkmcnt(0)
	s_ashr_i32 s19, s2, 31
	v_and_b32_e32 v2, 7, v0
	s_lshl_b32 s14, s6, 6
	v_cmp_gt_u32_e64 s[0:1], 64, v0
	s_and_saveexec_b64 s[2:3], s[0:1]
	s_cbranch_execz .LBB128_5
; %bb.4:
	s_load_dwordx2 s[20:21], s[4:5], 0x18
	s_mul_i32 s22, s30, s16
	s_ashr_i32 s23, s22, 31
	s_lshl_b64 s[22:23], s[22:23], 1
	v_lshlrev_b32_e32 v1, 1, v0
	s_waitcnt lgkmcnt(0)
	s_add_u32 s16, s20, s22
	s_addc_u32 s22, s21, s23
	s_ashr_i32 s15, s14, 31
	s_lshl_b64 s[20:21], s[14:15], 1
	s_add_u32 s20, s16, s20
	s_addc_u32 s21, s22, s21
	global_load_ushort v1, v1, s[20:21]
	v_lshrrev_b32_e32 v3, 2, v0
	v_and_b32_e32 v3, 0xfe, v3
	v_lshl_add_u32 v3, v2, 4, v3
	s_waitcnt vmcnt(0)
	ds_write_b16 v3, v1
.LBB128_5:
	s_or_b64 exec, exec, s[2:3]
	s_mul_i32 s3, s12, s10
	s_sub_i32 s3, s11, s3
	s_xor_b32 s2, s13, s19
	s_add_i32 s11, s12, 1
	s_sub_i32 s13, s3, s10
	s_load_dwordx4 s[20:23], s[4:5], 0x78
	s_cmp_ge_u32 s3, s10
	s_cselect_b32 s11, s11, s12
	s_cselect_b32 s3, s13, s3
	s_load_dword s13, s[4:5], 0x88
	s_add_i32 s12, s11, 1
	s_cmp_ge_u32 s3, s10
	s_cselect_b32 s3, s12, s11
	s_waitcnt lgkmcnt(0)
	s_abs_i32 s33, s23
	v_cvt_f32_u32_e32 v1, s33
	s_xor_b32 s3, s3, s2
	s_sub_i32 s10, s3, s2
	s_sub_i32 s2, 0, s33
	v_rcp_iflag_f32_e32 v1, v1
	s_add_i32 s15, s31, -1
	s_abs_i32 s11, s15
	v_mul_f32_e32 v1, 0x4f7ffffe, v1
	v_cvt_u32_f32_e32 v1, v1
	s_barrier
	v_readfirstlane_b32 s48, v1
	s_mul_i32 s2, s2, s48
	s_mul_hi_u32 s2, s48, s2
	s_add_i32 s48, s48, s2
	s_cmp_lt_i32 s13, 0
	s_mul_hi_u32 s12, s11, s48
	s_cbranch_scc0 .LBB128_7
; %bb.6:
	s_mul_i32 s2, s20, s40
	s_add_i32 s2, s10, s2
	s_mul_i32 s2, s2, s13
	s_sub_i32 s49, 1, s2
	s_mov_b64 s[2:3], 0
	s_branch .LBB128_8
.LBB128_7:
	s_mov_b64 s[2:3], -1
                                        ; implicit-def: $sgpr49
.LBB128_8:
	s_load_dwordx2 s[34:35], s[4:5], 0x38
	s_ashr_i32 s16, s15, 31
	s_andn2_b64 vcc, exec, s[2:3]
	s_ashr_i32 s23, s23, 31
	s_cbranch_vccnz .LBB128_10
; %bb.9:
	s_mul_i32 s2, s9, s20
	s_add_i32 s2, s2, s6
	s_mul_i32 s2, s2, s13
	s_add_i32 s49, s2, 1
.LBB128_10:
	s_load_dword s2, s[4:5], 0x48
	s_load_dwordx2 s[38:39], s[4:5], 0x28
	s_load_dword s15, s[4:5], 0x98
	s_load_dwordx4 s[24:27], s[4:5], 0x0
	s_load_dwordx2 s[28:29], s[4:5], 0x10
	s_mul_i32 s3, s12, s33
	s_waitcnt lgkmcnt(0)
	s_mul_i32 s36, s30, s2
	s_sub_i32 s3, s11, s3
	s_ashr_i32 s37, s36, 31
	s_xor_b32 s2, s16, s23
	s_add_i32 s11, s12, 1
	s_sub_i32 s13, s3, s33
	s_cmp_ge_u32 s3, s33
	s_cselect_b32 s11, s11, s12
	s_cselect_b32 s3, s13, s3
	s_add_i32 s12, s11, 1
	s_cmp_ge_u32 s3, s33
	s_cselect_b32 s3, s12, s11
	s_xor_b32 s3, s3, s2
	s_sub_i32 s51, s3, s2
	s_add_i32 s2, s31, 7
	s_ashr_i32 s3, s2, 31
	s_lshr_b32 s3, s3, 29
	s_add_i32 s2, s2, s3
	s_lshl_b32 s16, s8, 6
	s_ashr_i32 s50, s2, 3
	s_add_i32 s2, s16, 64
	v_lshrrev_b32_e32 v4, 6, v0
	s_min_i32 s20, s2, s50
	v_or_b32_e32 v10, s16, v4
	v_cmp_gt_i32_e64 s[2:3], s20, v10
	v_mov_b32_e32 v13, 0xff7fffff
	s_mul_i32 s18, s10, s18
	v_ashrrev_i32_e32 v11, 31, v10
	v_lshl_add_u32 v1, v4, 3, s52
	v_mbcnt_lo_u32_b32 v5, -1, 0
	s_and_saveexec_b64 s[42:43], s[2:3]
	s_cbranch_execz .LBB128_20
; %bb.11:
	s_load_dwordx2 s[4:5], s[4:5], 0x20
	s_ashr_i32 s19, s18, 31
	s_sub_i32 s40, s51, s21
	s_lshl_b64 s[10:11], s[18:19], 1
	v_bfe_u32 v6, v0, 3, 3
	s_waitcnt lgkmcnt(0)
	s_add_u32 s4, s4, s10
	s_addc_u32 s5, s5, s11
	s_abs_i32 s19, s22
	v_cvt_f32_u32_e32 v8, s19
	v_lshlrev_b32_e32 v3, 4, v6
	v_mov_b32_e32 v7, s5
	v_add_co_u32_e64 v3, s[4:5], s4, v3
	v_rcp_iflag_f32_e32 v12, v8
	v_addc_co_u32_e64 v9, s[4:5], 0, v7, s[4:5]
	v_lshlrev_b32_e32 v7, 1, v2
	v_add_co_u32_e64 v7, s[4:5], v3, v7
	v_mul_f32_e32 v3, 0x4f7ffffe, v12
	v_cvt_u32_f32_e32 v3, v3
	s_sub_i32 s10, 0, s19
	v_cmp_eq_u32_e32 vcc, 0, v2
	v_addc_co_u32_e64 v8, s[4:5], 0, v9, s[4:5]
	v_lshlrev_b32_e32 v9, 4, v2
	v_mul_lo_u32 v2, s10, v3
	s_lshl_b64 s[10:11], s[36:37], 2
	v_mul_hi_u32 v2, v3, v2
	s_add_u32 s10, s34, s10
	v_add_u32_e32 v12, v3, v2
	v_lshlrev_b64 v[2:3], 2, v[10:11]
	s_addc_u32 s11, s35, s11
	v_mov_b32_e32 v13, s11
	v_add_co_u32_e64 v2, s[10:11], s10, v2
	v_addc_co_u32_e64 v3, s[10:11], v13, v3, s[10:11]
	v_lshlrev_b32_e32 v13, 2, v6
	v_lshl_or_b32 v13, v4, 5, v13
	v_add_u32_e32 v15, 0x90, v13
	v_subrev_u32_e32 v13, s31, v6
	v_mbcnt_hi_u32_b32 v18, -1, v5
	v_add_u32_e32 v16, 1, v13
	v_and_b32_e32 v13, 64, v18
	s_mov_b32 s53, s17
	v_cmp_neq_f32_e64 s[4:5], s7, 0
	v_lshl_add_u32 v14, v4, 3, s52
	s_mov_b64 s[44:45], 0
	v_mov_b32_e32 v17, 0xff7fffff
	v_add_u32_e32 v19, 64, v13
	v_xor_b32_e32 v20, 4, v18
	v_xor_b32_e32 v21, 2, v18
	v_xor_b32_e32 v22, 1, v18
	v_mov_b32_e32 v13, 0xff7fffff
	v_mov_b32_e32 v23, v10
	s_branch .LBB128_14
.LBB128_12:                             ;   in Loop: Header=BB128_14 Depth=1
	s_or_b64 exec, exec, s[46:47]
.LBB128_13:                             ;   in Loop: Header=BB128_14 Depth=1
	s_or_b64 exec, exec, s[12:13]
	v_add_co_u32_e64 v2, s[10:11], 8, v2
	v_add_u32_e32 v23, 2, v23
	v_addc_co_u32_e64 v3, s[10:11], 0, v3, s[10:11]
	v_cmp_le_i32_e64 s[10:11], s20, v23
	v_add_u32_e32 v14, 16, v14
	s_or_b64 s[44:45], s[10:11], s[44:45]
	v_add_u32_e32 v15, 64, v15
	s_andn2_b64 exec, exec, s[44:45]
	s_cbranch_execz .LBB128_19
.LBB128_14:                             ; =>This Inner Loop Header: Depth=1
	s_waitcnt lgkmcnt(0)
	v_sub_u32_e32 v25, 0, v14
	v_max_i32_e32 v25, v14, v25
	v_mul_hi_u32 v26, v25, s48
	v_mul_lo_u32 v27, v26, s33
	v_sub_u32_e32 v25, v25, v27
	v_add_u32_e32 v27, 1, v26
	v_cmp_le_u32_e64 s[10:11], s33, v25
	v_cndmask_b32_e64 v26, v26, v27, s[10:11]
	v_subrev_u32_e32 v27, s33, v25
	v_cndmask_b32_e64 v25, v25, v27, s[10:11]
	v_ashrrev_i32_e32 v24, 31, v14
	v_add_u32_e32 v27, 1, v26
	v_cmp_le_u32_e64 s[10:11], s33, v25
	v_xor_b32_e32 v24, s23, v24
	v_cndmask_b32_e64 v25, v26, v27, s[10:11]
	v_xor_b32_e32 v25, v25, v24
	v_sub_u32_e32 v24, v25, v24
	v_add_u32_e32 v25, s49, v24
	v_sub_u32_e32 v27, 0, v25
	v_ashrrev_i32_e32 v26, 31, v25
	v_max_i32_e32 v25, v25, v27
	v_mul_hi_u32 v27, v25, v12
	v_mul_lo_u32 v27, v27, s19
	v_sub_u32_e32 v25, v25, v27
	v_subrev_u32_e32 v27, s19, v25
	v_cmp_le_u32_e64 s[10:11], s19, v25
	v_cndmask_b32_e64 v25, v25, v27, s[10:11]
	v_subrev_u32_e32 v27, s19, v25
	v_cmp_le_u32_e64 s[10:11], s19, v25
	v_cndmask_b32_e64 v25, v25, v27, s[10:11]
	v_xor_b32_e32 v25, v25, v26
	v_sub_u32_e32 v25, v25, v26
	v_cmp_ne_u32_e64 s[10:11], 0, v25
	v_cmp_ge_i32_e64 s[12:13], s40, v24
	s_and_b64 s[10:11], s[10:11], s[12:13]
	s_and_b64 s[46:47], vcc, s[10:11]
	s_and_saveexec_b64 s[12:13], s[46:47]
	s_cbranch_execz .LBB128_16
; %bb.15:                               ;   in Loop: Header=BB128_14 Depth=1
	ds_write_b32 v15, v17
.LBB128_16:                             ;   in Loop: Header=BB128_14 Depth=1
	s_or_b64 exec, exec, s[12:13]
	s_xor_b64 s[10:11], s[10:11], -1
	s_and_saveexec_b64 s[12:13], s[10:11]
	s_cbranch_execz .LBB128_13
; %bb.17:                               ;   in Loop: Header=BB128_14 Depth=1
	global_load_dword v24, v[2:3], off
	s_waitcnt vmcnt(0)
	v_mad_i64_i32 v[24:25], s[10:11], v24, s53, 0
	v_lshlrev_b64 v[24:25], 1, v[24:25]
	v_add_co_u32_e64 v24, s[10:11], v7, v24
	v_addc_co_u32_e64 v25, s[10:11], v8, v25, s[10:11]
	global_load_ushort v28, v[24:25], off
	global_load_ushort v29, v[24:25], off offset:128
	global_load_ushort v30, v[24:25], off offset:256
	;; [unrolled: 1-line block ×7, first 2 shown]
	ds_read_b128 v[24:27], v9
	v_cmp_lt_i32_e64 s[10:11], v20, v19
	v_cndmask_b32_e64 v36, v18, v20, s[10:11]
	v_lshlrev_b32_e32 v36, 2, v36
	v_cmp_lt_i32_e64 s[10:11], v21, v19
	s_waitcnt lgkmcnt(0)
	v_lshlrev_b32_e32 v37, 16, v24
	v_and_b32_e32 v24, 0xffff0000, v24
	v_lshlrev_b32_e32 v38, 16, v25
	v_and_b32_e32 v25, 0xffff0000, v25
	v_lshlrev_b32_e32 v39, 16, v26
	v_and_b32_e32 v26, 0xffff0000, v26
	v_lshlrev_b32_e32 v40, 16, v27
	v_and_b32_e32 v27, 0xffff0000, v27
	s_waitcnt vmcnt(7)
	v_lshlrev_b32_e32 v28, 16, v28
	s_waitcnt vmcnt(6)
	v_lshlrev_b32_e32 v29, 16, v29
	v_mul_f32_e32 v24, v24, v29
	s_waitcnt vmcnt(5)
	v_lshlrev_b32_e32 v30, 16, v30
	v_fmac_f32_e32 v24, v37, v28
	s_waitcnt vmcnt(4)
	v_lshlrev_b32_e32 v31, 16, v31
	v_fmac_f32_e32 v24, v38, v30
	;; [unrolled: 3-line block ×5, first 2 shown]
	v_fmac_f32_e32 v24, v40, v34
	s_waitcnt vmcnt(0)
	v_lshlrev_b32_e32 v25, 16, v35
	v_fmac_f32_e32 v24, v27, v25
	ds_bpermute_b32 v25, v36, v24
	v_cndmask_b32_e64 v26, v18, v21, s[10:11]
	v_lshlrev_b32_e32 v26, 2, v26
	v_cmp_lt_i32_e64 s[10:11], v22, v19
	s_waitcnt lgkmcnt(0)
	v_add_f32_e32 v24, v24, v25
	ds_bpermute_b32 v25, v26, v24
	v_cndmask_b32_e64 v26, v18, v22, s[10:11]
	v_lshlrev_b32_e32 v26, 2, v26
	s_waitcnt lgkmcnt(0)
	v_add_f32_e32 v24, v24, v25
	ds_bpermute_b32 v25, v26, v24
	s_and_saveexec_b64 s[46:47], vcc
	s_cbranch_execz .LBB128_12
; %bb.18:                               ;   in Loop: Header=BB128_14 Depth=1
	v_add_u32_e32 v26, v16, v14
	v_cvt_f32_i32_e32 v26, v26
	s_waitcnt lgkmcnt(0)
	v_add_f32_e32 v24, v24, v25
	v_add_u32_e32 v27, v6, v14
	v_cmp_gt_i32_e64 s[10:11], s31, v27
	v_mul_f32_e32 v25, s7, v26
	v_cndmask_b32_e64 v25, 0, v25, s[4:5]
	v_fmac_f32_e32 v25, s41, v24
	v_cndmask_b32_e64 v24, 0, v25, s[10:11]
	ds_write_b32 v15, v24
	v_max_f32_e32 v24, v13, v13
	v_max_f32_e32 v24, v24, v25
	v_cndmask_b32_e64 v13, v13, v24, s[10:11]
	s_branch .LBB128_12
.LBB128_19:
	s_or_b64 exec, exec, s[44:45]
.LBB128_20:
	s_or_b64 exec, exec, s[42:43]
	v_mbcnt_hi_u32_b32 v2, -1, v5
	v_and_b32_e32 v3, 64, v2
	v_add_u32_e32 v3, 64, v3
	v_xor_b32_e32 v5, 32, v2
	v_cmp_lt_i32_e32 vcc, v5, v3
	v_cndmask_b32_e32 v5, v2, v5, vcc
	v_lshlrev_b32_e32 v7, 2, v5
	ds_bpermute_b32 v5, v7, v13
	v_xor_b32_e32 v8, 16, v2
	v_max_f32_e32 v6, v13, v13
	v_cmp_lt_i32_e32 vcc, v8, v3
	v_and_b32_e32 v14, 63, v0
	s_waitcnt lgkmcnt(0)
	v_max_f32_e32 v5, v5, v5
	v_max_f32_e32 v5, v6, v5
	v_cndmask_b32_e32 v6, v2, v8, vcc
	v_lshlrev_b32_e32 v9, 2, v6
	ds_bpermute_b32 v6, v9, v5
	v_xor_b32_e32 v8, 8, v2
	v_cmp_lt_i32_e32 vcc, v8, v3
	s_waitcnt lgkmcnt(0)
	v_max_f32_e32 v6, v6, v6
	v_max_f32_e32 v5, v5, v6
	v_cndmask_b32_e32 v6, v2, v8, vcc
	v_lshlrev_b32_e32 v12, 2, v6
	ds_bpermute_b32 v8, v12, v5
	v_cmp_eq_u32_e32 vcc, 0, v14
	v_lshlrev_b32_e32 v6, 2, v4
	s_and_saveexec_b64 s[4:5], vcc
	s_cbranch_execz .LBB128_22
; %bb.21:
	s_waitcnt lgkmcnt(0)
	v_max_f32_e32 v8, v8, v8
	v_max_f32_e32 v5, v5, v5
	;; [unrolled: 1-line block ×3, first 2 shown]
	ds_write_b32 v6, v5 offset:128
.LBB128_22:
	s_or_b64 exec, exec, s[4:5]
	v_cmp_gt_u32_e64 s[4:5], 2, v14
	v_mov_b32_e32 v5, 0xff7fffff
	s_waitcnt lgkmcnt(0)
	v_lshlrev_b32_e32 v8, 2, v14
	s_barrier
	s_and_saveexec_b64 s[10:11], s[4:5]
	s_cbranch_execz .LBB128_24
; %bb.23:
	ds_read_b32 v5, v8 offset:128
.LBB128_24:
	s_or_b64 exec, exec, s[10:11]
	v_xor_b32_e32 v13, 1, v2
	v_cmp_lt_i32_e64 s[10:11], v13, v3
	v_cndmask_b32_e64 v13, v2, v13, s[10:11]
	v_lshlrev_b32_e32 v13, 2, v13
	s_waitcnt lgkmcnt(0)
	ds_bpermute_b32 v15, v13, v5
	v_max_f32_e32 v5, v5, v5
	s_sub_i32 s7, s20, s16
	s_lshl_b32 s7, s7, 3
	s_add_i32 s7, s7, s52
	s_waitcnt lgkmcnt(0)
	v_max_f32_e32 v15, v15, v15
	v_max_f32_e32 v5, v5, v15
	v_lshlrev_b32_e32 v15, 2, v2
	v_and_b32_e32 v15, 0x100, v15
	ds_bpermute_b32 v5, v15, v5
	s_min_i32 s19, s7, s31
	s_sub_i32 s7, s19, s52
	v_cmp_gt_i32_e64 s[10:11], s7, v0
	v_mov_b32_e32 v16, 0
	s_and_saveexec_b64 s[40:41], s[10:11]
	s_cbranch_execz .LBB128_28
; %bb.25:
	v_mov_b32_e32 v16, 0x90
	v_lshl_add_u32 v17, v0, 2, v16
	s_mov_b64 s[42:43], 0
	v_mov_b32_e32 v16, 0
	v_mov_b32_e32 v18, v0
.LBB128_26:                             ; =>This Inner Loop Header: Depth=1
	ds_read_b32 v19, v17
	v_add_u32_e32 v18, 0x80, v18
	v_cmp_le_i32_e64 s[12:13], s7, v18
	s_or_b64 s[42:43], s[12:13], s[42:43]
	s_waitcnt lgkmcnt(0)
	v_sub_f32_e32 v19, v19, v5
	v_mul_f32_e32 v19, 0x3fb8aa3b, v19
	v_exp_f32_e32 v19, v19
	ds_write_b32 v17, v19
	v_add_f32_e32 v16, v16, v19
	v_add_u32_e32 v17, 0x200, v17
	s_andn2_b64 exec, exec, s[42:43]
	s_cbranch_execnz .LBB128_26
; %bb.27:
	s_or_b64 exec, exec, s[42:43]
.LBB128_28:
	s_or_b64 exec, exec, s[40:41]
	ds_bpermute_b32 v7, v7, v16
	s_waitcnt lgkmcnt(0)
	v_add_f32_e32 v7, v16, v7
	ds_bpermute_b32 v9, v9, v7
	s_waitcnt lgkmcnt(0)
	v_add_f32_e32 v7, v7, v9
	ds_bpermute_b32 v9, v12, v7
	v_xor_b32_e32 v12, 4, v2
	v_cmp_lt_i32_e64 s[12:13], v12, v3
	v_cndmask_b32_e64 v12, v2, v12, s[12:13]
	v_lshlrev_b32_e32 v12, 2, v12
	s_waitcnt lgkmcnt(0)
	v_add_f32_e32 v7, v7, v9
	ds_bpermute_b32 v9, v12, v7
	v_xor_b32_e32 v12, 2, v2
	v_cmp_lt_i32_e64 s[12:13], v12, v3
	v_cndmask_b32_e64 v2, v2, v12, s[12:13]
	v_lshlrev_b32_e32 v2, 2, v2
	s_waitcnt lgkmcnt(0)
	v_add_f32_e32 v3, v7, v9
	ds_bpermute_b32 v2, v2, v3
	s_waitcnt lgkmcnt(0)
	v_add_f32_e32 v2, v3, v2
	ds_bpermute_b32 v3, v13, v2
	s_waitcnt lgkmcnt(0)
	v_add_f32_e32 v2, v2, v3
	s_and_saveexec_b64 s[12:13], vcc
	s_cbranch_execz .LBB128_30
; %bb.29:
	ds_write_b32 v6, v2 offset:136
.LBB128_30:
	s_or_b64 exec, exec, s[12:13]
	s_waitcnt lgkmcnt(0)
	s_barrier
	s_and_saveexec_b64 s[12:13], s[4:5]
	s_cbranch_execz .LBB128_32
; %bb.31:
	ds_read_b32 v2, v8 offset:136
.LBB128_32:
	s_or_b64 exec, exec, s[12:13]
	s_waitcnt lgkmcnt(0)
	ds_bpermute_b32 v3, v13, v2
	s_waitcnt lgkmcnt(0)
	v_add_f32_e32 v2, v2, v3
	ds_bpermute_b32 v6, v15, v2
	s_and_saveexec_b64 s[4:5], s[10:11]
	s_cbranch_execz .LBB128_45
; %bb.33:
	s_waitcnt lgkmcnt(0)
	v_add_f32_e32 v2, 0x358637bd, v6
	v_div_scale_f32 v3, s[10:11], v2, v2, 1.0
	v_rcp_f32_e32 v7, v3
	v_div_scale_f32 v8, vcc, 1.0, v2, 1.0
	s_movk_i32 s10, 0x7f
	v_fma_f32 v9, -v3, v7, 1.0
	v_fmac_f32_e32 v7, v9, v7
	v_mul_f32_e32 v9, v8, v7
	v_fma_f32 v12, -v3, v9, v8
	v_fmac_f32_e32 v9, v12, v7
	v_fma_f32 v3, -v3, v9, v8
	v_div_fmas_f32 v3, v3, v7, v9
	v_div_fixup_f32 v2, v3, v2, 1.0
	v_xad_u32 v3, v0, -1, s19
	v_subrev_u32_e32 v7, s52, v3
	v_cmp_lt_u32_e32 vcc, s10, v7
	s_mov_b64 s[12:13], -1
	v_mov_b32_e32 v3, v0
	s_and_saveexec_b64 s[10:11], vcc
	s_cbranch_execz .LBB128_42
; %bb.34:
	v_lshrrev_b32_e32 v7, 7, v7
	v_add_u32_e32 v9, -1, v7
	v_lshrrev_b32_e32 v8, 1, v9
	v_mov_b32_e32 v3, v2
	v_add_u32_e32 v8, 1, v8
	v_cmp_lt_u32_e32 vcc, 13, v9
	v_mov_b32_e32 v13, 0
	s_and_saveexec_b64 s[12:13], vcc
	s_cbranch_execz .LBB128_38
; %bb.35:
	v_mov_b32_e32 v12, 0x90
	v_and_b32_e32 v9, -8, v8
	v_lshl_add_u32 v12, v0, 2, v12
	s_mov_b32 s19, 0
	s_mov_b64 s[40:41], 0
.LBB128_36:                             ; =>This Inner Loop Header: Depth=1
	ds_read2st64_b32 v[16:17], v12 offset1:2
	ds_read2st64_b32 v[18:19], v12 offset0:4 offset1:6
	ds_read2st64_b32 v[20:21], v12 offset0:8 offset1:10
	;; [unrolled: 1-line block ×3, first 2 shown]
	v_add_u32_e32 v9, -8, v9
	s_waitcnt lgkmcnt(3)
	v_pk_mul_f32 v[16:17], v[2:3], v[16:17]
	s_waitcnt lgkmcnt(2)
	v_pk_mul_f32 v[18:19], v[2:3], v[18:19]
	ds_write2st64_b32 v12, v16, v17 offset1:2
	ds_write2st64_b32 v12, v18, v19 offset0:4 offset1:6
	ds_read2st64_b32 v[18:19], v12 offset0:16 offset1:18
	s_waitcnt lgkmcnt(4)
	v_pk_mul_f32 v[16:17], v[2:3], v[20:21]
	ds_write2st64_b32 v12, v16, v17 offset0:8 offset1:10
	s_waitcnt lgkmcnt(4)
	v_pk_mul_f32 v[16:17], v[2:3], v[22:23]
	ds_write2st64_b32 v12, v16, v17 offset0:12 offset1:14
	ds_read2st64_b32 v[16:17], v12 offset0:20 offset1:22
	s_waitcnt lgkmcnt(3)
	v_pk_mul_f32 v[18:19], v[2:3], v[18:19]
	ds_read2st64_b32 v[20:21], v12 offset0:24 offset1:26
	ds_write2st64_b32 v12, v18, v19 offset0:16 offset1:18
	ds_read2st64_b32 v[18:19], v12 offset0:28 offset1:30
	s_waitcnt lgkmcnt(3)
	v_pk_mul_f32 v[16:17], v[2:3], v[16:17]
	ds_write2st64_b32 v12, v16, v17 offset0:20 offset1:22
	s_waitcnt lgkmcnt(3)
	v_pk_mul_f32 v[16:17], v[2:3], v[20:21]
	ds_write2st64_b32 v12, v16, v17 offset0:24 offset1:26
	s_waitcnt lgkmcnt(2)
	v_pk_mul_f32 v[16:17], v[2:3], v[18:19]
	s_add_i32 s19, s19, 16
	v_cmp_eq_u32_e32 vcc, 0, v9
	ds_write2st64_b32 v12, v16, v17 offset0:28 offset1:30
	v_add_u32_e32 v12, 0x2000, v12
	s_or_b64 s[40:41], vcc, s[40:41]
	v_mov_b32_e32 v13, s19
	s_andn2_b64 exec, exec, s[40:41]
	s_cbranch_execnz .LBB128_36
; %bb.37:
	s_or_b64 exec, exec, s[40:41]
.LBB128_38:
	s_or_b64 exec, exec, s[12:13]
	v_and_b32_e32 v8, 7, v8
	v_cmp_ne_u32_e32 vcc, 0, v8
	s_and_saveexec_b64 s[12:13], vcc
	s_cbranch_execz .LBB128_41
; %bb.39:
	v_lshlrev_b32_e32 v9, 9, v13
	v_lshlrev_b32_e32 v12, 2, v0
	s_movk_i32 s19, 0x90
	v_add3_u32 v9, v9, v12, s19
	s_mov_b64 s[40:41], 0
.LBB128_40:                             ; =>This Inner Loop Header: Depth=1
	ds_read2st64_b32 v[12:13], v9 offset1:2
	v_add_u32_e32 v8, -1, v8
	v_cmp_eq_u32_e32 vcc, 0, v8
	s_or_b64 s[40:41], vcc, s[40:41]
	s_waitcnt lgkmcnt(0)
	v_pk_mul_f32 v[12:13], v[2:3], v[12:13]
	ds_write2st64_b32 v9, v12, v13 offset1:2
	v_add_u32_e32 v9, 0x400, v9
	s_andn2_b64 exec, exec, s[40:41]
	s_cbranch_execnz .LBB128_40
.LBB128_41:
	s_or_b64 exec, exec, s[12:13]
	v_add_u32_e32 v7, 1, v7
	v_and_b32_e32 v8, 0x3fffffe, v7
	v_cmp_ne_u32_e32 vcc, v7, v8
	v_lshl_add_u32 v3, v8, 7, v0
	s_orn2_b64 s[12:13], vcc, exec
.LBB128_42:
	s_or_b64 exec, exec, s[10:11]
	s_and_b64 exec, exec, s[12:13]
	s_cbranch_execz .LBB128_45
; %bb.43:
	v_mov_b32_e32 v7, 0x90
	v_lshl_add_u32 v7, v3, 2, v7
	s_mov_b64 s[10:11], 0
.LBB128_44:                             ; =>This Inner Loop Header: Depth=1
	ds_read_b32 v8, v7
	v_add_u32_e32 v3, 0x80, v3
	v_cmp_le_i32_e32 vcc, s7, v3
	s_or_b64 s[10:11], vcc, s[10:11]
	s_waitcnt lgkmcnt(0)
	v_mul_f32_e32 v8, v2, v8
	ds_write_b32 v7, v8
	v_add_u32_e32 v7, 0x200, v7
	s_andn2_b64 exec, exec, s[10:11]
	s_cbranch_execnz .LBB128_44
.LBB128_45:
	s_or_b64 exec, exec, s[4:5]
	s_mul_i32 s4, s15, s30
	v_cmp_eq_u32_e32 vcc, 0, v0
	s_mul_i32 s4, s4, s9
	s_waitcnt lgkmcnt(0)
	s_barrier
	s_and_saveexec_b64 s[10:11], vcc
	s_cbranch_execz .LBB128_47
; %bb.46:
	s_ashr_i32 s5, s4, 31
	s_lshl_b64 s[12:13], s[4:5], 2
	s_add_u32 s5, s26, s12
	s_mul_i32 s6, s15, s6
	s_addc_u32 s9, s27, s13
	s_ashr_i32 s7, s6, 31
	s_lshl_b64 s[6:7], s[6:7], 2
	s_add_u32 s5, s5, s6
	s_addc_u32 s19, s9, s7
	s_ashr_i32 s9, s8, 31
	s_lshl_b64 s[8:9], s[8:9], 2
	s_add_u32 s26, s5, s8
	s_addc_u32 s27, s19, s9
	s_add_u32 s5, s24, s12
	s_addc_u32 s12, s25, s13
	s_add_u32 s5, s5, s6
	s_addc_u32 s7, s12, s7
	s_add_u32 s6, s5, s8
	v_mov_b32_e32 v2, 0
	s_addc_u32 s7, s7, s9
	global_store_dword v2, v5, s[26:27]
	global_store_dword v2, v6, s[6:7]
.LBB128_47:
	s_or_b64 exec, exec, s[10:11]
	v_mov_b32_e32 v15, 0
	s_and_saveexec_b64 s[6:7], s[2:3]
	s_cbranch_execz .LBB128_119
; %bb.48:
	s_ashr_i32 s19, s18, 31
	s_sub_i32 s5, s51, s21
	s_lshl_b64 s[2:3], s[18:19], 1
	s_add_u32 s2, s38, s2
	s_addc_u32 s3, s39, s3
	s_abs_i32 s12, s22
	v_cvt_f32_u32_e32 v2, s12
	v_lshlrev_b32_e32 v3, 4, v14
	v_add_co_u32_e32 v16, vcc, s2, v3
	v_rcp_iflag_f32_e32 v2, v2
	s_sub_i32 s2, 0, s12
	v_mov_b32_e32 v5, s3
	s_add_i32 s50, s50, -1
	v_mul_f32_e32 v2, 0x4f7ffffe, v2
	v_cvt_u32_f32_e32 v2, v2
	v_addc_co_u32_e32 v17, vcc, 0, v5, vcc
	s_mov_b32 s13, s17
	v_mul_lo_u32 v3, s2, v2
	s_lshl_b64 s[2:3], s[36:37], 2
	v_mul_hi_u32 v3, v2, v3
	s_add_u32 s2, s34, s2
	v_add_u32_e32 v18, v2, v3
	v_lshlrev_b64 v[2:3], 2, v[10:11]
	s_addc_u32 s3, s35, s3
	v_mov_b32_e32 v5, s3
	v_add_co_u32_e32 v12, vcc, s2, v2
	v_mov_b32_e32 v2, 0x90
	v_addc_co_u32_e32 v13, vcc, v5, v3, vcc
	v_lshl_add_u32 v11, v4, 5, v2
	s_mov_b64 s[8:9], 0
	v_mov_b32_e32 v19, 0
	s_mov_b32 s17, 0x7f800000
	s_movk_i32 s18, 0x7fff
	v_mov_b32_e32 v15, 0
	s_branch .LBB128_51
.LBB128_49:                             ;   in Loop: Header=BB128_51 Depth=1
	s_or_b64 exec, exec, s[10:11]
	v_and_b32_e32 v6, 0xffff0000, v8
	v_and_b32_e32 v9, 0xffff0000, v20
	;; [unrolled: 1-line block ×8, first 2 shown]
	v_pk_add_f32 v[2:3], v[2:3], v[8:9]
	v_pk_add_f32 v[4:5], v[4:5], v[6:7]
	v_add_f32_e32 v2, v2, v3
	v_add_f32_e32 v2, v2, v4
	;; [unrolled: 1-line block ×4, first 2 shown]
.LBB128_50:                             ;   in Loop: Header=BB128_51 Depth=1
	s_or_b64 exec, exec, s[2:3]
	v_add_co_u32_e32 v12, vcc, 8, v12
	v_add_u32_e32 v10, 2, v10
	v_addc_co_u32_e32 v13, vcc, 0, v13, vcc
	v_cmp_le_i32_e32 vcc, s20, v10
	v_add_u32_e32 v1, 16, v1
	s_or_b64 s[8:9], vcc, s[8:9]
	v_add_u32_e32 v11, 64, v11
	s_andn2_b64 exec, exec, s[8:9]
	s_cbranch_execz .LBB128_118
.LBB128_51:                             ; =>This Inner Loop Header: Depth=1
	v_sub_u32_e32 v3, 0, v1
	v_max_i32_e32 v3, v1, v3
	v_mul_hi_u32 v4, v3, s48
	v_mul_lo_u32 v5, v4, s33
	v_sub_u32_e32 v3, v3, v5
	v_add_u32_e32 v5, 1, v4
	v_cmp_le_u32_e32 vcc, s33, v3
	v_cndmask_b32_e32 v4, v4, v5, vcc
	v_subrev_u32_e32 v5, s33, v3
	v_cndmask_b32_e32 v3, v3, v5, vcc
	v_ashrrev_i32_e32 v2, 31, v1
	v_add_u32_e32 v5, 1, v4
	v_cmp_le_u32_e32 vcc, s33, v3
	v_xor_b32_e32 v2, s23, v2
	v_cndmask_b32_e32 v3, v4, v5, vcc
	v_xor_b32_e32 v3, v3, v2
	v_sub_u32_e32 v2, v3, v2
	v_add_u32_e32 v3, s49, v2
	v_sub_u32_e32 v5, 0, v3
	v_ashrrev_i32_e32 v4, 31, v3
	v_max_i32_e32 v3, v3, v5
	v_mul_hi_u32 v5, v3, v18
	v_mul_lo_u32 v5, v5, s12
	v_sub_u32_e32 v3, v3, v5
	v_subrev_u32_e32 v5, s12, v3
	v_cmp_le_u32_e32 vcc, s12, v3
	v_cndmask_b32_e32 v3, v3, v5, vcc
	v_subrev_u32_e32 v5, s12, v3
	v_cmp_le_u32_e32 vcc, s12, v3
	v_cndmask_b32_e32 v3, v3, v5, vcc
	v_xor_b32_e32 v3, v3, v4
	v_sub_u32_e32 v3, v3, v4
	v_cmp_eq_u32_e32 vcc, 0, v3
	v_cmp_lt_i32_e64 s[2:3], s5, v2
	s_or_b64 s[10:11], vcc, s[2:3]
	s_and_saveexec_b64 s[2:3], s[10:11]
	s_cbranch_execz .LBB128_50
; %bb.52:                               ;   in Loop: Header=BB128_51 Depth=1
	global_load_dword v24, v[12:13], off
	ds_read2_b64 v[6:9], v11 offset1:1
	ds_read2_b64 v[2:5], v11 offset0:2 offset1:3
                                        ; implicit-def: $vgpr23
	s_waitcnt lgkmcnt(1)
	v_and_b32_e32 v20, 0x7f800000, v6
	v_cmp_ne_u32_e32 vcc, s17, v20
	s_and_saveexec_b64 s[10:11], vcc
	s_xor_b64 s[10:11], exec, s[10:11]
; %bb.53:                               ;   in Loop: Header=BB128_51 Depth=1
	v_bfe_u32 v20, v6, 16, 1
	v_add3_u32 v23, v6, v20, s18
; %bb.54:                               ;   in Loop: Header=BB128_51 Depth=1
	s_andn2_saveexec_b64 s[10:11], s[10:11]
; %bb.55:                               ;   in Loop: Header=BB128_51 Depth=1
	v_or_b32_e32 v20, 0x10000, v6
	v_cmp_eq_u32_sdwa vcc, v6, v19 src0_sel:WORD_0 src1_sel:DWORD
	v_cndmask_b32_e32 v23, v20, v6, vcc
; %bb.56:                               ;   in Loop: Header=BB128_51 Depth=1
	s_or_b64 exec, exec, s[10:11]
	v_and_b32_e32 v6, 0x7f800000, v7
	v_cmp_ne_u32_e32 vcc, s17, v6
                                        ; implicit-def: $vgpr22
	s_and_saveexec_b64 s[10:11], vcc
	s_xor_b64 s[10:11], exec, s[10:11]
; %bb.57:                               ;   in Loop: Header=BB128_51 Depth=1
	v_bfe_u32 v6, v7, 16, 1
	v_add3_u32 v22, v7, v6, s18
; %bb.58:                               ;   in Loop: Header=BB128_51 Depth=1
	s_andn2_saveexec_b64 s[10:11], s[10:11]
; %bb.59:                               ;   in Loop: Header=BB128_51 Depth=1
	v_or_b32_e32 v6, 0x10000, v7
	v_cmp_eq_u32_sdwa vcc, v7, v19 src0_sel:WORD_0 src1_sel:DWORD
	v_cndmask_b32_e32 v22, v6, v7, vcc
; %bb.60:                               ;   in Loop: Header=BB128_51 Depth=1
	s_or_b64 exec, exec, s[10:11]
	v_and_b32_e32 v6, 0x7f800000, v8
	v_cmp_ne_u32_e32 vcc, s17, v6
                                        ; implicit-def: $vgpr21
	s_and_saveexec_b64 s[10:11], vcc
	s_xor_b64 s[10:11], exec, s[10:11]
; %bb.61:                               ;   in Loop: Header=BB128_51 Depth=1
	v_bfe_u32 v6, v8, 16, 1
	v_add3_u32 v21, v8, v6, s18
; %bb.62:                               ;   in Loop: Header=BB128_51 Depth=1
	s_andn2_saveexec_b64 s[10:11], s[10:11]
; %bb.63:                               ;   in Loop: Header=BB128_51 Depth=1
	v_or_b32_e32 v6, 0x10000, v8
	v_cmp_eq_u32_sdwa vcc, v8, v19 src0_sel:WORD_0 src1_sel:DWORD
	v_cndmask_b32_e32 v21, v6, v8, vcc
; %bb.64:                               ;   in Loop: Header=BB128_51 Depth=1
	s_or_b64 exec, exec, s[10:11]
	v_and_b32_e32 v6, 0x7f800000, v9
	v_cmp_ne_u32_e32 vcc, s17, v6
                                        ; implicit-def: $vgpr20
	s_and_saveexec_b64 s[10:11], vcc
	s_xor_b64 s[10:11], exec, s[10:11]
; %bb.65:                               ;   in Loop: Header=BB128_51 Depth=1
	v_bfe_u32 v6, v9, 16, 1
	v_add3_u32 v20, v9, v6, s18
                                        ; implicit-def: $vgpr6_vgpr7_vgpr8_vgpr9
; %bb.66:                               ;   in Loop: Header=BB128_51 Depth=1
	s_andn2_saveexec_b64 s[10:11], s[10:11]
; %bb.67:                               ;   in Loop: Header=BB128_51 Depth=1
	v_or_b32_e32 v6, 0x10000, v9
	v_cmp_eq_u32_sdwa vcc, v9, v19 src0_sel:WORD_0 src1_sel:DWORD
	v_cndmask_b32_e32 v20, v6, v9, vcc
; %bb.68:                               ;   in Loop: Header=BB128_51 Depth=1
	s_or_b64 exec, exec, s[10:11]
	s_waitcnt lgkmcnt(0)
	v_and_b32_e32 v6, 0x7f800000, v2
	v_cmp_ne_u32_e32 vcc, s17, v6
                                        ; implicit-def: $vgpr9
	s_and_saveexec_b64 s[10:11], vcc
	s_xor_b64 s[10:11], exec, s[10:11]
; %bb.69:                               ;   in Loop: Header=BB128_51 Depth=1
	v_bfe_u32 v6, v2, 16, 1
	v_add3_u32 v9, v2, v6, s18
; %bb.70:                               ;   in Loop: Header=BB128_51 Depth=1
	s_andn2_saveexec_b64 s[10:11], s[10:11]
; %bb.71:                               ;   in Loop: Header=BB128_51 Depth=1
	v_or_b32_e32 v6, 0x10000, v2
	v_cmp_eq_u32_sdwa vcc, v2, v19 src0_sel:WORD_0 src1_sel:DWORD
	v_cndmask_b32_e32 v9, v6, v2, vcc
; %bb.72:                               ;   in Loop: Header=BB128_51 Depth=1
	s_or_b64 exec, exec, s[10:11]
	v_and_b32_e32 v2, 0x7f800000, v3
	v_cmp_ne_u32_e32 vcc, s17, v2
                                        ; implicit-def: $vgpr8
	s_and_saveexec_b64 s[10:11], vcc
	s_xor_b64 s[10:11], exec, s[10:11]
; %bb.73:                               ;   in Loop: Header=BB128_51 Depth=1
	v_bfe_u32 v2, v3, 16, 1
	v_add3_u32 v8, v3, v2, s18
; %bb.74:                               ;   in Loop: Header=BB128_51 Depth=1
	s_andn2_saveexec_b64 s[10:11], s[10:11]
; %bb.75:                               ;   in Loop: Header=BB128_51 Depth=1
	v_or_b32_e32 v2, 0x10000, v3
	v_cmp_eq_u32_sdwa vcc, v3, v19 src0_sel:WORD_0 src1_sel:DWORD
	v_cndmask_b32_e32 v8, v2, v3, vcc
; %bb.76:                               ;   in Loop: Header=BB128_51 Depth=1
	s_or_b64 exec, exec, s[10:11]
	v_and_b32_e32 v2, 0x7f800000, v4
	v_cmp_ne_u32_e32 vcc, s17, v2
                                        ; implicit-def: $vgpr7
	s_and_saveexec_b64 s[10:11], vcc
	s_xor_b64 s[10:11], exec, s[10:11]
; %bb.77:                               ;   in Loop: Header=BB128_51 Depth=1
	v_bfe_u32 v2, v4, 16, 1
	v_add3_u32 v7, v4, v2, s18
; %bb.78:                               ;   in Loop: Header=BB128_51 Depth=1
	s_andn2_saveexec_b64 s[10:11], s[10:11]
; %bb.79:                               ;   in Loop: Header=BB128_51 Depth=1
	v_or_b32_e32 v2, 0x10000, v4
	v_cmp_eq_u32_sdwa vcc, v4, v19 src0_sel:WORD_0 src1_sel:DWORD
	v_cndmask_b32_e32 v7, v2, v4, vcc
; %bb.80:                               ;   in Loop: Header=BB128_51 Depth=1
	s_or_b64 exec, exec, s[10:11]
	v_and_b32_e32 v2, 0x7f800000, v5
	v_cmp_ne_u32_e32 vcc, s17, v2
                                        ; implicit-def: $vgpr6
	s_and_saveexec_b64 s[10:11], vcc
	s_xor_b64 s[10:11], exec, s[10:11]
; %bb.81:                               ;   in Loop: Header=BB128_51 Depth=1
	v_bfe_u32 v2, v5, 16, 1
	v_add3_u32 v6, v5, v2, s18
                                        ; implicit-def: $vgpr2_vgpr3_vgpr4_vgpr5
; %bb.82:                               ;   in Loop: Header=BB128_51 Depth=1
	s_andn2_saveexec_b64 s[10:11], s[10:11]
; %bb.83:                               ;   in Loop: Header=BB128_51 Depth=1
	v_or_b32_e32 v2, 0x10000, v5
	v_cmp_eq_u32_sdwa vcc, v5, v19 src0_sel:WORD_0 src1_sel:DWORD
	v_cndmask_b32_e32 v6, v2, v5, vcc
; %bb.84:                               ;   in Loop: Header=BB128_51 Depth=1
	s_or_b64 exec, exec, s[10:11]
	s_waitcnt vmcnt(0)
	v_mad_i64_i32 v[2:3], s[10:11], v24, s13, 0
	v_lshlrev_b64 v[2:3], 1, v[2:3]
	v_add_co_u32_e32 v2, vcc, v16, v2
	v_addc_co_u32_e32 v3, vcc, v17, v3, vcc
	global_load_dwordx4 v[2:5], v[2:3], off
	v_cmp_eq_u32_e32 vcc, s50, v10
	s_waitcnt vmcnt(0)
	v_lshrrev_b32_e32 v27, 16, v2
	v_lshrrev_b32_e32 v26, 16, v3
	;; [unrolled: 1-line block ×4, first 2 shown]
	s_and_saveexec_b64 s[10:11], vcc
	s_cbranch_execz .LBB128_86
; %bb.85:                               ;   in Loop: Header=BB128_51 Depth=1
	v_cmp_gt_i32_e32 vcc, s31, v1
	v_add_u32_e32 v28, 1, v1
	v_cndmask_b32_e32 v2, 0, v2, vcc
	v_cmp_gt_i32_e32 vcc, s31, v28
	v_add_u32_e32 v28, 2, v1
	v_cndmask_b32_e32 v27, 0, v27, vcc
	v_cmp_gt_i32_e32 vcc, s31, v28
	v_add_u32_e32 v28, 3, v1
	v_cndmask_b32_e32 v3, 0, v3, vcc
	v_cmp_gt_i32_e32 vcc, s31, v28
	v_add_u32_e32 v28, 4, v1
	v_cndmask_b32_e32 v26, 0, v26, vcc
	v_cmp_gt_i32_e32 vcc, s31, v28
	v_add_u32_e32 v28, 5, v1
	v_cndmask_b32_e32 v4, 0, v4, vcc
	v_cmp_gt_i32_e32 vcc, s31, v28
	v_add_u32_e32 v28, 6, v1
	v_cndmask_b32_e32 v25, 0, v25, vcc
	v_cmp_gt_i32_e32 vcc, s31, v28
	v_add_u32_e32 v28, 7, v1
	v_cndmask_b32_e32 v5, 0, v5, vcc
	v_cmp_gt_i32_e32 vcc, s31, v28
	v_cndmask_b32_e32 v24, 0, v24, vcc
.LBB128_86:                             ;   in Loop: Header=BB128_51 Depth=1
	s_or_b64 exec, exec, s[10:11]
	v_and_b32_e32 v23, 0xffff0000, v23
	v_lshlrev_b32_e32 v2, 16, v2
	v_mul_f32_e32 v23, v23, v2
	v_and_b32_e32 v2, 0x7f800000, v23
	v_cmp_ne_u32_e32 vcc, s17, v2
                                        ; implicit-def: $vgpr2
	s_and_saveexec_b64 s[10:11], vcc
	s_xor_b64 s[10:11], exec, s[10:11]
; %bb.87:                               ;   in Loop: Header=BB128_51 Depth=1
	v_bfe_u32 v2, v23, 16, 1
	v_add3_u32 v2, v23, v2, s18
                                        ; implicit-def: $vgpr23
; %bb.88:                               ;   in Loop: Header=BB128_51 Depth=1
	s_andn2_saveexec_b64 s[10:11], s[10:11]
; %bb.89:                               ;   in Loop: Header=BB128_51 Depth=1
	v_or_b32_e32 v2, 0x10000, v23
	v_cmp_eq_u32_sdwa vcc, v23, v19 src0_sel:WORD_0 src1_sel:DWORD
	v_cndmask_b32_e32 v2, v2, v23, vcc
; %bb.90:                               ;   in Loop: Header=BB128_51 Depth=1
	s_or_b64 exec, exec, s[10:11]
	v_and_b32_e32 v22, 0xffff0000, v22
	v_lshlrev_b32_e32 v23, 16, v27
	v_mul_f32_e32 v23, v22, v23
	v_and_b32_e32 v22, 0x7f800000, v23
	v_cmp_ne_u32_e32 vcc, s17, v22
                                        ; implicit-def: $vgpr22
	s_and_saveexec_b64 s[10:11], vcc
	s_xor_b64 s[10:11], exec, s[10:11]
; %bb.91:                               ;   in Loop: Header=BB128_51 Depth=1
	v_bfe_u32 v22, v23, 16, 1
	v_add3_u32 v22, v23, v22, s18
                                        ; implicit-def: $vgpr23
; %bb.92:                               ;   in Loop: Header=BB128_51 Depth=1
	s_andn2_saveexec_b64 s[10:11], s[10:11]
; %bb.93:                               ;   in Loop: Header=BB128_51 Depth=1
	v_or_b32_e32 v22, 0x10000, v23
	v_cmp_eq_u32_sdwa vcc, v23, v19 src0_sel:WORD_0 src1_sel:DWORD
	v_cndmask_b32_e32 v22, v22, v23, vcc
; %bb.94:                               ;   in Loop: Header=BB128_51 Depth=1
	s_or_b64 exec, exec, s[10:11]
	v_and_b32_e32 v21, 0xffff0000, v21
	v_lshlrev_b32_e32 v3, 16, v3
	v_mul_f32_e32 v21, v21, v3
	v_and_b32_e32 v3, 0x7f800000, v21
	v_cmp_ne_u32_e32 vcc, s17, v3
                                        ; implicit-def: $vgpr3
	s_and_saveexec_b64 s[10:11], vcc
	s_xor_b64 s[10:11], exec, s[10:11]
; %bb.95:                               ;   in Loop: Header=BB128_51 Depth=1
	v_bfe_u32 v3, v21, 16, 1
	v_add3_u32 v3, v21, v3, s18
                                        ; implicit-def: $vgpr21
; %bb.96:                               ;   in Loop: Header=BB128_51 Depth=1
	s_andn2_saveexec_b64 s[10:11], s[10:11]
; %bb.97:                               ;   in Loop: Header=BB128_51 Depth=1
	v_or_b32_e32 v3, 0x10000, v21
	v_cmp_eq_u32_sdwa vcc, v21, v19 src0_sel:WORD_0 src1_sel:DWORD
	v_cndmask_b32_e32 v3, v3, v21, vcc
; %bb.98:                               ;   in Loop: Header=BB128_51 Depth=1
	s_or_b64 exec, exec, s[10:11]
	v_and_b32_e32 v20, 0xffff0000, v20
	v_lshlrev_b32_e32 v21, 16, v26
	v_mul_f32_e32 v21, v20, v21
	v_and_b32_e32 v20, 0x7f800000, v21
	v_cmp_ne_u32_e32 vcc, s17, v20
                                        ; implicit-def: $vgpr20
	s_and_saveexec_b64 s[10:11], vcc
	s_xor_b64 s[10:11], exec, s[10:11]
; %bb.99:                               ;   in Loop: Header=BB128_51 Depth=1
	v_bfe_u32 v20, v21, 16, 1
	v_add3_u32 v20, v21, v20, s18
                                        ; implicit-def: $vgpr21
; %bb.100:                              ;   in Loop: Header=BB128_51 Depth=1
	s_andn2_saveexec_b64 s[10:11], s[10:11]
; %bb.101:                              ;   in Loop: Header=BB128_51 Depth=1
	v_or_b32_e32 v20, 0x10000, v21
	v_cmp_eq_u32_sdwa vcc, v21, v19 src0_sel:WORD_0 src1_sel:DWORD
	v_cndmask_b32_e32 v20, v20, v21, vcc
; %bb.102:                              ;   in Loop: Header=BB128_51 Depth=1
	s_or_b64 exec, exec, s[10:11]
	v_and_b32_e32 v9, 0xffff0000, v9
	v_lshlrev_b32_e32 v4, 16, v4
	v_mul_f32_e32 v9, v9, v4
	v_and_b32_e32 v4, 0x7f800000, v9
	v_cmp_ne_u32_e32 vcc, s17, v4
                                        ; implicit-def: $vgpr4
	s_and_saveexec_b64 s[10:11], vcc
	s_xor_b64 s[10:11], exec, s[10:11]
; %bb.103:                              ;   in Loop: Header=BB128_51 Depth=1
	v_bfe_u32 v4, v9, 16, 1
	v_add3_u32 v4, v9, v4, s18
                                        ; implicit-def: $vgpr9
; %bb.104:                              ;   in Loop: Header=BB128_51 Depth=1
	s_andn2_saveexec_b64 s[10:11], s[10:11]
; %bb.105:                              ;   in Loop: Header=BB128_51 Depth=1
	v_or_b32_e32 v4, 0x10000, v9
	v_cmp_eq_u32_sdwa vcc, v9, v19 src0_sel:WORD_0 src1_sel:DWORD
	v_cndmask_b32_e32 v4, v4, v9, vcc
; %bb.106:                              ;   in Loop: Header=BB128_51 Depth=1
	s_or_b64 exec, exec, s[10:11]
	v_and_b32_e32 v8, 0xffff0000, v8
	v_lshlrev_b32_e32 v9, 16, v25
	v_mul_f32_e32 v9, v8, v9
	v_and_b32_e32 v8, 0x7f800000, v9
	v_cmp_ne_u32_e32 vcc, s17, v8
                                        ; implicit-def: $vgpr8
	s_and_saveexec_b64 s[10:11], vcc
	s_xor_b64 s[10:11], exec, s[10:11]
; %bb.107:                              ;   in Loop: Header=BB128_51 Depth=1
	v_bfe_u32 v8, v9, 16, 1
	v_add3_u32 v8, v9, v8, s18
                                        ; implicit-def: $vgpr9
; %bb.108:                              ;   in Loop: Header=BB128_51 Depth=1
	s_andn2_saveexec_b64 s[10:11], s[10:11]
; %bb.109:                              ;   in Loop: Header=BB128_51 Depth=1
	v_or_b32_e32 v8, 0x10000, v9
	v_cmp_eq_u32_sdwa vcc, v9, v19 src0_sel:WORD_0 src1_sel:DWORD
	v_cndmask_b32_e32 v8, v8, v9, vcc
; %bb.110:                              ;   in Loop: Header=BB128_51 Depth=1
	s_or_b64 exec, exec, s[10:11]
	v_and_b32_e32 v7, 0xffff0000, v7
	v_lshlrev_b32_e32 v5, 16, v5
	v_mul_f32_e32 v7, v7, v5
	v_and_b32_e32 v5, 0x7f800000, v7
	v_cmp_ne_u32_e32 vcc, s17, v5
                                        ; implicit-def: $vgpr5
	s_and_saveexec_b64 s[10:11], vcc
	s_xor_b64 s[10:11], exec, s[10:11]
; %bb.111:                              ;   in Loop: Header=BB128_51 Depth=1
	v_bfe_u32 v5, v7, 16, 1
	v_add3_u32 v5, v7, v5, s18
                                        ; implicit-def: $vgpr7
; %bb.112:                              ;   in Loop: Header=BB128_51 Depth=1
	s_andn2_saveexec_b64 s[10:11], s[10:11]
; %bb.113:                              ;   in Loop: Header=BB128_51 Depth=1
	v_or_b32_e32 v5, 0x10000, v7
	v_cmp_eq_u32_sdwa vcc, v7, v19 src0_sel:WORD_0 src1_sel:DWORD
	v_cndmask_b32_e32 v5, v5, v7, vcc
; %bb.114:                              ;   in Loop: Header=BB128_51 Depth=1
	s_or_b64 exec, exec, s[10:11]
	v_and_b32_e32 v6, 0xffff0000, v6
	v_lshlrev_b32_e32 v7, 16, v24
	v_mul_f32_e32 v6, v6, v7
	v_and_b32_e32 v7, 0x7f800000, v6
	v_cmp_ne_u32_e32 vcc, s17, v7
                                        ; implicit-def: $vgpr7
	s_and_saveexec_b64 s[10:11], vcc
	s_xor_b64 s[10:11], exec, s[10:11]
; %bb.115:                              ;   in Loop: Header=BB128_51 Depth=1
	v_bfe_u32 v7, v6, 16, 1
	v_add3_u32 v7, v6, v7, s18
                                        ; implicit-def: $vgpr6
; %bb.116:                              ;   in Loop: Header=BB128_51 Depth=1
	s_andn2_saveexec_b64 s[10:11], s[10:11]
	s_cbranch_execz .LBB128_49
; %bb.117:                              ;   in Loop: Header=BB128_51 Depth=1
	v_or_b32_e32 v7, 0x10000, v6
	v_cmp_eq_u32_sdwa vcc, v6, v19 src0_sel:WORD_0 src1_sel:DWORD
	v_cndmask_b32_e32 v7, v7, v6, vcc
	s_branch .LBB128_49
.LBB128_118:
	s_or_b64 exec, exec, s[8:9]
.LBB128_119:
	s_or_b64 exec, exec, s[6:7]
	v_and_b32_e32 v0, 0x3c0, v0
	v_cmp_eq_u32_e32 vcc, 64, v0
	s_barrier
	s_and_saveexec_b64 s[2:3], vcc
	s_cbranch_execz .LBB128_121
; %bb.120:
	v_mov_b32_e32 v0, 0x90
	v_lshl_add_u32 v0, v14, 2, v0
	ds_write_b32 v0, v15
.LBB128_121:
	s_or_b64 exec, exec, s[2:3]
	s_waitcnt lgkmcnt(0)
	s_barrier
	s_and_saveexec_b64 s[2:3], s[0:1]
	s_cbranch_execz .LBB128_123
; %bb.122:
	v_mov_b32_e32 v0, 0x90
	v_lshl_add_u32 v0, v14, 2, v0
	ds_read_b32 v0, v0
	s_waitcnt lgkmcnt(0)
	v_add_f32_e32 v15, v15, v0
.LBB128_123:
	s_or_b64 exec, exec, s[2:3]
	s_barrier
	s_and_saveexec_b64 s[2:3], s[0:1]
	s_cbranch_execz .LBB128_129
; %bb.124:
	s_mov_b32 s0, 0x7f800000
	v_and_b32_e32 v0, 0x7f800000, v15
	v_cmp_ne_u32_e32 vcc, s0, v0
                                        ; implicit-def: $vgpr0
	s_and_saveexec_b64 s[0:1], vcc
	s_xor_b64 s[0:1], exec, s[0:1]
; %bb.125:
	v_bfe_u32 v0, v15, 16, 1
	s_movk_i32 s2, 0x7fff
	v_add3_u32 v0, v15, v0, s2
                                        ; implicit-def: $vgpr15
; %bb.126:
	s_andn2_saveexec_b64 s[0:1], s[0:1]
; %bb.127:
	v_mov_b32_e32 v0, 0
	v_or_b32_e32 v1, 0x10000, v15
	v_cmp_eq_u32_sdwa vcc, v15, v0 src0_sel:WORD_0 src1_sel:DWORD
	v_cndmask_b32_e32 v0, v1, v15, vcc
; %bb.128:
	s_or_b64 exec, exec, s[0:1]
	s_lshl_b32 s0, s4, 6
	s_ashr_i32 s1, s0, 31
	s_lshl_b64 s[0:1], s[0:1], 1
	s_add_u32 s2, s28, s0
	s_mul_i32 s0, s15, s14
	s_addc_u32 s3, s29, s1
	s_ashr_i32 s1, s0, 31
	s_lshl_b64 s[0:1], s[0:1], 1
	s_add_u32 s2, s2, s0
	s_addc_u32 s3, s3, s1
	s_ashr_i32 s17, s16, 31
	s_lshl_b64 s[0:1], s[16:17], 1
	s_add_u32 s0, s2, s0
	s_addc_u32 s1, s3, s1
	v_lshlrev_b32_e32 v1, 1, v14
	global_store_short_d16_hi v1, v0, s[0:1]
.LBB128_129:
	s_endpgm
	.section	.rodata,"a",@progbits
	.p2align	6, 0x0
	.amdhsa_kernel _ZN4vllm25paged_attention_v2_kernelI14__hip_bfloat16S1_Li64ELi8ELi128ELNS_18Fp8KVCacheDataTypeE0ELb1ELi512EEEvPfS3_PT_PKS4_PKT0_SA_ifPKiSC_iPKfiiiSE_SE_iiiii
		.amdhsa_group_segment_fixed_size 144
		.amdhsa_private_segment_fixed_size 0
		.amdhsa_kernarg_size 400
		.amdhsa_user_sgpr_count 6
		.amdhsa_user_sgpr_private_segment_buffer 1
		.amdhsa_user_sgpr_dispatch_ptr 0
		.amdhsa_user_sgpr_queue_ptr 0
		.amdhsa_user_sgpr_kernarg_segment_ptr 1
		.amdhsa_user_sgpr_dispatch_id 0
		.amdhsa_user_sgpr_flat_scratch_init 0
		.amdhsa_user_sgpr_kernarg_preload_length 0
		.amdhsa_user_sgpr_kernarg_preload_offset 0
		.amdhsa_user_sgpr_private_segment_size 0
		.amdhsa_uses_dynamic_stack 0
		.amdhsa_system_sgpr_private_segment_wavefront_offset 0
		.amdhsa_system_sgpr_workgroup_id_x 1
		.amdhsa_system_sgpr_workgroup_id_y 1
		.amdhsa_system_sgpr_workgroup_id_z 1
		.amdhsa_system_sgpr_workgroup_info 0
		.amdhsa_system_vgpr_workitem_id 0
		.amdhsa_next_free_vgpr 41
		.amdhsa_next_free_sgpr 54
		.amdhsa_accum_offset 44
		.amdhsa_reserve_vcc 1
		.amdhsa_reserve_flat_scratch 0
		.amdhsa_float_round_mode_32 0
		.amdhsa_float_round_mode_16_64 0
		.amdhsa_float_denorm_mode_32 3
		.amdhsa_float_denorm_mode_16_64 3
		.amdhsa_dx10_clamp 1
		.amdhsa_ieee_mode 1
		.amdhsa_fp16_overflow 0
		.amdhsa_tg_split 0
		.amdhsa_exception_fp_ieee_invalid_op 0
		.amdhsa_exception_fp_denorm_src 0
		.amdhsa_exception_fp_ieee_div_zero 0
		.amdhsa_exception_fp_ieee_overflow 0
		.amdhsa_exception_fp_ieee_underflow 0
		.amdhsa_exception_fp_ieee_inexact 0
		.amdhsa_exception_int_div_zero 0
	.end_amdhsa_kernel
	.section	.text._ZN4vllm25paged_attention_v2_kernelI14__hip_bfloat16S1_Li64ELi8ELi128ELNS_18Fp8KVCacheDataTypeE0ELb1ELi512EEEvPfS3_PT_PKS4_PKT0_SA_ifPKiSC_iPKfiiiSE_SE_iiiii,"axG",@progbits,_ZN4vllm25paged_attention_v2_kernelI14__hip_bfloat16S1_Li64ELi8ELi128ELNS_18Fp8KVCacheDataTypeE0ELb1ELi512EEEvPfS3_PT_PKS4_PKT0_SA_ifPKiSC_iPKfiiiSE_SE_iiiii,comdat
.Lfunc_end128:
	.size	_ZN4vllm25paged_attention_v2_kernelI14__hip_bfloat16S1_Li64ELi8ELi128ELNS_18Fp8KVCacheDataTypeE0ELb1ELi512EEEvPfS3_PT_PKS4_PKT0_SA_ifPKiSC_iPKfiiiSE_SE_iiiii, .Lfunc_end128-_ZN4vllm25paged_attention_v2_kernelI14__hip_bfloat16S1_Li64ELi8ELi128ELNS_18Fp8KVCacheDataTypeE0ELb1ELi512EEEvPfS3_PT_PKS4_PKT0_SA_ifPKiSC_iPKfiiiSE_SE_iiiii
                                        ; -- End function
	.section	.AMDGPU.csdata,"",@progbits
; Kernel info:
; codeLenInByte = 5444
; NumSgprs: 58
; NumVgprs: 41
; NumAgprs: 0
; TotalNumVgprs: 41
; ScratchSize: 0
; MemoryBound: 0
; FloatMode: 240
; IeeeMode: 1
; LDSByteSize: 144 bytes/workgroup (compile time only)
; SGPRBlocks: 7
; VGPRBlocks: 5
; NumSGPRsForWavesPerEU: 58
; NumVGPRsForWavesPerEU: 41
; AccumOffset: 44
; Occupancy: 8
; WaveLimiterHint : 1
; COMPUTE_PGM_RSRC2:SCRATCH_EN: 0
; COMPUTE_PGM_RSRC2:USER_SGPR: 6
; COMPUTE_PGM_RSRC2:TRAP_HANDLER: 0
; COMPUTE_PGM_RSRC2:TGID_X_EN: 1
; COMPUTE_PGM_RSRC2:TGID_Y_EN: 1
; COMPUTE_PGM_RSRC2:TGID_Z_EN: 1
; COMPUTE_PGM_RSRC2:TIDIG_COMP_CNT: 0
; COMPUTE_PGM_RSRC3_GFX90A:ACCUM_OFFSET: 10
; COMPUTE_PGM_RSRC3_GFX90A:TG_SPLIT: 0
	.section	.text._ZN4vllm32paged_attention_v2_reduce_kernelI14__hip_bfloat16Li64ELi128ELi512EEEvPT_PKfS5_PKS2_PKii,"axG",@progbits,_ZN4vllm32paged_attention_v2_reduce_kernelI14__hip_bfloat16Li64ELi128ELi512EEEvPT_PKfS5_PKS2_PKii,comdat
	.protected	_ZN4vllm32paged_attention_v2_reduce_kernelI14__hip_bfloat16Li64ELi128ELi512EEEvPT_PKfS5_PKS2_PKii ; -- Begin function _ZN4vllm32paged_attention_v2_reduce_kernelI14__hip_bfloat16Li64ELi128ELi512EEEvPT_PKfS5_PKS2_PKii
	.globl	_ZN4vllm32paged_attention_v2_reduce_kernelI14__hip_bfloat16Li64ELi128ELi512EEEvPT_PKfS5_PKS2_PKii
	.p2align	8
	.type	_ZN4vllm32paged_attention_v2_reduce_kernelI14__hip_bfloat16Li64ELi128ELi512EEEvPT_PKfS5_PKS2_PKii,@function
_ZN4vllm32paged_attention_v2_reduce_kernelI14__hip_bfloat16Li64ELi128ELi512EEEvPT_PKfS5_PKS2_PKii: ; @_ZN4vllm32paged_attention_v2_reduce_kernelI14__hip_bfloat16Li64ELi128ELi512EEEvPT_PKfS5_PKS2_PKii
; %bb.0:
	s_load_dwordx4 s[8:11], s[4:5], 0x18
	s_add_u32 s12, s4, 48
	s_mov_b32 s14, s7
	s_addc_u32 s13, s5, 0
	s_ashr_i32 s15, s7, 31
	s_lshl_b64 s[0:1], s[14:15], 2
	s_waitcnt lgkmcnt(0)
	s_add_u32 s0, s10, s0
	s_addc_u32 s1, s11, s1
	s_load_dword s24, s[0:1], 0x0
	s_load_dwordx2 s[10:11], s[4:5], 0x0
	s_load_dword s7, s[4:5], 0x28
	s_load_dword s15, s[4:5], 0x30
	s_waitcnt lgkmcnt(0)
	s_add_i32 s0, s24, -1
	s_cmpk_gt_u32 s0, 0x1ff
	s_mov_b64 s[0:1], -1
	s_cbranch_scc0 .LBB129_29
; %bb.1:
	s_add_i32 s0, s24, 0x1ff
	s_load_dwordx2 s[20:21], s[4:5], 0x8
	s_ashr_i32 s1, s0, 31
	s_lshr_b32 s1, s1, 23
	s_add_i32 s0, s0, s1
	s_mul_i32 s22, s15, s14
	s_ashr_i32 s23, s0, 9
	s_mul_i32 s16, s22, s7
	s_mul_i32 s18, s6, s7
	s_ashr_i32 s17, s16, 31
	s_ashr_i32 s19, s18, 31
	v_cmp_gt_i32_e32 vcc, s23, v0
	v_mov_b32_e32 v5, 0xff7fffff
	v_lshlrev_b32_e32 v1, 2, v0
	s_and_saveexec_b64 s[2:3], vcc
	s_cbranch_execz .LBB129_5
; %bb.2:
	s_load_dword s25, s[12:13], 0xc
	s_load_dwordx2 s[0:1], s[4:5], 0x10
	s_lshl_b64 s[4:5], s[16:17], 2
	s_lshl_b64 s[26:27], s[18:19], 2
	s_mov_b32 s28, 0
	s_waitcnt lgkmcnt(0)
	s_and_b32 s25, s25, 0xffff
	s_add_u32 s4, s4, s26
	s_addc_u32 s5, s5, s27
	s_add_u32 s0, s0, s4
	s_addc_u32 s1, s1, s5
	v_mov_b32_e32 v3, s1
	v_add_co_u32_e64 v2, s[0:1], s0, v1
	v_addc_co_u32_e64 v3, s[0:1], 0, v3, s[0:1]
	s_lshl_b32 s26, s25, 2
	v_add_u32_e32 v4, 16, v1
	s_mov_b64 s[4:5], 0
	v_mov_b32_e32 v5, 0xff7fffff
	v_mov_b32_e32 v6, s28
	;; [unrolled: 1-line block ×3, first 2 shown]
.LBB129_3:                              ; =>This Inner Loop Header: Depth=1
	global_load_dword v8, v[2:3], off
	v_add_co_u32_e64 v2, s[0:1], s26, v2
	v_add_u32_e32 v7, s25, v7
	v_addc_co_u32_e64 v3, s[0:1], v3, v6, s[0:1]
	v_max_f32_e32 v5, v5, v5
	v_cmp_le_i32_e64 s[0:1], s23, v7
	s_or_b64 s[4:5], s[0:1], s[4:5]
	s_waitcnt vmcnt(0)
	ds_write_b32 v4, v8
	v_max_f32_e32 v8, v8, v8
	v_add_u32_e32 v4, s26, v4
	v_max_f32_e32 v5, v5, v8
	s_andn2_b64 exec, exec, s[4:5]
	s_cbranch_execnz .LBB129_3
; %bb.4:
	s_or_b64 exec, exec, s[4:5]
.LBB129_5:
	s_or_b64 exec, exec, s[2:3]
	v_mbcnt_lo_u32_b32 v2, -1, 0
	v_mbcnt_hi_u32_b32 v2, -1, v2
	v_and_b32_e32 v3, 64, v2
	v_add_u32_e32 v6, 64, v3
	v_xor_b32_e32 v3, 32, v2
	v_cmp_lt_i32_e64 s[0:1], v3, v6
	v_cndmask_b32_e64 v3, v2, v3, s[0:1]
	v_lshlrev_b32_e32 v4, 2, v3
	ds_bpermute_b32 v3, v4, v5
	v_xor_b32_e32 v7, 16, v2
	v_max_f32_e32 v5, v5, v5
	v_cmp_lt_i32_e64 s[0:1], v7, v6
	v_xor_b32_e32 v8, 8, v2
	s_waitcnt lgkmcnt(0)
	v_max_f32_e32 v3, v3, v3
	v_max_f32_e32 v3, v5, v3
	v_cndmask_b32_e64 v5, v2, v7, s[0:1]
	v_lshlrev_b32_e32 v5, 2, v5
	ds_bpermute_b32 v7, v5, v3
	v_cmp_lt_i32_e64 s[0:1], v8, v6
	v_xor_b32_e32 v9, 4, v2
	v_xor_b32_e32 v10, 2, v2
	v_lshrrev_b32_e32 v13, 6, v0
	s_waitcnt lgkmcnt(0)
	v_max_f32_e32 v7, v7, v7
	v_max_f32_e32 v3, v3, v7
	v_cndmask_b32_e64 v7, v2, v8, s[0:1]
	v_lshlrev_b32_e32 v7, 2, v7
	ds_bpermute_b32 v8, v7, v3
	v_cmp_lt_i32_e64 s[0:1], v9, v6
	s_waitcnt lgkmcnt(0)
	s_barrier
	v_max_f32_e32 v8, v8, v8
	v_max_f32_e32 v3, v3, v8
	v_cndmask_b32_e64 v8, v2, v9, s[0:1]
	v_lshlrev_b32_e32 v8, 2, v8
	ds_bpermute_b32 v9, v8, v3
	v_cmp_lt_i32_e64 s[0:1], v10, v6
	s_waitcnt lgkmcnt(0)
	v_max_f32_e32 v9, v9, v9
	v_max_f32_e32 v11, v3, v9
	v_cndmask_b32_e64 v3, v2, v10, s[0:1]
	v_lshlrev_b32_e32 v9, 2, v3
	ds_bpermute_b32 v10, v9, v11
	v_and_b32_e32 v3, 63, v0
	s_waitcnt lgkmcnt(0)
	v_max_f32_e32 v10, v10, v10
	v_max_f32_e32 v11, v11, v10
	v_xor_b32_e32 v10, 1, v2
	v_cmp_lt_i32_e64 s[0:1], v10, v6
	v_cndmask_b32_e64 v6, v2, v10, s[0:1]
	v_lshlrev_b32_e32 v6, 2, v6
	ds_bpermute_b32 v12, v6, v11
	v_cmp_eq_u32_e64 s[0:1], 0, v3
	v_lshlrev_b32_e32 v10, 2, v13
	s_and_saveexec_b64 s[2:3], s[0:1]
	s_cbranch_execz .LBB129_7
; %bb.6:
	s_waitcnt lgkmcnt(0)
	v_max_f32_e32 v12, v12, v12
	v_max_f32_e32 v11, v11, v11
	v_max_f32_e32 v11, v11, v12
	ds_write_b32 v10, v11
.LBB129_7:
	s_or_b64 exec, exec, s[2:3]
	v_cmp_gt_u32_e64 s[2:3], 2, v3
	s_waitcnt lgkmcnt(0)
	v_mov_b32_e32 v12, 0xff7fffff
	v_lshlrev_b32_e32 v11, 2, v3
	s_barrier
	s_and_saveexec_b64 s[4:5], s[2:3]
	s_cbranch_execz .LBB129_9
; %bb.8:
	ds_read_b32 v12, v11
.LBB129_9:
	s_or_b64 exec, exec, s[4:5]
	s_waitcnt lgkmcnt(0)
	ds_bpermute_b32 v3, v6, v12
	v_max_f32_e32 v12, v12, v12
	v_lshlrev_b32_e32 v2, 2, v2
	s_lshl_b32 s25, s23, 2
	v_mov_b32_e32 v14, 0
	s_waitcnt lgkmcnt(0)
	v_max_f32_e32 v3, v3, v3
	v_max_f32_e32 v3, v12, v3
	v_and_b32_e32 v12, 0x100, v2
	ds_bpermute_b32 v13, v12, v3
	s_and_saveexec_b64 s[4:5], vcc
	s_cbranch_execz .LBB129_13
; %bb.10:
	s_load_dword s30, s[12:13], 0xc
	s_lshl_b64 s[26:27], s[16:17], 2
	s_lshl_b64 s[28:29], s[18:19], 2
	s_mov_b32 s31, 0
	v_mov_b32_e32 v14, 0
	s_waitcnt lgkmcnt(0)
	s_and_b32 s17, s30, 0xffff
	s_add_u32 s19, s26, s28
	s_addc_u32 s26, s27, s29
	s_add_u32 s19, s20, s19
	s_addc_u32 s20, s21, s26
	v_mov_b32_e32 v3, s20
	v_add_co_u32_e32 v2, vcc, s19, v1
	v_addc_co_u32_e32 v3, vcc, 0, v3, vcc
	s_lshl_b32 s19, s17, 2
	v_add_u32_e32 v1, 16, v1
	s_mov_b64 s[20:21], 0
	s_mov_b32 s26, 0x3fb8aa3b
	s_mov_b32 s27, 0xc2ce8ed0
	;; [unrolled: 1-line block ×3, first 2 shown]
	v_mov_b32_e32 v15, 0x7f800000
	v_mov_b32_e32 v16, s31
	;; [unrolled: 1-line block ×3, first 2 shown]
.LBB129_11:                             ; =>This Inner Loop Header: Depth=1
	global_load_dword v18, v[2:3], off
	ds_read_b32 v19, v1
	v_add_co_u32_e32 v2, vcc, s19, v2
	v_add_u32_e32 v17, s17, v17
	v_addc_co_u32_e32 v3, vcc, v3, v16, vcc
	s_waitcnt lgkmcnt(0)
	v_sub_f32_e32 v19, v19, v13
	v_mul_f32_e32 v21, 0x3fb8aa3b, v19
	v_fma_f32 v22, v19, s26, -v21
	v_rndne_f32_e32 v23, v21
	v_fmac_f32_e32 v22, 0x32a5705f, v19
	v_sub_f32_e32 v21, v21, v23
	v_add_f32_e32 v21, v21, v22
	v_cvt_i32_f32_e32 v23, v23
	v_exp_f32_e32 v21, v21
	v_cmp_le_i32_e32 vcc, s23, v17
	s_or_b64 s[20:21], vcc, s[20:21]
	v_cmp_ngt_f32_e32 vcc, s27, v19
	v_ldexp_f32 v21, v21, v23
	v_cndmask_b32_e32 v21, 0, v21, vcc
	v_cmp_nlt_f32_e32 vcc, s28, v19
	v_cndmask_b32_e32 v19, v15, v21, vcc
	v_add_u32_e32 v20, s25, v1
	v_add_u32_e32 v1, s19, v1
	s_waitcnt vmcnt(0)
	v_mul_f32_e32 v21, v18, v19
	v_fmac_f32_e32 v14, v18, v19
	ds_write_b32 v20, v21
	s_andn2_b64 exec, exec, s[20:21]
	s_cbranch_execnz .LBB129_11
; %bb.12:
	s_or_b64 exec, exec, s[20:21]
.LBB129_13:
	s_or_b64 exec, exec, s[4:5]
	ds_bpermute_b32 v1, v4, v14
	s_waitcnt lgkmcnt(0)
	s_barrier
	v_add_f32_e32 v1, v14, v1
	ds_bpermute_b32 v2, v5, v1
	s_waitcnt lgkmcnt(0)
	v_add_f32_e32 v1, v1, v2
	ds_bpermute_b32 v2, v7, v1
	s_waitcnt lgkmcnt(0)
	;; [unrolled: 3-line block ×5, first 2 shown]
	v_add_f32_e32 v1, v1, v2
	s_and_saveexec_b64 s[4:5], s[0:1]
	s_cbranch_execz .LBB129_15
; %bb.14:
	ds_write_b32 v10, v1 offset:8
.LBB129_15:
	s_or_b64 exec, exec, s[4:5]
	s_waitcnt lgkmcnt(0)
	s_barrier
	s_and_saveexec_b64 s[0:1], s[2:3]
	s_cbranch_execz .LBB129_17
; %bb.16:
	ds_read_b32 v1, v11 offset:8
.LBB129_17:
	s_or_b64 exec, exec, s[0:1]
	s_waitcnt lgkmcnt(0)
	ds_bpermute_b32 v2, v6, v1
	v_cmp_gt_u32_e32 vcc, 64, v0
	s_waitcnt lgkmcnt(0)
	v_add_f32_e32 v1, v1, v2
	ds_bpermute_b32 v2, v12, v1
	s_and_saveexec_b64 s[0:1], vcc
	s_cbranch_execz .LBB129_28
; %bb.18:
	s_cmp_gt_i32 s24, 0
	s_mov_b32 s4, 0
	s_cbranch_scc1 .LBB129_20
; %bb.19:
	v_mov_b32_e32 v1, 0
	v_mov_b32_e32 v4, s4
	s_cbranch_execz .LBB129_21
	s_branch .LBB129_23
.LBB129_20:
                                        ; implicit-def: $sgpr4
	v_mov_b32_e32 v4, s4
.LBB129_21:
	s_waitcnt lgkmcnt(0)
	v_add_f32_e32 v1, 0x358637bd, v2
	v_div_scale_f32 v2, s[2:3], v1, v1, 1.0
	v_rcp_f32_e32 v3, v2
	s_lshl_b32 s4, s16, 6
	s_lshl_b32 s16, s18, 6
	s_ashr_i32 s5, s4, 31
	v_fma_f32 v4, -v2, v3, 1.0
	v_fmac_f32_e32 v3, v4, v3
	v_div_scale_f32 v4, vcc, 1.0, v1, 1.0
	v_mul_f32_e32 v5, v4, v3
	s_ashr_i32 s17, s16, 31
	s_max_i32 s2, s23, 1
	v_fma_f32 v6, -v2, v5, v4
	s_add_i32 s3, s25, 16
	s_lshl_b64 s[4:5], s[4:5], 1
	s_lshl_b64 s[16:17], s[16:17], 1
	v_fmac_f32_e32 v5, v6, v3
	s_add_u32 s4, s4, s16
	v_fma_f32 v2, -v2, v5, v4
	s_addc_u32 s5, s5, s17
	v_div_fmas_f32 v2, v2, v3, v5
	s_add_u32 s4, s8, s4
	v_div_fixup_f32 v5, v2, v1, 1.0
	v_lshlrev_b32_e32 v2, 1, v0
	s_addc_u32 s5, s9, s5
	v_mov_b32_e32 v1, 0
	v_mov_b32_e32 v3, s5
	v_add_co_u32_e32 v2, vcc, s4, v2
	v_addc_co_u32_e32 v3, vcc, 0, v3, vcc
	v_mov_b32_e32 v4, v1
.LBB129_22:                             ; =>This Inner Loop Header: Depth=1
	global_load_ushort v6, v[2:3], off
	v_mov_b32_e32 v7, s3
	ds_read_b32 v7, v7
	s_add_i32 s2, s2, -1
	v_add_co_u32_e32 v2, vcc, 0x80, v2
	s_add_i32 s3, s3, 4
	v_addc_co_u32_e32 v3, vcc, 0, v3, vcc
	s_cmp_eq_u32 s2, 0
	s_waitcnt vmcnt(0)
	v_lshlrev_b32_e32 v6, 16, v6
	s_waitcnt lgkmcnt(0)
	v_mul_f32_e32 v6, v7, v6
	v_fmac_f32_e32 v4, v5, v6
	s_cbranch_scc0 .LBB129_22
.LBB129_23:
	s_mov_b32 s2, 0x7f800000
	s_waitcnt lgkmcnt(0)
	v_and_b32_e32 v2, 0x7f800000, v4
	v_cmp_ne_u32_e32 vcc, s2, v2
                                        ; implicit-def: $vgpr2
	s_and_saveexec_b64 s[2:3], vcc
	s_xor_b64 s[2:3], exec, s[2:3]
; %bb.24:
	v_bfe_u32 v2, v4, 16, 1
	s_movk_i32 s4, 0x7fff
	v_add3_u32 v2, v4, v2, s4
                                        ; implicit-def: $vgpr4
; %bb.25:
	s_andn2_saveexec_b64 s[2:3], s[2:3]
; %bb.26:
	v_mov_b32_e32 v2, 0
	v_or_b32_e32 v3, 0x10000, v4
	v_cmp_eq_u32_sdwa vcc, v4, v2 src0_sel:WORD_0 src1_sel:DWORD
	v_cndmask_b32_e32 v2, v3, v4, vcc
; %bb.27:
	s_or_b64 exec, exec, s[2:3]
	s_lshl_b32 s2, s22, 6
	s_ashr_i32 s3, s2, 31
	s_lshl_b64 s[2:3], s[2:3], 1
	s_add_u32 s4, s10, s2
	s_addc_u32 s5, s11, s3
	s_lshl_b32 s2, s6, 6
	s_ashr_i32 s3, s2, 31
	s_lshl_b64 s[2:3], s[2:3], 1
	s_add_u32 s2, s4, s2
	s_addc_u32 s3, s5, s3
	v_lshlrev_b64 v[4:5], 1, v[0:1]
	v_mov_b32_e32 v1, s3
	v_add_co_u32_e32 v4, vcc, s2, v4
	v_addc_co_u32_e32 v5, vcc, v1, v5, vcc
	global_store_short_d16_hi v[4:5], v2, off
.LBB129_28:
	s_or_b64 exec, exec, s[0:1]
	s_mov_b64 s[0:1], 0
.LBB129_29:
	s_and_b64 vcc, exec, s[0:1]
	s_cbranch_vccz .LBB129_38
; %bb.30:
	v_cmp_gt_u32_e32 vcc, 64, v0
	s_and_saveexec_b64 s[0:1], vcc
	s_cbranch_execz .LBB129_38
; %bb.31:
	s_mul_i32 s15, s15, s14
	s_lshl_b32 s0, s15, 6
	s_ashr_i32 s1, s0, 31
	s_lshl_b64 s[0:1], s[0:1], 1
	s_add_u32 s2, s10, s0
	s_addc_u32 s3, s11, s1
	s_lshl_b32 s0, s6, 6
	s_ashr_i32 s1, s0, 31
	s_lshl_b64 s[0:1], s[0:1], 1
	s_add_u32 s4, s2, s0
	s_mul_i32 s0, s7, s15
	s_addc_u32 s10, s3, s1
	s_lshl_b32 s0, s0, 6
	s_ashr_i32 s1, s0, 31
	s_lshl_b64 s[0:1], s[0:1], 1
	s_add_u32 s2, s8, s0
	s_mul_i32 s6, s6, s7
	s_addc_u32 s3, s9, s1
	s_lshl_b32 s0, s6, 6
	s_load_dword s6, s[12:13], 0xc
	s_ashr_i32 s1, s0, 31
	s_lshl_b64 s[0:1], s[0:1], 1
	s_add_u32 s5, s2, s0
	s_addc_u32 s7, s3, s1
	s_waitcnt lgkmcnt(0)
	s_and_b32 s6, s6, 0xffff
	v_cvt_f32_u32_e32 v1, s6
	v_add_u32_e32 v2, s6, v0
	v_mov_b32_e32 v4, s6
	v_cmp_gt_u32_e32 vcc, 64, v2
	v_rcp_iflag_f32_e32 v1, v1
	s_cmp_eq_u32 s6, 1
	v_max_u32_e32 v3, 64, v2
	v_addc_co_u32_e64 v2, s[0:1], v0, v4, vcc
	v_mul_f32_e32 v1, 0x4f7ffffe, v1
	v_cvt_u32_f32_e32 v1, v1
	s_cselect_b64 s[2:3], -1, 0
	s_sub_i32 s0, 0, s6
	v_sub_u32_e32 v2, v3, v2
	v_mul_lo_u32 v3, s0, v1
	v_mul_hi_u32 v3, v1, v3
	v_add_u32_e32 v1, v1, v3
	v_mul_hi_u32 v1, v2, v1
	v_mul_lo_u32 v3, v1, s6
	v_sub_u32_e32 v2, v2, v3
	v_add_u32_e32 v3, 1, v1
	v_cmp_le_u32_e64 s[0:1], s6, v2
	v_cndmask_b32_e64 v1, v1, v3, s[0:1]
	v_subrev_u32_e32 v3, s6, v2
	v_cndmask_b32_e64 v2, v2, v3, s[0:1]
	v_add_u32_e32 v3, 1, v1
	v_cmp_le_u32_e64 s[0:1], s6, v2
	v_cndmask_b32_e64 v1, v1, v3, s[0:1]
	v_addc_co_u32_e32 v1, vcc, 1, v1, vcc
	v_cmp_lt_u32_e32 vcc, 31, v1
	s_and_b64 s[8:9], vcc, s[2:3]
	s_mov_b64 s[2:3], -1
	s_and_saveexec_b64 s[0:1], s[8:9]
	s_cbranch_execz .LBB129_35
; %bb.32:
	v_and_b32_e32 v4, 0xffffffe0, v1
	s_mov_b64 s[2:3], 0
	v_mov_b32_e32 v3, 0
	v_mov_b32_e32 v5, s7
	v_mov_b32_e32 v6, s10
	v_mov_b32_e32 v2, v0
	v_mov_b32_e32 v7, v4
.LBB129_33:                             ; =>This Inner Loop Header: Depth=1
	v_lshlrev_b64 v[24:25], 1, v[2:3]
	v_add_co_u32_e32 v26, vcc, s5, v24
	v_addc_co_u32_e32 v27, vcc, v5, v25, vcc
	global_load_dwordx4 v[8:11], v[26:27], off
	global_load_dwordx4 v[12:15], v[26:27], off offset:16
	global_load_dwordx4 v[16:19], v[26:27], off offset:32
	;; [unrolled: 1-line block ×3, first 2 shown]
	v_add_co_u32_e32 v24, vcc, s4, v24
	v_subrev_u32_e32 v7, 32, v7
	v_addc_co_u32_e32 v25, vcc, v6, v25, vcc
	v_cmp_eq_u32_e32 vcc, 0, v7
	v_add_u32_e32 v2, 32, v2
	s_or_b64 s[2:3], vcc, s[2:3]
	s_waitcnt vmcnt(3)
	global_store_dwordx4 v[24:25], v[8:11], off
	s_waitcnt vmcnt(3)
	global_store_dwordx4 v[24:25], v[12:15], off offset:16
	s_waitcnt vmcnt(3)
	global_store_dwordx4 v[24:25], v[16:19], off offset:32
	;; [unrolled: 2-line block ×3, first 2 shown]
	s_andn2_b64 exec, exec, s[2:3]
	s_cbranch_execnz .LBB129_33
; %bb.34:
	s_or_b64 exec, exec, s[2:3]
	v_cmp_ne_u32_e32 vcc, v1, v4
	v_add_u32_e32 v0, v0, v4
	s_orn2_b64 s[2:3], vcc, exec
.LBB129_35:
	s_or_b64 exec, exec, s[0:1]
	s_and_b64 exec, exec, s[2:3]
	s_cbranch_execz .LBB129_38
; %bb.36:
	s_mov_b32 s3, 0
	v_mov_b32_e32 v1, 0
	v_lshlrev_b64 v[2:3], 1, v[0:1]
	s_lshl_b32 s2, s6, 1
	s_mov_b64 s[0:1], 0
	v_mov_b32_e32 v1, s7
	v_mov_b32_e32 v4, s10
	;; [unrolled: 1-line block ×3, first 2 shown]
.LBB129_37:                             ; =>This Inner Loop Header: Depth=1
	v_add_co_u32_e32 v6, vcc, s5, v2
	v_addc_co_u32_e32 v7, vcc, v1, v3, vcc
	global_load_ushort v8, v[6:7], off
	v_add_co_u32_e32 v6, vcc, s4, v2
	v_addc_co_u32_e32 v7, vcc, v4, v3, vcc
	v_add_co_u32_e32 v2, vcc, s2, v2
	v_add_u32_e32 v0, s6, v0
	v_addc_co_u32_e32 v3, vcc, v3, v5, vcc
	v_cmp_lt_u32_e32 vcc, 63, v0
	s_or_b64 s[0:1], vcc, s[0:1]
	s_waitcnt vmcnt(0)
	global_store_short v[6:7], v8, off
	s_andn2_b64 exec, exec, s[0:1]
	s_cbranch_execnz .LBB129_37
.LBB129_38:
	s_endpgm
	.section	.rodata,"a",@progbits
	.p2align	6, 0x0
	.amdhsa_kernel _ZN4vllm32paged_attention_v2_reduce_kernelI14__hip_bfloat16Li64ELi128ELi512EEEvPT_PKfS5_PKS2_PKii
		.amdhsa_group_segment_fixed_size 16
		.amdhsa_private_segment_fixed_size 0
		.amdhsa_kernarg_size 304
		.amdhsa_user_sgpr_count 6
		.amdhsa_user_sgpr_private_segment_buffer 1
		.amdhsa_user_sgpr_dispatch_ptr 0
		.amdhsa_user_sgpr_queue_ptr 0
		.amdhsa_user_sgpr_kernarg_segment_ptr 1
		.amdhsa_user_sgpr_dispatch_id 0
		.amdhsa_user_sgpr_flat_scratch_init 0
		.amdhsa_user_sgpr_kernarg_preload_length 0
		.amdhsa_user_sgpr_kernarg_preload_offset 0
		.amdhsa_user_sgpr_private_segment_size 0
		.amdhsa_uses_dynamic_stack 0
		.amdhsa_system_sgpr_private_segment_wavefront_offset 0
		.amdhsa_system_sgpr_workgroup_id_x 1
		.amdhsa_system_sgpr_workgroup_id_y 1
		.amdhsa_system_sgpr_workgroup_id_z 0
		.amdhsa_system_sgpr_workgroup_info 0
		.amdhsa_system_vgpr_workitem_id 0
		.amdhsa_next_free_vgpr 28
		.amdhsa_next_free_sgpr 32
		.amdhsa_accum_offset 28
		.amdhsa_reserve_vcc 1
		.amdhsa_reserve_flat_scratch 0
		.amdhsa_float_round_mode_32 0
		.amdhsa_float_round_mode_16_64 0
		.amdhsa_float_denorm_mode_32 3
		.amdhsa_float_denorm_mode_16_64 3
		.amdhsa_dx10_clamp 1
		.amdhsa_ieee_mode 1
		.amdhsa_fp16_overflow 0
		.amdhsa_tg_split 0
		.amdhsa_exception_fp_ieee_invalid_op 0
		.amdhsa_exception_fp_denorm_src 0
		.amdhsa_exception_fp_ieee_div_zero 0
		.amdhsa_exception_fp_ieee_overflow 0
		.amdhsa_exception_fp_ieee_underflow 0
		.amdhsa_exception_fp_ieee_inexact 0
		.amdhsa_exception_int_div_zero 0
	.end_amdhsa_kernel
	.section	.text._ZN4vllm32paged_attention_v2_reduce_kernelI14__hip_bfloat16Li64ELi128ELi512EEEvPT_PKfS5_PKS2_PKii,"axG",@progbits,_ZN4vllm32paged_attention_v2_reduce_kernelI14__hip_bfloat16Li64ELi128ELi512EEEvPT_PKfS5_PKS2_PKii,comdat
.Lfunc_end129:
	.size	_ZN4vllm32paged_attention_v2_reduce_kernelI14__hip_bfloat16Li64ELi128ELi512EEEvPT_PKfS5_PKS2_PKii, .Lfunc_end129-_ZN4vllm32paged_attention_v2_reduce_kernelI14__hip_bfloat16Li64ELi128ELi512EEEvPT_PKfS5_PKS2_PKii
                                        ; -- End function
	.section	.AMDGPU.csdata,"",@progbits
; Kernel info:
; codeLenInByte = 2284
; NumSgprs: 36
; NumVgprs: 28
; NumAgprs: 0
; TotalNumVgprs: 28
; ScratchSize: 0
; MemoryBound: 0
; FloatMode: 240
; IeeeMode: 1
; LDSByteSize: 16 bytes/workgroup (compile time only)
; SGPRBlocks: 4
; VGPRBlocks: 3
; NumSGPRsForWavesPerEU: 36
; NumVGPRsForWavesPerEU: 28
; AccumOffset: 28
; Occupancy: 8
; WaveLimiterHint : 0
; COMPUTE_PGM_RSRC2:SCRATCH_EN: 0
; COMPUTE_PGM_RSRC2:USER_SGPR: 6
; COMPUTE_PGM_RSRC2:TRAP_HANDLER: 0
; COMPUTE_PGM_RSRC2:TGID_X_EN: 1
; COMPUTE_PGM_RSRC2:TGID_Y_EN: 1
; COMPUTE_PGM_RSRC2:TGID_Z_EN: 0
; COMPUTE_PGM_RSRC2:TIDIG_COMP_CNT: 0
; COMPUTE_PGM_RSRC3_GFX90A:ACCUM_OFFSET: 6
; COMPUTE_PGM_RSRC3_GFX90A:TG_SPLIT: 0
	.section	.text._ZN4vllm25paged_attention_v2_kernelI14__hip_bfloat16S1_Li80ELi8ELi128ELNS_18Fp8KVCacheDataTypeE0ELb1ELi512EEEvPfS3_PT_PKS4_PKT0_SA_ifPKiSC_iPKfiiiSE_SE_iiiii,"axG",@progbits,_ZN4vllm25paged_attention_v2_kernelI14__hip_bfloat16S1_Li80ELi8ELi128ELNS_18Fp8KVCacheDataTypeE0ELb1ELi512EEEvPfS3_PT_PKS4_PKT0_SA_ifPKiSC_iPKfiiiSE_SE_iiiii,comdat
	.protected	_ZN4vllm25paged_attention_v2_kernelI14__hip_bfloat16S1_Li80ELi8ELi128ELNS_18Fp8KVCacheDataTypeE0ELb1ELi512EEEvPfS3_PT_PKS4_PKT0_SA_ifPKiSC_iPKfiiiSE_SE_iiiii ; -- Begin function _ZN4vllm25paged_attention_v2_kernelI14__hip_bfloat16S1_Li80ELi8ELi128ELNS_18Fp8KVCacheDataTypeE0ELb1ELi512EEEvPfS3_PT_PKS4_PKT0_SA_ifPKiSC_iPKfiiiSE_SE_iiiii
	.globl	_ZN4vllm25paged_attention_v2_kernelI14__hip_bfloat16S1_Li80ELi8ELi128ELNS_18Fp8KVCacheDataTypeE0ELb1ELi512EEEvPfS3_PT_PKS4_PKT0_SA_ifPKiSC_iPKfiiiSE_SE_iiiii
	.p2align	8
	.type	_ZN4vllm25paged_attention_v2_kernelI14__hip_bfloat16S1_Li80ELi8ELi128ELNS_18Fp8KVCacheDataTypeE0ELb1ELi512EEEvPfS3_PT_PKS4_PKT0_SA_ifPKiSC_iPKfiiiSE_SE_iiiii,@function
_ZN4vllm25paged_attention_v2_kernelI14__hip_bfloat16S1_Li80ELi8ELi128ELNS_18Fp8KVCacheDataTypeE0ELb1ELi512EEEvPfS3_PT_PKS4_PKT0_SA_ifPKiSC_iPKfiiiSE_SE_iiiii: ; @_ZN4vllm25paged_attention_v2_kernelI14__hip_bfloat16S1_Li80ELi8ELi128ELNS_18Fp8KVCacheDataTypeE0ELb1ELi512EEEvPfS3_PT_PKS4_PKT0_SA_ifPKiSC_iPKfiiiSE_SE_iiiii
; %bb.0:
	s_load_dwordx2 s[0:1], s[4:5], 0x40
	s_mov_b32 s30, s7
	s_ashr_i32 s31, s7, 31
	s_lshl_b64 s[2:3], s[30:31], 2
	s_waitcnt lgkmcnt(0)
	s_add_u32 s0, s0, s2
	s_addc_u32 s1, s1, s3
	s_load_dword s31, s[0:1], 0x0
	s_lshl_b32 s51, s8, 9
	s_waitcnt lgkmcnt(0)
	s_cmp_ge_i32 s51, s31
	s_cbranch_scc1 .LBB130_173
; %bb.1:
	s_load_dword s9, s[4:5], 0x90
	s_load_dwordx2 s[40:41], s[4:5], 0x30
	s_waitcnt lgkmcnt(0)
	s_abs_i32 s2, s9
	s_abs_i32 s0, s40
	v_cvt_f32_u32_e32 v1, s0
	s_sub_i32 s3, 0, s0
	s_xor_b32 s1, s9, s40
	s_ashr_i32 s1, s1, 31
	v_rcp_iflag_f32_e32 v1, v1
	v_mul_f32_e32 v1, 0x4f7ffffe, v1
	v_cvt_u32_f32_e32 v1, v1
	v_readfirstlane_b32 s7, v1
	s_mul_i32 s3, s3, s7
	s_mul_hi_u32 s3, s7, s3
	s_add_i32 s7, s7, s3
	s_mul_hi_u32 s3, s2, s7
	s_mul_i32 s7, s3, s0
	s_sub_i32 s2, s2, s7
	s_add_i32 s10, s3, 1
	s_sub_i32 s7, s2, s0
	s_cmp_ge_u32 s2, s0
	s_cselect_b32 s3, s10, s3
	s_cselect_b32 s2, s7, s2
	s_add_i32 s7, s3, 1
	s_cmp_ge_u32 s2, s0
	s_cselect_b32 s0, s7, s3
	s_xor_b32 s0, s0, s1
	s_sub_i32 s2, s0, s1
	s_abs_i32 s10, s2
	v_cvt_f32_u32_e32 v1, s10
	s_load_dwordx2 s[0:1], s[4:5], 0x50
	s_sub_i32 s3, 0, s10
	s_abs_i32 s11, s6
	v_rcp_iflag_f32_e32 v1, v1
	s_mov_b32 s7, 0
	v_mul_f32_e32 v1, 0x4f7ffffe, v1
	v_cvt_u32_f32_e32 v1, v1
	v_readfirstlane_b32 s12, v1
	s_mul_i32 s3, s3, s12
	s_mul_hi_u32 s3, s12, s3
	s_add_i32 s12, s12, s3
	s_waitcnt lgkmcnt(0)
	s_cmp_eq_u64 s[0:1], 0
	s_mul_hi_u32 s12, s11, s12
	s_cbranch_scc1 .LBB130_3
; %bb.2:
	s_ashr_i32 s7, s6, 31
	s_lshl_b64 s[14:15], s[6:7], 2
	s_add_u32 s0, s0, s14
	s_addc_u32 s1, s1, s15
	s_load_dword s7, s[0:1], 0x0
.LBB130_3:
	s_load_dwordx4 s[16:19], s[4:5], 0x58
	s_movk_i32 s0, 0x50
	s_ashr_i32 s13, s6, 31
	s_ashr_i32 s20, s2, 31
	v_and_b32_e32 v2, 7, v0
	s_mul_i32 s14, s6, 0x50
	v_cmp_gt_u32_e64 s[0:1], s0, v0
	v_lshlrev_b32_e32 v1, 1, v0
	s_and_saveexec_b64 s[2:3], s[0:1]
	s_cbranch_execz .LBB130_5
; %bb.4:
	s_load_dwordx2 s[22:23], s[4:5], 0x18
	s_waitcnt lgkmcnt(0)
	s_mul_i32 s24, s30, s16
	s_ashr_i32 s25, s24, 31
	s_lshl_b64 s[24:25], s[24:25], 1
	v_lshrrev_b32_e32 v4, 2, v0
	s_add_u32 s16, s22, s24
	s_addc_u32 s19, s23, s25
	s_ashr_i32 s15, s14, 31
	s_lshl_b64 s[22:23], s[14:15], 1
	s_add_u32 s22, s16, s22
	s_addc_u32 s23, s19, s23
	global_load_ushort v3, v1, s[22:23]
	v_and_b32_e32 v4, 0xfe, v4
	v_mad_u32_u24 v4, v2, 20, v4
	s_waitcnt vmcnt(0)
	ds_write_b16 v4, v3
.LBB130_5:
	s_or_b64 exec, exec, s[2:3]
	s_mul_i32 s3, s12, s10
	s_sub_i32 s3, s11, s3
	s_xor_b32 s2, s13, s20
	s_add_i32 s11, s12, 1
	s_sub_i32 s13, s3, s10
	s_load_dwordx4 s[20:23], s[4:5], 0x78
	s_cmp_ge_u32 s3, s10
	s_cselect_b32 s11, s11, s12
	s_cselect_b32 s3, s13, s3
	s_load_dword s13, s[4:5], 0x88
	s_add_i32 s12, s11, 1
	s_cmp_ge_u32 s3, s10
	s_cselect_b32 s3, s12, s11
	s_waitcnt lgkmcnt(0)
	s_abs_i32 s33, s23
	v_cvt_f32_u32_e32 v3, s33
	s_xor_b32 s3, s3, s2
	s_sub_i32 s10, s3, s2
	s_sub_i32 s2, 0, s33
	v_rcp_iflag_f32_e32 v3, v3
	s_add_i32 s15, s31, -1
	s_abs_i32 s11, s15
	v_mul_f32_e32 v3, 0x4f7ffffe, v3
	v_cvt_u32_f32_e32 v3, v3
	s_barrier
	v_readfirstlane_b32 s48, v3
	s_mul_i32 s2, s2, s48
	s_mul_hi_u32 s2, s48, s2
	s_add_i32 s48, s48, s2
	s_cmp_lt_i32 s13, 0
	s_mul_hi_u32 s12, s11, s48
	s_cbranch_scc0 .LBB130_7
; %bb.6:
	s_mul_i32 s2, s20, s40
	s_add_i32 s2, s10, s2
	s_mul_i32 s2, s2, s13
	s_sub_i32 s49, 1, s2
	s_mov_b64 s[2:3], 0
	s_branch .LBB130_8
.LBB130_7:
	s_mov_b64 s[2:3], -1
                                        ; implicit-def: $sgpr49
.LBB130_8:
	s_load_dwordx2 s[34:35], s[4:5], 0x38
	s_ashr_i32 s16, s15, 31
	s_andn2_b64 vcc, exec, s[2:3]
	s_ashr_i32 s23, s23, 31
	s_cbranch_vccnz .LBB130_10
; %bb.9:
	s_mul_i32 s2, s9, s20
	s_add_i32 s2, s2, s6
	s_mul_i32 s2, s2, s13
	s_add_i32 s49, s2, 1
.LBB130_10:
	s_load_dword s2, s[4:5], 0x48
	s_load_dwordx2 s[38:39], s[4:5], 0x28
	s_load_dword s15, s[4:5], 0x98
	s_load_dwordx4 s[24:27], s[4:5], 0x0
	s_load_dwordx2 s[28:29], s[4:5], 0x10
	s_mul_i32 s3, s12, s33
	s_waitcnt lgkmcnt(0)
	s_mul_i32 s36, s30, s2
	s_sub_i32 s3, s11, s3
	s_ashr_i32 s37, s36, 31
	s_xor_b32 s2, s16, s23
	s_add_i32 s11, s12, 1
	s_sub_i32 s13, s3, s33
	s_cmp_ge_u32 s3, s33
	s_cselect_b32 s11, s11, s12
	s_cselect_b32 s3, s13, s3
	s_add_i32 s12, s11, 1
	s_cmp_ge_u32 s3, s33
	s_cselect_b32 s3, s12, s11
	s_xor_b32 s3, s3, s2
	s_sub_i32 s50, s3, s2
	s_add_i32 s2, s31, 7
	s_ashr_i32 s3, s2, 31
	s_lshr_b32 s3, s3, 29
	s_add_i32 s2, s2, s3
	s_lshl_b32 s40, s8, 6
	s_ashr_i32 s16, s2, 3
	s_add_i32 s2, s40, 64
	v_lshrrev_b32_e32 v4, 6, v0
	s_min_i32 s20, s2, s16
	v_or_b32_e32 v10, s40, v4
	v_cmp_gt_i32_e64 s[2:3], s20, v10
	v_mov_b32_e32 v13, 0xff7fffff
	s_mul_i32 s18, s10, s18
	v_ashrrev_i32_e32 v11, 31, v10
	v_lshl_add_u32 v16, v4, 3, s51
	v_mbcnt_lo_u32_b32 v5, -1, 0
	s_and_saveexec_b64 s[42:43], s[2:3]
	s_cbranch_execz .LBB130_20
; %bb.11:
	s_load_dwordx2 s[4:5], s[4:5], 0x20
	s_ashr_i32 s19, s18, 31
	s_sub_i32 s52, s50, s21
	s_lshl_b64 s[10:11], s[18:19], 1
	v_bfe_u32 v6, v0, 3, 3
	s_waitcnt lgkmcnt(0)
	s_add_u32 s4, s4, s10
	s_addc_u32 s5, s5, s11
	s_abs_i32 s19, s22
	v_cvt_f32_u32_e32 v8, s19
	v_lshlrev_b32_e32 v3, 4, v6
	v_mov_b32_e32 v7, s5
	v_add_co_u32_e64 v3, s[4:5], s4, v3
	v_rcp_iflag_f32_e32 v12, v8
	v_addc_co_u32_e64 v9, s[4:5], 0, v7, s[4:5]
	v_lshlrev_b32_e32 v7, 1, v2
	v_add_co_u32_e64 v7, s[4:5], v3, v7
	v_mul_f32_e32 v3, 0x4f7ffffe, v12
	v_cvt_u32_f32_e32 v3, v3
	s_sub_i32 s10, 0, s19
	v_cmp_eq_u32_e32 vcc, 0, v2
	v_addc_co_u32_e64 v8, s[4:5], 0, v9, s[4:5]
	v_mul_u32_u24_e32 v9, 20, v2
	v_mul_lo_u32 v2, s10, v3
	s_lshl_b64 s[10:11], s[36:37], 2
	v_mul_hi_u32 v2, v3, v2
	s_add_u32 s10, s34, s10
	v_add_u32_e32 v12, v3, v2
	v_lshlrev_b64 v[2:3], 2, v[10:11]
	s_addc_u32 s11, s35, s11
	v_mov_b32_e32 v13, s11
	v_add_co_u32_e64 v2, s[10:11], s10, v2
	v_addc_co_u32_e64 v3, s[10:11], v13, v3, s[10:11]
	v_lshlrev_b32_e32 v13, 2, v6
	v_lshl_or_b32 v13, v4, 5, v13
	v_add_u32_e32 v15, 0xb0, v13
	v_subrev_u32_e32 v13, s31, v6
	v_mbcnt_hi_u32_b32 v19, -1, v5
	v_add_u32_e32 v17, 1, v13
	v_and_b32_e32 v13, 64, v19
	s_mov_b32 s53, s17
	v_cmp_neq_f32_e64 s[4:5], s7, 0
	v_lshl_add_u32 v14, v4, 3, s51
	s_mov_b64 s[44:45], 0
	v_mov_b32_e32 v18, 0xff7fffff
	v_add_u32_e32 v20, 64, v13
	v_xor_b32_e32 v21, 4, v19
	v_xor_b32_e32 v22, 2, v19
	;; [unrolled: 1-line block ×3, first 2 shown]
	v_mov_b32_e32 v13, 0xff7fffff
	v_mov_b32_e32 v24, v10
	s_branch .LBB130_14
.LBB130_12:                             ;   in Loop: Header=BB130_14 Depth=1
	s_or_b64 exec, exec, s[46:47]
.LBB130_13:                             ;   in Loop: Header=BB130_14 Depth=1
	s_or_b64 exec, exec, s[12:13]
	v_add_co_u32_e64 v2, s[10:11], 8, v2
	v_add_u32_e32 v24, 2, v24
	v_addc_co_u32_e64 v3, s[10:11], 0, v3, s[10:11]
	v_cmp_le_i32_e64 s[10:11], s20, v24
	v_add_u32_e32 v14, 16, v14
	s_or_b64 s[44:45], s[10:11], s[44:45]
	v_add_u32_e32 v15, 64, v15
	s_andn2_b64 exec, exec, s[44:45]
	s_cbranch_execz .LBB130_19
.LBB130_14:                             ; =>This Inner Loop Header: Depth=1
	s_waitcnt lgkmcnt(0)
	v_sub_u32_e32 v26, 0, v14
	v_max_i32_e32 v26, v14, v26
	v_mul_hi_u32 v27, v26, s48
	v_mul_lo_u32 v28, v27, s33
	v_sub_u32_e32 v26, v26, v28
	v_add_u32_e32 v28, 1, v27
	v_cmp_le_u32_e64 s[10:11], s33, v26
	v_cndmask_b32_e64 v27, v27, v28, s[10:11]
	v_subrev_u32_e32 v28, s33, v26
	v_cndmask_b32_e64 v26, v26, v28, s[10:11]
	v_ashrrev_i32_e32 v25, 31, v14
	v_add_u32_e32 v28, 1, v27
	v_cmp_le_u32_e64 s[10:11], s33, v26
	v_xor_b32_e32 v25, s23, v25
	v_cndmask_b32_e64 v26, v27, v28, s[10:11]
	v_xor_b32_e32 v26, v26, v25
	v_sub_u32_e32 v25, v26, v25
	v_add_u32_e32 v26, s49, v25
	v_sub_u32_e32 v28, 0, v26
	v_ashrrev_i32_e32 v27, 31, v26
	v_max_i32_e32 v26, v26, v28
	v_mul_hi_u32 v28, v26, v12
	v_mul_lo_u32 v28, v28, s19
	v_sub_u32_e32 v26, v26, v28
	v_subrev_u32_e32 v28, s19, v26
	v_cmp_le_u32_e64 s[10:11], s19, v26
	v_cndmask_b32_e64 v26, v26, v28, s[10:11]
	v_subrev_u32_e32 v28, s19, v26
	v_cmp_le_u32_e64 s[10:11], s19, v26
	v_cndmask_b32_e64 v26, v26, v28, s[10:11]
	v_xor_b32_e32 v26, v26, v27
	v_sub_u32_e32 v26, v26, v27
	v_cmp_ne_u32_e64 s[10:11], 0, v26
	v_cmp_ge_i32_e64 s[12:13], s52, v25
	s_and_b64 s[10:11], s[10:11], s[12:13]
	s_and_b64 s[46:47], vcc, s[10:11]
	s_and_saveexec_b64 s[12:13], s[46:47]
	s_cbranch_execz .LBB130_16
; %bb.15:                               ;   in Loop: Header=BB130_14 Depth=1
	ds_write_b32 v15, v18
.LBB130_16:                             ;   in Loop: Header=BB130_14 Depth=1
	s_or_b64 exec, exec, s[12:13]
	s_xor_b64 s[10:11], s[10:11], -1
	s_and_saveexec_b64 s[12:13], s[10:11]
	s_cbranch_execz .LBB130_13
; %bb.17:                               ;   in Loop: Header=BB130_14 Depth=1
	global_load_dword v25, v[2:3], off
	s_waitcnt vmcnt(0)
	v_mad_i64_i32 v[26:27], s[10:11], v25, s53, 0
	v_lshlrev_b64 v[26:27], 1, v[26:27]
	v_add_co_u32_e64 v26, s[10:11], v7, v26
	v_addc_co_u32_e64 v27, s[10:11], v8, v27, s[10:11]
	global_load_ushort v25, v[26:27], off
	global_load_ushort v30, v[26:27], off offset:128
	global_load_ushort v31, v[26:27], off offset:256
	;; [unrolled: 1-line block ×9, first 2 shown]
	ds_read2_b32 v[26:27], v9 offset1:1
	ds_read2_b32 v[28:29], v9 offset0:2 offset1:3
	ds_read_b32 v39, v9 offset:16
	v_cmp_lt_i32_e64 s[10:11], v21, v20
	v_cndmask_b32_e64 v40, v19, v21, s[10:11]
	s_waitcnt lgkmcnt(2)
	v_lshlrev_b32_e32 v41, 16, v26
	v_and_b32_e32 v26, 0xffff0000, v26
	v_lshlrev_b32_e32 v42, 16, v27
	v_and_b32_e32 v27, 0xffff0000, v27
	s_waitcnt lgkmcnt(1)
	v_lshlrev_b32_e32 v43, 16, v28
	v_and_b32_e32 v28, 0xffff0000, v28
	v_lshlrev_b32_e32 v44, 16, v29
	v_and_b32_e32 v29, 0xffff0000, v29
	s_waitcnt lgkmcnt(0)
	v_lshlrev_b32_e32 v45, 16, v39
	v_and_b32_e32 v39, 0xffff0000, v39
	v_lshlrev_b32_e32 v40, 2, v40
	v_cmp_lt_i32_e64 s[10:11], v22, v20
	s_waitcnt vmcnt(9)
	v_lshlrev_b32_e32 v25, 16, v25
	s_waitcnt vmcnt(8)
	v_lshlrev_b32_e32 v30, 16, v30
	v_mul_f32_e32 v26, v26, v30
	s_waitcnt vmcnt(7)
	v_lshlrev_b32_e32 v31, 16, v31
	v_fmac_f32_e32 v26, v41, v25
	s_waitcnt vmcnt(6)
	v_lshlrev_b32_e32 v32, 16, v32
	v_fmac_f32_e32 v26, v42, v31
	;; [unrolled: 3-line block ×7, first 2 shown]
	v_fmac_f32_e32 v26, v45, v37
	s_waitcnt vmcnt(0)
	v_lshlrev_b32_e32 v25, 16, v38
	v_fmac_f32_e32 v26, v39, v25
	ds_bpermute_b32 v25, v40, v26
	v_cndmask_b32_e64 v27, v19, v22, s[10:11]
	v_lshlrev_b32_e32 v27, 2, v27
	v_cmp_lt_i32_e64 s[10:11], v23, v20
	s_waitcnt lgkmcnt(0)
	v_add_f32_e32 v25, v26, v25
	ds_bpermute_b32 v26, v27, v25
	v_cndmask_b32_e64 v27, v19, v23, s[10:11]
	v_lshlrev_b32_e32 v27, 2, v27
	s_waitcnt lgkmcnt(0)
	v_add_f32_e32 v25, v25, v26
	ds_bpermute_b32 v26, v27, v25
	s_and_saveexec_b64 s[46:47], vcc
	s_cbranch_execz .LBB130_12
; %bb.18:                               ;   in Loop: Header=BB130_14 Depth=1
	v_add_u32_e32 v27, v17, v14
	v_cvt_f32_i32_e32 v27, v27
	s_waitcnt lgkmcnt(0)
	v_add_f32_e32 v25, v25, v26
	v_add_u32_e32 v28, v6, v14
	v_cmp_gt_i32_e64 s[10:11], s31, v28
	v_mul_f32_e32 v26, s7, v27
	v_cndmask_b32_e64 v26, 0, v26, s[4:5]
	v_fmac_f32_e32 v26, s41, v25
	v_cndmask_b32_e64 v25, 0, v26, s[10:11]
	ds_write_b32 v15, v25
	v_max_f32_e32 v25, v13, v13
	v_max_f32_e32 v25, v25, v26
	v_cndmask_b32_e64 v13, v13, v25, s[10:11]
	s_branch .LBB130_12
.LBB130_19:
	s_or_b64 exec, exec, s[44:45]
.LBB130_20:
	s_or_b64 exec, exec, s[42:43]
	v_mbcnt_hi_u32_b32 v2, -1, v5
	v_and_b32_e32 v3, 64, v2
	v_add_u32_e32 v3, 64, v3
	v_xor_b32_e32 v5, 32, v2
	v_cmp_lt_i32_e32 vcc, v5, v3
	v_cndmask_b32_e32 v5, v2, v5, vcc
	v_lshlrev_b32_e32 v7, 2, v5
	ds_bpermute_b32 v5, v7, v13
	v_xor_b32_e32 v8, 16, v2
	v_max_f32_e32 v6, v13, v13
	v_cmp_lt_i32_e32 vcc, v8, v3
	v_and_b32_e32 v17, 63, v0
	s_waitcnt lgkmcnt(0)
	v_max_f32_e32 v5, v5, v5
	v_max_f32_e32 v5, v6, v5
	v_cndmask_b32_e32 v6, v2, v8, vcc
	v_lshlrev_b32_e32 v9, 2, v6
	ds_bpermute_b32 v6, v9, v5
	v_xor_b32_e32 v8, 8, v2
	v_cmp_lt_i32_e32 vcc, v8, v3
	s_waitcnt lgkmcnt(0)
	v_max_f32_e32 v6, v6, v6
	v_max_f32_e32 v5, v5, v6
	v_cndmask_b32_e32 v6, v2, v8, vcc
	v_lshlrev_b32_e32 v12, 2, v6
	ds_bpermute_b32 v8, v12, v5
	v_cmp_eq_u32_e32 vcc, 0, v17
	v_lshlrev_b32_e32 v6, 2, v4
	s_and_saveexec_b64 s[4:5], vcc
	s_cbranch_execz .LBB130_22
; %bb.21:
	s_waitcnt lgkmcnt(0)
	v_max_f32_e32 v8, v8, v8
	v_max_f32_e32 v5, v5, v5
	;; [unrolled: 1-line block ×3, first 2 shown]
	ds_write_b32 v6, v5 offset:160
.LBB130_22:
	s_or_b64 exec, exec, s[4:5]
	v_cmp_gt_u32_e64 s[4:5], 2, v17
	v_mov_b32_e32 v5, 0xff7fffff
	s_waitcnt lgkmcnt(0)
	v_lshlrev_b32_e32 v8, 2, v17
	s_barrier
	s_and_saveexec_b64 s[10:11], s[4:5]
	s_cbranch_execz .LBB130_24
; %bb.23:
	ds_read_b32 v5, v8 offset:160
.LBB130_24:
	s_or_b64 exec, exec, s[10:11]
	v_xor_b32_e32 v13, 1, v2
	v_cmp_lt_i32_e64 s[10:11], v13, v3
	v_cndmask_b32_e64 v13, v2, v13, s[10:11]
	v_lshlrev_b32_e32 v13, 2, v13
	s_waitcnt lgkmcnt(0)
	ds_bpermute_b32 v14, v13, v5
	v_max_f32_e32 v5, v5, v5
	s_sub_i32 s7, s20, s40
	s_lshl_b32 s7, s7, 3
	s_add_i32 s7, s7, s51
	s_waitcnt lgkmcnt(0)
	v_max_f32_e32 v14, v14, v14
	v_max_f32_e32 v5, v5, v14
	v_lshlrev_b32_e32 v14, 2, v2
	v_and_b32_e32 v14, 0x100, v14
	ds_bpermute_b32 v5, v14, v5
	s_min_i32 s19, s7, s31
	s_sub_i32 s7, s19, s51
	v_cmp_gt_i32_e64 s[10:11], s7, v0
	v_mov_b32_e32 v15, 0
	s_and_saveexec_b64 s[40:41], s[10:11]
	s_cbranch_execz .LBB130_28
; %bb.25:
	v_mov_b32_e32 v15, 0xb0
	v_lshl_add_u32 v18, v0, 2, v15
	s_mov_b64 s[42:43], 0
	v_mov_b32_e32 v15, 0
	v_mov_b32_e32 v19, v0
.LBB130_26:                             ; =>This Inner Loop Header: Depth=1
	ds_read_b32 v20, v18
	v_add_u32_e32 v19, 0x80, v19
	v_cmp_le_i32_e64 s[12:13], s7, v19
	s_or_b64 s[42:43], s[12:13], s[42:43]
	s_waitcnt lgkmcnt(0)
	v_sub_f32_e32 v20, v20, v5
	v_mul_f32_e32 v20, 0x3fb8aa3b, v20
	v_exp_f32_e32 v20, v20
	ds_write_b32 v18, v20
	v_add_f32_e32 v15, v15, v20
	v_add_u32_e32 v18, 0x200, v18
	s_andn2_b64 exec, exec, s[42:43]
	s_cbranch_execnz .LBB130_26
; %bb.27:
	s_or_b64 exec, exec, s[42:43]
.LBB130_28:
	s_or_b64 exec, exec, s[40:41]
	ds_bpermute_b32 v7, v7, v15
	s_waitcnt lgkmcnt(0)
	v_add_f32_e32 v7, v15, v7
	ds_bpermute_b32 v9, v9, v7
	s_waitcnt lgkmcnt(0)
	v_add_f32_e32 v7, v7, v9
	ds_bpermute_b32 v9, v12, v7
	v_xor_b32_e32 v12, 4, v2
	v_cmp_lt_i32_e64 s[12:13], v12, v3
	v_cndmask_b32_e64 v12, v2, v12, s[12:13]
	v_lshlrev_b32_e32 v12, 2, v12
	s_waitcnt lgkmcnt(0)
	v_add_f32_e32 v7, v7, v9
	ds_bpermute_b32 v9, v12, v7
	v_xor_b32_e32 v12, 2, v2
	v_cmp_lt_i32_e64 s[12:13], v12, v3
	v_cndmask_b32_e64 v2, v2, v12, s[12:13]
	v_lshlrev_b32_e32 v2, 2, v2
	s_waitcnt lgkmcnt(0)
	v_add_f32_e32 v3, v7, v9
	ds_bpermute_b32 v2, v2, v3
	s_waitcnt lgkmcnt(0)
	v_add_f32_e32 v2, v3, v2
	ds_bpermute_b32 v3, v13, v2
	s_waitcnt lgkmcnt(0)
	v_add_f32_e32 v2, v2, v3
	s_and_saveexec_b64 s[12:13], vcc
	s_cbranch_execz .LBB130_30
; %bb.29:
	ds_write_b32 v6, v2 offset:168
.LBB130_30:
	s_or_b64 exec, exec, s[12:13]
	s_waitcnt lgkmcnt(0)
	s_barrier
	s_and_saveexec_b64 s[12:13], s[4:5]
	s_cbranch_execz .LBB130_32
; %bb.31:
	ds_read_b32 v2, v8 offset:168
.LBB130_32:
	s_or_b64 exec, exec, s[12:13]
	s_waitcnt lgkmcnt(0)
	ds_bpermute_b32 v3, v13, v2
	s_waitcnt lgkmcnt(0)
	v_add_f32_e32 v2, v2, v3
	ds_bpermute_b32 v6, v14, v2
	s_and_saveexec_b64 s[4:5], s[10:11]
	s_cbranch_execz .LBB130_45
; %bb.33:
	s_waitcnt lgkmcnt(0)
	v_add_f32_e32 v2, 0x358637bd, v6
	v_div_scale_f32 v3, s[10:11], v2, v2, 1.0
	v_rcp_f32_e32 v7, v3
	v_div_scale_f32 v8, vcc, 1.0, v2, 1.0
	s_movk_i32 s10, 0x7f
	v_fma_f32 v9, -v3, v7, 1.0
	v_fmac_f32_e32 v7, v9, v7
	v_mul_f32_e32 v9, v8, v7
	v_fma_f32 v12, -v3, v9, v8
	v_fmac_f32_e32 v9, v12, v7
	v_fma_f32 v3, -v3, v9, v8
	v_div_fmas_f32 v3, v3, v7, v9
	v_div_fixup_f32 v2, v3, v2, 1.0
	v_xad_u32 v3, v0, -1, s19
	v_subrev_u32_e32 v7, s51, v3
	v_cmp_lt_u32_e32 vcc, s10, v7
	s_mov_b64 s[12:13], -1
	v_mov_b32_e32 v3, v0
	s_and_saveexec_b64 s[10:11], vcc
	s_cbranch_execz .LBB130_42
; %bb.34:
	v_lshrrev_b32_e32 v7, 7, v7
	v_add_u32_e32 v9, -1, v7
	v_lshrrev_b32_e32 v8, 1, v9
	v_mov_b32_e32 v3, v2
	v_add_u32_e32 v8, 1, v8
	v_cmp_lt_u32_e32 vcc, 13, v9
	v_mov_b32_e32 v13, 0
	s_and_saveexec_b64 s[12:13], vcc
	s_cbranch_execz .LBB130_38
; %bb.35:
	v_mov_b32_e32 v12, 0xb0
	v_and_b32_e32 v9, -8, v8
	v_lshl_add_u32 v12, v0, 2, v12
	s_mov_b32 s19, 0
	s_mov_b64 s[40:41], 0
.LBB130_36:                             ; =>This Inner Loop Header: Depth=1
	ds_read2st64_b32 v[14:15], v12 offset1:2
	ds_read2st64_b32 v[18:19], v12 offset0:4 offset1:6
	ds_read2st64_b32 v[20:21], v12 offset0:8 offset1:10
	;; [unrolled: 1-line block ×3, first 2 shown]
	v_add_u32_e32 v9, -8, v9
	s_waitcnt lgkmcnt(3)
	v_pk_mul_f32 v[14:15], v[2:3], v[14:15]
	s_waitcnt lgkmcnt(2)
	v_pk_mul_f32 v[18:19], v[2:3], v[18:19]
	ds_write2st64_b32 v12, v14, v15 offset1:2
	ds_write2st64_b32 v12, v18, v19 offset0:4 offset1:6
	ds_read2st64_b32 v[18:19], v12 offset0:16 offset1:18
	s_waitcnt lgkmcnt(4)
	v_pk_mul_f32 v[14:15], v[2:3], v[20:21]
	ds_write2st64_b32 v12, v14, v15 offset0:8 offset1:10
	s_waitcnt lgkmcnt(4)
	v_pk_mul_f32 v[14:15], v[2:3], v[22:23]
	ds_write2st64_b32 v12, v14, v15 offset0:12 offset1:14
	ds_read2st64_b32 v[14:15], v12 offset0:20 offset1:22
	s_waitcnt lgkmcnt(3)
	v_pk_mul_f32 v[18:19], v[2:3], v[18:19]
	ds_read2st64_b32 v[20:21], v12 offset0:24 offset1:26
	ds_write2st64_b32 v12, v18, v19 offset0:16 offset1:18
	ds_read2st64_b32 v[18:19], v12 offset0:28 offset1:30
	s_waitcnt lgkmcnt(3)
	v_pk_mul_f32 v[14:15], v[2:3], v[14:15]
	ds_write2st64_b32 v12, v14, v15 offset0:20 offset1:22
	s_waitcnt lgkmcnt(3)
	v_pk_mul_f32 v[14:15], v[2:3], v[20:21]
	ds_write2st64_b32 v12, v14, v15 offset0:24 offset1:26
	s_waitcnt lgkmcnt(2)
	v_pk_mul_f32 v[14:15], v[2:3], v[18:19]
	s_add_i32 s19, s19, 16
	v_cmp_eq_u32_e32 vcc, 0, v9
	ds_write2st64_b32 v12, v14, v15 offset0:28 offset1:30
	v_add_u32_e32 v12, 0x2000, v12
	s_or_b64 s[40:41], vcc, s[40:41]
	v_mov_b32_e32 v13, s19
	s_andn2_b64 exec, exec, s[40:41]
	s_cbranch_execnz .LBB130_36
; %bb.37:
	s_or_b64 exec, exec, s[40:41]
.LBB130_38:
	s_or_b64 exec, exec, s[12:13]
	v_and_b32_e32 v8, 7, v8
	v_cmp_ne_u32_e32 vcc, 0, v8
	s_and_saveexec_b64 s[12:13], vcc
	s_cbranch_execz .LBB130_41
; %bb.39:
	v_lshlrev_b32_e32 v9, 9, v13
	v_lshlrev_b32_e32 v12, 2, v0
	s_movk_i32 s19, 0xb0
	v_add3_u32 v9, v9, v12, s19
	s_mov_b64 s[40:41], 0
.LBB130_40:                             ; =>This Inner Loop Header: Depth=1
	ds_read2st64_b32 v[12:13], v9 offset1:2
	v_add_u32_e32 v8, -1, v8
	v_cmp_eq_u32_e32 vcc, 0, v8
	s_or_b64 s[40:41], vcc, s[40:41]
	s_waitcnt lgkmcnt(0)
	v_pk_mul_f32 v[12:13], v[2:3], v[12:13]
	ds_write2st64_b32 v9, v12, v13 offset1:2
	v_add_u32_e32 v9, 0x400, v9
	s_andn2_b64 exec, exec, s[40:41]
	s_cbranch_execnz .LBB130_40
.LBB130_41:
	s_or_b64 exec, exec, s[12:13]
	v_add_u32_e32 v7, 1, v7
	v_and_b32_e32 v8, 0x3fffffe, v7
	v_cmp_ne_u32_e32 vcc, v7, v8
	v_lshl_add_u32 v3, v8, 7, v0
	s_orn2_b64 s[12:13], vcc, exec
.LBB130_42:
	s_or_b64 exec, exec, s[10:11]
	s_and_b64 exec, exec, s[12:13]
	s_cbranch_execz .LBB130_45
; %bb.43:
	v_mov_b32_e32 v7, 0xb0
	v_lshl_add_u32 v7, v3, 2, v7
	s_mov_b64 s[10:11], 0
.LBB130_44:                             ; =>This Inner Loop Header: Depth=1
	ds_read_b32 v8, v7
	v_add_u32_e32 v3, 0x80, v3
	v_cmp_le_i32_e32 vcc, s7, v3
	s_or_b64 s[10:11], vcc, s[10:11]
	s_waitcnt lgkmcnt(0)
	v_mul_f32_e32 v8, v2, v8
	ds_write_b32 v7, v8
	v_add_u32_e32 v7, 0x200, v7
	s_andn2_b64 exec, exec, s[10:11]
	s_cbranch_execnz .LBB130_44
.LBB130_45:
	s_or_b64 exec, exec, s[4:5]
	s_mul_i32 s4, s15, s30
	v_cmp_eq_u32_e32 vcc, 0, v0
	s_mul_i32 s10, s4, s9
	s_waitcnt lgkmcnt(0)
	s_barrier
	s_and_saveexec_b64 s[4:5], vcc
	s_cbranch_execz .LBB130_47
; %bb.46:
	s_ashr_i32 s11, s10, 31
	s_lshl_b64 s[12:13], s[10:11], 2
	s_add_u32 s9, s26, s12
	s_mul_i32 s6, s15, s6
	s_addc_u32 s11, s27, s13
	s_ashr_i32 s7, s6, 31
	s_lshl_b64 s[6:7], s[6:7], 2
	s_add_u32 s19, s9, s6
	s_addc_u32 s11, s11, s7
	s_ashr_i32 s9, s8, 31
	s_lshl_b64 s[26:27], s[8:9], 2
	s_add_u32 s40, s19, s26
	s_addc_u32 s41, s11, s27
	s_add_u32 s9, s24, s12
	s_addc_u32 s11, s25, s13
	;; [unrolled: 2-line block ×3, first 2 shown]
	s_add_u32 s6, s6, s26
	v_mov_b32_e32 v2, 0
	s_addc_u32 s7, s7, s27
	global_store_dword v2, v5, s[40:41]
	global_store_dword v2, v6, s[6:7]
.LBB130_47:
	s_or_b64 exec, exec, s[4:5]
	v_mov_b32_e32 v13, 0
	v_mov_b32_e32 v12, v13
	s_and_saveexec_b64 s[6:7], s[2:3]
	s_cbranch_execz .LBB130_155
; %bb.48:
	s_ashr_i32 s19, s18, 31
	s_sub_i32 s9, s50, s21
	s_lshl_b64 s[2:3], s[18:19], 1
	s_add_u32 s11, s38, s2
	s_addc_u32 s21, s39, s3
	s_abs_i32 s22, s22
	v_cvt_f32_u32_e32 v3, s22
	v_or_b32_e32 v5, 64, v17
	s_movk_i32 s2, 0x50
	v_cmp_gt_u32_e32 vcc, s2, v5
	v_rcp_iflag_f32_e32 v3, v3
	s_sub_i32 s2, 0, s22
	s_add_i32 s25, s16, -1
	v_lshlrev_b32_e32 v6, 3, v5
	v_mul_f32_e32 v3, 0x4f7ffffe, v3
	v_cvt_u32_f32_e32 v3, v3
	v_lshlrev_b64 v[8:9], 2, v[10:11]
	v_lshlrev_b32_e32 v2, 3, v17
	v_mov_b32_e32 v18, 0
	v_mul_lo_u32 v5, s2, v3
	s_lshl_b64 s[2:3], s[36:37], 2
	s_add_u32 s2, s34, s2
	v_mul_hi_u32 v5, v3, v5
	s_addc_u32 s3, s35, s3
	v_add_u32_e32 v19, v3, v5
	v_mov_b32_e32 v3, s3
	v_add_co_u32_e64 v14, s[2:3], s2, v8
	v_addc_co_u32_e64 v15, s[2:3], v3, v9, s[2:3]
	v_mov_b32_e32 v3, 0xb0
	s_mov_b32 s24, s17
	v_lshl_add_u32 v11, v4, 5, v3
	s_mov_b64 s[12:13], 0
	s_mov_b32 s26, 0x7f800000
	s_movk_i32 s27, 0x7fff
	v_lshlrev_b32_e32 v20, 1, v2
	v_lshlrev_b32_e32 v21, 1, v6
	v_mov_b32_e32 v12, 0
	v_mov_b32_e32 v13, v18
	s_branch .LBB130_52
.LBB130_49:                             ;   in Loop: Header=BB130_52 Depth=1
	s_or_b64 exec, exec, s[4:5]
	v_and_b32_e32 v24, 0xffff0000, v9
	v_and_b32_e32 v9, 0xffff0000, v22
	;; [unrolled: 1-line block ×5, first 2 shown]
	v_pk_add_f32 v[2:3], v[2:3], v[8:9]
	v_and_b32_e32 v25, 0xffff0000, v23
	v_and_b32_e32 v5, 0xffff0000, v5
	;; [unrolled: 1-line block ×3, first 2 shown]
	v_mov_b32_e32 v8, v3
	v_pk_add_f32 v[2:3], v[2:3], v[8:9]
	v_pk_add_f32 v[4:5], v[4:5], v[24:25]
	;; [unrolled: 1-line block ×3, first 2 shown]
	v_mov_b32_e32 v4, v5
	v_pk_add_f32 v[2:3], v[2:3], v[4:5]
	v_mov_b32_e32 v3, v2
	v_pk_add_f32 v[12:13], v[12:13], v[2:3]
.LBB130_50:                             ;   in Loop: Header=BB130_52 Depth=1
	s_or_b64 exec, exec, s[18:19]
	v_mov_b32_e32 v12, v6
.LBB130_51:                             ;   in Loop: Header=BB130_52 Depth=1
	s_or_b64 exec, exec, s[16:17]
	v_add_co_u32_e64 v14, s[2:3], 8, v14
	v_add_u32_e32 v10, 2, v10
	v_addc_co_u32_e64 v15, s[2:3], 0, v15, s[2:3]
	v_cmp_le_i32_e64 s[2:3], s20, v10
	v_add_u32_e32 v16, 16, v16
	s_or_b64 s[12:13], s[2:3], s[12:13]
	v_add_u32_e32 v11, 64, v11
	s_andn2_b64 exec, exec, s[12:13]
	s_cbranch_execz .LBB130_154
.LBB130_52:                             ; =>This Inner Loop Header: Depth=1
	v_sub_u32_e32 v3, 0, v16
	v_max_i32_e32 v3, v16, v3
	v_mul_hi_u32 v4, v3, s48
	v_mul_lo_u32 v5, v4, s33
	v_sub_u32_e32 v3, v3, v5
	v_add_u32_e32 v5, 1, v4
	v_cmp_le_u32_e64 s[2:3], s33, v3
	v_cndmask_b32_e64 v4, v4, v5, s[2:3]
	v_subrev_u32_e32 v5, s33, v3
	v_cndmask_b32_e64 v3, v3, v5, s[2:3]
	v_ashrrev_i32_e32 v2, 31, v16
	v_add_u32_e32 v5, 1, v4
	v_cmp_le_u32_e64 s[2:3], s33, v3
	v_xor_b32_e32 v2, s23, v2
	v_cndmask_b32_e64 v3, v4, v5, s[2:3]
	v_xor_b32_e32 v3, v3, v2
	v_sub_u32_e32 v2, v3, v2
	v_add_u32_e32 v3, s49, v2
	v_sub_u32_e32 v5, 0, v3
	v_ashrrev_i32_e32 v4, 31, v3
	v_max_i32_e32 v3, v3, v5
	v_mul_hi_u32 v5, v3, v19
	v_mul_lo_u32 v5, v5, s22
	v_sub_u32_e32 v3, v3, v5
	v_subrev_u32_e32 v5, s22, v3
	v_cmp_le_u32_e64 s[2:3], s22, v3
	v_cndmask_b32_e64 v3, v3, v5, s[2:3]
	v_subrev_u32_e32 v5, s22, v3
	v_cmp_le_u32_e64 s[2:3], s22, v3
	v_cndmask_b32_e64 v3, v3, v5, s[2:3]
	v_xor_b32_e32 v3, v3, v4
	v_sub_u32_e32 v3, v3, v4
	v_cmp_eq_u32_e64 s[2:3], 0, v3
	v_cmp_lt_i32_e64 s[4:5], s9, v2
	s_or_b64 s[2:3], s[2:3], s[4:5]
	s_and_saveexec_b64 s[16:17], s[2:3]
	s_cbranch_execz .LBB130_51
; %bb.53:                               ;   in Loop: Header=BB130_52 Depth=1
	global_load_dword v28, v[14:15], off
	ds_read2_b64 v[6:9], v11 offset1:1
	ds_read2_b64 v[2:5], v11 offset0:2 offset1:3
	s_waitcnt lgkmcnt(1)
	v_and_b32_e32 v22, 0x7f800000, v6
	v_cmp_ne_u32_e64 s[2:3], s26, v22
                                        ; implicit-def: $vgpr22
	s_and_saveexec_b64 s[4:5], s[2:3]
	s_xor_b64 s[2:3], exec, s[4:5]
; %bb.54:                               ;   in Loop: Header=BB130_52 Depth=1
	v_bfe_u32 v22, v6, 16, 1
	v_add3_u32 v22, v6, v22, s27
; %bb.55:                               ;   in Loop: Header=BB130_52 Depth=1
	s_andn2_saveexec_b64 s[4:5], s[2:3]
; %bb.56:                               ;   in Loop: Header=BB130_52 Depth=1
	v_or_b32_e32 v22, 0x10000, v6
	v_cmp_eq_u32_sdwa s[2:3], v6, v18 src0_sel:WORD_0 src1_sel:DWORD
	v_cndmask_b32_e64 v22, v22, v6, s[2:3]
; %bb.57:                               ;   in Loop: Header=BB130_52 Depth=1
	s_or_b64 exec, exec, s[4:5]
	v_and_b32_e32 v6, 0x7f800000, v7
	v_cmp_ne_u32_e64 s[2:3], s26, v6
                                        ; implicit-def: $vgpr23
	s_and_saveexec_b64 s[4:5], s[2:3]
	s_xor_b64 s[2:3], exec, s[4:5]
; %bb.58:                               ;   in Loop: Header=BB130_52 Depth=1
	v_bfe_u32 v6, v7, 16, 1
	v_add3_u32 v23, v7, v6, s27
; %bb.59:                               ;   in Loop: Header=BB130_52 Depth=1
	s_andn2_saveexec_b64 s[4:5], s[2:3]
; %bb.60:                               ;   in Loop: Header=BB130_52 Depth=1
	v_or_b32_e32 v6, 0x10000, v7
	v_cmp_eq_u32_sdwa s[2:3], v7, v18 src0_sel:WORD_0 src1_sel:DWORD
	v_cndmask_b32_e64 v23, v6, v7, s[2:3]
; %bb.61:                               ;   in Loop: Header=BB130_52 Depth=1
	s_or_b64 exec, exec, s[4:5]
	v_and_b32_e32 v6, 0x7f800000, v8
	v_cmp_ne_u32_e64 s[2:3], s26, v6
                                        ; implicit-def: $vgpr24
	s_and_saveexec_b64 s[4:5], s[2:3]
	s_xor_b64 s[2:3], exec, s[4:5]
; %bb.62:                               ;   in Loop: Header=BB130_52 Depth=1
	v_bfe_u32 v6, v8, 16, 1
	v_add3_u32 v24, v8, v6, s27
; %bb.63:                               ;   in Loop: Header=BB130_52 Depth=1
	s_andn2_saveexec_b64 s[4:5], s[2:3]
; %bb.64:                               ;   in Loop: Header=BB130_52 Depth=1
	v_or_b32_e32 v6, 0x10000, v8
	v_cmp_eq_u32_sdwa s[2:3], v8, v18 src0_sel:WORD_0 src1_sel:DWORD
	v_cndmask_b32_e64 v24, v6, v8, s[2:3]
; %bb.65:                               ;   in Loop: Header=BB130_52 Depth=1
	s_or_b64 exec, exec, s[4:5]
	v_and_b32_e32 v6, 0x7f800000, v9
	v_cmp_ne_u32_e64 s[2:3], s26, v6
                                        ; implicit-def: $vgpr25
	s_and_saveexec_b64 s[4:5], s[2:3]
	s_xor_b64 s[2:3], exec, s[4:5]
; %bb.66:                               ;   in Loop: Header=BB130_52 Depth=1
	v_bfe_u32 v6, v9, 16, 1
	v_add3_u32 v25, v9, v6, s27
                                        ; implicit-def: $vgpr6_vgpr7_vgpr8_vgpr9
; %bb.67:                               ;   in Loop: Header=BB130_52 Depth=1
	s_andn2_saveexec_b64 s[4:5], s[2:3]
; %bb.68:                               ;   in Loop: Header=BB130_52 Depth=1
	v_or_b32_e32 v6, 0x10000, v9
	v_cmp_eq_u32_sdwa s[2:3], v9, v18 src0_sel:WORD_0 src1_sel:DWORD
	v_cndmask_b32_e64 v25, v6, v9, s[2:3]
; %bb.69:                               ;   in Loop: Header=BB130_52 Depth=1
	s_or_b64 exec, exec, s[4:5]
	s_waitcnt lgkmcnt(0)
	v_and_b32_e32 v6, 0x7f800000, v2
	v_cmp_ne_u32_e64 s[2:3], s26, v6
                                        ; implicit-def: $vgpr26
	s_and_saveexec_b64 s[4:5], s[2:3]
	s_xor_b64 s[2:3], exec, s[4:5]
; %bb.70:                               ;   in Loop: Header=BB130_52 Depth=1
	v_bfe_u32 v6, v2, 16, 1
	v_add3_u32 v26, v2, v6, s27
; %bb.71:                               ;   in Loop: Header=BB130_52 Depth=1
	s_andn2_saveexec_b64 s[4:5], s[2:3]
; %bb.72:                               ;   in Loop: Header=BB130_52 Depth=1
	v_or_b32_e32 v6, 0x10000, v2
	v_cmp_eq_u32_sdwa s[2:3], v2, v18 src0_sel:WORD_0 src1_sel:DWORD
	v_cndmask_b32_e64 v26, v6, v2, s[2:3]
; %bb.73:                               ;   in Loop: Header=BB130_52 Depth=1
	s_or_b64 exec, exec, s[4:5]
	v_and_b32_e32 v2, 0x7f800000, v3
	v_cmp_ne_u32_e64 s[2:3], s26, v2
                                        ; implicit-def: $vgpr27
	s_and_saveexec_b64 s[4:5], s[2:3]
	s_xor_b64 s[2:3], exec, s[4:5]
; %bb.74:                               ;   in Loop: Header=BB130_52 Depth=1
	v_bfe_u32 v2, v3, 16, 1
	v_add3_u32 v27, v3, v2, s27
; %bb.75:                               ;   in Loop: Header=BB130_52 Depth=1
	s_andn2_saveexec_b64 s[4:5], s[2:3]
; %bb.76:                               ;   in Loop: Header=BB130_52 Depth=1
	v_or_b32_e32 v2, 0x10000, v3
	v_cmp_eq_u32_sdwa s[2:3], v3, v18 src0_sel:WORD_0 src1_sel:DWORD
	v_cndmask_b32_e64 v27, v2, v3, s[2:3]
; %bb.77:                               ;   in Loop: Header=BB130_52 Depth=1
	s_or_b64 exec, exec, s[4:5]
	v_and_b32_e32 v2, 0x7f800000, v4
	v_cmp_ne_u32_e64 s[2:3], s26, v2
                                        ; implicit-def: $vgpr7
	s_and_saveexec_b64 s[4:5], s[2:3]
	s_xor_b64 s[2:3], exec, s[4:5]
; %bb.78:                               ;   in Loop: Header=BB130_52 Depth=1
	v_bfe_u32 v2, v4, 16, 1
	v_add3_u32 v7, v4, v2, s27
; %bb.79:                               ;   in Loop: Header=BB130_52 Depth=1
	s_andn2_saveexec_b64 s[4:5], s[2:3]
; %bb.80:                               ;   in Loop: Header=BB130_52 Depth=1
	v_or_b32_e32 v2, 0x10000, v4
	v_cmp_eq_u32_sdwa s[2:3], v4, v18 src0_sel:WORD_0 src1_sel:DWORD
	v_cndmask_b32_e64 v7, v2, v4, s[2:3]
; %bb.81:                               ;   in Loop: Header=BB130_52 Depth=1
	s_or_b64 exec, exec, s[4:5]
	v_and_b32_e32 v2, 0x7f800000, v5
	v_cmp_ne_u32_e64 s[2:3], s26, v2
                                        ; implicit-def: $vgpr6
	s_and_saveexec_b64 s[4:5], s[2:3]
	s_xor_b64 s[2:3], exec, s[4:5]
; %bb.82:                               ;   in Loop: Header=BB130_52 Depth=1
	v_bfe_u32 v2, v5, 16, 1
	v_add3_u32 v6, v5, v2, s27
                                        ; implicit-def: $vgpr2_vgpr3_vgpr4_vgpr5
; %bb.83:                               ;   in Loop: Header=BB130_52 Depth=1
	s_andn2_saveexec_b64 s[4:5], s[2:3]
; %bb.84:                               ;   in Loop: Header=BB130_52 Depth=1
	v_or_b32_e32 v2, 0x10000, v5
	v_cmp_eq_u32_sdwa s[2:3], v5, v18 src0_sel:WORD_0 src1_sel:DWORD
	v_cndmask_b32_e64 v6, v2, v5, s[2:3]
; %bb.85:                               ;   in Loop: Header=BB130_52 Depth=1
	s_or_b64 exec, exec, s[4:5]
	s_waitcnt vmcnt(0)
	v_mad_i64_i32 v[2:3], s[2:3], v28, s24, 0
	v_lshlrev_b64 v[2:3], 1, v[2:3]
	v_mov_b32_e32 v4, s21
	v_add_co_u32_e64 v8, s[2:3], s11, v2
	v_addc_co_u32_e64 v9, s[2:3], v4, v3, s[2:3]
	v_add_co_u32_e64 v2, s[2:3], v8, v20
	v_addc_co_u32_e64 v3, s[2:3], 0, v9, s[2:3]
	global_load_dwordx4 v[2:5], v[2:3], off
	v_cmp_eq_u32_e64 s[2:3], s25, v10
	s_waitcnt vmcnt(0)
	v_lshrrev_b32_e32 v31, 16, v2
	v_lshrrev_b32_e32 v29, 16, v3
	;; [unrolled: 1-line block ×4, first 2 shown]
	s_and_saveexec_b64 s[18:19], s[2:3]
	s_cbranch_execz .LBB130_87
; %bb.86:                               ;   in Loop: Header=BB130_52 Depth=1
	v_cmp_gt_i32_e64 s[4:5], s31, v16
	v_add_u32_e32 v32, 1, v16
	v_cndmask_b32_e64 v2, 0, v2, s[4:5]
	v_cmp_gt_i32_e64 s[4:5], s31, v32
	v_add_u32_e32 v32, 2, v16
	v_cndmask_b32_e64 v31, 0, v31, s[4:5]
	;; [unrolled: 3-line block ×7, first 2 shown]
	v_cmp_gt_i32_e64 s[4:5], s31, v32
	v_cndmask_b32_e64 v30, 0, v30, s[4:5]
.LBB130_87:                             ;   in Loop: Header=BB130_52 Depth=1
	s_or_b64 exec, exec, s[18:19]
	v_and_b32_e32 v22, 0xffff0000, v22
	v_lshlrev_b32_e32 v2, 16, v2
	v_mul_f32_e32 v32, v22, v2
	v_and_b32_e32 v2, 0x7f800000, v32
	v_cmp_ne_u32_e64 s[4:5], s26, v2
                                        ; implicit-def: $vgpr2
	s_and_saveexec_b64 s[18:19], s[4:5]
	s_xor_b64 s[4:5], exec, s[18:19]
; %bb.88:                               ;   in Loop: Header=BB130_52 Depth=1
	v_bfe_u32 v2, v32, 16, 1
	v_add3_u32 v2, v32, v2, s27
                                        ; implicit-def: $vgpr32
; %bb.89:                               ;   in Loop: Header=BB130_52 Depth=1
	s_andn2_saveexec_b64 s[18:19], s[4:5]
; %bb.90:                               ;   in Loop: Header=BB130_52 Depth=1
	v_or_b32_e32 v2, 0x10000, v32
	v_cmp_eq_u32_sdwa s[4:5], v32, v18 src0_sel:WORD_0 src1_sel:DWORD
	v_cndmask_b32_e64 v2, v2, v32, s[4:5]
; %bb.91:                               ;   in Loop: Header=BB130_52 Depth=1
	s_or_b64 exec, exec, s[18:19]
	v_and_b32_e32 v23, 0xffff0000, v23
	v_lshlrev_b32_e32 v31, 16, v31
	v_mul_f32_e32 v32, v23, v31
	v_and_b32_e32 v31, 0x7f800000, v32
	v_cmp_ne_u32_e64 s[4:5], s26, v31
                                        ; implicit-def: $vgpr31
	s_and_saveexec_b64 s[18:19], s[4:5]
	s_xor_b64 s[4:5], exec, s[18:19]
; %bb.92:                               ;   in Loop: Header=BB130_52 Depth=1
	v_bfe_u32 v31, v32, 16, 1
	v_add3_u32 v31, v32, v31, s27
                                        ; implicit-def: $vgpr32
; %bb.93:                               ;   in Loop: Header=BB130_52 Depth=1
	s_andn2_saveexec_b64 s[18:19], s[4:5]
; %bb.94:                               ;   in Loop: Header=BB130_52 Depth=1
	v_or_b32_e32 v31, 0x10000, v32
	v_cmp_eq_u32_sdwa s[4:5], v32, v18 src0_sel:WORD_0 src1_sel:DWORD
	v_cndmask_b32_e64 v31, v31, v32, s[4:5]
; %bb.95:                               ;   in Loop: Header=BB130_52 Depth=1
	s_or_b64 exec, exec, s[18:19]
	v_and_b32_e32 v24, 0xffff0000, v24
	v_lshlrev_b32_e32 v3, 16, v3
	v_mul_f32_e32 v32, v24, v3
	v_and_b32_e32 v3, 0x7f800000, v32
	v_cmp_ne_u32_e64 s[4:5], s26, v3
                                        ; implicit-def: $vgpr3
	s_and_saveexec_b64 s[18:19], s[4:5]
	s_xor_b64 s[4:5], exec, s[18:19]
; %bb.96:                               ;   in Loop: Header=BB130_52 Depth=1
	v_bfe_u32 v3, v32, 16, 1
	v_add3_u32 v3, v32, v3, s27
                                        ; implicit-def: $vgpr32
; %bb.97:                               ;   in Loop: Header=BB130_52 Depth=1
	s_andn2_saveexec_b64 s[18:19], s[4:5]
; %bb.98:                               ;   in Loop: Header=BB130_52 Depth=1
	v_or_b32_e32 v3, 0x10000, v32
	v_cmp_eq_u32_sdwa s[4:5], v32, v18 src0_sel:WORD_0 src1_sel:DWORD
	v_cndmask_b32_e64 v3, v3, v32, s[4:5]
; %bb.99:                               ;   in Loop: Header=BB130_52 Depth=1
	s_or_b64 exec, exec, s[18:19]
	v_and_b32_e32 v25, 0xffff0000, v25
	v_lshlrev_b32_e32 v29, 16, v29
	v_mul_f32_e32 v29, v25, v29
	v_and_b32_e32 v32, 0x7f800000, v29
	v_cmp_ne_u32_e64 s[4:5], s26, v32
                                        ; implicit-def: $vgpr32
	s_and_saveexec_b64 s[18:19], s[4:5]
	s_xor_b64 s[4:5], exec, s[18:19]
; %bb.100:                              ;   in Loop: Header=BB130_52 Depth=1
	v_bfe_u32 v32, v29, 16, 1
	v_add3_u32 v32, v29, v32, s27
                                        ; implicit-def: $vgpr29
; %bb.101:                              ;   in Loop: Header=BB130_52 Depth=1
	s_andn2_saveexec_b64 s[18:19], s[4:5]
; %bb.102:                              ;   in Loop: Header=BB130_52 Depth=1
	v_or_b32_e32 v32, 0x10000, v29
	v_cmp_eq_u32_sdwa s[4:5], v29, v18 src0_sel:WORD_0 src1_sel:DWORD
	v_cndmask_b32_e64 v32, v32, v29, s[4:5]
; %bb.103:                              ;   in Loop: Header=BB130_52 Depth=1
	s_or_b64 exec, exec, s[18:19]
	v_and_b32_e32 v26, 0xffff0000, v26
	v_lshlrev_b32_e32 v4, 16, v4
	v_mul_f32_e32 v29, v26, v4
	v_and_b32_e32 v4, 0x7f800000, v29
	v_cmp_ne_u32_e64 s[4:5], s26, v4
                                        ; implicit-def: $vgpr4
	s_and_saveexec_b64 s[18:19], s[4:5]
	s_xor_b64 s[4:5], exec, s[18:19]
; %bb.104:                              ;   in Loop: Header=BB130_52 Depth=1
	v_bfe_u32 v4, v29, 16, 1
	v_add3_u32 v4, v29, v4, s27
                                        ; implicit-def: $vgpr29
; %bb.105:                              ;   in Loop: Header=BB130_52 Depth=1
	s_andn2_saveexec_b64 s[18:19], s[4:5]
; %bb.106:                              ;   in Loop: Header=BB130_52 Depth=1
	v_or_b32_e32 v4, 0x10000, v29
	v_cmp_eq_u32_sdwa s[4:5], v29, v18 src0_sel:WORD_0 src1_sel:DWORD
	v_cndmask_b32_e64 v4, v4, v29, s[4:5]
; %bb.107:                              ;   in Loop: Header=BB130_52 Depth=1
	s_or_b64 exec, exec, s[18:19]
	v_and_b32_e32 v27, 0xffff0000, v27
	v_lshlrev_b32_e32 v28, 16, v28
	v_mul_f32_e32 v28, v27, v28
	v_and_b32_e32 v29, 0x7f800000, v28
	v_cmp_ne_u32_e64 s[4:5], s26, v29
                                        ; implicit-def: $vgpr33
	s_and_saveexec_b64 s[18:19], s[4:5]
	s_xor_b64 s[4:5], exec, s[18:19]
; %bb.108:                              ;   in Loop: Header=BB130_52 Depth=1
	v_bfe_u32 v29, v28, 16, 1
	v_add3_u32 v33, v28, v29, s27
                                        ; implicit-def: $vgpr28
; %bb.109:                              ;   in Loop: Header=BB130_52 Depth=1
	s_andn2_saveexec_b64 s[18:19], s[4:5]
; %bb.110:                              ;   in Loop: Header=BB130_52 Depth=1
	v_or_b32_e32 v29, 0x10000, v28
	v_cmp_eq_u32_sdwa s[4:5], v28, v18 src0_sel:WORD_0 src1_sel:DWORD
	v_cndmask_b32_e64 v33, v29, v28, s[4:5]
; %bb.111:                              ;   in Loop: Header=BB130_52 Depth=1
	s_or_b64 exec, exec, s[18:19]
	v_and_b32_e32 v28, 0xffff0000, v7
	v_lshlrev_b32_e32 v5, 16, v5
	v_mul_f32_e32 v7, v28, v5
	v_and_b32_e32 v5, 0x7f800000, v7
	v_cmp_ne_u32_e64 s[4:5], s26, v5
                                        ; implicit-def: $vgpr5
	s_and_saveexec_b64 s[18:19], s[4:5]
	s_xor_b64 s[4:5], exec, s[18:19]
; %bb.112:                              ;   in Loop: Header=BB130_52 Depth=1
	v_bfe_u32 v5, v7, 16, 1
	v_add3_u32 v5, v7, v5, s27
                                        ; implicit-def: $vgpr7
; %bb.113:                              ;   in Loop: Header=BB130_52 Depth=1
	s_andn2_saveexec_b64 s[18:19], s[4:5]
; %bb.114:                              ;   in Loop: Header=BB130_52 Depth=1
	v_or_b32_e32 v5, 0x10000, v7
	v_cmp_eq_u32_sdwa s[4:5], v7, v18 src0_sel:WORD_0 src1_sel:DWORD
	v_cndmask_b32_e64 v5, v5, v7, s[4:5]
; %bb.115:                              ;   in Loop: Header=BB130_52 Depth=1
	s_or_b64 exec, exec, s[18:19]
	v_and_b32_e32 v29, 0xffff0000, v6
	v_lshlrev_b32_e32 v6, 16, v30
	v_mul_f32_e32 v6, v29, v6
	v_and_b32_e32 v7, 0x7f800000, v6
	v_cmp_ne_u32_e64 s[4:5], s26, v7
                                        ; implicit-def: $vgpr7
	s_and_saveexec_b64 s[18:19], s[4:5]
	s_xor_b64 s[4:5], exec, s[18:19]
; %bb.116:                              ;   in Loop: Header=BB130_52 Depth=1
	v_bfe_u32 v7, v6, 16, 1
	v_add3_u32 v7, v6, v7, s27
                                        ; implicit-def: $vgpr6
; %bb.117:                              ;   in Loop: Header=BB130_52 Depth=1
	s_andn2_saveexec_b64 s[18:19], s[4:5]
; %bb.118:                              ;   in Loop: Header=BB130_52 Depth=1
	v_or_b32_e32 v7, 0x10000, v6
	v_cmp_eq_u32_sdwa s[4:5], v6, v18 src0_sel:WORD_0 src1_sel:DWORD
	v_cndmask_b32_e64 v7, v7, v6, s[4:5]
; %bb.119:                              ;   in Loop: Header=BB130_52 Depth=1
	s_or_b64 exec, exec, s[18:19]
	v_and_b32_e32 v6, 0xffff0000, v33
	v_and_b32_e32 v33, 0xffff0000, v32
	;; [unrolled: 1-line block ×5, first 2 shown]
	v_pk_add_f32 v[2:3], v[2:3], v[32:33]
	v_and_b32_e32 v7, 0xffff0000, v7
	v_and_b32_e32 v5, 0xffff0000, v5
	;; [unrolled: 1-line block ×3, first 2 shown]
	v_mov_b32_e32 v30, v3
	v_pk_add_f32 v[2:3], v[2:3], v[30:31]
	v_pk_add_f32 v[4:5], v[4:5], v[6:7]
	;; [unrolled: 1-line block ×3, first 2 shown]
	v_mov_b32_e32 v4, v5
	v_pk_add_f32 v[2:3], v[2:3], v[4:5]
	v_pk_add_f32 v[6:7], v[12:13], v[2:3]
	s_and_saveexec_b64 s[18:19], vcc
	s_cbranch_execz .LBB130_50
; %bb.120:                              ;   in Loop: Header=BB130_52 Depth=1
	v_add_co_u32_e64 v2, s[4:5], v8, v21
	v_addc_co_u32_e64 v3, s[4:5], 0, v9, s[4:5]
	global_load_dwordx4 v[2:5], v[2:3], off
	s_waitcnt vmcnt(0)
	v_lshrrev_b32_e32 v8, 16, v2
	v_lshrrev_b32_e32 v30, 16, v3
	;; [unrolled: 1-line block ×4, first 2 shown]
	s_and_saveexec_b64 s[4:5], s[2:3]
	s_cbranch_execz .LBB130_122
; %bb.121:                              ;   in Loop: Header=BB130_52 Depth=1
	v_cmp_gt_i32_e64 s[2:3], s31, v16
	v_add_u32_e32 v31, 1, v16
	v_cndmask_b32_e64 v2, 0, v2, s[2:3]
	v_cmp_gt_i32_e64 s[2:3], s31, v31
	v_add_u32_e32 v31, 2, v16
	v_cndmask_b32_e64 v8, 0, v8, s[2:3]
	;; [unrolled: 3-line block ×7, first 2 shown]
	v_cmp_gt_i32_e64 s[2:3], s31, v31
	v_cndmask_b32_e64 v7, 0, v7, s[2:3]
.LBB130_122:                            ;   in Loop: Header=BB130_52 Depth=1
	s_or_b64 exec, exec, s[4:5]
	v_lshlrev_b32_e32 v2, 16, v2
	v_mul_f32_e32 v22, v22, v2
	v_and_b32_e32 v2, 0x7f800000, v22
	v_cmp_ne_u32_e64 s[2:3], s26, v2
                                        ; implicit-def: $vgpr2
	s_and_saveexec_b64 s[4:5], s[2:3]
	s_xor_b64 s[2:3], exec, s[4:5]
; %bb.123:                              ;   in Loop: Header=BB130_52 Depth=1
	v_bfe_u32 v2, v22, 16, 1
	v_add3_u32 v2, v22, v2, s27
                                        ; implicit-def: $vgpr22
; %bb.124:                              ;   in Loop: Header=BB130_52 Depth=1
	s_andn2_saveexec_b64 s[4:5], s[2:3]
; %bb.125:                              ;   in Loop: Header=BB130_52 Depth=1
	v_or_b32_e32 v2, 0x10000, v22
	v_cmp_eq_u32_sdwa s[2:3], v22, v18 src0_sel:WORD_0 src1_sel:DWORD
	v_cndmask_b32_e64 v2, v2, v22, s[2:3]
; %bb.126:                              ;   in Loop: Header=BB130_52 Depth=1
	s_or_b64 exec, exec, s[4:5]
	v_lshlrev_b32_e32 v8, 16, v8
	v_mul_f32_e32 v22, v23, v8
	v_and_b32_e32 v8, 0x7f800000, v22
	v_cmp_ne_u32_e64 s[2:3], s26, v8
                                        ; implicit-def: $vgpr8
	s_and_saveexec_b64 s[4:5], s[2:3]
	s_xor_b64 s[2:3], exec, s[4:5]
; %bb.127:                              ;   in Loop: Header=BB130_52 Depth=1
	v_bfe_u32 v8, v22, 16, 1
	v_add3_u32 v8, v22, v8, s27
                                        ; implicit-def: $vgpr22
; %bb.128:                              ;   in Loop: Header=BB130_52 Depth=1
	s_andn2_saveexec_b64 s[4:5], s[2:3]
; %bb.129:                              ;   in Loop: Header=BB130_52 Depth=1
	v_or_b32_e32 v8, 0x10000, v22
	v_cmp_eq_u32_sdwa s[2:3], v22, v18 src0_sel:WORD_0 src1_sel:DWORD
	v_cndmask_b32_e64 v8, v8, v22, s[2:3]
; %bb.130:                              ;   in Loop: Header=BB130_52 Depth=1
	s_or_b64 exec, exec, s[4:5]
	v_lshlrev_b32_e32 v3, 16, v3
	v_mul_f32_e32 v22, v24, v3
	v_and_b32_e32 v3, 0x7f800000, v22
	v_cmp_ne_u32_e64 s[2:3], s26, v3
                                        ; implicit-def: $vgpr3
	s_and_saveexec_b64 s[4:5], s[2:3]
	s_xor_b64 s[2:3], exec, s[4:5]
; %bb.131:                              ;   in Loop: Header=BB130_52 Depth=1
	v_bfe_u32 v3, v22, 16, 1
	v_add3_u32 v3, v22, v3, s27
                                        ; implicit-def: $vgpr22
; %bb.132:                              ;   in Loop: Header=BB130_52 Depth=1
	s_andn2_saveexec_b64 s[4:5], s[2:3]
; %bb.133:                              ;   in Loop: Header=BB130_52 Depth=1
	v_or_b32_e32 v3, 0x10000, v22
	v_cmp_eq_u32_sdwa s[2:3], v22, v18 src0_sel:WORD_0 src1_sel:DWORD
	v_cndmask_b32_e64 v3, v3, v22, s[2:3]
; %bb.134:                              ;   in Loop: Header=BB130_52 Depth=1
	s_or_b64 exec, exec, s[4:5]
	v_lshlrev_b32_e32 v22, 16, v30
	v_mul_f32_e32 v23, v25, v22
	v_and_b32_e32 v22, 0x7f800000, v23
	v_cmp_ne_u32_e64 s[2:3], s26, v22
                                        ; implicit-def: $vgpr22
	s_and_saveexec_b64 s[4:5], s[2:3]
	s_xor_b64 s[2:3], exec, s[4:5]
; %bb.135:                              ;   in Loop: Header=BB130_52 Depth=1
	v_bfe_u32 v22, v23, 16, 1
	v_add3_u32 v22, v23, v22, s27
                                        ; implicit-def: $vgpr23
; %bb.136:                              ;   in Loop: Header=BB130_52 Depth=1
	s_andn2_saveexec_b64 s[4:5], s[2:3]
; %bb.137:                              ;   in Loop: Header=BB130_52 Depth=1
	v_or_b32_e32 v22, 0x10000, v23
	v_cmp_eq_u32_sdwa s[2:3], v23, v18 src0_sel:WORD_0 src1_sel:DWORD
	v_cndmask_b32_e64 v22, v22, v23, s[2:3]
; %bb.138:                              ;   in Loop: Header=BB130_52 Depth=1
	s_or_b64 exec, exec, s[4:5]
	v_lshlrev_b32_e32 v4, 16, v4
	v_mul_f32_e32 v23, v26, v4
	v_and_b32_e32 v4, 0x7f800000, v23
	v_cmp_ne_u32_e64 s[2:3], s26, v4
                                        ; implicit-def: $vgpr4
	s_and_saveexec_b64 s[4:5], s[2:3]
	s_xor_b64 s[2:3], exec, s[4:5]
; %bb.139:                              ;   in Loop: Header=BB130_52 Depth=1
	v_bfe_u32 v4, v23, 16, 1
	v_add3_u32 v4, v23, v4, s27
                                        ; implicit-def: $vgpr23
; %bb.140:                              ;   in Loop: Header=BB130_52 Depth=1
	s_andn2_saveexec_b64 s[4:5], s[2:3]
; %bb.141:                              ;   in Loop: Header=BB130_52 Depth=1
	v_or_b32_e32 v4, 0x10000, v23
	v_cmp_eq_u32_sdwa s[2:3], v23, v18 src0_sel:WORD_0 src1_sel:DWORD
	v_cndmask_b32_e64 v4, v4, v23, s[2:3]
; %bb.142:                              ;   in Loop: Header=BB130_52 Depth=1
	s_or_b64 exec, exec, s[4:5]
	v_lshlrev_b32_e32 v9, 16, v9
	v_mul_f32_e32 v23, v27, v9
	v_and_b32_e32 v9, 0x7f800000, v23
	v_cmp_ne_u32_e64 s[2:3], s26, v9
                                        ; implicit-def: $vgpr9
	s_and_saveexec_b64 s[4:5], s[2:3]
	s_xor_b64 s[2:3], exec, s[4:5]
; %bb.143:                              ;   in Loop: Header=BB130_52 Depth=1
	v_bfe_u32 v9, v23, 16, 1
	v_add3_u32 v9, v23, v9, s27
                                        ; implicit-def: $vgpr23
; %bb.144:                              ;   in Loop: Header=BB130_52 Depth=1
	s_andn2_saveexec_b64 s[4:5], s[2:3]
; %bb.145:                              ;   in Loop: Header=BB130_52 Depth=1
	v_or_b32_e32 v9, 0x10000, v23
	v_cmp_eq_u32_sdwa s[2:3], v23, v18 src0_sel:WORD_0 src1_sel:DWORD
	v_cndmask_b32_e64 v9, v9, v23, s[2:3]
; %bb.146:                              ;   in Loop: Header=BB130_52 Depth=1
	s_or_b64 exec, exec, s[4:5]
	v_lshlrev_b32_e32 v5, 16, v5
	v_mul_f32_e32 v23, v28, v5
	v_and_b32_e32 v5, 0x7f800000, v23
	v_cmp_ne_u32_e64 s[2:3], s26, v5
                                        ; implicit-def: $vgpr5
	s_and_saveexec_b64 s[4:5], s[2:3]
	s_xor_b64 s[2:3], exec, s[4:5]
; %bb.147:                              ;   in Loop: Header=BB130_52 Depth=1
	v_bfe_u32 v5, v23, 16, 1
	v_add3_u32 v5, v23, v5, s27
                                        ; implicit-def: $vgpr23
; %bb.148:                              ;   in Loop: Header=BB130_52 Depth=1
	s_andn2_saveexec_b64 s[4:5], s[2:3]
; %bb.149:                              ;   in Loop: Header=BB130_52 Depth=1
	v_or_b32_e32 v5, 0x10000, v23
	v_cmp_eq_u32_sdwa s[2:3], v23, v18 src0_sel:WORD_0 src1_sel:DWORD
	v_cndmask_b32_e64 v5, v5, v23, s[2:3]
; %bb.150:                              ;   in Loop: Header=BB130_52 Depth=1
	s_or_b64 exec, exec, s[4:5]
	v_lshlrev_b32_e32 v7, 16, v7
	v_mul_f32_e32 v7, v29, v7
	v_and_b32_e32 v23, 0x7f800000, v7
	v_cmp_ne_u32_e64 s[2:3], s26, v23
                                        ; implicit-def: $vgpr23
	s_and_saveexec_b64 s[4:5], s[2:3]
	s_xor_b64 s[2:3], exec, s[4:5]
; %bb.151:                              ;   in Loop: Header=BB130_52 Depth=1
	v_bfe_u32 v23, v7, 16, 1
	v_add3_u32 v23, v7, v23, s27
                                        ; implicit-def: $vgpr7
; %bb.152:                              ;   in Loop: Header=BB130_52 Depth=1
	s_andn2_saveexec_b64 s[4:5], s[2:3]
	s_cbranch_execz .LBB130_49
; %bb.153:                              ;   in Loop: Header=BB130_52 Depth=1
	v_or_b32_e32 v23, 0x10000, v7
	v_cmp_eq_u32_sdwa s[2:3], v7, v18 src0_sel:WORD_0 src1_sel:DWORD
	v_cndmask_b32_e64 v23, v23, v7, s[2:3]
	s_branch .LBB130_49
.LBB130_154:
	s_or_b64 exec, exec, s[12:13]
.LBB130_155:
	s_or_b64 exec, exec, s[6:7]
	v_and_b32_e32 v2, 0x3c0, v0
	v_cmp_eq_u32_e32 vcc, 64, v2
	s_barrier
	s_and_saveexec_b64 s[2:3], vcc
	s_cbranch_execz .LBB130_158
; %bb.156:
	v_mov_b32_e32 v2, 0xb0
	v_lshl_add_u32 v3, v17, 2, v2
	ds_write_b32 v3, v12
	s_and_b64 exec, exec, s[0:1]
	s_cbranch_execz .LBB130_158
; %bb.157:
	v_lshl_add_u32 v2, v0, 2, v2
	ds_write_b32 v2, v13
.LBB130_158:
	s_or_b64 exec, exec, s[2:3]
	v_cmp_gt_u32_e32 vcc, 64, v0
	v_or_b32_e32 v2, 64, v0
	s_waitcnt lgkmcnt(0)
	s_barrier
	s_and_saveexec_b64 s[2:3], vcc
	s_cbranch_execz .LBB130_162
; %bb.159:
	v_mov_b32_e32 v3, 0xb0
	v_lshl_add_u32 v3, v0, 2, v3
	ds_read_b32 v0, v3
	s_movk_i32 s0, 0x50
	v_cmp_gt_u32_e64 s[0:1], s0, v2
	s_and_saveexec_b64 s[4:5], s[0:1]
	s_cbranch_execz .LBB130_161
; %bb.160:
	ds_read_b32 v3, v3 offset:256
	s_waitcnt lgkmcnt(0)
	v_add_f32_e32 v13, v13, v3
.LBB130_161:
	s_or_b64 exec, exec, s[4:5]
	s_waitcnt lgkmcnt(0)
	v_add_f32_e32 v12, v12, v0
.LBB130_162:
	s_or_b64 exec, exec, s[2:3]
	s_barrier
	s_and_saveexec_b64 s[0:1], vcc
	s_cbranch_execz .LBB130_173
; %bb.163:
	s_mov_b32 s0, 0x7f800000
	v_and_b32_e32 v0, 0x7f800000, v12
	v_cmp_ne_u32_e32 vcc, s0, v0
                                        ; implicit-def: $vgpr0
	s_and_saveexec_b64 s[0:1], vcc
	s_xor_b64 s[0:1], exec, s[0:1]
; %bb.164:
	v_bfe_u32 v0, v12, 16, 1
	s_movk_i32 s2, 0x7fff
	v_add3_u32 v0, v12, v0, s2
; %bb.165:
	s_andn2_saveexec_b64 s[0:1], s[0:1]
; %bb.166:
	v_mov_b32_e32 v0, 0
	v_or_b32_e32 v3, 0x10000, v12
	v_cmp_eq_u32_sdwa vcc, v12, v0 src0_sel:WORD_0 src1_sel:DWORD
	v_cndmask_b32_e32 v0, v3, v12, vcc
; %bb.167:
	s_or_b64 exec, exec, s[0:1]
	s_mul_i32 s0, s10, 0x50
	s_ashr_i32 s1, s0, 31
	s_lshl_b64 s[0:1], s[0:1], 1
	s_add_u32 s3, s28, s0
	s_mul_i32 s0, s15, s14
	s_addc_u32 s4, s29, s1
	s_ashr_i32 s1, s0, 31
	s_lshl_b64 s[0:1], s[0:1], 1
	s_add_u32 s3, s3, s0
	s_mul_i32 s0, s8, 0x50
	s_addc_u32 s4, s4, s1
	s_ashr_i32 s1, s0, 31
	s_lshl_b64 s[0:1], s[0:1], 1
	s_movk_i32 s2, 0x50
	s_add_u32 s0, s3, s0
	s_addc_u32 s1, s4, s1
	v_cmp_gt_u32_e32 vcc, s2, v2
	global_store_short_d16_hi v1, v0, s[0:1]
	s_and_b64 exec, exec, vcc
	s_cbranch_execz .LBB130_173
; %bb.168:
	v_mov_b32_e32 v2, s1
	v_add_co_u32_e32 v0, vcc, s0, v1
	v_addc_co_u32_e32 v1, vcc, 0, v2, vcc
	s_mov_b32 s0, 0x7f800000
	v_and_b32_e32 v2, 0x7f800000, v13
	v_cmp_ne_u32_e32 vcc, s0, v2
                                        ; implicit-def: $vgpr2
	s_and_saveexec_b64 s[0:1], vcc
	s_xor_b64 s[0:1], exec, s[0:1]
; %bb.169:
	v_bfe_u32 v2, v13, 16, 1
	s_movk_i32 s2, 0x7fff
	v_add3_u32 v2, v13, v2, s2
                                        ; implicit-def: $vgpr13
; %bb.170:
	s_andn2_saveexec_b64 s[0:1], s[0:1]
; %bb.171:
	v_mov_b32_e32 v2, 0
	v_or_b32_e32 v3, 0x10000, v13
	v_cmp_eq_u32_sdwa vcc, v13, v2 src0_sel:WORD_0 src1_sel:DWORD
	v_cndmask_b32_e32 v2, v3, v13, vcc
; %bb.172:
	s_or_b64 exec, exec, s[0:1]
	global_store_short_d16_hi v[0:1], v2, off offset:128
.LBB130_173:
	s_endpgm
	.section	.rodata,"a",@progbits
	.p2align	6, 0x0
	.amdhsa_kernel _ZN4vllm25paged_attention_v2_kernelI14__hip_bfloat16S1_Li80ELi8ELi128ELNS_18Fp8KVCacheDataTypeE0ELb1ELi512EEEvPfS3_PT_PKS4_PKT0_SA_ifPKiSC_iPKfiiiSE_SE_iiiii
		.amdhsa_group_segment_fixed_size 176
		.amdhsa_private_segment_fixed_size 0
		.amdhsa_kernarg_size 400
		.amdhsa_user_sgpr_count 6
		.amdhsa_user_sgpr_private_segment_buffer 1
		.amdhsa_user_sgpr_dispatch_ptr 0
		.amdhsa_user_sgpr_queue_ptr 0
		.amdhsa_user_sgpr_kernarg_segment_ptr 1
		.amdhsa_user_sgpr_dispatch_id 0
		.amdhsa_user_sgpr_flat_scratch_init 0
		.amdhsa_user_sgpr_kernarg_preload_length 0
		.amdhsa_user_sgpr_kernarg_preload_offset 0
		.amdhsa_user_sgpr_private_segment_size 0
		.amdhsa_uses_dynamic_stack 0
		.amdhsa_system_sgpr_private_segment_wavefront_offset 0
		.amdhsa_system_sgpr_workgroup_id_x 1
		.amdhsa_system_sgpr_workgroup_id_y 1
		.amdhsa_system_sgpr_workgroup_id_z 1
		.amdhsa_system_sgpr_workgroup_info 0
		.amdhsa_system_vgpr_workitem_id 0
		.amdhsa_next_free_vgpr 46
		.amdhsa_next_free_sgpr 54
		.amdhsa_accum_offset 48
		.amdhsa_reserve_vcc 1
		.amdhsa_reserve_flat_scratch 0
		.amdhsa_float_round_mode_32 0
		.amdhsa_float_round_mode_16_64 0
		.amdhsa_float_denorm_mode_32 3
		.amdhsa_float_denorm_mode_16_64 3
		.amdhsa_dx10_clamp 1
		.amdhsa_ieee_mode 1
		.amdhsa_fp16_overflow 0
		.amdhsa_tg_split 0
		.amdhsa_exception_fp_ieee_invalid_op 0
		.amdhsa_exception_fp_denorm_src 0
		.amdhsa_exception_fp_ieee_div_zero 0
		.amdhsa_exception_fp_ieee_overflow 0
		.amdhsa_exception_fp_ieee_underflow 0
		.amdhsa_exception_fp_ieee_inexact 0
		.amdhsa_exception_int_div_zero 0
	.end_amdhsa_kernel
	.section	.text._ZN4vllm25paged_attention_v2_kernelI14__hip_bfloat16S1_Li80ELi8ELi128ELNS_18Fp8KVCacheDataTypeE0ELb1ELi512EEEvPfS3_PT_PKS4_PKT0_SA_ifPKiSC_iPKfiiiSE_SE_iiiii,"axG",@progbits,_ZN4vllm25paged_attention_v2_kernelI14__hip_bfloat16S1_Li80ELi8ELi128ELNS_18Fp8KVCacheDataTypeE0ELb1ELi512EEEvPfS3_PT_PKS4_PKT0_SA_ifPKiSC_iPKfiiiSE_SE_iiiii,comdat
.Lfunc_end130:
	.size	_ZN4vllm25paged_attention_v2_kernelI14__hip_bfloat16S1_Li80ELi8ELi128ELNS_18Fp8KVCacheDataTypeE0ELb1ELi512EEEvPfS3_PT_PKS4_PKT0_SA_ifPKiSC_iPKfiiiSE_SE_iiiii, .Lfunc_end130-_ZN4vllm25paged_attention_v2_kernelI14__hip_bfloat16S1_Li80ELi8ELi128ELNS_18Fp8KVCacheDataTypeE0ELb1ELi512EEEvPfS3_PT_PKS4_PKT0_SA_ifPKiSC_iPKfiiiSE_SE_iiiii
                                        ; -- End function
	.section	.AMDGPU.csdata,"",@progbits
; Kernel info:
; codeLenInByte = 7040
; NumSgprs: 58
; NumVgprs: 46
; NumAgprs: 0
; TotalNumVgprs: 46
; ScratchSize: 0
; MemoryBound: 0
; FloatMode: 240
; IeeeMode: 1
; LDSByteSize: 176 bytes/workgroup (compile time only)
; SGPRBlocks: 7
; VGPRBlocks: 5
; NumSGPRsForWavesPerEU: 58
; NumVGPRsForWavesPerEU: 46
; AccumOffset: 48
; Occupancy: 8
; WaveLimiterHint : 1
; COMPUTE_PGM_RSRC2:SCRATCH_EN: 0
; COMPUTE_PGM_RSRC2:USER_SGPR: 6
; COMPUTE_PGM_RSRC2:TRAP_HANDLER: 0
; COMPUTE_PGM_RSRC2:TGID_X_EN: 1
; COMPUTE_PGM_RSRC2:TGID_Y_EN: 1
; COMPUTE_PGM_RSRC2:TGID_Z_EN: 1
; COMPUTE_PGM_RSRC2:TIDIG_COMP_CNT: 0
; COMPUTE_PGM_RSRC3_GFX90A:ACCUM_OFFSET: 11
; COMPUTE_PGM_RSRC3_GFX90A:TG_SPLIT: 0
	.section	.text._ZN4vllm32paged_attention_v2_reduce_kernelI14__hip_bfloat16Li80ELi128ELi512EEEvPT_PKfS5_PKS2_PKii,"axG",@progbits,_ZN4vllm32paged_attention_v2_reduce_kernelI14__hip_bfloat16Li80ELi128ELi512EEEvPT_PKfS5_PKS2_PKii,comdat
	.protected	_ZN4vllm32paged_attention_v2_reduce_kernelI14__hip_bfloat16Li80ELi128ELi512EEEvPT_PKfS5_PKS2_PKii ; -- Begin function _ZN4vllm32paged_attention_v2_reduce_kernelI14__hip_bfloat16Li80ELi128ELi512EEEvPT_PKfS5_PKS2_PKii
	.globl	_ZN4vllm32paged_attention_v2_reduce_kernelI14__hip_bfloat16Li80ELi128ELi512EEEvPT_PKfS5_PKS2_PKii
	.p2align	8
	.type	_ZN4vllm32paged_attention_v2_reduce_kernelI14__hip_bfloat16Li80ELi128ELi512EEEvPT_PKfS5_PKS2_PKii,@function
_ZN4vllm32paged_attention_v2_reduce_kernelI14__hip_bfloat16Li80ELi128ELi512EEEvPT_PKfS5_PKS2_PKii: ; @_ZN4vllm32paged_attention_v2_reduce_kernelI14__hip_bfloat16Li80ELi128ELi512EEEvPT_PKfS5_PKS2_PKii
; %bb.0:
	s_load_dwordx4 s[8:11], s[4:5], 0x18
	s_add_u32 s12, s4, 48
	s_mov_b32 s14, s7
	s_addc_u32 s13, s5, 0
	s_ashr_i32 s15, s7, 31
	s_lshl_b64 s[0:1], s[14:15], 2
	s_waitcnt lgkmcnt(0)
	s_add_u32 s0, s10, s0
	s_addc_u32 s1, s11, s1
	s_load_dword s24, s[0:1], 0x0
	s_load_dwordx2 s[10:11], s[4:5], 0x0
	s_load_dword s7, s[4:5], 0x28
	s_load_dword s15, s[4:5], 0x30
	s_waitcnt lgkmcnt(0)
	s_add_i32 s0, s24, -1
	s_cmpk_gt_u32 s0, 0x1ff
	s_mov_b64 s[0:1], -1
	s_cbranch_scc0 .LBB131_29
; %bb.1:
	s_add_i32 s0, s24, 0x1ff
	s_load_dwordx2 s[20:21], s[4:5], 0x8
	s_ashr_i32 s1, s0, 31
	s_lshr_b32 s1, s1, 23
	s_add_i32 s0, s0, s1
	s_mul_i32 s22, s15, s14
	s_ashr_i32 s23, s0, 9
	s_mul_i32 s16, s22, s7
	s_mul_i32 s18, s6, s7
	s_ashr_i32 s17, s16, 31
	s_ashr_i32 s19, s18, 31
	v_cmp_gt_i32_e32 vcc, s23, v0
	v_mov_b32_e32 v5, 0xff7fffff
	v_lshlrev_b32_e32 v1, 2, v0
	s_and_saveexec_b64 s[2:3], vcc
	s_cbranch_execz .LBB131_5
; %bb.2:
	s_load_dword s25, s[12:13], 0xc
	s_load_dwordx2 s[0:1], s[4:5], 0x10
	s_lshl_b64 s[4:5], s[16:17], 2
	s_lshl_b64 s[26:27], s[18:19], 2
	s_mov_b32 s28, 0
	s_waitcnt lgkmcnt(0)
	s_and_b32 s25, s25, 0xffff
	s_add_u32 s4, s4, s26
	s_addc_u32 s5, s5, s27
	s_add_u32 s0, s0, s4
	s_addc_u32 s1, s1, s5
	v_mov_b32_e32 v3, s1
	v_add_co_u32_e64 v2, s[0:1], s0, v1
	v_addc_co_u32_e64 v3, s[0:1], 0, v3, s[0:1]
	s_lshl_b32 s26, s25, 2
	v_add_u32_e32 v4, 16, v1
	s_mov_b64 s[4:5], 0
	v_mov_b32_e32 v5, 0xff7fffff
	v_mov_b32_e32 v6, s28
	;; [unrolled: 1-line block ×3, first 2 shown]
.LBB131_3:                              ; =>This Inner Loop Header: Depth=1
	global_load_dword v8, v[2:3], off
	v_add_co_u32_e64 v2, s[0:1], s26, v2
	v_add_u32_e32 v7, s25, v7
	v_addc_co_u32_e64 v3, s[0:1], v3, v6, s[0:1]
	v_max_f32_e32 v5, v5, v5
	v_cmp_le_i32_e64 s[0:1], s23, v7
	s_or_b64 s[4:5], s[0:1], s[4:5]
	s_waitcnt vmcnt(0)
	ds_write_b32 v4, v8
	v_max_f32_e32 v8, v8, v8
	v_add_u32_e32 v4, s26, v4
	v_max_f32_e32 v5, v5, v8
	s_andn2_b64 exec, exec, s[4:5]
	s_cbranch_execnz .LBB131_3
; %bb.4:
	s_or_b64 exec, exec, s[4:5]
.LBB131_5:
	s_or_b64 exec, exec, s[2:3]
	v_mbcnt_lo_u32_b32 v2, -1, 0
	v_mbcnt_hi_u32_b32 v2, -1, v2
	v_and_b32_e32 v3, 64, v2
	v_add_u32_e32 v6, 64, v3
	v_xor_b32_e32 v3, 32, v2
	v_cmp_lt_i32_e64 s[0:1], v3, v6
	v_cndmask_b32_e64 v3, v2, v3, s[0:1]
	v_lshlrev_b32_e32 v4, 2, v3
	ds_bpermute_b32 v3, v4, v5
	v_xor_b32_e32 v7, 16, v2
	v_max_f32_e32 v5, v5, v5
	v_cmp_lt_i32_e64 s[0:1], v7, v6
	v_xor_b32_e32 v8, 8, v2
	s_waitcnt lgkmcnt(0)
	v_max_f32_e32 v3, v3, v3
	v_max_f32_e32 v3, v5, v3
	v_cndmask_b32_e64 v5, v2, v7, s[0:1]
	v_lshlrev_b32_e32 v5, 2, v5
	ds_bpermute_b32 v7, v5, v3
	v_cmp_lt_i32_e64 s[0:1], v8, v6
	v_xor_b32_e32 v9, 4, v2
	v_xor_b32_e32 v10, 2, v2
	v_lshrrev_b32_e32 v13, 6, v0
	s_waitcnt lgkmcnt(0)
	v_max_f32_e32 v7, v7, v7
	v_max_f32_e32 v3, v3, v7
	v_cndmask_b32_e64 v7, v2, v8, s[0:1]
	v_lshlrev_b32_e32 v7, 2, v7
	ds_bpermute_b32 v8, v7, v3
	v_cmp_lt_i32_e64 s[0:1], v9, v6
	s_waitcnt lgkmcnt(0)
	s_barrier
	v_max_f32_e32 v8, v8, v8
	v_max_f32_e32 v3, v3, v8
	v_cndmask_b32_e64 v8, v2, v9, s[0:1]
	v_lshlrev_b32_e32 v8, 2, v8
	ds_bpermute_b32 v9, v8, v3
	v_cmp_lt_i32_e64 s[0:1], v10, v6
	s_waitcnt lgkmcnt(0)
	v_max_f32_e32 v9, v9, v9
	v_max_f32_e32 v11, v3, v9
	v_cndmask_b32_e64 v3, v2, v10, s[0:1]
	v_lshlrev_b32_e32 v9, 2, v3
	ds_bpermute_b32 v10, v9, v11
	v_and_b32_e32 v3, 63, v0
	s_waitcnt lgkmcnt(0)
	v_max_f32_e32 v10, v10, v10
	v_max_f32_e32 v11, v11, v10
	v_xor_b32_e32 v10, 1, v2
	v_cmp_lt_i32_e64 s[0:1], v10, v6
	v_cndmask_b32_e64 v6, v2, v10, s[0:1]
	v_lshlrev_b32_e32 v6, 2, v6
	ds_bpermute_b32 v12, v6, v11
	v_cmp_eq_u32_e64 s[0:1], 0, v3
	v_lshlrev_b32_e32 v10, 2, v13
	s_and_saveexec_b64 s[2:3], s[0:1]
	s_cbranch_execz .LBB131_7
; %bb.6:
	s_waitcnt lgkmcnt(0)
	v_max_f32_e32 v12, v12, v12
	v_max_f32_e32 v11, v11, v11
	;; [unrolled: 1-line block ×3, first 2 shown]
	ds_write_b32 v10, v11
.LBB131_7:
	s_or_b64 exec, exec, s[2:3]
	v_cmp_gt_u32_e64 s[2:3], 2, v3
	s_waitcnt lgkmcnt(0)
	v_mov_b32_e32 v12, 0xff7fffff
	v_lshlrev_b32_e32 v11, 2, v3
	s_barrier
	s_and_saveexec_b64 s[4:5], s[2:3]
	s_cbranch_execz .LBB131_9
; %bb.8:
	ds_read_b32 v12, v11
.LBB131_9:
	s_or_b64 exec, exec, s[4:5]
	s_waitcnt lgkmcnt(0)
	ds_bpermute_b32 v3, v6, v12
	v_max_f32_e32 v12, v12, v12
	v_lshlrev_b32_e32 v2, 2, v2
	s_lshl_b32 s25, s23, 2
	v_mov_b32_e32 v14, 0
	s_waitcnt lgkmcnt(0)
	v_max_f32_e32 v3, v3, v3
	v_max_f32_e32 v3, v12, v3
	v_and_b32_e32 v12, 0x100, v2
	ds_bpermute_b32 v13, v12, v3
	s_and_saveexec_b64 s[4:5], vcc
	s_cbranch_execz .LBB131_13
; %bb.10:
	s_load_dword s30, s[12:13], 0xc
	s_lshl_b64 s[26:27], s[16:17], 2
	s_lshl_b64 s[28:29], s[18:19], 2
	s_mov_b32 s31, 0
	v_mov_b32_e32 v14, 0
	s_waitcnt lgkmcnt(0)
	s_and_b32 s17, s30, 0xffff
	s_add_u32 s19, s26, s28
	s_addc_u32 s26, s27, s29
	s_add_u32 s19, s20, s19
	s_addc_u32 s20, s21, s26
	v_mov_b32_e32 v3, s20
	v_add_co_u32_e32 v2, vcc, s19, v1
	v_addc_co_u32_e32 v3, vcc, 0, v3, vcc
	s_lshl_b32 s19, s17, 2
	v_add_u32_e32 v1, 16, v1
	s_mov_b64 s[20:21], 0
	s_mov_b32 s26, 0x3fb8aa3b
	s_mov_b32 s27, 0xc2ce8ed0
	;; [unrolled: 1-line block ×3, first 2 shown]
	v_mov_b32_e32 v15, 0x7f800000
	v_mov_b32_e32 v16, s31
	;; [unrolled: 1-line block ×3, first 2 shown]
.LBB131_11:                             ; =>This Inner Loop Header: Depth=1
	global_load_dword v18, v[2:3], off
	ds_read_b32 v19, v1
	v_add_co_u32_e32 v2, vcc, s19, v2
	v_add_u32_e32 v17, s17, v17
	v_addc_co_u32_e32 v3, vcc, v3, v16, vcc
	s_waitcnt lgkmcnt(0)
	v_sub_f32_e32 v19, v19, v13
	v_mul_f32_e32 v21, 0x3fb8aa3b, v19
	v_fma_f32 v22, v19, s26, -v21
	v_rndne_f32_e32 v23, v21
	v_fmac_f32_e32 v22, 0x32a5705f, v19
	v_sub_f32_e32 v21, v21, v23
	v_add_f32_e32 v21, v21, v22
	v_cvt_i32_f32_e32 v23, v23
	v_exp_f32_e32 v21, v21
	v_cmp_le_i32_e32 vcc, s23, v17
	s_or_b64 s[20:21], vcc, s[20:21]
	v_cmp_ngt_f32_e32 vcc, s27, v19
	v_ldexp_f32 v21, v21, v23
	v_cndmask_b32_e32 v21, 0, v21, vcc
	v_cmp_nlt_f32_e32 vcc, s28, v19
	v_cndmask_b32_e32 v19, v15, v21, vcc
	v_add_u32_e32 v20, s25, v1
	v_add_u32_e32 v1, s19, v1
	s_waitcnt vmcnt(0)
	v_mul_f32_e32 v21, v18, v19
	v_fmac_f32_e32 v14, v18, v19
	ds_write_b32 v20, v21
	s_andn2_b64 exec, exec, s[20:21]
	s_cbranch_execnz .LBB131_11
; %bb.12:
	s_or_b64 exec, exec, s[20:21]
.LBB131_13:
	s_or_b64 exec, exec, s[4:5]
	ds_bpermute_b32 v1, v4, v14
	s_waitcnt lgkmcnt(0)
	s_barrier
	v_add_f32_e32 v1, v14, v1
	ds_bpermute_b32 v2, v5, v1
	s_waitcnt lgkmcnt(0)
	v_add_f32_e32 v1, v1, v2
	ds_bpermute_b32 v2, v7, v1
	s_waitcnt lgkmcnt(0)
	;; [unrolled: 3-line block ×5, first 2 shown]
	v_add_f32_e32 v1, v1, v2
	s_and_saveexec_b64 s[4:5], s[0:1]
	s_cbranch_execz .LBB131_15
; %bb.14:
	ds_write_b32 v10, v1 offset:8
.LBB131_15:
	s_or_b64 exec, exec, s[4:5]
	s_waitcnt lgkmcnt(0)
	s_barrier
	s_and_saveexec_b64 s[0:1], s[2:3]
	s_cbranch_execz .LBB131_17
; %bb.16:
	ds_read_b32 v1, v11 offset:8
.LBB131_17:
	s_or_b64 exec, exec, s[0:1]
	s_waitcnt lgkmcnt(0)
	ds_bpermute_b32 v2, v6, v1
	s_movk_i32 s0, 0x50
	v_cmp_gt_u32_e32 vcc, s0, v0
	s_waitcnt lgkmcnt(0)
	v_add_f32_e32 v1, v1, v2
	ds_bpermute_b32 v2, v12, v1
	s_and_saveexec_b64 s[0:1], vcc
	s_cbranch_execz .LBB131_28
; %bb.18:
	s_cmp_gt_i32 s24, 0
	s_mov_b32 s4, 0
	s_cbranch_scc1 .LBB131_20
; %bb.19:
	v_mov_b32_e32 v1, 0
	v_mov_b32_e32 v4, s4
	s_cbranch_execz .LBB131_21
	s_branch .LBB131_23
.LBB131_20:
                                        ; implicit-def: $sgpr4
	v_mov_b32_e32 v4, s4
.LBB131_21:
	s_waitcnt lgkmcnt(0)
	v_add_f32_e32 v1, 0x358637bd, v2
	v_div_scale_f32 v2, s[2:3], v1, v1, 1.0
	v_rcp_f32_e32 v3, v2
	s_mul_i32 s4, s16, 0x50
	s_mul_i32 s16, s18, 0x50
	s_ashr_i32 s5, s4, 31
	v_fma_f32 v4, -v2, v3, 1.0
	v_fmac_f32_e32 v3, v4, v3
	v_div_scale_f32 v4, vcc, 1.0, v1, 1.0
	v_mul_f32_e32 v5, v4, v3
	s_ashr_i32 s17, s16, 31
	s_max_i32 s2, s23, 1
	v_fma_f32 v6, -v2, v5, v4
	s_add_i32 s3, s25, 16
	s_lshl_b64 s[4:5], s[4:5], 1
	s_lshl_b64 s[16:17], s[16:17], 1
	v_fmac_f32_e32 v5, v6, v3
	s_add_u32 s4, s4, s16
	v_fma_f32 v2, -v2, v5, v4
	s_addc_u32 s5, s5, s17
	v_div_fmas_f32 v2, v2, v3, v5
	s_add_u32 s4, s8, s4
	v_div_fixup_f32 v5, v2, v1, 1.0
	v_lshlrev_b32_e32 v2, 1, v0
	s_addc_u32 s5, s9, s5
	v_mov_b32_e32 v1, 0
	v_mov_b32_e32 v3, s5
	v_add_co_u32_e32 v2, vcc, s4, v2
	v_addc_co_u32_e32 v3, vcc, 0, v3, vcc
	v_mov_b32_e32 v4, v1
.LBB131_22:                             ; =>This Inner Loop Header: Depth=1
	global_load_ushort v6, v[2:3], off
	v_mov_b32_e32 v7, s3
	ds_read_b32 v7, v7
	s_add_i32 s2, s2, -1
	v_add_co_u32_e32 v2, vcc, 0xa0, v2
	s_add_i32 s3, s3, 4
	v_addc_co_u32_e32 v3, vcc, 0, v3, vcc
	s_cmp_eq_u32 s2, 0
	s_waitcnt vmcnt(0)
	v_lshlrev_b32_e32 v6, 16, v6
	s_waitcnt lgkmcnt(0)
	v_mul_f32_e32 v6, v7, v6
	v_fmac_f32_e32 v4, v5, v6
	s_cbranch_scc0 .LBB131_22
.LBB131_23:
	s_mov_b32 s2, 0x7f800000
	s_waitcnt lgkmcnt(0)
	v_and_b32_e32 v2, 0x7f800000, v4
	v_cmp_ne_u32_e32 vcc, s2, v2
                                        ; implicit-def: $vgpr2
	s_and_saveexec_b64 s[2:3], vcc
	s_xor_b64 s[2:3], exec, s[2:3]
; %bb.24:
	v_bfe_u32 v2, v4, 16, 1
	s_movk_i32 s4, 0x7fff
	v_add3_u32 v2, v4, v2, s4
                                        ; implicit-def: $vgpr4
; %bb.25:
	s_andn2_saveexec_b64 s[2:3], s[2:3]
; %bb.26:
	v_mov_b32_e32 v2, 0
	v_or_b32_e32 v3, 0x10000, v4
	v_cmp_eq_u32_sdwa vcc, v4, v2 src0_sel:WORD_0 src1_sel:DWORD
	v_cndmask_b32_e32 v2, v3, v4, vcc
; %bb.27:
	s_or_b64 exec, exec, s[2:3]
	s_mul_i32 s2, s22, 0x50
	s_ashr_i32 s3, s2, 31
	s_lshl_b64 s[2:3], s[2:3], 1
	s_add_u32 s4, s10, s2
	s_mul_i32 s2, s6, 0x50
	s_addc_u32 s5, s11, s3
	s_ashr_i32 s3, s2, 31
	s_lshl_b64 s[2:3], s[2:3], 1
	s_add_u32 s2, s4, s2
	s_addc_u32 s3, s5, s3
	v_lshlrev_b64 v[4:5], 1, v[0:1]
	v_mov_b32_e32 v1, s3
	v_add_co_u32_e32 v4, vcc, s2, v4
	v_addc_co_u32_e32 v5, vcc, v1, v5, vcc
	global_store_short_d16_hi v[4:5], v2, off
.LBB131_28:
	s_or_b64 exec, exec, s[0:1]
	s_mov_b64 s[0:1], 0
.LBB131_29:
	s_and_b64 vcc, exec, s[0:1]
	s_cbranch_vccz .LBB131_38
; %bb.30:
	s_movk_i32 s0, 0x50
	v_cmp_gt_u32_e32 vcc, s0, v0
	s_and_saveexec_b64 s[2:3], vcc
	s_cbranch_execz .LBB131_38
; %bb.31:
	s_mul_i32 s1, s15, s14
	s_mul_i32 s2, s1, 0x50
	s_ashr_i32 s3, s2, 31
	s_lshl_b64 s[4:5], s[2:3], 1
	s_add_u32 s1, s10, s4
	s_mul_i32 s14, s6, 0x50
	s_addc_u32 s3, s11, s5
	s_ashr_i32 s15, s14, 31
	s_lshl_b64 s[4:5], s[14:15], 1
	s_add_u32 s4, s1, s4
	s_mul_i32 s2, s2, s7
	s_addc_u32 s10, s3, s5
	s_ashr_i32 s3, s2, 31
	s_lshl_b64 s[2:3], s[2:3], 1
	s_add_u32 s1, s8, s2
	s_load_dword s8, s[12:13], 0xc
	s_mul_i32 s2, s14, s7
	s_addc_u32 s6, s9, s3
	s_ashr_i32 s3, s2, 31
	s_lshl_b64 s[2:3], s[2:3], 1
	s_add_u32 s5, s1, s2
	s_addc_u32 s7, s6, s3
	s_waitcnt lgkmcnt(0)
	s_and_b32 s6, s8, 0xffff
	v_cvt_f32_u32_e32 v1, s6
	v_add_u32_e32 v2, s6, v0
	v_mov_b32_e32 v4, s6
	v_cmp_gt_u32_e32 vcc, s0, v2
	v_rcp_iflag_f32_e32 v1, v1
	s_cmp_eq_u32 s6, 1
	v_max_u32_e32 v3, 0x50, v2
	v_addc_co_u32_e64 v2, s[0:1], v0, v4, vcc
	v_mul_f32_e32 v1, 0x4f7ffffe, v1
	v_cvt_u32_f32_e32 v1, v1
	s_cselect_b64 s[2:3], -1, 0
	s_sub_i32 s0, 0, s6
	v_sub_u32_e32 v2, v3, v2
	v_mul_lo_u32 v3, s0, v1
	v_mul_hi_u32 v3, v1, v3
	v_add_u32_e32 v1, v1, v3
	v_mul_hi_u32 v1, v2, v1
	v_mul_lo_u32 v3, v1, s6
	v_sub_u32_e32 v2, v2, v3
	v_add_u32_e32 v3, 1, v1
	v_cmp_le_u32_e64 s[0:1], s6, v2
	v_cndmask_b32_e64 v1, v1, v3, s[0:1]
	v_subrev_u32_e32 v3, s6, v2
	v_cndmask_b32_e64 v2, v2, v3, s[0:1]
	v_add_u32_e32 v3, 1, v1
	v_cmp_le_u32_e64 s[0:1], s6, v2
	v_cndmask_b32_e64 v1, v1, v3, s[0:1]
	v_addc_co_u32_e32 v1, vcc, 1, v1, vcc
	v_cmp_lt_u32_e32 vcc, 31, v1
	s_and_b64 s[8:9], vcc, s[2:3]
	s_mov_b64 s[2:3], -1
	s_and_saveexec_b64 s[0:1], s[8:9]
	s_cbranch_execz .LBB131_35
; %bb.32:
	v_and_b32_e32 v4, 0xffffffe0, v1
	s_mov_b64 s[2:3], 0
	v_mov_b32_e32 v3, 0
	v_mov_b32_e32 v5, s7
	;; [unrolled: 1-line block ×5, first 2 shown]
.LBB131_33:                             ; =>This Inner Loop Header: Depth=1
	v_lshlrev_b64 v[24:25], 1, v[2:3]
	v_add_co_u32_e32 v26, vcc, s5, v24
	v_addc_co_u32_e32 v27, vcc, v5, v25, vcc
	global_load_dwordx4 v[8:11], v[26:27], off
	global_load_dwordx4 v[12:15], v[26:27], off offset:16
	global_load_dwordx4 v[16:19], v[26:27], off offset:32
	;; [unrolled: 1-line block ×3, first 2 shown]
	v_add_co_u32_e32 v24, vcc, s4, v24
	v_subrev_u32_e32 v7, 32, v7
	v_addc_co_u32_e32 v25, vcc, v6, v25, vcc
	v_cmp_eq_u32_e32 vcc, 0, v7
	v_add_u32_e32 v2, 32, v2
	s_or_b64 s[2:3], vcc, s[2:3]
	s_waitcnt vmcnt(3)
	global_store_dwordx4 v[24:25], v[8:11], off
	s_waitcnt vmcnt(3)
	global_store_dwordx4 v[24:25], v[12:15], off offset:16
	s_waitcnt vmcnt(3)
	global_store_dwordx4 v[24:25], v[16:19], off offset:32
	;; [unrolled: 2-line block ×3, first 2 shown]
	s_andn2_b64 exec, exec, s[2:3]
	s_cbranch_execnz .LBB131_33
; %bb.34:
	s_or_b64 exec, exec, s[2:3]
	v_cmp_ne_u32_e32 vcc, v1, v4
	v_add_u32_e32 v0, v0, v4
	s_orn2_b64 s[2:3], vcc, exec
.LBB131_35:
	s_or_b64 exec, exec, s[0:1]
	s_and_b64 exec, exec, s[2:3]
	s_cbranch_execz .LBB131_38
; %bb.36:
	s_mov_b32 s3, 0
	v_mov_b32_e32 v1, 0
	v_lshlrev_b64 v[2:3], 1, v[0:1]
	s_lshl_b32 s2, s6, 1
	s_mov_b64 s[0:1], 0
	v_mov_b32_e32 v1, s7
	v_mov_b32_e32 v4, s10
	;; [unrolled: 1-line block ×3, first 2 shown]
	s_movk_i32 s3, 0x4f
.LBB131_37:                             ; =>This Inner Loop Header: Depth=1
	v_add_co_u32_e32 v6, vcc, s5, v2
	v_addc_co_u32_e32 v7, vcc, v1, v3, vcc
	global_load_ushort v8, v[6:7], off
	v_add_co_u32_e32 v6, vcc, s4, v2
	v_addc_co_u32_e32 v7, vcc, v4, v3, vcc
	v_add_co_u32_e32 v2, vcc, s2, v2
	v_add_u32_e32 v0, s6, v0
	v_addc_co_u32_e32 v3, vcc, v3, v5, vcc
	v_cmp_lt_u32_e32 vcc, s3, v0
	s_or_b64 s[0:1], vcc, s[0:1]
	s_waitcnt vmcnt(0)
	global_store_short v[6:7], v8, off
	s_andn2_b64 exec, exec, s[0:1]
	s_cbranch_execnz .LBB131_37
.LBB131_38:
	s_endpgm
	.section	.rodata,"a",@progbits
	.p2align	6, 0x0
	.amdhsa_kernel _ZN4vllm32paged_attention_v2_reduce_kernelI14__hip_bfloat16Li80ELi128ELi512EEEvPT_PKfS5_PKS2_PKii
		.amdhsa_group_segment_fixed_size 16
		.amdhsa_private_segment_fixed_size 0
		.amdhsa_kernarg_size 304
		.amdhsa_user_sgpr_count 6
		.amdhsa_user_sgpr_private_segment_buffer 1
		.amdhsa_user_sgpr_dispatch_ptr 0
		.amdhsa_user_sgpr_queue_ptr 0
		.amdhsa_user_sgpr_kernarg_segment_ptr 1
		.amdhsa_user_sgpr_dispatch_id 0
		.amdhsa_user_sgpr_flat_scratch_init 0
		.amdhsa_user_sgpr_kernarg_preload_length 0
		.amdhsa_user_sgpr_kernarg_preload_offset 0
		.amdhsa_user_sgpr_private_segment_size 0
		.amdhsa_uses_dynamic_stack 0
		.amdhsa_system_sgpr_private_segment_wavefront_offset 0
		.amdhsa_system_sgpr_workgroup_id_x 1
		.amdhsa_system_sgpr_workgroup_id_y 1
		.amdhsa_system_sgpr_workgroup_id_z 0
		.amdhsa_system_sgpr_workgroup_info 0
		.amdhsa_system_vgpr_workitem_id 0
		.amdhsa_next_free_vgpr 28
		.amdhsa_next_free_sgpr 32
		.amdhsa_accum_offset 28
		.amdhsa_reserve_vcc 1
		.amdhsa_reserve_flat_scratch 0
		.amdhsa_float_round_mode_32 0
		.amdhsa_float_round_mode_16_64 0
		.amdhsa_float_denorm_mode_32 3
		.amdhsa_float_denorm_mode_16_64 3
		.amdhsa_dx10_clamp 1
		.amdhsa_ieee_mode 1
		.amdhsa_fp16_overflow 0
		.amdhsa_tg_split 0
		.amdhsa_exception_fp_ieee_invalid_op 0
		.amdhsa_exception_fp_denorm_src 0
		.amdhsa_exception_fp_ieee_div_zero 0
		.amdhsa_exception_fp_ieee_overflow 0
		.amdhsa_exception_fp_ieee_underflow 0
		.amdhsa_exception_fp_ieee_inexact 0
		.amdhsa_exception_int_div_zero 0
	.end_amdhsa_kernel
	.section	.text._ZN4vllm32paged_attention_v2_reduce_kernelI14__hip_bfloat16Li80ELi128ELi512EEEvPT_PKfS5_PKS2_PKii,"axG",@progbits,_ZN4vllm32paged_attention_v2_reduce_kernelI14__hip_bfloat16Li80ELi128ELi512EEEvPT_PKfS5_PKS2_PKii,comdat
.Lfunc_end131:
	.size	_ZN4vllm32paged_attention_v2_reduce_kernelI14__hip_bfloat16Li80ELi128ELi512EEEvPT_PKfS5_PKS2_PKii, .Lfunc_end131-_ZN4vllm32paged_attention_v2_reduce_kernelI14__hip_bfloat16Li80ELi128ELi512EEEvPT_PKfS5_PKS2_PKii
                                        ; -- End function
	.section	.AMDGPU.csdata,"",@progbits
; Kernel info:
; codeLenInByte = 2316
; NumSgprs: 36
; NumVgprs: 28
; NumAgprs: 0
; TotalNumVgprs: 28
; ScratchSize: 0
; MemoryBound: 0
; FloatMode: 240
; IeeeMode: 1
; LDSByteSize: 16 bytes/workgroup (compile time only)
; SGPRBlocks: 4
; VGPRBlocks: 3
; NumSGPRsForWavesPerEU: 36
; NumVGPRsForWavesPerEU: 28
; AccumOffset: 28
; Occupancy: 8
; WaveLimiterHint : 0
; COMPUTE_PGM_RSRC2:SCRATCH_EN: 0
; COMPUTE_PGM_RSRC2:USER_SGPR: 6
; COMPUTE_PGM_RSRC2:TRAP_HANDLER: 0
; COMPUTE_PGM_RSRC2:TGID_X_EN: 1
; COMPUTE_PGM_RSRC2:TGID_Y_EN: 1
; COMPUTE_PGM_RSRC2:TGID_Z_EN: 0
; COMPUTE_PGM_RSRC2:TIDIG_COMP_CNT: 0
; COMPUTE_PGM_RSRC3_GFX90A:ACCUM_OFFSET: 6
; COMPUTE_PGM_RSRC3_GFX90A:TG_SPLIT: 0
	.section	.text._ZN4vllm25paged_attention_v2_kernelI14__hip_bfloat16S1_Li96ELi8ELi128ELNS_18Fp8KVCacheDataTypeE0ELb1ELi512EEEvPfS3_PT_PKS4_PKT0_SA_ifPKiSC_iPKfiiiSE_SE_iiiii,"axG",@progbits,_ZN4vllm25paged_attention_v2_kernelI14__hip_bfloat16S1_Li96ELi8ELi128ELNS_18Fp8KVCacheDataTypeE0ELb1ELi512EEEvPfS3_PT_PKS4_PKT0_SA_ifPKiSC_iPKfiiiSE_SE_iiiii,comdat
	.protected	_ZN4vllm25paged_attention_v2_kernelI14__hip_bfloat16S1_Li96ELi8ELi128ELNS_18Fp8KVCacheDataTypeE0ELb1ELi512EEEvPfS3_PT_PKS4_PKT0_SA_ifPKiSC_iPKfiiiSE_SE_iiiii ; -- Begin function _ZN4vllm25paged_attention_v2_kernelI14__hip_bfloat16S1_Li96ELi8ELi128ELNS_18Fp8KVCacheDataTypeE0ELb1ELi512EEEvPfS3_PT_PKS4_PKT0_SA_ifPKiSC_iPKfiiiSE_SE_iiiii
	.globl	_ZN4vllm25paged_attention_v2_kernelI14__hip_bfloat16S1_Li96ELi8ELi128ELNS_18Fp8KVCacheDataTypeE0ELb1ELi512EEEvPfS3_PT_PKS4_PKT0_SA_ifPKiSC_iPKfiiiSE_SE_iiiii
	.p2align	8
	.type	_ZN4vllm25paged_attention_v2_kernelI14__hip_bfloat16S1_Li96ELi8ELi128ELNS_18Fp8KVCacheDataTypeE0ELb1ELi512EEEvPfS3_PT_PKS4_PKT0_SA_ifPKiSC_iPKfiiiSE_SE_iiiii,@function
_ZN4vllm25paged_attention_v2_kernelI14__hip_bfloat16S1_Li96ELi8ELi128ELNS_18Fp8KVCacheDataTypeE0ELb1ELi512EEEvPfS3_PT_PKS4_PKT0_SA_ifPKiSC_iPKfiiiSE_SE_iiiii: ; @_ZN4vllm25paged_attention_v2_kernelI14__hip_bfloat16S1_Li96ELi8ELi128ELNS_18Fp8KVCacheDataTypeE0ELb1ELi512EEEvPfS3_PT_PKS4_PKT0_SA_ifPKiSC_iPKfiiiSE_SE_iiiii
; %bb.0:
	s_load_dwordx2 s[0:1], s[4:5], 0x40
	s_mov_b32 s30, s7
	s_ashr_i32 s31, s7, 31
	s_lshl_b64 s[2:3], s[30:31], 2
	s_waitcnt lgkmcnt(0)
	s_add_u32 s0, s0, s2
	s_addc_u32 s1, s1, s3
	s_load_dword s31, s[0:1], 0x0
	s_lshl_b32 s51, s8, 9
	s_waitcnt lgkmcnt(0)
	s_cmp_ge_i32 s51, s31
	s_cbranch_scc1 .LBB132_173
; %bb.1:
	s_load_dword s9, s[4:5], 0x90
	s_load_dwordx2 s[40:41], s[4:5], 0x30
	s_waitcnt lgkmcnt(0)
	s_abs_i32 s2, s9
	s_abs_i32 s0, s40
	v_cvt_f32_u32_e32 v1, s0
	s_sub_i32 s3, 0, s0
	s_xor_b32 s1, s9, s40
	s_ashr_i32 s1, s1, 31
	v_rcp_iflag_f32_e32 v1, v1
	v_mul_f32_e32 v1, 0x4f7ffffe, v1
	v_cvt_u32_f32_e32 v1, v1
	v_readfirstlane_b32 s7, v1
	s_mul_i32 s3, s3, s7
	s_mul_hi_u32 s3, s7, s3
	s_add_i32 s7, s7, s3
	s_mul_hi_u32 s3, s2, s7
	s_mul_i32 s7, s3, s0
	s_sub_i32 s2, s2, s7
	s_add_i32 s10, s3, 1
	s_sub_i32 s7, s2, s0
	s_cmp_ge_u32 s2, s0
	s_cselect_b32 s3, s10, s3
	s_cselect_b32 s2, s7, s2
	s_add_i32 s7, s3, 1
	s_cmp_ge_u32 s2, s0
	s_cselect_b32 s0, s7, s3
	s_xor_b32 s0, s0, s1
	s_sub_i32 s2, s0, s1
	s_abs_i32 s10, s2
	v_cvt_f32_u32_e32 v1, s10
	s_load_dwordx2 s[0:1], s[4:5], 0x50
	s_sub_i32 s3, 0, s10
	s_abs_i32 s11, s6
	v_rcp_iflag_f32_e32 v1, v1
	s_mov_b32 s7, 0
	v_mul_f32_e32 v1, 0x4f7ffffe, v1
	v_cvt_u32_f32_e32 v1, v1
	v_readfirstlane_b32 s12, v1
	s_mul_i32 s3, s3, s12
	s_mul_hi_u32 s3, s12, s3
	s_add_i32 s12, s12, s3
	s_waitcnt lgkmcnt(0)
	s_cmp_eq_u64 s[0:1], 0
	s_mul_hi_u32 s12, s11, s12
	s_cbranch_scc1 .LBB132_3
; %bb.2:
	s_ashr_i32 s7, s6, 31
	s_lshl_b64 s[14:15], s[6:7], 2
	s_add_u32 s0, s0, s14
	s_addc_u32 s1, s1, s15
	s_load_dword s7, s[0:1], 0x0
.LBB132_3:
	s_load_dwordx4 s[16:19], s[4:5], 0x58
	s_movk_i32 s0, 0x60
	s_ashr_i32 s13, s6, 31
	s_ashr_i32 s20, s2, 31
	v_and_b32_e32 v2, 7, v0
	s_mul_i32 s14, s6, 0x60
	v_cmp_gt_u32_e64 s[0:1], s0, v0
	v_lshlrev_b32_e32 v1, 1, v0
	s_and_saveexec_b64 s[2:3], s[0:1]
	s_cbranch_execz .LBB132_5
; %bb.4:
	s_load_dwordx2 s[22:23], s[4:5], 0x18
	s_waitcnt lgkmcnt(0)
	s_mul_i32 s24, s30, s16
	s_ashr_i32 s25, s24, 31
	s_lshl_b64 s[24:25], s[24:25], 1
	v_lshrrev_b32_e32 v4, 2, v0
	s_add_u32 s16, s22, s24
	s_addc_u32 s19, s23, s25
	s_ashr_i32 s15, s14, 31
	s_lshl_b64 s[22:23], s[14:15], 1
	s_add_u32 s22, s16, s22
	s_addc_u32 s23, s19, s23
	global_load_ushort v3, v1, s[22:23]
	v_and_b32_e32 v4, 0xfe, v4
	v_mad_u32_u24 v4, v2, 24, v4
	s_waitcnt vmcnt(0)
	ds_write_b16 v4, v3
.LBB132_5:
	s_or_b64 exec, exec, s[2:3]
	s_mul_i32 s3, s12, s10
	s_sub_i32 s3, s11, s3
	s_xor_b32 s2, s13, s20
	s_add_i32 s11, s12, 1
	s_sub_i32 s13, s3, s10
	s_load_dwordx4 s[20:23], s[4:5], 0x78
	s_cmp_ge_u32 s3, s10
	s_cselect_b32 s11, s11, s12
	s_cselect_b32 s3, s13, s3
	s_load_dword s13, s[4:5], 0x88
	s_add_i32 s12, s11, 1
	s_cmp_ge_u32 s3, s10
	s_cselect_b32 s3, s12, s11
	s_waitcnt lgkmcnt(0)
	s_abs_i32 s33, s23
	v_cvt_f32_u32_e32 v3, s33
	s_xor_b32 s3, s3, s2
	s_sub_i32 s10, s3, s2
	s_sub_i32 s2, 0, s33
	v_rcp_iflag_f32_e32 v3, v3
	s_add_i32 s15, s31, -1
	s_abs_i32 s11, s15
	v_mul_f32_e32 v3, 0x4f7ffffe, v3
	v_cvt_u32_f32_e32 v3, v3
	s_barrier
	v_readfirstlane_b32 s48, v3
	s_mul_i32 s2, s2, s48
	s_mul_hi_u32 s2, s48, s2
	s_add_i32 s48, s48, s2
	s_cmp_lt_i32 s13, 0
	s_mul_hi_u32 s12, s11, s48
	s_cbranch_scc0 .LBB132_7
; %bb.6:
	s_mul_i32 s2, s20, s40
	s_add_i32 s2, s10, s2
	s_mul_i32 s2, s2, s13
	s_sub_i32 s49, 1, s2
	s_mov_b64 s[2:3], 0
	s_branch .LBB132_8
.LBB132_7:
	s_mov_b64 s[2:3], -1
                                        ; implicit-def: $sgpr49
.LBB132_8:
	s_load_dwordx2 s[34:35], s[4:5], 0x38
	s_ashr_i32 s16, s15, 31
	s_andn2_b64 vcc, exec, s[2:3]
	s_ashr_i32 s23, s23, 31
	s_cbranch_vccnz .LBB132_10
; %bb.9:
	s_mul_i32 s2, s9, s20
	s_add_i32 s2, s2, s6
	s_mul_i32 s2, s2, s13
	s_add_i32 s49, s2, 1
.LBB132_10:
	s_load_dword s2, s[4:5], 0x48
	s_load_dwordx2 s[38:39], s[4:5], 0x28
	s_load_dword s15, s[4:5], 0x98
	s_load_dwordx4 s[24:27], s[4:5], 0x0
	s_load_dwordx2 s[28:29], s[4:5], 0x10
	s_mul_i32 s3, s12, s33
	s_waitcnt lgkmcnt(0)
	s_mul_i32 s36, s30, s2
	s_sub_i32 s3, s11, s3
	s_ashr_i32 s37, s36, 31
	s_xor_b32 s2, s16, s23
	s_add_i32 s11, s12, 1
	s_sub_i32 s13, s3, s33
	s_cmp_ge_u32 s3, s33
	s_cselect_b32 s11, s11, s12
	s_cselect_b32 s3, s13, s3
	s_add_i32 s12, s11, 1
	s_cmp_ge_u32 s3, s33
	s_cselect_b32 s3, s12, s11
	s_xor_b32 s3, s3, s2
	s_sub_i32 s50, s3, s2
	s_add_i32 s2, s31, 7
	s_ashr_i32 s3, s2, 31
	s_lshr_b32 s3, s3, 29
	s_add_i32 s2, s2, s3
	s_lshl_b32 s40, s8, 6
	s_ashr_i32 s16, s2, 3
	s_add_i32 s2, s40, 64
	v_lshrrev_b32_e32 v4, 6, v0
	s_min_i32 s20, s2, s16
	v_or_b32_e32 v10, s40, v4
	v_cmp_gt_i32_e64 s[2:3], s20, v10
	v_mov_b32_e32 v13, 0xff7fffff
	s_mul_i32 s18, s10, s18
	v_ashrrev_i32_e32 v11, 31, v10
	v_lshl_add_u32 v16, v4, 3, s51
	v_mbcnt_lo_u32_b32 v5, -1, 0
	s_and_saveexec_b64 s[42:43], s[2:3]
	s_cbranch_execz .LBB132_20
; %bb.11:
	s_load_dwordx2 s[4:5], s[4:5], 0x20
	s_ashr_i32 s19, s18, 31
	s_sub_i32 s52, s50, s21
	s_lshl_b64 s[10:11], s[18:19], 1
	v_bfe_u32 v6, v0, 3, 3
	s_waitcnt lgkmcnt(0)
	s_add_u32 s4, s4, s10
	s_addc_u32 s5, s5, s11
	s_abs_i32 s19, s22
	v_cvt_f32_u32_e32 v8, s19
	v_lshlrev_b32_e32 v3, 4, v6
	v_mov_b32_e32 v7, s5
	v_add_co_u32_e64 v3, s[4:5], s4, v3
	v_rcp_iflag_f32_e32 v12, v8
	v_addc_co_u32_e64 v9, s[4:5], 0, v7, s[4:5]
	v_lshlrev_b32_e32 v7, 1, v2
	v_add_co_u32_e64 v7, s[4:5], v3, v7
	v_mul_f32_e32 v3, 0x4f7ffffe, v12
	v_cvt_u32_f32_e32 v3, v3
	s_sub_i32 s10, 0, s19
	v_cmp_eq_u32_e32 vcc, 0, v2
	v_addc_co_u32_e64 v8, s[4:5], 0, v9, s[4:5]
	v_mul_u32_u24_e32 v9, 24, v2
	v_mul_lo_u32 v2, s10, v3
	s_lshl_b64 s[10:11], s[36:37], 2
	v_mul_hi_u32 v2, v3, v2
	s_add_u32 s10, s34, s10
	v_add_u32_e32 v12, v3, v2
	v_lshlrev_b64 v[2:3], 2, v[10:11]
	s_addc_u32 s11, s35, s11
	v_mov_b32_e32 v13, s11
	v_add_co_u32_e64 v2, s[10:11], s10, v2
	v_addc_co_u32_e64 v3, s[10:11], v13, v3, s[10:11]
	v_lshlrev_b32_e32 v13, 2, v6
	v_lshl_or_b32 v13, v4, 5, v13
	v_add_u32_e32 v15, 0xd0, v13
	v_subrev_u32_e32 v13, s31, v6
	v_mbcnt_hi_u32_b32 v19, -1, v5
	v_add_u32_e32 v17, 1, v13
	v_and_b32_e32 v13, 64, v19
	s_mov_b32 s53, s17
	v_cmp_neq_f32_e64 s[4:5], s7, 0
	v_lshl_add_u32 v14, v4, 3, s51
	s_mov_b64 s[44:45], 0
	v_mov_b32_e32 v18, 0xff7fffff
	v_add_u32_e32 v20, 64, v13
	v_xor_b32_e32 v21, 4, v19
	v_xor_b32_e32 v22, 2, v19
	;; [unrolled: 1-line block ×3, first 2 shown]
	v_mov_b32_e32 v13, 0xff7fffff
	v_mov_b32_e32 v24, v10
	s_branch .LBB132_14
.LBB132_12:                             ;   in Loop: Header=BB132_14 Depth=1
	s_or_b64 exec, exec, s[46:47]
.LBB132_13:                             ;   in Loop: Header=BB132_14 Depth=1
	s_or_b64 exec, exec, s[12:13]
	v_add_co_u32_e64 v2, s[10:11], 8, v2
	v_add_u32_e32 v24, 2, v24
	v_addc_co_u32_e64 v3, s[10:11], 0, v3, s[10:11]
	v_cmp_le_i32_e64 s[10:11], s20, v24
	v_add_u32_e32 v14, 16, v14
	s_or_b64 s[44:45], s[10:11], s[44:45]
	v_add_u32_e32 v15, 64, v15
	s_andn2_b64 exec, exec, s[44:45]
	s_cbranch_execz .LBB132_19
.LBB132_14:                             ; =>This Inner Loop Header: Depth=1
	s_waitcnt lgkmcnt(0)
	v_sub_u32_e32 v26, 0, v14
	v_max_i32_e32 v26, v14, v26
	v_mul_hi_u32 v27, v26, s48
	v_mul_lo_u32 v28, v27, s33
	v_sub_u32_e32 v26, v26, v28
	v_add_u32_e32 v28, 1, v27
	v_cmp_le_u32_e64 s[10:11], s33, v26
	v_cndmask_b32_e64 v27, v27, v28, s[10:11]
	v_subrev_u32_e32 v28, s33, v26
	v_cndmask_b32_e64 v26, v26, v28, s[10:11]
	v_ashrrev_i32_e32 v25, 31, v14
	v_add_u32_e32 v28, 1, v27
	v_cmp_le_u32_e64 s[10:11], s33, v26
	v_xor_b32_e32 v25, s23, v25
	v_cndmask_b32_e64 v26, v27, v28, s[10:11]
	v_xor_b32_e32 v26, v26, v25
	v_sub_u32_e32 v25, v26, v25
	v_add_u32_e32 v26, s49, v25
	v_sub_u32_e32 v28, 0, v26
	v_ashrrev_i32_e32 v27, 31, v26
	v_max_i32_e32 v26, v26, v28
	v_mul_hi_u32 v28, v26, v12
	v_mul_lo_u32 v28, v28, s19
	v_sub_u32_e32 v26, v26, v28
	v_subrev_u32_e32 v28, s19, v26
	v_cmp_le_u32_e64 s[10:11], s19, v26
	v_cndmask_b32_e64 v26, v26, v28, s[10:11]
	v_subrev_u32_e32 v28, s19, v26
	v_cmp_le_u32_e64 s[10:11], s19, v26
	v_cndmask_b32_e64 v26, v26, v28, s[10:11]
	v_xor_b32_e32 v26, v26, v27
	v_sub_u32_e32 v26, v26, v27
	v_cmp_ne_u32_e64 s[10:11], 0, v26
	v_cmp_ge_i32_e64 s[12:13], s52, v25
	s_and_b64 s[10:11], s[10:11], s[12:13]
	s_and_b64 s[46:47], vcc, s[10:11]
	s_and_saveexec_b64 s[12:13], s[46:47]
	s_cbranch_execz .LBB132_16
; %bb.15:                               ;   in Loop: Header=BB132_14 Depth=1
	ds_write_b32 v15, v18
.LBB132_16:                             ;   in Loop: Header=BB132_14 Depth=1
	s_or_b64 exec, exec, s[12:13]
	s_xor_b64 s[10:11], s[10:11], -1
	s_and_saveexec_b64 s[12:13], s[10:11]
	s_cbranch_execz .LBB132_13
; %bb.17:                               ;   in Loop: Header=BB132_14 Depth=1
	global_load_dword v25, v[2:3], off
	s_waitcnt vmcnt(0)
	v_mad_i64_i32 v[26:27], s[10:11], v25, s53, 0
	v_lshlrev_b64 v[26:27], 1, v[26:27]
	v_add_co_u32_e64 v26, s[10:11], v7, v26
	v_addc_co_u32_e64 v27, s[10:11], v8, v27, s[10:11]
	global_load_ushort v25, v[26:27], off
	global_load_ushort v32, v[26:27], off offset:128
	global_load_ushort v33, v[26:27], off offset:256
	;; [unrolled: 1-line block ×11, first 2 shown]
	ds_read2_b64 v[26:29], v9 offset1:1
	ds_read_b64 v[30:31], v9 offset:16
	v_cmp_lt_i32_e64 s[10:11], v21, v20
	v_cndmask_b32_e64 v43, v19, v21, s[10:11]
	v_lshlrev_b32_e32 v43, 2, v43
	s_waitcnt lgkmcnt(1)
	v_lshlrev_b32_e32 v44, 16, v26
	v_and_b32_e32 v26, 0xffff0000, v26
	v_lshlrev_b32_e32 v45, 16, v27
	v_and_b32_e32 v27, 0xffff0000, v27
	;; [unrolled: 2-line block ×4, first 2 shown]
	s_waitcnt lgkmcnt(0)
	v_lshlrev_b32_e32 v48, 16, v30
	v_and_b32_e32 v30, 0xffff0000, v30
	v_lshlrev_b32_e32 v49, 16, v31
	v_and_b32_e32 v31, 0xffff0000, v31
	v_cmp_lt_i32_e64 s[10:11], v22, v20
	s_waitcnt vmcnt(11)
	v_lshlrev_b32_e32 v25, 16, v25
	s_waitcnt vmcnt(10)
	v_lshlrev_b32_e32 v32, 16, v32
	v_mul_f32_e32 v26, v26, v32
	s_waitcnt vmcnt(9)
	v_lshlrev_b32_e32 v33, 16, v33
	v_fmac_f32_e32 v26, v44, v25
	s_waitcnt vmcnt(8)
	v_lshlrev_b32_e32 v34, 16, v34
	v_fmac_f32_e32 v26, v45, v33
	;; [unrolled: 3-line block ×9, first 2 shown]
	v_fmac_f32_e32 v26, v49, v41
	s_waitcnt vmcnt(0)
	v_lshlrev_b32_e32 v25, 16, v42
	v_fmac_f32_e32 v26, v31, v25
	ds_bpermute_b32 v25, v43, v26
	v_cndmask_b32_e64 v27, v19, v22, s[10:11]
	v_lshlrev_b32_e32 v27, 2, v27
	v_cmp_lt_i32_e64 s[10:11], v23, v20
	s_waitcnt lgkmcnt(0)
	v_add_f32_e32 v25, v26, v25
	ds_bpermute_b32 v26, v27, v25
	v_cndmask_b32_e64 v27, v19, v23, s[10:11]
	v_lshlrev_b32_e32 v27, 2, v27
	s_waitcnt lgkmcnt(0)
	v_add_f32_e32 v25, v25, v26
	ds_bpermute_b32 v26, v27, v25
	s_and_saveexec_b64 s[46:47], vcc
	s_cbranch_execz .LBB132_12
; %bb.18:                               ;   in Loop: Header=BB132_14 Depth=1
	v_add_u32_e32 v27, v17, v14
	v_cvt_f32_i32_e32 v27, v27
	s_waitcnt lgkmcnt(0)
	v_add_f32_e32 v25, v25, v26
	v_add_u32_e32 v28, v6, v14
	v_cmp_gt_i32_e64 s[10:11], s31, v28
	v_mul_f32_e32 v26, s7, v27
	v_cndmask_b32_e64 v26, 0, v26, s[4:5]
	v_fmac_f32_e32 v26, s41, v25
	v_cndmask_b32_e64 v25, 0, v26, s[10:11]
	ds_write_b32 v15, v25
	v_max_f32_e32 v25, v13, v13
	v_max_f32_e32 v25, v25, v26
	v_cndmask_b32_e64 v13, v13, v25, s[10:11]
	s_branch .LBB132_12
.LBB132_19:
	s_or_b64 exec, exec, s[44:45]
.LBB132_20:
	s_or_b64 exec, exec, s[42:43]
	v_mbcnt_hi_u32_b32 v2, -1, v5
	v_and_b32_e32 v3, 64, v2
	v_add_u32_e32 v3, 64, v3
	v_xor_b32_e32 v5, 32, v2
	v_cmp_lt_i32_e32 vcc, v5, v3
	v_cndmask_b32_e32 v5, v2, v5, vcc
	v_lshlrev_b32_e32 v7, 2, v5
	ds_bpermute_b32 v5, v7, v13
	v_xor_b32_e32 v8, 16, v2
	v_max_f32_e32 v6, v13, v13
	v_cmp_lt_i32_e32 vcc, v8, v3
	v_and_b32_e32 v17, 63, v0
	s_waitcnt lgkmcnt(0)
	v_max_f32_e32 v5, v5, v5
	v_max_f32_e32 v5, v6, v5
	v_cndmask_b32_e32 v6, v2, v8, vcc
	v_lshlrev_b32_e32 v9, 2, v6
	ds_bpermute_b32 v6, v9, v5
	v_xor_b32_e32 v8, 8, v2
	v_cmp_lt_i32_e32 vcc, v8, v3
	s_waitcnt lgkmcnt(0)
	v_max_f32_e32 v6, v6, v6
	v_max_f32_e32 v5, v5, v6
	v_cndmask_b32_e32 v6, v2, v8, vcc
	v_lshlrev_b32_e32 v12, 2, v6
	ds_bpermute_b32 v8, v12, v5
	v_cmp_eq_u32_e32 vcc, 0, v17
	v_lshlrev_b32_e32 v6, 2, v4
	s_and_saveexec_b64 s[4:5], vcc
	s_cbranch_execz .LBB132_22
; %bb.21:
	s_waitcnt lgkmcnt(0)
	v_max_f32_e32 v8, v8, v8
	v_max_f32_e32 v5, v5, v5
	v_max_f32_e32 v5, v5, v8
	ds_write_b32 v6, v5 offset:192
.LBB132_22:
	s_or_b64 exec, exec, s[4:5]
	v_cmp_gt_u32_e64 s[4:5], 2, v17
	v_mov_b32_e32 v5, 0xff7fffff
	s_waitcnt lgkmcnt(0)
	v_lshlrev_b32_e32 v8, 2, v17
	s_barrier
	s_and_saveexec_b64 s[10:11], s[4:5]
	s_cbranch_execz .LBB132_24
; %bb.23:
	ds_read_b32 v5, v8 offset:192
.LBB132_24:
	s_or_b64 exec, exec, s[10:11]
	v_xor_b32_e32 v13, 1, v2
	v_cmp_lt_i32_e64 s[10:11], v13, v3
	v_cndmask_b32_e64 v13, v2, v13, s[10:11]
	v_lshlrev_b32_e32 v13, 2, v13
	s_waitcnt lgkmcnt(0)
	ds_bpermute_b32 v14, v13, v5
	v_max_f32_e32 v5, v5, v5
	s_sub_i32 s7, s20, s40
	s_lshl_b32 s7, s7, 3
	s_add_i32 s7, s7, s51
	s_waitcnt lgkmcnt(0)
	v_max_f32_e32 v14, v14, v14
	v_max_f32_e32 v5, v5, v14
	v_lshlrev_b32_e32 v14, 2, v2
	v_and_b32_e32 v14, 0x100, v14
	ds_bpermute_b32 v5, v14, v5
	s_min_i32 s19, s7, s31
	s_sub_i32 s7, s19, s51
	v_cmp_gt_i32_e64 s[10:11], s7, v0
	v_mov_b32_e32 v15, 0
	s_and_saveexec_b64 s[40:41], s[10:11]
	s_cbranch_execz .LBB132_28
; %bb.25:
	v_mov_b32_e32 v15, 0xd0
	v_lshl_add_u32 v18, v0, 2, v15
	s_mov_b64 s[42:43], 0
	v_mov_b32_e32 v15, 0
	v_mov_b32_e32 v19, v0
.LBB132_26:                             ; =>This Inner Loop Header: Depth=1
	ds_read_b32 v20, v18
	v_add_u32_e32 v19, 0x80, v19
	v_cmp_le_i32_e64 s[12:13], s7, v19
	s_or_b64 s[42:43], s[12:13], s[42:43]
	s_waitcnt lgkmcnt(0)
	v_sub_f32_e32 v20, v20, v5
	v_mul_f32_e32 v20, 0x3fb8aa3b, v20
	v_exp_f32_e32 v20, v20
	ds_write_b32 v18, v20
	v_add_f32_e32 v15, v15, v20
	v_add_u32_e32 v18, 0x200, v18
	s_andn2_b64 exec, exec, s[42:43]
	s_cbranch_execnz .LBB132_26
; %bb.27:
	s_or_b64 exec, exec, s[42:43]
.LBB132_28:
	s_or_b64 exec, exec, s[40:41]
	ds_bpermute_b32 v7, v7, v15
	s_waitcnt lgkmcnt(0)
	v_add_f32_e32 v7, v15, v7
	ds_bpermute_b32 v9, v9, v7
	s_waitcnt lgkmcnt(0)
	v_add_f32_e32 v7, v7, v9
	ds_bpermute_b32 v9, v12, v7
	v_xor_b32_e32 v12, 4, v2
	v_cmp_lt_i32_e64 s[12:13], v12, v3
	v_cndmask_b32_e64 v12, v2, v12, s[12:13]
	v_lshlrev_b32_e32 v12, 2, v12
	s_waitcnt lgkmcnt(0)
	v_add_f32_e32 v7, v7, v9
	ds_bpermute_b32 v9, v12, v7
	v_xor_b32_e32 v12, 2, v2
	v_cmp_lt_i32_e64 s[12:13], v12, v3
	v_cndmask_b32_e64 v2, v2, v12, s[12:13]
	v_lshlrev_b32_e32 v2, 2, v2
	s_waitcnt lgkmcnt(0)
	v_add_f32_e32 v3, v7, v9
	ds_bpermute_b32 v2, v2, v3
	s_waitcnt lgkmcnt(0)
	v_add_f32_e32 v2, v3, v2
	ds_bpermute_b32 v3, v13, v2
	s_waitcnt lgkmcnt(0)
	v_add_f32_e32 v2, v2, v3
	s_and_saveexec_b64 s[12:13], vcc
	s_cbranch_execz .LBB132_30
; %bb.29:
	ds_write_b32 v6, v2 offset:200
.LBB132_30:
	s_or_b64 exec, exec, s[12:13]
	s_waitcnt lgkmcnt(0)
	s_barrier
	s_and_saveexec_b64 s[12:13], s[4:5]
	s_cbranch_execz .LBB132_32
; %bb.31:
	ds_read_b32 v2, v8 offset:200
.LBB132_32:
	s_or_b64 exec, exec, s[12:13]
	s_waitcnt lgkmcnt(0)
	ds_bpermute_b32 v3, v13, v2
	s_waitcnt lgkmcnt(0)
	v_add_f32_e32 v2, v2, v3
	ds_bpermute_b32 v6, v14, v2
	s_and_saveexec_b64 s[4:5], s[10:11]
	s_cbranch_execz .LBB132_45
; %bb.33:
	s_waitcnt lgkmcnt(0)
	v_add_f32_e32 v2, 0x358637bd, v6
	v_div_scale_f32 v3, s[10:11], v2, v2, 1.0
	v_rcp_f32_e32 v7, v3
	v_div_scale_f32 v8, vcc, 1.0, v2, 1.0
	s_movk_i32 s10, 0x7f
	v_fma_f32 v9, -v3, v7, 1.0
	v_fmac_f32_e32 v7, v9, v7
	v_mul_f32_e32 v9, v8, v7
	v_fma_f32 v12, -v3, v9, v8
	v_fmac_f32_e32 v9, v12, v7
	v_fma_f32 v3, -v3, v9, v8
	v_div_fmas_f32 v3, v3, v7, v9
	v_div_fixup_f32 v2, v3, v2, 1.0
	v_xad_u32 v3, v0, -1, s19
	v_subrev_u32_e32 v7, s51, v3
	v_cmp_lt_u32_e32 vcc, s10, v7
	s_mov_b64 s[12:13], -1
	v_mov_b32_e32 v3, v0
	s_and_saveexec_b64 s[10:11], vcc
	s_cbranch_execz .LBB132_42
; %bb.34:
	v_lshrrev_b32_e32 v7, 7, v7
	v_add_u32_e32 v9, -1, v7
	v_lshrrev_b32_e32 v8, 1, v9
	v_mov_b32_e32 v3, v2
	v_add_u32_e32 v8, 1, v8
	v_cmp_lt_u32_e32 vcc, 13, v9
	v_mov_b32_e32 v13, 0
	s_and_saveexec_b64 s[12:13], vcc
	s_cbranch_execz .LBB132_38
; %bb.35:
	v_mov_b32_e32 v12, 0xd0
	v_and_b32_e32 v9, -8, v8
	v_lshl_add_u32 v12, v0, 2, v12
	s_mov_b32 s19, 0
	s_mov_b64 s[40:41], 0
.LBB132_36:                             ; =>This Inner Loop Header: Depth=1
	ds_read2st64_b32 v[14:15], v12 offset1:2
	ds_read2st64_b32 v[18:19], v12 offset0:4 offset1:6
	ds_read2st64_b32 v[20:21], v12 offset0:8 offset1:10
	ds_read2st64_b32 v[22:23], v12 offset0:12 offset1:14
	v_add_u32_e32 v9, -8, v9
	s_waitcnt lgkmcnt(3)
	v_pk_mul_f32 v[14:15], v[2:3], v[14:15]
	s_waitcnt lgkmcnt(2)
	v_pk_mul_f32 v[18:19], v[2:3], v[18:19]
	ds_write2st64_b32 v12, v14, v15 offset1:2
	ds_write2st64_b32 v12, v18, v19 offset0:4 offset1:6
	ds_read2st64_b32 v[18:19], v12 offset0:16 offset1:18
	s_waitcnt lgkmcnt(4)
	v_pk_mul_f32 v[14:15], v[2:3], v[20:21]
	ds_write2st64_b32 v12, v14, v15 offset0:8 offset1:10
	s_waitcnt lgkmcnt(4)
	v_pk_mul_f32 v[14:15], v[2:3], v[22:23]
	ds_write2st64_b32 v12, v14, v15 offset0:12 offset1:14
	ds_read2st64_b32 v[14:15], v12 offset0:20 offset1:22
	s_waitcnt lgkmcnt(3)
	v_pk_mul_f32 v[18:19], v[2:3], v[18:19]
	ds_read2st64_b32 v[20:21], v12 offset0:24 offset1:26
	ds_write2st64_b32 v12, v18, v19 offset0:16 offset1:18
	ds_read2st64_b32 v[18:19], v12 offset0:28 offset1:30
	s_waitcnt lgkmcnt(3)
	v_pk_mul_f32 v[14:15], v[2:3], v[14:15]
	ds_write2st64_b32 v12, v14, v15 offset0:20 offset1:22
	s_waitcnt lgkmcnt(3)
	v_pk_mul_f32 v[14:15], v[2:3], v[20:21]
	ds_write2st64_b32 v12, v14, v15 offset0:24 offset1:26
	s_waitcnt lgkmcnt(2)
	v_pk_mul_f32 v[14:15], v[2:3], v[18:19]
	s_add_i32 s19, s19, 16
	v_cmp_eq_u32_e32 vcc, 0, v9
	ds_write2st64_b32 v12, v14, v15 offset0:28 offset1:30
	v_add_u32_e32 v12, 0x2000, v12
	s_or_b64 s[40:41], vcc, s[40:41]
	v_mov_b32_e32 v13, s19
	s_andn2_b64 exec, exec, s[40:41]
	s_cbranch_execnz .LBB132_36
; %bb.37:
	s_or_b64 exec, exec, s[40:41]
.LBB132_38:
	s_or_b64 exec, exec, s[12:13]
	v_and_b32_e32 v8, 7, v8
	v_cmp_ne_u32_e32 vcc, 0, v8
	s_and_saveexec_b64 s[12:13], vcc
	s_cbranch_execz .LBB132_41
; %bb.39:
	v_lshlrev_b32_e32 v9, 9, v13
	v_lshlrev_b32_e32 v12, 2, v0
	s_movk_i32 s19, 0xd0
	v_add3_u32 v9, v9, v12, s19
	s_mov_b64 s[40:41], 0
.LBB132_40:                             ; =>This Inner Loop Header: Depth=1
	ds_read2st64_b32 v[12:13], v9 offset1:2
	v_add_u32_e32 v8, -1, v8
	v_cmp_eq_u32_e32 vcc, 0, v8
	s_or_b64 s[40:41], vcc, s[40:41]
	s_waitcnt lgkmcnt(0)
	v_pk_mul_f32 v[12:13], v[2:3], v[12:13]
	ds_write2st64_b32 v9, v12, v13 offset1:2
	v_add_u32_e32 v9, 0x400, v9
	s_andn2_b64 exec, exec, s[40:41]
	s_cbranch_execnz .LBB132_40
.LBB132_41:
	s_or_b64 exec, exec, s[12:13]
	v_add_u32_e32 v7, 1, v7
	v_and_b32_e32 v8, 0x3fffffe, v7
	v_cmp_ne_u32_e32 vcc, v7, v8
	v_lshl_add_u32 v3, v8, 7, v0
	s_orn2_b64 s[12:13], vcc, exec
.LBB132_42:
	s_or_b64 exec, exec, s[10:11]
	s_and_b64 exec, exec, s[12:13]
	s_cbranch_execz .LBB132_45
; %bb.43:
	v_mov_b32_e32 v7, 0xd0
	v_lshl_add_u32 v7, v3, 2, v7
	s_mov_b64 s[10:11], 0
.LBB132_44:                             ; =>This Inner Loop Header: Depth=1
	ds_read_b32 v8, v7
	v_add_u32_e32 v3, 0x80, v3
	v_cmp_le_i32_e32 vcc, s7, v3
	s_or_b64 s[10:11], vcc, s[10:11]
	s_waitcnt lgkmcnt(0)
	v_mul_f32_e32 v8, v2, v8
	ds_write_b32 v7, v8
	v_add_u32_e32 v7, 0x200, v7
	s_andn2_b64 exec, exec, s[10:11]
	s_cbranch_execnz .LBB132_44
.LBB132_45:
	s_or_b64 exec, exec, s[4:5]
	s_mul_i32 s4, s15, s30
	v_cmp_eq_u32_e32 vcc, 0, v0
	s_mul_i32 s10, s4, s9
	s_waitcnt lgkmcnt(0)
	s_barrier
	s_and_saveexec_b64 s[4:5], vcc
	s_cbranch_execz .LBB132_47
; %bb.46:
	s_ashr_i32 s11, s10, 31
	s_lshl_b64 s[12:13], s[10:11], 2
	s_add_u32 s9, s26, s12
	s_mul_i32 s6, s15, s6
	s_addc_u32 s11, s27, s13
	s_ashr_i32 s7, s6, 31
	s_lshl_b64 s[6:7], s[6:7], 2
	s_add_u32 s19, s9, s6
	s_addc_u32 s11, s11, s7
	s_ashr_i32 s9, s8, 31
	s_lshl_b64 s[26:27], s[8:9], 2
	s_add_u32 s40, s19, s26
	s_addc_u32 s41, s11, s27
	s_add_u32 s9, s24, s12
	s_addc_u32 s11, s25, s13
	;; [unrolled: 2-line block ×3, first 2 shown]
	s_add_u32 s6, s6, s26
	v_mov_b32_e32 v2, 0
	s_addc_u32 s7, s7, s27
	global_store_dword v2, v5, s[40:41]
	global_store_dword v2, v6, s[6:7]
.LBB132_47:
	s_or_b64 exec, exec, s[4:5]
	v_mov_b32_e32 v13, 0
	v_mov_b32_e32 v12, v13
	s_and_saveexec_b64 s[6:7], s[2:3]
	s_cbranch_execz .LBB132_155
; %bb.48:
	s_ashr_i32 s19, s18, 31
	s_sub_i32 s9, s50, s21
	s_lshl_b64 s[2:3], s[18:19], 1
	s_add_u32 s11, s38, s2
	s_addc_u32 s21, s39, s3
	s_abs_i32 s22, s22
	v_cvt_f32_u32_e32 v3, s22
	v_or_b32_e32 v5, 64, v17
	s_movk_i32 s2, 0x60
	v_cmp_gt_u32_e32 vcc, s2, v5
	v_rcp_iflag_f32_e32 v3, v3
	s_sub_i32 s2, 0, s22
	s_add_i32 s25, s16, -1
	v_lshlrev_b32_e32 v6, 3, v5
	v_mul_f32_e32 v3, 0x4f7ffffe, v3
	v_cvt_u32_f32_e32 v3, v3
	v_lshlrev_b64 v[8:9], 2, v[10:11]
	v_lshlrev_b32_e32 v2, 3, v17
	v_mov_b32_e32 v18, 0
	v_mul_lo_u32 v5, s2, v3
	s_lshl_b64 s[2:3], s[36:37], 2
	s_add_u32 s2, s34, s2
	v_mul_hi_u32 v5, v3, v5
	s_addc_u32 s3, s35, s3
	v_add_u32_e32 v19, v3, v5
	v_mov_b32_e32 v3, s3
	v_add_co_u32_e64 v14, s[2:3], s2, v8
	v_addc_co_u32_e64 v15, s[2:3], v3, v9, s[2:3]
	v_mov_b32_e32 v3, 0xd0
	s_mov_b32 s24, s17
	v_lshl_add_u32 v11, v4, 5, v3
	s_mov_b64 s[12:13], 0
	s_mov_b32 s26, 0x7f800000
	s_movk_i32 s27, 0x7fff
	v_lshlrev_b32_e32 v20, 1, v2
	v_lshlrev_b32_e32 v21, 1, v6
	v_mov_b32_e32 v12, 0
	v_mov_b32_e32 v13, v18
	s_branch .LBB132_52
.LBB132_49:                             ;   in Loop: Header=BB132_52 Depth=1
	s_or_b64 exec, exec, s[4:5]
	v_and_b32_e32 v24, 0xffff0000, v9
	v_and_b32_e32 v9, 0xffff0000, v22
	;; [unrolled: 1-line block ×5, first 2 shown]
	v_pk_add_f32 v[2:3], v[2:3], v[8:9]
	v_and_b32_e32 v25, 0xffff0000, v23
	v_and_b32_e32 v5, 0xffff0000, v5
	;; [unrolled: 1-line block ×3, first 2 shown]
	v_mov_b32_e32 v8, v3
	v_pk_add_f32 v[2:3], v[2:3], v[8:9]
	v_pk_add_f32 v[4:5], v[4:5], v[24:25]
	;; [unrolled: 1-line block ×3, first 2 shown]
	v_mov_b32_e32 v4, v5
	v_pk_add_f32 v[2:3], v[2:3], v[4:5]
	v_mov_b32_e32 v3, v2
	v_pk_add_f32 v[12:13], v[12:13], v[2:3]
.LBB132_50:                             ;   in Loop: Header=BB132_52 Depth=1
	s_or_b64 exec, exec, s[18:19]
	v_mov_b32_e32 v12, v6
.LBB132_51:                             ;   in Loop: Header=BB132_52 Depth=1
	s_or_b64 exec, exec, s[16:17]
	v_add_co_u32_e64 v14, s[2:3], 8, v14
	v_add_u32_e32 v10, 2, v10
	v_addc_co_u32_e64 v15, s[2:3], 0, v15, s[2:3]
	v_cmp_le_i32_e64 s[2:3], s20, v10
	v_add_u32_e32 v16, 16, v16
	s_or_b64 s[12:13], s[2:3], s[12:13]
	v_add_u32_e32 v11, 64, v11
	s_andn2_b64 exec, exec, s[12:13]
	s_cbranch_execz .LBB132_154
.LBB132_52:                             ; =>This Inner Loop Header: Depth=1
	v_sub_u32_e32 v3, 0, v16
	v_max_i32_e32 v3, v16, v3
	v_mul_hi_u32 v4, v3, s48
	v_mul_lo_u32 v5, v4, s33
	v_sub_u32_e32 v3, v3, v5
	v_add_u32_e32 v5, 1, v4
	v_cmp_le_u32_e64 s[2:3], s33, v3
	v_cndmask_b32_e64 v4, v4, v5, s[2:3]
	v_subrev_u32_e32 v5, s33, v3
	v_cndmask_b32_e64 v3, v3, v5, s[2:3]
	v_ashrrev_i32_e32 v2, 31, v16
	v_add_u32_e32 v5, 1, v4
	v_cmp_le_u32_e64 s[2:3], s33, v3
	v_xor_b32_e32 v2, s23, v2
	v_cndmask_b32_e64 v3, v4, v5, s[2:3]
	v_xor_b32_e32 v3, v3, v2
	v_sub_u32_e32 v2, v3, v2
	v_add_u32_e32 v3, s49, v2
	v_sub_u32_e32 v5, 0, v3
	v_ashrrev_i32_e32 v4, 31, v3
	v_max_i32_e32 v3, v3, v5
	v_mul_hi_u32 v5, v3, v19
	v_mul_lo_u32 v5, v5, s22
	v_sub_u32_e32 v3, v3, v5
	v_subrev_u32_e32 v5, s22, v3
	v_cmp_le_u32_e64 s[2:3], s22, v3
	v_cndmask_b32_e64 v3, v3, v5, s[2:3]
	v_subrev_u32_e32 v5, s22, v3
	v_cmp_le_u32_e64 s[2:3], s22, v3
	v_cndmask_b32_e64 v3, v3, v5, s[2:3]
	v_xor_b32_e32 v3, v3, v4
	v_sub_u32_e32 v3, v3, v4
	v_cmp_eq_u32_e64 s[2:3], 0, v3
	v_cmp_lt_i32_e64 s[4:5], s9, v2
	s_or_b64 s[2:3], s[2:3], s[4:5]
	s_and_saveexec_b64 s[16:17], s[2:3]
	s_cbranch_execz .LBB132_51
; %bb.53:                               ;   in Loop: Header=BB132_52 Depth=1
	global_load_dword v28, v[14:15], off
	ds_read2_b64 v[6:9], v11 offset1:1
	ds_read2_b64 v[2:5], v11 offset0:2 offset1:3
	s_waitcnt lgkmcnt(1)
	v_and_b32_e32 v22, 0x7f800000, v6
	v_cmp_ne_u32_e64 s[2:3], s26, v22
                                        ; implicit-def: $vgpr22
	s_and_saveexec_b64 s[4:5], s[2:3]
	s_xor_b64 s[2:3], exec, s[4:5]
; %bb.54:                               ;   in Loop: Header=BB132_52 Depth=1
	v_bfe_u32 v22, v6, 16, 1
	v_add3_u32 v22, v6, v22, s27
; %bb.55:                               ;   in Loop: Header=BB132_52 Depth=1
	s_andn2_saveexec_b64 s[4:5], s[2:3]
; %bb.56:                               ;   in Loop: Header=BB132_52 Depth=1
	v_or_b32_e32 v22, 0x10000, v6
	v_cmp_eq_u32_sdwa s[2:3], v6, v18 src0_sel:WORD_0 src1_sel:DWORD
	v_cndmask_b32_e64 v22, v22, v6, s[2:3]
; %bb.57:                               ;   in Loop: Header=BB132_52 Depth=1
	s_or_b64 exec, exec, s[4:5]
	v_and_b32_e32 v6, 0x7f800000, v7
	v_cmp_ne_u32_e64 s[2:3], s26, v6
                                        ; implicit-def: $vgpr23
	s_and_saveexec_b64 s[4:5], s[2:3]
	s_xor_b64 s[2:3], exec, s[4:5]
; %bb.58:                               ;   in Loop: Header=BB132_52 Depth=1
	v_bfe_u32 v6, v7, 16, 1
	v_add3_u32 v23, v7, v6, s27
; %bb.59:                               ;   in Loop: Header=BB132_52 Depth=1
	s_andn2_saveexec_b64 s[4:5], s[2:3]
; %bb.60:                               ;   in Loop: Header=BB132_52 Depth=1
	v_or_b32_e32 v6, 0x10000, v7
	v_cmp_eq_u32_sdwa s[2:3], v7, v18 src0_sel:WORD_0 src1_sel:DWORD
	v_cndmask_b32_e64 v23, v6, v7, s[2:3]
; %bb.61:                               ;   in Loop: Header=BB132_52 Depth=1
	s_or_b64 exec, exec, s[4:5]
	v_and_b32_e32 v6, 0x7f800000, v8
	v_cmp_ne_u32_e64 s[2:3], s26, v6
                                        ; implicit-def: $vgpr24
	s_and_saveexec_b64 s[4:5], s[2:3]
	s_xor_b64 s[2:3], exec, s[4:5]
; %bb.62:                               ;   in Loop: Header=BB132_52 Depth=1
	v_bfe_u32 v6, v8, 16, 1
	v_add3_u32 v24, v8, v6, s27
; %bb.63:                               ;   in Loop: Header=BB132_52 Depth=1
	s_andn2_saveexec_b64 s[4:5], s[2:3]
; %bb.64:                               ;   in Loop: Header=BB132_52 Depth=1
	v_or_b32_e32 v6, 0x10000, v8
	v_cmp_eq_u32_sdwa s[2:3], v8, v18 src0_sel:WORD_0 src1_sel:DWORD
	v_cndmask_b32_e64 v24, v6, v8, s[2:3]
; %bb.65:                               ;   in Loop: Header=BB132_52 Depth=1
	s_or_b64 exec, exec, s[4:5]
	v_and_b32_e32 v6, 0x7f800000, v9
	v_cmp_ne_u32_e64 s[2:3], s26, v6
                                        ; implicit-def: $vgpr25
	s_and_saveexec_b64 s[4:5], s[2:3]
	s_xor_b64 s[2:3], exec, s[4:5]
; %bb.66:                               ;   in Loop: Header=BB132_52 Depth=1
	v_bfe_u32 v6, v9, 16, 1
	v_add3_u32 v25, v9, v6, s27
                                        ; implicit-def: $vgpr6_vgpr7_vgpr8_vgpr9
; %bb.67:                               ;   in Loop: Header=BB132_52 Depth=1
	s_andn2_saveexec_b64 s[4:5], s[2:3]
; %bb.68:                               ;   in Loop: Header=BB132_52 Depth=1
	v_or_b32_e32 v6, 0x10000, v9
	v_cmp_eq_u32_sdwa s[2:3], v9, v18 src0_sel:WORD_0 src1_sel:DWORD
	v_cndmask_b32_e64 v25, v6, v9, s[2:3]
; %bb.69:                               ;   in Loop: Header=BB132_52 Depth=1
	s_or_b64 exec, exec, s[4:5]
	s_waitcnt lgkmcnt(0)
	v_and_b32_e32 v6, 0x7f800000, v2
	v_cmp_ne_u32_e64 s[2:3], s26, v6
                                        ; implicit-def: $vgpr26
	s_and_saveexec_b64 s[4:5], s[2:3]
	s_xor_b64 s[2:3], exec, s[4:5]
; %bb.70:                               ;   in Loop: Header=BB132_52 Depth=1
	v_bfe_u32 v6, v2, 16, 1
	v_add3_u32 v26, v2, v6, s27
; %bb.71:                               ;   in Loop: Header=BB132_52 Depth=1
	s_andn2_saveexec_b64 s[4:5], s[2:3]
; %bb.72:                               ;   in Loop: Header=BB132_52 Depth=1
	v_or_b32_e32 v6, 0x10000, v2
	v_cmp_eq_u32_sdwa s[2:3], v2, v18 src0_sel:WORD_0 src1_sel:DWORD
	v_cndmask_b32_e64 v26, v6, v2, s[2:3]
; %bb.73:                               ;   in Loop: Header=BB132_52 Depth=1
	s_or_b64 exec, exec, s[4:5]
	v_and_b32_e32 v2, 0x7f800000, v3
	v_cmp_ne_u32_e64 s[2:3], s26, v2
                                        ; implicit-def: $vgpr27
	s_and_saveexec_b64 s[4:5], s[2:3]
	s_xor_b64 s[2:3], exec, s[4:5]
; %bb.74:                               ;   in Loop: Header=BB132_52 Depth=1
	v_bfe_u32 v2, v3, 16, 1
	v_add3_u32 v27, v3, v2, s27
; %bb.75:                               ;   in Loop: Header=BB132_52 Depth=1
	s_andn2_saveexec_b64 s[4:5], s[2:3]
; %bb.76:                               ;   in Loop: Header=BB132_52 Depth=1
	v_or_b32_e32 v2, 0x10000, v3
	v_cmp_eq_u32_sdwa s[2:3], v3, v18 src0_sel:WORD_0 src1_sel:DWORD
	v_cndmask_b32_e64 v27, v2, v3, s[2:3]
; %bb.77:                               ;   in Loop: Header=BB132_52 Depth=1
	s_or_b64 exec, exec, s[4:5]
	v_and_b32_e32 v2, 0x7f800000, v4
	v_cmp_ne_u32_e64 s[2:3], s26, v2
                                        ; implicit-def: $vgpr7
	s_and_saveexec_b64 s[4:5], s[2:3]
	s_xor_b64 s[2:3], exec, s[4:5]
; %bb.78:                               ;   in Loop: Header=BB132_52 Depth=1
	v_bfe_u32 v2, v4, 16, 1
	v_add3_u32 v7, v4, v2, s27
; %bb.79:                               ;   in Loop: Header=BB132_52 Depth=1
	s_andn2_saveexec_b64 s[4:5], s[2:3]
; %bb.80:                               ;   in Loop: Header=BB132_52 Depth=1
	v_or_b32_e32 v2, 0x10000, v4
	v_cmp_eq_u32_sdwa s[2:3], v4, v18 src0_sel:WORD_0 src1_sel:DWORD
	v_cndmask_b32_e64 v7, v2, v4, s[2:3]
; %bb.81:                               ;   in Loop: Header=BB132_52 Depth=1
	s_or_b64 exec, exec, s[4:5]
	v_and_b32_e32 v2, 0x7f800000, v5
	v_cmp_ne_u32_e64 s[2:3], s26, v2
                                        ; implicit-def: $vgpr6
	s_and_saveexec_b64 s[4:5], s[2:3]
	s_xor_b64 s[2:3], exec, s[4:5]
; %bb.82:                               ;   in Loop: Header=BB132_52 Depth=1
	v_bfe_u32 v2, v5, 16, 1
	v_add3_u32 v6, v5, v2, s27
                                        ; implicit-def: $vgpr2_vgpr3_vgpr4_vgpr5
; %bb.83:                               ;   in Loop: Header=BB132_52 Depth=1
	s_andn2_saveexec_b64 s[4:5], s[2:3]
; %bb.84:                               ;   in Loop: Header=BB132_52 Depth=1
	v_or_b32_e32 v2, 0x10000, v5
	v_cmp_eq_u32_sdwa s[2:3], v5, v18 src0_sel:WORD_0 src1_sel:DWORD
	v_cndmask_b32_e64 v6, v2, v5, s[2:3]
; %bb.85:                               ;   in Loop: Header=BB132_52 Depth=1
	s_or_b64 exec, exec, s[4:5]
	s_waitcnt vmcnt(0)
	v_mad_i64_i32 v[2:3], s[2:3], v28, s24, 0
	v_lshlrev_b64 v[2:3], 1, v[2:3]
	v_mov_b32_e32 v4, s21
	v_add_co_u32_e64 v8, s[2:3], s11, v2
	v_addc_co_u32_e64 v9, s[2:3], v4, v3, s[2:3]
	v_add_co_u32_e64 v2, s[2:3], v8, v20
	v_addc_co_u32_e64 v3, s[2:3], 0, v9, s[2:3]
	global_load_dwordx4 v[2:5], v[2:3], off
	v_cmp_eq_u32_e64 s[2:3], s25, v10
	s_waitcnt vmcnt(0)
	v_lshrrev_b32_e32 v31, 16, v2
	v_lshrrev_b32_e32 v29, 16, v3
	;; [unrolled: 1-line block ×4, first 2 shown]
	s_and_saveexec_b64 s[18:19], s[2:3]
	s_cbranch_execz .LBB132_87
; %bb.86:                               ;   in Loop: Header=BB132_52 Depth=1
	v_cmp_gt_i32_e64 s[4:5], s31, v16
	v_add_u32_e32 v32, 1, v16
	v_cndmask_b32_e64 v2, 0, v2, s[4:5]
	v_cmp_gt_i32_e64 s[4:5], s31, v32
	v_add_u32_e32 v32, 2, v16
	v_cndmask_b32_e64 v31, 0, v31, s[4:5]
	;; [unrolled: 3-line block ×7, first 2 shown]
	v_cmp_gt_i32_e64 s[4:5], s31, v32
	v_cndmask_b32_e64 v30, 0, v30, s[4:5]
.LBB132_87:                             ;   in Loop: Header=BB132_52 Depth=1
	s_or_b64 exec, exec, s[18:19]
	v_and_b32_e32 v22, 0xffff0000, v22
	v_lshlrev_b32_e32 v2, 16, v2
	v_mul_f32_e32 v32, v22, v2
	v_and_b32_e32 v2, 0x7f800000, v32
	v_cmp_ne_u32_e64 s[4:5], s26, v2
                                        ; implicit-def: $vgpr2
	s_and_saveexec_b64 s[18:19], s[4:5]
	s_xor_b64 s[4:5], exec, s[18:19]
; %bb.88:                               ;   in Loop: Header=BB132_52 Depth=1
	v_bfe_u32 v2, v32, 16, 1
	v_add3_u32 v2, v32, v2, s27
                                        ; implicit-def: $vgpr32
; %bb.89:                               ;   in Loop: Header=BB132_52 Depth=1
	s_andn2_saveexec_b64 s[18:19], s[4:5]
; %bb.90:                               ;   in Loop: Header=BB132_52 Depth=1
	v_or_b32_e32 v2, 0x10000, v32
	v_cmp_eq_u32_sdwa s[4:5], v32, v18 src0_sel:WORD_0 src1_sel:DWORD
	v_cndmask_b32_e64 v2, v2, v32, s[4:5]
; %bb.91:                               ;   in Loop: Header=BB132_52 Depth=1
	s_or_b64 exec, exec, s[18:19]
	v_and_b32_e32 v23, 0xffff0000, v23
	v_lshlrev_b32_e32 v31, 16, v31
	v_mul_f32_e32 v32, v23, v31
	v_and_b32_e32 v31, 0x7f800000, v32
	v_cmp_ne_u32_e64 s[4:5], s26, v31
                                        ; implicit-def: $vgpr31
	s_and_saveexec_b64 s[18:19], s[4:5]
	s_xor_b64 s[4:5], exec, s[18:19]
; %bb.92:                               ;   in Loop: Header=BB132_52 Depth=1
	v_bfe_u32 v31, v32, 16, 1
	v_add3_u32 v31, v32, v31, s27
                                        ; implicit-def: $vgpr32
; %bb.93:                               ;   in Loop: Header=BB132_52 Depth=1
	s_andn2_saveexec_b64 s[18:19], s[4:5]
; %bb.94:                               ;   in Loop: Header=BB132_52 Depth=1
	v_or_b32_e32 v31, 0x10000, v32
	v_cmp_eq_u32_sdwa s[4:5], v32, v18 src0_sel:WORD_0 src1_sel:DWORD
	v_cndmask_b32_e64 v31, v31, v32, s[4:5]
; %bb.95:                               ;   in Loop: Header=BB132_52 Depth=1
	s_or_b64 exec, exec, s[18:19]
	v_and_b32_e32 v24, 0xffff0000, v24
	v_lshlrev_b32_e32 v3, 16, v3
	v_mul_f32_e32 v32, v24, v3
	v_and_b32_e32 v3, 0x7f800000, v32
	v_cmp_ne_u32_e64 s[4:5], s26, v3
                                        ; implicit-def: $vgpr3
	s_and_saveexec_b64 s[18:19], s[4:5]
	s_xor_b64 s[4:5], exec, s[18:19]
; %bb.96:                               ;   in Loop: Header=BB132_52 Depth=1
	v_bfe_u32 v3, v32, 16, 1
	v_add3_u32 v3, v32, v3, s27
                                        ; implicit-def: $vgpr32
; %bb.97:                               ;   in Loop: Header=BB132_52 Depth=1
	s_andn2_saveexec_b64 s[18:19], s[4:5]
; %bb.98:                               ;   in Loop: Header=BB132_52 Depth=1
	v_or_b32_e32 v3, 0x10000, v32
	v_cmp_eq_u32_sdwa s[4:5], v32, v18 src0_sel:WORD_0 src1_sel:DWORD
	v_cndmask_b32_e64 v3, v3, v32, s[4:5]
; %bb.99:                               ;   in Loop: Header=BB132_52 Depth=1
	s_or_b64 exec, exec, s[18:19]
	v_and_b32_e32 v25, 0xffff0000, v25
	v_lshlrev_b32_e32 v29, 16, v29
	v_mul_f32_e32 v29, v25, v29
	v_and_b32_e32 v32, 0x7f800000, v29
	v_cmp_ne_u32_e64 s[4:5], s26, v32
                                        ; implicit-def: $vgpr32
	s_and_saveexec_b64 s[18:19], s[4:5]
	s_xor_b64 s[4:5], exec, s[18:19]
; %bb.100:                              ;   in Loop: Header=BB132_52 Depth=1
	v_bfe_u32 v32, v29, 16, 1
	v_add3_u32 v32, v29, v32, s27
                                        ; implicit-def: $vgpr29
; %bb.101:                              ;   in Loop: Header=BB132_52 Depth=1
	s_andn2_saveexec_b64 s[18:19], s[4:5]
; %bb.102:                              ;   in Loop: Header=BB132_52 Depth=1
	v_or_b32_e32 v32, 0x10000, v29
	v_cmp_eq_u32_sdwa s[4:5], v29, v18 src0_sel:WORD_0 src1_sel:DWORD
	v_cndmask_b32_e64 v32, v32, v29, s[4:5]
; %bb.103:                              ;   in Loop: Header=BB132_52 Depth=1
	s_or_b64 exec, exec, s[18:19]
	v_and_b32_e32 v26, 0xffff0000, v26
	v_lshlrev_b32_e32 v4, 16, v4
	v_mul_f32_e32 v29, v26, v4
	v_and_b32_e32 v4, 0x7f800000, v29
	v_cmp_ne_u32_e64 s[4:5], s26, v4
                                        ; implicit-def: $vgpr4
	s_and_saveexec_b64 s[18:19], s[4:5]
	s_xor_b64 s[4:5], exec, s[18:19]
; %bb.104:                              ;   in Loop: Header=BB132_52 Depth=1
	v_bfe_u32 v4, v29, 16, 1
	v_add3_u32 v4, v29, v4, s27
                                        ; implicit-def: $vgpr29
; %bb.105:                              ;   in Loop: Header=BB132_52 Depth=1
	s_andn2_saveexec_b64 s[18:19], s[4:5]
; %bb.106:                              ;   in Loop: Header=BB132_52 Depth=1
	v_or_b32_e32 v4, 0x10000, v29
	v_cmp_eq_u32_sdwa s[4:5], v29, v18 src0_sel:WORD_0 src1_sel:DWORD
	v_cndmask_b32_e64 v4, v4, v29, s[4:5]
; %bb.107:                              ;   in Loop: Header=BB132_52 Depth=1
	s_or_b64 exec, exec, s[18:19]
	v_and_b32_e32 v27, 0xffff0000, v27
	v_lshlrev_b32_e32 v28, 16, v28
	v_mul_f32_e32 v28, v27, v28
	v_and_b32_e32 v29, 0x7f800000, v28
	v_cmp_ne_u32_e64 s[4:5], s26, v29
                                        ; implicit-def: $vgpr33
	s_and_saveexec_b64 s[18:19], s[4:5]
	s_xor_b64 s[4:5], exec, s[18:19]
; %bb.108:                              ;   in Loop: Header=BB132_52 Depth=1
	v_bfe_u32 v29, v28, 16, 1
	v_add3_u32 v33, v28, v29, s27
                                        ; implicit-def: $vgpr28
; %bb.109:                              ;   in Loop: Header=BB132_52 Depth=1
	s_andn2_saveexec_b64 s[18:19], s[4:5]
; %bb.110:                              ;   in Loop: Header=BB132_52 Depth=1
	v_or_b32_e32 v29, 0x10000, v28
	v_cmp_eq_u32_sdwa s[4:5], v28, v18 src0_sel:WORD_0 src1_sel:DWORD
	v_cndmask_b32_e64 v33, v29, v28, s[4:5]
; %bb.111:                              ;   in Loop: Header=BB132_52 Depth=1
	s_or_b64 exec, exec, s[18:19]
	v_and_b32_e32 v28, 0xffff0000, v7
	v_lshlrev_b32_e32 v5, 16, v5
	v_mul_f32_e32 v7, v28, v5
	v_and_b32_e32 v5, 0x7f800000, v7
	v_cmp_ne_u32_e64 s[4:5], s26, v5
                                        ; implicit-def: $vgpr5
	s_and_saveexec_b64 s[18:19], s[4:5]
	s_xor_b64 s[4:5], exec, s[18:19]
; %bb.112:                              ;   in Loop: Header=BB132_52 Depth=1
	v_bfe_u32 v5, v7, 16, 1
	v_add3_u32 v5, v7, v5, s27
                                        ; implicit-def: $vgpr7
; %bb.113:                              ;   in Loop: Header=BB132_52 Depth=1
	s_andn2_saveexec_b64 s[18:19], s[4:5]
; %bb.114:                              ;   in Loop: Header=BB132_52 Depth=1
	v_or_b32_e32 v5, 0x10000, v7
	v_cmp_eq_u32_sdwa s[4:5], v7, v18 src0_sel:WORD_0 src1_sel:DWORD
	v_cndmask_b32_e64 v5, v5, v7, s[4:5]
; %bb.115:                              ;   in Loop: Header=BB132_52 Depth=1
	s_or_b64 exec, exec, s[18:19]
	v_and_b32_e32 v29, 0xffff0000, v6
	v_lshlrev_b32_e32 v6, 16, v30
	v_mul_f32_e32 v6, v29, v6
	v_and_b32_e32 v7, 0x7f800000, v6
	v_cmp_ne_u32_e64 s[4:5], s26, v7
                                        ; implicit-def: $vgpr7
	s_and_saveexec_b64 s[18:19], s[4:5]
	s_xor_b64 s[4:5], exec, s[18:19]
; %bb.116:                              ;   in Loop: Header=BB132_52 Depth=1
	v_bfe_u32 v7, v6, 16, 1
	v_add3_u32 v7, v6, v7, s27
                                        ; implicit-def: $vgpr6
; %bb.117:                              ;   in Loop: Header=BB132_52 Depth=1
	s_andn2_saveexec_b64 s[18:19], s[4:5]
; %bb.118:                              ;   in Loop: Header=BB132_52 Depth=1
	v_or_b32_e32 v7, 0x10000, v6
	v_cmp_eq_u32_sdwa s[4:5], v6, v18 src0_sel:WORD_0 src1_sel:DWORD
	v_cndmask_b32_e64 v7, v7, v6, s[4:5]
; %bb.119:                              ;   in Loop: Header=BB132_52 Depth=1
	s_or_b64 exec, exec, s[18:19]
	v_and_b32_e32 v6, 0xffff0000, v33
	v_and_b32_e32 v33, 0xffff0000, v32
	;; [unrolled: 1-line block ×5, first 2 shown]
	v_pk_add_f32 v[2:3], v[2:3], v[32:33]
	v_and_b32_e32 v7, 0xffff0000, v7
	v_and_b32_e32 v5, 0xffff0000, v5
	;; [unrolled: 1-line block ×3, first 2 shown]
	v_mov_b32_e32 v30, v3
	v_pk_add_f32 v[2:3], v[2:3], v[30:31]
	v_pk_add_f32 v[4:5], v[4:5], v[6:7]
	;; [unrolled: 1-line block ×3, first 2 shown]
	v_mov_b32_e32 v4, v5
	v_pk_add_f32 v[2:3], v[2:3], v[4:5]
	v_pk_add_f32 v[6:7], v[12:13], v[2:3]
	s_and_saveexec_b64 s[18:19], vcc
	s_cbranch_execz .LBB132_50
; %bb.120:                              ;   in Loop: Header=BB132_52 Depth=1
	v_add_co_u32_e64 v2, s[4:5], v8, v21
	v_addc_co_u32_e64 v3, s[4:5], 0, v9, s[4:5]
	global_load_dwordx4 v[2:5], v[2:3], off
	s_waitcnt vmcnt(0)
	v_lshrrev_b32_e32 v8, 16, v2
	v_lshrrev_b32_e32 v30, 16, v3
	;; [unrolled: 1-line block ×4, first 2 shown]
	s_and_saveexec_b64 s[4:5], s[2:3]
	s_cbranch_execz .LBB132_122
; %bb.121:                              ;   in Loop: Header=BB132_52 Depth=1
	v_cmp_gt_i32_e64 s[2:3], s31, v16
	v_add_u32_e32 v31, 1, v16
	v_cndmask_b32_e64 v2, 0, v2, s[2:3]
	v_cmp_gt_i32_e64 s[2:3], s31, v31
	v_add_u32_e32 v31, 2, v16
	v_cndmask_b32_e64 v8, 0, v8, s[2:3]
	;; [unrolled: 3-line block ×7, first 2 shown]
	v_cmp_gt_i32_e64 s[2:3], s31, v31
	v_cndmask_b32_e64 v7, 0, v7, s[2:3]
.LBB132_122:                            ;   in Loop: Header=BB132_52 Depth=1
	s_or_b64 exec, exec, s[4:5]
	v_lshlrev_b32_e32 v2, 16, v2
	v_mul_f32_e32 v22, v22, v2
	v_and_b32_e32 v2, 0x7f800000, v22
	v_cmp_ne_u32_e64 s[2:3], s26, v2
                                        ; implicit-def: $vgpr2
	s_and_saveexec_b64 s[4:5], s[2:3]
	s_xor_b64 s[2:3], exec, s[4:5]
; %bb.123:                              ;   in Loop: Header=BB132_52 Depth=1
	v_bfe_u32 v2, v22, 16, 1
	v_add3_u32 v2, v22, v2, s27
                                        ; implicit-def: $vgpr22
; %bb.124:                              ;   in Loop: Header=BB132_52 Depth=1
	s_andn2_saveexec_b64 s[4:5], s[2:3]
; %bb.125:                              ;   in Loop: Header=BB132_52 Depth=1
	v_or_b32_e32 v2, 0x10000, v22
	v_cmp_eq_u32_sdwa s[2:3], v22, v18 src0_sel:WORD_0 src1_sel:DWORD
	v_cndmask_b32_e64 v2, v2, v22, s[2:3]
; %bb.126:                              ;   in Loop: Header=BB132_52 Depth=1
	s_or_b64 exec, exec, s[4:5]
	v_lshlrev_b32_e32 v8, 16, v8
	v_mul_f32_e32 v22, v23, v8
	v_and_b32_e32 v8, 0x7f800000, v22
	v_cmp_ne_u32_e64 s[2:3], s26, v8
                                        ; implicit-def: $vgpr8
	s_and_saveexec_b64 s[4:5], s[2:3]
	s_xor_b64 s[2:3], exec, s[4:5]
; %bb.127:                              ;   in Loop: Header=BB132_52 Depth=1
	v_bfe_u32 v8, v22, 16, 1
	v_add3_u32 v8, v22, v8, s27
                                        ; implicit-def: $vgpr22
; %bb.128:                              ;   in Loop: Header=BB132_52 Depth=1
	s_andn2_saveexec_b64 s[4:5], s[2:3]
; %bb.129:                              ;   in Loop: Header=BB132_52 Depth=1
	v_or_b32_e32 v8, 0x10000, v22
	v_cmp_eq_u32_sdwa s[2:3], v22, v18 src0_sel:WORD_0 src1_sel:DWORD
	v_cndmask_b32_e64 v8, v8, v22, s[2:3]
; %bb.130:                              ;   in Loop: Header=BB132_52 Depth=1
	s_or_b64 exec, exec, s[4:5]
	v_lshlrev_b32_e32 v3, 16, v3
	v_mul_f32_e32 v22, v24, v3
	v_and_b32_e32 v3, 0x7f800000, v22
	v_cmp_ne_u32_e64 s[2:3], s26, v3
                                        ; implicit-def: $vgpr3
	s_and_saveexec_b64 s[4:5], s[2:3]
	s_xor_b64 s[2:3], exec, s[4:5]
; %bb.131:                              ;   in Loop: Header=BB132_52 Depth=1
	v_bfe_u32 v3, v22, 16, 1
	v_add3_u32 v3, v22, v3, s27
                                        ; implicit-def: $vgpr22
; %bb.132:                              ;   in Loop: Header=BB132_52 Depth=1
	s_andn2_saveexec_b64 s[4:5], s[2:3]
; %bb.133:                              ;   in Loop: Header=BB132_52 Depth=1
	v_or_b32_e32 v3, 0x10000, v22
	v_cmp_eq_u32_sdwa s[2:3], v22, v18 src0_sel:WORD_0 src1_sel:DWORD
	v_cndmask_b32_e64 v3, v3, v22, s[2:3]
; %bb.134:                              ;   in Loop: Header=BB132_52 Depth=1
	s_or_b64 exec, exec, s[4:5]
	v_lshlrev_b32_e32 v22, 16, v30
	v_mul_f32_e32 v23, v25, v22
	v_and_b32_e32 v22, 0x7f800000, v23
	v_cmp_ne_u32_e64 s[2:3], s26, v22
                                        ; implicit-def: $vgpr22
	s_and_saveexec_b64 s[4:5], s[2:3]
	s_xor_b64 s[2:3], exec, s[4:5]
; %bb.135:                              ;   in Loop: Header=BB132_52 Depth=1
	v_bfe_u32 v22, v23, 16, 1
	v_add3_u32 v22, v23, v22, s27
                                        ; implicit-def: $vgpr23
; %bb.136:                              ;   in Loop: Header=BB132_52 Depth=1
	s_andn2_saveexec_b64 s[4:5], s[2:3]
; %bb.137:                              ;   in Loop: Header=BB132_52 Depth=1
	v_or_b32_e32 v22, 0x10000, v23
	v_cmp_eq_u32_sdwa s[2:3], v23, v18 src0_sel:WORD_0 src1_sel:DWORD
	v_cndmask_b32_e64 v22, v22, v23, s[2:3]
; %bb.138:                              ;   in Loop: Header=BB132_52 Depth=1
	s_or_b64 exec, exec, s[4:5]
	v_lshlrev_b32_e32 v4, 16, v4
	v_mul_f32_e32 v23, v26, v4
	v_and_b32_e32 v4, 0x7f800000, v23
	v_cmp_ne_u32_e64 s[2:3], s26, v4
                                        ; implicit-def: $vgpr4
	s_and_saveexec_b64 s[4:5], s[2:3]
	s_xor_b64 s[2:3], exec, s[4:5]
; %bb.139:                              ;   in Loop: Header=BB132_52 Depth=1
	v_bfe_u32 v4, v23, 16, 1
	v_add3_u32 v4, v23, v4, s27
                                        ; implicit-def: $vgpr23
; %bb.140:                              ;   in Loop: Header=BB132_52 Depth=1
	s_andn2_saveexec_b64 s[4:5], s[2:3]
; %bb.141:                              ;   in Loop: Header=BB132_52 Depth=1
	v_or_b32_e32 v4, 0x10000, v23
	v_cmp_eq_u32_sdwa s[2:3], v23, v18 src0_sel:WORD_0 src1_sel:DWORD
	v_cndmask_b32_e64 v4, v4, v23, s[2:3]
; %bb.142:                              ;   in Loop: Header=BB132_52 Depth=1
	s_or_b64 exec, exec, s[4:5]
	v_lshlrev_b32_e32 v9, 16, v9
	v_mul_f32_e32 v23, v27, v9
	v_and_b32_e32 v9, 0x7f800000, v23
	v_cmp_ne_u32_e64 s[2:3], s26, v9
                                        ; implicit-def: $vgpr9
	s_and_saveexec_b64 s[4:5], s[2:3]
	s_xor_b64 s[2:3], exec, s[4:5]
; %bb.143:                              ;   in Loop: Header=BB132_52 Depth=1
	v_bfe_u32 v9, v23, 16, 1
	v_add3_u32 v9, v23, v9, s27
                                        ; implicit-def: $vgpr23
; %bb.144:                              ;   in Loop: Header=BB132_52 Depth=1
	s_andn2_saveexec_b64 s[4:5], s[2:3]
; %bb.145:                              ;   in Loop: Header=BB132_52 Depth=1
	v_or_b32_e32 v9, 0x10000, v23
	v_cmp_eq_u32_sdwa s[2:3], v23, v18 src0_sel:WORD_0 src1_sel:DWORD
	v_cndmask_b32_e64 v9, v9, v23, s[2:3]
; %bb.146:                              ;   in Loop: Header=BB132_52 Depth=1
	s_or_b64 exec, exec, s[4:5]
	v_lshlrev_b32_e32 v5, 16, v5
	v_mul_f32_e32 v23, v28, v5
	v_and_b32_e32 v5, 0x7f800000, v23
	v_cmp_ne_u32_e64 s[2:3], s26, v5
                                        ; implicit-def: $vgpr5
	s_and_saveexec_b64 s[4:5], s[2:3]
	s_xor_b64 s[2:3], exec, s[4:5]
; %bb.147:                              ;   in Loop: Header=BB132_52 Depth=1
	v_bfe_u32 v5, v23, 16, 1
	v_add3_u32 v5, v23, v5, s27
                                        ; implicit-def: $vgpr23
; %bb.148:                              ;   in Loop: Header=BB132_52 Depth=1
	s_andn2_saveexec_b64 s[4:5], s[2:3]
; %bb.149:                              ;   in Loop: Header=BB132_52 Depth=1
	v_or_b32_e32 v5, 0x10000, v23
	v_cmp_eq_u32_sdwa s[2:3], v23, v18 src0_sel:WORD_0 src1_sel:DWORD
	v_cndmask_b32_e64 v5, v5, v23, s[2:3]
; %bb.150:                              ;   in Loop: Header=BB132_52 Depth=1
	s_or_b64 exec, exec, s[4:5]
	v_lshlrev_b32_e32 v7, 16, v7
	v_mul_f32_e32 v7, v29, v7
	v_and_b32_e32 v23, 0x7f800000, v7
	v_cmp_ne_u32_e64 s[2:3], s26, v23
                                        ; implicit-def: $vgpr23
	s_and_saveexec_b64 s[4:5], s[2:3]
	s_xor_b64 s[2:3], exec, s[4:5]
; %bb.151:                              ;   in Loop: Header=BB132_52 Depth=1
	v_bfe_u32 v23, v7, 16, 1
	v_add3_u32 v23, v7, v23, s27
                                        ; implicit-def: $vgpr7
; %bb.152:                              ;   in Loop: Header=BB132_52 Depth=1
	s_andn2_saveexec_b64 s[4:5], s[2:3]
	s_cbranch_execz .LBB132_49
; %bb.153:                              ;   in Loop: Header=BB132_52 Depth=1
	v_or_b32_e32 v23, 0x10000, v7
	v_cmp_eq_u32_sdwa s[2:3], v7, v18 src0_sel:WORD_0 src1_sel:DWORD
	v_cndmask_b32_e64 v23, v23, v7, s[2:3]
	s_branch .LBB132_49
.LBB132_154:
	s_or_b64 exec, exec, s[12:13]
.LBB132_155:
	s_or_b64 exec, exec, s[6:7]
	v_and_b32_e32 v2, 0x3c0, v0
	v_cmp_eq_u32_e32 vcc, 64, v2
	s_barrier
	s_and_saveexec_b64 s[2:3], vcc
	s_cbranch_execz .LBB132_158
; %bb.156:
	v_mov_b32_e32 v2, 0xd0
	v_lshl_add_u32 v3, v17, 2, v2
	ds_write_b32 v3, v12
	s_and_b64 exec, exec, s[0:1]
	s_cbranch_execz .LBB132_158
; %bb.157:
	v_lshl_add_u32 v2, v0, 2, v2
	ds_write_b32 v2, v13
.LBB132_158:
	s_or_b64 exec, exec, s[2:3]
	v_cmp_gt_u32_e32 vcc, 64, v0
	v_or_b32_e32 v2, 64, v0
	s_waitcnt lgkmcnt(0)
	s_barrier
	s_and_saveexec_b64 s[2:3], vcc
	s_cbranch_execz .LBB132_162
; %bb.159:
	v_mov_b32_e32 v3, 0xd0
	v_lshl_add_u32 v3, v0, 2, v3
	ds_read_b32 v0, v3
	s_movk_i32 s0, 0x60
	v_cmp_gt_u32_e64 s[0:1], s0, v2
	s_and_saveexec_b64 s[4:5], s[0:1]
	s_cbranch_execz .LBB132_161
; %bb.160:
	ds_read_b32 v3, v3 offset:256
	s_waitcnt lgkmcnt(0)
	v_add_f32_e32 v13, v13, v3
.LBB132_161:
	s_or_b64 exec, exec, s[4:5]
	s_waitcnt lgkmcnt(0)
	v_add_f32_e32 v12, v12, v0
.LBB132_162:
	s_or_b64 exec, exec, s[2:3]
	s_barrier
	s_and_saveexec_b64 s[0:1], vcc
	s_cbranch_execz .LBB132_173
; %bb.163:
	s_mov_b32 s0, 0x7f800000
	v_and_b32_e32 v0, 0x7f800000, v12
	v_cmp_ne_u32_e32 vcc, s0, v0
                                        ; implicit-def: $vgpr0
	s_and_saveexec_b64 s[0:1], vcc
	s_xor_b64 s[0:1], exec, s[0:1]
; %bb.164:
	v_bfe_u32 v0, v12, 16, 1
	s_movk_i32 s2, 0x7fff
	v_add3_u32 v0, v12, v0, s2
; %bb.165:
	s_andn2_saveexec_b64 s[0:1], s[0:1]
; %bb.166:
	v_mov_b32_e32 v0, 0
	v_or_b32_e32 v3, 0x10000, v12
	v_cmp_eq_u32_sdwa vcc, v12, v0 src0_sel:WORD_0 src1_sel:DWORD
	v_cndmask_b32_e32 v0, v3, v12, vcc
; %bb.167:
	s_or_b64 exec, exec, s[0:1]
	s_mul_i32 s0, s10, 0x60
	s_ashr_i32 s1, s0, 31
	s_lshl_b64 s[0:1], s[0:1], 1
	s_add_u32 s3, s28, s0
	s_mul_i32 s0, s15, s14
	s_addc_u32 s4, s29, s1
	s_ashr_i32 s1, s0, 31
	s_lshl_b64 s[0:1], s[0:1], 1
	s_add_u32 s3, s3, s0
	s_mul_i32 s0, s8, 0x60
	s_addc_u32 s4, s4, s1
	s_ashr_i32 s1, s0, 31
	s_lshl_b64 s[0:1], s[0:1], 1
	s_movk_i32 s2, 0x60
	s_add_u32 s0, s3, s0
	s_addc_u32 s1, s4, s1
	v_cmp_gt_u32_e32 vcc, s2, v2
	global_store_short_d16_hi v1, v0, s[0:1]
	s_and_b64 exec, exec, vcc
	s_cbranch_execz .LBB132_173
; %bb.168:
	v_mov_b32_e32 v2, s1
	v_add_co_u32_e32 v0, vcc, s0, v1
	v_addc_co_u32_e32 v1, vcc, 0, v2, vcc
	s_mov_b32 s0, 0x7f800000
	v_and_b32_e32 v2, 0x7f800000, v13
	v_cmp_ne_u32_e32 vcc, s0, v2
                                        ; implicit-def: $vgpr2
	s_and_saveexec_b64 s[0:1], vcc
	s_xor_b64 s[0:1], exec, s[0:1]
; %bb.169:
	v_bfe_u32 v2, v13, 16, 1
	s_movk_i32 s2, 0x7fff
	v_add3_u32 v2, v13, v2, s2
                                        ; implicit-def: $vgpr13
; %bb.170:
	s_andn2_saveexec_b64 s[0:1], s[0:1]
; %bb.171:
	v_mov_b32_e32 v2, 0
	v_or_b32_e32 v3, 0x10000, v13
	v_cmp_eq_u32_sdwa vcc, v13, v2 src0_sel:WORD_0 src1_sel:DWORD
	v_cndmask_b32_e32 v2, v3, v13, vcc
; %bb.172:
	s_or_b64 exec, exec, s[0:1]
	global_store_short_d16_hi v[0:1], v2, off offset:128
.LBB132_173:
	s_endpgm
	.section	.rodata,"a",@progbits
	.p2align	6, 0x0
	.amdhsa_kernel _ZN4vllm25paged_attention_v2_kernelI14__hip_bfloat16S1_Li96ELi8ELi128ELNS_18Fp8KVCacheDataTypeE0ELb1ELi512EEEvPfS3_PT_PKS4_PKT0_SA_ifPKiSC_iPKfiiiSE_SE_iiiii
		.amdhsa_group_segment_fixed_size 208
		.amdhsa_private_segment_fixed_size 0
		.amdhsa_kernarg_size 400
		.amdhsa_user_sgpr_count 6
		.amdhsa_user_sgpr_private_segment_buffer 1
		.amdhsa_user_sgpr_dispatch_ptr 0
		.amdhsa_user_sgpr_queue_ptr 0
		.amdhsa_user_sgpr_kernarg_segment_ptr 1
		.amdhsa_user_sgpr_dispatch_id 0
		.amdhsa_user_sgpr_flat_scratch_init 0
		.amdhsa_user_sgpr_kernarg_preload_length 0
		.amdhsa_user_sgpr_kernarg_preload_offset 0
		.amdhsa_user_sgpr_private_segment_size 0
		.amdhsa_uses_dynamic_stack 0
		.amdhsa_system_sgpr_private_segment_wavefront_offset 0
		.amdhsa_system_sgpr_workgroup_id_x 1
		.amdhsa_system_sgpr_workgroup_id_y 1
		.amdhsa_system_sgpr_workgroup_id_z 1
		.amdhsa_system_sgpr_workgroup_info 0
		.amdhsa_system_vgpr_workitem_id 0
		.amdhsa_next_free_vgpr 50
		.amdhsa_next_free_sgpr 54
		.amdhsa_accum_offset 52
		.amdhsa_reserve_vcc 1
		.amdhsa_reserve_flat_scratch 0
		.amdhsa_float_round_mode_32 0
		.amdhsa_float_round_mode_16_64 0
		.amdhsa_float_denorm_mode_32 3
		.amdhsa_float_denorm_mode_16_64 3
		.amdhsa_dx10_clamp 1
		.amdhsa_ieee_mode 1
		.amdhsa_fp16_overflow 0
		.amdhsa_tg_split 0
		.amdhsa_exception_fp_ieee_invalid_op 0
		.amdhsa_exception_fp_denorm_src 0
		.amdhsa_exception_fp_ieee_div_zero 0
		.amdhsa_exception_fp_ieee_overflow 0
		.amdhsa_exception_fp_ieee_underflow 0
		.amdhsa_exception_fp_ieee_inexact 0
		.amdhsa_exception_int_div_zero 0
	.end_amdhsa_kernel
	.section	.text._ZN4vllm25paged_attention_v2_kernelI14__hip_bfloat16S1_Li96ELi8ELi128ELNS_18Fp8KVCacheDataTypeE0ELb1ELi512EEEvPfS3_PT_PKS4_PKT0_SA_ifPKiSC_iPKfiiiSE_SE_iiiii,"axG",@progbits,_ZN4vllm25paged_attention_v2_kernelI14__hip_bfloat16S1_Li96ELi8ELi128ELNS_18Fp8KVCacheDataTypeE0ELb1ELi512EEEvPfS3_PT_PKS4_PKT0_SA_ifPKiSC_iPKfiiiSE_SE_iiiii,comdat
.Lfunc_end132:
	.size	_ZN4vllm25paged_attention_v2_kernelI14__hip_bfloat16S1_Li96ELi8ELi128ELNS_18Fp8KVCacheDataTypeE0ELb1ELi512EEEvPfS3_PT_PKS4_PKT0_SA_ifPKiSC_iPKfiiiSE_SE_iiiii, .Lfunc_end132-_ZN4vllm25paged_attention_v2_kernelI14__hip_bfloat16S1_Li96ELi8ELi128ELNS_18Fp8KVCacheDataTypeE0ELb1ELi512EEEvPfS3_PT_PKS4_PKT0_SA_ifPKiSC_iPKfiiiSE_SE_iiiii
                                        ; -- End function
	.section	.AMDGPU.csdata,"",@progbits
; Kernel info:
; codeLenInByte = 7080
; NumSgprs: 58
; NumVgprs: 50
; NumAgprs: 0
; TotalNumVgprs: 50
; ScratchSize: 0
; MemoryBound: 0
; FloatMode: 240
; IeeeMode: 1
; LDSByteSize: 208 bytes/workgroup (compile time only)
; SGPRBlocks: 7
; VGPRBlocks: 6
; NumSGPRsForWavesPerEU: 58
; NumVGPRsForWavesPerEU: 50
; AccumOffset: 52
; Occupancy: 8
; WaveLimiterHint : 1
; COMPUTE_PGM_RSRC2:SCRATCH_EN: 0
; COMPUTE_PGM_RSRC2:USER_SGPR: 6
; COMPUTE_PGM_RSRC2:TRAP_HANDLER: 0
; COMPUTE_PGM_RSRC2:TGID_X_EN: 1
; COMPUTE_PGM_RSRC2:TGID_Y_EN: 1
; COMPUTE_PGM_RSRC2:TGID_Z_EN: 1
; COMPUTE_PGM_RSRC2:TIDIG_COMP_CNT: 0
; COMPUTE_PGM_RSRC3_GFX90A:ACCUM_OFFSET: 12
; COMPUTE_PGM_RSRC3_GFX90A:TG_SPLIT: 0
	.section	.text._ZN4vllm32paged_attention_v2_reduce_kernelI14__hip_bfloat16Li96ELi128ELi512EEEvPT_PKfS5_PKS2_PKii,"axG",@progbits,_ZN4vllm32paged_attention_v2_reduce_kernelI14__hip_bfloat16Li96ELi128ELi512EEEvPT_PKfS5_PKS2_PKii,comdat
	.protected	_ZN4vllm32paged_attention_v2_reduce_kernelI14__hip_bfloat16Li96ELi128ELi512EEEvPT_PKfS5_PKS2_PKii ; -- Begin function _ZN4vllm32paged_attention_v2_reduce_kernelI14__hip_bfloat16Li96ELi128ELi512EEEvPT_PKfS5_PKS2_PKii
	.globl	_ZN4vllm32paged_attention_v2_reduce_kernelI14__hip_bfloat16Li96ELi128ELi512EEEvPT_PKfS5_PKS2_PKii
	.p2align	8
	.type	_ZN4vllm32paged_attention_v2_reduce_kernelI14__hip_bfloat16Li96ELi128ELi512EEEvPT_PKfS5_PKS2_PKii,@function
_ZN4vllm32paged_attention_v2_reduce_kernelI14__hip_bfloat16Li96ELi128ELi512EEEvPT_PKfS5_PKS2_PKii: ; @_ZN4vllm32paged_attention_v2_reduce_kernelI14__hip_bfloat16Li96ELi128ELi512EEEvPT_PKfS5_PKS2_PKii
; %bb.0:
	s_load_dwordx4 s[8:11], s[4:5], 0x18
	s_add_u32 s12, s4, 48
	s_mov_b32 s14, s7
	s_addc_u32 s13, s5, 0
	s_ashr_i32 s15, s7, 31
	s_lshl_b64 s[0:1], s[14:15], 2
	s_waitcnt lgkmcnt(0)
	s_add_u32 s0, s10, s0
	s_addc_u32 s1, s11, s1
	s_load_dword s24, s[0:1], 0x0
	s_load_dwordx2 s[10:11], s[4:5], 0x0
	s_load_dword s7, s[4:5], 0x28
	s_load_dword s15, s[4:5], 0x30
	s_waitcnt lgkmcnt(0)
	s_add_i32 s0, s24, -1
	s_cmpk_gt_u32 s0, 0x1ff
	s_mov_b64 s[0:1], -1
	s_cbranch_scc0 .LBB133_29
; %bb.1:
	s_add_i32 s0, s24, 0x1ff
	s_load_dwordx2 s[20:21], s[4:5], 0x8
	s_ashr_i32 s1, s0, 31
	s_lshr_b32 s1, s1, 23
	s_add_i32 s0, s0, s1
	s_mul_i32 s22, s15, s14
	s_ashr_i32 s23, s0, 9
	s_mul_i32 s16, s22, s7
	s_mul_i32 s18, s6, s7
	s_ashr_i32 s17, s16, 31
	s_ashr_i32 s19, s18, 31
	v_cmp_gt_i32_e32 vcc, s23, v0
	v_mov_b32_e32 v5, 0xff7fffff
	v_lshlrev_b32_e32 v1, 2, v0
	s_and_saveexec_b64 s[2:3], vcc
	s_cbranch_execz .LBB133_5
; %bb.2:
	s_load_dword s25, s[12:13], 0xc
	s_load_dwordx2 s[0:1], s[4:5], 0x10
	s_lshl_b64 s[4:5], s[16:17], 2
	s_lshl_b64 s[26:27], s[18:19], 2
	s_mov_b32 s28, 0
	s_waitcnt lgkmcnt(0)
	s_and_b32 s25, s25, 0xffff
	s_add_u32 s4, s4, s26
	s_addc_u32 s5, s5, s27
	s_add_u32 s0, s0, s4
	s_addc_u32 s1, s1, s5
	v_mov_b32_e32 v3, s1
	v_add_co_u32_e64 v2, s[0:1], s0, v1
	v_addc_co_u32_e64 v3, s[0:1], 0, v3, s[0:1]
	s_lshl_b32 s26, s25, 2
	v_add_u32_e32 v4, 16, v1
	s_mov_b64 s[4:5], 0
	v_mov_b32_e32 v5, 0xff7fffff
	v_mov_b32_e32 v6, s28
	;; [unrolled: 1-line block ×3, first 2 shown]
.LBB133_3:                              ; =>This Inner Loop Header: Depth=1
	global_load_dword v8, v[2:3], off
	v_add_co_u32_e64 v2, s[0:1], s26, v2
	v_add_u32_e32 v7, s25, v7
	v_addc_co_u32_e64 v3, s[0:1], v3, v6, s[0:1]
	v_max_f32_e32 v5, v5, v5
	v_cmp_le_i32_e64 s[0:1], s23, v7
	s_or_b64 s[4:5], s[0:1], s[4:5]
	s_waitcnt vmcnt(0)
	ds_write_b32 v4, v8
	v_max_f32_e32 v8, v8, v8
	v_add_u32_e32 v4, s26, v4
	v_max_f32_e32 v5, v5, v8
	s_andn2_b64 exec, exec, s[4:5]
	s_cbranch_execnz .LBB133_3
; %bb.4:
	s_or_b64 exec, exec, s[4:5]
.LBB133_5:
	s_or_b64 exec, exec, s[2:3]
	v_mbcnt_lo_u32_b32 v2, -1, 0
	v_mbcnt_hi_u32_b32 v2, -1, v2
	v_and_b32_e32 v3, 64, v2
	v_add_u32_e32 v6, 64, v3
	v_xor_b32_e32 v3, 32, v2
	v_cmp_lt_i32_e64 s[0:1], v3, v6
	v_cndmask_b32_e64 v3, v2, v3, s[0:1]
	v_lshlrev_b32_e32 v4, 2, v3
	ds_bpermute_b32 v3, v4, v5
	v_xor_b32_e32 v7, 16, v2
	v_max_f32_e32 v5, v5, v5
	v_cmp_lt_i32_e64 s[0:1], v7, v6
	v_xor_b32_e32 v8, 8, v2
	s_waitcnt lgkmcnt(0)
	v_max_f32_e32 v3, v3, v3
	v_max_f32_e32 v3, v5, v3
	v_cndmask_b32_e64 v5, v2, v7, s[0:1]
	v_lshlrev_b32_e32 v5, 2, v5
	ds_bpermute_b32 v7, v5, v3
	v_cmp_lt_i32_e64 s[0:1], v8, v6
	v_xor_b32_e32 v9, 4, v2
	v_xor_b32_e32 v10, 2, v2
	v_lshrrev_b32_e32 v13, 6, v0
	s_waitcnt lgkmcnt(0)
	v_max_f32_e32 v7, v7, v7
	v_max_f32_e32 v3, v3, v7
	v_cndmask_b32_e64 v7, v2, v8, s[0:1]
	v_lshlrev_b32_e32 v7, 2, v7
	ds_bpermute_b32 v8, v7, v3
	v_cmp_lt_i32_e64 s[0:1], v9, v6
	s_waitcnt lgkmcnt(0)
	s_barrier
	v_max_f32_e32 v8, v8, v8
	v_max_f32_e32 v3, v3, v8
	v_cndmask_b32_e64 v8, v2, v9, s[0:1]
	v_lshlrev_b32_e32 v8, 2, v8
	ds_bpermute_b32 v9, v8, v3
	v_cmp_lt_i32_e64 s[0:1], v10, v6
	s_waitcnt lgkmcnt(0)
	v_max_f32_e32 v9, v9, v9
	v_max_f32_e32 v11, v3, v9
	v_cndmask_b32_e64 v3, v2, v10, s[0:1]
	v_lshlrev_b32_e32 v9, 2, v3
	ds_bpermute_b32 v10, v9, v11
	v_and_b32_e32 v3, 63, v0
	s_waitcnt lgkmcnt(0)
	v_max_f32_e32 v10, v10, v10
	v_max_f32_e32 v11, v11, v10
	v_xor_b32_e32 v10, 1, v2
	v_cmp_lt_i32_e64 s[0:1], v10, v6
	v_cndmask_b32_e64 v6, v2, v10, s[0:1]
	v_lshlrev_b32_e32 v6, 2, v6
	ds_bpermute_b32 v12, v6, v11
	v_cmp_eq_u32_e64 s[0:1], 0, v3
	v_lshlrev_b32_e32 v10, 2, v13
	s_and_saveexec_b64 s[2:3], s[0:1]
	s_cbranch_execz .LBB133_7
; %bb.6:
	s_waitcnt lgkmcnt(0)
	v_max_f32_e32 v12, v12, v12
	v_max_f32_e32 v11, v11, v11
	;; [unrolled: 1-line block ×3, first 2 shown]
	ds_write_b32 v10, v11
.LBB133_7:
	s_or_b64 exec, exec, s[2:3]
	v_cmp_gt_u32_e64 s[2:3], 2, v3
	s_waitcnt lgkmcnt(0)
	v_mov_b32_e32 v12, 0xff7fffff
	v_lshlrev_b32_e32 v11, 2, v3
	s_barrier
	s_and_saveexec_b64 s[4:5], s[2:3]
	s_cbranch_execz .LBB133_9
; %bb.8:
	ds_read_b32 v12, v11
.LBB133_9:
	s_or_b64 exec, exec, s[4:5]
	s_waitcnt lgkmcnt(0)
	ds_bpermute_b32 v3, v6, v12
	v_max_f32_e32 v12, v12, v12
	v_lshlrev_b32_e32 v2, 2, v2
	s_lshl_b32 s25, s23, 2
	v_mov_b32_e32 v14, 0
	s_waitcnt lgkmcnt(0)
	v_max_f32_e32 v3, v3, v3
	v_max_f32_e32 v3, v12, v3
	v_and_b32_e32 v12, 0x100, v2
	ds_bpermute_b32 v13, v12, v3
	s_and_saveexec_b64 s[4:5], vcc
	s_cbranch_execz .LBB133_13
; %bb.10:
	s_load_dword s30, s[12:13], 0xc
	s_lshl_b64 s[26:27], s[16:17], 2
	s_lshl_b64 s[28:29], s[18:19], 2
	s_mov_b32 s31, 0
	v_mov_b32_e32 v14, 0
	s_waitcnt lgkmcnt(0)
	s_and_b32 s17, s30, 0xffff
	s_add_u32 s19, s26, s28
	s_addc_u32 s26, s27, s29
	s_add_u32 s19, s20, s19
	s_addc_u32 s20, s21, s26
	v_mov_b32_e32 v3, s20
	v_add_co_u32_e32 v2, vcc, s19, v1
	v_addc_co_u32_e32 v3, vcc, 0, v3, vcc
	s_lshl_b32 s19, s17, 2
	v_add_u32_e32 v1, 16, v1
	s_mov_b64 s[20:21], 0
	s_mov_b32 s26, 0x3fb8aa3b
	s_mov_b32 s27, 0xc2ce8ed0
	;; [unrolled: 1-line block ×3, first 2 shown]
	v_mov_b32_e32 v15, 0x7f800000
	v_mov_b32_e32 v16, s31
	;; [unrolled: 1-line block ×3, first 2 shown]
.LBB133_11:                             ; =>This Inner Loop Header: Depth=1
	global_load_dword v18, v[2:3], off
	ds_read_b32 v19, v1
	v_add_co_u32_e32 v2, vcc, s19, v2
	v_add_u32_e32 v17, s17, v17
	v_addc_co_u32_e32 v3, vcc, v3, v16, vcc
	s_waitcnt lgkmcnt(0)
	v_sub_f32_e32 v19, v19, v13
	v_mul_f32_e32 v21, 0x3fb8aa3b, v19
	v_fma_f32 v22, v19, s26, -v21
	v_rndne_f32_e32 v23, v21
	v_fmac_f32_e32 v22, 0x32a5705f, v19
	v_sub_f32_e32 v21, v21, v23
	v_add_f32_e32 v21, v21, v22
	v_cvt_i32_f32_e32 v23, v23
	v_exp_f32_e32 v21, v21
	v_cmp_le_i32_e32 vcc, s23, v17
	s_or_b64 s[20:21], vcc, s[20:21]
	v_cmp_ngt_f32_e32 vcc, s27, v19
	v_ldexp_f32 v21, v21, v23
	v_cndmask_b32_e32 v21, 0, v21, vcc
	v_cmp_nlt_f32_e32 vcc, s28, v19
	v_cndmask_b32_e32 v19, v15, v21, vcc
	v_add_u32_e32 v20, s25, v1
	v_add_u32_e32 v1, s19, v1
	s_waitcnt vmcnt(0)
	v_mul_f32_e32 v21, v18, v19
	v_fmac_f32_e32 v14, v18, v19
	ds_write_b32 v20, v21
	s_andn2_b64 exec, exec, s[20:21]
	s_cbranch_execnz .LBB133_11
; %bb.12:
	s_or_b64 exec, exec, s[20:21]
.LBB133_13:
	s_or_b64 exec, exec, s[4:5]
	ds_bpermute_b32 v1, v4, v14
	s_waitcnt lgkmcnt(0)
	s_barrier
	v_add_f32_e32 v1, v14, v1
	ds_bpermute_b32 v2, v5, v1
	s_waitcnt lgkmcnt(0)
	v_add_f32_e32 v1, v1, v2
	ds_bpermute_b32 v2, v7, v1
	s_waitcnt lgkmcnt(0)
	;; [unrolled: 3-line block ×5, first 2 shown]
	v_add_f32_e32 v1, v1, v2
	s_and_saveexec_b64 s[4:5], s[0:1]
	s_cbranch_execz .LBB133_15
; %bb.14:
	ds_write_b32 v10, v1 offset:8
.LBB133_15:
	s_or_b64 exec, exec, s[4:5]
	s_waitcnt lgkmcnt(0)
	s_barrier
	s_and_saveexec_b64 s[0:1], s[2:3]
	s_cbranch_execz .LBB133_17
; %bb.16:
	ds_read_b32 v1, v11 offset:8
.LBB133_17:
	s_or_b64 exec, exec, s[0:1]
	s_waitcnt lgkmcnt(0)
	ds_bpermute_b32 v2, v6, v1
	s_movk_i32 s0, 0x60
	v_cmp_gt_u32_e32 vcc, s0, v0
	s_waitcnt lgkmcnt(0)
	v_add_f32_e32 v1, v1, v2
	ds_bpermute_b32 v2, v12, v1
	s_and_saveexec_b64 s[0:1], vcc
	s_cbranch_execz .LBB133_28
; %bb.18:
	s_cmp_gt_i32 s24, 0
	s_mov_b32 s4, 0
	s_cbranch_scc1 .LBB133_20
; %bb.19:
	v_mov_b32_e32 v1, 0
	v_mov_b32_e32 v4, s4
	s_cbranch_execz .LBB133_21
	s_branch .LBB133_23
.LBB133_20:
                                        ; implicit-def: $sgpr4
	v_mov_b32_e32 v4, s4
.LBB133_21:
	s_waitcnt lgkmcnt(0)
	v_add_f32_e32 v1, 0x358637bd, v2
	v_div_scale_f32 v2, s[2:3], v1, v1, 1.0
	v_rcp_f32_e32 v3, v2
	s_mul_i32 s4, s16, 0x60
	s_mul_i32 s16, s18, 0x60
	s_ashr_i32 s5, s4, 31
	v_fma_f32 v4, -v2, v3, 1.0
	v_fmac_f32_e32 v3, v4, v3
	v_div_scale_f32 v4, vcc, 1.0, v1, 1.0
	v_mul_f32_e32 v5, v4, v3
	s_ashr_i32 s17, s16, 31
	s_max_i32 s2, s23, 1
	v_fma_f32 v6, -v2, v5, v4
	s_add_i32 s3, s25, 16
	s_lshl_b64 s[4:5], s[4:5], 1
	s_lshl_b64 s[16:17], s[16:17], 1
	v_fmac_f32_e32 v5, v6, v3
	s_add_u32 s4, s4, s16
	v_fma_f32 v2, -v2, v5, v4
	s_addc_u32 s5, s5, s17
	v_div_fmas_f32 v2, v2, v3, v5
	s_add_u32 s4, s8, s4
	v_div_fixup_f32 v5, v2, v1, 1.0
	v_lshlrev_b32_e32 v2, 1, v0
	s_addc_u32 s5, s9, s5
	v_mov_b32_e32 v1, 0
	v_mov_b32_e32 v3, s5
	v_add_co_u32_e32 v2, vcc, s4, v2
	v_addc_co_u32_e32 v3, vcc, 0, v3, vcc
	v_mov_b32_e32 v4, v1
.LBB133_22:                             ; =>This Inner Loop Header: Depth=1
	global_load_ushort v6, v[2:3], off
	v_mov_b32_e32 v7, s3
	ds_read_b32 v7, v7
	s_add_i32 s2, s2, -1
	v_add_co_u32_e32 v2, vcc, 0xc0, v2
	s_add_i32 s3, s3, 4
	v_addc_co_u32_e32 v3, vcc, 0, v3, vcc
	s_cmp_eq_u32 s2, 0
	s_waitcnt vmcnt(0)
	v_lshlrev_b32_e32 v6, 16, v6
	s_waitcnt lgkmcnt(0)
	v_mul_f32_e32 v6, v7, v6
	v_fmac_f32_e32 v4, v5, v6
	s_cbranch_scc0 .LBB133_22
.LBB133_23:
	s_mov_b32 s2, 0x7f800000
	s_waitcnt lgkmcnt(0)
	v_and_b32_e32 v2, 0x7f800000, v4
	v_cmp_ne_u32_e32 vcc, s2, v2
                                        ; implicit-def: $vgpr2
	s_and_saveexec_b64 s[2:3], vcc
	s_xor_b64 s[2:3], exec, s[2:3]
; %bb.24:
	v_bfe_u32 v2, v4, 16, 1
	s_movk_i32 s4, 0x7fff
	v_add3_u32 v2, v4, v2, s4
                                        ; implicit-def: $vgpr4
; %bb.25:
	s_andn2_saveexec_b64 s[2:3], s[2:3]
; %bb.26:
	v_mov_b32_e32 v2, 0
	v_or_b32_e32 v3, 0x10000, v4
	v_cmp_eq_u32_sdwa vcc, v4, v2 src0_sel:WORD_0 src1_sel:DWORD
	v_cndmask_b32_e32 v2, v3, v4, vcc
; %bb.27:
	s_or_b64 exec, exec, s[2:3]
	s_mul_i32 s2, s22, 0x60
	s_ashr_i32 s3, s2, 31
	s_lshl_b64 s[2:3], s[2:3], 1
	s_add_u32 s4, s10, s2
	s_mul_i32 s2, s6, 0x60
	s_addc_u32 s5, s11, s3
	s_ashr_i32 s3, s2, 31
	s_lshl_b64 s[2:3], s[2:3], 1
	s_add_u32 s2, s4, s2
	s_addc_u32 s3, s5, s3
	v_lshlrev_b64 v[4:5], 1, v[0:1]
	v_mov_b32_e32 v1, s3
	v_add_co_u32_e32 v4, vcc, s2, v4
	v_addc_co_u32_e32 v5, vcc, v1, v5, vcc
	global_store_short_d16_hi v[4:5], v2, off
.LBB133_28:
	s_or_b64 exec, exec, s[0:1]
	s_mov_b64 s[0:1], 0
.LBB133_29:
	s_and_b64 vcc, exec, s[0:1]
	s_cbranch_vccz .LBB133_38
; %bb.30:
	s_movk_i32 s0, 0x60
	v_cmp_gt_u32_e32 vcc, s0, v0
	s_and_saveexec_b64 s[2:3], vcc
	s_cbranch_execz .LBB133_38
; %bb.31:
	s_mul_i32 s1, s15, s14
	s_mul_i32 s2, s1, 0x60
	s_ashr_i32 s3, s2, 31
	s_lshl_b64 s[4:5], s[2:3], 1
	s_add_u32 s1, s10, s4
	s_mul_i32 s14, s6, 0x60
	s_addc_u32 s3, s11, s5
	s_ashr_i32 s15, s14, 31
	s_lshl_b64 s[4:5], s[14:15], 1
	s_add_u32 s4, s1, s4
	s_mul_i32 s2, s2, s7
	s_addc_u32 s10, s3, s5
	s_ashr_i32 s3, s2, 31
	s_lshl_b64 s[2:3], s[2:3], 1
	s_add_u32 s1, s8, s2
	s_load_dword s8, s[12:13], 0xc
	s_mul_i32 s2, s14, s7
	s_addc_u32 s6, s9, s3
	s_ashr_i32 s3, s2, 31
	s_lshl_b64 s[2:3], s[2:3], 1
	s_add_u32 s5, s1, s2
	s_addc_u32 s7, s6, s3
	s_waitcnt lgkmcnt(0)
	s_and_b32 s6, s8, 0xffff
	v_cvt_f32_u32_e32 v1, s6
	v_add_u32_e32 v2, s6, v0
	v_mov_b32_e32 v4, s6
	v_cmp_gt_u32_e32 vcc, s0, v2
	v_rcp_iflag_f32_e32 v1, v1
	s_cmp_eq_u32 s6, 1
	v_max_u32_e32 v3, 0x60, v2
	v_addc_co_u32_e64 v2, s[0:1], v0, v4, vcc
	v_mul_f32_e32 v1, 0x4f7ffffe, v1
	v_cvt_u32_f32_e32 v1, v1
	s_cselect_b64 s[2:3], -1, 0
	s_sub_i32 s0, 0, s6
	v_sub_u32_e32 v2, v3, v2
	v_mul_lo_u32 v3, s0, v1
	v_mul_hi_u32 v3, v1, v3
	v_add_u32_e32 v1, v1, v3
	v_mul_hi_u32 v1, v2, v1
	v_mul_lo_u32 v3, v1, s6
	v_sub_u32_e32 v2, v2, v3
	v_add_u32_e32 v3, 1, v1
	v_cmp_le_u32_e64 s[0:1], s6, v2
	v_cndmask_b32_e64 v1, v1, v3, s[0:1]
	v_subrev_u32_e32 v3, s6, v2
	v_cndmask_b32_e64 v2, v2, v3, s[0:1]
	v_add_u32_e32 v3, 1, v1
	v_cmp_le_u32_e64 s[0:1], s6, v2
	v_cndmask_b32_e64 v1, v1, v3, s[0:1]
	v_addc_co_u32_e32 v1, vcc, 1, v1, vcc
	v_cmp_lt_u32_e32 vcc, 31, v1
	s_and_b64 s[8:9], vcc, s[2:3]
	s_mov_b64 s[2:3], -1
	s_and_saveexec_b64 s[0:1], s[8:9]
	s_cbranch_execz .LBB133_35
; %bb.32:
	v_and_b32_e32 v4, 0xffffffe0, v1
	s_mov_b64 s[2:3], 0
	v_mov_b32_e32 v3, 0
	v_mov_b32_e32 v5, s7
	;; [unrolled: 1-line block ×5, first 2 shown]
.LBB133_33:                             ; =>This Inner Loop Header: Depth=1
	v_lshlrev_b64 v[24:25], 1, v[2:3]
	v_add_co_u32_e32 v26, vcc, s5, v24
	v_addc_co_u32_e32 v27, vcc, v5, v25, vcc
	global_load_dwordx4 v[8:11], v[26:27], off
	global_load_dwordx4 v[12:15], v[26:27], off offset:16
	global_load_dwordx4 v[16:19], v[26:27], off offset:32
	;; [unrolled: 1-line block ×3, first 2 shown]
	v_add_co_u32_e32 v24, vcc, s4, v24
	v_subrev_u32_e32 v7, 32, v7
	v_addc_co_u32_e32 v25, vcc, v6, v25, vcc
	v_cmp_eq_u32_e32 vcc, 0, v7
	v_add_u32_e32 v2, 32, v2
	s_or_b64 s[2:3], vcc, s[2:3]
	s_waitcnt vmcnt(3)
	global_store_dwordx4 v[24:25], v[8:11], off
	s_waitcnt vmcnt(3)
	global_store_dwordx4 v[24:25], v[12:15], off offset:16
	s_waitcnt vmcnt(3)
	global_store_dwordx4 v[24:25], v[16:19], off offset:32
	;; [unrolled: 2-line block ×3, first 2 shown]
	s_andn2_b64 exec, exec, s[2:3]
	s_cbranch_execnz .LBB133_33
; %bb.34:
	s_or_b64 exec, exec, s[2:3]
	v_cmp_ne_u32_e32 vcc, v1, v4
	v_add_u32_e32 v0, v0, v4
	s_orn2_b64 s[2:3], vcc, exec
.LBB133_35:
	s_or_b64 exec, exec, s[0:1]
	s_and_b64 exec, exec, s[2:3]
	s_cbranch_execz .LBB133_38
; %bb.36:
	s_mov_b32 s3, 0
	v_mov_b32_e32 v1, 0
	v_lshlrev_b64 v[2:3], 1, v[0:1]
	s_lshl_b32 s2, s6, 1
	s_mov_b64 s[0:1], 0
	v_mov_b32_e32 v1, s7
	v_mov_b32_e32 v4, s10
	;; [unrolled: 1-line block ×3, first 2 shown]
	s_movk_i32 s3, 0x5f
.LBB133_37:                             ; =>This Inner Loop Header: Depth=1
	v_add_co_u32_e32 v6, vcc, s5, v2
	v_addc_co_u32_e32 v7, vcc, v1, v3, vcc
	global_load_ushort v8, v[6:7], off
	v_add_co_u32_e32 v6, vcc, s4, v2
	v_addc_co_u32_e32 v7, vcc, v4, v3, vcc
	v_add_co_u32_e32 v2, vcc, s2, v2
	v_add_u32_e32 v0, s6, v0
	v_addc_co_u32_e32 v3, vcc, v3, v5, vcc
	v_cmp_lt_u32_e32 vcc, s3, v0
	s_or_b64 s[0:1], vcc, s[0:1]
	s_waitcnt vmcnt(0)
	global_store_short v[6:7], v8, off
	s_andn2_b64 exec, exec, s[0:1]
	s_cbranch_execnz .LBB133_37
.LBB133_38:
	s_endpgm
	.section	.rodata,"a",@progbits
	.p2align	6, 0x0
	.amdhsa_kernel _ZN4vllm32paged_attention_v2_reduce_kernelI14__hip_bfloat16Li96ELi128ELi512EEEvPT_PKfS5_PKS2_PKii
		.amdhsa_group_segment_fixed_size 16
		.amdhsa_private_segment_fixed_size 0
		.amdhsa_kernarg_size 304
		.amdhsa_user_sgpr_count 6
		.amdhsa_user_sgpr_private_segment_buffer 1
		.amdhsa_user_sgpr_dispatch_ptr 0
		.amdhsa_user_sgpr_queue_ptr 0
		.amdhsa_user_sgpr_kernarg_segment_ptr 1
		.amdhsa_user_sgpr_dispatch_id 0
		.amdhsa_user_sgpr_flat_scratch_init 0
		.amdhsa_user_sgpr_kernarg_preload_length 0
		.amdhsa_user_sgpr_kernarg_preload_offset 0
		.amdhsa_user_sgpr_private_segment_size 0
		.amdhsa_uses_dynamic_stack 0
		.amdhsa_system_sgpr_private_segment_wavefront_offset 0
		.amdhsa_system_sgpr_workgroup_id_x 1
		.amdhsa_system_sgpr_workgroup_id_y 1
		.amdhsa_system_sgpr_workgroup_id_z 0
		.amdhsa_system_sgpr_workgroup_info 0
		.amdhsa_system_vgpr_workitem_id 0
		.amdhsa_next_free_vgpr 28
		.amdhsa_next_free_sgpr 32
		.amdhsa_accum_offset 28
		.amdhsa_reserve_vcc 1
		.amdhsa_reserve_flat_scratch 0
		.amdhsa_float_round_mode_32 0
		.amdhsa_float_round_mode_16_64 0
		.amdhsa_float_denorm_mode_32 3
		.amdhsa_float_denorm_mode_16_64 3
		.amdhsa_dx10_clamp 1
		.amdhsa_ieee_mode 1
		.amdhsa_fp16_overflow 0
		.amdhsa_tg_split 0
		.amdhsa_exception_fp_ieee_invalid_op 0
		.amdhsa_exception_fp_denorm_src 0
		.amdhsa_exception_fp_ieee_div_zero 0
		.amdhsa_exception_fp_ieee_overflow 0
		.amdhsa_exception_fp_ieee_underflow 0
		.amdhsa_exception_fp_ieee_inexact 0
		.amdhsa_exception_int_div_zero 0
	.end_amdhsa_kernel
	.section	.text._ZN4vllm32paged_attention_v2_reduce_kernelI14__hip_bfloat16Li96ELi128ELi512EEEvPT_PKfS5_PKS2_PKii,"axG",@progbits,_ZN4vllm32paged_attention_v2_reduce_kernelI14__hip_bfloat16Li96ELi128ELi512EEEvPT_PKfS5_PKS2_PKii,comdat
.Lfunc_end133:
	.size	_ZN4vllm32paged_attention_v2_reduce_kernelI14__hip_bfloat16Li96ELi128ELi512EEEvPT_PKfS5_PKS2_PKii, .Lfunc_end133-_ZN4vllm32paged_attention_v2_reduce_kernelI14__hip_bfloat16Li96ELi128ELi512EEEvPT_PKfS5_PKS2_PKii
                                        ; -- End function
	.section	.AMDGPU.csdata,"",@progbits
; Kernel info:
; codeLenInByte = 2316
; NumSgprs: 36
; NumVgprs: 28
; NumAgprs: 0
; TotalNumVgprs: 28
; ScratchSize: 0
; MemoryBound: 0
; FloatMode: 240
; IeeeMode: 1
; LDSByteSize: 16 bytes/workgroup (compile time only)
; SGPRBlocks: 4
; VGPRBlocks: 3
; NumSGPRsForWavesPerEU: 36
; NumVGPRsForWavesPerEU: 28
; AccumOffset: 28
; Occupancy: 8
; WaveLimiterHint : 0
; COMPUTE_PGM_RSRC2:SCRATCH_EN: 0
; COMPUTE_PGM_RSRC2:USER_SGPR: 6
; COMPUTE_PGM_RSRC2:TRAP_HANDLER: 0
; COMPUTE_PGM_RSRC2:TGID_X_EN: 1
; COMPUTE_PGM_RSRC2:TGID_Y_EN: 1
; COMPUTE_PGM_RSRC2:TGID_Z_EN: 0
; COMPUTE_PGM_RSRC2:TIDIG_COMP_CNT: 0
; COMPUTE_PGM_RSRC3_GFX90A:ACCUM_OFFSET: 6
; COMPUTE_PGM_RSRC3_GFX90A:TG_SPLIT: 0
	.section	.text._ZN4vllm25paged_attention_v2_kernelI14__hip_bfloat16S1_Li112ELi8ELi128ELNS_18Fp8KVCacheDataTypeE0ELb1ELi512EEEvPfS3_PT_PKS4_PKT0_SA_ifPKiSC_iPKfiiiSE_SE_iiiii,"axG",@progbits,_ZN4vllm25paged_attention_v2_kernelI14__hip_bfloat16S1_Li112ELi8ELi128ELNS_18Fp8KVCacheDataTypeE0ELb1ELi512EEEvPfS3_PT_PKS4_PKT0_SA_ifPKiSC_iPKfiiiSE_SE_iiiii,comdat
	.protected	_ZN4vllm25paged_attention_v2_kernelI14__hip_bfloat16S1_Li112ELi8ELi128ELNS_18Fp8KVCacheDataTypeE0ELb1ELi512EEEvPfS3_PT_PKS4_PKT0_SA_ifPKiSC_iPKfiiiSE_SE_iiiii ; -- Begin function _ZN4vllm25paged_attention_v2_kernelI14__hip_bfloat16S1_Li112ELi8ELi128ELNS_18Fp8KVCacheDataTypeE0ELb1ELi512EEEvPfS3_PT_PKS4_PKT0_SA_ifPKiSC_iPKfiiiSE_SE_iiiii
	.globl	_ZN4vllm25paged_attention_v2_kernelI14__hip_bfloat16S1_Li112ELi8ELi128ELNS_18Fp8KVCacheDataTypeE0ELb1ELi512EEEvPfS3_PT_PKS4_PKT0_SA_ifPKiSC_iPKfiiiSE_SE_iiiii
	.p2align	8
	.type	_ZN4vllm25paged_attention_v2_kernelI14__hip_bfloat16S1_Li112ELi8ELi128ELNS_18Fp8KVCacheDataTypeE0ELb1ELi512EEEvPfS3_PT_PKS4_PKT0_SA_ifPKiSC_iPKfiiiSE_SE_iiiii,@function
_ZN4vllm25paged_attention_v2_kernelI14__hip_bfloat16S1_Li112ELi8ELi128ELNS_18Fp8KVCacheDataTypeE0ELb1ELi512EEEvPfS3_PT_PKS4_PKT0_SA_ifPKiSC_iPKfiiiSE_SE_iiiii: ; @_ZN4vllm25paged_attention_v2_kernelI14__hip_bfloat16S1_Li112ELi8ELi128ELNS_18Fp8KVCacheDataTypeE0ELb1ELi512EEEvPfS3_PT_PKS4_PKT0_SA_ifPKiSC_iPKfiiiSE_SE_iiiii
; %bb.0:
	s_load_dwordx2 s[0:1], s[4:5], 0x40
	s_mov_b32 s30, s7
	s_ashr_i32 s31, s7, 31
	s_lshl_b64 s[2:3], s[30:31], 2
	s_waitcnt lgkmcnt(0)
	s_add_u32 s0, s0, s2
	s_addc_u32 s1, s1, s3
	s_load_dword s31, s[0:1], 0x0
	s_lshl_b32 s51, s8, 9
	s_waitcnt lgkmcnt(0)
	s_cmp_ge_i32 s51, s31
	s_cbranch_scc1 .LBB134_173
; %bb.1:
	s_load_dword s9, s[4:5], 0x90
	s_load_dwordx2 s[40:41], s[4:5], 0x30
	s_waitcnt lgkmcnt(0)
	s_abs_i32 s2, s9
	s_abs_i32 s0, s40
	v_cvt_f32_u32_e32 v1, s0
	s_sub_i32 s3, 0, s0
	s_xor_b32 s1, s9, s40
	s_ashr_i32 s1, s1, 31
	v_rcp_iflag_f32_e32 v1, v1
	v_mul_f32_e32 v1, 0x4f7ffffe, v1
	v_cvt_u32_f32_e32 v1, v1
	v_readfirstlane_b32 s7, v1
	s_mul_i32 s3, s3, s7
	s_mul_hi_u32 s3, s7, s3
	s_add_i32 s7, s7, s3
	s_mul_hi_u32 s3, s2, s7
	s_mul_i32 s7, s3, s0
	s_sub_i32 s2, s2, s7
	s_add_i32 s10, s3, 1
	s_sub_i32 s7, s2, s0
	s_cmp_ge_u32 s2, s0
	s_cselect_b32 s3, s10, s3
	s_cselect_b32 s2, s7, s2
	s_add_i32 s7, s3, 1
	s_cmp_ge_u32 s2, s0
	s_cselect_b32 s0, s7, s3
	s_xor_b32 s0, s0, s1
	s_sub_i32 s2, s0, s1
	s_abs_i32 s10, s2
	v_cvt_f32_u32_e32 v1, s10
	s_load_dwordx2 s[0:1], s[4:5], 0x50
	s_sub_i32 s3, 0, s10
	s_abs_i32 s11, s6
	v_rcp_iflag_f32_e32 v1, v1
	s_mov_b32 s7, 0
	v_mul_f32_e32 v1, 0x4f7ffffe, v1
	v_cvt_u32_f32_e32 v1, v1
	v_readfirstlane_b32 s12, v1
	s_mul_i32 s3, s3, s12
	s_mul_hi_u32 s3, s12, s3
	s_add_i32 s12, s12, s3
	s_waitcnt lgkmcnt(0)
	s_cmp_eq_u64 s[0:1], 0
	s_mul_hi_u32 s12, s11, s12
	s_cbranch_scc1 .LBB134_3
; %bb.2:
	s_ashr_i32 s7, s6, 31
	s_lshl_b64 s[14:15], s[6:7], 2
	s_add_u32 s0, s0, s14
	s_addc_u32 s1, s1, s15
	s_load_dword s7, s[0:1], 0x0
.LBB134_3:
	s_load_dwordx4 s[16:19], s[4:5], 0x58
	s_movk_i32 s0, 0x70
	s_ashr_i32 s13, s6, 31
	s_ashr_i32 s20, s2, 31
	v_and_b32_e32 v2, 7, v0
	s_mul_i32 s14, s6, 0x70
	v_cmp_gt_u32_e64 s[0:1], s0, v0
	v_lshlrev_b32_e32 v1, 1, v0
	s_and_saveexec_b64 s[2:3], s[0:1]
	s_cbranch_execz .LBB134_5
; %bb.4:
	s_load_dwordx2 s[22:23], s[4:5], 0x18
	s_waitcnt lgkmcnt(0)
	s_mul_i32 s24, s30, s16
	s_ashr_i32 s25, s24, 31
	s_lshl_b64 s[24:25], s[24:25], 1
	v_lshrrev_b32_e32 v4, 2, v0
	s_add_u32 s16, s22, s24
	s_addc_u32 s19, s23, s25
	s_ashr_i32 s15, s14, 31
	s_lshl_b64 s[22:23], s[14:15], 1
	s_add_u32 s22, s16, s22
	s_addc_u32 s23, s19, s23
	global_load_ushort v3, v1, s[22:23]
	v_and_b32_e32 v4, 0xfe, v4
	v_mad_u32_u24 v4, v2, 28, v4
	s_waitcnt vmcnt(0)
	ds_write_b16 v4, v3
.LBB134_5:
	s_or_b64 exec, exec, s[2:3]
	s_mul_i32 s3, s12, s10
	s_sub_i32 s3, s11, s3
	s_xor_b32 s2, s13, s20
	s_add_i32 s11, s12, 1
	s_sub_i32 s13, s3, s10
	s_load_dwordx4 s[20:23], s[4:5], 0x78
	s_cmp_ge_u32 s3, s10
	s_cselect_b32 s11, s11, s12
	s_cselect_b32 s3, s13, s3
	s_load_dword s13, s[4:5], 0x88
	s_add_i32 s12, s11, 1
	s_cmp_ge_u32 s3, s10
	s_cselect_b32 s3, s12, s11
	s_waitcnt lgkmcnt(0)
	s_abs_i32 s33, s23
	v_cvt_f32_u32_e32 v3, s33
	s_xor_b32 s3, s3, s2
	s_sub_i32 s10, s3, s2
	s_sub_i32 s2, 0, s33
	v_rcp_iflag_f32_e32 v3, v3
	s_add_i32 s15, s31, -1
	s_abs_i32 s11, s15
	v_mul_f32_e32 v3, 0x4f7ffffe, v3
	v_cvt_u32_f32_e32 v3, v3
	s_barrier
	v_readfirstlane_b32 s48, v3
	s_mul_i32 s2, s2, s48
	s_mul_hi_u32 s2, s48, s2
	s_add_i32 s48, s48, s2
	s_cmp_lt_i32 s13, 0
	s_mul_hi_u32 s12, s11, s48
	s_cbranch_scc0 .LBB134_7
; %bb.6:
	s_mul_i32 s2, s20, s40
	s_add_i32 s2, s10, s2
	s_mul_i32 s2, s2, s13
	s_sub_i32 s49, 1, s2
	s_mov_b64 s[2:3], 0
	s_branch .LBB134_8
.LBB134_7:
	s_mov_b64 s[2:3], -1
                                        ; implicit-def: $sgpr49
.LBB134_8:
	s_load_dwordx2 s[34:35], s[4:5], 0x38
	s_ashr_i32 s16, s15, 31
	s_andn2_b64 vcc, exec, s[2:3]
	s_ashr_i32 s23, s23, 31
	s_cbranch_vccnz .LBB134_10
; %bb.9:
	s_mul_i32 s2, s9, s20
	s_add_i32 s2, s2, s6
	s_mul_i32 s2, s2, s13
	s_add_i32 s49, s2, 1
.LBB134_10:
	s_load_dword s2, s[4:5], 0x48
	s_load_dwordx2 s[38:39], s[4:5], 0x28
	s_load_dword s15, s[4:5], 0x98
	s_load_dwordx4 s[24:27], s[4:5], 0x0
	s_load_dwordx2 s[28:29], s[4:5], 0x10
	s_mul_i32 s3, s12, s33
	s_waitcnt lgkmcnt(0)
	s_mul_i32 s36, s30, s2
	s_sub_i32 s3, s11, s3
	s_ashr_i32 s37, s36, 31
	s_xor_b32 s2, s16, s23
	s_add_i32 s11, s12, 1
	s_sub_i32 s13, s3, s33
	s_cmp_ge_u32 s3, s33
	s_cselect_b32 s11, s11, s12
	s_cselect_b32 s3, s13, s3
	s_add_i32 s12, s11, 1
	s_cmp_ge_u32 s3, s33
	s_cselect_b32 s3, s12, s11
	s_xor_b32 s3, s3, s2
	s_sub_i32 s50, s3, s2
	s_add_i32 s2, s31, 7
	s_ashr_i32 s3, s2, 31
	s_lshr_b32 s3, s3, 29
	s_add_i32 s2, s2, s3
	s_lshl_b32 s40, s8, 6
	s_ashr_i32 s16, s2, 3
	s_add_i32 s2, s40, 64
	v_lshrrev_b32_e32 v4, 6, v0
	s_min_i32 s20, s2, s16
	v_or_b32_e32 v10, s40, v4
	v_cmp_gt_i32_e64 s[2:3], s20, v10
	v_mov_b32_e32 v13, 0xff7fffff
	s_mul_i32 s18, s10, s18
	v_ashrrev_i32_e32 v11, 31, v10
	v_lshl_add_u32 v16, v4, 3, s51
	v_mbcnt_lo_u32_b32 v5, -1, 0
	s_and_saveexec_b64 s[42:43], s[2:3]
	s_cbranch_execz .LBB134_20
; %bb.11:
	s_load_dwordx2 s[4:5], s[4:5], 0x20
	s_ashr_i32 s19, s18, 31
	s_sub_i32 s52, s50, s21
	s_lshl_b64 s[10:11], s[18:19], 1
	v_bfe_u32 v6, v0, 3, 3
	s_waitcnt lgkmcnt(0)
	s_add_u32 s4, s4, s10
	s_addc_u32 s5, s5, s11
	s_abs_i32 s19, s22
	v_cvt_f32_u32_e32 v8, s19
	v_lshlrev_b32_e32 v3, 4, v6
	v_mov_b32_e32 v7, s5
	v_add_co_u32_e64 v3, s[4:5], s4, v3
	v_rcp_iflag_f32_e32 v12, v8
	v_addc_co_u32_e64 v9, s[4:5], 0, v7, s[4:5]
	v_lshlrev_b32_e32 v7, 1, v2
	v_add_co_u32_e64 v7, s[4:5], v3, v7
	v_mul_f32_e32 v3, 0x4f7ffffe, v12
	v_cvt_u32_f32_e32 v3, v3
	s_sub_i32 s10, 0, s19
	v_cmp_eq_u32_e32 vcc, 0, v2
	v_addc_co_u32_e64 v8, s[4:5], 0, v9, s[4:5]
	v_mul_u32_u24_e32 v9, 28, v2
	v_mul_lo_u32 v2, s10, v3
	s_lshl_b64 s[10:11], s[36:37], 2
	v_mul_hi_u32 v2, v3, v2
	s_add_u32 s10, s34, s10
	v_add_u32_e32 v12, v3, v2
	v_lshlrev_b64 v[2:3], 2, v[10:11]
	s_addc_u32 s11, s35, s11
	v_mov_b32_e32 v13, s11
	v_add_co_u32_e64 v2, s[10:11], s10, v2
	v_addc_co_u32_e64 v3, s[10:11], v13, v3, s[10:11]
	v_lshlrev_b32_e32 v13, 2, v6
	v_lshl_or_b32 v13, v4, 5, v13
	v_add_u32_e32 v15, 0xf0, v13
	v_subrev_u32_e32 v13, s31, v6
	v_mbcnt_hi_u32_b32 v19, -1, v5
	v_add_u32_e32 v17, 1, v13
	v_and_b32_e32 v13, 64, v19
	s_mov_b32 s53, s17
	v_cmp_neq_f32_e64 s[4:5], s7, 0
	v_lshl_add_u32 v14, v4, 3, s51
	s_mov_b64 s[44:45], 0
	v_mov_b32_e32 v18, 0xff7fffff
	v_add_u32_e32 v20, 64, v13
	v_xor_b32_e32 v21, 4, v19
	v_xor_b32_e32 v22, 2, v19
	v_xor_b32_e32 v23, 1, v19
	v_mov_b32_e32 v13, 0xff7fffff
	v_mov_b32_e32 v24, v10
	s_branch .LBB134_14
.LBB134_12:                             ;   in Loop: Header=BB134_14 Depth=1
	s_or_b64 exec, exec, s[46:47]
.LBB134_13:                             ;   in Loop: Header=BB134_14 Depth=1
	s_or_b64 exec, exec, s[12:13]
	v_add_co_u32_e64 v2, s[10:11], 8, v2
	v_add_u32_e32 v24, 2, v24
	v_addc_co_u32_e64 v3, s[10:11], 0, v3, s[10:11]
	v_cmp_le_i32_e64 s[10:11], s20, v24
	v_add_u32_e32 v14, 16, v14
	s_or_b64 s[44:45], s[10:11], s[44:45]
	v_add_u32_e32 v15, 64, v15
	s_andn2_b64 exec, exec, s[44:45]
	s_cbranch_execz .LBB134_19
.LBB134_14:                             ; =>This Inner Loop Header: Depth=1
	s_waitcnt lgkmcnt(0)
	v_sub_u32_e32 v26, 0, v14
	v_max_i32_e32 v26, v14, v26
	v_mul_hi_u32 v27, v26, s48
	v_mul_lo_u32 v28, v27, s33
	v_sub_u32_e32 v26, v26, v28
	v_add_u32_e32 v28, 1, v27
	v_cmp_le_u32_e64 s[10:11], s33, v26
	v_cndmask_b32_e64 v27, v27, v28, s[10:11]
	v_subrev_u32_e32 v28, s33, v26
	v_cndmask_b32_e64 v26, v26, v28, s[10:11]
	v_ashrrev_i32_e32 v25, 31, v14
	v_add_u32_e32 v28, 1, v27
	v_cmp_le_u32_e64 s[10:11], s33, v26
	v_xor_b32_e32 v25, s23, v25
	v_cndmask_b32_e64 v26, v27, v28, s[10:11]
	v_xor_b32_e32 v26, v26, v25
	v_sub_u32_e32 v25, v26, v25
	v_add_u32_e32 v26, s49, v25
	v_sub_u32_e32 v28, 0, v26
	v_ashrrev_i32_e32 v27, 31, v26
	v_max_i32_e32 v26, v26, v28
	v_mul_hi_u32 v28, v26, v12
	v_mul_lo_u32 v28, v28, s19
	v_sub_u32_e32 v26, v26, v28
	v_subrev_u32_e32 v28, s19, v26
	v_cmp_le_u32_e64 s[10:11], s19, v26
	v_cndmask_b32_e64 v26, v26, v28, s[10:11]
	v_subrev_u32_e32 v28, s19, v26
	v_cmp_le_u32_e64 s[10:11], s19, v26
	v_cndmask_b32_e64 v26, v26, v28, s[10:11]
	v_xor_b32_e32 v26, v26, v27
	v_sub_u32_e32 v26, v26, v27
	v_cmp_ne_u32_e64 s[10:11], 0, v26
	v_cmp_ge_i32_e64 s[12:13], s52, v25
	s_and_b64 s[10:11], s[10:11], s[12:13]
	s_and_b64 s[46:47], vcc, s[10:11]
	s_and_saveexec_b64 s[12:13], s[46:47]
	s_cbranch_execz .LBB134_16
; %bb.15:                               ;   in Loop: Header=BB134_14 Depth=1
	ds_write_b32 v15, v18
.LBB134_16:                             ;   in Loop: Header=BB134_14 Depth=1
	s_or_b64 exec, exec, s[12:13]
	s_xor_b64 s[10:11], s[10:11], -1
	s_and_saveexec_b64 s[12:13], s[10:11]
	s_cbranch_execz .LBB134_13
; %bb.17:                               ;   in Loop: Header=BB134_14 Depth=1
	global_load_dword v25, v[2:3], off
	s_waitcnt vmcnt(0)
	v_mad_i64_i32 v[26:27], s[10:11], v25, s53, 0
	v_lshlrev_b64 v[26:27], 1, v[26:27]
	v_add_co_u32_e64 v26, s[10:11], v7, v26
	v_addc_co_u32_e64 v27, s[10:11], v8, v27, s[10:11]
	global_load_ushort v25, v[26:27], off
	global_load_ushort v32, v[26:27], off offset:128
	global_load_ushort v33, v[26:27], off offset:256
	;; [unrolled: 1-line block ×13, first 2 shown]
	ds_read2_b32 v[26:27], v9 offset1:1
	ds_read2_b32 v[28:29], v9 offset0:2 offset1:3
	ds_read2_b32 v[30:31], v9 offset0:4 offset1:5
	ds_read_b32 v45, v9 offset:24
	v_cmp_lt_i32_e64 s[10:11], v21, v20
	s_waitcnt lgkmcnt(3)
	v_lshlrev_b32_e32 v47, 16, v26
	v_and_b32_e32 v26, 0xffff0000, v26
	v_lshlrev_b32_e32 v48, 16, v27
	v_and_b32_e32 v27, 0xffff0000, v27
	s_waitcnt lgkmcnt(2)
	v_lshlrev_b32_e32 v49, 16, v28
	v_and_b32_e32 v28, 0xffff0000, v28
	v_lshlrev_b32_e32 v50, 16, v29
	v_and_b32_e32 v29, 0xffff0000, v29
	;; [unrolled: 5-line block ×3, first 2 shown]
	s_waitcnt lgkmcnt(0)
	v_lshlrev_b32_e32 v53, 16, v45
	v_cndmask_b32_e64 v46, v19, v21, s[10:11]
	v_and_b32_e32 v45, 0xffff0000, v45
	v_lshlrev_b32_e32 v46, 2, v46
	v_cmp_lt_i32_e64 s[10:11], v22, v20
	s_waitcnt vmcnt(13)
	v_lshlrev_b32_e32 v25, 16, v25
	s_waitcnt vmcnt(12)
	v_lshlrev_b32_e32 v32, 16, v32
	v_mul_f32_e32 v26, v26, v32
	s_waitcnt vmcnt(11)
	v_lshlrev_b32_e32 v33, 16, v33
	v_fmac_f32_e32 v26, v47, v25
	s_waitcnt vmcnt(10)
	v_lshlrev_b32_e32 v34, 16, v34
	v_fmac_f32_e32 v26, v48, v33
	;; [unrolled: 3-line block ×11, first 2 shown]
	v_fmac_f32_e32 v26, v53, v43
	s_waitcnt vmcnt(0)
	v_lshlrev_b32_e32 v25, 16, v44
	v_fmac_f32_e32 v26, v45, v25
	ds_bpermute_b32 v25, v46, v26
	v_cndmask_b32_e64 v27, v19, v22, s[10:11]
	v_lshlrev_b32_e32 v27, 2, v27
	v_cmp_lt_i32_e64 s[10:11], v23, v20
	s_waitcnt lgkmcnt(0)
	v_add_f32_e32 v25, v26, v25
	ds_bpermute_b32 v26, v27, v25
	v_cndmask_b32_e64 v27, v19, v23, s[10:11]
	v_lshlrev_b32_e32 v27, 2, v27
	s_waitcnt lgkmcnt(0)
	v_add_f32_e32 v25, v25, v26
	ds_bpermute_b32 v26, v27, v25
	s_and_saveexec_b64 s[46:47], vcc
	s_cbranch_execz .LBB134_12
; %bb.18:                               ;   in Loop: Header=BB134_14 Depth=1
	v_add_u32_e32 v27, v17, v14
	v_cvt_f32_i32_e32 v27, v27
	s_waitcnt lgkmcnt(0)
	v_add_f32_e32 v25, v25, v26
	v_add_u32_e32 v28, v6, v14
	v_cmp_gt_i32_e64 s[10:11], s31, v28
	v_mul_f32_e32 v26, s7, v27
	v_cndmask_b32_e64 v26, 0, v26, s[4:5]
	v_fmac_f32_e32 v26, s41, v25
	v_cndmask_b32_e64 v25, 0, v26, s[10:11]
	ds_write_b32 v15, v25
	v_max_f32_e32 v25, v13, v13
	v_max_f32_e32 v25, v25, v26
	v_cndmask_b32_e64 v13, v13, v25, s[10:11]
	s_branch .LBB134_12
.LBB134_19:
	s_or_b64 exec, exec, s[44:45]
.LBB134_20:
	s_or_b64 exec, exec, s[42:43]
	v_mbcnt_hi_u32_b32 v2, -1, v5
	v_and_b32_e32 v3, 64, v2
	v_add_u32_e32 v3, 64, v3
	v_xor_b32_e32 v5, 32, v2
	v_cmp_lt_i32_e32 vcc, v5, v3
	v_cndmask_b32_e32 v5, v2, v5, vcc
	v_lshlrev_b32_e32 v7, 2, v5
	ds_bpermute_b32 v5, v7, v13
	v_xor_b32_e32 v8, 16, v2
	v_max_f32_e32 v6, v13, v13
	v_cmp_lt_i32_e32 vcc, v8, v3
	v_and_b32_e32 v17, 63, v0
	s_waitcnt lgkmcnt(0)
	v_max_f32_e32 v5, v5, v5
	v_max_f32_e32 v5, v6, v5
	v_cndmask_b32_e32 v6, v2, v8, vcc
	v_lshlrev_b32_e32 v9, 2, v6
	ds_bpermute_b32 v6, v9, v5
	v_xor_b32_e32 v8, 8, v2
	v_cmp_lt_i32_e32 vcc, v8, v3
	s_waitcnt lgkmcnt(0)
	v_max_f32_e32 v6, v6, v6
	v_max_f32_e32 v5, v5, v6
	v_cndmask_b32_e32 v6, v2, v8, vcc
	v_lshlrev_b32_e32 v12, 2, v6
	ds_bpermute_b32 v8, v12, v5
	v_cmp_eq_u32_e32 vcc, 0, v17
	v_lshlrev_b32_e32 v6, 2, v4
	s_and_saveexec_b64 s[4:5], vcc
	s_cbranch_execz .LBB134_22
; %bb.21:
	s_waitcnt lgkmcnt(0)
	v_max_f32_e32 v8, v8, v8
	v_max_f32_e32 v5, v5, v5
	;; [unrolled: 1-line block ×3, first 2 shown]
	ds_write_b32 v6, v5 offset:224
.LBB134_22:
	s_or_b64 exec, exec, s[4:5]
	v_cmp_gt_u32_e64 s[4:5], 2, v17
	v_mov_b32_e32 v5, 0xff7fffff
	s_waitcnt lgkmcnt(0)
	v_lshlrev_b32_e32 v8, 2, v17
	s_barrier
	s_and_saveexec_b64 s[10:11], s[4:5]
	s_cbranch_execz .LBB134_24
; %bb.23:
	ds_read_b32 v5, v8 offset:224
.LBB134_24:
	s_or_b64 exec, exec, s[10:11]
	v_xor_b32_e32 v13, 1, v2
	v_cmp_lt_i32_e64 s[10:11], v13, v3
	v_cndmask_b32_e64 v13, v2, v13, s[10:11]
	v_lshlrev_b32_e32 v13, 2, v13
	s_waitcnt lgkmcnt(0)
	ds_bpermute_b32 v14, v13, v5
	v_max_f32_e32 v5, v5, v5
	s_sub_i32 s7, s20, s40
	s_lshl_b32 s7, s7, 3
	s_add_i32 s7, s7, s51
	s_waitcnt lgkmcnt(0)
	v_max_f32_e32 v14, v14, v14
	v_max_f32_e32 v5, v5, v14
	v_lshlrev_b32_e32 v14, 2, v2
	v_and_b32_e32 v14, 0x100, v14
	ds_bpermute_b32 v5, v14, v5
	s_min_i32 s19, s7, s31
	s_sub_i32 s7, s19, s51
	v_cmp_gt_i32_e64 s[10:11], s7, v0
	v_mov_b32_e32 v15, 0
	s_and_saveexec_b64 s[40:41], s[10:11]
	s_cbranch_execz .LBB134_28
; %bb.25:
	v_mov_b32_e32 v15, 0xf0
	v_lshl_add_u32 v18, v0, 2, v15
	s_mov_b64 s[42:43], 0
	v_mov_b32_e32 v15, 0
	v_mov_b32_e32 v19, v0
.LBB134_26:                             ; =>This Inner Loop Header: Depth=1
	ds_read_b32 v20, v18
	v_add_u32_e32 v19, 0x80, v19
	v_cmp_le_i32_e64 s[12:13], s7, v19
	s_or_b64 s[42:43], s[12:13], s[42:43]
	s_waitcnt lgkmcnt(0)
	v_sub_f32_e32 v20, v20, v5
	v_mul_f32_e32 v20, 0x3fb8aa3b, v20
	v_exp_f32_e32 v20, v20
	ds_write_b32 v18, v20
	v_add_f32_e32 v15, v15, v20
	v_add_u32_e32 v18, 0x200, v18
	s_andn2_b64 exec, exec, s[42:43]
	s_cbranch_execnz .LBB134_26
; %bb.27:
	s_or_b64 exec, exec, s[42:43]
.LBB134_28:
	s_or_b64 exec, exec, s[40:41]
	ds_bpermute_b32 v7, v7, v15
	s_waitcnt lgkmcnt(0)
	v_add_f32_e32 v7, v15, v7
	ds_bpermute_b32 v9, v9, v7
	s_waitcnt lgkmcnt(0)
	v_add_f32_e32 v7, v7, v9
	ds_bpermute_b32 v9, v12, v7
	v_xor_b32_e32 v12, 4, v2
	v_cmp_lt_i32_e64 s[12:13], v12, v3
	v_cndmask_b32_e64 v12, v2, v12, s[12:13]
	v_lshlrev_b32_e32 v12, 2, v12
	s_waitcnt lgkmcnt(0)
	v_add_f32_e32 v7, v7, v9
	ds_bpermute_b32 v9, v12, v7
	v_xor_b32_e32 v12, 2, v2
	v_cmp_lt_i32_e64 s[12:13], v12, v3
	v_cndmask_b32_e64 v2, v2, v12, s[12:13]
	v_lshlrev_b32_e32 v2, 2, v2
	s_waitcnt lgkmcnt(0)
	v_add_f32_e32 v3, v7, v9
	ds_bpermute_b32 v2, v2, v3
	s_waitcnt lgkmcnt(0)
	v_add_f32_e32 v2, v3, v2
	ds_bpermute_b32 v3, v13, v2
	s_waitcnt lgkmcnt(0)
	v_add_f32_e32 v2, v2, v3
	s_and_saveexec_b64 s[12:13], vcc
	s_cbranch_execz .LBB134_30
; %bb.29:
	ds_write_b32 v6, v2 offset:232
.LBB134_30:
	s_or_b64 exec, exec, s[12:13]
	s_waitcnt lgkmcnt(0)
	s_barrier
	s_and_saveexec_b64 s[12:13], s[4:5]
	s_cbranch_execz .LBB134_32
; %bb.31:
	ds_read_b32 v2, v8 offset:232
.LBB134_32:
	s_or_b64 exec, exec, s[12:13]
	s_waitcnt lgkmcnt(0)
	ds_bpermute_b32 v3, v13, v2
	s_waitcnt lgkmcnt(0)
	v_add_f32_e32 v2, v2, v3
	ds_bpermute_b32 v6, v14, v2
	s_and_saveexec_b64 s[4:5], s[10:11]
	s_cbranch_execz .LBB134_45
; %bb.33:
	s_waitcnt lgkmcnt(0)
	v_add_f32_e32 v2, 0x358637bd, v6
	v_div_scale_f32 v3, s[10:11], v2, v2, 1.0
	v_rcp_f32_e32 v7, v3
	v_div_scale_f32 v8, vcc, 1.0, v2, 1.0
	s_movk_i32 s10, 0x7f
	v_fma_f32 v9, -v3, v7, 1.0
	v_fmac_f32_e32 v7, v9, v7
	v_mul_f32_e32 v9, v8, v7
	v_fma_f32 v12, -v3, v9, v8
	v_fmac_f32_e32 v9, v12, v7
	v_fma_f32 v3, -v3, v9, v8
	v_div_fmas_f32 v3, v3, v7, v9
	v_div_fixup_f32 v2, v3, v2, 1.0
	v_xad_u32 v3, v0, -1, s19
	v_subrev_u32_e32 v7, s51, v3
	v_cmp_lt_u32_e32 vcc, s10, v7
	s_mov_b64 s[12:13], -1
	v_mov_b32_e32 v3, v0
	s_and_saveexec_b64 s[10:11], vcc
	s_cbranch_execz .LBB134_42
; %bb.34:
	v_lshrrev_b32_e32 v7, 7, v7
	v_add_u32_e32 v9, -1, v7
	v_lshrrev_b32_e32 v8, 1, v9
	v_mov_b32_e32 v3, v2
	v_add_u32_e32 v8, 1, v8
	v_cmp_lt_u32_e32 vcc, 13, v9
	v_mov_b32_e32 v13, 0
	s_and_saveexec_b64 s[12:13], vcc
	s_cbranch_execz .LBB134_38
; %bb.35:
	v_mov_b32_e32 v12, 0xf0
	v_and_b32_e32 v9, -8, v8
	v_lshl_add_u32 v12, v0, 2, v12
	s_mov_b32 s19, 0
	s_mov_b64 s[40:41], 0
.LBB134_36:                             ; =>This Inner Loop Header: Depth=1
	ds_read2st64_b32 v[14:15], v12 offset1:2
	ds_read2st64_b32 v[18:19], v12 offset0:4 offset1:6
	ds_read2st64_b32 v[20:21], v12 offset0:8 offset1:10
	;; [unrolled: 1-line block ×3, first 2 shown]
	v_add_u32_e32 v9, -8, v9
	s_waitcnt lgkmcnt(3)
	v_pk_mul_f32 v[14:15], v[2:3], v[14:15]
	s_waitcnt lgkmcnt(2)
	v_pk_mul_f32 v[18:19], v[2:3], v[18:19]
	ds_write2st64_b32 v12, v14, v15 offset1:2
	ds_write2st64_b32 v12, v18, v19 offset0:4 offset1:6
	ds_read2st64_b32 v[18:19], v12 offset0:16 offset1:18
	s_waitcnt lgkmcnt(4)
	v_pk_mul_f32 v[14:15], v[2:3], v[20:21]
	ds_write2st64_b32 v12, v14, v15 offset0:8 offset1:10
	s_waitcnt lgkmcnt(4)
	v_pk_mul_f32 v[14:15], v[2:3], v[22:23]
	ds_write2st64_b32 v12, v14, v15 offset0:12 offset1:14
	ds_read2st64_b32 v[14:15], v12 offset0:20 offset1:22
	s_waitcnt lgkmcnt(3)
	v_pk_mul_f32 v[18:19], v[2:3], v[18:19]
	ds_read2st64_b32 v[20:21], v12 offset0:24 offset1:26
	ds_write2st64_b32 v12, v18, v19 offset0:16 offset1:18
	ds_read2st64_b32 v[18:19], v12 offset0:28 offset1:30
	s_waitcnt lgkmcnt(3)
	v_pk_mul_f32 v[14:15], v[2:3], v[14:15]
	ds_write2st64_b32 v12, v14, v15 offset0:20 offset1:22
	s_waitcnt lgkmcnt(3)
	v_pk_mul_f32 v[14:15], v[2:3], v[20:21]
	ds_write2st64_b32 v12, v14, v15 offset0:24 offset1:26
	s_waitcnt lgkmcnt(2)
	v_pk_mul_f32 v[14:15], v[2:3], v[18:19]
	s_add_i32 s19, s19, 16
	v_cmp_eq_u32_e32 vcc, 0, v9
	ds_write2st64_b32 v12, v14, v15 offset0:28 offset1:30
	v_add_u32_e32 v12, 0x2000, v12
	s_or_b64 s[40:41], vcc, s[40:41]
	v_mov_b32_e32 v13, s19
	s_andn2_b64 exec, exec, s[40:41]
	s_cbranch_execnz .LBB134_36
; %bb.37:
	s_or_b64 exec, exec, s[40:41]
.LBB134_38:
	s_or_b64 exec, exec, s[12:13]
	v_and_b32_e32 v8, 7, v8
	v_cmp_ne_u32_e32 vcc, 0, v8
	s_and_saveexec_b64 s[12:13], vcc
	s_cbranch_execz .LBB134_41
; %bb.39:
	v_lshlrev_b32_e32 v9, 9, v13
	v_lshlrev_b32_e32 v12, 2, v0
	s_movk_i32 s19, 0xf0
	v_add3_u32 v9, v9, v12, s19
	s_mov_b64 s[40:41], 0
.LBB134_40:                             ; =>This Inner Loop Header: Depth=1
	ds_read2st64_b32 v[12:13], v9 offset1:2
	v_add_u32_e32 v8, -1, v8
	v_cmp_eq_u32_e32 vcc, 0, v8
	s_or_b64 s[40:41], vcc, s[40:41]
	s_waitcnt lgkmcnt(0)
	v_pk_mul_f32 v[12:13], v[2:3], v[12:13]
	ds_write2st64_b32 v9, v12, v13 offset1:2
	v_add_u32_e32 v9, 0x400, v9
	s_andn2_b64 exec, exec, s[40:41]
	s_cbranch_execnz .LBB134_40
.LBB134_41:
	s_or_b64 exec, exec, s[12:13]
	v_add_u32_e32 v7, 1, v7
	v_and_b32_e32 v8, 0x3fffffe, v7
	v_cmp_ne_u32_e32 vcc, v7, v8
	v_lshl_add_u32 v3, v8, 7, v0
	s_orn2_b64 s[12:13], vcc, exec
.LBB134_42:
	s_or_b64 exec, exec, s[10:11]
	s_and_b64 exec, exec, s[12:13]
	s_cbranch_execz .LBB134_45
; %bb.43:
	v_mov_b32_e32 v7, 0xf0
	v_lshl_add_u32 v7, v3, 2, v7
	s_mov_b64 s[10:11], 0
.LBB134_44:                             ; =>This Inner Loop Header: Depth=1
	ds_read_b32 v8, v7
	v_add_u32_e32 v3, 0x80, v3
	v_cmp_le_i32_e32 vcc, s7, v3
	s_or_b64 s[10:11], vcc, s[10:11]
	s_waitcnt lgkmcnt(0)
	v_mul_f32_e32 v8, v2, v8
	ds_write_b32 v7, v8
	v_add_u32_e32 v7, 0x200, v7
	s_andn2_b64 exec, exec, s[10:11]
	s_cbranch_execnz .LBB134_44
.LBB134_45:
	s_or_b64 exec, exec, s[4:5]
	s_mul_i32 s4, s15, s30
	v_cmp_eq_u32_e32 vcc, 0, v0
	s_mul_i32 s10, s4, s9
	s_waitcnt lgkmcnt(0)
	s_barrier
	s_and_saveexec_b64 s[4:5], vcc
	s_cbranch_execz .LBB134_47
; %bb.46:
	s_ashr_i32 s11, s10, 31
	s_lshl_b64 s[12:13], s[10:11], 2
	s_add_u32 s9, s26, s12
	s_mul_i32 s6, s15, s6
	s_addc_u32 s11, s27, s13
	s_ashr_i32 s7, s6, 31
	s_lshl_b64 s[6:7], s[6:7], 2
	s_add_u32 s19, s9, s6
	s_addc_u32 s11, s11, s7
	s_ashr_i32 s9, s8, 31
	s_lshl_b64 s[26:27], s[8:9], 2
	s_add_u32 s40, s19, s26
	s_addc_u32 s41, s11, s27
	s_add_u32 s9, s24, s12
	s_addc_u32 s11, s25, s13
	;; [unrolled: 2-line block ×3, first 2 shown]
	s_add_u32 s6, s6, s26
	v_mov_b32_e32 v2, 0
	s_addc_u32 s7, s7, s27
	global_store_dword v2, v5, s[40:41]
	global_store_dword v2, v6, s[6:7]
.LBB134_47:
	s_or_b64 exec, exec, s[4:5]
	v_mov_b32_e32 v13, 0
	v_mov_b32_e32 v12, v13
	s_and_saveexec_b64 s[6:7], s[2:3]
	s_cbranch_execz .LBB134_155
; %bb.48:
	s_ashr_i32 s19, s18, 31
	s_sub_i32 s9, s50, s21
	s_lshl_b64 s[2:3], s[18:19], 1
	s_add_u32 s11, s38, s2
	s_addc_u32 s21, s39, s3
	s_abs_i32 s22, s22
	v_cvt_f32_u32_e32 v3, s22
	v_or_b32_e32 v5, 64, v17
	s_movk_i32 s2, 0x70
	v_cmp_gt_u32_e32 vcc, s2, v5
	v_rcp_iflag_f32_e32 v3, v3
	s_sub_i32 s2, 0, s22
	s_add_i32 s25, s16, -1
	v_lshlrev_b32_e32 v6, 3, v5
	v_mul_f32_e32 v3, 0x4f7ffffe, v3
	v_cvt_u32_f32_e32 v3, v3
	v_lshlrev_b64 v[8:9], 2, v[10:11]
	v_lshlrev_b32_e32 v2, 3, v17
	v_mov_b32_e32 v18, 0
	v_mul_lo_u32 v5, s2, v3
	s_lshl_b64 s[2:3], s[36:37], 2
	s_add_u32 s2, s34, s2
	v_mul_hi_u32 v5, v3, v5
	s_addc_u32 s3, s35, s3
	v_add_u32_e32 v19, v3, v5
	v_mov_b32_e32 v3, s3
	v_add_co_u32_e64 v14, s[2:3], s2, v8
	v_addc_co_u32_e64 v15, s[2:3], v3, v9, s[2:3]
	v_mov_b32_e32 v3, 0xf0
	s_mov_b32 s24, s17
	v_lshl_add_u32 v11, v4, 5, v3
	s_mov_b64 s[12:13], 0
	s_mov_b32 s26, 0x7f800000
	s_movk_i32 s27, 0x7fff
	v_lshlrev_b32_e32 v20, 1, v2
	v_lshlrev_b32_e32 v21, 1, v6
	v_mov_b32_e32 v12, 0
	v_mov_b32_e32 v13, v18
	s_branch .LBB134_52
.LBB134_49:                             ;   in Loop: Header=BB134_52 Depth=1
	s_or_b64 exec, exec, s[4:5]
	v_and_b32_e32 v24, 0xffff0000, v9
	v_and_b32_e32 v9, 0xffff0000, v22
	;; [unrolled: 1-line block ×5, first 2 shown]
	v_pk_add_f32 v[2:3], v[2:3], v[8:9]
	v_and_b32_e32 v25, 0xffff0000, v23
	v_and_b32_e32 v5, 0xffff0000, v5
	;; [unrolled: 1-line block ×3, first 2 shown]
	v_mov_b32_e32 v8, v3
	v_pk_add_f32 v[2:3], v[2:3], v[8:9]
	v_pk_add_f32 v[4:5], v[4:5], v[24:25]
	v_pk_add_f32 v[2:3], v[2:3], v[4:5]
	v_mov_b32_e32 v4, v5
	v_pk_add_f32 v[2:3], v[2:3], v[4:5]
	v_mov_b32_e32 v3, v2
	v_pk_add_f32 v[12:13], v[12:13], v[2:3]
.LBB134_50:                             ;   in Loop: Header=BB134_52 Depth=1
	s_or_b64 exec, exec, s[18:19]
	v_mov_b32_e32 v12, v6
.LBB134_51:                             ;   in Loop: Header=BB134_52 Depth=1
	s_or_b64 exec, exec, s[16:17]
	v_add_co_u32_e64 v14, s[2:3], 8, v14
	v_add_u32_e32 v10, 2, v10
	v_addc_co_u32_e64 v15, s[2:3], 0, v15, s[2:3]
	v_cmp_le_i32_e64 s[2:3], s20, v10
	v_add_u32_e32 v16, 16, v16
	s_or_b64 s[12:13], s[2:3], s[12:13]
	v_add_u32_e32 v11, 64, v11
	s_andn2_b64 exec, exec, s[12:13]
	s_cbranch_execz .LBB134_154
.LBB134_52:                             ; =>This Inner Loop Header: Depth=1
	v_sub_u32_e32 v3, 0, v16
	v_max_i32_e32 v3, v16, v3
	v_mul_hi_u32 v4, v3, s48
	v_mul_lo_u32 v5, v4, s33
	v_sub_u32_e32 v3, v3, v5
	v_add_u32_e32 v5, 1, v4
	v_cmp_le_u32_e64 s[2:3], s33, v3
	v_cndmask_b32_e64 v4, v4, v5, s[2:3]
	v_subrev_u32_e32 v5, s33, v3
	v_cndmask_b32_e64 v3, v3, v5, s[2:3]
	v_ashrrev_i32_e32 v2, 31, v16
	v_add_u32_e32 v5, 1, v4
	v_cmp_le_u32_e64 s[2:3], s33, v3
	v_xor_b32_e32 v2, s23, v2
	v_cndmask_b32_e64 v3, v4, v5, s[2:3]
	v_xor_b32_e32 v3, v3, v2
	v_sub_u32_e32 v2, v3, v2
	v_add_u32_e32 v3, s49, v2
	v_sub_u32_e32 v5, 0, v3
	v_ashrrev_i32_e32 v4, 31, v3
	v_max_i32_e32 v3, v3, v5
	v_mul_hi_u32 v5, v3, v19
	v_mul_lo_u32 v5, v5, s22
	v_sub_u32_e32 v3, v3, v5
	v_subrev_u32_e32 v5, s22, v3
	v_cmp_le_u32_e64 s[2:3], s22, v3
	v_cndmask_b32_e64 v3, v3, v5, s[2:3]
	v_subrev_u32_e32 v5, s22, v3
	v_cmp_le_u32_e64 s[2:3], s22, v3
	v_cndmask_b32_e64 v3, v3, v5, s[2:3]
	v_xor_b32_e32 v3, v3, v4
	v_sub_u32_e32 v3, v3, v4
	v_cmp_eq_u32_e64 s[2:3], 0, v3
	v_cmp_lt_i32_e64 s[4:5], s9, v2
	s_or_b64 s[2:3], s[2:3], s[4:5]
	s_and_saveexec_b64 s[16:17], s[2:3]
	s_cbranch_execz .LBB134_51
; %bb.53:                               ;   in Loop: Header=BB134_52 Depth=1
	global_load_dword v28, v[14:15], off
	ds_read2_b64 v[6:9], v11 offset1:1
	ds_read2_b64 v[2:5], v11 offset0:2 offset1:3
	s_waitcnt lgkmcnt(1)
	v_and_b32_e32 v22, 0x7f800000, v6
	v_cmp_ne_u32_e64 s[2:3], s26, v22
                                        ; implicit-def: $vgpr22
	s_and_saveexec_b64 s[4:5], s[2:3]
	s_xor_b64 s[2:3], exec, s[4:5]
; %bb.54:                               ;   in Loop: Header=BB134_52 Depth=1
	v_bfe_u32 v22, v6, 16, 1
	v_add3_u32 v22, v6, v22, s27
; %bb.55:                               ;   in Loop: Header=BB134_52 Depth=1
	s_andn2_saveexec_b64 s[4:5], s[2:3]
; %bb.56:                               ;   in Loop: Header=BB134_52 Depth=1
	v_or_b32_e32 v22, 0x10000, v6
	v_cmp_eq_u32_sdwa s[2:3], v6, v18 src0_sel:WORD_0 src1_sel:DWORD
	v_cndmask_b32_e64 v22, v22, v6, s[2:3]
; %bb.57:                               ;   in Loop: Header=BB134_52 Depth=1
	s_or_b64 exec, exec, s[4:5]
	v_and_b32_e32 v6, 0x7f800000, v7
	v_cmp_ne_u32_e64 s[2:3], s26, v6
                                        ; implicit-def: $vgpr23
	s_and_saveexec_b64 s[4:5], s[2:3]
	s_xor_b64 s[2:3], exec, s[4:5]
; %bb.58:                               ;   in Loop: Header=BB134_52 Depth=1
	v_bfe_u32 v6, v7, 16, 1
	v_add3_u32 v23, v7, v6, s27
; %bb.59:                               ;   in Loop: Header=BB134_52 Depth=1
	s_andn2_saveexec_b64 s[4:5], s[2:3]
; %bb.60:                               ;   in Loop: Header=BB134_52 Depth=1
	v_or_b32_e32 v6, 0x10000, v7
	v_cmp_eq_u32_sdwa s[2:3], v7, v18 src0_sel:WORD_0 src1_sel:DWORD
	v_cndmask_b32_e64 v23, v6, v7, s[2:3]
; %bb.61:                               ;   in Loop: Header=BB134_52 Depth=1
	s_or_b64 exec, exec, s[4:5]
	v_and_b32_e32 v6, 0x7f800000, v8
	v_cmp_ne_u32_e64 s[2:3], s26, v6
                                        ; implicit-def: $vgpr24
	s_and_saveexec_b64 s[4:5], s[2:3]
	s_xor_b64 s[2:3], exec, s[4:5]
; %bb.62:                               ;   in Loop: Header=BB134_52 Depth=1
	v_bfe_u32 v6, v8, 16, 1
	v_add3_u32 v24, v8, v6, s27
; %bb.63:                               ;   in Loop: Header=BB134_52 Depth=1
	s_andn2_saveexec_b64 s[4:5], s[2:3]
; %bb.64:                               ;   in Loop: Header=BB134_52 Depth=1
	v_or_b32_e32 v6, 0x10000, v8
	v_cmp_eq_u32_sdwa s[2:3], v8, v18 src0_sel:WORD_0 src1_sel:DWORD
	v_cndmask_b32_e64 v24, v6, v8, s[2:3]
; %bb.65:                               ;   in Loop: Header=BB134_52 Depth=1
	s_or_b64 exec, exec, s[4:5]
	v_and_b32_e32 v6, 0x7f800000, v9
	v_cmp_ne_u32_e64 s[2:3], s26, v6
                                        ; implicit-def: $vgpr25
	s_and_saveexec_b64 s[4:5], s[2:3]
	s_xor_b64 s[2:3], exec, s[4:5]
; %bb.66:                               ;   in Loop: Header=BB134_52 Depth=1
	v_bfe_u32 v6, v9, 16, 1
	v_add3_u32 v25, v9, v6, s27
                                        ; implicit-def: $vgpr6_vgpr7_vgpr8_vgpr9
; %bb.67:                               ;   in Loop: Header=BB134_52 Depth=1
	s_andn2_saveexec_b64 s[4:5], s[2:3]
; %bb.68:                               ;   in Loop: Header=BB134_52 Depth=1
	v_or_b32_e32 v6, 0x10000, v9
	v_cmp_eq_u32_sdwa s[2:3], v9, v18 src0_sel:WORD_0 src1_sel:DWORD
	v_cndmask_b32_e64 v25, v6, v9, s[2:3]
; %bb.69:                               ;   in Loop: Header=BB134_52 Depth=1
	s_or_b64 exec, exec, s[4:5]
	s_waitcnt lgkmcnt(0)
	v_and_b32_e32 v6, 0x7f800000, v2
	v_cmp_ne_u32_e64 s[2:3], s26, v6
                                        ; implicit-def: $vgpr26
	s_and_saveexec_b64 s[4:5], s[2:3]
	s_xor_b64 s[2:3], exec, s[4:5]
; %bb.70:                               ;   in Loop: Header=BB134_52 Depth=1
	v_bfe_u32 v6, v2, 16, 1
	v_add3_u32 v26, v2, v6, s27
; %bb.71:                               ;   in Loop: Header=BB134_52 Depth=1
	s_andn2_saveexec_b64 s[4:5], s[2:3]
; %bb.72:                               ;   in Loop: Header=BB134_52 Depth=1
	v_or_b32_e32 v6, 0x10000, v2
	v_cmp_eq_u32_sdwa s[2:3], v2, v18 src0_sel:WORD_0 src1_sel:DWORD
	v_cndmask_b32_e64 v26, v6, v2, s[2:3]
; %bb.73:                               ;   in Loop: Header=BB134_52 Depth=1
	s_or_b64 exec, exec, s[4:5]
	v_and_b32_e32 v2, 0x7f800000, v3
	v_cmp_ne_u32_e64 s[2:3], s26, v2
                                        ; implicit-def: $vgpr27
	s_and_saveexec_b64 s[4:5], s[2:3]
	s_xor_b64 s[2:3], exec, s[4:5]
; %bb.74:                               ;   in Loop: Header=BB134_52 Depth=1
	v_bfe_u32 v2, v3, 16, 1
	v_add3_u32 v27, v3, v2, s27
; %bb.75:                               ;   in Loop: Header=BB134_52 Depth=1
	s_andn2_saveexec_b64 s[4:5], s[2:3]
; %bb.76:                               ;   in Loop: Header=BB134_52 Depth=1
	v_or_b32_e32 v2, 0x10000, v3
	v_cmp_eq_u32_sdwa s[2:3], v3, v18 src0_sel:WORD_0 src1_sel:DWORD
	v_cndmask_b32_e64 v27, v2, v3, s[2:3]
; %bb.77:                               ;   in Loop: Header=BB134_52 Depth=1
	s_or_b64 exec, exec, s[4:5]
	v_and_b32_e32 v2, 0x7f800000, v4
	v_cmp_ne_u32_e64 s[2:3], s26, v2
                                        ; implicit-def: $vgpr7
	s_and_saveexec_b64 s[4:5], s[2:3]
	s_xor_b64 s[2:3], exec, s[4:5]
; %bb.78:                               ;   in Loop: Header=BB134_52 Depth=1
	v_bfe_u32 v2, v4, 16, 1
	v_add3_u32 v7, v4, v2, s27
; %bb.79:                               ;   in Loop: Header=BB134_52 Depth=1
	s_andn2_saveexec_b64 s[4:5], s[2:3]
; %bb.80:                               ;   in Loop: Header=BB134_52 Depth=1
	v_or_b32_e32 v2, 0x10000, v4
	v_cmp_eq_u32_sdwa s[2:3], v4, v18 src0_sel:WORD_0 src1_sel:DWORD
	v_cndmask_b32_e64 v7, v2, v4, s[2:3]
; %bb.81:                               ;   in Loop: Header=BB134_52 Depth=1
	s_or_b64 exec, exec, s[4:5]
	v_and_b32_e32 v2, 0x7f800000, v5
	v_cmp_ne_u32_e64 s[2:3], s26, v2
                                        ; implicit-def: $vgpr6
	s_and_saveexec_b64 s[4:5], s[2:3]
	s_xor_b64 s[2:3], exec, s[4:5]
; %bb.82:                               ;   in Loop: Header=BB134_52 Depth=1
	v_bfe_u32 v2, v5, 16, 1
	v_add3_u32 v6, v5, v2, s27
                                        ; implicit-def: $vgpr2_vgpr3_vgpr4_vgpr5
; %bb.83:                               ;   in Loop: Header=BB134_52 Depth=1
	s_andn2_saveexec_b64 s[4:5], s[2:3]
; %bb.84:                               ;   in Loop: Header=BB134_52 Depth=1
	v_or_b32_e32 v2, 0x10000, v5
	v_cmp_eq_u32_sdwa s[2:3], v5, v18 src0_sel:WORD_0 src1_sel:DWORD
	v_cndmask_b32_e64 v6, v2, v5, s[2:3]
; %bb.85:                               ;   in Loop: Header=BB134_52 Depth=1
	s_or_b64 exec, exec, s[4:5]
	s_waitcnt vmcnt(0)
	v_mad_i64_i32 v[2:3], s[2:3], v28, s24, 0
	v_lshlrev_b64 v[2:3], 1, v[2:3]
	v_mov_b32_e32 v4, s21
	v_add_co_u32_e64 v8, s[2:3], s11, v2
	v_addc_co_u32_e64 v9, s[2:3], v4, v3, s[2:3]
	v_add_co_u32_e64 v2, s[2:3], v8, v20
	v_addc_co_u32_e64 v3, s[2:3], 0, v9, s[2:3]
	global_load_dwordx4 v[2:5], v[2:3], off
	v_cmp_eq_u32_e64 s[2:3], s25, v10
	s_waitcnt vmcnt(0)
	v_lshrrev_b32_e32 v31, 16, v2
	v_lshrrev_b32_e32 v29, 16, v3
	;; [unrolled: 1-line block ×4, first 2 shown]
	s_and_saveexec_b64 s[18:19], s[2:3]
	s_cbranch_execz .LBB134_87
; %bb.86:                               ;   in Loop: Header=BB134_52 Depth=1
	v_cmp_gt_i32_e64 s[4:5], s31, v16
	v_add_u32_e32 v32, 1, v16
	v_cndmask_b32_e64 v2, 0, v2, s[4:5]
	v_cmp_gt_i32_e64 s[4:5], s31, v32
	v_add_u32_e32 v32, 2, v16
	v_cndmask_b32_e64 v31, 0, v31, s[4:5]
	;; [unrolled: 3-line block ×7, first 2 shown]
	v_cmp_gt_i32_e64 s[4:5], s31, v32
	v_cndmask_b32_e64 v30, 0, v30, s[4:5]
.LBB134_87:                             ;   in Loop: Header=BB134_52 Depth=1
	s_or_b64 exec, exec, s[18:19]
	v_and_b32_e32 v22, 0xffff0000, v22
	v_lshlrev_b32_e32 v2, 16, v2
	v_mul_f32_e32 v32, v22, v2
	v_and_b32_e32 v2, 0x7f800000, v32
	v_cmp_ne_u32_e64 s[4:5], s26, v2
                                        ; implicit-def: $vgpr2
	s_and_saveexec_b64 s[18:19], s[4:5]
	s_xor_b64 s[4:5], exec, s[18:19]
; %bb.88:                               ;   in Loop: Header=BB134_52 Depth=1
	v_bfe_u32 v2, v32, 16, 1
	v_add3_u32 v2, v32, v2, s27
                                        ; implicit-def: $vgpr32
; %bb.89:                               ;   in Loop: Header=BB134_52 Depth=1
	s_andn2_saveexec_b64 s[18:19], s[4:5]
; %bb.90:                               ;   in Loop: Header=BB134_52 Depth=1
	v_or_b32_e32 v2, 0x10000, v32
	v_cmp_eq_u32_sdwa s[4:5], v32, v18 src0_sel:WORD_0 src1_sel:DWORD
	v_cndmask_b32_e64 v2, v2, v32, s[4:5]
; %bb.91:                               ;   in Loop: Header=BB134_52 Depth=1
	s_or_b64 exec, exec, s[18:19]
	v_and_b32_e32 v23, 0xffff0000, v23
	v_lshlrev_b32_e32 v31, 16, v31
	v_mul_f32_e32 v32, v23, v31
	v_and_b32_e32 v31, 0x7f800000, v32
	v_cmp_ne_u32_e64 s[4:5], s26, v31
                                        ; implicit-def: $vgpr31
	s_and_saveexec_b64 s[18:19], s[4:5]
	s_xor_b64 s[4:5], exec, s[18:19]
; %bb.92:                               ;   in Loop: Header=BB134_52 Depth=1
	v_bfe_u32 v31, v32, 16, 1
	v_add3_u32 v31, v32, v31, s27
                                        ; implicit-def: $vgpr32
; %bb.93:                               ;   in Loop: Header=BB134_52 Depth=1
	s_andn2_saveexec_b64 s[18:19], s[4:5]
; %bb.94:                               ;   in Loop: Header=BB134_52 Depth=1
	v_or_b32_e32 v31, 0x10000, v32
	v_cmp_eq_u32_sdwa s[4:5], v32, v18 src0_sel:WORD_0 src1_sel:DWORD
	v_cndmask_b32_e64 v31, v31, v32, s[4:5]
; %bb.95:                               ;   in Loop: Header=BB134_52 Depth=1
	s_or_b64 exec, exec, s[18:19]
	v_and_b32_e32 v24, 0xffff0000, v24
	v_lshlrev_b32_e32 v3, 16, v3
	v_mul_f32_e32 v32, v24, v3
	v_and_b32_e32 v3, 0x7f800000, v32
	v_cmp_ne_u32_e64 s[4:5], s26, v3
                                        ; implicit-def: $vgpr3
	s_and_saveexec_b64 s[18:19], s[4:5]
	s_xor_b64 s[4:5], exec, s[18:19]
; %bb.96:                               ;   in Loop: Header=BB134_52 Depth=1
	v_bfe_u32 v3, v32, 16, 1
	v_add3_u32 v3, v32, v3, s27
                                        ; implicit-def: $vgpr32
; %bb.97:                               ;   in Loop: Header=BB134_52 Depth=1
	s_andn2_saveexec_b64 s[18:19], s[4:5]
; %bb.98:                               ;   in Loop: Header=BB134_52 Depth=1
	v_or_b32_e32 v3, 0x10000, v32
	v_cmp_eq_u32_sdwa s[4:5], v32, v18 src0_sel:WORD_0 src1_sel:DWORD
	v_cndmask_b32_e64 v3, v3, v32, s[4:5]
; %bb.99:                               ;   in Loop: Header=BB134_52 Depth=1
	s_or_b64 exec, exec, s[18:19]
	v_and_b32_e32 v25, 0xffff0000, v25
	v_lshlrev_b32_e32 v29, 16, v29
	v_mul_f32_e32 v29, v25, v29
	v_and_b32_e32 v32, 0x7f800000, v29
	v_cmp_ne_u32_e64 s[4:5], s26, v32
                                        ; implicit-def: $vgpr32
	s_and_saveexec_b64 s[18:19], s[4:5]
	s_xor_b64 s[4:5], exec, s[18:19]
; %bb.100:                              ;   in Loop: Header=BB134_52 Depth=1
	v_bfe_u32 v32, v29, 16, 1
	v_add3_u32 v32, v29, v32, s27
                                        ; implicit-def: $vgpr29
; %bb.101:                              ;   in Loop: Header=BB134_52 Depth=1
	s_andn2_saveexec_b64 s[18:19], s[4:5]
; %bb.102:                              ;   in Loop: Header=BB134_52 Depth=1
	v_or_b32_e32 v32, 0x10000, v29
	v_cmp_eq_u32_sdwa s[4:5], v29, v18 src0_sel:WORD_0 src1_sel:DWORD
	v_cndmask_b32_e64 v32, v32, v29, s[4:5]
; %bb.103:                              ;   in Loop: Header=BB134_52 Depth=1
	s_or_b64 exec, exec, s[18:19]
	v_and_b32_e32 v26, 0xffff0000, v26
	v_lshlrev_b32_e32 v4, 16, v4
	v_mul_f32_e32 v29, v26, v4
	v_and_b32_e32 v4, 0x7f800000, v29
	v_cmp_ne_u32_e64 s[4:5], s26, v4
                                        ; implicit-def: $vgpr4
	s_and_saveexec_b64 s[18:19], s[4:5]
	s_xor_b64 s[4:5], exec, s[18:19]
; %bb.104:                              ;   in Loop: Header=BB134_52 Depth=1
	v_bfe_u32 v4, v29, 16, 1
	v_add3_u32 v4, v29, v4, s27
                                        ; implicit-def: $vgpr29
; %bb.105:                              ;   in Loop: Header=BB134_52 Depth=1
	s_andn2_saveexec_b64 s[18:19], s[4:5]
; %bb.106:                              ;   in Loop: Header=BB134_52 Depth=1
	v_or_b32_e32 v4, 0x10000, v29
	v_cmp_eq_u32_sdwa s[4:5], v29, v18 src0_sel:WORD_0 src1_sel:DWORD
	v_cndmask_b32_e64 v4, v4, v29, s[4:5]
; %bb.107:                              ;   in Loop: Header=BB134_52 Depth=1
	s_or_b64 exec, exec, s[18:19]
	v_and_b32_e32 v27, 0xffff0000, v27
	v_lshlrev_b32_e32 v28, 16, v28
	v_mul_f32_e32 v28, v27, v28
	v_and_b32_e32 v29, 0x7f800000, v28
	v_cmp_ne_u32_e64 s[4:5], s26, v29
                                        ; implicit-def: $vgpr33
	s_and_saveexec_b64 s[18:19], s[4:5]
	s_xor_b64 s[4:5], exec, s[18:19]
; %bb.108:                              ;   in Loop: Header=BB134_52 Depth=1
	v_bfe_u32 v29, v28, 16, 1
	v_add3_u32 v33, v28, v29, s27
                                        ; implicit-def: $vgpr28
; %bb.109:                              ;   in Loop: Header=BB134_52 Depth=1
	s_andn2_saveexec_b64 s[18:19], s[4:5]
; %bb.110:                              ;   in Loop: Header=BB134_52 Depth=1
	v_or_b32_e32 v29, 0x10000, v28
	v_cmp_eq_u32_sdwa s[4:5], v28, v18 src0_sel:WORD_0 src1_sel:DWORD
	v_cndmask_b32_e64 v33, v29, v28, s[4:5]
; %bb.111:                              ;   in Loop: Header=BB134_52 Depth=1
	s_or_b64 exec, exec, s[18:19]
	v_and_b32_e32 v28, 0xffff0000, v7
	v_lshlrev_b32_e32 v5, 16, v5
	v_mul_f32_e32 v7, v28, v5
	v_and_b32_e32 v5, 0x7f800000, v7
	v_cmp_ne_u32_e64 s[4:5], s26, v5
                                        ; implicit-def: $vgpr5
	s_and_saveexec_b64 s[18:19], s[4:5]
	s_xor_b64 s[4:5], exec, s[18:19]
; %bb.112:                              ;   in Loop: Header=BB134_52 Depth=1
	v_bfe_u32 v5, v7, 16, 1
	v_add3_u32 v5, v7, v5, s27
                                        ; implicit-def: $vgpr7
; %bb.113:                              ;   in Loop: Header=BB134_52 Depth=1
	s_andn2_saveexec_b64 s[18:19], s[4:5]
; %bb.114:                              ;   in Loop: Header=BB134_52 Depth=1
	v_or_b32_e32 v5, 0x10000, v7
	v_cmp_eq_u32_sdwa s[4:5], v7, v18 src0_sel:WORD_0 src1_sel:DWORD
	v_cndmask_b32_e64 v5, v5, v7, s[4:5]
; %bb.115:                              ;   in Loop: Header=BB134_52 Depth=1
	s_or_b64 exec, exec, s[18:19]
	v_and_b32_e32 v29, 0xffff0000, v6
	v_lshlrev_b32_e32 v6, 16, v30
	v_mul_f32_e32 v6, v29, v6
	v_and_b32_e32 v7, 0x7f800000, v6
	v_cmp_ne_u32_e64 s[4:5], s26, v7
                                        ; implicit-def: $vgpr7
	s_and_saveexec_b64 s[18:19], s[4:5]
	s_xor_b64 s[4:5], exec, s[18:19]
; %bb.116:                              ;   in Loop: Header=BB134_52 Depth=1
	v_bfe_u32 v7, v6, 16, 1
	v_add3_u32 v7, v6, v7, s27
                                        ; implicit-def: $vgpr6
; %bb.117:                              ;   in Loop: Header=BB134_52 Depth=1
	s_andn2_saveexec_b64 s[18:19], s[4:5]
; %bb.118:                              ;   in Loop: Header=BB134_52 Depth=1
	v_or_b32_e32 v7, 0x10000, v6
	v_cmp_eq_u32_sdwa s[4:5], v6, v18 src0_sel:WORD_0 src1_sel:DWORD
	v_cndmask_b32_e64 v7, v7, v6, s[4:5]
; %bb.119:                              ;   in Loop: Header=BB134_52 Depth=1
	s_or_b64 exec, exec, s[18:19]
	v_and_b32_e32 v6, 0xffff0000, v33
	v_and_b32_e32 v33, 0xffff0000, v32
	;; [unrolled: 1-line block ×5, first 2 shown]
	v_pk_add_f32 v[2:3], v[2:3], v[32:33]
	v_and_b32_e32 v7, 0xffff0000, v7
	v_and_b32_e32 v5, 0xffff0000, v5
	;; [unrolled: 1-line block ×3, first 2 shown]
	v_mov_b32_e32 v30, v3
	v_pk_add_f32 v[2:3], v[2:3], v[30:31]
	v_pk_add_f32 v[4:5], v[4:5], v[6:7]
	;; [unrolled: 1-line block ×3, first 2 shown]
	v_mov_b32_e32 v4, v5
	v_pk_add_f32 v[2:3], v[2:3], v[4:5]
	v_pk_add_f32 v[6:7], v[12:13], v[2:3]
	s_and_saveexec_b64 s[18:19], vcc
	s_cbranch_execz .LBB134_50
; %bb.120:                              ;   in Loop: Header=BB134_52 Depth=1
	v_add_co_u32_e64 v2, s[4:5], v8, v21
	v_addc_co_u32_e64 v3, s[4:5], 0, v9, s[4:5]
	global_load_dwordx4 v[2:5], v[2:3], off
	s_waitcnt vmcnt(0)
	v_lshrrev_b32_e32 v8, 16, v2
	v_lshrrev_b32_e32 v30, 16, v3
	;; [unrolled: 1-line block ×4, first 2 shown]
	s_and_saveexec_b64 s[4:5], s[2:3]
	s_cbranch_execz .LBB134_122
; %bb.121:                              ;   in Loop: Header=BB134_52 Depth=1
	v_cmp_gt_i32_e64 s[2:3], s31, v16
	v_add_u32_e32 v31, 1, v16
	v_cndmask_b32_e64 v2, 0, v2, s[2:3]
	v_cmp_gt_i32_e64 s[2:3], s31, v31
	v_add_u32_e32 v31, 2, v16
	v_cndmask_b32_e64 v8, 0, v8, s[2:3]
	;; [unrolled: 3-line block ×7, first 2 shown]
	v_cmp_gt_i32_e64 s[2:3], s31, v31
	v_cndmask_b32_e64 v7, 0, v7, s[2:3]
.LBB134_122:                            ;   in Loop: Header=BB134_52 Depth=1
	s_or_b64 exec, exec, s[4:5]
	v_lshlrev_b32_e32 v2, 16, v2
	v_mul_f32_e32 v22, v22, v2
	v_and_b32_e32 v2, 0x7f800000, v22
	v_cmp_ne_u32_e64 s[2:3], s26, v2
                                        ; implicit-def: $vgpr2
	s_and_saveexec_b64 s[4:5], s[2:3]
	s_xor_b64 s[2:3], exec, s[4:5]
; %bb.123:                              ;   in Loop: Header=BB134_52 Depth=1
	v_bfe_u32 v2, v22, 16, 1
	v_add3_u32 v2, v22, v2, s27
                                        ; implicit-def: $vgpr22
; %bb.124:                              ;   in Loop: Header=BB134_52 Depth=1
	s_andn2_saveexec_b64 s[4:5], s[2:3]
; %bb.125:                              ;   in Loop: Header=BB134_52 Depth=1
	v_or_b32_e32 v2, 0x10000, v22
	v_cmp_eq_u32_sdwa s[2:3], v22, v18 src0_sel:WORD_0 src1_sel:DWORD
	v_cndmask_b32_e64 v2, v2, v22, s[2:3]
; %bb.126:                              ;   in Loop: Header=BB134_52 Depth=1
	s_or_b64 exec, exec, s[4:5]
	v_lshlrev_b32_e32 v8, 16, v8
	v_mul_f32_e32 v22, v23, v8
	v_and_b32_e32 v8, 0x7f800000, v22
	v_cmp_ne_u32_e64 s[2:3], s26, v8
                                        ; implicit-def: $vgpr8
	s_and_saveexec_b64 s[4:5], s[2:3]
	s_xor_b64 s[2:3], exec, s[4:5]
; %bb.127:                              ;   in Loop: Header=BB134_52 Depth=1
	v_bfe_u32 v8, v22, 16, 1
	v_add3_u32 v8, v22, v8, s27
                                        ; implicit-def: $vgpr22
; %bb.128:                              ;   in Loop: Header=BB134_52 Depth=1
	s_andn2_saveexec_b64 s[4:5], s[2:3]
; %bb.129:                              ;   in Loop: Header=BB134_52 Depth=1
	v_or_b32_e32 v8, 0x10000, v22
	v_cmp_eq_u32_sdwa s[2:3], v22, v18 src0_sel:WORD_0 src1_sel:DWORD
	v_cndmask_b32_e64 v8, v8, v22, s[2:3]
; %bb.130:                              ;   in Loop: Header=BB134_52 Depth=1
	s_or_b64 exec, exec, s[4:5]
	v_lshlrev_b32_e32 v3, 16, v3
	v_mul_f32_e32 v22, v24, v3
	v_and_b32_e32 v3, 0x7f800000, v22
	v_cmp_ne_u32_e64 s[2:3], s26, v3
                                        ; implicit-def: $vgpr3
	s_and_saveexec_b64 s[4:5], s[2:3]
	s_xor_b64 s[2:3], exec, s[4:5]
; %bb.131:                              ;   in Loop: Header=BB134_52 Depth=1
	v_bfe_u32 v3, v22, 16, 1
	v_add3_u32 v3, v22, v3, s27
                                        ; implicit-def: $vgpr22
; %bb.132:                              ;   in Loop: Header=BB134_52 Depth=1
	s_andn2_saveexec_b64 s[4:5], s[2:3]
; %bb.133:                              ;   in Loop: Header=BB134_52 Depth=1
	v_or_b32_e32 v3, 0x10000, v22
	v_cmp_eq_u32_sdwa s[2:3], v22, v18 src0_sel:WORD_0 src1_sel:DWORD
	v_cndmask_b32_e64 v3, v3, v22, s[2:3]
; %bb.134:                              ;   in Loop: Header=BB134_52 Depth=1
	s_or_b64 exec, exec, s[4:5]
	v_lshlrev_b32_e32 v22, 16, v30
	v_mul_f32_e32 v23, v25, v22
	v_and_b32_e32 v22, 0x7f800000, v23
	v_cmp_ne_u32_e64 s[2:3], s26, v22
                                        ; implicit-def: $vgpr22
	s_and_saveexec_b64 s[4:5], s[2:3]
	s_xor_b64 s[2:3], exec, s[4:5]
; %bb.135:                              ;   in Loop: Header=BB134_52 Depth=1
	v_bfe_u32 v22, v23, 16, 1
	v_add3_u32 v22, v23, v22, s27
                                        ; implicit-def: $vgpr23
; %bb.136:                              ;   in Loop: Header=BB134_52 Depth=1
	s_andn2_saveexec_b64 s[4:5], s[2:3]
; %bb.137:                              ;   in Loop: Header=BB134_52 Depth=1
	v_or_b32_e32 v22, 0x10000, v23
	v_cmp_eq_u32_sdwa s[2:3], v23, v18 src0_sel:WORD_0 src1_sel:DWORD
	v_cndmask_b32_e64 v22, v22, v23, s[2:3]
; %bb.138:                              ;   in Loop: Header=BB134_52 Depth=1
	s_or_b64 exec, exec, s[4:5]
	v_lshlrev_b32_e32 v4, 16, v4
	v_mul_f32_e32 v23, v26, v4
	v_and_b32_e32 v4, 0x7f800000, v23
	v_cmp_ne_u32_e64 s[2:3], s26, v4
                                        ; implicit-def: $vgpr4
	s_and_saveexec_b64 s[4:5], s[2:3]
	s_xor_b64 s[2:3], exec, s[4:5]
; %bb.139:                              ;   in Loop: Header=BB134_52 Depth=1
	v_bfe_u32 v4, v23, 16, 1
	v_add3_u32 v4, v23, v4, s27
                                        ; implicit-def: $vgpr23
; %bb.140:                              ;   in Loop: Header=BB134_52 Depth=1
	s_andn2_saveexec_b64 s[4:5], s[2:3]
; %bb.141:                              ;   in Loop: Header=BB134_52 Depth=1
	v_or_b32_e32 v4, 0x10000, v23
	v_cmp_eq_u32_sdwa s[2:3], v23, v18 src0_sel:WORD_0 src1_sel:DWORD
	v_cndmask_b32_e64 v4, v4, v23, s[2:3]
; %bb.142:                              ;   in Loop: Header=BB134_52 Depth=1
	s_or_b64 exec, exec, s[4:5]
	v_lshlrev_b32_e32 v9, 16, v9
	v_mul_f32_e32 v23, v27, v9
	v_and_b32_e32 v9, 0x7f800000, v23
	v_cmp_ne_u32_e64 s[2:3], s26, v9
                                        ; implicit-def: $vgpr9
	s_and_saveexec_b64 s[4:5], s[2:3]
	s_xor_b64 s[2:3], exec, s[4:5]
; %bb.143:                              ;   in Loop: Header=BB134_52 Depth=1
	v_bfe_u32 v9, v23, 16, 1
	v_add3_u32 v9, v23, v9, s27
                                        ; implicit-def: $vgpr23
; %bb.144:                              ;   in Loop: Header=BB134_52 Depth=1
	s_andn2_saveexec_b64 s[4:5], s[2:3]
; %bb.145:                              ;   in Loop: Header=BB134_52 Depth=1
	v_or_b32_e32 v9, 0x10000, v23
	v_cmp_eq_u32_sdwa s[2:3], v23, v18 src0_sel:WORD_0 src1_sel:DWORD
	v_cndmask_b32_e64 v9, v9, v23, s[2:3]
; %bb.146:                              ;   in Loop: Header=BB134_52 Depth=1
	s_or_b64 exec, exec, s[4:5]
	v_lshlrev_b32_e32 v5, 16, v5
	v_mul_f32_e32 v23, v28, v5
	v_and_b32_e32 v5, 0x7f800000, v23
	v_cmp_ne_u32_e64 s[2:3], s26, v5
                                        ; implicit-def: $vgpr5
	s_and_saveexec_b64 s[4:5], s[2:3]
	s_xor_b64 s[2:3], exec, s[4:5]
; %bb.147:                              ;   in Loop: Header=BB134_52 Depth=1
	v_bfe_u32 v5, v23, 16, 1
	v_add3_u32 v5, v23, v5, s27
                                        ; implicit-def: $vgpr23
; %bb.148:                              ;   in Loop: Header=BB134_52 Depth=1
	s_andn2_saveexec_b64 s[4:5], s[2:3]
; %bb.149:                              ;   in Loop: Header=BB134_52 Depth=1
	v_or_b32_e32 v5, 0x10000, v23
	v_cmp_eq_u32_sdwa s[2:3], v23, v18 src0_sel:WORD_0 src1_sel:DWORD
	v_cndmask_b32_e64 v5, v5, v23, s[2:3]
; %bb.150:                              ;   in Loop: Header=BB134_52 Depth=1
	s_or_b64 exec, exec, s[4:5]
	v_lshlrev_b32_e32 v7, 16, v7
	v_mul_f32_e32 v7, v29, v7
	v_and_b32_e32 v23, 0x7f800000, v7
	v_cmp_ne_u32_e64 s[2:3], s26, v23
                                        ; implicit-def: $vgpr23
	s_and_saveexec_b64 s[4:5], s[2:3]
	s_xor_b64 s[2:3], exec, s[4:5]
; %bb.151:                              ;   in Loop: Header=BB134_52 Depth=1
	v_bfe_u32 v23, v7, 16, 1
	v_add3_u32 v23, v7, v23, s27
                                        ; implicit-def: $vgpr7
; %bb.152:                              ;   in Loop: Header=BB134_52 Depth=1
	s_andn2_saveexec_b64 s[4:5], s[2:3]
	s_cbranch_execz .LBB134_49
; %bb.153:                              ;   in Loop: Header=BB134_52 Depth=1
	v_or_b32_e32 v23, 0x10000, v7
	v_cmp_eq_u32_sdwa s[2:3], v7, v18 src0_sel:WORD_0 src1_sel:DWORD
	v_cndmask_b32_e64 v23, v23, v7, s[2:3]
	s_branch .LBB134_49
.LBB134_154:
	s_or_b64 exec, exec, s[12:13]
.LBB134_155:
	s_or_b64 exec, exec, s[6:7]
	v_and_b32_e32 v2, 0x3c0, v0
	v_cmp_eq_u32_e32 vcc, 64, v2
	s_barrier
	s_and_saveexec_b64 s[2:3], vcc
	s_cbranch_execz .LBB134_158
; %bb.156:
	v_mov_b32_e32 v2, 0xf0
	v_lshl_add_u32 v3, v17, 2, v2
	ds_write_b32 v3, v12
	s_and_b64 exec, exec, s[0:1]
	s_cbranch_execz .LBB134_158
; %bb.157:
	v_lshl_add_u32 v2, v0, 2, v2
	ds_write_b32 v2, v13
.LBB134_158:
	s_or_b64 exec, exec, s[2:3]
	v_cmp_gt_u32_e32 vcc, 64, v0
	v_or_b32_e32 v2, 64, v0
	s_waitcnt lgkmcnt(0)
	s_barrier
	s_and_saveexec_b64 s[2:3], vcc
	s_cbranch_execz .LBB134_162
; %bb.159:
	v_mov_b32_e32 v3, 0xf0
	v_lshl_add_u32 v3, v0, 2, v3
	ds_read_b32 v0, v3
	s_movk_i32 s0, 0x70
	v_cmp_gt_u32_e64 s[0:1], s0, v2
	s_and_saveexec_b64 s[4:5], s[0:1]
	s_cbranch_execz .LBB134_161
; %bb.160:
	ds_read_b32 v3, v3 offset:256
	s_waitcnt lgkmcnt(0)
	v_add_f32_e32 v13, v13, v3
.LBB134_161:
	s_or_b64 exec, exec, s[4:5]
	s_waitcnt lgkmcnt(0)
	v_add_f32_e32 v12, v12, v0
.LBB134_162:
	s_or_b64 exec, exec, s[2:3]
	s_barrier
	s_and_saveexec_b64 s[0:1], vcc
	s_cbranch_execz .LBB134_173
; %bb.163:
	s_mov_b32 s0, 0x7f800000
	v_and_b32_e32 v0, 0x7f800000, v12
	v_cmp_ne_u32_e32 vcc, s0, v0
                                        ; implicit-def: $vgpr0
	s_and_saveexec_b64 s[0:1], vcc
	s_xor_b64 s[0:1], exec, s[0:1]
; %bb.164:
	v_bfe_u32 v0, v12, 16, 1
	s_movk_i32 s2, 0x7fff
	v_add3_u32 v0, v12, v0, s2
; %bb.165:
	s_andn2_saveexec_b64 s[0:1], s[0:1]
; %bb.166:
	v_mov_b32_e32 v0, 0
	v_or_b32_e32 v3, 0x10000, v12
	v_cmp_eq_u32_sdwa vcc, v12, v0 src0_sel:WORD_0 src1_sel:DWORD
	v_cndmask_b32_e32 v0, v3, v12, vcc
; %bb.167:
	s_or_b64 exec, exec, s[0:1]
	s_mul_i32 s0, s10, 0x70
	s_ashr_i32 s1, s0, 31
	s_lshl_b64 s[0:1], s[0:1], 1
	s_add_u32 s3, s28, s0
	s_mul_i32 s0, s15, s14
	s_addc_u32 s4, s29, s1
	s_ashr_i32 s1, s0, 31
	s_lshl_b64 s[0:1], s[0:1], 1
	s_add_u32 s3, s3, s0
	s_mul_i32 s0, s8, 0x70
	s_addc_u32 s4, s4, s1
	s_ashr_i32 s1, s0, 31
	s_lshl_b64 s[0:1], s[0:1], 1
	s_movk_i32 s2, 0x70
	s_add_u32 s0, s3, s0
	s_addc_u32 s1, s4, s1
	v_cmp_gt_u32_e32 vcc, s2, v2
	global_store_short_d16_hi v1, v0, s[0:1]
	s_and_b64 exec, exec, vcc
	s_cbranch_execz .LBB134_173
; %bb.168:
	v_mov_b32_e32 v2, s1
	v_add_co_u32_e32 v0, vcc, s0, v1
	v_addc_co_u32_e32 v1, vcc, 0, v2, vcc
	s_mov_b32 s0, 0x7f800000
	v_and_b32_e32 v2, 0x7f800000, v13
	v_cmp_ne_u32_e32 vcc, s0, v2
                                        ; implicit-def: $vgpr2
	s_and_saveexec_b64 s[0:1], vcc
	s_xor_b64 s[0:1], exec, s[0:1]
; %bb.169:
	v_bfe_u32 v2, v13, 16, 1
	s_movk_i32 s2, 0x7fff
	v_add3_u32 v2, v13, v2, s2
                                        ; implicit-def: $vgpr13
; %bb.170:
	s_andn2_saveexec_b64 s[0:1], s[0:1]
; %bb.171:
	v_mov_b32_e32 v2, 0
	v_or_b32_e32 v3, 0x10000, v13
	v_cmp_eq_u32_sdwa vcc, v13, v2 src0_sel:WORD_0 src1_sel:DWORD
	v_cndmask_b32_e32 v2, v3, v13, vcc
; %bb.172:
	s_or_b64 exec, exec, s[0:1]
	global_store_short_d16_hi v[0:1], v2, off offset:128
.LBB134_173:
	s_endpgm
	.section	.rodata,"a",@progbits
	.p2align	6, 0x0
	.amdhsa_kernel _ZN4vllm25paged_attention_v2_kernelI14__hip_bfloat16S1_Li112ELi8ELi128ELNS_18Fp8KVCacheDataTypeE0ELb1ELi512EEEvPfS3_PT_PKS4_PKT0_SA_ifPKiSC_iPKfiiiSE_SE_iiiii
		.amdhsa_group_segment_fixed_size 240
		.amdhsa_private_segment_fixed_size 0
		.amdhsa_kernarg_size 400
		.amdhsa_user_sgpr_count 6
		.amdhsa_user_sgpr_private_segment_buffer 1
		.amdhsa_user_sgpr_dispatch_ptr 0
		.amdhsa_user_sgpr_queue_ptr 0
		.amdhsa_user_sgpr_kernarg_segment_ptr 1
		.amdhsa_user_sgpr_dispatch_id 0
		.amdhsa_user_sgpr_flat_scratch_init 0
		.amdhsa_user_sgpr_kernarg_preload_length 0
		.amdhsa_user_sgpr_kernarg_preload_offset 0
		.amdhsa_user_sgpr_private_segment_size 0
		.amdhsa_uses_dynamic_stack 0
		.amdhsa_system_sgpr_private_segment_wavefront_offset 0
		.amdhsa_system_sgpr_workgroup_id_x 1
		.amdhsa_system_sgpr_workgroup_id_y 1
		.amdhsa_system_sgpr_workgroup_id_z 1
		.amdhsa_system_sgpr_workgroup_info 0
		.amdhsa_system_vgpr_workitem_id 0
		.amdhsa_next_free_vgpr 54
		.amdhsa_next_free_sgpr 54
		.amdhsa_accum_offset 56
		.amdhsa_reserve_vcc 1
		.amdhsa_reserve_flat_scratch 0
		.amdhsa_float_round_mode_32 0
		.amdhsa_float_round_mode_16_64 0
		.amdhsa_float_denorm_mode_32 3
		.amdhsa_float_denorm_mode_16_64 3
		.amdhsa_dx10_clamp 1
		.amdhsa_ieee_mode 1
		.amdhsa_fp16_overflow 0
		.amdhsa_tg_split 0
		.amdhsa_exception_fp_ieee_invalid_op 0
		.amdhsa_exception_fp_denorm_src 0
		.amdhsa_exception_fp_ieee_div_zero 0
		.amdhsa_exception_fp_ieee_overflow 0
		.amdhsa_exception_fp_ieee_underflow 0
		.amdhsa_exception_fp_ieee_inexact 0
		.amdhsa_exception_int_div_zero 0
	.end_amdhsa_kernel
	.section	.text._ZN4vllm25paged_attention_v2_kernelI14__hip_bfloat16S1_Li112ELi8ELi128ELNS_18Fp8KVCacheDataTypeE0ELb1ELi512EEEvPfS3_PT_PKS4_PKT0_SA_ifPKiSC_iPKfiiiSE_SE_iiiii,"axG",@progbits,_ZN4vllm25paged_attention_v2_kernelI14__hip_bfloat16S1_Li112ELi8ELi128ELNS_18Fp8KVCacheDataTypeE0ELb1ELi512EEEvPfS3_PT_PKS4_PKT0_SA_ifPKiSC_iPKfiiiSE_SE_iiiii,comdat
.Lfunc_end134:
	.size	_ZN4vllm25paged_attention_v2_kernelI14__hip_bfloat16S1_Li112ELi8ELi128ELNS_18Fp8KVCacheDataTypeE0ELb1ELi512EEEvPfS3_PT_PKS4_PKT0_SA_ifPKiSC_iPKfiiiSE_SE_iiiii, .Lfunc_end134-_ZN4vllm25paged_attention_v2_kernelI14__hip_bfloat16S1_Li112ELi8ELi128ELNS_18Fp8KVCacheDataTypeE0ELb1ELi512EEEvPfS3_PT_PKS4_PKT0_SA_ifPKiSC_iPKfiiiSE_SE_iiiii
                                        ; -- End function
	.section	.AMDGPU.csdata,"",@progbits
; Kernel info:
; codeLenInByte = 7156
; NumSgprs: 58
; NumVgprs: 54
; NumAgprs: 0
; TotalNumVgprs: 54
; ScratchSize: 0
; MemoryBound: 0
; FloatMode: 240
; IeeeMode: 1
; LDSByteSize: 240 bytes/workgroup (compile time only)
; SGPRBlocks: 7
; VGPRBlocks: 6
; NumSGPRsForWavesPerEU: 58
; NumVGPRsForWavesPerEU: 54
; AccumOffset: 56
; Occupancy: 8
; WaveLimiterHint : 1
; COMPUTE_PGM_RSRC2:SCRATCH_EN: 0
; COMPUTE_PGM_RSRC2:USER_SGPR: 6
; COMPUTE_PGM_RSRC2:TRAP_HANDLER: 0
; COMPUTE_PGM_RSRC2:TGID_X_EN: 1
; COMPUTE_PGM_RSRC2:TGID_Y_EN: 1
; COMPUTE_PGM_RSRC2:TGID_Z_EN: 1
; COMPUTE_PGM_RSRC2:TIDIG_COMP_CNT: 0
; COMPUTE_PGM_RSRC3_GFX90A:ACCUM_OFFSET: 13
; COMPUTE_PGM_RSRC3_GFX90A:TG_SPLIT: 0
	.section	.text._ZN4vllm32paged_attention_v2_reduce_kernelI14__hip_bfloat16Li112ELi128ELi512EEEvPT_PKfS5_PKS2_PKii,"axG",@progbits,_ZN4vllm32paged_attention_v2_reduce_kernelI14__hip_bfloat16Li112ELi128ELi512EEEvPT_PKfS5_PKS2_PKii,comdat
	.protected	_ZN4vllm32paged_attention_v2_reduce_kernelI14__hip_bfloat16Li112ELi128ELi512EEEvPT_PKfS5_PKS2_PKii ; -- Begin function _ZN4vllm32paged_attention_v2_reduce_kernelI14__hip_bfloat16Li112ELi128ELi512EEEvPT_PKfS5_PKS2_PKii
	.globl	_ZN4vllm32paged_attention_v2_reduce_kernelI14__hip_bfloat16Li112ELi128ELi512EEEvPT_PKfS5_PKS2_PKii
	.p2align	8
	.type	_ZN4vllm32paged_attention_v2_reduce_kernelI14__hip_bfloat16Li112ELi128ELi512EEEvPT_PKfS5_PKS2_PKii,@function
_ZN4vllm32paged_attention_v2_reduce_kernelI14__hip_bfloat16Li112ELi128ELi512EEEvPT_PKfS5_PKS2_PKii: ; @_ZN4vllm32paged_attention_v2_reduce_kernelI14__hip_bfloat16Li112ELi128ELi512EEEvPT_PKfS5_PKS2_PKii
; %bb.0:
	s_load_dwordx4 s[8:11], s[4:5], 0x18
	s_add_u32 s12, s4, 48
	s_mov_b32 s14, s7
	s_addc_u32 s13, s5, 0
	s_ashr_i32 s15, s7, 31
	s_lshl_b64 s[0:1], s[14:15], 2
	s_waitcnt lgkmcnt(0)
	s_add_u32 s0, s10, s0
	s_addc_u32 s1, s11, s1
	s_load_dword s24, s[0:1], 0x0
	s_load_dwordx2 s[10:11], s[4:5], 0x0
	s_load_dword s7, s[4:5], 0x28
	s_load_dword s15, s[4:5], 0x30
	s_waitcnt lgkmcnt(0)
	s_add_i32 s0, s24, -1
	s_cmpk_gt_u32 s0, 0x1ff
	s_mov_b64 s[0:1], -1
	s_cbranch_scc0 .LBB135_29
; %bb.1:
	s_add_i32 s0, s24, 0x1ff
	s_load_dwordx2 s[20:21], s[4:5], 0x8
	s_ashr_i32 s1, s0, 31
	s_lshr_b32 s1, s1, 23
	s_add_i32 s0, s0, s1
	s_mul_i32 s22, s15, s14
	s_ashr_i32 s23, s0, 9
	s_mul_i32 s16, s22, s7
	s_mul_i32 s18, s6, s7
	s_ashr_i32 s17, s16, 31
	s_ashr_i32 s19, s18, 31
	v_cmp_gt_i32_e32 vcc, s23, v0
	v_mov_b32_e32 v5, 0xff7fffff
	v_lshlrev_b32_e32 v1, 2, v0
	s_and_saveexec_b64 s[2:3], vcc
	s_cbranch_execz .LBB135_5
; %bb.2:
	s_load_dword s25, s[12:13], 0xc
	s_load_dwordx2 s[0:1], s[4:5], 0x10
	s_lshl_b64 s[4:5], s[16:17], 2
	s_lshl_b64 s[26:27], s[18:19], 2
	s_mov_b32 s28, 0
	s_waitcnt lgkmcnt(0)
	s_and_b32 s25, s25, 0xffff
	s_add_u32 s4, s4, s26
	s_addc_u32 s5, s5, s27
	s_add_u32 s0, s0, s4
	s_addc_u32 s1, s1, s5
	v_mov_b32_e32 v3, s1
	v_add_co_u32_e64 v2, s[0:1], s0, v1
	v_addc_co_u32_e64 v3, s[0:1], 0, v3, s[0:1]
	s_lshl_b32 s26, s25, 2
	v_add_u32_e32 v4, 16, v1
	s_mov_b64 s[4:5], 0
	v_mov_b32_e32 v5, 0xff7fffff
	v_mov_b32_e32 v6, s28
	;; [unrolled: 1-line block ×3, first 2 shown]
.LBB135_3:                              ; =>This Inner Loop Header: Depth=1
	global_load_dword v8, v[2:3], off
	v_add_co_u32_e64 v2, s[0:1], s26, v2
	v_add_u32_e32 v7, s25, v7
	v_addc_co_u32_e64 v3, s[0:1], v3, v6, s[0:1]
	v_max_f32_e32 v5, v5, v5
	v_cmp_le_i32_e64 s[0:1], s23, v7
	s_or_b64 s[4:5], s[0:1], s[4:5]
	s_waitcnt vmcnt(0)
	ds_write_b32 v4, v8
	v_max_f32_e32 v8, v8, v8
	v_add_u32_e32 v4, s26, v4
	v_max_f32_e32 v5, v5, v8
	s_andn2_b64 exec, exec, s[4:5]
	s_cbranch_execnz .LBB135_3
; %bb.4:
	s_or_b64 exec, exec, s[4:5]
.LBB135_5:
	s_or_b64 exec, exec, s[2:3]
	v_mbcnt_lo_u32_b32 v2, -1, 0
	v_mbcnt_hi_u32_b32 v2, -1, v2
	v_and_b32_e32 v3, 64, v2
	v_add_u32_e32 v6, 64, v3
	v_xor_b32_e32 v3, 32, v2
	v_cmp_lt_i32_e64 s[0:1], v3, v6
	v_cndmask_b32_e64 v3, v2, v3, s[0:1]
	v_lshlrev_b32_e32 v4, 2, v3
	ds_bpermute_b32 v3, v4, v5
	v_xor_b32_e32 v7, 16, v2
	v_max_f32_e32 v5, v5, v5
	v_cmp_lt_i32_e64 s[0:1], v7, v6
	v_xor_b32_e32 v8, 8, v2
	s_waitcnt lgkmcnt(0)
	v_max_f32_e32 v3, v3, v3
	v_max_f32_e32 v3, v5, v3
	v_cndmask_b32_e64 v5, v2, v7, s[0:1]
	v_lshlrev_b32_e32 v5, 2, v5
	ds_bpermute_b32 v7, v5, v3
	v_cmp_lt_i32_e64 s[0:1], v8, v6
	v_xor_b32_e32 v9, 4, v2
	v_xor_b32_e32 v10, 2, v2
	v_lshrrev_b32_e32 v13, 6, v0
	s_waitcnt lgkmcnt(0)
	v_max_f32_e32 v7, v7, v7
	v_max_f32_e32 v3, v3, v7
	v_cndmask_b32_e64 v7, v2, v8, s[0:1]
	v_lshlrev_b32_e32 v7, 2, v7
	ds_bpermute_b32 v8, v7, v3
	v_cmp_lt_i32_e64 s[0:1], v9, v6
	s_waitcnt lgkmcnt(0)
	s_barrier
	v_max_f32_e32 v8, v8, v8
	v_max_f32_e32 v3, v3, v8
	v_cndmask_b32_e64 v8, v2, v9, s[0:1]
	v_lshlrev_b32_e32 v8, 2, v8
	ds_bpermute_b32 v9, v8, v3
	v_cmp_lt_i32_e64 s[0:1], v10, v6
	s_waitcnt lgkmcnt(0)
	v_max_f32_e32 v9, v9, v9
	v_max_f32_e32 v11, v3, v9
	v_cndmask_b32_e64 v3, v2, v10, s[0:1]
	v_lshlrev_b32_e32 v9, 2, v3
	ds_bpermute_b32 v10, v9, v11
	v_and_b32_e32 v3, 63, v0
	s_waitcnt lgkmcnt(0)
	v_max_f32_e32 v10, v10, v10
	v_max_f32_e32 v11, v11, v10
	v_xor_b32_e32 v10, 1, v2
	v_cmp_lt_i32_e64 s[0:1], v10, v6
	v_cndmask_b32_e64 v6, v2, v10, s[0:1]
	v_lshlrev_b32_e32 v6, 2, v6
	ds_bpermute_b32 v12, v6, v11
	v_cmp_eq_u32_e64 s[0:1], 0, v3
	v_lshlrev_b32_e32 v10, 2, v13
	s_and_saveexec_b64 s[2:3], s[0:1]
	s_cbranch_execz .LBB135_7
; %bb.6:
	s_waitcnt lgkmcnt(0)
	v_max_f32_e32 v12, v12, v12
	v_max_f32_e32 v11, v11, v11
	;; [unrolled: 1-line block ×3, first 2 shown]
	ds_write_b32 v10, v11
.LBB135_7:
	s_or_b64 exec, exec, s[2:3]
	v_cmp_gt_u32_e64 s[2:3], 2, v3
	s_waitcnt lgkmcnt(0)
	v_mov_b32_e32 v12, 0xff7fffff
	v_lshlrev_b32_e32 v11, 2, v3
	s_barrier
	s_and_saveexec_b64 s[4:5], s[2:3]
	s_cbranch_execz .LBB135_9
; %bb.8:
	ds_read_b32 v12, v11
.LBB135_9:
	s_or_b64 exec, exec, s[4:5]
	s_waitcnt lgkmcnt(0)
	ds_bpermute_b32 v3, v6, v12
	v_max_f32_e32 v12, v12, v12
	v_lshlrev_b32_e32 v2, 2, v2
	s_lshl_b32 s25, s23, 2
	v_mov_b32_e32 v14, 0
	s_waitcnt lgkmcnt(0)
	v_max_f32_e32 v3, v3, v3
	v_max_f32_e32 v3, v12, v3
	v_and_b32_e32 v12, 0x100, v2
	ds_bpermute_b32 v13, v12, v3
	s_and_saveexec_b64 s[4:5], vcc
	s_cbranch_execz .LBB135_13
; %bb.10:
	s_load_dword s30, s[12:13], 0xc
	s_lshl_b64 s[26:27], s[16:17], 2
	s_lshl_b64 s[28:29], s[18:19], 2
	s_mov_b32 s31, 0
	v_mov_b32_e32 v14, 0
	s_waitcnt lgkmcnt(0)
	s_and_b32 s17, s30, 0xffff
	s_add_u32 s19, s26, s28
	s_addc_u32 s26, s27, s29
	s_add_u32 s19, s20, s19
	s_addc_u32 s20, s21, s26
	v_mov_b32_e32 v3, s20
	v_add_co_u32_e32 v2, vcc, s19, v1
	v_addc_co_u32_e32 v3, vcc, 0, v3, vcc
	s_lshl_b32 s19, s17, 2
	v_add_u32_e32 v1, 16, v1
	s_mov_b64 s[20:21], 0
	s_mov_b32 s26, 0x3fb8aa3b
	s_mov_b32 s27, 0xc2ce8ed0
	;; [unrolled: 1-line block ×3, first 2 shown]
	v_mov_b32_e32 v15, 0x7f800000
	v_mov_b32_e32 v16, s31
	;; [unrolled: 1-line block ×3, first 2 shown]
.LBB135_11:                             ; =>This Inner Loop Header: Depth=1
	global_load_dword v18, v[2:3], off
	ds_read_b32 v19, v1
	v_add_co_u32_e32 v2, vcc, s19, v2
	v_add_u32_e32 v17, s17, v17
	v_addc_co_u32_e32 v3, vcc, v3, v16, vcc
	s_waitcnt lgkmcnt(0)
	v_sub_f32_e32 v19, v19, v13
	v_mul_f32_e32 v21, 0x3fb8aa3b, v19
	v_fma_f32 v22, v19, s26, -v21
	v_rndne_f32_e32 v23, v21
	v_fmac_f32_e32 v22, 0x32a5705f, v19
	v_sub_f32_e32 v21, v21, v23
	v_add_f32_e32 v21, v21, v22
	v_cvt_i32_f32_e32 v23, v23
	v_exp_f32_e32 v21, v21
	v_cmp_le_i32_e32 vcc, s23, v17
	s_or_b64 s[20:21], vcc, s[20:21]
	v_cmp_ngt_f32_e32 vcc, s27, v19
	v_ldexp_f32 v21, v21, v23
	v_cndmask_b32_e32 v21, 0, v21, vcc
	v_cmp_nlt_f32_e32 vcc, s28, v19
	v_cndmask_b32_e32 v19, v15, v21, vcc
	v_add_u32_e32 v20, s25, v1
	v_add_u32_e32 v1, s19, v1
	s_waitcnt vmcnt(0)
	v_mul_f32_e32 v21, v18, v19
	v_fmac_f32_e32 v14, v18, v19
	ds_write_b32 v20, v21
	s_andn2_b64 exec, exec, s[20:21]
	s_cbranch_execnz .LBB135_11
; %bb.12:
	s_or_b64 exec, exec, s[20:21]
.LBB135_13:
	s_or_b64 exec, exec, s[4:5]
	ds_bpermute_b32 v1, v4, v14
	s_waitcnt lgkmcnt(0)
	s_barrier
	v_add_f32_e32 v1, v14, v1
	ds_bpermute_b32 v2, v5, v1
	s_waitcnt lgkmcnt(0)
	v_add_f32_e32 v1, v1, v2
	ds_bpermute_b32 v2, v7, v1
	s_waitcnt lgkmcnt(0)
	;; [unrolled: 3-line block ×5, first 2 shown]
	v_add_f32_e32 v1, v1, v2
	s_and_saveexec_b64 s[4:5], s[0:1]
	s_cbranch_execz .LBB135_15
; %bb.14:
	ds_write_b32 v10, v1 offset:8
.LBB135_15:
	s_or_b64 exec, exec, s[4:5]
	s_waitcnt lgkmcnt(0)
	s_barrier
	s_and_saveexec_b64 s[0:1], s[2:3]
	s_cbranch_execz .LBB135_17
; %bb.16:
	ds_read_b32 v1, v11 offset:8
.LBB135_17:
	s_or_b64 exec, exec, s[0:1]
	s_waitcnt lgkmcnt(0)
	ds_bpermute_b32 v2, v6, v1
	s_movk_i32 s0, 0x70
	v_cmp_gt_u32_e32 vcc, s0, v0
	s_waitcnt lgkmcnt(0)
	v_add_f32_e32 v1, v1, v2
	ds_bpermute_b32 v2, v12, v1
	s_and_saveexec_b64 s[0:1], vcc
	s_cbranch_execz .LBB135_28
; %bb.18:
	s_cmp_gt_i32 s24, 0
	s_mov_b32 s4, 0
	s_cbranch_scc1 .LBB135_20
; %bb.19:
	v_mov_b32_e32 v1, 0
	v_mov_b32_e32 v4, s4
	s_cbranch_execz .LBB135_21
	s_branch .LBB135_23
.LBB135_20:
                                        ; implicit-def: $sgpr4
	v_mov_b32_e32 v4, s4
.LBB135_21:
	s_waitcnt lgkmcnt(0)
	v_add_f32_e32 v1, 0x358637bd, v2
	v_div_scale_f32 v2, s[2:3], v1, v1, 1.0
	v_rcp_f32_e32 v3, v2
	s_mul_i32 s4, s16, 0x70
	s_mul_i32 s16, s18, 0x70
	s_ashr_i32 s5, s4, 31
	v_fma_f32 v4, -v2, v3, 1.0
	v_fmac_f32_e32 v3, v4, v3
	v_div_scale_f32 v4, vcc, 1.0, v1, 1.0
	v_mul_f32_e32 v5, v4, v3
	s_ashr_i32 s17, s16, 31
	s_max_i32 s2, s23, 1
	v_fma_f32 v6, -v2, v5, v4
	s_add_i32 s3, s25, 16
	s_lshl_b64 s[4:5], s[4:5], 1
	s_lshl_b64 s[16:17], s[16:17], 1
	v_fmac_f32_e32 v5, v6, v3
	s_add_u32 s4, s4, s16
	v_fma_f32 v2, -v2, v5, v4
	s_addc_u32 s5, s5, s17
	v_div_fmas_f32 v2, v2, v3, v5
	s_add_u32 s4, s8, s4
	v_div_fixup_f32 v5, v2, v1, 1.0
	v_lshlrev_b32_e32 v2, 1, v0
	s_addc_u32 s5, s9, s5
	v_mov_b32_e32 v1, 0
	v_mov_b32_e32 v3, s5
	v_add_co_u32_e32 v2, vcc, s4, v2
	v_addc_co_u32_e32 v3, vcc, 0, v3, vcc
	v_mov_b32_e32 v4, v1
.LBB135_22:                             ; =>This Inner Loop Header: Depth=1
	global_load_ushort v6, v[2:3], off
	v_mov_b32_e32 v7, s3
	ds_read_b32 v7, v7
	s_add_i32 s2, s2, -1
	v_add_co_u32_e32 v2, vcc, 0xe0, v2
	s_add_i32 s3, s3, 4
	v_addc_co_u32_e32 v3, vcc, 0, v3, vcc
	s_cmp_eq_u32 s2, 0
	s_waitcnt vmcnt(0)
	v_lshlrev_b32_e32 v6, 16, v6
	s_waitcnt lgkmcnt(0)
	v_mul_f32_e32 v6, v7, v6
	v_fmac_f32_e32 v4, v5, v6
	s_cbranch_scc0 .LBB135_22
.LBB135_23:
	s_mov_b32 s2, 0x7f800000
	s_waitcnt lgkmcnt(0)
	v_and_b32_e32 v2, 0x7f800000, v4
	v_cmp_ne_u32_e32 vcc, s2, v2
                                        ; implicit-def: $vgpr2
	s_and_saveexec_b64 s[2:3], vcc
	s_xor_b64 s[2:3], exec, s[2:3]
; %bb.24:
	v_bfe_u32 v2, v4, 16, 1
	s_movk_i32 s4, 0x7fff
	v_add3_u32 v2, v4, v2, s4
                                        ; implicit-def: $vgpr4
; %bb.25:
	s_andn2_saveexec_b64 s[2:3], s[2:3]
; %bb.26:
	v_mov_b32_e32 v2, 0
	v_or_b32_e32 v3, 0x10000, v4
	v_cmp_eq_u32_sdwa vcc, v4, v2 src0_sel:WORD_0 src1_sel:DWORD
	v_cndmask_b32_e32 v2, v3, v4, vcc
; %bb.27:
	s_or_b64 exec, exec, s[2:3]
	s_mul_i32 s2, s22, 0x70
	s_ashr_i32 s3, s2, 31
	s_lshl_b64 s[2:3], s[2:3], 1
	s_add_u32 s4, s10, s2
	s_mul_i32 s2, s6, 0x70
	s_addc_u32 s5, s11, s3
	s_ashr_i32 s3, s2, 31
	s_lshl_b64 s[2:3], s[2:3], 1
	s_add_u32 s2, s4, s2
	s_addc_u32 s3, s5, s3
	v_lshlrev_b64 v[4:5], 1, v[0:1]
	v_mov_b32_e32 v1, s3
	v_add_co_u32_e32 v4, vcc, s2, v4
	v_addc_co_u32_e32 v5, vcc, v1, v5, vcc
	global_store_short_d16_hi v[4:5], v2, off
.LBB135_28:
	s_or_b64 exec, exec, s[0:1]
	s_mov_b64 s[0:1], 0
.LBB135_29:
	s_and_b64 vcc, exec, s[0:1]
	s_cbranch_vccz .LBB135_38
; %bb.30:
	s_movk_i32 s0, 0x70
	v_cmp_gt_u32_e32 vcc, s0, v0
	s_and_saveexec_b64 s[2:3], vcc
	s_cbranch_execz .LBB135_38
; %bb.31:
	s_mul_i32 s1, s15, s14
	s_mul_i32 s2, s1, 0x70
	s_ashr_i32 s3, s2, 31
	s_lshl_b64 s[4:5], s[2:3], 1
	s_add_u32 s1, s10, s4
	s_mul_i32 s14, s6, 0x70
	s_addc_u32 s3, s11, s5
	s_ashr_i32 s15, s14, 31
	s_lshl_b64 s[4:5], s[14:15], 1
	s_add_u32 s4, s1, s4
	s_mul_i32 s2, s2, s7
	s_addc_u32 s10, s3, s5
	s_ashr_i32 s3, s2, 31
	s_lshl_b64 s[2:3], s[2:3], 1
	s_add_u32 s1, s8, s2
	s_load_dword s8, s[12:13], 0xc
	s_mul_i32 s2, s14, s7
	s_addc_u32 s6, s9, s3
	s_ashr_i32 s3, s2, 31
	s_lshl_b64 s[2:3], s[2:3], 1
	s_add_u32 s5, s1, s2
	s_addc_u32 s7, s6, s3
	s_waitcnt lgkmcnt(0)
	s_and_b32 s6, s8, 0xffff
	v_cvt_f32_u32_e32 v1, s6
	v_add_u32_e32 v2, s6, v0
	v_mov_b32_e32 v4, s6
	v_cmp_gt_u32_e32 vcc, s0, v2
	v_rcp_iflag_f32_e32 v1, v1
	s_cmp_eq_u32 s6, 1
	v_max_u32_e32 v3, 0x70, v2
	v_addc_co_u32_e64 v2, s[0:1], v0, v4, vcc
	v_mul_f32_e32 v1, 0x4f7ffffe, v1
	v_cvt_u32_f32_e32 v1, v1
	s_cselect_b64 s[2:3], -1, 0
	s_sub_i32 s0, 0, s6
	v_sub_u32_e32 v2, v3, v2
	v_mul_lo_u32 v3, s0, v1
	v_mul_hi_u32 v3, v1, v3
	v_add_u32_e32 v1, v1, v3
	v_mul_hi_u32 v1, v2, v1
	v_mul_lo_u32 v3, v1, s6
	v_sub_u32_e32 v2, v2, v3
	v_add_u32_e32 v3, 1, v1
	v_cmp_le_u32_e64 s[0:1], s6, v2
	v_cndmask_b32_e64 v1, v1, v3, s[0:1]
	v_subrev_u32_e32 v3, s6, v2
	v_cndmask_b32_e64 v2, v2, v3, s[0:1]
	v_add_u32_e32 v3, 1, v1
	v_cmp_le_u32_e64 s[0:1], s6, v2
	v_cndmask_b32_e64 v1, v1, v3, s[0:1]
	v_addc_co_u32_e32 v1, vcc, 1, v1, vcc
	v_cmp_lt_u32_e32 vcc, 31, v1
	s_and_b64 s[8:9], vcc, s[2:3]
	s_mov_b64 s[2:3], -1
	s_and_saveexec_b64 s[0:1], s[8:9]
	s_cbranch_execz .LBB135_35
; %bb.32:
	v_and_b32_e32 v4, 0xffffffe0, v1
	s_mov_b64 s[2:3], 0
	v_mov_b32_e32 v3, 0
	v_mov_b32_e32 v5, s7
	v_mov_b32_e32 v6, s10
	v_mov_b32_e32 v2, v0
	v_mov_b32_e32 v7, v4
.LBB135_33:                             ; =>This Inner Loop Header: Depth=1
	v_lshlrev_b64 v[24:25], 1, v[2:3]
	v_add_co_u32_e32 v26, vcc, s5, v24
	v_addc_co_u32_e32 v27, vcc, v5, v25, vcc
	global_load_dwordx4 v[8:11], v[26:27], off
	global_load_dwordx4 v[12:15], v[26:27], off offset:16
	global_load_dwordx4 v[16:19], v[26:27], off offset:32
	;; [unrolled: 1-line block ×3, first 2 shown]
	v_add_co_u32_e32 v24, vcc, s4, v24
	v_subrev_u32_e32 v7, 32, v7
	v_addc_co_u32_e32 v25, vcc, v6, v25, vcc
	v_cmp_eq_u32_e32 vcc, 0, v7
	v_add_u32_e32 v2, 32, v2
	s_or_b64 s[2:3], vcc, s[2:3]
	s_waitcnt vmcnt(3)
	global_store_dwordx4 v[24:25], v[8:11], off
	s_waitcnt vmcnt(3)
	global_store_dwordx4 v[24:25], v[12:15], off offset:16
	s_waitcnt vmcnt(3)
	global_store_dwordx4 v[24:25], v[16:19], off offset:32
	;; [unrolled: 2-line block ×3, first 2 shown]
	s_andn2_b64 exec, exec, s[2:3]
	s_cbranch_execnz .LBB135_33
; %bb.34:
	s_or_b64 exec, exec, s[2:3]
	v_cmp_ne_u32_e32 vcc, v1, v4
	v_add_u32_e32 v0, v0, v4
	s_orn2_b64 s[2:3], vcc, exec
.LBB135_35:
	s_or_b64 exec, exec, s[0:1]
	s_and_b64 exec, exec, s[2:3]
	s_cbranch_execz .LBB135_38
; %bb.36:
	s_mov_b32 s3, 0
	v_mov_b32_e32 v1, 0
	v_lshlrev_b64 v[2:3], 1, v[0:1]
	s_lshl_b32 s2, s6, 1
	s_mov_b64 s[0:1], 0
	v_mov_b32_e32 v1, s7
	v_mov_b32_e32 v4, s10
	;; [unrolled: 1-line block ×3, first 2 shown]
	s_movk_i32 s3, 0x6f
.LBB135_37:                             ; =>This Inner Loop Header: Depth=1
	v_add_co_u32_e32 v6, vcc, s5, v2
	v_addc_co_u32_e32 v7, vcc, v1, v3, vcc
	global_load_ushort v8, v[6:7], off
	v_add_co_u32_e32 v6, vcc, s4, v2
	v_addc_co_u32_e32 v7, vcc, v4, v3, vcc
	v_add_co_u32_e32 v2, vcc, s2, v2
	v_add_u32_e32 v0, s6, v0
	v_addc_co_u32_e32 v3, vcc, v3, v5, vcc
	v_cmp_lt_u32_e32 vcc, s3, v0
	s_or_b64 s[0:1], vcc, s[0:1]
	s_waitcnt vmcnt(0)
	global_store_short v[6:7], v8, off
	s_andn2_b64 exec, exec, s[0:1]
	s_cbranch_execnz .LBB135_37
.LBB135_38:
	s_endpgm
	.section	.rodata,"a",@progbits
	.p2align	6, 0x0
	.amdhsa_kernel _ZN4vllm32paged_attention_v2_reduce_kernelI14__hip_bfloat16Li112ELi128ELi512EEEvPT_PKfS5_PKS2_PKii
		.amdhsa_group_segment_fixed_size 16
		.amdhsa_private_segment_fixed_size 0
		.amdhsa_kernarg_size 304
		.amdhsa_user_sgpr_count 6
		.amdhsa_user_sgpr_private_segment_buffer 1
		.amdhsa_user_sgpr_dispatch_ptr 0
		.amdhsa_user_sgpr_queue_ptr 0
		.amdhsa_user_sgpr_kernarg_segment_ptr 1
		.amdhsa_user_sgpr_dispatch_id 0
		.amdhsa_user_sgpr_flat_scratch_init 0
		.amdhsa_user_sgpr_kernarg_preload_length 0
		.amdhsa_user_sgpr_kernarg_preload_offset 0
		.amdhsa_user_sgpr_private_segment_size 0
		.amdhsa_uses_dynamic_stack 0
		.amdhsa_system_sgpr_private_segment_wavefront_offset 0
		.amdhsa_system_sgpr_workgroup_id_x 1
		.amdhsa_system_sgpr_workgroup_id_y 1
		.amdhsa_system_sgpr_workgroup_id_z 0
		.amdhsa_system_sgpr_workgroup_info 0
		.amdhsa_system_vgpr_workitem_id 0
		.amdhsa_next_free_vgpr 28
		.amdhsa_next_free_sgpr 32
		.amdhsa_accum_offset 28
		.amdhsa_reserve_vcc 1
		.amdhsa_reserve_flat_scratch 0
		.amdhsa_float_round_mode_32 0
		.amdhsa_float_round_mode_16_64 0
		.amdhsa_float_denorm_mode_32 3
		.amdhsa_float_denorm_mode_16_64 3
		.amdhsa_dx10_clamp 1
		.amdhsa_ieee_mode 1
		.amdhsa_fp16_overflow 0
		.amdhsa_tg_split 0
		.amdhsa_exception_fp_ieee_invalid_op 0
		.amdhsa_exception_fp_denorm_src 0
		.amdhsa_exception_fp_ieee_div_zero 0
		.amdhsa_exception_fp_ieee_overflow 0
		.amdhsa_exception_fp_ieee_underflow 0
		.amdhsa_exception_fp_ieee_inexact 0
		.amdhsa_exception_int_div_zero 0
	.end_amdhsa_kernel
	.section	.text._ZN4vllm32paged_attention_v2_reduce_kernelI14__hip_bfloat16Li112ELi128ELi512EEEvPT_PKfS5_PKS2_PKii,"axG",@progbits,_ZN4vllm32paged_attention_v2_reduce_kernelI14__hip_bfloat16Li112ELi128ELi512EEEvPT_PKfS5_PKS2_PKii,comdat
.Lfunc_end135:
	.size	_ZN4vllm32paged_attention_v2_reduce_kernelI14__hip_bfloat16Li112ELi128ELi512EEEvPT_PKfS5_PKS2_PKii, .Lfunc_end135-_ZN4vllm32paged_attention_v2_reduce_kernelI14__hip_bfloat16Li112ELi128ELi512EEEvPT_PKfS5_PKS2_PKii
                                        ; -- End function
	.section	.AMDGPU.csdata,"",@progbits
; Kernel info:
; codeLenInByte = 2316
; NumSgprs: 36
; NumVgprs: 28
; NumAgprs: 0
; TotalNumVgprs: 28
; ScratchSize: 0
; MemoryBound: 0
; FloatMode: 240
; IeeeMode: 1
; LDSByteSize: 16 bytes/workgroup (compile time only)
; SGPRBlocks: 4
; VGPRBlocks: 3
; NumSGPRsForWavesPerEU: 36
; NumVGPRsForWavesPerEU: 28
; AccumOffset: 28
; Occupancy: 8
; WaveLimiterHint : 0
; COMPUTE_PGM_RSRC2:SCRATCH_EN: 0
; COMPUTE_PGM_RSRC2:USER_SGPR: 6
; COMPUTE_PGM_RSRC2:TRAP_HANDLER: 0
; COMPUTE_PGM_RSRC2:TGID_X_EN: 1
; COMPUTE_PGM_RSRC2:TGID_Y_EN: 1
; COMPUTE_PGM_RSRC2:TGID_Z_EN: 0
; COMPUTE_PGM_RSRC2:TIDIG_COMP_CNT: 0
; COMPUTE_PGM_RSRC3_GFX90A:ACCUM_OFFSET: 6
; COMPUTE_PGM_RSRC3_GFX90A:TG_SPLIT: 0
	.section	.text._ZN4vllm25paged_attention_v2_kernelI14__hip_bfloat16S1_Li120ELi8ELi128ELNS_18Fp8KVCacheDataTypeE0ELb1ELi512EEEvPfS3_PT_PKS4_PKT0_SA_ifPKiSC_iPKfiiiSE_SE_iiiii,"axG",@progbits,_ZN4vllm25paged_attention_v2_kernelI14__hip_bfloat16S1_Li120ELi8ELi128ELNS_18Fp8KVCacheDataTypeE0ELb1ELi512EEEvPfS3_PT_PKS4_PKT0_SA_ifPKiSC_iPKfiiiSE_SE_iiiii,comdat
	.protected	_ZN4vllm25paged_attention_v2_kernelI14__hip_bfloat16S1_Li120ELi8ELi128ELNS_18Fp8KVCacheDataTypeE0ELb1ELi512EEEvPfS3_PT_PKS4_PKT0_SA_ifPKiSC_iPKfiiiSE_SE_iiiii ; -- Begin function _ZN4vllm25paged_attention_v2_kernelI14__hip_bfloat16S1_Li120ELi8ELi128ELNS_18Fp8KVCacheDataTypeE0ELb1ELi512EEEvPfS3_PT_PKS4_PKT0_SA_ifPKiSC_iPKfiiiSE_SE_iiiii
	.globl	_ZN4vllm25paged_attention_v2_kernelI14__hip_bfloat16S1_Li120ELi8ELi128ELNS_18Fp8KVCacheDataTypeE0ELb1ELi512EEEvPfS3_PT_PKS4_PKT0_SA_ifPKiSC_iPKfiiiSE_SE_iiiii
	.p2align	8
	.type	_ZN4vllm25paged_attention_v2_kernelI14__hip_bfloat16S1_Li120ELi8ELi128ELNS_18Fp8KVCacheDataTypeE0ELb1ELi512EEEvPfS3_PT_PKS4_PKT0_SA_ifPKiSC_iPKfiiiSE_SE_iiiii,@function
_ZN4vllm25paged_attention_v2_kernelI14__hip_bfloat16S1_Li120ELi8ELi128ELNS_18Fp8KVCacheDataTypeE0ELb1ELi512EEEvPfS3_PT_PKS4_PKT0_SA_ifPKiSC_iPKfiiiSE_SE_iiiii: ; @_ZN4vllm25paged_attention_v2_kernelI14__hip_bfloat16S1_Li120ELi8ELi128ELNS_18Fp8KVCacheDataTypeE0ELb1ELi512EEEvPfS3_PT_PKS4_PKT0_SA_ifPKiSC_iPKfiiiSE_SE_iiiii
; %bb.0:
	s_load_dwordx2 s[0:1], s[4:5], 0x40
	s_mov_b32 s30, s7
	s_ashr_i32 s31, s7, 31
	s_lshl_b64 s[2:3], s[30:31], 2
	s_waitcnt lgkmcnt(0)
	s_add_u32 s0, s0, s2
	s_addc_u32 s1, s1, s3
	s_load_dword s31, s[0:1], 0x0
	s_lshl_b32 s51, s8, 9
	s_waitcnt lgkmcnt(0)
	s_cmp_ge_i32 s51, s31
	s_cbranch_scc1 .LBB136_173
; %bb.1:
	s_load_dword s9, s[4:5], 0x90
	s_load_dwordx2 s[40:41], s[4:5], 0x30
	s_waitcnt lgkmcnt(0)
	s_abs_i32 s2, s9
	s_abs_i32 s0, s40
	v_cvt_f32_u32_e32 v1, s0
	s_sub_i32 s3, 0, s0
	s_xor_b32 s1, s9, s40
	s_ashr_i32 s1, s1, 31
	v_rcp_iflag_f32_e32 v1, v1
	v_mul_f32_e32 v1, 0x4f7ffffe, v1
	v_cvt_u32_f32_e32 v1, v1
	v_readfirstlane_b32 s7, v1
	s_mul_i32 s3, s3, s7
	s_mul_hi_u32 s3, s7, s3
	s_add_i32 s7, s7, s3
	s_mul_hi_u32 s3, s2, s7
	s_mul_i32 s7, s3, s0
	s_sub_i32 s2, s2, s7
	s_add_i32 s10, s3, 1
	s_sub_i32 s7, s2, s0
	s_cmp_ge_u32 s2, s0
	s_cselect_b32 s3, s10, s3
	s_cselect_b32 s2, s7, s2
	s_add_i32 s7, s3, 1
	s_cmp_ge_u32 s2, s0
	s_cselect_b32 s0, s7, s3
	s_xor_b32 s0, s0, s1
	s_sub_i32 s2, s0, s1
	s_abs_i32 s10, s2
	v_cvt_f32_u32_e32 v1, s10
	s_load_dwordx2 s[0:1], s[4:5], 0x50
	s_sub_i32 s3, 0, s10
	s_abs_i32 s11, s6
	v_rcp_iflag_f32_e32 v1, v1
	s_mov_b32 s7, 0
	v_mul_f32_e32 v1, 0x4f7ffffe, v1
	v_cvt_u32_f32_e32 v1, v1
	v_readfirstlane_b32 s12, v1
	s_mul_i32 s3, s3, s12
	s_mul_hi_u32 s3, s12, s3
	s_add_i32 s12, s12, s3
	s_waitcnt lgkmcnt(0)
	s_cmp_eq_u64 s[0:1], 0
	s_mul_hi_u32 s12, s11, s12
	s_cbranch_scc1 .LBB136_3
; %bb.2:
	s_ashr_i32 s7, s6, 31
	s_lshl_b64 s[14:15], s[6:7], 2
	s_add_u32 s0, s0, s14
	s_addc_u32 s1, s1, s15
	s_load_dword s7, s[0:1], 0x0
.LBB136_3:
	s_load_dwordx4 s[16:19], s[4:5], 0x58
	s_movk_i32 s0, 0x78
	s_ashr_i32 s13, s6, 31
	s_ashr_i32 s20, s2, 31
	v_and_b32_e32 v2, 7, v0
	s_mul_i32 s14, s6, 0x78
	v_cmp_gt_u32_e64 s[0:1], s0, v0
	v_lshlrev_b32_e32 v1, 1, v0
	s_and_saveexec_b64 s[2:3], s[0:1]
	s_cbranch_execz .LBB136_5
; %bb.4:
	s_load_dwordx2 s[22:23], s[4:5], 0x18
	s_waitcnt lgkmcnt(0)
	s_mul_i32 s24, s30, s16
	s_ashr_i32 s25, s24, 31
	s_lshl_b64 s[24:25], s[24:25], 1
	v_lshrrev_b32_e32 v4, 2, v0
	s_add_u32 s16, s22, s24
	s_addc_u32 s19, s23, s25
	s_ashr_i32 s15, s14, 31
	s_lshl_b64 s[22:23], s[14:15], 1
	s_add_u32 s22, s16, s22
	s_addc_u32 s23, s19, s23
	global_load_ushort v3, v1, s[22:23]
	v_and_b32_e32 v4, 0xfe, v4
	v_mad_u32_u24 v4, v2, 30, v4
	s_waitcnt vmcnt(0)
	ds_write_b16 v4, v3
.LBB136_5:
	s_or_b64 exec, exec, s[2:3]
	s_mul_i32 s3, s12, s10
	s_sub_i32 s3, s11, s3
	s_xor_b32 s2, s13, s20
	s_add_i32 s11, s12, 1
	s_sub_i32 s13, s3, s10
	s_load_dwordx4 s[20:23], s[4:5], 0x78
	s_cmp_ge_u32 s3, s10
	s_cselect_b32 s11, s11, s12
	s_cselect_b32 s3, s13, s3
	s_load_dword s13, s[4:5], 0x88
	s_add_i32 s12, s11, 1
	s_cmp_ge_u32 s3, s10
	s_cselect_b32 s3, s12, s11
	s_waitcnt lgkmcnt(0)
	s_abs_i32 s33, s23
	v_cvt_f32_u32_e32 v3, s33
	s_xor_b32 s3, s3, s2
	s_sub_i32 s10, s3, s2
	s_sub_i32 s2, 0, s33
	v_rcp_iflag_f32_e32 v3, v3
	s_add_i32 s15, s31, -1
	s_abs_i32 s11, s15
	v_mul_f32_e32 v3, 0x4f7ffffe, v3
	v_cvt_u32_f32_e32 v3, v3
	s_barrier
	v_readfirstlane_b32 s48, v3
	s_mul_i32 s2, s2, s48
	s_mul_hi_u32 s2, s48, s2
	s_add_i32 s48, s48, s2
	s_cmp_lt_i32 s13, 0
	s_mul_hi_u32 s12, s11, s48
	s_cbranch_scc0 .LBB136_7
; %bb.6:
	s_mul_i32 s2, s20, s40
	s_add_i32 s2, s10, s2
	s_mul_i32 s2, s2, s13
	s_sub_i32 s49, 1, s2
	s_mov_b64 s[2:3], 0
	s_branch .LBB136_8
.LBB136_7:
	s_mov_b64 s[2:3], -1
                                        ; implicit-def: $sgpr49
.LBB136_8:
	s_load_dwordx2 s[34:35], s[4:5], 0x38
	s_ashr_i32 s16, s15, 31
	s_andn2_b64 vcc, exec, s[2:3]
	s_ashr_i32 s23, s23, 31
	s_cbranch_vccnz .LBB136_10
; %bb.9:
	s_mul_i32 s2, s9, s20
	s_add_i32 s2, s2, s6
	s_mul_i32 s2, s2, s13
	s_add_i32 s49, s2, 1
.LBB136_10:
	s_load_dword s2, s[4:5], 0x48
	s_load_dwordx2 s[38:39], s[4:5], 0x28
	s_load_dword s15, s[4:5], 0x98
	s_load_dwordx4 s[24:27], s[4:5], 0x0
	s_load_dwordx2 s[28:29], s[4:5], 0x10
	s_mul_i32 s3, s12, s33
	s_waitcnt lgkmcnt(0)
	s_mul_i32 s36, s30, s2
	s_sub_i32 s3, s11, s3
	s_ashr_i32 s37, s36, 31
	s_xor_b32 s2, s16, s23
	s_add_i32 s11, s12, 1
	s_sub_i32 s13, s3, s33
	s_cmp_ge_u32 s3, s33
	s_cselect_b32 s11, s11, s12
	s_cselect_b32 s3, s13, s3
	s_add_i32 s12, s11, 1
	s_cmp_ge_u32 s3, s33
	s_cselect_b32 s3, s12, s11
	s_xor_b32 s3, s3, s2
	s_sub_i32 s50, s3, s2
	s_add_i32 s2, s31, 7
	s_ashr_i32 s3, s2, 31
	s_lshr_b32 s3, s3, 29
	s_add_i32 s2, s2, s3
	s_lshl_b32 s40, s8, 6
	s_ashr_i32 s16, s2, 3
	s_add_i32 s2, s40, 64
	v_lshrrev_b32_e32 v4, 6, v0
	s_min_i32 s20, s2, s16
	v_or_b32_e32 v10, s40, v4
	v_cmp_gt_i32_e64 s[2:3], s20, v10
	v_mov_b32_e32 v13, 0xff7fffff
	s_mul_i32 s18, s10, s18
	v_ashrrev_i32_e32 v11, 31, v10
	v_lshl_add_u32 v16, v4, 3, s51
	v_mbcnt_lo_u32_b32 v5, -1, 0
	s_and_saveexec_b64 s[42:43], s[2:3]
	s_cbranch_execz .LBB136_20
; %bb.11:
	s_load_dwordx2 s[4:5], s[4:5], 0x20
	s_ashr_i32 s19, s18, 31
	s_sub_i32 s52, s50, s21
	s_lshl_b64 s[10:11], s[18:19], 1
	v_bfe_u32 v6, v0, 3, 3
	s_waitcnt lgkmcnt(0)
	s_add_u32 s4, s4, s10
	s_addc_u32 s5, s5, s11
	s_abs_i32 s19, s22
	v_cvt_f32_u32_e32 v8, s19
	v_lshlrev_b32_e32 v3, 4, v6
	v_mov_b32_e32 v7, s5
	v_add_co_u32_e64 v3, s[4:5], s4, v3
	v_rcp_iflag_f32_e32 v12, v8
	v_addc_co_u32_e64 v9, s[4:5], 0, v7, s[4:5]
	v_lshlrev_b32_e32 v7, 1, v2
	v_add_co_u32_e64 v7, s[4:5], v3, v7
	v_mul_f32_e32 v3, 0x4f7ffffe, v12
	v_cvt_u32_f32_e32 v3, v3
	s_sub_i32 s10, 0, s19
	v_cmp_eq_u32_e32 vcc, 0, v2
	v_addc_co_u32_e64 v8, s[4:5], 0, v9, s[4:5]
	v_mul_u32_u24_e32 v9, 30, v2
	v_mul_lo_u32 v2, s10, v3
	s_lshl_b64 s[10:11], s[36:37], 2
	v_mul_hi_u32 v2, v3, v2
	s_add_u32 s10, s34, s10
	v_add_u32_e32 v12, v3, v2
	v_lshlrev_b64 v[2:3], 2, v[10:11]
	s_addc_u32 s11, s35, s11
	v_mov_b32_e32 v13, s11
	v_add_co_u32_e64 v2, s[10:11], s10, v2
	v_addc_co_u32_e64 v3, s[10:11], v13, v3, s[10:11]
	v_lshlrev_b32_e32 v13, 2, v6
	v_lshl_or_b32 v13, v4, 5, v13
	v_add_u32_e32 v15, 0x100, v13
	v_subrev_u32_e32 v13, s31, v6
	v_mbcnt_hi_u32_b32 v19, -1, v5
	v_add_u32_e32 v17, 1, v13
	v_and_b32_e32 v13, 64, v19
	s_mov_b32 s53, s17
	v_cmp_neq_f32_e64 s[4:5], s7, 0
	v_lshl_add_u32 v14, v4, 3, s51
	s_mov_b64 s[44:45], 0
	v_mov_b32_e32 v18, 0xff7fffff
	v_add_u32_e32 v20, 64, v13
	v_xor_b32_e32 v21, 4, v19
	v_xor_b32_e32 v22, 2, v19
	;; [unrolled: 1-line block ×3, first 2 shown]
	v_mov_b32_e32 v13, 0xff7fffff
	v_mov_b32_e32 v24, v10
	s_branch .LBB136_14
.LBB136_12:                             ;   in Loop: Header=BB136_14 Depth=1
	s_or_b64 exec, exec, s[46:47]
.LBB136_13:                             ;   in Loop: Header=BB136_14 Depth=1
	s_or_b64 exec, exec, s[12:13]
	v_add_co_u32_e64 v2, s[10:11], 8, v2
	v_add_u32_e32 v24, 2, v24
	v_addc_co_u32_e64 v3, s[10:11], 0, v3, s[10:11]
	v_cmp_le_i32_e64 s[10:11], s20, v24
	v_add_u32_e32 v14, 16, v14
	s_or_b64 s[44:45], s[10:11], s[44:45]
	v_add_u32_e32 v15, 64, v15
	s_andn2_b64 exec, exec, s[44:45]
	s_cbranch_execz .LBB136_19
.LBB136_14:                             ; =>This Inner Loop Header: Depth=1
	s_waitcnt lgkmcnt(0)
	v_sub_u32_e32 v26, 0, v14
	v_max_i32_e32 v26, v14, v26
	v_mul_hi_u32 v27, v26, s48
	v_mul_lo_u32 v28, v27, s33
	v_sub_u32_e32 v26, v26, v28
	v_add_u32_e32 v28, 1, v27
	v_cmp_le_u32_e64 s[10:11], s33, v26
	v_cndmask_b32_e64 v27, v27, v28, s[10:11]
	v_subrev_u32_e32 v28, s33, v26
	v_cndmask_b32_e64 v26, v26, v28, s[10:11]
	v_ashrrev_i32_e32 v25, 31, v14
	v_add_u32_e32 v28, 1, v27
	v_cmp_le_u32_e64 s[10:11], s33, v26
	v_xor_b32_e32 v25, s23, v25
	v_cndmask_b32_e64 v26, v27, v28, s[10:11]
	v_xor_b32_e32 v26, v26, v25
	v_sub_u32_e32 v25, v26, v25
	v_add_u32_e32 v26, s49, v25
	v_sub_u32_e32 v28, 0, v26
	v_ashrrev_i32_e32 v27, 31, v26
	v_max_i32_e32 v26, v26, v28
	v_mul_hi_u32 v28, v26, v12
	v_mul_lo_u32 v28, v28, s19
	v_sub_u32_e32 v26, v26, v28
	v_subrev_u32_e32 v28, s19, v26
	v_cmp_le_u32_e64 s[10:11], s19, v26
	v_cndmask_b32_e64 v26, v26, v28, s[10:11]
	v_subrev_u32_e32 v28, s19, v26
	v_cmp_le_u32_e64 s[10:11], s19, v26
	v_cndmask_b32_e64 v26, v26, v28, s[10:11]
	v_xor_b32_e32 v26, v26, v27
	v_sub_u32_e32 v26, v26, v27
	v_cmp_ne_u32_e64 s[10:11], 0, v26
	v_cmp_ge_i32_e64 s[12:13], s52, v25
	s_and_b64 s[10:11], s[10:11], s[12:13]
	s_and_b64 s[46:47], vcc, s[10:11]
	s_and_saveexec_b64 s[12:13], s[46:47]
	s_cbranch_execz .LBB136_16
; %bb.15:                               ;   in Loop: Header=BB136_14 Depth=1
	ds_write_b32 v15, v18
.LBB136_16:                             ;   in Loop: Header=BB136_14 Depth=1
	s_or_b64 exec, exec, s[12:13]
	s_xor_b64 s[10:11], s[10:11], -1
	s_and_saveexec_b64 s[12:13], s[10:11]
	s_cbranch_execz .LBB136_13
; %bb.17:                               ;   in Loop: Header=BB136_14 Depth=1
	global_load_dword v25, v[2:3], off
	s_waitcnt vmcnt(0)
	v_mad_i64_i32 v[26:27], s[10:11], v25, s53, 0
	v_lshlrev_b64 v[26:27], 1, v[26:27]
	v_add_co_u32_e64 v26, s[10:11], v7, v26
	v_addc_co_u32_e64 v27, s[10:11], v8, v27, s[10:11]
	global_load_ushort v25, v[26:27], off
	global_load_ushort v33, v[26:27], off offset:128
	global_load_ushort v34, v[26:27], off offset:256
	;; [unrolled: 1-line block ×14, first 2 shown]
	ds_read_b128 v[26:29], v9
	ds_read_b96 v[30:32], v9 offset:16
	ds_read_u16 v47, v9 offset:28
	v_cmp_lt_i32_e64 s[10:11], v21, v20
	v_cndmask_b32_e64 v48, v19, v21, s[10:11]
	s_waitcnt lgkmcnt(2)
	v_lshlrev_b32_e32 v49, 16, v26
	v_and_b32_e32 v26, 0xffff0000, v26
	v_lshlrev_b32_e32 v50, 16, v27
	v_and_b32_e32 v27, 0xffff0000, v27
	;; [unrolled: 2-line block ×4, first 2 shown]
	s_waitcnt lgkmcnt(1)
	v_lshlrev_b32_e32 v53, 16, v30
	v_and_b32_e32 v30, 0xffff0000, v30
	v_lshlrev_b32_e32 v54, 16, v31
	v_and_b32_e32 v31, 0xffff0000, v31
	;; [unrolled: 2-line block ×3, first 2 shown]
	s_waitcnt lgkmcnt(0)
	v_lshlrev_b32_e32 v47, 16, v47
	v_lshlrev_b32_e32 v48, 2, v48
	v_cmp_lt_i32_e64 s[10:11], v22, v20
	s_waitcnt vmcnt(14)
	v_lshlrev_b32_e32 v25, 16, v25
	s_waitcnt vmcnt(13)
	v_lshlrev_b32_e32 v33, 16, v33
	v_mul_f32_e32 v26, v26, v33
	s_waitcnt vmcnt(12)
	v_lshlrev_b32_e32 v34, 16, v34
	v_fmac_f32_e32 v26, v49, v25
	s_waitcnt vmcnt(11)
	v_lshlrev_b32_e32 v35, 16, v35
	v_fmac_f32_e32 v26, v50, v34
	;; [unrolled: 3-line block ×12, first 2 shown]
	v_fmac_f32_e32 v26, v32, v45
	s_waitcnt vmcnt(0)
	v_lshlrev_b32_e32 v25, 16, v46
	v_fmac_f32_e32 v26, v47, v25
	ds_bpermute_b32 v25, v48, v26
	v_cndmask_b32_e64 v27, v19, v22, s[10:11]
	v_lshlrev_b32_e32 v27, 2, v27
	v_cmp_lt_i32_e64 s[10:11], v23, v20
	s_waitcnt lgkmcnt(0)
	v_add_f32_e32 v25, v26, v25
	ds_bpermute_b32 v26, v27, v25
	v_cndmask_b32_e64 v27, v19, v23, s[10:11]
	v_lshlrev_b32_e32 v27, 2, v27
	s_waitcnt lgkmcnt(0)
	v_add_f32_e32 v25, v25, v26
	ds_bpermute_b32 v26, v27, v25
	s_and_saveexec_b64 s[46:47], vcc
	s_cbranch_execz .LBB136_12
; %bb.18:                               ;   in Loop: Header=BB136_14 Depth=1
	v_add_u32_e32 v27, v17, v14
	v_cvt_f32_i32_e32 v27, v27
	s_waitcnt lgkmcnt(0)
	v_add_f32_e32 v25, v25, v26
	v_add_u32_e32 v28, v6, v14
	v_cmp_gt_i32_e64 s[10:11], s31, v28
	v_mul_f32_e32 v26, s7, v27
	v_cndmask_b32_e64 v26, 0, v26, s[4:5]
	v_fmac_f32_e32 v26, s41, v25
	v_cndmask_b32_e64 v25, 0, v26, s[10:11]
	ds_write_b32 v15, v25
	v_max_f32_e32 v25, v13, v13
	v_max_f32_e32 v25, v25, v26
	v_cndmask_b32_e64 v13, v13, v25, s[10:11]
	s_branch .LBB136_12
.LBB136_19:
	s_or_b64 exec, exec, s[44:45]
.LBB136_20:
	s_or_b64 exec, exec, s[42:43]
	v_mbcnt_hi_u32_b32 v2, -1, v5
	v_and_b32_e32 v3, 64, v2
	v_add_u32_e32 v3, 64, v3
	v_xor_b32_e32 v5, 32, v2
	v_cmp_lt_i32_e32 vcc, v5, v3
	v_cndmask_b32_e32 v5, v2, v5, vcc
	v_lshlrev_b32_e32 v7, 2, v5
	ds_bpermute_b32 v5, v7, v13
	v_xor_b32_e32 v8, 16, v2
	v_max_f32_e32 v6, v13, v13
	v_cmp_lt_i32_e32 vcc, v8, v3
	v_and_b32_e32 v17, 63, v0
	s_waitcnt lgkmcnt(0)
	v_max_f32_e32 v5, v5, v5
	v_max_f32_e32 v5, v6, v5
	v_cndmask_b32_e32 v6, v2, v8, vcc
	v_lshlrev_b32_e32 v9, 2, v6
	ds_bpermute_b32 v6, v9, v5
	v_xor_b32_e32 v8, 8, v2
	v_cmp_lt_i32_e32 vcc, v8, v3
	s_waitcnt lgkmcnt(0)
	v_max_f32_e32 v6, v6, v6
	v_max_f32_e32 v5, v5, v6
	v_cndmask_b32_e32 v6, v2, v8, vcc
	v_lshlrev_b32_e32 v12, 2, v6
	ds_bpermute_b32 v8, v12, v5
	v_cmp_eq_u32_e32 vcc, 0, v17
	v_lshlrev_b32_e32 v6, 2, v4
	s_and_saveexec_b64 s[4:5], vcc
	s_cbranch_execz .LBB136_22
; %bb.21:
	s_waitcnt lgkmcnt(0)
	v_max_f32_e32 v8, v8, v8
	v_max_f32_e32 v5, v5, v5
	;; [unrolled: 1-line block ×3, first 2 shown]
	ds_write_b32 v6, v5 offset:240
.LBB136_22:
	s_or_b64 exec, exec, s[4:5]
	v_cmp_gt_u32_e64 s[4:5], 2, v17
	v_mov_b32_e32 v5, 0xff7fffff
	s_waitcnt lgkmcnt(0)
	v_lshlrev_b32_e32 v8, 2, v17
	s_barrier
	s_and_saveexec_b64 s[10:11], s[4:5]
	s_cbranch_execz .LBB136_24
; %bb.23:
	ds_read_b32 v5, v8 offset:240
.LBB136_24:
	s_or_b64 exec, exec, s[10:11]
	v_xor_b32_e32 v13, 1, v2
	v_cmp_lt_i32_e64 s[10:11], v13, v3
	v_cndmask_b32_e64 v13, v2, v13, s[10:11]
	v_lshlrev_b32_e32 v13, 2, v13
	s_waitcnt lgkmcnt(0)
	ds_bpermute_b32 v14, v13, v5
	v_max_f32_e32 v5, v5, v5
	s_sub_i32 s7, s20, s40
	s_lshl_b32 s7, s7, 3
	s_add_i32 s7, s7, s51
	s_waitcnt lgkmcnt(0)
	v_max_f32_e32 v14, v14, v14
	v_max_f32_e32 v5, v5, v14
	v_lshlrev_b32_e32 v14, 2, v2
	v_and_b32_e32 v14, 0x100, v14
	ds_bpermute_b32 v5, v14, v5
	s_min_i32 s19, s7, s31
	s_sub_i32 s7, s19, s51
	v_cmp_gt_i32_e64 s[10:11], s7, v0
	v_mov_b32_e32 v15, 0
	s_and_saveexec_b64 s[40:41], s[10:11]
	s_cbranch_execz .LBB136_28
; %bb.25:
	v_mov_b32_e32 v15, 0x100
	v_lshl_add_u32 v18, v0, 2, v15
	s_mov_b64 s[42:43], 0
	v_mov_b32_e32 v15, 0
	v_mov_b32_e32 v19, v0
.LBB136_26:                             ; =>This Inner Loop Header: Depth=1
	ds_read_b32 v20, v18
	v_add_u32_e32 v19, 0x80, v19
	v_cmp_le_i32_e64 s[12:13], s7, v19
	s_or_b64 s[42:43], s[12:13], s[42:43]
	s_waitcnt lgkmcnt(0)
	v_sub_f32_e32 v20, v20, v5
	v_mul_f32_e32 v20, 0x3fb8aa3b, v20
	v_exp_f32_e32 v20, v20
	ds_write_b32 v18, v20
	v_add_f32_e32 v15, v15, v20
	v_add_u32_e32 v18, 0x200, v18
	s_andn2_b64 exec, exec, s[42:43]
	s_cbranch_execnz .LBB136_26
; %bb.27:
	s_or_b64 exec, exec, s[42:43]
.LBB136_28:
	s_or_b64 exec, exec, s[40:41]
	ds_bpermute_b32 v7, v7, v15
	s_waitcnt lgkmcnt(0)
	v_add_f32_e32 v7, v15, v7
	ds_bpermute_b32 v9, v9, v7
	s_waitcnt lgkmcnt(0)
	v_add_f32_e32 v7, v7, v9
	ds_bpermute_b32 v9, v12, v7
	v_xor_b32_e32 v12, 4, v2
	v_cmp_lt_i32_e64 s[12:13], v12, v3
	v_cndmask_b32_e64 v12, v2, v12, s[12:13]
	v_lshlrev_b32_e32 v12, 2, v12
	s_waitcnt lgkmcnt(0)
	v_add_f32_e32 v7, v7, v9
	ds_bpermute_b32 v9, v12, v7
	v_xor_b32_e32 v12, 2, v2
	v_cmp_lt_i32_e64 s[12:13], v12, v3
	v_cndmask_b32_e64 v2, v2, v12, s[12:13]
	v_lshlrev_b32_e32 v2, 2, v2
	s_waitcnt lgkmcnt(0)
	v_add_f32_e32 v3, v7, v9
	ds_bpermute_b32 v2, v2, v3
	s_waitcnt lgkmcnt(0)
	v_add_f32_e32 v2, v3, v2
	ds_bpermute_b32 v3, v13, v2
	s_waitcnt lgkmcnt(0)
	v_add_f32_e32 v2, v2, v3
	s_and_saveexec_b64 s[12:13], vcc
	s_cbranch_execz .LBB136_30
; %bb.29:
	ds_write_b32 v6, v2 offset:248
.LBB136_30:
	s_or_b64 exec, exec, s[12:13]
	s_waitcnt lgkmcnt(0)
	s_barrier
	s_and_saveexec_b64 s[12:13], s[4:5]
	s_cbranch_execz .LBB136_32
; %bb.31:
	ds_read_b32 v2, v8 offset:248
.LBB136_32:
	s_or_b64 exec, exec, s[12:13]
	s_waitcnt lgkmcnt(0)
	ds_bpermute_b32 v3, v13, v2
	s_waitcnt lgkmcnt(0)
	v_add_f32_e32 v2, v2, v3
	ds_bpermute_b32 v6, v14, v2
	s_and_saveexec_b64 s[4:5], s[10:11]
	s_cbranch_execz .LBB136_45
; %bb.33:
	s_waitcnt lgkmcnt(0)
	v_add_f32_e32 v2, 0x358637bd, v6
	v_div_scale_f32 v3, s[10:11], v2, v2, 1.0
	v_rcp_f32_e32 v7, v3
	v_div_scale_f32 v8, vcc, 1.0, v2, 1.0
	s_movk_i32 s10, 0x7f
	v_fma_f32 v9, -v3, v7, 1.0
	v_fmac_f32_e32 v7, v9, v7
	v_mul_f32_e32 v9, v8, v7
	v_fma_f32 v12, -v3, v9, v8
	v_fmac_f32_e32 v9, v12, v7
	v_fma_f32 v3, -v3, v9, v8
	v_div_fmas_f32 v3, v3, v7, v9
	v_div_fixup_f32 v2, v3, v2, 1.0
	v_xad_u32 v3, v0, -1, s19
	v_subrev_u32_e32 v7, s51, v3
	v_cmp_lt_u32_e32 vcc, s10, v7
	s_mov_b64 s[12:13], -1
	v_mov_b32_e32 v3, v0
	s_and_saveexec_b64 s[10:11], vcc
	s_cbranch_execz .LBB136_42
; %bb.34:
	v_lshrrev_b32_e32 v7, 7, v7
	v_add_u32_e32 v9, -1, v7
	v_lshrrev_b32_e32 v8, 1, v9
	v_mov_b32_e32 v3, v2
	v_add_u32_e32 v8, 1, v8
	v_cmp_lt_u32_e32 vcc, 13, v9
	v_mov_b32_e32 v13, 0
	s_and_saveexec_b64 s[12:13], vcc
	s_cbranch_execz .LBB136_38
; %bb.35:
	v_mov_b32_e32 v12, 0x100
	v_and_b32_e32 v9, -8, v8
	v_lshl_add_u32 v12, v0, 2, v12
	s_mov_b32 s19, 0
	s_mov_b64 s[40:41], 0
.LBB136_36:                             ; =>This Inner Loop Header: Depth=1
	ds_read2st64_b32 v[14:15], v12 offset1:2
	ds_read2st64_b32 v[18:19], v12 offset0:4 offset1:6
	ds_read2st64_b32 v[20:21], v12 offset0:8 offset1:10
	;; [unrolled: 1-line block ×3, first 2 shown]
	v_add_u32_e32 v9, -8, v9
	s_waitcnt lgkmcnt(3)
	v_pk_mul_f32 v[14:15], v[2:3], v[14:15]
	s_waitcnt lgkmcnt(2)
	v_pk_mul_f32 v[18:19], v[2:3], v[18:19]
	ds_write2st64_b32 v12, v14, v15 offset1:2
	ds_write2st64_b32 v12, v18, v19 offset0:4 offset1:6
	ds_read2st64_b32 v[18:19], v12 offset0:16 offset1:18
	s_waitcnt lgkmcnt(4)
	v_pk_mul_f32 v[14:15], v[2:3], v[20:21]
	ds_write2st64_b32 v12, v14, v15 offset0:8 offset1:10
	s_waitcnt lgkmcnt(4)
	v_pk_mul_f32 v[14:15], v[2:3], v[22:23]
	ds_write2st64_b32 v12, v14, v15 offset0:12 offset1:14
	ds_read2st64_b32 v[14:15], v12 offset0:20 offset1:22
	s_waitcnt lgkmcnt(3)
	v_pk_mul_f32 v[18:19], v[2:3], v[18:19]
	ds_read2st64_b32 v[20:21], v12 offset0:24 offset1:26
	ds_write2st64_b32 v12, v18, v19 offset0:16 offset1:18
	ds_read2st64_b32 v[18:19], v12 offset0:28 offset1:30
	s_waitcnt lgkmcnt(3)
	v_pk_mul_f32 v[14:15], v[2:3], v[14:15]
	ds_write2st64_b32 v12, v14, v15 offset0:20 offset1:22
	s_waitcnt lgkmcnt(3)
	v_pk_mul_f32 v[14:15], v[2:3], v[20:21]
	ds_write2st64_b32 v12, v14, v15 offset0:24 offset1:26
	s_waitcnt lgkmcnt(2)
	v_pk_mul_f32 v[14:15], v[2:3], v[18:19]
	s_add_i32 s19, s19, 16
	v_cmp_eq_u32_e32 vcc, 0, v9
	ds_write2st64_b32 v12, v14, v15 offset0:28 offset1:30
	v_add_u32_e32 v12, 0x2000, v12
	s_or_b64 s[40:41], vcc, s[40:41]
	v_mov_b32_e32 v13, s19
	s_andn2_b64 exec, exec, s[40:41]
	s_cbranch_execnz .LBB136_36
; %bb.37:
	s_or_b64 exec, exec, s[40:41]
.LBB136_38:
	s_or_b64 exec, exec, s[12:13]
	v_and_b32_e32 v8, 7, v8
	v_cmp_ne_u32_e32 vcc, 0, v8
	s_and_saveexec_b64 s[12:13], vcc
	s_cbranch_execz .LBB136_41
; %bb.39:
	v_lshlrev_b32_e32 v9, 9, v13
	v_lshlrev_b32_e32 v12, 2, v0
	s_movk_i32 s19, 0x100
	v_add3_u32 v9, v9, v12, s19
	s_mov_b64 s[40:41], 0
.LBB136_40:                             ; =>This Inner Loop Header: Depth=1
	ds_read2st64_b32 v[12:13], v9 offset1:2
	v_add_u32_e32 v8, -1, v8
	v_cmp_eq_u32_e32 vcc, 0, v8
	s_or_b64 s[40:41], vcc, s[40:41]
	s_waitcnt lgkmcnt(0)
	v_pk_mul_f32 v[12:13], v[2:3], v[12:13]
	ds_write2st64_b32 v9, v12, v13 offset1:2
	v_add_u32_e32 v9, 0x400, v9
	s_andn2_b64 exec, exec, s[40:41]
	s_cbranch_execnz .LBB136_40
.LBB136_41:
	s_or_b64 exec, exec, s[12:13]
	v_add_u32_e32 v7, 1, v7
	v_and_b32_e32 v8, 0x3fffffe, v7
	v_cmp_ne_u32_e32 vcc, v7, v8
	v_lshl_add_u32 v3, v8, 7, v0
	s_orn2_b64 s[12:13], vcc, exec
.LBB136_42:
	s_or_b64 exec, exec, s[10:11]
	s_and_b64 exec, exec, s[12:13]
	s_cbranch_execz .LBB136_45
; %bb.43:
	v_mov_b32_e32 v7, 0x100
	v_lshl_add_u32 v7, v3, 2, v7
	s_mov_b64 s[10:11], 0
.LBB136_44:                             ; =>This Inner Loop Header: Depth=1
	ds_read_b32 v8, v7
	v_add_u32_e32 v3, 0x80, v3
	v_cmp_le_i32_e32 vcc, s7, v3
	s_or_b64 s[10:11], vcc, s[10:11]
	s_waitcnt lgkmcnt(0)
	v_mul_f32_e32 v8, v2, v8
	ds_write_b32 v7, v8
	v_add_u32_e32 v7, 0x200, v7
	s_andn2_b64 exec, exec, s[10:11]
	s_cbranch_execnz .LBB136_44
.LBB136_45:
	s_or_b64 exec, exec, s[4:5]
	s_mul_i32 s4, s15, s30
	v_cmp_eq_u32_e32 vcc, 0, v0
	s_mul_i32 s10, s4, s9
	s_waitcnt lgkmcnt(0)
	s_barrier
	s_and_saveexec_b64 s[4:5], vcc
	s_cbranch_execz .LBB136_47
; %bb.46:
	s_ashr_i32 s11, s10, 31
	s_lshl_b64 s[12:13], s[10:11], 2
	s_add_u32 s9, s26, s12
	s_mul_i32 s6, s15, s6
	s_addc_u32 s11, s27, s13
	s_ashr_i32 s7, s6, 31
	s_lshl_b64 s[6:7], s[6:7], 2
	s_add_u32 s19, s9, s6
	s_addc_u32 s11, s11, s7
	s_ashr_i32 s9, s8, 31
	s_lshl_b64 s[26:27], s[8:9], 2
	s_add_u32 s40, s19, s26
	s_addc_u32 s41, s11, s27
	s_add_u32 s9, s24, s12
	s_addc_u32 s11, s25, s13
	;; [unrolled: 2-line block ×3, first 2 shown]
	s_add_u32 s6, s6, s26
	v_mov_b32_e32 v2, 0
	s_addc_u32 s7, s7, s27
	global_store_dword v2, v5, s[40:41]
	global_store_dword v2, v6, s[6:7]
.LBB136_47:
	s_or_b64 exec, exec, s[4:5]
	v_mov_b32_e32 v13, 0
	v_mov_b32_e32 v12, v13
	s_and_saveexec_b64 s[6:7], s[2:3]
	s_cbranch_execz .LBB136_155
; %bb.48:
	s_ashr_i32 s19, s18, 31
	s_sub_i32 s9, s50, s21
	s_lshl_b64 s[2:3], s[18:19], 1
	s_add_u32 s11, s38, s2
	s_addc_u32 s21, s39, s3
	s_abs_i32 s22, s22
	v_cvt_f32_u32_e32 v3, s22
	v_or_b32_e32 v5, 64, v17
	s_movk_i32 s2, 0x78
	v_cmp_gt_u32_e32 vcc, s2, v5
	v_rcp_iflag_f32_e32 v3, v3
	s_sub_i32 s2, 0, s22
	s_add_i32 s25, s16, -1
	v_lshlrev_b32_e32 v6, 3, v5
	v_mul_f32_e32 v3, 0x4f7ffffe, v3
	v_cvt_u32_f32_e32 v3, v3
	v_lshlrev_b64 v[8:9], 2, v[10:11]
	v_lshlrev_b32_e32 v2, 3, v17
	v_mov_b32_e32 v18, 0
	v_mul_lo_u32 v5, s2, v3
	s_lshl_b64 s[2:3], s[36:37], 2
	s_add_u32 s2, s34, s2
	v_mul_hi_u32 v5, v3, v5
	s_addc_u32 s3, s35, s3
	v_add_u32_e32 v19, v3, v5
	v_mov_b32_e32 v3, s3
	v_add_co_u32_e64 v14, s[2:3], s2, v8
	v_addc_co_u32_e64 v15, s[2:3], v3, v9, s[2:3]
	v_mov_b32_e32 v3, 0x100
	s_mov_b32 s24, s17
	v_lshl_add_u32 v11, v4, 5, v3
	s_mov_b64 s[12:13], 0
	s_mov_b32 s26, 0x7f800000
	s_movk_i32 s27, 0x7fff
	v_lshlrev_b32_e32 v20, 1, v2
	v_lshlrev_b32_e32 v21, 1, v6
	v_mov_b32_e32 v12, 0
	v_mov_b32_e32 v13, v18
	s_branch .LBB136_52
.LBB136_49:                             ;   in Loop: Header=BB136_52 Depth=1
	s_or_b64 exec, exec, s[4:5]
	v_and_b32_e32 v24, 0xffff0000, v9
	v_and_b32_e32 v9, 0xffff0000, v22
	;; [unrolled: 1-line block ×5, first 2 shown]
	v_pk_add_f32 v[2:3], v[2:3], v[8:9]
	v_and_b32_e32 v25, 0xffff0000, v23
	v_and_b32_e32 v5, 0xffff0000, v5
	;; [unrolled: 1-line block ×3, first 2 shown]
	v_mov_b32_e32 v8, v3
	v_pk_add_f32 v[2:3], v[2:3], v[8:9]
	v_pk_add_f32 v[4:5], v[4:5], v[24:25]
	;; [unrolled: 1-line block ×3, first 2 shown]
	v_mov_b32_e32 v4, v5
	v_pk_add_f32 v[2:3], v[2:3], v[4:5]
	v_mov_b32_e32 v3, v2
	v_pk_add_f32 v[12:13], v[12:13], v[2:3]
.LBB136_50:                             ;   in Loop: Header=BB136_52 Depth=1
	s_or_b64 exec, exec, s[18:19]
	v_mov_b32_e32 v12, v6
.LBB136_51:                             ;   in Loop: Header=BB136_52 Depth=1
	s_or_b64 exec, exec, s[16:17]
	v_add_co_u32_e64 v14, s[2:3], 8, v14
	v_add_u32_e32 v10, 2, v10
	v_addc_co_u32_e64 v15, s[2:3], 0, v15, s[2:3]
	v_cmp_le_i32_e64 s[2:3], s20, v10
	v_add_u32_e32 v16, 16, v16
	s_or_b64 s[12:13], s[2:3], s[12:13]
	v_add_u32_e32 v11, 64, v11
	s_andn2_b64 exec, exec, s[12:13]
	s_cbranch_execz .LBB136_154
.LBB136_52:                             ; =>This Inner Loop Header: Depth=1
	v_sub_u32_e32 v3, 0, v16
	v_max_i32_e32 v3, v16, v3
	v_mul_hi_u32 v4, v3, s48
	v_mul_lo_u32 v5, v4, s33
	v_sub_u32_e32 v3, v3, v5
	v_add_u32_e32 v5, 1, v4
	v_cmp_le_u32_e64 s[2:3], s33, v3
	v_cndmask_b32_e64 v4, v4, v5, s[2:3]
	v_subrev_u32_e32 v5, s33, v3
	v_cndmask_b32_e64 v3, v3, v5, s[2:3]
	v_ashrrev_i32_e32 v2, 31, v16
	v_add_u32_e32 v5, 1, v4
	v_cmp_le_u32_e64 s[2:3], s33, v3
	v_xor_b32_e32 v2, s23, v2
	v_cndmask_b32_e64 v3, v4, v5, s[2:3]
	v_xor_b32_e32 v3, v3, v2
	v_sub_u32_e32 v2, v3, v2
	v_add_u32_e32 v3, s49, v2
	v_sub_u32_e32 v5, 0, v3
	v_ashrrev_i32_e32 v4, 31, v3
	v_max_i32_e32 v3, v3, v5
	v_mul_hi_u32 v5, v3, v19
	v_mul_lo_u32 v5, v5, s22
	v_sub_u32_e32 v3, v3, v5
	v_subrev_u32_e32 v5, s22, v3
	v_cmp_le_u32_e64 s[2:3], s22, v3
	v_cndmask_b32_e64 v3, v3, v5, s[2:3]
	v_subrev_u32_e32 v5, s22, v3
	v_cmp_le_u32_e64 s[2:3], s22, v3
	v_cndmask_b32_e64 v3, v3, v5, s[2:3]
	v_xor_b32_e32 v3, v3, v4
	v_sub_u32_e32 v3, v3, v4
	v_cmp_eq_u32_e64 s[2:3], 0, v3
	v_cmp_lt_i32_e64 s[4:5], s9, v2
	s_or_b64 s[2:3], s[2:3], s[4:5]
	s_and_saveexec_b64 s[16:17], s[2:3]
	s_cbranch_execz .LBB136_51
; %bb.53:                               ;   in Loop: Header=BB136_52 Depth=1
	global_load_dword v28, v[14:15], off
	ds_read2_b64 v[6:9], v11 offset1:1
	ds_read2_b64 v[2:5], v11 offset0:2 offset1:3
	s_waitcnt lgkmcnt(1)
	v_and_b32_e32 v22, 0x7f800000, v6
	v_cmp_ne_u32_e64 s[2:3], s26, v22
                                        ; implicit-def: $vgpr22
	s_and_saveexec_b64 s[4:5], s[2:3]
	s_xor_b64 s[2:3], exec, s[4:5]
; %bb.54:                               ;   in Loop: Header=BB136_52 Depth=1
	v_bfe_u32 v22, v6, 16, 1
	v_add3_u32 v22, v6, v22, s27
; %bb.55:                               ;   in Loop: Header=BB136_52 Depth=1
	s_andn2_saveexec_b64 s[4:5], s[2:3]
; %bb.56:                               ;   in Loop: Header=BB136_52 Depth=1
	v_or_b32_e32 v22, 0x10000, v6
	v_cmp_eq_u32_sdwa s[2:3], v6, v18 src0_sel:WORD_0 src1_sel:DWORD
	v_cndmask_b32_e64 v22, v22, v6, s[2:3]
; %bb.57:                               ;   in Loop: Header=BB136_52 Depth=1
	s_or_b64 exec, exec, s[4:5]
	v_and_b32_e32 v6, 0x7f800000, v7
	v_cmp_ne_u32_e64 s[2:3], s26, v6
                                        ; implicit-def: $vgpr23
	s_and_saveexec_b64 s[4:5], s[2:3]
	s_xor_b64 s[2:3], exec, s[4:5]
; %bb.58:                               ;   in Loop: Header=BB136_52 Depth=1
	v_bfe_u32 v6, v7, 16, 1
	v_add3_u32 v23, v7, v6, s27
; %bb.59:                               ;   in Loop: Header=BB136_52 Depth=1
	s_andn2_saveexec_b64 s[4:5], s[2:3]
; %bb.60:                               ;   in Loop: Header=BB136_52 Depth=1
	v_or_b32_e32 v6, 0x10000, v7
	v_cmp_eq_u32_sdwa s[2:3], v7, v18 src0_sel:WORD_0 src1_sel:DWORD
	v_cndmask_b32_e64 v23, v6, v7, s[2:3]
; %bb.61:                               ;   in Loop: Header=BB136_52 Depth=1
	s_or_b64 exec, exec, s[4:5]
	v_and_b32_e32 v6, 0x7f800000, v8
	v_cmp_ne_u32_e64 s[2:3], s26, v6
                                        ; implicit-def: $vgpr24
	s_and_saveexec_b64 s[4:5], s[2:3]
	s_xor_b64 s[2:3], exec, s[4:5]
; %bb.62:                               ;   in Loop: Header=BB136_52 Depth=1
	v_bfe_u32 v6, v8, 16, 1
	v_add3_u32 v24, v8, v6, s27
; %bb.63:                               ;   in Loop: Header=BB136_52 Depth=1
	s_andn2_saveexec_b64 s[4:5], s[2:3]
; %bb.64:                               ;   in Loop: Header=BB136_52 Depth=1
	v_or_b32_e32 v6, 0x10000, v8
	v_cmp_eq_u32_sdwa s[2:3], v8, v18 src0_sel:WORD_0 src1_sel:DWORD
	v_cndmask_b32_e64 v24, v6, v8, s[2:3]
; %bb.65:                               ;   in Loop: Header=BB136_52 Depth=1
	s_or_b64 exec, exec, s[4:5]
	v_and_b32_e32 v6, 0x7f800000, v9
	v_cmp_ne_u32_e64 s[2:3], s26, v6
                                        ; implicit-def: $vgpr25
	s_and_saveexec_b64 s[4:5], s[2:3]
	s_xor_b64 s[2:3], exec, s[4:5]
; %bb.66:                               ;   in Loop: Header=BB136_52 Depth=1
	v_bfe_u32 v6, v9, 16, 1
	v_add3_u32 v25, v9, v6, s27
                                        ; implicit-def: $vgpr6_vgpr7_vgpr8_vgpr9
; %bb.67:                               ;   in Loop: Header=BB136_52 Depth=1
	s_andn2_saveexec_b64 s[4:5], s[2:3]
; %bb.68:                               ;   in Loop: Header=BB136_52 Depth=1
	v_or_b32_e32 v6, 0x10000, v9
	v_cmp_eq_u32_sdwa s[2:3], v9, v18 src0_sel:WORD_0 src1_sel:DWORD
	v_cndmask_b32_e64 v25, v6, v9, s[2:3]
; %bb.69:                               ;   in Loop: Header=BB136_52 Depth=1
	s_or_b64 exec, exec, s[4:5]
	s_waitcnt lgkmcnt(0)
	v_and_b32_e32 v6, 0x7f800000, v2
	v_cmp_ne_u32_e64 s[2:3], s26, v6
                                        ; implicit-def: $vgpr26
	s_and_saveexec_b64 s[4:5], s[2:3]
	s_xor_b64 s[2:3], exec, s[4:5]
; %bb.70:                               ;   in Loop: Header=BB136_52 Depth=1
	v_bfe_u32 v6, v2, 16, 1
	v_add3_u32 v26, v2, v6, s27
; %bb.71:                               ;   in Loop: Header=BB136_52 Depth=1
	s_andn2_saveexec_b64 s[4:5], s[2:3]
; %bb.72:                               ;   in Loop: Header=BB136_52 Depth=1
	v_or_b32_e32 v6, 0x10000, v2
	v_cmp_eq_u32_sdwa s[2:3], v2, v18 src0_sel:WORD_0 src1_sel:DWORD
	v_cndmask_b32_e64 v26, v6, v2, s[2:3]
; %bb.73:                               ;   in Loop: Header=BB136_52 Depth=1
	s_or_b64 exec, exec, s[4:5]
	v_and_b32_e32 v2, 0x7f800000, v3
	v_cmp_ne_u32_e64 s[2:3], s26, v2
                                        ; implicit-def: $vgpr27
	s_and_saveexec_b64 s[4:5], s[2:3]
	s_xor_b64 s[2:3], exec, s[4:5]
; %bb.74:                               ;   in Loop: Header=BB136_52 Depth=1
	v_bfe_u32 v2, v3, 16, 1
	v_add3_u32 v27, v3, v2, s27
; %bb.75:                               ;   in Loop: Header=BB136_52 Depth=1
	s_andn2_saveexec_b64 s[4:5], s[2:3]
; %bb.76:                               ;   in Loop: Header=BB136_52 Depth=1
	v_or_b32_e32 v2, 0x10000, v3
	v_cmp_eq_u32_sdwa s[2:3], v3, v18 src0_sel:WORD_0 src1_sel:DWORD
	v_cndmask_b32_e64 v27, v2, v3, s[2:3]
; %bb.77:                               ;   in Loop: Header=BB136_52 Depth=1
	s_or_b64 exec, exec, s[4:5]
	v_and_b32_e32 v2, 0x7f800000, v4
	v_cmp_ne_u32_e64 s[2:3], s26, v2
                                        ; implicit-def: $vgpr7
	s_and_saveexec_b64 s[4:5], s[2:3]
	s_xor_b64 s[2:3], exec, s[4:5]
; %bb.78:                               ;   in Loop: Header=BB136_52 Depth=1
	v_bfe_u32 v2, v4, 16, 1
	v_add3_u32 v7, v4, v2, s27
; %bb.79:                               ;   in Loop: Header=BB136_52 Depth=1
	s_andn2_saveexec_b64 s[4:5], s[2:3]
; %bb.80:                               ;   in Loop: Header=BB136_52 Depth=1
	v_or_b32_e32 v2, 0x10000, v4
	v_cmp_eq_u32_sdwa s[2:3], v4, v18 src0_sel:WORD_0 src1_sel:DWORD
	v_cndmask_b32_e64 v7, v2, v4, s[2:3]
; %bb.81:                               ;   in Loop: Header=BB136_52 Depth=1
	s_or_b64 exec, exec, s[4:5]
	v_and_b32_e32 v2, 0x7f800000, v5
	v_cmp_ne_u32_e64 s[2:3], s26, v2
                                        ; implicit-def: $vgpr6
	s_and_saveexec_b64 s[4:5], s[2:3]
	s_xor_b64 s[2:3], exec, s[4:5]
; %bb.82:                               ;   in Loop: Header=BB136_52 Depth=1
	v_bfe_u32 v2, v5, 16, 1
	v_add3_u32 v6, v5, v2, s27
                                        ; implicit-def: $vgpr2_vgpr3_vgpr4_vgpr5
; %bb.83:                               ;   in Loop: Header=BB136_52 Depth=1
	s_andn2_saveexec_b64 s[4:5], s[2:3]
; %bb.84:                               ;   in Loop: Header=BB136_52 Depth=1
	v_or_b32_e32 v2, 0x10000, v5
	v_cmp_eq_u32_sdwa s[2:3], v5, v18 src0_sel:WORD_0 src1_sel:DWORD
	v_cndmask_b32_e64 v6, v2, v5, s[2:3]
; %bb.85:                               ;   in Loop: Header=BB136_52 Depth=1
	s_or_b64 exec, exec, s[4:5]
	s_waitcnt vmcnt(0)
	v_mad_i64_i32 v[2:3], s[2:3], v28, s24, 0
	v_lshlrev_b64 v[2:3], 1, v[2:3]
	v_mov_b32_e32 v4, s21
	v_add_co_u32_e64 v8, s[2:3], s11, v2
	v_addc_co_u32_e64 v9, s[2:3], v4, v3, s[2:3]
	v_add_co_u32_e64 v2, s[2:3], v8, v20
	v_addc_co_u32_e64 v3, s[2:3], 0, v9, s[2:3]
	global_load_dwordx4 v[2:5], v[2:3], off
	v_cmp_eq_u32_e64 s[2:3], s25, v10
	s_waitcnt vmcnt(0)
	v_lshrrev_b32_e32 v31, 16, v2
	v_lshrrev_b32_e32 v29, 16, v3
	;; [unrolled: 1-line block ×4, first 2 shown]
	s_and_saveexec_b64 s[18:19], s[2:3]
	s_cbranch_execz .LBB136_87
; %bb.86:                               ;   in Loop: Header=BB136_52 Depth=1
	v_cmp_gt_i32_e64 s[4:5], s31, v16
	v_add_u32_e32 v32, 1, v16
	v_cndmask_b32_e64 v2, 0, v2, s[4:5]
	v_cmp_gt_i32_e64 s[4:5], s31, v32
	v_add_u32_e32 v32, 2, v16
	v_cndmask_b32_e64 v31, 0, v31, s[4:5]
	;; [unrolled: 3-line block ×7, first 2 shown]
	v_cmp_gt_i32_e64 s[4:5], s31, v32
	v_cndmask_b32_e64 v30, 0, v30, s[4:5]
.LBB136_87:                             ;   in Loop: Header=BB136_52 Depth=1
	s_or_b64 exec, exec, s[18:19]
	v_and_b32_e32 v22, 0xffff0000, v22
	v_lshlrev_b32_e32 v2, 16, v2
	v_mul_f32_e32 v32, v22, v2
	v_and_b32_e32 v2, 0x7f800000, v32
	v_cmp_ne_u32_e64 s[4:5], s26, v2
                                        ; implicit-def: $vgpr2
	s_and_saveexec_b64 s[18:19], s[4:5]
	s_xor_b64 s[4:5], exec, s[18:19]
; %bb.88:                               ;   in Loop: Header=BB136_52 Depth=1
	v_bfe_u32 v2, v32, 16, 1
	v_add3_u32 v2, v32, v2, s27
                                        ; implicit-def: $vgpr32
; %bb.89:                               ;   in Loop: Header=BB136_52 Depth=1
	s_andn2_saveexec_b64 s[18:19], s[4:5]
; %bb.90:                               ;   in Loop: Header=BB136_52 Depth=1
	v_or_b32_e32 v2, 0x10000, v32
	v_cmp_eq_u32_sdwa s[4:5], v32, v18 src0_sel:WORD_0 src1_sel:DWORD
	v_cndmask_b32_e64 v2, v2, v32, s[4:5]
; %bb.91:                               ;   in Loop: Header=BB136_52 Depth=1
	s_or_b64 exec, exec, s[18:19]
	v_and_b32_e32 v23, 0xffff0000, v23
	v_lshlrev_b32_e32 v31, 16, v31
	v_mul_f32_e32 v32, v23, v31
	v_and_b32_e32 v31, 0x7f800000, v32
	v_cmp_ne_u32_e64 s[4:5], s26, v31
                                        ; implicit-def: $vgpr31
	s_and_saveexec_b64 s[18:19], s[4:5]
	s_xor_b64 s[4:5], exec, s[18:19]
; %bb.92:                               ;   in Loop: Header=BB136_52 Depth=1
	v_bfe_u32 v31, v32, 16, 1
	v_add3_u32 v31, v32, v31, s27
                                        ; implicit-def: $vgpr32
; %bb.93:                               ;   in Loop: Header=BB136_52 Depth=1
	s_andn2_saveexec_b64 s[18:19], s[4:5]
; %bb.94:                               ;   in Loop: Header=BB136_52 Depth=1
	v_or_b32_e32 v31, 0x10000, v32
	v_cmp_eq_u32_sdwa s[4:5], v32, v18 src0_sel:WORD_0 src1_sel:DWORD
	v_cndmask_b32_e64 v31, v31, v32, s[4:5]
; %bb.95:                               ;   in Loop: Header=BB136_52 Depth=1
	s_or_b64 exec, exec, s[18:19]
	v_and_b32_e32 v24, 0xffff0000, v24
	v_lshlrev_b32_e32 v3, 16, v3
	v_mul_f32_e32 v32, v24, v3
	v_and_b32_e32 v3, 0x7f800000, v32
	v_cmp_ne_u32_e64 s[4:5], s26, v3
                                        ; implicit-def: $vgpr3
	s_and_saveexec_b64 s[18:19], s[4:5]
	s_xor_b64 s[4:5], exec, s[18:19]
; %bb.96:                               ;   in Loop: Header=BB136_52 Depth=1
	v_bfe_u32 v3, v32, 16, 1
	v_add3_u32 v3, v32, v3, s27
                                        ; implicit-def: $vgpr32
; %bb.97:                               ;   in Loop: Header=BB136_52 Depth=1
	s_andn2_saveexec_b64 s[18:19], s[4:5]
; %bb.98:                               ;   in Loop: Header=BB136_52 Depth=1
	v_or_b32_e32 v3, 0x10000, v32
	v_cmp_eq_u32_sdwa s[4:5], v32, v18 src0_sel:WORD_0 src1_sel:DWORD
	v_cndmask_b32_e64 v3, v3, v32, s[4:5]
; %bb.99:                               ;   in Loop: Header=BB136_52 Depth=1
	s_or_b64 exec, exec, s[18:19]
	v_and_b32_e32 v25, 0xffff0000, v25
	v_lshlrev_b32_e32 v29, 16, v29
	v_mul_f32_e32 v29, v25, v29
	v_and_b32_e32 v32, 0x7f800000, v29
	v_cmp_ne_u32_e64 s[4:5], s26, v32
                                        ; implicit-def: $vgpr32
	s_and_saveexec_b64 s[18:19], s[4:5]
	s_xor_b64 s[4:5], exec, s[18:19]
; %bb.100:                              ;   in Loop: Header=BB136_52 Depth=1
	v_bfe_u32 v32, v29, 16, 1
	v_add3_u32 v32, v29, v32, s27
                                        ; implicit-def: $vgpr29
; %bb.101:                              ;   in Loop: Header=BB136_52 Depth=1
	s_andn2_saveexec_b64 s[18:19], s[4:5]
; %bb.102:                              ;   in Loop: Header=BB136_52 Depth=1
	v_or_b32_e32 v32, 0x10000, v29
	v_cmp_eq_u32_sdwa s[4:5], v29, v18 src0_sel:WORD_0 src1_sel:DWORD
	v_cndmask_b32_e64 v32, v32, v29, s[4:5]
; %bb.103:                              ;   in Loop: Header=BB136_52 Depth=1
	s_or_b64 exec, exec, s[18:19]
	v_and_b32_e32 v26, 0xffff0000, v26
	v_lshlrev_b32_e32 v4, 16, v4
	v_mul_f32_e32 v29, v26, v4
	v_and_b32_e32 v4, 0x7f800000, v29
	v_cmp_ne_u32_e64 s[4:5], s26, v4
                                        ; implicit-def: $vgpr4
	s_and_saveexec_b64 s[18:19], s[4:5]
	s_xor_b64 s[4:5], exec, s[18:19]
; %bb.104:                              ;   in Loop: Header=BB136_52 Depth=1
	v_bfe_u32 v4, v29, 16, 1
	v_add3_u32 v4, v29, v4, s27
                                        ; implicit-def: $vgpr29
; %bb.105:                              ;   in Loop: Header=BB136_52 Depth=1
	s_andn2_saveexec_b64 s[18:19], s[4:5]
; %bb.106:                              ;   in Loop: Header=BB136_52 Depth=1
	v_or_b32_e32 v4, 0x10000, v29
	v_cmp_eq_u32_sdwa s[4:5], v29, v18 src0_sel:WORD_0 src1_sel:DWORD
	v_cndmask_b32_e64 v4, v4, v29, s[4:5]
; %bb.107:                              ;   in Loop: Header=BB136_52 Depth=1
	s_or_b64 exec, exec, s[18:19]
	v_and_b32_e32 v27, 0xffff0000, v27
	v_lshlrev_b32_e32 v28, 16, v28
	v_mul_f32_e32 v28, v27, v28
	v_and_b32_e32 v29, 0x7f800000, v28
	v_cmp_ne_u32_e64 s[4:5], s26, v29
                                        ; implicit-def: $vgpr33
	s_and_saveexec_b64 s[18:19], s[4:5]
	s_xor_b64 s[4:5], exec, s[18:19]
; %bb.108:                              ;   in Loop: Header=BB136_52 Depth=1
	v_bfe_u32 v29, v28, 16, 1
	v_add3_u32 v33, v28, v29, s27
                                        ; implicit-def: $vgpr28
; %bb.109:                              ;   in Loop: Header=BB136_52 Depth=1
	s_andn2_saveexec_b64 s[18:19], s[4:5]
; %bb.110:                              ;   in Loop: Header=BB136_52 Depth=1
	v_or_b32_e32 v29, 0x10000, v28
	v_cmp_eq_u32_sdwa s[4:5], v28, v18 src0_sel:WORD_0 src1_sel:DWORD
	v_cndmask_b32_e64 v33, v29, v28, s[4:5]
; %bb.111:                              ;   in Loop: Header=BB136_52 Depth=1
	s_or_b64 exec, exec, s[18:19]
	v_and_b32_e32 v28, 0xffff0000, v7
	v_lshlrev_b32_e32 v5, 16, v5
	v_mul_f32_e32 v7, v28, v5
	v_and_b32_e32 v5, 0x7f800000, v7
	v_cmp_ne_u32_e64 s[4:5], s26, v5
                                        ; implicit-def: $vgpr5
	s_and_saveexec_b64 s[18:19], s[4:5]
	s_xor_b64 s[4:5], exec, s[18:19]
; %bb.112:                              ;   in Loop: Header=BB136_52 Depth=1
	v_bfe_u32 v5, v7, 16, 1
	v_add3_u32 v5, v7, v5, s27
                                        ; implicit-def: $vgpr7
; %bb.113:                              ;   in Loop: Header=BB136_52 Depth=1
	s_andn2_saveexec_b64 s[18:19], s[4:5]
; %bb.114:                              ;   in Loop: Header=BB136_52 Depth=1
	v_or_b32_e32 v5, 0x10000, v7
	v_cmp_eq_u32_sdwa s[4:5], v7, v18 src0_sel:WORD_0 src1_sel:DWORD
	v_cndmask_b32_e64 v5, v5, v7, s[4:5]
; %bb.115:                              ;   in Loop: Header=BB136_52 Depth=1
	s_or_b64 exec, exec, s[18:19]
	v_and_b32_e32 v29, 0xffff0000, v6
	v_lshlrev_b32_e32 v6, 16, v30
	v_mul_f32_e32 v6, v29, v6
	v_and_b32_e32 v7, 0x7f800000, v6
	v_cmp_ne_u32_e64 s[4:5], s26, v7
                                        ; implicit-def: $vgpr7
	s_and_saveexec_b64 s[18:19], s[4:5]
	s_xor_b64 s[4:5], exec, s[18:19]
; %bb.116:                              ;   in Loop: Header=BB136_52 Depth=1
	v_bfe_u32 v7, v6, 16, 1
	v_add3_u32 v7, v6, v7, s27
                                        ; implicit-def: $vgpr6
; %bb.117:                              ;   in Loop: Header=BB136_52 Depth=1
	s_andn2_saveexec_b64 s[18:19], s[4:5]
; %bb.118:                              ;   in Loop: Header=BB136_52 Depth=1
	v_or_b32_e32 v7, 0x10000, v6
	v_cmp_eq_u32_sdwa s[4:5], v6, v18 src0_sel:WORD_0 src1_sel:DWORD
	v_cndmask_b32_e64 v7, v7, v6, s[4:5]
; %bb.119:                              ;   in Loop: Header=BB136_52 Depth=1
	s_or_b64 exec, exec, s[18:19]
	v_and_b32_e32 v6, 0xffff0000, v33
	v_and_b32_e32 v33, 0xffff0000, v32
	;; [unrolled: 1-line block ×5, first 2 shown]
	v_pk_add_f32 v[2:3], v[2:3], v[32:33]
	v_and_b32_e32 v7, 0xffff0000, v7
	v_and_b32_e32 v5, 0xffff0000, v5
	;; [unrolled: 1-line block ×3, first 2 shown]
	v_mov_b32_e32 v30, v3
	v_pk_add_f32 v[2:3], v[2:3], v[30:31]
	v_pk_add_f32 v[4:5], v[4:5], v[6:7]
	;; [unrolled: 1-line block ×3, first 2 shown]
	v_mov_b32_e32 v4, v5
	v_pk_add_f32 v[2:3], v[2:3], v[4:5]
	v_pk_add_f32 v[6:7], v[12:13], v[2:3]
	s_and_saveexec_b64 s[18:19], vcc
	s_cbranch_execz .LBB136_50
; %bb.120:                              ;   in Loop: Header=BB136_52 Depth=1
	v_add_co_u32_e64 v2, s[4:5], v8, v21
	v_addc_co_u32_e64 v3, s[4:5], 0, v9, s[4:5]
	global_load_dwordx4 v[2:5], v[2:3], off
	s_waitcnt vmcnt(0)
	v_lshrrev_b32_e32 v8, 16, v2
	v_lshrrev_b32_e32 v30, 16, v3
	;; [unrolled: 1-line block ×4, first 2 shown]
	s_and_saveexec_b64 s[4:5], s[2:3]
	s_cbranch_execz .LBB136_122
; %bb.121:                              ;   in Loop: Header=BB136_52 Depth=1
	v_cmp_gt_i32_e64 s[2:3], s31, v16
	v_add_u32_e32 v31, 1, v16
	v_cndmask_b32_e64 v2, 0, v2, s[2:3]
	v_cmp_gt_i32_e64 s[2:3], s31, v31
	v_add_u32_e32 v31, 2, v16
	v_cndmask_b32_e64 v8, 0, v8, s[2:3]
	v_cmp_gt_i32_e64 s[2:3], s31, v31
	v_add_u32_e32 v31, 3, v16
	v_cndmask_b32_e64 v3, 0, v3, s[2:3]
	v_cmp_gt_i32_e64 s[2:3], s31, v31
	v_add_u32_e32 v31, 4, v16
	v_cndmask_b32_e64 v30, 0, v30, s[2:3]
	v_cmp_gt_i32_e64 s[2:3], s31, v31
	v_add_u32_e32 v31, 5, v16
	v_cndmask_b32_e64 v4, 0, v4, s[2:3]
	v_cmp_gt_i32_e64 s[2:3], s31, v31
	v_add_u32_e32 v31, 6, v16
	v_cndmask_b32_e64 v9, 0, v9, s[2:3]
	v_cmp_gt_i32_e64 s[2:3], s31, v31
	v_add_u32_e32 v31, 7, v16
	v_cndmask_b32_e64 v5, 0, v5, s[2:3]
	v_cmp_gt_i32_e64 s[2:3], s31, v31
	v_cndmask_b32_e64 v7, 0, v7, s[2:3]
.LBB136_122:                            ;   in Loop: Header=BB136_52 Depth=1
	s_or_b64 exec, exec, s[4:5]
	v_lshlrev_b32_e32 v2, 16, v2
	v_mul_f32_e32 v22, v22, v2
	v_and_b32_e32 v2, 0x7f800000, v22
	v_cmp_ne_u32_e64 s[2:3], s26, v2
                                        ; implicit-def: $vgpr2
	s_and_saveexec_b64 s[4:5], s[2:3]
	s_xor_b64 s[2:3], exec, s[4:5]
; %bb.123:                              ;   in Loop: Header=BB136_52 Depth=1
	v_bfe_u32 v2, v22, 16, 1
	v_add3_u32 v2, v22, v2, s27
                                        ; implicit-def: $vgpr22
; %bb.124:                              ;   in Loop: Header=BB136_52 Depth=1
	s_andn2_saveexec_b64 s[4:5], s[2:3]
; %bb.125:                              ;   in Loop: Header=BB136_52 Depth=1
	v_or_b32_e32 v2, 0x10000, v22
	v_cmp_eq_u32_sdwa s[2:3], v22, v18 src0_sel:WORD_0 src1_sel:DWORD
	v_cndmask_b32_e64 v2, v2, v22, s[2:3]
; %bb.126:                              ;   in Loop: Header=BB136_52 Depth=1
	s_or_b64 exec, exec, s[4:5]
	v_lshlrev_b32_e32 v8, 16, v8
	v_mul_f32_e32 v22, v23, v8
	v_and_b32_e32 v8, 0x7f800000, v22
	v_cmp_ne_u32_e64 s[2:3], s26, v8
                                        ; implicit-def: $vgpr8
	s_and_saveexec_b64 s[4:5], s[2:3]
	s_xor_b64 s[2:3], exec, s[4:5]
; %bb.127:                              ;   in Loop: Header=BB136_52 Depth=1
	v_bfe_u32 v8, v22, 16, 1
	v_add3_u32 v8, v22, v8, s27
                                        ; implicit-def: $vgpr22
; %bb.128:                              ;   in Loop: Header=BB136_52 Depth=1
	s_andn2_saveexec_b64 s[4:5], s[2:3]
; %bb.129:                              ;   in Loop: Header=BB136_52 Depth=1
	v_or_b32_e32 v8, 0x10000, v22
	v_cmp_eq_u32_sdwa s[2:3], v22, v18 src0_sel:WORD_0 src1_sel:DWORD
	v_cndmask_b32_e64 v8, v8, v22, s[2:3]
; %bb.130:                              ;   in Loop: Header=BB136_52 Depth=1
	s_or_b64 exec, exec, s[4:5]
	v_lshlrev_b32_e32 v3, 16, v3
	v_mul_f32_e32 v22, v24, v3
	v_and_b32_e32 v3, 0x7f800000, v22
	v_cmp_ne_u32_e64 s[2:3], s26, v3
                                        ; implicit-def: $vgpr3
	s_and_saveexec_b64 s[4:5], s[2:3]
	s_xor_b64 s[2:3], exec, s[4:5]
; %bb.131:                              ;   in Loop: Header=BB136_52 Depth=1
	v_bfe_u32 v3, v22, 16, 1
	v_add3_u32 v3, v22, v3, s27
                                        ; implicit-def: $vgpr22
; %bb.132:                              ;   in Loop: Header=BB136_52 Depth=1
	s_andn2_saveexec_b64 s[4:5], s[2:3]
; %bb.133:                              ;   in Loop: Header=BB136_52 Depth=1
	v_or_b32_e32 v3, 0x10000, v22
	v_cmp_eq_u32_sdwa s[2:3], v22, v18 src0_sel:WORD_0 src1_sel:DWORD
	v_cndmask_b32_e64 v3, v3, v22, s[2:3]
; %bb.134:                              ;   in Loop: Header=BB136_52 Depth=1
	s_or_b64 exec, exec, s[4:5]
	v_lshlrev_b32_e32 v22, 16, v30
	v_mul_f32_e32 v23, v25, v22
	v_and_b32_e32 v22, 0x7f800000, v23
	v_cmp_ne_u32_e64 s[2:3], s26, v22
                                        ; implicit-def: $vgpr22
	s_and_saveexec_b64 s[4:5], s[2:3]
	s_xor_b64 s[2:3], exec, s[4:5]
; %bb.135:                              ;   in Loop: Header=BB136_52 Depth=1
	v_bfe_u32 v22, v23, 16, 1
	v_add3_u32 v22, v23, v22, s27
                                        ; implicit-def: $vgpr23
; %bb.136:                              ;   in Loop: Header=BB136_52 Depth=1
	s_andn2_saveexec_b64 s[4:5], s[2:3]
; %bb.137:                              ;   in Loop: Header=BB136_52 Depth=1
	v_or_b32_e32 v22, 0x10000, v23
	v_cmp_eq_u32_sdwa s[2:3], v23, v18 src0_sel:WORD_0 src1_sel:DWORD
	v_cndmask_b32_e64 v22, v22, v23, s[2:3]
; %bb.138:                              ;   in Loop: Header=BB136_52 Depth=1
	s_or_b64 exec, exec, s[4:5]
	v_lshlrev_b32_e32 v4, 16, v4
	v_mul_f32_e32 v23, v26, v4
	v_and_b32_e32 v4, 0x7f800000, v23
	v_cmp_ne_u32_e64 s[2:3], s26, v4
                                        ; implicit-def: $vgpr4
	s_and_saveexec_b64 s[4:5], s[2:3]
	s_xor_b64 s[2:3], exec, s[4:5]
; %bb.139:                              ;   in Loop: Header=BB136_52 Depth=1
	v_bfe_u32 v4, v23, 16, 1
	v_add3_u32 v4, v23, v4, s27
                                        ; implicit-def: $vgpr23
; %bb.140:                              ;   in Loop: Header=BB136_52 Depth=1
	s_andn2_saveexec_b64 s[4:5], s[2:3]
; %bb.141:                              ;   in Loop: Header=BB136_52 Depth=1
	v_or_b32_e32 v4, 0x10000, v23
	v_cmp_eq_u32_sdwa s[2:3], v23, v18 src0_sel:WORD_0 src1_sel:DWORD
	v_cndmask_b32_e64 v4, v4, v23, s[2:3]
; %bb.142:                              ;   in Loop: Header=BB136_52 Depth=1
	s_or_b64 exec, exec, s[4:5]
	v_lshlrev_b32_e32 v9, 16, v9
	v_mul_f32_e32 v23, v27, v9
	v_and_b32_e32 v9, 0x7f800000, v23
	v_cmp_ne_u32_e64 s[2:3], s26, v9
                                        ; implicit-def: $vgpr9
	s_and_saveexec_b64 s[4:5], s[2:3]
	s_xor_b64 s[2:3], exec, s[4:5]
; %bb.143:                              ;   in Loop: Header=BB136_52 Depth=1
	v_bfe_u32 v9, v23, 16, 1
	v_add3_u32 v9, v23, v9, s27
                                        ; implicit-def: $vgpr23
; %bb.144:                              ;   in Loop: Header=BB136_52 Depth=1
	s_andn2_saveexec_b64 s[4:5], s[2:3]
; %bb.145:                              ;   in Loop: Header=BB136_52 Depth=1
	v_or_b32_e32 v9, 0x10000, v23
	v_cmp_eq_u32_sdwa s[2:3], v23, v18 src0_sel:WORD_0 src1_sel:DWORD
	v_cndmask_b32_e64 v9, v9, v23, s[2:3]
; %bb.146:                              ;   in Loop: Header=BB136_52 Depth=1
	s_or_b64 exec, exec, s[4:5]
	v_lshlrev_b32_e32 v5, 16, v5
	v_mul_f32_e32 v23, v28, v5
	v_and_b32_e32 v5, 0x7f800000, v23
	v_cmp_ne_u32_e64 s[2:3], s26, v5
                                        ; implicit-def: $vgpr5
	s_and_saveexec_b64 s[4:5], s[2:3]
	s_xor_b64 s[2:3], exec, s[4:5]
; %bb.147:                              ;   in Loop: Header=BB136_52 Depth=1
	v_bfe_u32 v5, v23, 16, 1
	v_add3_u32 v5, v23, v5, s27
                                        ; implicit-def: $vgpr23
; %bb.148:                              ;   in Loop: Header=BB136_52 Depth=1
	s_andn2_saveexec_b64 s[4:5], s[2:3]
; %bb.149:                              ;   in Loop: Header=BB136_52 Depth=1
	v_or_b32_e32 v5, 0x10000, v23
	v_cmp_eq_u32_sdwa s[2:3], v23, v18 src0_sel:WORD_0 src1_sel:DWORD
	v_cndmask_b32_e64 v5, v5, v23, s[2:3]
; %bb.150:                              ;   in Loop: Header=BB136_52 Depth=1
	s_or_b64 exec, exec, s[4:5]
	v_lshlrev_b32_e32 v7, 16, v7
	v_mul_f32_e32 v7, v29, v7
	v_and_b32_e32 v23, 0x7f800000, v7
	v_cmp_ne_u32_e64 s[2:3], s26, v23
                                        ; implicit-def: $vgpr23
	s_and_saveexec_b64 s[4:5], s[2:3]
	s_xor_b64 s[2:3], exec, s[4:5]
; %bb.151:                              ;   in Loop: Header=BB136_52 Depth=1
	v_bfe_u32 v23, v7, 16, 1
	v_add3_u32 v23, v7, v23, s27
                                        ; implicit-def: $vgpr7
; %bb.152:                              ;   in Loop: Header=BB136_52 Depth=1
	s_andn2_saveexec_b64 s[4:5], s[2:3]
	s_cbranch_execz .LBB136_49
; %bb.153:                              ;   in Loop: Header=BB136_52 Depth=1
	v_or_b32_e32 v23, 0x10000, v7
	v_cmp_eq_u32_sdwa s[2:3], v7, v18 src0_sel:WORD_0 src1_sel:DWORD
	v_cndmask_b32_e64 v23, v23, v7, s[2:3]
	s_branch .LBB136_49
.LBB136_154:
	s_or_b64 exec, exec, s[12:13]
.LBB136_155:
	s_or_b64 exec, exec, s[6:7]
	v_and_b32_e32 v2, 0x3c0, v0
	v_cmp_eq_u32_e32 vcc, 64, v2
	s_barrier
	s_and_saveexec_b64 s[2:3], vcc
	s_cbranch_execz .LBB136_158
; %bb.156:
	v_mov_b32_e32 v2, 0x100
	v_lshl_add_u32 v3, v17, 2, v2
	ds_write_b32 v3, v12
	s_and_b64 exec, exec, s[0:1]
	s_cbranch_execz .LBB136_158
; %bb.157:
	v_lshl_add_u32 v2, v0, 2, v2
	ds_write_b32 v2, v13
.LBB136_158:
	s_or_b64 exec, exec, s[2:3]
	v_cmp_gt_u32_e32 vcc, 64, v0
	v_or_b32_e32 v2, 64, v0
	s_waitcnt lgkmcnt(0)
	s_barrier
	s_and_saveexec_b64 s[2:3], vcc
	s_cbranch_execz .LBB136_162
; %bb.159:
	v_mov_b32_e32 v3, 0x100
	v_lshl_add_u32 v3, v0, 2, v3
	ds_read_b32 v0, v3
	s_movk_i32 s0, 0x78
	v_cmp_gt_u32_e64 s[0:1], s0, v2
	s_and_saveexec_b64 s[4:5], s[0:1]
	s_cbranch_execz .LBB136_161
; %bb.160:
	ds_read_b32 v3, v3 offset:256
	s_waitcnt lgkmcnt(0)
	v_add_f32_e32 v13, v13, v3
.LBB136_161:
	s_or_b64 exec, exec, s[4:5]
	s_waitcnt lgkmcnt(0)
	v_add_f32_e32 v12, v12, v0
.LBB136_162:
	s_or_b64 exec, exec, s[2:3]
	s_barrier
	s_and_saveexec_b64 s[0:1], vcc
	s_cbranch_execz .LBB136_173
; %bb.163:
	s_mov_b32 s0, 0x7f800000
	v_and_b32_e32 v0, 0x7f800000, v12
	v_cmp_ne_u32_e32 vcc, s0, v0
                                        ; implicit-def: $vgpr0
	s_and_saveexec_b64 s[0:1], vcc
	s_xor_b64 s[0:1], exec, s[0:1]
; %bb.164:
	v_bfe_u32 v0, v12, 16, 1
	s_movk_i32 s2, 0x7fff
	v_add3_u32 v0, v12, v0, s2
; %bb.165:
	s_andn2_saveexec_b64 s[0:1], s[0:1]
; %bb.166:
	v_mov_b32_e32 v0, 0
	v_or_b32_e32 v3, 0x10000, v12
	v_cmp_eq_u32_sdwa vcc, v12, v0 src0_sel:WORD_0 src1_sel:DWORD
	v_cndmask_b32_e32 v0, v3, v12, vcc
; %bb.167:
	s_or_b64 exec, exec, s[0:1]
	s_mul_i32 s0, s10, 0x78
	s_ashr_i32 s1, s0, 31
	s_lshl_b64 s[0:1], s[0:1], 1
	s_add_u32 s3, s28, s0
	s_mul_i32 s0, s15, s14
	s_addc_u32 s4, s29, s1
	s_ashr_i32 s1, s0, 31
	s_lshl_b64 s[0:1], s[0:1], 1
	s_add_u32 s3, s3, s0
	s_mul_i32 s0, s8, 0x78
	s_addc_u32 s4, s4, s1
	s_ashr_i32 s1, s0, 31
	s_lshl_b64 s[0:1], s[0:1], 1
	s_movk_i32 s2, 0x78
	s_add_u32 s0, s3, s0
	s_addc_u32 s1, s4, s1
	v_cmp_gt_u32_e32 vcc, s2, v2
	global_store_short_d16_hi v1, v0, s[0:1]
	s_and_b64 exec, exec, vcc
	s_cbranch_execz .LBB136_173
; %bb.168:
	v_mov_b32_e32 v2, s1
	v_add_co_u32_e32 v0, vcc, s0, v1
	v_addc_co_u32_e32 v1, vcc, 0, v2, vcc
	s_mov_b32 s0, 0x7f800000
	v_and_b32_e32 v2, 0x7f800000, v13
	v_cmp_ne_u32_e32 vcc, s0, v2
                                        ; implicit-def: $vgpr2
	s_and_saveexec_b64 s[0:1], vcc
	s_xor_b64 s[0:1], exec, s[0:1]
; %bb.169:
	v_bfe_u32 v2, v13, 16, 1
	s_movk_i32 s2, 0x7fff
	v_add3_u32 v2, v13, v2, s2
                                        ; implicit-def: $vgpr13
; %bb.170:
	s_andn2_saveexec_b64 s[0:1], s[0:1]
; %bb.171:
	v_mov_b32_e32 v2, 0
	v_or_b32_e32 v3, 0x10000, v13
	v_cmp_eq_u32_sdwa vcc, v13, v2 src0_sel:WORD_0 src1_sel:DWORD
	v_cndmask_b32_e32 v2, v3, v13, vcc
; %bb.172:
	s_or_b64 exec, exec, s[0:1]
	global_store_short_d16_hi v[0:1], v2, off offset:128
.LBB136_173:
	s_endpgm
	.section	.rodata,"a",@progbits
	.p2align	6, 0x0
	.amdhsa_kernel _ZN4vllm25paged_attention_v2_kernelI14__hip_bfloat16S1_Li120ELi8ELi128ELNS_18Fp8KVCacheDataTypeE0ELb1ELi512EEEvPfS3_PT_PKS4_PKT0_SA_ifPKiSC_iPKfiiiSE_SE_iiiii
		.amdhsa_group_segment_fixed_size 256
		.amdhsa_private_segment_fixed_size 0
		.amdhsa_kernarg_size 400
		.amdhsa_user_sgpr_count 6
		.amdhsa_user_sgpr_private_segment_buffer 1
		.amdhsa_user_sgpr_dispatch_ptr 0
		.amdhsa_user_sgpr_queue_ptr 0
		.amdhsa_user_sgpr_kernarg_segment_ptr 1
		.amdhsa_user_sgpr_dispatch_id 0
		.amdhsa_user_sgpr_flat_scratch_init 0
		.amdhsa_user_sgpr_kernarg_preload_length 0
		.amdhsa_user_sgpr_kernarg_preload_offset 0
		.amdhsa_user_sgpr_private_segment_size 0
		.amdhsa_uses_dynamic_stack 0
		.amdhsa_system_sgpr_private_segment_wavefront_offset 0
		.amdhsa_system_sgpr_workgroup_id_x 1
		.amdhsa_system_sgpr_workgroup_id_y 1
		.amdhsa_system_sgpr_workgroup_id_z 1
		.amdhsa_system_sgpr_workgroup_info 0
		.amdhsa_system_vgpr_workitem_id 0
		.amdhsa_next_free_vgpr 56
		.amdhsa_next_free_sgpr 54
		.amdhsa_accum_offset 56
		.amdhsa_reserve_vcc 1
		.amdhsa_reserve_flat_scratch 0
		.amdhsa_float_round_mode_32 0
		.amdhsa_float_round_mode_16_64 0
		.amdhsa_float_denorm_mode_32 3
		.amdhsa_float_denorm_mode_16_64 3
		.amdhsa_dx10_clamp 1
		.amdhsa_ieee_mode 1
		.amdhsa_fp16_overflow 0
		.amdhsa_tg_split 0
		.amdhsa_exception_fp_ieee_invalid_op 0
		.amdhsa_exception_fp_denorm_src 0
		.amdhsa_exception_fp_ieee_div_zero 0
		.amdhsa_exception_fp_ieee_overflow 0
		.amdhsa_exception_fp_ieee_underflow 0
		.amdhsa_exception_fp_ieee_inexact 0
		.amdhsa_exception_int_div_zero 0
	.end_amdhsa_kernel
	.section	.text._ZN4vllm25paged_attention_v2_kernelI14__hip_bfloat16S1_Li120ELi8ELi128ELNS_18Fp8KVCacheDataTypeE0ELb1ELi512EEEvPfS3_PT_PKS4_PKT0_SA_ifPKiSC_iPKfiiiSE_SE_iiiii,"axG",@progbits,_ZN4vllm25paged_attention_v2_kernelI14__hip_bfloat16S1_Li120ELi8ELi128ELNS_18Fp8KVCacheDataTypeE0ELb1ELi512EEEvPfS3_PT_PKS4_PKT0_SA_ifPKiSC_iPKfiiiSE_SE_iiiii,comdat
.Lfunc_end136:
	.size	_ZN4vllm25paged_attention_v2_kernelI14__hip_bfloat16S1_Li120ELi8ELi128ELNS_18Fp8KVCacheDataTypeE0ELb1ELi512EEEvPfS3_PT_PKS4_PKT0_SA_ifPKiSC_iPKfiiiSE_SE_iiiii, .Lfunc_end136-_ZN4vllm25paged_attention_v2_kernelI14__hip_bfloat16S1_Li120ELi8ELi128ELNS_18Fp8KVCacheDataTypeE0ELb1ELi512EEEvPfS3_PT_PKS4_PKT0_SA_ifPKiSC_iPKfiiiSE_SE_iiiii
                                        ; -- End function
	.section	.AMDGPU.csdata,"",@progbits
; Kernel info:
; codeLenInByte = 7168
; NumSgprs: 58
; NumVgprs: 56
; NumAgprs: 0
; TotalNumVgprs: 56
; ScratchSize: 0
; MemoryBound: 0
; FloatMode: 240
; IeeeMode: 1
; LDSByteSize: 256 bytes/workgroup (compile time only)
; SGPRBlocks: 7
; VGPRBlocks: 6
; NumSGPRsForWavesPerEU: 58
; NumVGPRsForWavesPerEU: 56
; AccumOffset: 56
; Occupancy: 8
; WaveLimiterHint : 1
; COMPUTE_PGM_RSRC2:SCRATCH_EN: 0
; COMPUTE_PGM_RSRC2:USER_SGPR: 6
; COMPUTE_PGM_RSRC2:TRAP_HANDLER: 0
; COMPUTE_PGM_RSRC2:TGID_X_EN: 1
; COMPUTE_PGM_RSRC2:TGID_Y_EN: 1
; COMPUTE_PGM_RSRC2:TGID_Z_EN: 1
; COMPUTE_PGM_RSRC2:TIDIG_COMP_CNT: 0
; COMPUTE_PGM_RSRC3_GFX90A:ACCUM_OFFSET: 13
; COMPUTE_PGM_RSRC3_GFX90A:TG_SPLIT: 0
	.section	.text._ZN4vllm32paged_attention_v2_reduce_kernelI14__hip_bfloat16Li120ELi128ELi512EEEvPT_PKfS5_PKS2_PKii,"axG",@progbits,_ZN4vllm32paged_attention_v2_reduce_kernelI14__hip_bfloat16Li120ELi128ELi512EEEvPT_PKfS5_PKS2_PKii,comdat
	.protected	_ZN4vllm32paged_attention_v2_reduce_kernelI14__hip_bfloat16Li120ELi128ELi512EEEvPT_PKfS5_PKS2_PKii ; -- Begin function _ZN4vllm32paged_attention_v2_reduce_kernelI14__hip_bfloat16Li120ELi128ELi512EEEvPT_PKfS5_PKS2_PKii
	.globl	_ZN4vllm32paged_attention_v2_reduce_kernelI14__hip_bfloat16Li120ELi128ELi512EEEvPT_PKfS5_PKS2_PKii
	.p2align	8
	.type	_ZN4vllm32paged_attention_v2_reduce_kernelI14__hip_bfloat16Li120ELi128ELi512EEEvPT_PKfS5_PKS2_PKii,@function
_ZN4vllm32paged_attention_v2_reduce_kernelI14__hip_bfloat16Li120ELi128ELi512EEEvPT_PKfS5_PKS2_PKii: ; @_ZN4vllm32paged_attention_v2_reduce_kernelI14__hip_bfloat16Li120ELi128ELi512EEEvPT_PKfS5_PKS2_PKii
; %bb.0:
	s_load_dwordx4 s[8:11], s[4:5], 0x18
	s_add_u32 s12, s4, 48
	s_mov_b32 s14, s7
	s_addc_u32 s13, s5, 0
	s_ashr_i32 s15, s7, 31
	s_lshl_b64 s[0:1], s[14:15], 2
	s_waitcnt lgkmcnt(0)
	s_add_u32 s0, s10, s0
	s_addc_u32 s1, s11, s1
	s_load_dword s24, s[0:1], 0x0
	s_load_dwordx2 s[10:11], s[4:5], 0x0
	s_load_dword s7, s[4:5], 0x28
	s_load_dword s15, s[4:5], 0x30
	s_waitcnt lgkmcnt(0)
	s_add_i32 s0, s24, -1
	s_cmpk_gt_u32 s0, 0x1ff
	s_mov_b64 s[0:1], -1
	s_cbranch_scc0 .LBB137_29
; %bb.1:
	s_add_i32 s0, s24, 0x1ff
	s_load_dwordx2 s[20:21], s[4:5], 0x8
	s_ashr_i32 s1, s0, 31
	s_lshr_b32 s1, s1, 23
	s_add_i32 s0, s0, s1
	s_mul_i32 s22, s15, s14
	s_ashr_i32 s23, s0, 9
	s_mul_i32 s16, s22, s7
	s_mul_i32 s18, s6, s7
	s_ashr_i32 s17, s16, 31
	s_ashr_i32 s19, s18, 31
	v_cmp_gt_i32_e32 vcc, s23, v0
	v_mov_b32_e32 v5, 0xff7fffff
	v_lshlrev_b32_e32 v1, 2, v0
	s_and_saveexec_b64 s[2:3], vcc
	s_cbranch_execz .LBB137_5
; %bb.2:
	s_load_dword s25, s[12:13], 0xc
	s_load_dwordx2 s[0:1], s[4:5], 0x10
	s_lshl_b64 s[4:5], s[16:17], 2
	s_lshl_b64 s[26:27], s[18:19], 2
	s_mov_b32 s28, 0
	s_waitcnt lgkmcnt(0)
	s_and_b32 s25, s25, 0xffff
	s_add_u32 s4, s4, s26
	s_addc_u32 s5, s5, s27
	s_add_u32 s0, s0, s4
	s_addc_u32 s1, s1, s5
	v_mov_b32_e32 v3, s1
	v_add_co_u32_e64 v2, s[0:1], s0, v1
	v_addc_co_u32_e64 v3, s[0:1], 0, v3, s[0:1]
	s_lshl_b32 s26, s25, 2
	v_add_u32_e32 v4, 16, v1
	s_mov_b64 s[4:5], 0
	v_mov_b32_e32 v5, 0xff7fffff
	v_mov_b32_e32 v6, s28
	v_mov_b32_e32 v7, v0
.LBB137_3:                              ; =>This Inner Loop Header: Depth=1
	global_load_dword v8, v[2:3], off
	v_add_co_u32_e64 v2, s[0:1], s26, v2
	v_add_u32_e32 v7, s25, v7
	v_addc_co_u32_e64 v3, s[0:1], v3, v6, s[0:1]
	v_max_f32_e32 v5, v5, v5
	v_cmp_le_i32_e64 s[0:1], s23, v7
	s_or_b64 s[4:5], s[0:1], s[4:5]
	s_waitcnt vmcnt(0)
	ds_write_b32 v4, v8
	v_max_f32_e32 v8, v8, v8
	v_add_u32_e32 v4, s26, v4
	v_max_f32_e32 v5, v5, v8
	s_andn2_b64 exec, exec, s[4:5]
	s_cbranch_execnz .LBB137_3
; %bb.4:
	s_or_b64 exec, exec, s[4:5]
.LBB137_5:
	s_or_b64 exec, exec, s[2:3]
	v_mbcnt_lo_u32_b32 v2, -1, 0
	v_mbcnt_hi_u32_b32 v2, -1, v2
	v_and_b32_e32 v3, 64, v2
	v_add_u32_e32 v6, 64, v3
	v_xor_b32_e32 v3, 32, v2
	v_cmp_lt_i32_e64 s[0:1], v3, v6
	v_cndmask_b32_e64 v3, v2, v3, s[0:1]
	v_lshlrev_b32_e32 v4, 2, v3
	ds_bpermute_b32 v3, v4, v5
	v_xor_b32_e32 v7, 16, v2
	v_max_f32_e32 v5, v5, v5
	v_cmp_lt_i32_e64 s[0:1], v7, v6
	v_xor_b32_e32 v8, 8, v2
	s_waitcnt lgkmcnt(0)
	v_max_f32_e32 v3, v3, v3
	v_max_f32_e32 v3, v5, v3
	v_cndmask_b32_e64 v5, v2, v7, s[0:1]
	v_lshlrev_b32_e32 v5, 2, v5
	ds_bpermute_b32 v7, v5, v3
	v_cmp_lt_i32_e64 s[0:1], v8, v6
	v_xor_b32_e32 v9, 4, v2
	v_xor_b32_e32 v10, 2, v2
	v_lshrrev_b32_e32 v13, 6, v0
	s_waitcnt lgkmcnt(0)
	v_max_f32_e32 v7, v7, v7
	v_max_f32_e32 v3, v3, v7
	v_cndmask_b32_e64 v7, v2, v8, s[0:1]
	v_lshlrev_b32_e32 v7, 2, v7
	ds_bpermute_b32 v8, v7, v3
	v_cmp_lt_i32_e64 s[0:1], v9, v6
	s_waitcnt lgkmcnt(0)
	s_barrier
	v_max_f32_e32 v8, v8, v8
	v_max_f32_e32 v3, v3, v8
	v_cndmask_b32_e64 v8, v2, v9, s[0:1]
	v_lshlrev_b32_e32 v8, 2, v8
	ds_bpermute_b32 v9, v8, v3
	v_cmp_lt_i32_e64 s[0:1], v10, v6
	s_waitcnt lgkmcnt(0)
	v_max_f32_e32 v9, v9, v9
	v_max_f32_e32 v11, v3, v9
	v_cndmask_b32_e64 v3, v2, v10, s[0:1]
	v_lshlrev_b32_e32 v9, 2, v3
	ds_bpermute_b32 v10, v9, v11
	v_and_b32_e32 v3, 63, v0
	s_waitcnt lgkmcnt(0)
	v_max_f32_e32 v10, v10, v10
	v_max_f32_e32 v11, v11, v10
	v_xor_b32_e32 v10, 1, v2
	v_cmp_lt_i32_e64 s[0:1], v10, v6
	v_cndmask_b32_e64 v6, v2, v10, s[0:1]
	v_lshlrev_b32_e32 v6, 2, v6
	ds_bpermute_b32 v12, v6, v11
	v_cmp_eq_u32_e64 s[0:1], 0, v3
	v_lshlrev_b32_e32 v10, 2, v13
	s_and_saveexec_b64 s[2:3], s[0:1]
	s_cbranch_execz .LBB137_7
; %bb.6:
	s_waitcnt lgkmcnt(0)
	v_max_f32_e32 v12, v12, v12
	v_max_f32_e32 v11, v11, v11
	;; [unrolled: 1-line block ×3, first 2 shown]
	ds_write_b32 v10, v11
.LBB137_7:
	s_or_b64 exec, exec, s[2:3]
	v_cmp_gt_u32_e64 s[2:3], 2, v3
	s_waitcnt lgkmcnt(0)
	v_mov_b32_e32 v12, 0xff7fffff
	v_lshlrev_b32_e32 v11, 2, v3
	s_barrier
	s_and_saveexec_b64 s[4:5], s[2:3]
	s_cbranch_execz .LBB137_9
; %bb.8:
	ds_read_b32 v12, v11
.LBB137_9:
	s_or_b64 exec, exec, s[4:5]
	s_waitcnt lgkmcnt(0)
	ds_bpermute_b32 v3, v6, v12
	v_max_f32_e32 v12, v12, v12
	v_lshlrev_b32_e32 v2, 2, v2
	s_lshl_b32 s25, s23, 2
	v_mov_b32_e32 v14, 0
	s_waitcnt lgkmcnt(0)
	v_max_f32_e32 v3, v3, v3
	v_max_f32_e32 v3, v12, v3
	v_and_b32_e32 v12, 0x100, v2
	ds_bpermute_b32 v13, v12, v3
	s_and_saveexec_b64 s[4:5], vcc
	s_cbranch_execz .LBB137_13
; %bb.10:
	s_load_dword s30, s[12:13], 0xc
	s_lshl_b64 s[26:27], s[16:17], 2
	s_lshl_b64 s[28:29], s[18:19], 2
	s_mov_b32 s31, 0
	v_mov_b32_e32 v14, 0
	s_waitcnt lgkmcnt(0)
	s_and_b32 s17, s30, 0xffff
	s_add_u32 s19, s26, s28
	s_addc_u32 s26, s27, s29
	s_add_u32 s19, s20, s19
	s_addc_u32 s20, s21, s26
	v_mov_b32_e32 v3, s20
	v_add_co_u32_e32 v2, vcc, s19, v1
	v_addc_co_u32_e32 v3, vcc, 0, v3, vcc
	s_lshl_b32 s19, s17, 2
	v_add_u32_e32 v1, 16, v1
	s_mov_b64 s[20:21], 0
	s_mov_b32 s26, 0x3fb8aa3b
	s_mov_b32 s27, 0xc2ce8ed0
	;; [unrolled: 1-line block ×3, first 2 shown]
	v_mov_b32_e32 v15, 0x7f800000
	v_mov_b32_e32 v16, s31
	;; [unrolled: 1-line block ×3, first 2 shown]
.LBB137_11:                             ; =>This Inner Loop Header: Depth=1
	global_load_dword v18, v[2:3], off
	ds_read_b32 v19, v1
	v_add_co_u32_e32 v2, vcc, s19, v2
	v_add_u32_e32 v17, s17, v17
	v_addc_co_u32_e32 v3, vcc, v3, v16, vcc
	s_waitcnt lgkmcnt(0)
	v_sub_f32_e32 v19, v19, v13
	v_mul_f32_e32 v21, 0x3fb8aa3b, v19
	v_fma_f32 v22, v19, s26, -v21
	v_rndne_f32_e32 v23, v21
	v_fmac_f32_e32 v22, 0x32a5705f, v19
	v_sub_f32_e32 v21, v21, v23
	v_add_f32_e32 v21, v21, v22
	v_cvt_i32_f32_e32 v23, v23
	v_exp_f32_e32 v21, v21
	v_cmp_le_i32_e32 vcc, s23, v17
	s_or_b64 s[20:21], vcc, s[20:21]
	v_cmp_ngt_f32_e32 vcc, s27, v19
	v_ldexp_f32 v21, v21, v23
	v_cndmask_b32_e32 v21, 0, v21, vcc
	v_cmp_nlt_f32_e32 vcc, s28, v19
	v_cndmask_b32_e32 v19, v15, v21, vcc
	v_add_u32_e32 v20, s25, v1
	v_add_u32_e32 v1, s19, v1
	s_waitcnt vmcnt(0)
	v_mul_f32_e32 v21, v18, v19
	v_fmac_f32_e32 v14, v18, v19
	ds_write_b32 v20, v21
	s_andn2_b64 exec, exec, s[20:21]
	s_cbranch_execnz .LBB137_11
; %bb.12:
	s_or_b64 exec, exec, s[20:21]
.LBB137_13:
	s_or_b64 exec, exec, s[4:5]
	ds_bpermute_b32 v1, v4, v14
	s_waitcnt lgkmcnt(0)
	s_barrier
	v_add_f32_e32 v1, v14, v1
	ds_bpermute_b32 v2, v5, v1
	s_waitcnt lgkmcnt(0)
	v_add_f32_e32 v1, v1, v2
	ds_bpermute_b32 v2, v7, v1
	s_waitcnt lgkmcnt(0)
	;; [unrolled: 3-line block ×5, first 2 shown]
	v_add_f32_e32 v1, v1, v2
	s_and_saveexec_b64 s[4:5], s[0:1]
	s_cbranch_execz .LBB137_15
; %bb.14:
	ds_write_b32 v10, v1 offset:8
.LBB137_15:
	s_or_b64 exec, exec, s[4:5]
	s_waitcnt lgkmcnt(0)
	s_barrier
	s_and_saveexec_b64 s[0:1], s[2:3]
	s_cbranch_execz .LBB137_17
; %bb.16:
	ds_read_b32 v1, v11 offset:8
.LBB137_17:
	s_or_b64 exec, exec, s[0:1]
	s_waitcnt lgkmcnt(0)
	ds_bpermute_b32 v2, v6, v1
	s_movk_i32 s0, 0x78
	v_cmp_gt_u32_e32 vcc, s0, v0
	s_waitcnt lgkmcnt(0)
	v_add_f32_e32 v1, v1, v2
	ds_bpermute_b32 v2, v12, v1
	s_and_saveexec_b64 s[0:1], vcc
	s_cbranch_execz .LBB137_28
; %bb.18:
	s_cmp_gt_i32 s24, 0
	s_mov_b32 s4, 0
	s_cbranch_scc1 .LBB137_20
; %bb.19:
	v_mov_b32_e32 v1, 0
	v_mov_b32_e32 v4, s4
	s_cbranch_execz .LBB137_21
	s_branch .LBB137_23
.LBB137_20:
                                        ; implicit-def: $sgpr4
	v_mov_b32_e32 v4, s4
.LBB137_21:
	s_waitcnt lgkmcnt(0)
	v_add_f32_e32 v1, 0x358637bd, v2
	v_div_scale_f32 v2, s[2:3], v1, v1, 1.0
	v_rcp_f32_e32 v3, v2
	s_mul_i32 s4, s16, 0x78
	s_mul_i32 s16, s18, 0x78
	s_ashr_i32 s5, s4, 31
	v_fma_f32 v4, -v2, v3, 1.0
	v_fmac_f32_e32 v3, v4, v3
	v_div_scale_f32 v4, vcc, 1.0, v1, 1.0
	v_mul_f32_e32 v5, v4, v3
	s_ashr_i32 s17, s16, 31
	s_max_i32 s2, s23, 1
	v_fma_f32 v6, -v2, v5, v4
	s_add_i32 s3, s25, 16
	s_lshl_b64 s[4:5], s[4:5], 1
	s_lshl_b64 s[16:17], s[16:17], 1
	v_fmac_f32_e32 v5, v6, v3
	s_add_u32 s4, s4, s16
	v_fma_f32 v2, -v2, v5, v4
	s_addc_u32 s5, s5, s17
	v_div_fmas_f32 v2, v2, v3, v5
	s_add_u32 s4, s8, s4
	v_div_fixup_f32 v5, v2, v1, 1.0
	v_lshlrev_b32_e32 v2, 1, v0
	s_addc_u32 s5, s9, s5
	v_mov_b32_e32 v1, 0
	v_mov_b32_e32 v3, s5
	v_add_co_u32_e32 v2, vcc, s4, v2
	v_addc_co_u32_e32 v3, vcc, 0, v3, vcc
	v_mov_b32_e32 v4, v1
.LBB137_22:                             ; =>This Inner Loop Header: Depth=1
	global_load_ushort v6, v[2:3], off
	v_mov_b32_e32 v7, s3
	ds_read_b32 v7, v7
	s_add_i32 s2, s2, -1
	v_add_co_u32_e32 v2, vcc, 0xf0, v2
	s_add_i32 s3, s3, 4
	v_addc_co_u32_e32 v3, vcc, 0, v3, vcc
	s_cmp_eq_u32 s2, 0
	s_waitcnt vmcnt(0)
	v_lshlrev_b32_e32 v6, 16, v6
	s_waitcnt lgkmcnt(0)
	v_mul_f32_e32 v6, v7, v6
	v_fmac_f32_e32 v4, v5, v6
	s_cbranch_scc0 .LBB137_22
.LBB137_23:
	s_mov_b32 s2, 0x7f800000
	s_waitcnt lgkmcnt(0)
	v_and_b32_e32 v2, 0x7f800000, v4
	v_cmp_ne_u32_e32 vcc, s2, v2
                                        ; implicit-def: $vgpr2
	s_and_saveexec_b64 s[2:3], vcc
	s_xor_b64 s[2:3], exec, s[2:3]
; %bb.24:
	v_bfe_u32 v2, v4, 16, 1
	s_movk_i32 s4, 0x7fff
	v_add3_u32 v2, v4, v2, s4
                                        ; implicit-def: $vgpr4
; %bb.25:
	s_andn2_saveexec_b64 s[2:3], s[2:3]
; %bb.26:
	v_mov_b32_e32 v2, 0
	v_or_b32_e32 v3, 0x10000, v4
	v_cmp_eq_u32_sdwa vcc, v4, v2 src0_sel:WORD_0 src1_sel:DWORD
	v_cndmask_b32_e32 v2, v3, v4, vcc
; %bb.27:
	s_or_b64 exec, exec, s[2:3]
	s_mul_i32 s2, s22, 0x78
	s_ashr_i32 s3, s2, 31
	s_lshl_b64 s[2:3], s[2:3], 1
	s_add_u32 s4, s10, s2
	s_mul_i32 s2, s6, 0x78
	s_addc_u32 s5, s11, s3
	s_ashr_i32 s3, s2, 31
	s_lshl_b64 s[2:3], s[2:3], 1
	s_add_u32 s2, s4, s2
	s_addc_u32 s3, s5, s3
	v_lshlrev_b64 v[4:5], 1, v[0:1]
	v_mov_b32_e32 v1, s3
	v_add_co_u32_e32 v4, vcc, s2, v4
	v_addc_co_u32_e32 v5, vcc, v1, v5, vcc
	global_store_short_d16_hi v[4:5], v2, off
.LBB137_28:
	s_or_b64 exec, exec, s[0:1]
	s_mov_b64 s[0:1], 0
.LBB137_29:
	s_and_b64 vcc, exec, s[0:1]
	s_cbranch_vccz .LBB137_38
; %bb.30:
	s_movk_i32 s0, 0x78
	v_cmp_gt_u32_e32 vcc, s0, v0
	s_and_saveexec_b64 s[2:3], vcc
	s_cbranch_execz .LBB137_38
; %bb.31:
	s_mul_i32 s1, s15, s14
	s_mul_i32 s2, s1, 0x78
	s_ashr_i32 s3, s2, 31
	s_lshl_b64 s[4:5], s[2:3], 1
	s_add_u32 s1, s10, s4
	s_mul_i32 s14, s6, 0x78
	s_addc_u32 s3, s11, s5
	s_ashr_i32 s15, s14, 31
	s_lshl_b64 s[4:5], s[14:15], 1
	s_add_u32 s4, s1, s4
	s_mul_i32 s2, s2, s7
	s_addc_u32 s10, s3, s5
	s_ashr_i32 s3, s2, 31
	s_lshl_b64 s[2:3], s[2:3], 1
	s_add_u32 s1, s8, s2
	s_load_dword s8, s[12:13], 0xc
	s_mul_i32 s2, s14, s7
	s_addc_u32 s6, s9, s3
	s_ashr_i32 s3, s2, 31
	s_lshl_b64 s[2:3], s[2:3], 1
	s_add_u32 s5, s1, s2
	s_addc_u32 s7, s6, s3
	s_waitcnt lgkmcnt(0)
	s_and_b32 s6, s8, 0xffff
	v_cvt_f32_u32_e32 v1, s6
	v_add_u32_e32 v2, s6, v0
	v_mov_b32_e32 v4, s6
	v_cmp_gt_u32_e32 vcc, s0, v2
	v_rcp_iflag_f32_e32 v1, v1
	s_cmp_eq_u32 s6, 1
	v_max_u32_e32 v3, 0x78, v2
	v_addc_co_u32_e64 v2, s[0:1], v0, v4, vcc
	v_mul_f32_e32 v1, 0x4f7ffffe, v1
	v_cvt_u32_f32_e32 v1, v1
	s_cselect_b64 s[2:3], -1, 0
	s_sub_i32 s0, 0, s6
	v_sub_u32_e32 v2, v3, v2
	v_mul_lo_u32 v3, s0, v1
	v_mul_hi_u32 v3, v1, v3
	v_add_u32_e32 v1, v1, v3
	v_mul_hi_u32 v1, v2, v1
	v_mul_lo_u32 v3, v1, s6
	v_sub_u32_e32 v2, v2, v3
	v_add_u32_e32 v3, 1, v1
	v_cmp_le_u32_e64 s[0:1], s6, v2
	v_cndmask_b32_e64 v1, v1, v3, s[0:1]
	v_subrev_u32_e32 v3, s6, v2
	v_cndmask_b32_e64 v2, v2, v3, s[0:1]
	v_add_u32_e32 v3, 1, v1
	v_cmp_le_u32_e64 s[0:1], s6, v2
	v_cndmask_b32_e64 v1, v1, v3, s[0:1]
	v_addc_co_u32_e32 v1, vcc, 1, v1, vcc
	v_cmp_lt_u32_e32 vcc, 31, v1
	s_and_b64 s[8:9], vcc, s[2:3]
	s_mov_b64 s[2:3], -1
	s_and_saveexec_b64 s[0:1], s[8:9]
	s_cbranch_execz .LBB137_35
; %bb.32:
	v_and_b32_e32 v4, 0xffffffe0, v1
	s_mov_b64 s[2:3], 0
	v_mov_b32_e32 v3, 0
	v_mov_b32_e32 v5, s7
	;; [unrolled: 1-line block ×5, first 2 shown]
.LBB137_33:                             ; =>This Inner Loop Header: Depth=1
	v_lshlrev_b64 v[24:25], 1, v[2:3]
	v_add_co_u32_e32 v26, vcc, s5, v24
	v_addc_co_u32_e32 v27, vcc, v5, v25, vcc
	global_load_dwordx4 v[8:11], v[26:27], off
	global_load_dwordx4 v[12:15], v[26:27], off offset:16
	global_load_dwordx4 v[16:19], v[26:27], off offset:32
	;; [unrolled: 1-line block ×3, first 2 shown]
	v_add_co_u32_e32 v24, vcc, s4, v24
	v_subrev_u32_e32 v7, 32, v7
	v_addc_co_u32_e32 v25, vcc, v6, v25, vcc
	v_cmp_eq_u32_e32 vcc, 0, v7
	v_add_u32_e32 v2, 32, v2
	s_or_b64 s[2:3], vcc, s[2:3]
	s_waitcnt vmcnt(3)
	global_store_dwordx4 v[24:25], v[8:11], off
	s_waitcnt vmcnt(3)
	global_store_dwordx4 v[24:25], v[12:15], off offset:16
	s_waitcnt vmcnt(3)
	global_store_dwordx4 v[24:25], v[16:19], off offset:32
	;; [unrolled: 2-line block ×3, first 2 shown]
	s_andn2_b64 exec, exec, s[2:3]
	s_cbranch_execnz .LBB137_33
; %bb.34:
	s_or_b64 exec, exec, s[2:3]
	v_cmp_ne_u32_e32 vcc, v1, v4
	v_add_u32_e32 v0, v0, v4
	s_orn2_b64 s[2:3], vcc, exec
.LBB137_35:
	s_or_b64 exec, exec, s[0:1]
	s_and_b64 exec, exec, s[2:3]
	s_cbranch_execz .LBB137_38
; %bb.36:
	s_mov_b32 s3, 0
	v_mov_b32_e32 v1, 0
	v_lshlrev_b64 v[2:3], 1, v[0:1]
	s_lshl_b32 s2, s6, 1
	s_mov_b64 s[0:1], 0
	v_mov_b32_e32 v1, s7
	v_mov_b32_e32 v4, s10
	;; [unrolled: 1-line block ×3, first 2 shown]
	s_movk_i32 s3, 0x77
.LBB137_37:                             ; =>This Inner Loop Header: Depth=1
	v_add_co_u32_e32 v6, vcc, s5, v2
	v_addc_co_u32_e32 v7, vcc, v1, v3, vcc
	global_load_ushort v8, v[6:7], off
	v_add_co_u32_e32 v6, vcc, s4, v2
	v_addc_co_u32_e32 v7, vcc, v4, v3, vcc
	v_add_co_u32_e32 v2, vcc, s2, v2
	v_add_u32_e32 v0, s6, v0
	v_addc_co_u32_e32 v3, vcc, v3, v5, vcc
	v_cmp_lt_u32_e32 vcc, s3, v0
	s_or_b64 s[0:1], vcc, s[0:1]
	s_waitcnt vmcnt(0)
	global_store_short v[6:7], v8, off
	s_andn2_b64 exec, exec, s[0:1]
	s_cbranch_execnz .LBB137_37
.LBB137_38:
	s_endpgm
	.section	.rodata,"a",@progbits
	.p2align	6, 0x0
	.amdhsa_kernel _ZN4vllm32paged_attention_v2_reduce_kernelI14__hip_bfloat16Li120ELi128ELi512EEEvPT_PKfS5_PKS2_PKii
		.amdhsa_group_segment_fixed_size 16
		.amdhsa_private_segment_fixed_size 0
		.amdhsa_kernarg_size 304
		.amdhsa_user_sgpr_count 6
		.amdhsa_user_sgpr_private_segment_buffer 1
		.amdhsa_user_sgpr_dispatch_ptr 0
		.amdhsa_user_sgpr_queue_ptr 0
		.amdhsa_user_sgpr_kernarg_segment_ptr 1
		.amdhsa_user_sgpr_dispatch_id 0
		.amdhsa_user_sgpr_flat_scratch_init 0
		.amdhsa_user_sgpr_kernarg_preload_length 0
		.amdhsa_user_sgpr_kernarg_preload_offset 0
		.amdhsa_user_sgpr_private_segment_size 0
		.amdhsa_uses_dynamic_stack 0
		.amdhsa_system_sgpr_private_segment_wavefront_offset 0
		.amdhsa_system_sgpr_workgroup_id_x 1
		.amdhsa_system_sgpr_workgroup_id_y 1
		.amdhsa_system_sgpr_workgroup_id_z 0
		.amdhsa_system_sgpr_workgroup_info 0
		.amdhsa_system_vgpr_workitem_id 0
		.amdhsa_next_free_vgpr 28
		.amdhsa_next_free_sgpr 32
		.amdhsa_accum_offset 28
		.amdhsa_reserve_vcc 1
		.amdhsa_reserve_flat_scratch 0
		.amdhsa_float_round_mode_32 0
		.amdhsa_float_round_mode_16_64 0
		.amdhsa_float_denorm_mode_32 3
		.amdhsa_float_denorm_mode_16_64 3
		.amdhsa_dx10_clamp 1
		.amdhsa_ieee_mode 1
		.amdhsa_fp16_overflow 0
		.amdhsa_tg_split 0
		.amdhsa_exception_fp_ieee_invalid_op 0
		.amdhsa_exception_fp_denorm_src 0
		.amdhsa_exception_fp_ieee_div_zero 0
		.amdhsa_exception_fp_ieee_overflow 0
		.amdhsa_exception_fp_ieee_underflow 0
		.amdhsa_exception_fp_ieee_inexact 0
		.amdhsa_exception_int_div_zero 0
	.end_amdhsa_kernel
	.section	.text._ZN4vllm32paged_attention_v2_reduce_kernelI14__hip_bfloat16Li120ELi128ELi512EEEvPT_PKfS5_PKS2_PKii,"axG",@progbits,_ZN4vllm32paged_attention_v2_reduce_kernelI14__hip_bfloat16Li120ELi128ELi512EEEvPT_PKfS5_PKS2_PKii,comdat
.Lfunc_end137:
	.size	_ZN4vllm32paged_attention_v2_reduce_kernelI14__hip_bfloat16Li120ELi128ELi512EEEvPT_PKfS5_PKS2_PKii, .Lfunc_end137-_ZN4vllm32paged_attention_v2_reduce_kernelI14__hip_bfloat16Li120ELi128ELi512EEEvPT_PKfS5_PKS2_PKii
                                        ; -- End function
	.section	.AMDGPU.csdata,"",@progbits
; Kernel info:
; codeLenInByte = 2316
; NumSgprs: 36
; NumVgprs: 28
; NumAgprs: 0
; TotalNumVgprs: 28
; ScratchSize: 0
; MemoryBound: 0
; FloatMode: 240
; IeeeMode: 1
; LDSByteSize: 16 bytes/workgroup (compile time only)
; SGPRBlocks: 4
; VGPRBlocks: 3
; NumSGPRsForWavesPerEU: 36
; NumVGPRsForWavesPerEU: 28
; AccumOffset: 28
; Occupancy: 8
; WaveLimiterHint : 0
; COMPUTE_PGM_RSRC2:SCRATCH_EN: 0
; COMPUTE_PGM_RSRC2:USER_SGPR: 6
; COMPUTE_PGM_RSRC2:TRAP_HANDLER: 0
; COMPUTE_PGM_RSRC2:TGID_X_EN: 1
; COMPUTE_PGM_RSRC2:TGID_Y_EN: 1
; COMPUTE_PGM_RSRC2:TGID_Z_EN: 0
; COMPUTE_PGM_RSRC2:TIDIG_COMP_CNT: 0
; COMPUTE_PGM_RSRC3_GFX90A:ACCUM_OFFSET: 6
; COMPUTE_PGM_RSRC3_GFX90A:TG_SPLIT: 0
	.section	.text._ZN4vllm25paged_attention_v2_kernelI14__hip_bfloat16S1_Li128ELi8ELi128ELNS_18Fp8KVCacheDataTypeE0ELb1ELi512EEEvPfS3_PT_PKS4_PKT0_SA_ifPKiSC_iPKfiiiSE_SE_iiiii,"axG",@progbits,_ZN4vllm25paged_attention_v2_kernelI14__hip_bfloat16S1_Li128ELi8ELi128ELNS_18Fp8KVCacheDataTypeE0ELb1ELi512EEEvPfS3_PT_PKS4_PKT0_SA_ifPKiSC_iPKfiiiSE_SE_iiiii,comdat
	.protected	_ZN4vllm25paged_attention_v2_kernelI14__hip_bfloat16S1_Li128ELi8ELi128ELNS_18Fp8KVCacheDataTypeE0ELb1ELi512EEEvPfS3_PT_PKS4_PKT0_SA_ifPKiSC_iPKfiiiSE_SE_iiiii ; -- Begin function _ZN4vllm25paged_attention_v2_kernelI14__hip_bfloat16S1_Li128ELi8ELi128ELNS_18Fp8KVCacheDataTypeE0ELb1ELi512EEEvPfS3_PT_PKS4_PKT0_SA_ifPKiSC_iPKfiiiSE_SE_iiiii
	.globl	_ZN4vllm25paged_attention_v2_kernelI14__hip_bfloat16S1_Li128ELi8ELi128ELNS_18Fp8KVCacheDataTypeE0ELb1ELi512EEEvPfS3_PT_PKS4_PKT0_SA_ifPKiSC_iPKfiiiSE_SE_iiiii
	.p2align	8
	.type	_ZN4vllm25paged_attention_v2_kernelI14__hip_bfloat16S1_Li128ELi8ELi128ELNS_18Fp8KVCacheDataTypeE0ELb1ELi512EEEvPfS3_PT_PKS4_PKT0_SA_ifPKiSC_iPKfiiiSE_SE_iiiii,@function
_ZN4vllm25paged_attention_v2_kernelI14__hip_bfloat16S1_Li128ELi8ELi128ELNS_18Fp8KVCacheDataTypeE0ELb1ELi512EEEvPfS3_PT_PKS4_PKT0_SA_ifPKiSC_iPKfiiiSE_SE_iiiii: ; @_ZN4vllm25paged_attention_v2_kernelI14__hip_bfloat16S1_Li128ELi8ELi128ELNS_18Fp8KVCacheDataTypeE0ELb1ELi512EEEvPfS3_PT_PKS4_PKT0_SA_ifPKiSC_iPKfiiiSE_SE_iiiii
; %bb.0:
	s_load_dwordx2 s[0:1], s[4:5], 0x40
	s_mov_b32 s28, s7
	s_ashr_i32 s29, s7, 31
	s_lshl_b64 s[2:3], s[28:29], 2
	s_waitcnt lgkmcnt(0)
	s_add_u32 s0, s0, s2
	s_addc_u32 s1, s1, s3
	s_load_dword s29, s[0:1], 0x0
	s_lshl_b32 s48, s8, 9
	s_waitcnt lgkmcnt(0)
	s_cmp_ge_i32 s48, s29
	s_cbranch_scc1 .LBB138_167
; %bb.1:
	s_load_dword s9, s[4:5], 0x90
	s_load_dwordx2 s[38:39], s[4:5], 0x30
	s_mov_b32 s49, 0
	s_waitcnt lgkmcnt(0)
	s_abs_i32 s2, s9
	s_abs_i32 s0, s38
	v_cvt_f32_u32_e32 v1, s0
	s_sub_i32 s3, 0, s0
	s_xor_b32 s1, s9, s38
	s_ashr_i32 s1, s1, 31
	v_rcp_iflag_f32_e32 v1, v1
	v_mul_f32_e32 v1, 0x4f7ffffe, v1
	v_cvt_u32_f32_e32 v1, v1
	v_readfirstlane_b32 s7, v1
	s_mul_i32 s3, s3, s7
	s_mul_hi_u32 s3, s7, s3
	s_add_i32 s7, s7, s3
	s_mul_hi_u32 s3, s2, s7
	s_mul_i32 s7, s3, s0
	s_sub_i32 s2, s2, s7
	s_add_i32 s10, s3, 1
	s_sub_i32 s7, s2, s0
	s_cmp_ge_u32 s2, s0
	s_cselect_b32 s3, s10, s3
	s_cselect_b32 s2, s7, s2
	s_add_i32 s7, s3, 1
	s_cmp_ge_u32 s2, s0
	s_cselect_b32 s0, s7, s3
	s_xor_b32 s0, s0, s1
	s_sub_i32 s11, s0, s1
	s_abs_i32 s2, s11
	v_cvt_f32_u32_e32 v1, s2
	s_load_dwordx2 s[0:1], s[4:5], 0x50
	s_sub_i32 s7, 0, s2
	s_abs_i32 s3, s6
	v_rcp_iflag_f32_e32 v1, v1
	v_mul_f32_e32 v1, 0x4f7ffffe, v1
	v_cvt_u32_f32_e32 v1, v1
	v_readfirstlane_b32 s10, v1
	s_mul_i32 s7, s7, s10
	s_mul_hi_u32 s7, s10, s7
	s_add_i32 s10, s10, s7
	s_waitcnt lgkmcnt(0)
	s_cmp_eq_u64 s[0:1], 0
	s_mul_hi_u32 s10, s3, s10
	s_cbranch_scc1 .LBB138_3
; %bb.2:
	s_ashr_i32 s7, s6, 31
	s_lshl_b64 s[12:13], s[6:7], 2
	s_add_u32 s0, s0, s12
	s_addc_u32 s1, s1, s13
	s_load_dword s49, s[0:1], 0x0
.LBB138_3:
	s_load_dwordx4 s[12:15], s[4:5], 0x58
	s_movk_i32 s0, 0x80
	s_ashr_i32 s7, s6, 31
	s_ashr_i32 s11, s11, 31
	v_and_b32_e32 v2, 7, v0
	s_lshl_b32 s24, s6, 7
	v_cmp_gt_u32_e32 vcc, s0, v0
	v_lshlrev_b32_e32 v16, 1, v0
	s_and_saveexec_b64 s[0:1], vcc
	s_cbranch_execz .LBB138_5
; %bb.4:
	s_load_dwordx2 s[16:17], s[4:5], 0x18
	s_waitcnt lgkmcnt(0)
	s_mul_i32 s18, s28, s12
	s_ashr_i32 s19, s18, 31
	s_lshl_b64 s[18:19], s[18:19], 1
	v_lshrrev_b32_e32 v3, 2, v0
	s_add_u32 s12, s16, s18
	s_addc_u32 s15, s17, s19
	s_ashr_i32 s25, s24, 31
	s_lshl_b64 s[16:17], s[24:25], 1
	s_add_u32 s16, s12, s16
	s_addc_u32 s17, s15, s17
	global_load_ushort v1, v16, s[16:17]
	v_and_b32_e32 v3, 0xfe, v3
	v_lshl_add_u32 v3, v2, 5, v3
	s_waitcnt vmcnt(0)
	ds_write_b16 v3, v1
.LBB138_5:
	s_or_b64 exec, exec, s[0:1]
	s_mul_i32 s1, s10, s2
	s_sub_i32 s1, s3, s1
	s_xor_b32 s0, s7, s11
	s_add_i32 s3, s10, 1
	s_sub_i32 s7, s1, s2
	s_load_dwordx4 s[16:19], s[4:5], 0x78
	s_cmp_ge_u32 s1, s2
	s_cselect_b32 s3, s3, s10
	s_load_dword s10, s[4:5], 0x88
	s_cselect_b32 s1, s7, s1
	s_add_i32 s7, s3, 1
	s_cmp_ge_u32 s1, s2
	s_cselect_b32 s1, s7, s3
	s_waitcnt lgkmcnt(0)
	s_abs_i32 s25, s19
	v_cvt_f32_u32_e32 v1, s25
	s_xor_b32 s1, s1, s0
	s_sub_i32 s2, s1, s0
	s_sub_i32 s0, 0, s25
	v_rcp_iflag_f32_e32 v1, v1
	s_add_i32 s11, s29, -1
	s_abs_i32 s3, s11
	v_mul_f32_e32 v1, 0x4f7ffffe, v1
	v_cvt_u32_f32_e32 v1, v1
	s_barrier
	v_readfirstlane_b32 s33, v1
	s_mul_i32 s0, s0, s33
	s_mul_hi_u32 s0, s33, s0
	s_add_i32 s33, s33, s0
	s_cmp_lt_i32 s10, 0
	s_mul_hi_u32 s7, s3, s33
	s_cbranch_scc0 .LBB138_7
; %bb.6:
	s_mul_i32 s0, s16, s38
	s_add_i32 s0, s2, s0
	s_mul_i32 s0, s0, s10
	s_sub_i32 s46, 1, s0
	s_mov_b64 s[0:1], 0
	s_branch .LBB138_8
.LBB138_7:
	s_mov_b64 s[0:1], -1
                                        ; implicit-def: $sgpr46
.LBB138_8:
	s_load_dwordx2 s[30:31], s[4:5], 0x38
	s_ashr_i32 s11, s11, 31
	s_andn2_b64 vcc, exec, s[0:1]
	s_ashr_i32 s19, s19, 31
	s_cbranch_vccnz .LBB138_10
; %bb.9:
	s_mul_i32 s0, s9, s16
	s_add_i32 s0, s0, s6
	s_mul_i32 s0, s0, s10
	s_add_i32 s46, s0, 1
.LBB138_10:
	s_load_dword s0, s[4:5], 0x48
	s_load_dwordx2 s[36:37], s[4:5], 0x28
	s_load_dword s16, s[4:5], 0x98
	s_load_dwordx4 s[20:23], s[4:5], 0x0
	s_load_dwordx2 s[26:27], s[4:5], 0x10
	s_mul_i32 s1, s7, s25
	s_waitcnt lgkmcnt(0)
	s_mul_i32 s34, s28, s0
	s_sub_i32 s1, s3, s1
	s_ashr_i32 s35, s34, 31
	s_xor_b32 s0, s11, s19
	s_add_i32 s3, s7, 1
	s_sub_i32 s10, s1, s25
	s_cmp_ge_u32 s1, s25
	s_cselect_b32 s3, s3, s7
	s_cselect_b32 s1, s10, s1
	s_add_i32 s7, s3, 1
	s_cmp_ge_u32 s1, s25
	s_cselect_b32 s1, s7, s3
	s_xor_b32 s1, s1, s0
	s_sub_i32 s12, s1, s0
	s_add_i32 s0, s29, 7
	s_ashr_i32 s1, s0, 31
	s_lshr_b32 s1, s1, 29
	s_add_i32 s0, s0, s1
	s_lshl_b32 s38, s8, 6
	s_ashr_i32 s7, s0, 3
	s_add_i32 s0, s38, 64
	v_lshrrev_b32_e32 v4, 6, v0
	s_min_i32 s47, s0, s7
	v_or_b32_e32 v10, s38, v4
	v_cmp_gt_i32_e64 s[0:1], s47, v10
	v_mov_b32_e32 v13, 0xff7fffff
	s_mul_i32 s14, s2, s14
	v_ashrrev_i32_e32 v11, 31, v10
	v_lshl_add_u32 v1, v4, 3, s48
	v_mbcnt_lo_u32_b32 v5, -1, 0
	s_and_saveexec_b64 s[40:41], s[0:1]
	s_cbranch_execz .LBB138_20
; %bb.11:
	s_load_dwordx2 s[2:3], s[4:5], 0x20
	s_ashr_i32 s15, s14, 31
	s_sub_i32 s50, s12, s17
	s_lshl_b64 s[4:5], s[14:15], 1
	v_bfe_u32 v6, v0, 3, 3
	s_waitcnt lgkmcnt(0)
	s_add_u32 s2, s2, s4
	s_addc_u32 s3, s3, s5
	s_abs_i32 s15, s18
	v_cvt_f32_u32_e32 v8, s15
	v_lshlrev_b32_e32 v3, 4, v6
	v_mov_b32_e32 v7, s3
	v_add_co_u32_e64 v3, s[2:3], s2, v3
	v_rcp_iflag_f32_e32 v12, v8
	v_addc_co_u32_e64 v9, s[2:3], 0, v7, s[2:3]
	v_lshlrev_b32_e32 v7, 1, v2
	v_add_co_u32_e64 v7, s[2:3], v3, v7
	v_mul_f32_e32 v3, 0x4f7ffffe, v12
	v_cvt_u32_f32_e32 v3, v3
	s_sub_i32 s4, 0, s15
	v_cmp_eq_u32_e32 vcc, 0, v2
	v_addc_co_u32_e64 v8, s[2:3], 0, v9, s[2:3]
	v_lshlrev_b32_e32 v9, 5, v2
	v_mul_lo_u32 v2, s4, v3
	s_lshl_b64 s[4:5], s[34:35], 2
	v_mul_hi_u32 v2, v3, v2
	s_add_u32 s4, s30, s4
	v_add_u32_e32 v12, v3, v2
	v_lshlrev_b64 v[2:3], 2, v[10:11]
	s_addc_u32 s5, s31, s5
	v_mov_b32_e32 v13, s5
	v_add_co_u32_e64 v2, s[4:5], s4, v2
	v_addc_co_u32_e64 v3, s[4:5], v13, v3, s[4:5]
	v_lshlrev_b32_e32 v13, 2, v6
	v_lshl_or_b32 v13, v4, 5, v13
	v_add_u32_e32 v15, 0x110, v13
	v_subrev_u32_e32 v13, s29, v6
	v_mbcnt_hi_u32_b32 v19, -1, v5
	v_add_u32_e32 v17, 1, v13
	v_and_b32_e32 v13, 64, v19
	s_mov_b32 s51, s13
	v_cmp_neq_f32_e64 s[2:3], s49, 0
	v_lshl_add_u32 v14, v4, 3, s48
	s_mov_b64 s[42:43], 0
	v_mov_b32_e32 v18, 0xff7fffff
	v_add_u32_e32 v20, 64, v13
	v_xor_b32_e32 v21, 4, v19
	v_xor_b32_e32 v22, 2, v19
	v_xor_b32_e32 v23, 1, v19
	v_mov_b32_e32 v13, 0xff7fffff
	v_mov_b32_e32 v24, v10
	s_branch .LBB138_14
.LBB138_12:                             ;   in Loop: Header=BB138_14 Depth=1
	s_or_b64 exec, exec, s[44:45]
.LBB138_13:                             ;   in Loop: Header=BB138_14 Depth=1
	s_or_b64 exec, exec, s[10:11]
	v_add_co_u32_e64 v2, s[4:5], 8, v2
	v_add_u32_e32 v24, 2, v24
	v_addc_co_u32_e64 v3, s[4:5], 0, v3, s[4:5]
	v_cmp_le_i32_e64 s[4:5], s47, v24
	v_add_u32_e32 v14, 16, v14
	s_or_b64 s[42:43], s[4:5], s[42:43]
	v_add_u32_e32 v15, 64, v15
	s_andn2_b64 exec, exec, s[42:43]
	s_cbranch_execz .LBB138_19
.LBB138_14:                             ; =>This Inner Loop Header: Depth=1
	s_waitcnt lgkmcnt(0)
	v_sub_u32_e32 v26, 0, v14
	v_max_i32_e32 v26, v14, v26
	v_mul_hi_u32 v27, v26, s33
	v_mul_lo_u32 v28, v27, s25
	v_sub_u32_e32 v26, v26, v28
	v_add_u32_e32 v28, 1, v27
	v_cmp_le_u32_e64 s[4:5], s25, v26
	v_cndmask_b32_e64 v27, v27, v28, s[4:5]
	v_subrev_u32_e32 v28, s25, v26
	v_cndmask_b32_e64 v26, v26, v28, s[4:5]
	v_ashrrev_i32_e32 v25, 31, v14
	v_add_u32_e32 v28, 1, v27
	v_cmp_le_u32_e64 s[4:5], s25, v26
	v_xor_b32_e32 v25, s19, v25
	v_cndmask_b32_e64 v26, v27, v28, s[4:5]
	v_xor_b32_e32 v26, v26, v25
	v_sub_u32_e32 v25, v26, v25
	v_add_u32_e32 v26, s46, v25
	v_sub_u32_e32 v28, 0, v26
	v_ashrrev_i32_e32 v27, 31, v26
	v_max_i32_e32 v26, v26, v28
	v_mul_hi_u32 v28, v26, v12
	v_mul_lo_u32 v28, v28, s15
	v_sub_u32_e32 v26, v26, v28
	v_subrev_u32_e32 v28, s15, v26
	v_cmp_le_u32_e64 s[4:5], s15, v26
	v_cndmask_b32_e64 v26, v26, v28, s[4:5]
	v_subrev_u32_e32 v28, s15, v26
	v_cmp_le_u32_e64 s[4:5], s15, v26
	v_cndmask_b32_e64 v26, v26, v28, s[4:5]
	v_xor_b32_e32 v26, v26, v27
	v_sub_u32_e32 v26, v26, v27
	v_cmp_ne_u32_e64 s[4:5], 0, v26
	v_cmp_ge_i32_e64 s[10:11], s50, v25
	s_and_b64 s[4:5], s[4:5], s[10:11]
	s_and_b64 s[44:45], vcc, s[4:5]
	s_and_saveexec_b64 s[10:11], s[44:45]
	s_cbranch_execz .LBB138_16
; %bb.15:                               ;   in Loop: Header=BB138_14 Depth=1
	ds_write_b32 v15, v18
.LBB138_16:                             ;   in Loop: Header=BB138_14 Depth=1
	s_or_b64 exec, exec, s[10:11]
	s_xor_b64 s[4:5], s[4:5], -1
	s_and_saveexec_b64 s[10:11], s[4:5]
	s_cbranch_execz .LBB138_13
; %bb.17:                               ;   in Loop: Header=BB138_14 Depth=1
	global_load_dword v25, v[2:3], off
	s_waitcnt vmcnt(0)
	v_mad_i64_i32 v[26:27], s[4:5], v25, s51, 0
	v_lshlrev_b64 v[26:27], 1, v[26:27]
	v_add_co_u32_e64 v26, s[4:5], v7, v26
	v_addc_co_u32_e64 v27, s[4:5], v8, v27, s[4:5]
	global_load_ushort v25, v[26:27], off
	global_load_ushort v34, v[26:27], off offset:128
	global_load_ushort v35, v[26:27], off offset:256
	;; [unrolled: 1-line block ×15, first 2 shown]
	ds_read_b128 v[26:29], v9
	ds_read_b128 v[30:33], v9 offset:16
	v_cmp_lt_i32_e64 s[4:5], v21, v20
	v_cndmask_b32_e64 v49, v19, v21, s[4:5]
	v_lshlrev_b32_e32 v49, 2, v49
	s_waitcnt lgkmcnt(1)
	v_lshlrev_b32_e32 v50, 16, v26
	v_and_b32_e32 v26, 0xffff0000, v26
	v_lshlrev_b32_e32 v51, 16, v27
	v_and_b32_e32 v27, 0xffff0000, v27
	;; [unrolled: 2-line block ×4, first 2 shown]
	s_waitcnt lgkmcnt(0)
	v_lshlrev_b32_e32 v54, 16, v30
	v_and_b32_e32 v30, 0xffff0000, v30
	v_lshlrev_b32_e32 v55, 16, v31
	v_and_b32_e32 v31, 0xffff0000, v31
	;; [unrolled: 2-line block ×4, first 2 shown]
	v_cmp_lt_i32_e64 s[4:5], v22, v20
	s_waitcnt vmcnt(15)
	v_lshlrev_b32_e32 v25, 16, v25
	s_waitcnt vmcnt(14)
	v_lshlrev_b32_e32 v34, 16, v34
	v_mul_f32_e32 v26, v26, v34
	s_waitcnt vmcnt(13)
	v_lshlrev_b32_e32 v35, 16, v35
	v_fmac_f32_e32 v26, v50, v25
	s_waitcnt vmcnt(12)
	v_lshlrev_b32_e32 v36, 16, v36
	v_fmac_f32_e32 v26, v51, v35
	s_waitcnt vmcnt(11)
	v_lshlrev_b32_e32 v37, 16, v37
	v_fmac_f32_e32 v26, v27, v36
	s_waitcnt vmcnt(10)
	v_lshlrev_b32_e32 v38, 16, v38
	v_fmac_f32_e32 v26, v52, v37
	s_waitcnt vmcnt(9)
	v_lshlrev_b32_e32 v39, 16, v39
	v_fmac_f32_e32 v26, v28, v38
	s_waitcnt vmcnt(8)
	v_lshlrev_b32_e32 v40, 16, v40
	v_fmac_f32_e32 v26, v53, v39
	s_waitcnt vmcnt(7)
	v_lshlrev_b32_e32 v41, 16, v41
	v_fmac_f32_e32 v26, v29, v40
	s_waitcnt vmcnt(6)
	v_lshlrev_b32_e32 v42, 16, v42
	v_fmac_f32_e32 v26, v54, v41
	s_waitcnt vmcnt(5)
	v_lshlrev_b32_e32 v43, 16, v43
	v_fmac_f32_e32 v26, v30, v42
	s_waitcnt vmcnt(4)
	v_lshlrev_b32_e32 v44, 16, v44
	v_fmac_f32_e32 v26, v55, v43
	s_waitcnt vmcnt(3)
	v_lshlrev_b32_e32 v45, 16, v45
	v_fmac_f32_e32 v26, v31, v44
	s_waitcnt vmcnt(2)
	v_lshlrev_b32_e32 v46, 16, v46
	v_fmac_f32_e32 v26, v56, v45
	s_waitcnt vmcnt(1)
	v_lshlrev_b32_e32 v47, 16, v47
	v_fmac_f32_e32 v26, v32, v46
	v_fmac_f32_e32 v26, v57, v47
	s_waitcnt vmcnt(0)
	v_lshlrev_b32_e32 v25, 16, v48
	v_fmac_f32_e32 v26, v33, v25
	ds_bpermute_b32 v25, v49, v26
	v_cndmask_b32_e64 v27, v19, v22, s[4:5]
	v_lshlrev_b32_e32 v27, 2, v27
	v_cmp_lt_i32_e64 s[4:5], v23, v20
	s_waitcnt lgkmcnt(0)
	v_add_f32_e32 v25, v26, v25
	ds_bpermute_b32 v26, v27, v25
	v_cndmask_b32_e64 v27, v19, v23, s[4:5]
	v_lshlrev_b32_e32 v27, 2, v27
	s_waitcnt lgkmcnt(0)
	v_add_f32_e32 v25, v25, v26
	ds_bpermute_b32 v26, v27, v25
	s_and_saveexec_b64 s[44:45], vcc
	s_cbranch_execz .LBB138_12
; %bb.18:                               ;   in Loop: Header=BB138_14 Depth=1
	v_add_u32_e32 v27, v17, v14
	v_cvt_f32_i32_e32 v27, v27
	s_waitcnt lgkmcnt(0)
	v_add_f32_e32 v25, v25, v26
	v_add_u32_e32 v28, v6, v14
	v_cmp_gt_i32_e64 s[4:5], s29, v28
	v_mul_f32_e32 v26, s49, v27
	v_cndmask_b32_e64 v26, 0, v26, s[2:3]
	v_fmac_f32_e32 v26, s39, v25
	v_cndmask_b32_e64 v25, 0, v26, s[4:5]
	ds_write_b32 v15, v25
	v_max_f32_e32 v25, v13, v13
	v_max_f32_e32 v25, v25, v26
	v_cndmask_b32_e64 v13, v13, v25, s[4:5]
	s_branch .LBB138_12
.LBB138_19:
	s_or_b64 exec, exec, s[42:43]
.LBB138_20:
	s_or_b64 exec, exec, s[40:41]
	v_mbcnt_hi_u32_b32 v2, -1, v5
	v_and_b32_e32 v3, 64, v2
	v_add_u32_e32 v3, 64, v3
	v_xor_b32_e32 v5, 32, v2
	v_cmp_lt_i32_e32 vcc, v5, v3
	v_cndmask_b32_e32 v5, v2, v5, vcc
	v_lshlrev_b32_e32 v7, 2, v5
	ds_bpermute_b32 v5, v7, v13
	v_xor_b32_e32 v8, 16, v2
	v_max_f32_e32 v6, v13, v13
	v_cmp_lt_i32_e32 vcc, v8, v3
	v_and_b32_e32 v17, 63, v0
	s_waitcnt lgkmcnt(0)
	v_max_f32_e32 v5, v5, v5
	v_max_f32_e32 v5, v6, v5
	v_cndmask_b32_e32 v6, v2, v8, vcc
	v_lshlrev_b32_e32 v9, 2, v6
	ds_bpermute_b32 v6, v9, v5
	v_xor_b32_e32 v8, 8, v2
	v_cmp_lt_i32_e32 vcc, v8, v3
	s_waitcnt lgkmcnt(0)
	v_max_f32_e32 v6, v6, v6
	v_max_f32_e32 v5, v5, v6
	v_cndmask_b32_e32 v6, v2, v8, vcc
	v_lshlrev_b32_e32 v12, 2, v6
	ds_bpermute_b32 v8, v12, v5
	v_cmp_eq_u32_e32 vcc, 0, v17
	v_lshlrev_b32_e32 v6, 2, v4
	s_and_saveexec_b64 s[2:3], vcc
	s_cbranch_execz .LBB138_22
; %bb.21:
	s_waitcnt lgkmcnt(0)
	v_max_f32_e32 v8, v8, v8
	v_max_f32_e32 v5, v5, v5
	;; [unrolled: 1-line block ×3, first 2 shown]
	ds_write_b32 v6, v5 offset:256
.LBB138_22:
	s_or_b64 exec, exec, s[2:3]
	v_cmp_gt_u32_e64 s[2:3], 2, v17
	v_mov_b32_e32 v5, 0xff7fffff
	s_waitcnt lgkmcnt(0)
	v_lshlrev_b32_e32 v8, 2, v17
	s_barrier
	s_and_saveexec_b64 s[4:5], s[2:3]
	s_cbranch_execz .LBB138_24
; %bb.23:
	ds_read_b32 v5, v8 offset:256
.LBB138_24:
	s_or_b64 exec, exec, s[4:5]
	v_xor_b32_e32 v13, 1, v2
	v_cmp_lt_i32_e64 s[4:5], v13, v3
	v_cndmask_b32_e64 v13, v2, v13, s[4:5]
	v_lshlrev_b32_e32 v13, 2, v13
	s_waitcnt lgkmcnt(0)
	ds_bpermute_b32 v14, v13, v5
	v_max_f32_e32 v5, v5, v5
	s_sub_i32 s4, s47, s38
	s_lshl_b32 s4, s4, 3
	s_add_i32 s4, s4, s48
	s_waitcnt lgkmcnt(0)
	v_max_f32_e32 v14, v14, v14
	v_max_f32_e32 v5, v5, v14
	v_lshlrev_b32_e32 v14, 2, v2
	v_and_b32_e32 v14, 0x100, v14
	ds_bpermute_b32 v5, v14, v5
	s_min_i32 s42, s4, s29
	s_sub_i32 s15, s42, s48
	v_cmp_gt_i32_e64 s[4:5], s15, v0
	v_mov_b32_e32 v15, 0
	s_and_saveexec_b64 s[38:39], s[4:5]
	s_cbranch_execz .LBB138_28
; %bb.25:
	v_mov_b32_e32 v15, 0x110
	v_lshl_add_u32 v18, v0, 2, v15
	s_mov_b64 s[40:41], 0
	v_mov_b32_e32 v15, 0
	v_mov_b32_e32 v19, v0
.LBB138_26:                             ; =>This Inner Loop Header: Depth=1
	ds_read_b32 v20, v18
	v_add_u32_e32 v19, 0x80, v19
	v_cmp_le_i32_e64 s[10:11], s15, v19
	s_or_b64 s[40:41], s[10:11], s[40:41]
	s_waitcnt lgkmcnt(0)
	v_sub_f32_e32 v20, v20, v5
	v_mul_f32_e32 v20, 0x3fb8aa3b, v20
	v_exp_f32_e32 v20, v20
	ds_write_b32 v18, v20
	v_add_f32_e32 v15, v15, v20
	v_add_u32_e32 v18, 0x200, v18
	s_andn2_b64 exec, exec, s[40:41]
	s_cbranch_execnz .LBB138_26
; %bb.27:
	s_or_b64 exec, exec, s[40:41]
.LBB138_28:
	s_or_b64 exec, exec, s[38:39]
	ds_bpermute_b32 v7, v7, v15
	s_waitcnt lgkmcnt(0)
	v_add_f32_e32 v7, v15, v7
	ds_bpermute_b32 v9, v9, v7
	s_waitcnt lgkmcnt(0)
	v_add_f32_e32 v7, v7, v9
	ds_bpermute_b32 v9, v12, v7
	v_xor_b32_e32 v12, 4, v2
	v_cmp_lt_i32_e64 s[10:11], v12, v3
	v_cndmask_b32_e64 v12, v2, v12, s[10:11]
	v_lshlrev_b32_e32 v12, 2, v12
	s_waitcnt lgkmcnt(0)
	v_add_f32_e32 v7, v7, v9
	ds_bpermute_b32 v9, v12, v7
	v_xor_b32_e32 v12, 2, v2
	v_cmp_lt_i32_e64 s[10:11], v12, v3
	v_cndmask_b32_e64 v2, v2, v12, s[10:11]
	v_lshlrev_b32_e32 v2, 2, v2
	s_waitcnt lgkmcnt(0)
	v_add_f32_e32 v3, v7, v9
	ds_bpermute_b32 v2, v2, v3
	s_waitcnt lgkmcnt(0)
	v_add_f32_e32 v2, v3, v2
	ds_bpermute_b32 v3, v13, v2
	s_waitcnt lgkmcnt(0)
	v_add_f32_e32 v2, v2, v3
	s_and_saveexec_b64 s[10:11], vcc
	s_cbranch_execz .LBB138_30
; %bb.29:
	ds_write_b32 v6, v2 offset:264
.LBB138_30:
	s_or_b64 exec, exec, s[10:11]
	s_waitcnt lgkmcnt(0)
	s_barrier
	s_and_saveexec_b64 s[10:11], s[2:3]
	s_cbranch_execz .LBB138_32
; %bb.31:
	ds_read_b32 v2, v8 offset:264
.LBB138_32:
	s_or_b64 exec, exec, s[10:11]
	s_waitcnt lgkmcnt(0)
	ds_bpermute_b32 v3, v13, v2
	s_waitcnt lgkmcnt(0)
	v_add_f32_e32 v2, v2, v3
	ds_bpermute_b32 v6, v14, v2
	s_and_saveexec_b64 s[2:3], s[4:5]
	s_cbranch_execz .LBB138_45
; %bb.33:
	s_waitcnt lgkmcnt(0)
	v_add_f32_e32 v2, 0x358637bd, v6
	v_div_scale_f32 v3, s[4:5], v2, v2, 1.0
	v_rcp_f32_e32 v7, v3
	v_div_scale_f32 v8, vcc, 1.0, v2, 1.0
	s_movk_i32 s4, 0x7f
	v_fma_f32 v9, -v3, v7, 1.0
	v_fmac_f32_e32 v7, v9, v7
	v_mul_f32_e32 v9, v8, v7
	v_fma_f32 v12, -v3, v9, v8
	v_fmac_f32_e32 v9, v12, v7
	v_fma_f32 v3, -v3, v9, v8
	v_div_fmas_f32 v3, v3, v7, v9
	v_div_fixup_f32 v2, v3, v2, 1.0
	v_xad_u32 v3, v0, -1, s42
	v_subrev_u32_e32 v7, s48, v3
	v_cmp_lt_u32_e32 vcc, s4, v7
	s_mov_b64 s[10:11], -1
	v_mov_b32_e32 v3, v0
	s_and_saveexec_b64 s[4:5], vcc
	s_cbranch_execz .LBB138_42
; %bb.34:
	v_lshrrev_b32_e32 v7, 7, v7
	v_add_u32_e32 v9, -1, v7
	v_lshrrev_b32_e32 v8, 1, v9
	v_mov_b32_e32 v3, v2
	v_add_u32_e32 v8, 1, v8
	v_cmp_lt_u32_e32 vcc, 13, v9
	v_mov_b32_e32 v13, 0
	s_and_saveexec_b64 s[10:11], vcc
	s_cbranch_execz .LBB138_38
; %bb.35:
	v_mov_b32_e32 v12, 0x110
	v_and_b32_e32 v9, -8, v8
	v_lshl_add_u32 v12, v0, 2, v12
	s_mov_b32 s40, 0
	s_mov_b64 s[38:39], 0
.LBB138_36:                             ; =>This Inner Loop Header: Depth=1
	ds_read2st64_b32 v[14:15], v12 offset1:2
	ds_read2st64_b32 v[18:19], v12 offset0:4 offset1:6
	ds_read2st64_b32 v[20:21], v12 offset0:8 offset1:10
	;; [unrolled: 1-line block ×3, first 2 shown]
	v_add_u32_e32 v9, -8, v9
	s_waitcnt lgkmcnt(3)
	v_pk_mul_f32 v[14:15], v[2:3], v[14:15]
	s_waitcnt lgkmcnt(2)
	v_pk_mul_f32 v[18:19], v[2:3], v[18:19]
	ds_write2st64_b32 v12, v14, v15 offset1:2
	ds_write2st64_b32 v12, v18, v19 offset0:4 offset1:6
	ds_read2st64_b32 v[18:19], v12 offset0:16 offset1:18
	s_waitcnt lgkmcnt(4)
	v_pk_mul_f32 v[14:15], v[2:3], v[20:21]
	ds_write2st64_b32 v12, v14, v15 offset0:8 offset1:10
	s_waitcnt lgkmcnt(4)
	v_pk_mul_f32 v[14:15], v[2:3], v[22:23]
	ds_write2st64_b32 v12, v14, v15 offset0:12 offset1:14
	ds_read2st64_b32 v[14:15], v12 offset0:20 offset1:22
	s_waitcnt lgkmcnt(3)
	v_pk_mul_f32 v[18:19], v[2:3], v[18:19]
	ds_read2st64_b32 v[20:21], v12 offset0:24 offset1:26
	ds_write2st64_b32 v12, v18, v19 offset0:16 offset1:18
	ds_read2st64_b32 v[18:19], v12 offset0:28 offset1:30
	s_waitcnt lgkmcnt(3)
	v_pk_mul_f32 v[14:15], v[2:3], v[14:15]
	ds_write2st64_b32 v12, v14, v15 offset0:20 offset1:22
	s_waitcnt lgkmcnt(3)
	v_pk_mul_f32 v[14:15], v[2:3], v[20:21]
	ds_write2st64_b32 v12, v14, v15 offset0:24 offset1:26
	s_waitcnt lgkmcnt(2)
	v_pk_mul_f32 v[14:15], v[2:3], v[18:19]
	s_add_i32 s40, s40, 16
	v_cmp_eq_u32_e32 vcc, 0, v9
	ds_write2st64_b32 v12, v14, v15 offset0:28 offset1:30
	v_add_u32_e32 v12, 0x2000, v12
	s_or_b64 s[38:39], vcc, s[38:39]
	v_mov_b32_e32 v13, s40
	s_andn2_b64 exec, exec, s[38:39]
	s_cbranch_execnz .LBB138_36
; %bb.37:
	s_or_b64 exec, exec, s[38:39]
.LBB138_38:
	s_or_b64 exec, exec, s[10:11]
	v_and_b32_e32 v8, 7, v8
	v_cmp_ne_u32_e32 vcc, 0, v8
	s_and_saveexec_b64 s[10:11], vcc
	s_cbranch_execz .LBB138_41
; %bb.39:
	v_lshlrev_b32_e32 v9, 9, v13
	v_lshlrev_b32_e32 v12, 2, v0
	s_movk_i32 s38, 0x110
	v_add3_u32 v9, v9, v12, s38
	s_mov_b64 s[38:39], 0
.LBB138_40:                             ; =>This Inner Loop Header: Depth=1
	ds_read2st64_b32 v[12:13], v9 offset1:2
	v_add_u32_e32 v8, -1, v8
	v_cmp_eq_u32_e32 vcc, 0, v8
	s_or_b64 s[38:39], vcc, s[38:39]
	s_waitcnt lgkmcnt(0)
	v_pk_mul_f32 v[12:13], v[2:3], v[12:13]
	ds_write2st64_b32 v9, v12, v13 offset1:2
	v_add_u32_e32 v9, 0x400, v9
	s_andn2_b64 exec, exec, s[38:39]
	s_cbranch_execnz .LBB138_40
.LBB138_41:
	s_or_b64 exec, exec, s[10:11]
	v_add_u32_e32 v7, 1, v7
	v_and_b32_e32 v8, 0x3fffffe, v7
	v_cmp_ne_u32_e32 vcc, v7, v8
	v_lshl_add_u32 v3, v8, 7, v0
	s_orn2_b64 s[10:11], vcc, exec
.LBB138_42:
	s_or_b64 exec, exec, s[4:5]
	s_and_b64 exec, exec, s[10:11]
	s_cbranch_execz .LBB138_45
; %bb.43:
	v_mov_b32_e32 v7, 0x110
	v_lshl_add_u32 v7, v3, 2, v7
	s_mov_b64 s[4:5], 0
.LBB138_44:                             ; =>This Inner Loop Header: Depth=1
	ds_read_b32 v8, v7
	v_add_u32_e32 v3, 0x80, v3
	v_cmp_le_i32_e32 vcc, s15, v3
	s_or_b64 s[4:5], vcc, s[4:5]
	s_waitcnt lgkmcnt(0)
	v_mul_f32_e32 v8, v2, v8
	ds_write_b32 v7, v8
	v_add_u32_e32 v7, 0x200, v7
	s_andn2_b64 exec, exec, s[4:5]
	s_cbranch_execnz .LBB138_44
.LBB138_45:
	s_or_b64 exec, exec, s[2:3]
	s_mul_i32 s2, s16, s28
	v_cmp_eq_u32_e32 vcc, 0, v0
	s_mul_i32 s2, s2, s9
	s_waitcnt lgkmcnt(0)
	s_barrier
	s_and_saveexec_b64 s[4:5], vcc
	s_cbranch_execz .LBB138_47
; %bb.46:
	s_ashr_i32 s3, s2, 31
	s_lshl_b64 s[10:11], s[2:3], 2
	s_add_u32 s3, s22, s10
	s_mul_i32 s22, s16, s6
	s_addc_u32 s9, s23, s11
	s_ashr_i32 s23, s22, 31
	s_lshl_b64 s[22:23], s[22:23], 2
	s_add_u32 s3, s3, s22
	s_addc_u32 s6, s9, s23
	s_ashr_i32 s9, s8, 31
	s_lshl_b64 s[38:39], s[8:9], 2
	s_add_u32 s40, s3, s38
	s_addc_u32 s41, s6, s39
	s_add_u32 s3, s20, s10
	s_addc_u32 s6, s21, s11
	;; [unrolled: 2-line block ×3, first 2 shown]
	s_add_u32 s10, s3, s38
	v_mov_b32_e32 v2, 0
	s_addc_u32 s11, s6, s39
	global_store_dword v2, v5, s[40:41]
	global_store_dword v2, v6, s[10:11]
.LBB138_47:
	s_or_b64 exec, exec, s[4:5]
	v_mov_b32_e32 v13, 0
	v_mov_b32_e32 v12, v13
	s_and_saveexec_b64 s[4:5], s[0:1]
	s_cbranch_execz .LBB138_153
; %bb.48:
	s_ashr_i32 s15, s14, 31
	s_sub_i32 s3, s12, s17
	s_lshl_b64 s[0:1], s[14:15], 1
	s_add_u32 s0, s36, s0
	s_addc_u32 s1, s37, s1
	s_abs_i32 s9, s18
	v_cvt_f32_u32_e32 v2, s9
	v_lshlrev_b32_e32 v3, 4, v17
	s_sub_i32 s6, 0, s9
	s_add_i32 s15, s7, -1
	v_rcp_iflag_f32_e32 v2, v2
	v_mov_b32_e32 v5, s1
	v_add_co_u32_e32 v19, vcc, s0, v3
	v_mul_f32_e32 v2, 0x4f7ffffe, v2
	v_cvt_u32_f32_e32 v2, v2
	s_lshl_b64 s[0:1], s[34:35], 2
	s_add_u32 s0, s30, s0
	v_addc_co_u32_e32 v20, vcc, 0, v5, vcc
	v_mul_lo_u32 v6, s6, v2
	v_mul_hi_u32 v6, v2, v6
	v_add_u32_e32 v18, v2, v6
	v_lshlrev_b64 v[2:3], 2, v[10:11]
	s_addc_u32 s1, s31, s1
	v_mov_b32_e32 v5, s1
	v_add_co_u32_e32 v14, vcc, s0, v2
	v_mov_b32_e32 v2, 0x110
	s_mov_b32 s14, s13
	v_addc_co_u32_e32 v15, vcc, v5, v3, vcc
	v_lshl_add_u32 v11, v4, 5, v2
	s_mov_b64 s[6:7], 0
	v_mov_b32_e32 v21, 0
	s_mov_b32 s17, 0x7f800000
	s_movk_i32 s18, 0x7fff
	v_mov_b32_e32 v22, 0
	v_mov_b32_e32 v13, 0
	s_branch .LBB138_51
.LBB138_49:                             ;   in Loop: Header=BB138_51 Depth=1
	s_or_b64 exec, exec, s[0:1]
	v_and_b32_e32 v30, 0xffff0000, v25
	v_and_b32_e32 v25, 0xffff0000, v26
	;; [unrolled: 1-line block ×6, first 2 shown]
	v_pk_add_f32 v[2:3], v[2:3], v[26:27]
	v_and_b32_e32 v29, 0xffff0000, v6
	v_and_b32_e32 v28, 0xffff0000, v28
	;; [unrolled: 1-line block ×4, first 2 shown]
	v_mov_b32_e32 v6, v3
	v_pk_add_f32 v[2:3], v[2:3], v[6:7]
	v_pk_add_f32 v[4:5], v[4:5], v[28:29]
	;; [unrolled: 1-line block ×3, first 2 shown]
	v_mov_b32_e32 v4, v5
	v_and_b32_e32 v33, 0xffff0000, v23
	v_and_b32_e32 v32, 0xffff0000, v9
	;; [unrolled: 1-line block ×4, first 2 shown]
	v_pk_add_f32 v[2:3], v[2:3], v[4:5]
	v_and_b32_e32 v31, 0xffff0000, v34
	v_and_b32_e32 v24, 0xffff0000, v24
	v_pk_add_f32 v[8:9], v[8:9], v[32:33]
	v_mov_b32_e32 v3, v2
	v_pk_add_f32 v[24:25], v[24:25], v[30:31]
	v_pk_add_f32 v[12:13], v[12:13], v[2:3]
	v_add_f32_e32 v2, v8, v9
	v_add_f32_e32 v2, v2, v24
	;; [unrolled: 1-line block ×4, first 2 shown]
.LBB138_50:                             ;   in Loop: Header=BB138_51 Depth=1
	s_or_b64 exec, exec, s[10:11]
	v_add_co_u32_e32 v14, vcc, 8, v14
	v_add_u32_e32 v10, 2, v10
	v_addc_co_u32_e32 v15, vcc, 0, v15, vcc
	v_cmp_le_i32_e32 vcc, s47, v10
	v_add_u32_e32 v1, 16, v1
	s_or_b64 s[6:7], vcc, s[6:7]
	v_add_u32_e32 v11, 64, v11
	s_andn2_b64 exec, exec, s[6:7]
	s_cbranch_execz .LBB138_152
.LBB138_51:                             ; =>This Inner Loop Header: Depth=1
	v_sub_u32_e32 v3, 0, v1
	v_max_i32_e32 v3, v1, v3
	v_mul_hi_u32 v4, v3, s33
	v_mul_lo_u32 v5, v4, s25
	v_sub_u32_e32 v3, v3, v5
	v_add_u32_e32 v5, 1, v4
	v_cmp_le_u32_e32 vcc, s25, v3
	v_cndmask_b32_e32 v4, v4, v5, vcc
	v_subrev_u32_e32 v5, s25, v3
	v_cndmask_b32_e32 v3, v3, v5, vcc
	v_ashrrev_i32_e32 v2, 31, v1
	v_add_u32_e32 v5, 1, v4
	v_cmp_le_u32_e32 vcc, s25, v3
	v_xor_b32_e32 v2, s19, v2
	v_cndmask_b32_e32 v3, v4, v5, vcc
	v_xor_b32_e32 v3, v3, v2
	v_sub_u32_e32 v2, v3, v2
	v_add_u32_e32 v3, s46, v2
	v_sub_u32_e32 v5, 0, v3
	v_ashrrev_i32_e32 v4, 31, v3
	v_max_i32_e32 v3, v3, v5
	v_mul_hi_u32 v5, v3, v18
	v_mul_lo_u32 v5, v5, s9
	v_sub_u32_e32 v3, v3, v5
	v_subrev_u32_e32 v5, s9, v3
	v_cmp_le_u32_e32 vcc, s9, v3
	v_cndmask_b32_e32 v3, v3, v5, vcc
	v_subrev_u32_e32 v5, s9, v3
	v_cmp_le_u32_e32 vcc, s9, v3
	v_cndmask_b32_e32 v3, v3, v5, vcc
	v_xor_b32_e32 v3, v3, v4
	v_sub_u32_e32 v3, v3, v4
	v_cmp_eq_u32_e32 vcc, 0, v3
	v_cmp_lt_i32_e64 s[0:1], s3, v2
	s_or_b64 s[0:1], vcc, s[0:1]
	s_and_saveexec_b64 s[10:11], s[0:1]
	s_cbranch_execz .LBB138_50
; %bb.52:                               ;   in Loop: Header=BB138_51 Depth=1
	global_load_dword v27, v[14:15], off
	ds_read2_b64 v[6:9], v11 offset1:1
	ds_read2_b64 v[2:5], v11 offset0:2 offset1:3
                                        ; implicit-def: $vgpr35
	s_waitcnt lgkmcnt(1)
	v_and_b32_e32 v12, 0x7f800000, v6
	v_cmp_ne_u32_e32 vcc, s17, v12
	s_and_saveexec_b64 s[0:1], vcc
	s_xor_b64 s[0:1], exec, s[0:1]
; %bb.53:                               ;   in Loop: Header=BB138_51 Depth=1
	v_bfe_u32 v12, v6, 16, 1
	v_add3_u32 v35, v6, v12, s18
; %bb.54:                               ;   in Loop: Header=BB138_51 Depth=1
	s_andn2_saveexec_b64 s[0:1], s[0:1]
; %bb.55:                               ;   in Loop: Header=BB138_51 Depth=1
	v_or_b32_e32 v12, 0x10000, v6
	v_cmp_eq_u32_sdwa vcc, v6, v21 src0_sel:WORD_0 src1_sel:DWORD
	v_cndmask_b32_e32 v35, v12, v6, vcc
; %bb.56:                               ;   in Loop: Header=BB138_51 Depth=1
	s_or_b64 exec, exec, s[0:1]
	v_and_b32_e32 v6, 0x7f800000, v7
	v_cmp_ne_u32_e32 vcc, s17, v6
                                        ; implicit-def: $vgpr36
	s_and_saveexec_b64 s[0:1], vcc
	s_xor_b64 s[0:1], exec, s[0:1]
; %bb.57:                               ;   in Loop: Header=BB138_51 Depth=1
	v_bfe_u32 v6, v7, 16, 1
	v_add3_u32 v36, v7, v6, s18
; %bb.58:                               ;   in Loop: Header=BB138_51 Depth=1
	s_andn2_saveexec_b64 s[0:1], s[0:1]
; %bb.59:                               ;   in Loop: Header=BB138_51 Depth=1
	v_or_b32_e32 v6, 0x10000, v7
	v_cmp_eq_u32_sdwa vcc, v7, v21 src0_sel:WORD_0 src1_sel:DWORD
	v_cndmask_b32_e32 v36, v6, v7, vcc
; %bb.60:                               ;   in Loop: Header=BB138_51 Depth=1
	s_or_b64 exec, exec, s[0:1]
	v_and_b32_e32 v6, 0x7f800000, v8
	v_cmp_ne_u32_e32 vcc, s17, v6
                                        ; implicit-def: $vgpr12
	s_and_saveexec_b64 s[0:1], vcc
	s_xor_b64 s[0:1], exec, s[0:1]
; %bb.61:                               ;   in Loop: Header=BB138_51 Depth=1
	v_bfe_u32 v6, v8, 16, 1
	v_add3_u32 v12, v8, v6, s18
; %bb.62:                               ;   in Loop: Header=BB138_51 Depth=1
	s_andn2_saveexec_b64 s[0:1], s[0:1]
; %bb.63:                               ;   in Loop: Header=BB138_51 Depth=1
	v_or_b32_e32 v6, 0x10000, v8
	v_cmp_eq_u32_sdwa vcc, v8, v21 src0_sel:WORD_0 src1_sel:DWORD
	v_cndmask_b32_e32 v12, v6, v8, vcc
; %bb.64:                               ;   in Loop: Header=BB138_51 Depth=1
	s_or_b64 exec, exec, s[0:1]
	v_and_b32_e32 v6, 0x7f800000, v9
	v_cmp_ne_u32_e32 vcc, s17, v6
                                        ; implicit-def: $vgpr23
	s_and_saveexec_b64 s[0:1], vcc
	s_xor_b64 s[0:1], exec, s[0:1]
; %bb.65:                               ;   in Loop: Header=BB138_51 Depth=1
	v_bfe_u32 v6, v9, 16, 1
	v_add3_u32 v23, v9, v6, s18
                                        ; implicit-def: $vgpr6_vgpr7_vgpr8_vgpr9
; %bb.66:                               ;   in Loop: Header=BB138_51 Depth=1
	s_andn2_saveexec_b64 s[0:1], s[0:1]
; %bb.67:                               ;   in Loop: Header=BB138_51 Depth=1
	v_or_b32_e32 v6, 0x10000, v9
	v_cmp_eq_u32_sdwa vcc, v9, v21 src0_sel:WORD_0 src1_sel:DWORD
	v_cndmask_b32_e32 v23, v6, v9, vcc
; %bb.68:                               ;   in Loop: Header=BB138_51 Depth=1
	s_or_b64 exec, exec, s[0:1]
	s_waitcnt lgkmcnt(0)
	v_and_b32_e32 v6, 0x7f800000, v2
	v_cmp_ne_u32_e32 vcc, s17, v6
                                        ; implicit-def: $vgpr24
	s_and_saveexec_b64 s[0:1], vcc
	s_xor_b64 s[0:1], exec, s[0:1]
; %bb.69:                               ;   in Loop: Header=BB138_51 Depth=1
	v_bfe_u32 v6, v2, 16, 1
	v_add3_u32 v24, v2, v6, s18
; %bb.70:                               ;   in Loop: Header=BB138_51 Depth=1
	s_andn2_saveexec_b64 s[0:1], s[0:1]
; %bb.71:                               ;   in Loop: Header=BB138_51 Depth=1
	v_or_b32_e32 v6, 0x10000, v2
	v_cmp_eq_u32_sdwa vcc, v2, v21 src0_sel:WORD_0 src1_sel:DWORD
	v_cndmask_b32_e32 v24, v6, v2, vcc
; %bb.72:                               ;   in Loop: Header=BB138_51 Depth=1
	s_or_b64 exec, exec, s[0:1]
	v_and_b32_e32 v2, 0x7f800000, v3
	v_cmp_ne_u32_e32 vcc, s17, v2
                                        ; implicit-def: $vgpr25
	s_and_saveexec_b64 s[0:1], vcc
	s_xor_b64 s[0:1], exec, s[0:1]
; %bb.73:                               ;   in Loop: Header=BB138_51 Depth=1
	v_bfe_u32 v2, v3, 16, 1
	v_add3_u32 v25, v3, v2, s18
; %bb.74:                               ;   in Loop: Header=BB138_51 Depth=1
	s_andn2_saveexec_b64 s[0:1], s[0:1]
; %bb.75:                               ;   in Loop: Header=BB138_51 Depth=1
	v_or_b32_e32 v2, 0x10000, v3
	v_cmp_eq_u32_sdwa vcc, v3, v21 src0_sel:WORD_0 src1_sel:DWORD
	v_cndmask_b32_e32 v25, v2, v3, vcc
; %bb.76:                               ;   in Loop: Header=BB138_51 Depth=1
	s_or_b64 exec, exec, s[0:1]
	v_and_b32_e32 v2, 0x7f800000, v4
	v_cmp_ne_u32_e32 vcc, s17, v2
                                        ; implicit-def: $vgpr26
	s_and_saveexec_b64 s[0:1], vcc
	s_xor_b64 s[0:1], exec, s[0:1]
; %bb.77:                               ;   in Loop: Header=BB138_51 Depth=1
	v_bfe_u32 v2, v4, 16, 1
	v_add3_u32 v26, v4, v2, s18
; %bb.78:                               ;   in Loop: Header=BB138_51 Depth=1
	s_andn2_saveexec_b64 s[0:1], s[0:1]
; %bb.79:                               ;   in Loop: Header=BB138_51 Depth=1
	v_or_b32_e32 v2, 0x10000, v4
	v_cmp_eq_u32_sdwa vcc, v4, v21 src0_sel:WORD_0 src1_sel:DWORD
	v_cndmask_b32_e32 v26, v2, v4, vcc
; %bb.80:                               ;   in Loop: Header=BB138_51 Depth=1
	s_or_b64 exec, exec, s[0:1]
	v_and_b32_e32 v2, 0x7f800000, v5
	v_cmp_ne_u32_e32 vcc, s17, v2
                                        ; implicit-def: $vgpr34
	s_and_saveexec_b64 s[0:1], vcc
	s_xor_b64 s[0:1], exec, s[0:1]
; %bb.81:                               ;   in Loop: Header=BB138_51 Depth=1
	v_bfe_u32 v2, v5, 16, 1
	v_add3_u32 v34, v5, v2, s18
                                        ; implicit-def: $vgpr2_vgpr3_vgpr4_vgpr5
; %bb.82:                               ;   in Loop: Header=BB138_51 Depth=1
	s_andn2_saveexec_b64 s[0:1], s[0:1]
; %bb.83:                               ;   in Loop: Header=BB138_51 Depth=1
	v_or_b32_e32 v2, 0x10000, v5
	v_cmp_eq_u32_sdwa vcc, v5, v21 src0_sel:WORD_0 src1_sel:DWORD
	v_cndmask_b32_e32 v34, v2, v5, vcc
; %bb.84:                               ;   in Loop: Header=BB138_51 Depth=1
	s_or_b64 exec, exec, s[0:1]
	s_waitcnt vmcnt(0)
	v_mad_i64_i32 v[2:3], s[0:1], v27, s14, 0
	v_lshlrev_b64 v[2:3], 1, v[2:3]
	v_add_co_u32_e32 v6, vcc, v19, v2
	v_addc_co_u32_e32 v7, vcc, v20, v3, vcc
	global_load_dwordx4 v[2:5], v[6:7], off
	v_cmp_eq_u32_e32 vcc, s15, v10
	v_add_u32_e32 v33, 1, v1
	v_add_u32_e32 v32, 2, v1
	;; [unrolled: 1-line block ×7, first 2 shown]
	s_waitcnt vmcnt(0)
	v_lshrrev_b32_e32 v9, 16, v2
	v_lshrrev_b32_e32 v39, 16, v3
	v_lshrrev_b32_e32 v41, 16, v4
	v_lshrrev_b32_e32 v43, 16, v5
	s_and_saveexec_b64 s[12:13], vcc
	s_cbranch_execz .LBB138_86
; %bb.85:                               ;   in Loop: Header=BB138_51 Depth=1
	v_cmp_gt_i32_e64 s[0:1], s29, v1
	v_cndmask_b32_e64 v2, 0, v2, s[0:1]
	v_cmp_gt_i32_e64 s[0:1], s29, v33
	v_cndmask_b32_e64 v9, 0, v9, s[0:1]
	;; [unrolled: 2-line block ×8, first 2 shown]
.LBB138_86:                             ;   in Loop: Header=BB138_51 Depth=1
	s_or_b64 exec, exec, s[12:13]
	v_and_b32_e32 v35, 0xffff0000, v35
	v_lshlrev_b32_e32 v2, 16, v2
	v_mul_f32_e32 v2, v35, v2
	v_and_b32_e32 v8, 0x7f800000, v2
	v_cmp_ne_u32_e64 s[0:1], s17, v8
                                        ; implicit-def: $vgpr8
	s_and_saveexec_b64 s[12:13], s[0:1]
	s_xor_b64 s[0:1], exec, s[12:13]
; %bb.87:                               ;   in Loop: Header=BB138_51 Depth=1
	v_bfe_u32 v8, v2, 16, 1
	v_add3_u32 v8, v2, v8, s18
                                        ; implicit-def: $vgpr2
; %bb.88:                               ;   in Loop: Header=BB138_51 Depth=1
	s_andn2_saveexec_b64 s[12:13], s[0:1]
; %bb.89:                               ;   in Loop: Header=BB138_51 Depth=1
	v_or_b32_e32 v8, 0x10000, v2
	v_cmp_eq_u32_sdwa s[0:1], v2, v21 src0_sel:WORD_0 src1_sel:DWORD
	v_cndmask_b32_e64 v8, v8, v2, s[0:1]
; %bb.90:                               ;   in Loop: Header=BB138_51 Depth=1
	s_or_b64 exec, exec, s[12:13]
	v_and_b32_e32 v36, 0xffff0000, v36
	v_lshlrev_b32_e32 v2, 16, v9
	v_mul_f32_e32 v2, v36, v2
	v_and_b32_e32 v9, 0x7f800000, v2
	v_cmp_ne_u32_e64 s[0:1], s17, v9
                                        ; implicit-def: $vgpr9
	s_and_saveexec_b64 s[12:13], s[0:1]
	s_xor_b64 s[0:1], exec, s[12:13]
; %bb.91:                               ;   in Loop: Header=BB138_51 Depth=1
	v_bfe_u32 v9, v2, 16, 1
	v_add3_u32 v9, v2, v9, s18
                                        ; implicit-def: $vgpr2
; %bb.92:                               ;   in Loop: Header=BB138_51 Depth=1
	s_andn2_saveexec_b64 s[12:13], s[0:1]
; %bb.93:                               ;   in Loop: Header=BB138_51 Depth=1
	v_or_b32_e32 v9, 0x10000, v2
	v_cmp_eq_u32_sdwa s[0:1], v2, v21 src0_sel:WORD_0 src1_sel:DWORD
	v_cndmask_b32_e64 v9, v9, v2, s[0:1]
; %bb.94:                               ;   in Loop: Header=BB138_51 Depth=1
	s_or_b64 exec, exec, s[12:13]
	v_and_b32_e32 v37, 0xffff0000, v12
	v_lshlrev_b32_e32 v2, 16, v3
	v_mul_f32_e32 v2, v37, v2
	v_and_b32_e32 v3, 0x7f800000, v2
	v_cmp_ne_u32_e64 s[0:1], s17, v3
                                        ; implicit-def: $vgpr12
	s_and_saveexec_b64 s[12:13], s[0:1]
	s_xor_b64 s[0:1], exec, s[12:13]
; %bb.95:                               ;   in Loop: Header=BB138_51 Depth=1
	v_bfe_u32 v3, v2, 16, 1
	v_add3_u32 v12, v2, v3, s18
                                        ; implicit-def: $vgpr2
; %bb.96:                               ;   in Loop: Header=BB138_51 Depth=1
	s_andn2_saveexec_b64 s[12:13], s[0:1]
; %bb.97:                               ;   in Loop: Header=BB138_51 Depth=1
	v_or_b32_e32 v3, 0x10000, v2
	v_cmp_eq_u32_sdwa s[0:1], v2, v21 src0_sel:WORD_0 src1_sel:DWORD
	v_cndmask_b32_e64 v12, v3, v2, s[0:1]
; %bb.98:                               ;   in Loop: Header=BB138_51 Depth=1
	s_or_b64 exec, exec, s[12:13]
	v_and_b32_e32 v38, 0xffff0000, v23
	v_lshlrev_b32_e32 v2, 16, v39
	v_mul_f32_e32 v2, v38, v2
	v_and_b32_e32 v3, 0x7f800000, v2
	v_cmp_ne_u32_e64 s[0:1], s17, v3
                                        ; implicit-def: $vgpr23
	s_and_saveexec_b64 s[12:13], s[0:1]
	s_xor_b64 s[0:1], exec, s[12:13]
; %bb.99:                               ;   in Loop: Header=BB138_51 Depth=1
	v_bfe_u32 v3, v2, 16, 1
	v_add3_u32 v23, v2, v3, s18
                                        ; implicit-def: $vgpr2
; %bb.100:                              ;   in Loop: Header=BB138_51 Depth=1
	s_andn2_saveexec_b64 s[12:13], s[0:1]
; %bb.101:                              ;   in Loop: Header=BB138_51 Depth=1
	v_or_b32_e32 v3, 0x10000, v2
	v_cmp_eq_u32_sdwa s[0:1], v2, v21 src0_sel:WORD_0 src1_sel:DWORD
	v_cndmask_b32_e64 v23, v3, v2, s[0:1]
; %bb.102:                              ;   in Loop: Header=BB138_51 Depth=1
	s_or_b64 exec, exec, s[12:13]
	v_and_b32_e32 v39, 0xffff0000, v24
	v_lshlrev_b32_e32 v2, 16, v4
	v_mul_f32_e32 v2, v39, v2
	v_and_b32_e32 v3, 0x7f800000, v2
	v_cmp_ne_u32_e64 s[0:1], s17, v3
                                        ; implicit-def: $vgpr24
	s_and_saveexec_b64 s[12:13], s[0:1]
	s_xor_b64 s[0:1], exec, s[12:13]
; %bb.103:                              ;   in Loop: Header=BB138_51 Depth=1
	v_bfe_u32 v3, v2, 16, 1
	v_add3_u32 v24, v2, v3, s18
                                        ; implicit-def: $vgpr2
; %bb.104:                              ;   in Loop: Header=BB138_51 Depth=1
	s_andn2_saveexec_b64 s[12:13], s[0:1]
; %bb.105:                              ;   in Loop: Header=BB138_51 Depth=1
	v_or_b32_e32 v3, 0x10000, v2
	v_cmp_eq_u32_sdwa s[0:1], v2, v21 src0_sel:WORD_0 src1_sel:DWORD
	v_cndmask_b32_e64 v24, v3, v2, s[0:1]
; %bb.106:                              ;   in Loop: Header=BB138_51 Depth=1
	s_or_b64 exec, exec, s[12:13]
	v_and_b32_e32 v40, 0xffff0000, v25
	v_lshlrev_b32_e32 v2, 16, v41
	v_mul_f32_e32 v2, v40, v2
	v_and_b32_e32 v3, 0x7f800000, v2
	v_cmp_ne_u32_e64 s[0:1], s17, v3
                                        ; implicit-def: $vgpr25
	s_and_saveexec_b64 s[12:13], s[0:1]
	s_xor_b64 s[0:1], exec, s[12:13]
; %bb.107:                              ;   in Loop: Header=BB138_51 Depth=1
	v_bfe_u32 v3, v2, 16, 1
	v_add3_u32 v25, v2, v3, s18
                                        ; implicit-def: $vgpr2
; %bb.108:                              ;   in Loop: Header=BB138_51 Depth=1
	s_andn2_saveexec_b64 s[12:13], s[0:1]
; %bb.109:                              ;   in Loop: Header=BB138_51 Depth=1
	v_or_b32_e32 v3, 0x10000, v2
	v_cmp_eq_u32_sdwa s[0:1], v2, v21 src0_sel:WORD_0 src1_sel:DWORD
	v_cndmask_b32_e64 v25, v3, v2, s[0:1]
; %bb.110:                              ;   in Loop: Header=BB138_51 Depth=1
	s_or_b64 exec, exec, s[12:13]
	v_and_b32_e32 v41, 0xffff0000, v26
	v_lshlrev_b32_e32 v2, 16, v5
	v_mul_f32_e32 v2, v41, v2
	v_and_b32_e32 v3, 0x7f800000, v2
	v_cmp_ne_u32_e64 s[0:1], s17, v3
                                        ; implicit-def: $vgpr26
	s_and_saveexec_b64 s[12:13], s[0:1]
	s_xor_b64 s[0:1], exec, s[12:13]
; %bb.111:                              ;   in Loop: Header=BB138_51 Depth=1
	v_bfe_u32 v3, v2, 16, 1
	v_add3_u32 v26, v2, v3, s18
                                        ; implicit-def: $vgpr2
; %bb.112:                              ;   in Loop: Header=BB138_51 Depth=1
	s_andn2_saveexec_b64 s[12:13], s[0:1]
; %bb.113:                              ;   in Loop: Header=BB138_51 Depth=1
	v_or_b32_e32 v3, 0x10000, v2
	v_cmp_eq_u32_sdwa s[0:1], v2, v21 src0_sel:WORD_0 src1_sel:DWORD
	v_cndmask_b32_e64 v26, v3, v2, s[0:1]
; %bb.114:                              ;   in Loop: Header=BB138_51 Depth=1
	s_or_b64 exec, exec, s[12:13]
	v_and_b32_e32 v42, 0xffff0000, v34
	v_lshlrev_b32_e32 v2, 16, v43
	v_mul_f32_e32 v2, v42, v2
	v_and_b32_e32 v3, 0x7f800000, v2
	v_cmp_ne_u32_e64 s[0:1], s17, v3
                                        ; implicit-def: $vgpr34
	s_and_saveexec_b64 s[12:13], s[0:1]
	s_xor_b64 s[0:1], exec, s[12:13]
; %bb.115:                              ;   in Loop: Header=BB138_51 Depth=1
	v_bfe_u32 v3, v2, 16, 1
	v_add3_u32 v34, v2, v3, s18
                                        ; implicit-def: $vgpr2
; %bb.116:                              ;   in Loop: Header=BB138_51 Depth=1
	s_andn2_saveexec_b64 s[12:13], s[0:1]
; %bb.117:                              ;   in Loop: Header=BB138_51 Depth=1
	v_or_b32_e32 v3, 0x10000, v2
	v_cmp_eq_u32_sdwa s[0:1], v2, v21 src0_sel:WORD_0 src1_sel:DWORD
	v_cndmask_b32_e64 v34, v3, v2, s[0:1]
; %bb.118:                              ;   in Loop: Header=BB138_51 Depth=1
	s_or_b64 exec, exec, s[12:13]
	global_load_dwordx4 v[2:5], v[6:7], off offset:1024
	s_waitcnt vmcnt(0)
	v_lshrrev_b32_e32 v7, 16, v2
	v_lshrrev_b32_e32 v44, 16, v3
	;; [unrolled: 1-line block ×4, first 2 shown]
	s_and_saveexec_b64 s[0:1], vcc
	s_cbranch_execz .LBB138_120
; %bb.119:                              ;   in Loop: Header=BB138_51 Depth=1
	v_cmp_gt_i32_e32 vcc, s29, v1
	v_cndmask_b32_e32 v2, 0, v2, vcc
	v_cmp_gt_i32_e32 vcc, s29, v33
	v_cndmask_b32_e32 v7, 0, v7, vcc
	v_cmp_gt_i32_e32 vcc, s29, v32
	v_cndmask_b32_e32 v3, 0, v3, vcc
	v_cmp_gt_i32_e32 vcc, s29, v30
	v_cndmask_b32_e32 v44, 0, v44, vcc
	v_cmp_gt_i32_e32 vcc, s29, v29
	v_cndmask_b32_e32 v4, 0, v4, vcc
	v_cmp_gt_i32_e32 vcc, s29, v28
	v_cndmask_b32_e32 v43, 0, v43, vcc
	v_cmp_gt_i32_e32 vcc, s29, v27
	v_cndmask_b32_e32 v5, 0, v5, vcc
	v_cmp_gt_i32_e32 vcc, s29, v31
	v_cndmask_b32_e32 v6, 0, v6, vcc
.LBB138_120:                            ;   in Loop: Header=BB138_51 Depth=1
	s_or_b64 exec, exec, s[0:1]
	v_lshlrev_b32_e32 v2, 16, v2
	v_mul_f32_e32 v27, v35, v2
	v_and_b32_e32 v2, 0x7f800000, v27
	v_cmp_ne_u32_e32 vcc, s17, v2
                                        ; implicit-def: $vgpr2
	s_and_saveexec_b64 s[0:1], vcc
	s_xor_b64 s[0:1], exec, s[0:1]
; %bb.121:                              ;   in Loop: Header=BB138_51 Depth=1
	v_bfe_u32 v2, v27, 16, 1
	v_add3_u32 v2, v27, v2, s18
                                        ; implicit-def: $vgpr27
; %bb.122:                              ;   in Loop: Header=BB138_51 Depth=1
	s_andn2_saveexec_b64 s[0:1], s[0:1]
; %bb.123:                              ;   in Loop: Header=BB138_51 Depth=1
	v_or_b32_e32 v2, 0x10000, v27
	v_cmp_eq_u32_sdwa vcc, v27, v21 src0_sel:WORD_0 src1_sel:DWORD
	v_cndmask_b32_e32 v2, v2, v27, vcc
; %bb.124:                              ;   in Loop: Header=BB138_51 Depth=1
	s_or_b64 exec, exec, s[0:1]
	v_lshlrev_b32_e32 v7, 16, v7
	v_mul_f32_e32 v27, v36, v7
	v_and_b32_e32 v7, 0x7f800000, v27
	v_cmp_ne_u32_e32 vcc, s17, v7
                                        ; implicit-def: $vgpr7
	s_and_saveexec_b64 s[0:1], vcc
	s_xor_b64 s[0:1], exec, s[0:1]
; %bb.125:                              ;   in Loop: Header=BB138_51 Depth=1
	v_bfe_u32 v7, v27, 16, 1
	v_add3_u32 v7, v27, v7, s18
                                        ; implicit-def: $vgpr27
; %bb.126:                              ;   in Loop: Header=BB138_51 Depth=1
	s_andn2_saveexec_b64 s[0:1], s[0:1]
; %bb.127:                              ;   in Loop: Header=BB138_51 Depth=1
	v_or_b32_e32 v7, 0x10000, v27
	v_cmp_eq_u32_sdwa vcc, v27, v21 src0_sel:WORD_0 src1_sel:DWORD
	v_cndmask_b32_e32 v7, v7, v27, vcc
; %bb.128:                              ;   in Loop: Header=BB138_51 Depth=1
	s_or_b64 exec, exec, s[0:1]
	v_lshlrev_b32_e32 v3, 16, v3
	v_mul_f32_e32 v27, v37, v3
	v_and_b32_e32 v3, 0x7f800000, v27
	v_cmp_ne_u32_e32 vcc, s17, v3
                                        ; implicit-def: $vgpr3
	s_and_saveexec_b64 s[0:1], vcc
	s_xor_b64 s[0:1], exec, s[0:1]
; %bb.129:                              ;   in Loop: Header=BB138_51 Depth=1
	v_bfe_u32 v3, v27, 16, 1
	v_add3_u32 v3, v27, v3, s18
                                        ; implicit-def: $vgpr27
; %bb.130:                              ;   in Loop: Header=BB138_51 Depth=1
	s_andn2_saveexec_b64 s[0:1], s[0:1]
; %bb.131:                              ;   in Loop: Header=BB138_51 Depth=1
	v_or_b32_e32 v3, 0x10000, v27
	v_cmp_eq_u32_sdwa vcc, v27, v21 src0_sel:WORD_0 src1_sel:DWORD
	v_cndmask_b32_e32 v3, v3, v27, vcc
; %bb.132:                              ;   in Loop: Header=BB138_51 Depth=1
	s_or_b64 exec, exec, s[0:1]
	v_lshlrev_b32_e32 v27, 16, v44
	v_mul_f32_e32 v28, v38, v27
	v_and_b32_e32 v27, 0x7f800000, v28
	v_cmp_ne_u32_e32 vcc, s17, v27
                                        ; implicit-def: $vgpr27
	s_and_saveexec_b64 s[0:1], vcc
	s_xor_b64 s[0:1], exec, s[0:1]
; %bb.133:                              ;   in Loop: Header=BB138_51 Depth=1
	v_bfe_u32 v27, v28, 16, 1
	v_add3_u32 v27, v28, v27, s18
                                        ; implicit-def: $vgpr28
; %bb.134:                              ;   in Loop: Header=BB138_51 Depth=1
	s_andn2_saveexec_b64 s[0:1], s[0:1]
; %bb.135:                              ;   in Loop: Header=BB138_51 Depth=1
	v_or_b32_e32 v27, 0x10000, v28
	v_cmp_eq_u32_sdwa vcc, v28, v21 src0_sel:WORD_0 src1_sel:DWORD
	v_cndmask_b32_e32 v27, v27, v28, vcc
; %bb.136:                              ;   in Loop: Header=BB138_51 Depth=1
	s_or_b64 exec, exec, s[0:1]
	v_lshlrev_b32_e32 v4, 16, v4
	v_mul_f32_e32 v28, v39, v4
	v_and_b32_e32 v4, 0x7f800000, v28
	v_cmp_ne_u32_e32 vcc, s17, v4
                                        ; implicit-def: $vgpr4
	s_and_saveexec_b64 s[0:1], vcc
	s_xor_b64 s[0:1], exec, s[0:1]
; %bb.137:                              ;   in Loop: Header=BB138_51 Depth=1
	v_bfe_u32 v4, v28, 16, 1
	v_add3_u32 v4, v28, v4, s18
                                        ; implicit-def: $vgpr28
; %bb.138:                              ;   in Loop: Header=BB138_51 Depth=1
	s_andn2_saveexec_b64 s[0:1], s[0:1]
; %bb.139:                              ;   in Loop: Header=BB138_51 Depth=1
	v_or_b32_e32 v4, 0x10000, v28
	v_cmp_eq_u32_sdwa vcc, v28, v21 src0_sel:WORD_0 src1_sel:DWORD
	v_cndmask_b32_e32 v4, v4, v28, vcc
; %bb.140:                              ;   in Loop: Header=BB138_51 Depth=1
	s_or_b64 exec, exec, s[0:1]
	v_lshlrev_b32_e32 v28, 16, v43
	v_mul_f32_e32 v29, v40, v28
	v_and_b32_e32 v28, 0x7f800000, v29
	v_cmp_ne_u32_e32 vcc, s17, v28
                                        ; implicit-def: $vgpr28
	s_and_saveexec_b64 s[0:1], vcc
	s_xor_b64 s[0:1], exec, s[0:1]
; %bb.141:                              ;   in Loop: Header=BB138_51 Depth=1
	v_bfe_u32 v28, v29, 16, 1
	v_add3_u32 v28, v29, v28, s18
                                        ; implicit-def: $vgpr29
; %bb.142:                              ;   in Loop: Header=BB138_51 Depth=1
	s_andn2_saveexec_b64 s[0:1], s[0:1]
; %bb.143:                              ;   in Loop: Header=BB138_51 Depth=1
	v_or_b32_e32 v28, 0x10000, v29
	v_cmp_eq_u32_sdwa vcc, v29, v21 src0_sel:WORD_0 src1_sel:DWORD
	v_cndmask_b32_e32 v28, v28, v29, vcc
; %bb.144:                              ;   in Loop: Header=BB138_51 Depth=1
	s_or_b64 exec, exec, s[0:1]
	v_lshlrev_b32_e32 v5, 16, v5
	v_mul_f32_e32 v29, v41, v5
	v_and_b32_e32 v5, 0x7f800000, v29
	v_cmp_ne_u32_e32 vcc, s17, v5
                                        ; implicit-def: $vgpr5
	s_and_saveexec_b64 s[0:1], vcc
	s_xor_b64 s[0:1], exec, s[0:1]
; %bb.145:                              ;   in Loop: Header=BB138_51 Depth=1
	v_bfe_u32 v5, v29, 16, 1
	v_add3_u32 v5, v29, v5, s18
                                        ; implicit-def: $vgpr29
; %bb.146:                              ;   in Loop: Header=BB138_51 Depth=1
	s_andn2_saveexec_b64 s[0:1], s[0:1]
; %bb.147:                              ;   in Loop: Header=BB138_51 Depth=1
	v_or_b32_e32 v5, 0x10000, v29
	v_cmp_eq_u32_sdwa vcc, v29, v21 src0_sel:WORD_0 src1_sel:DWORD
	v_cndmask_b32_e32 v5, v5, v29, vcc
; %bb.148:                              ;   in Loop: Header=BB138_51 Depth=1
	s_or_b64 exec, exec, s[0:1]
	v_lshlrev_b32_e32 v6, 16, v6
	v_mul_f32_e32 v29, v42, v6
	v_and_b32_e32 v6, 0x7f800000, v29
	v_cmp_ne_u32_e32 vcc, s17, v6
                                        ; implicit-def: $vgpr6
	s_and_saveexec_b64 s[0:1], vcc
	s_xor_b64 s[0:1], exec, s[0:1]
; %bb.149:                              ;   in Loop: Header=BB138_51 Depth=1
	v_bfe_u32 v6, v29, 16, 1
	v_add3_u32 v6, v29, v6, s18
                                        ; implicit-def: $vgpr29
; %bb.150:                              ;   in Loop: Header=BB138_51 Depth=1
	s_andn2_saveexec_b64 s[0:1], s[0:1]
	s_cbranch_execz .LBB138_49
; %bb.151:                              ;   in Loop: Header=BB138_51 Depth=1
	v_or_b32_e32 v6, 0x10000, v29
	v_cmp_eq_u32_sdwa vcc, v29, v21 src0_sel:WORD_0 src1_sel:DWORD
	v_cndmask_b32_e32 v6, v6, v29, vcc
	s_branch .LBB138_49
.LBB138_152:
	s_or_b64 exec, exec, s[6:7]
	v_mov_b32_e32 v12, v22
.LBB138_153:
	s_or_b64 exec, exec, s[4:5]
	v_and_b32_e32 v1, 0x3c0, v0
	v_cmp_eq_u32_e32 vcc, 64, v1
	s_barrier
	s_and_saveexec_b64 s[0:1], vcc
	s_cbranch_execz .LBB138_155
; %bb.154:
	v_mov_b32_e32 v1, 0x110
	v_lshl_add_u32 v2, v0, 2, v1
	v_lshl_add_u32 v1, v17, 2, v1
	ds_write_b32 v1, v12
	ds_write_b32 v2, v13
.LBB138_155:
	s_or_b64 exec, exec, s[0:1]
	v_cmp_gt_u32_e32 vcc, 64, v0
	s_waitcnt lgkmcnt(0)
	s_barrier
	s_and_saveexec_b64 s[0:1], vcc
	s_cbranch_execz .LBB138_157
; %bb.156:
	v_mov_b32_e32 v1, 0x110
	v_lshl_add_u32 v0, v0, 2, v1
	ds_read2st64_b32 v[0:1], v0 offset1:1
	s_waitcnt lgkmcnt(0)
	v_pk_add_f32 v[12:13], v[12:13], v[0:1]
.LBB138_157:
	s_or_b64 exec, exec, s[0:1]
	s_barrier
	s_and_saveexec_b64 s[0:1], vcc
	s_cbranch_execz .LBB138_167
; %bb.158:
	s_mov_b32 s0, 0x7f800000
	v_and_b32_e32 v0, 0x7f800000, v12
	v_cmp_ne_u32_e32 vcc, s0, v0
                                        ; implicit-def: $vgpr2
	s_and_saveexec_b64 s[0:1], vcc
	s_xor_b64 s[0:1], exec, s[0:1]
; %bb.159:
	v_bfe_u32 v0, v12, 16, 1
	s_movk_i32 s3, 0x7fff
	v_add3_u32 v2, v12, v0, s3
; %bb.160:
	s_andn2_saveexec_b64 s[0:1], s[0:1]
; %bb.161:
	v_mov_b32_e32 v0, 0
	v_or_b32_e32 v1, 0x10000, v12
	v_cmp_eq_u32_sdwa vcc, v12, v0 src0_sel:WORD_0 src1_sel:DWORD
	v_cndmask_b32_e32 v2, v1, v12, vcc
; %bb.162:
	s_or_b64 exec, exec, s[0:1]
	s_lshl_b32 s0, s2, 7
	s_ashr_i32 s1, s0, 31
	s_lshl_b64 s[0:1], s[0:1], 1
	s_add_u32 s2, s26, s0
	s_mul_i32 s0, s16, s24
	s_addc_u32 s3, s27, s1
	s_ashr_i32 s1, s0, 31
	s_lshl_b64 s[0:1], s[0:1], 1
	s_add_u32 s2, s2, s0
	s_addc_u32 s3, s3, s1
	s_lshl_b32 s0, s8, 7
	s_ashr_i32 s1, s0, 31
	s_lshl_b64 s[0:1], s[0:1], 1
	s_add_u32 s0, s2, s0
	s_addc_u32 s1, s3, s1
	v_mov_b32_e32 v1, s1
	v_add_co_u32_e32 v0, vcc, s0, v16
	v_addc_co_u32_e32 v1, vcc, 0, v1, vcc
	global_store_short_d16_hi v16, v2, s[0:1]
	s_mov_b32 s0, 0x7f800000
	v_and_b32_e32 v2, 0x7f800000, v13
	v_cmp_ne_u32_e32 vcc, s0, v2
                                        ; implicit-def: $vgpr2
	s_and_saveexec_b64 s[0:1], vcc
	s_xor_b64 s[0:1], exec, s[0:1]
; %bb.163:
	v_bfe_u32 v2, v13, 16, 1
	s_movk_i32 s2, 0x7fff
	v_add3_u32 v2, v13, v2, s2
                                        ; implicit-def: $vgpr12_vgpr13
; %bb.164:
	s_andn2_saveexec_b64 s[0:1], s[0:1]
; %bb.165:
	v_mov_b32_e32 v2, 0
	v_or_b32_e32 v3, 0x10000, v13
	v_cmp_eq_u32_sdwa vcc, v13, v2 src0_sel:WORD_0 src1_sel:DWORD
	v_cndmask_b32_e32 v2, v3, v13, vcc
; %bb.166:
	s_or_b64 exec, exec, s[0:1]
	global_store_short_d16_hi v[0:1], v2, off offset:128
.LBB138_167:
	s_endpgm
	.section	.rodata,"a",@progbits
	.p2align	6, 0x0
	.amdhsa_kernel _ZN4vllm25paged_attention_v2_kernelI14__hip_bfloat16S1_Li128ELi8ELi128ELNS_18Fp8KVCacheDataTypeE0ELb1ELi512EEEvPfS3_PT_PKS4_PKT0_SA_ifPKiSC_iPKfiiiSE_SE_iiiii
		.amdhsa_group_segment_fixed_size 272
		.amdhsa_private_segment_fixed_size 0
		.amdhsa_kernarg_size 400
		.amdhsa_user_sgpr_count 6
		.amdhsa_user_sgpr_private_segment_buffer 1
		.amdhsa_user_sgpr_dispatch_ptr 0
		.amdhsa_user_sgpr_queue_ptr 0
		.amdhsa_user_sgpr_kernarg_segment_ptr 1
		.amdhsa_user_sgpr_dispatch_id 0
		.amdhsa_user_sgpr_flat_scratch_init 0
		.amdhsa_user_sgpr_kernarg_preload_length 0
		.amdhsa_user_sgpr_kernarg_preload_offset 0
		.amdhsa_user_sgpr_private_segment_size 0
		.amdhsa_uses_dynamic_stack 0
		.amdhsa_system_sgpr_private_segment_wavefront_offset 0
		.amdhsa_system_sgpr_workgroup_id_x 1
		.amdhsa_system_sgpr_workgroup_id_y 1
		.amdhsa_system_sgpr_workgroup_id_z 1
		.amdhsa_system_sgpr_workgroup_info 0
		.amdhsa_system_vgpr_workitem_id 0
		.amdhsa_next_free_vgpr 58
		.amdhsa_next_free_sgpr 52
		.amdhsa_accum_offset 60
		.amdhsa_reserve_vcc 1
		.amdhsa_reserve_flat_scratch 0
		.amdhsa_float_round_mode_32 0
		.amdhsa_float_round_mode_16_64 0
		.amdhsa_float_denorm_mode_32 3
		.amdhsa_float_denorm_mode_16_64 3
		.amdhsa_dx10_clamp 1
		.amdhsa_ieee_mode 1
		.amdhsa_fp16_overflow 0
		.amdhsa_tg_split 0
		.amdhsa_exception_fp_ieee_invalid_op 0
		.amdhsa_exception_fp_denorm_src 0
		.amdhsa_exception_fp_ieee_div_zero 0
		.amdhsa_exception_fp_ieee_overflow 0
		.amdhsa_exception_fp_ieee_underflow 0
		.amdhsa_exception_fp_ieee_inexact 0
		.amdhsa_exception_int_div_zero 0
	.end_amdhsa_kernel
	.section	.text._ZN4vllm25paged_attention_v2_kernelI14__hip_bfloat16S1_Li128ELi8ELi128ELNS_18Fp8KVCacheDataTypeE0ELb1ELi512EEEvPfS3_PT_PKS4_PKT0_SA_ifPKiSC_iPKfiiiSE_SE_iiiii,"axG",@progbits,_ZN4vllm25paged_attention_v2_kernelI14__hip_bfloat16S1_Li128ELi8ELi128ELNS_18Fp8KVCacheDataTypeE0ELb1ELi512EEEvPfS3_PT_PKS4_PKT0_SA_ifPKiSC_iPKfiiiSE_SE_iiiii,comdat
.Lfunc_end138:
	.size	_ZN4vllm25paged_attention_v2_kernelI14__hip_bfloat16S1_Li128ELi8ELi128ELNS_18Fp8KVCacheDataTypeE0ELb1ELi512EEEvPfS3_PT_PKS4_PKT0_SA_ifPKiSC_iPKfiiiSE_SE_iiiii, .Lfunc_end138-_ZN4vllm25paged_attention_v2_kernelI14__hip_bfloat16S1_Li128ELi8ELi128ELNS_18Fp8KVCacheDataTypeE0ELb1ELi512EEEvPfS3_PT_PKS4_PKT0_SA_ifPKiSC_iPKfiiiSE_SE_iiiii
                                        ; -- End function
	.section	.AMDGPU.csdata,"",@progbits
; Kernel info:
; codeLenInByte = 6728
; NumSgprs: 56
; NumVgprs: 58
; NumAgprs: 0
; TotalNumVgprs: 58
; ScratchSize: 0
; MemoryBound: 0
; FloatMode: 240
; IeeeMode: 1
; LDSByteSize: 272 bytes/workgroup (compile time only)
; SGPRBlocks: 6
; VGPRBlocks: 7
; NumSGPRsForWavesPerEU: 56
; NumVGPRsForWavesPerEU: 58
; AccumOffset: 60
; Occupancy: 8
; WaveLimiterHint : 1
; COMPUTE_PGM_RSRC2:SCRATCH_EN: 0
; COMPUTE_PGM_RSRC2:USER_SGPR: 6
; COMPUTE_PGM_RSRC2:TRAP_HANDLER: 0
; COMPUTE_PGM_RSRC2:TGID_X_EN: 1
; COMPUTE_PGM_RSRC2:TGID_Y_EN: 1
; COMPUTE_PGM_RSRC2:TGID_Z_EN: 1
; COMPUTE_PGM_RSRC2:TIDIG_COMP_CNT: 0
; COMPUTE_PGM_RSRC3_GFX90A:ACCUM_OFFSET: 14
; COMPUTE_PGM_RSRC3_GFX90A:TG_SPLIT: 0
	.section	.text._ZN4vllm32paged_attention_v2_reduce_kernelI14__hip_bfloat16Li128ELi128ELi512EEEvPT_PKfS5_PKS2_PKii,"axG",@progbits,_ZN4vllm32paged_attention_v2_reduce_kernelI14__hip_bfloat16Li128ELi128ELi512EEEvPT_PKfS5_PKS2_PKii,comdat
	.protected	_ZN4vllm32paged_attention_v2_reduce_kernelI14__hip_bfloat16Li128ELi128ELi512EEEvPT_PKfS5_PKS2_PKii ; -- Begin function _ZN4vllm32paged_attention_v2_reduce_kernelI14__hip_bfloat16Li128ELi128ELi512EEEvPT_PKfS5_PKS2_PKii
	.globl	_ZN4vllm32paged_attention_v2_reduce_kernelI14__hip_bfloat16Li128ELi128ELi512EEEvPT_PKfS5_PKS2_PKii
	.p2align	8
	.type	_ZN4vllm32paged_attention_v2_reduce_kernelI14__hip_bfloat16Li128ELi128ELi512EEEvPT_PKfS5_PKS2_PKii,@function
_ZN4vllm32paged_attention_v2_reduce_kernelI14__hip_bfloat16Li128ELi128ELi512EEEvPT_PKfS5_PKS2_PKii: ; @_ZN4vllm32paged_attention_v2_reduce_kernelI14__hip_bfloat16Li128ELi128ELi512EEEvPT_PKfS5_PKS2_PKii
; %bb.0:
	s_load_dwordx4 s[8:11], s[4:5], 0x18
	s_add_u32 s12, s4, 48
	s_mov_b32 s14, s7
	s_addc_u32 s13, s5, 0
	s_ashr_i32 s15, s7, 31
	s_lshl_b64 s[0:1], s[14:15], 2
	s_waitcnt lgkmcnt(0)
	s_add_u32 s0, s10, s0
	s_addc_u32 s1, s11, s1
	s_load_dword s24, s[0:1], 0x0
	s_load_dwordx2 s[10:11], s[4:5], 0x0
	s_load_dword s7, s[4:5], 0x28
	s_load_dword s15, s[4:5], 0x30
	s_waitcnt lgkmcnt(0)
	s_add_i32 s0, s24, -1
	s_cmpk_gt_u32 s0, 0x1ff
	s_mov_b64 s[0:1], -1
	s_cbranch_scc0 .LBB139_29
; %bb.1:
	s_add_i32 s0, s24, 0x1ff
	s_load_dwordx2 s[20:21], s[4:5], 0x8
	s_ashr_i32 s1, s0, 31
	s_lshr_b32 s1, s1, 23
	s_add_i32 s0, s0, s1
	s_mul_i32 s22, s15, s14
	s_ashr_i32 s23, s0, 9
	s_mul_i32 s16, s22, s7
	s_mul_i32 s18, s6, s7
	s_ashr_i32 s17, s16, 31
	s_ashr_i32 s19, s18, 31
	v_cmp_gt_i32_e32 vcc, s23, v0
	v_mov_b32_e32 v5, 0xff7fffff
	v_lshlrev_b32_e32 v1, 2, v0
	s_and_saveexec_b64 s[2:3], vcc
	s_cbranch_execz .LBB139_5
; %bb.2:
	s_load_dword s25, s[12:13], 0xc
	s_load_dwordx2 s[0:1], s[4:5], 0x10
	s_lshl_b64 s[4:5], s[16:17], 2
	s_lshl_b64 s[26:27], s[18:19], 2
	s_mov_b32 s28, 0
	s_waitcnt lgkmcnt(0)
	s_and_b32 s25, s25, 0xffff
	s_add_u32 s4, s4, s26
	s_addc_u32 s5, s5, s27
	s_add_u32 s0, s0, s4
	s_addc_u32 s1, s1, s5
	v_mov_b32_e32 v3, s1
	v_add_co_u32_e64 v2, s[0:1], s0, v1
	v_addc_co_u32_e64 v3, s[0:1], 0, v3, s[0:1]
	s_lshl_b32 s26, s25, 2
	v_add_u32_e32 v4, 16, v1
	s_mov_b64 s[4:5], 0
	v_mov_b32_e32 v5, 0xff7fffff
	v_mov_b32_e32 v6, s28
	v_mov_b32_e32 v7, v0
.LBB139_3:                              ; =>This Inner Loop Header: Depth=1
	global_load_dword v8, v[2:3], off
	v_add_co_u32_e64 v2, s[0:1], s26, v2
	v_add_u32_e32 v7, s25, v7
	v_addc_co_u32_e64 v3, s[0:1], v3, v6, s[0:1]
	v_max_f32_e32 v5, v5, v5
	v_cmp_le_i32_e64 s[0:1], s23, v7
	s_or_b64 s[4:5], s[0:1], s[4:5]
	s_waitcnt vmcnt(0)
	ds_write_b32 v4, v8
	v_max_f32_e32 v8, v8, v8
	v_add_u32_e32 v4, s26, v4
	v_max_f32_e32 v5, v5, v8
	s_andn2_b64 exec, exec, s[4:5]
	s_cbranch_execnz .LBB139_3
; %bb.4:
	s_or_b64 exec, exec, s[4:5]
.LBB139_5:
	s_or_b64 exec, exec, s[2:3]
	v_mbcnt_lo_u32_b32 v2, -1, 0
	v_mbcnt_hi_u32_b32 v2, -1, v2
	v_and_b32_e32 v3, 64, v2
	v_add_u32_e32 v6, 64, v3
	v_xor_b32_e32 v3, 32, v2
	v_cmp_lt_i32_e64 s[0:1], v3, v6
	v_cndmask_b32_e64 v3, v2, v3, s[0:1]
	v_lshlrev_b32_e32 v4, 2, v3
	ds_bpermute_b32 v3, v4, v5
	v_xor_b32_e32 v7, 16, v2
	v_max_f32_e32 v5, v5, v5
	v_cmp_lt_i32_e64 s[0:1], v7, v6
	v_xor_b32_e32 v8, 8, v2
	s_waitcnt lgkmcnt(0)
	v_max_f32_e32 v3, v3, v3
	v_max_f32_e32 v3, v5, v3
	v_cndmask_b32_e64 v5, v2, v7, s[0:1]
	v_lshlrev_b32_e32 v5, 2, v5
	ds_bpermute_b32 v7, v5, v3
	v_cmp_lt_i32_e64 s[0:1], v8, v6
	v_xor_b32_e32 v9, 4, v2
	v_xor_b32_e32 v10, 2, v2
	v_lshrrev_b32_e32 v13, 6, v0
	s_waitcnt lgkmcnt(0)
	v_max_f32_e32 v7, v7, v7
	v_max_f32_e32 v3, v3, v7
	v_cndmask_b32_e64 v7, v2, v8, s[0:1]
	v_lshlrev_b32_e32 v7, 2, v7
	ds_bpermute_b32 v8, v7, v3
	v_cmp_lt_i32_e64 s[0:1], v9, v6
	s_waitcnt lgkmcnt(0)
	s_barrier
	v_max_f32_e32 v8, v8, v8
	v_max_f32_e32 v3, v3, v8
	v_cndmask_b32_e64 v8, v2, v9, s[0:1]
	v_lshlrev_b32_e32 v8, 2, v8
	ds_bpermute_b32 v9, v8, v3
	v_cmp_lt_i32_e64 s[0:1], v10, v6
	s_waitcnt lgkmcnt(0)
	v_max_f32_e32 v9, v9, v9
	v_max_f32_e32 v11, v3, v9
	v_cndmask_b32_e64 v3, v2, v10, s[0:1]
	v_lshlrev_b32_e32 v9, 2, v3
	ds_bpermute_b32 v10, v9, v11
	v_and_b32_e32 v3, 63, v0
	s_waitcnt lgkmcnt(0)
	v_max_f32_e32 v10, v10, v10
	v_max_f32_e32 v11, v11, v10
	v_xor_b32_e32 v10, 1, v2
	v_cmp_lt_i32_e64 s[0:1], v10, v6
	v_cndmask_b32_e64 v6, v2, v10, s[0:1]
	v_lshlrev_b32_e32 v6, 2, v6
	ds_bpermute_b32 v12, v6, v11
	v_cmp_eq_u32_e64 s[0:1], 0, v3
	v_lshlrev_b32_e32 v10, 2, v13
	s_and_saveexec_b64 s[2:3], s[0:1]
	s_cbranch_execz .LBB139_7
; %bb.6:
	s_waitcnt lgkmcnt(0)
	v_max_f32_e32 v12, v12, v12
	v_max_f32_e32 v11, v11, v11
	;; [unrolled: 1-line block ×3, first 2 shown]
	ds_write_b32 v10, v11
.LBB139_7:
	s_or_b64 exec, exec, s[2:3]
	v_cmp_gt_u32_e64 s[2:3], 2, v3
	s_waitcnt lgkmcnt(0)
	v_mov_b32_e32 v12, 0xff7fffff
	v_lshlrev_b32_e32 v11, 2, v3
	s_barrier
	s_and_saveexec_b64 s[4:5], s[2:3]
	s_cbranch_execz .LBB139_9
; %bb.8:
	ds_read_b32 v12, v11
.LBB139_9:
	s_or_b64 exec, exec, s[4:5]
	s_waitcnt lgkmcnt(0)
	ds_bpermute_b32 v3, v6, v12
	v_max_f32_e32 v12, v12, v12
	v_lshlrev_b32_e32 v2, 2, v2
	s_lshl_b32 s25, s23, 2
	v_mov_b32_e32 v14, 0
	s_waitcnt lgkmcnt(0)
	v_max_f32_e32 v3, v3, v3
	v_max_f32_e32 v3, v12, v3
	v_and_b32_e32 v12, 0x100, v2
	ds_bpermute_b32 v13, v12, v3
	s_and_saveexec_b64 s[4:5], vcc
	s_cbranch_execz .LBB139_13
; %bb.10:
	s_load_dword s30, s[12:13], 0xc
	s_lshl_b64 s[26:27], s[16:17], 2
	s_lshl_b64 s[28:29], s[18:19], 2
	s_mov_b32 s31, 0
	v_mov_b32_e32 v14, 0
	s_waitcnt lgkmcnt(0)
	s_and_b32 s17, s30, 0xffff
	s_add_u32 s19, s26, s28
	s_addc_u32 s26, s27, s29
	s_add_u32 s19, s20, s19
	s_addc_u32 s20, s21, s26
	v_mov_b32_e32 v3, s20
	v_add_co_u32_e32 v2, vcc, s19, v1
	v_addc_co_u32_e32 v3, vcc, 0, v3, vcc
	s_lshl_b32 s19, s17, 2
	v_add_u32_e32 v1, 16, v1
	s_mov_b64 s[20:21], 0
	s_mov_b32 s26, 0x3fb8aa3b
	s_mov_b32 s27, 0xc2ce8ed0
	;; [unrolled: 1-line block ×3, first 2 shown]
	v_mov_b32_e32 v15, 0x7f800000
	v_mov_b32_e32 v16, s31
	;; [unrolled: 1-line block ×3, first 2 shown]
.LBB139_11:                             ; =>This Inner Loop Header: Depth=1
	global_load_dword v18, v[2:3], off
	ds_read_b32 v19, v1
	v_add_co_u32_e32 v2, vcc, s19, v2
	v_add_u32_e32 v17, s17, v17
	v_addc_co_u32_e32 v3, vcc, v3, v16, vcc
	s_waitcnt lgkmcnt(0)
	v_sub_f32_e32 v19, v19, v13
	v_mul_f32_e32 v21, 0x3fb8aa3b, v19
	v_fma_f32 v22, v19, s26, -v21
	v_rndne_f32_e32 v23, v21
	v_fmac_f32_e32 v22, 0x32a5705f, v19
	v_sub_f32_e32 v21, v21, v23
	v_add_f32_e32 v21, v21, v22
	v_cvt_i32_f32_e32 v23, v23
	v_exp_f32_e32 v21, v21
	v_cmp_le_i32_e32 vcc, s23, v17
	s_or_b64 s[20:21], vcc, s[20:21]
	v_cmp_ngt_f32_e32 vcc, s27, v19
	v_ldexp_f32 v21, v21, v23
	v_cndmask_b32_e32 v21, 0, v21, vcc
	v_cmp_nlt_f32_e32 vcc, s28, v19
	v_cndmask_b32_e32 v19, v15, v21, vcc
	v_add_u32_e32 v20, s25, v1
	v_add_u32_e32 v1, s19, v1
	s_waitcnt vmcnt(0)
	v_mul_f32_e32 v21, v18, v19
	v_fmac_f32_e32 v14, v18, v19
	ds_write_b32 v20, v21
	s_andn2_b64 exec, exec, s[20:21]
	s_cbranch_execnz .LBB139_11
; %bb.12:
	s_or_b64 exec, exec, s[20:21]
.LBB139_13:
	s_or_b64 exec, exec, s[4:5]
	ds_bpermute_b32 v1, v4, v14
	s_waitcnt lgkmcnt(0)
	s_barrier
	v_add_f32_e32 v1, v14, v1
	ds_bpermute_b32 v2, v5, v1
	s_waitcnt lgkmcnt(0)
	v_add_f32_e32 v1, v1, v2
	ds_bpermute_b32 v2, v7, v1
	s_waitcnt lgkmcnt(0)
	;; [unrolled: 3-line block ×5, first 2 shown]
	v_add_f32_e32 v1, v1, v2
	s_and_saveexec_b64 s[4:5], s[0:1]
	s_cbranch_execz .LBB139_15
; %bb.14:
	ds_write_b32 v10, v1 offset:8
.LBB139_15:
	s_or_b64 exec, exec, s[4:5]
	s_waitcnt lgkmcnt(0)
	s_barrier
	s_and_saveexec_b64 s[0:1], s[2:3]
	s_cbranch_execz .LBB139_17
; %bb.16:
	ds_read_b32 v1, v11 offset:8
.LBB139_17:
	s_or_b64 exec, exec, s[0:1]
	s_waitcnt lgkmcnt(0)
	ds_bpermute_b32 v2, v6, v1
	s_movk_i32 s0, 0x80
	v_cmp_gt_u32_e32 vcc, s0, v0
	s_waitcnt lgkmcnt(0)
	v_add_f32_e32 v1, v1, v2
	ds_bpermute_b32 v2, v12, v1
	s_and_saveexec_b64 s[0:1], vcc
	s_cbranch_execz .LBB139_28
; %bb.18:
	s_cmp_gt_i32 s24, 0
	s_mov_b32 s4, 0
	s_cbranch_scc1 .LBB139_20
; %bb.19:
	v_mov_b32_e32 v1, 0
	v_mov_b32_e32 v4, s4
	s_cbranch_execz .LBB139_21
	s_branch .LBB139_23
.LBB139_20:
                                        ; implicit-def: $sgpr4
	v_mov_b32_e32 v4, s4
.LBB139_21:
	s_waitcnt lgkmcnt(0)
	v_add_f32_e32 v1, 0x358637bd, v2
	v_div_scale_f32 v2, s[2:3], v1, v1, 1.0
	v_rcp_f32_e32 v3, v2
	s_lshl_b32 s4, s16, 7
	s_lshl_b32 s16, s18, 7
	s_ashr_i32 s5, s4, 31
	v_fma_f32 v4, -v2, v3, 1.0
	v_fmac_f32_e32 v3, v4, v3
	v_div_scale_f32 v4, vcc, 1.0, v1, 1.0
	v_mul_f32_e32 v5, v4, v3
	s_ashr_i32 s17, s16, 31
	s_max_i32 s2, s23, 1
	v_fma_f32 v6, -v2, v5, v4
	s_add_i32 s3, s25, 16
	s_lshl_b64 s[4:5], s[4:5], 1
	s_lshl_b64 s[16:17], s[16:17], 1
	v_fmac_f32_e32 v5, v6, v3
	s_add_u32 s4, s4, s16
	v_fma_f32 v2, -v2, v5, v4
	s_addc_u32 s5, s5, s17
	v_div_fmas_f32 v2, v2, v3, v5
	s_add_u32 s4, s8, s4
	v_div_fixup_f32 v5, v2, v1, 1.0
	v_lshlrev_b32_e32 v2, 1, v0
	s_addc_u32 s5, s9, s5
	v_mov_b32_e32 v1, 0
	v_mov_b32_e32 v3, s5
	v_add_co_u32_e32 v2, vcc, s4, v2
	v_addc_co_u32_e32 v3, vcc, 0, v3, vcc
	v_mov_b32_e32 v4, v1
.LBB139_22:                             ; =>This Inner Loop Header: Depth=1
	global_load_ushort v6, v[2:3], off
	v_mov_b32_e32 v7, s3
	ds_read_b32 v7, v7
	s_add_i32 s2, s2, -1
	v_add_co_u32_e32 v2, vcc, 0x100, v2
	s_add_i32 s3, s3, 4
	v_addc_co_u32_e32 v3, vcc, 0, v3, vcc
	s_cmp_eq_u32 s2, 0
	s_waitcnt vmcnt(0)
	v_lshlrev_b32_e32 v6, 16, v6
	s_waitcnt lgkmcnt(0)
	v_mul_f32_e32 v6, v7, v6
	v_fmac_f32_e32 v4, v5, v6
	s_cbranch_scc0 .LBB139_22
.LBB139_23:
	s_mov_b32 s2, 0x7f800000
	s_waitcnt lgkmcnt(0)
	v_and_b32_e32 v2, 0x7f800000, v4
	v_cmp_ne_u32_e32 vcc, s2, v2
                                        ; implicit-def: $vgpr2
	s_and_saveexec_b64 s[2:3], vcc
	s_xor_b64 s[2:3], exec, s[2:3]
; %bb.24:
	v_bfe_u32 v2, v4, 16, 1
	s_movk_i32 s4, 0x7fff
	v_add3_u32 v2, v4, v2, s4
                                        ; implicit-def: $vgpr4
; %bb.25:
	s_andn2_saveexec_b64 s[2:3], s[2:3]
; %bb.26:
	v_mov_b32_e32 v2, 0
	v_or_b32_e32 v3, 0x10000, v4
	v_cmp_eq_u32_sdwa vcc, v4, v2 src0_sel:WORD_0 src1_sel:DWORD
	v_cndmask_b32_e32 v2, v3, v4, vcc
; %bb.27:
	s_or_b64 exec, exec, s[2:3]
	s_lshl_b32 s2, s22, 7
	s_ashr_i32 s3, s2, 31
	s_lshl_b64 s[2:3], s[2:3], 1
	s_add_u32 s4, s10, s2
	s_addc_u32 s5, s11, s3
	s_lshl_b32 s2, s6, 7
	s_ashr_i32 s3, s2, 31
	s_lshl_b64 s[2:3], s[2:3], 1
	s_add_u32 s2, s4, s2
	s_addc_u32 s3, s5, s3
	v_lshlrev_b64 v[4:5], 1, v[0:1]
	v_mov_b32_e32 v1, s3
	v_add_co_u32_e32 v4, vcc, s2, v4
	v_addc_co_u32_e32 v5, vcc, v1, v5, vcc
	global_store_short_d16_hi v[4:5], v2, off
.LBB139_28:
	s_or_b64 exec, exec, s[0:1]
	s_mov_b64 s[0:1], 0
.LBB139_29:
	s_and_b64 vcc, exec, s[0:1]
	s_cbranch_vccz .LBB139_38
; %bb.30:
	s_movk_i32 s0, 0x80
	v_cmp_gt_u32_e32 vcc, s0, v0
	s_and_saveexec_b64 s[2:3], vcc
	s_cbranch_execz .LBB139_38
; %bb.31:
	s_mul_i32 s15, s15, s14
	s_lshl_b32 s2, s15, 7
	s_ashr_i32 s3, s2, 31
	s_lshl_b64 s[2:3], s[2:3], 1
	s_add_u32 s1, s10, s2
	s_addc_u32 s5, s11, s3
	s_lshl_b32 s2, s6, 7
	s_ashr_i32 s3, s2, 31
	s_lshl_b64 s[2:3], s[2:3], 1
	s_add_u32 s4, s1, s2
	s_mul_i32 s1, s7, s15
	s_addc_u32 s10, s5, s3
	s_lshl_b32 s2, s1, 7
	s_ashr_i32 s3, s2, 31
	s_lshl_b64 s[2:3], s[2:3], 1
	s_add_u32 s1, s8, s2
	s_mul_i32 s6, s6, s7
	s_addc_u32 s8, s9, s3
	s_lshl_b32 s2, s6, 7
	s_load_dword s6, s[12:13], 0xc
	s_ashr_i32 s3, s2, 31
	s_lshl_b64 s[2:3], s[2:3], 1
	s_add_u32 s5, s1, s2
	s_addc_u32 s7, s8, s3
	s_waitcnt lgkmcnt(0)
	s_and_b32 s6, s6, 0xffff
	v_cvt_f32_u32_e32 v1, s6
	v_add_u32_e32 v2, s6, v0
	v_mov_b32_e32 v4, s6
	v_cmp_gt_u32_e32 vcc, s0, v2
	v_rcp_iflag_f32_e32 v1, v1
	s_cmp_eq_u32 s6, 1
	v_max_u32_e32 v3, 0x80, v2
	v_addc_co_u32_e64 v2, s[0:1], v0, v4, vcc
	v_mul_f32_e32 v1, 0x4f7ffffe, v1
	v_cvt_u32_f32_e32 v1, v1
	s_cselect_b64 s[2:3], -1, 0
	s_sub_i32 s0, 0, s6
	v_sub_u32_e32 v2, v3, v2
	v_mul_lo_u32 v3, s0, v1
	v_mul_hi_u32 v3, v1, v3
	v_add_u32_e32 v1, v1, v3
	v_mul_hi_u32 v1, v2, v1
	v_mul_lo_u32 v3, v1, s6
	v_sub_u32_e32 v2, v2, v3
	v_add_u32_e32 v3, 1, v1
	v_cmp_le_u32_e64 s[0:1], s6, v2
	v_cndmask_b32_e64 v1, v1, v3, s[0:1]
	v_subrev_u32_e32 v3, s6, v2
	v_cndmask_b32_e64 v2, v2, v3, s[0:1]
	v_add_u32_e32 v3, 1, v1
	v_cmp_le_u32_e64 s[0:1], s6, v2
	v_cndmask_b32_e64 v1, v1, v3, s[0:1]
	v_addc_co_u32_e32 v1, vcc, 1, v1, vcc
	v_cmp_lt_u32_e32 vcc, 31, v1
	s_and_b64 s[8:9], vcc, s[2:3]
	s_mov_b64 s[2:3], -1
	s_and_saveexec_b64 s[0:1], s[8:9]
	s_cbranch_execz .LBB139_35
; %bb.32:
	v_and_b32_e32 v4, 0xffffffe0, v1
	s_mov_b64 s[2:3], 0
	v_mov_b32_e32 v3, 0
	v_mov_b32_e32 v5, s7
	v_mov_b32_e32 v6, s10
	v_mov_b32_e32 v2, v0
	v_mov_b32_e32 v7, v4
.LBB139_33:                             ; =>This Inner Loop Header: Depth=1
	v_lshlrev_b64 v[24:25], 1, v[2:3]
	v_add_co_u32_e32 v26, vcc, s5, v24
	v_addc_co_u32_e32 v27, vcc, v5, v25, vcc
	global_load_dwordx4 v[8:11], v[26:27], off
	global_load_dwordx4 v[12:15], v[26:27], off offset:16
	global_load_dwordx4 v[16:19], v[26:27], off offset:32
	;; [unrolled: 1-line block ×3, first 2 shown]
	v_add_co_u32_e32 v24, vcc, s4, v24
	v_subrev_u32_e32 v7, 32, v7
	v_addc_co_u32_e32 v25, vcc, v6, v25, vcc
	v_cmp_eq_u32_e32 vcc, 0, v7
	v_add_u32_e32 v2, 32, v2
	s_or_b64 s[2:3], vcc, s[2:3]
	s_waitcnt vmcnt(3)
	global_store_dwordx4 v[24:25], v[8:11], off
	s_waitcnt vmcnt(3)
	global_store_dwordx4 v[24:25], v[12:15], off offset:16
	s_waitcnt vmcnt(3)
	global_store_dwordx4 v[24:25], v[16:19], off offset:32
	;; [unrolled: 2-line block ×3, first 2 shown]
	s_andn2_b64 exec, exec, s[2:3]
	s_cbranch_execnz .LBB139_33
; %bb.34:
	s_or_b64 exec, exec, s[2:3]
	v_cmp_ne_u32_e32 vcc, v1, v4
	v_add_u32_e32 v0, v0, v4
	s_orn2_b64 s[2:3], vcc, exec
.LBB139_35:
	s_or_b64 exec, exec, s[0:1]
	s_and_b64 exec, exec, s[2:3]
	s_cbranch_execz .LBB139_38
; %bb.36:
	s_mov_b32 s3, 0
	v_mov_b32_e32 v1, 0
	v_lshlrev_b64 v[2:3], 1, v[0:1]
	s_lshl_b32 s2, s6, 1
	s_mov_b64 s[0:1], 0
	v_mov_b32_e32 v1, s7
	v_mov_b32_e32 v4, s10
	;; [unrolled: 1-line block ×3, first 2 shown]
	s_movk_i32 s3, 0x7f
.LBB139_37:                             ; =>This Inner Loop Header: Depth=1
	v_add_co_u32_e32 v6, vcc, s5, v2
	v_addc_co_u32_e32 v7, vcc, v1, v3, vcc
	global_load_ushort v8, v[6:7], off
	v_add_co_u32_e32 v6, vcc, s4, v2
	v_addc_co_u32_e32 v7, vcc, v4, v3, vcc
	v_add_co_u32_e32 v2, vcc, s2, v2
	v_add_u32_e32 v0, s6, v0
	v_addc_co_u32_e32 v3, vcc, v3, v5, vcc
	v_cmp_lt_u32_e32 vcc, s3, v0
	s_or_b64 s[0:1], vcc, s[0:1]
	s_waitcnt vmcnt(0)
	global_store_short v[6:7], v8, off
	s_andn2_b64 exec, exec, s[0:1]
	s_cbranch_execnz .LBB139_37
.LBB139_38:
	s_endpgm
	.section	.rodata,"a",@progbits
	.p2align	6, 0x0
	.amdhsa_kernel _ZN4vllm32paged_attention_v2_reduce_kernelI14__hip_bfloat16Li128ELi128ELi512EEEvPT_PKfS5_PKS2_PKii
		.amdhsa_group_segment_fixed_size 16
		.amdhsa_private_segment_fixed_size 0
		.amdhsa_kernarg_size 304
		.amdhsa_user_sgpr_count 6
		.amdhsa_user_sgpr_private_segment_buffer 1
		.amdhsa_user_sgpr_dispatch_ptr 0
		.amdhsa_user_sgpr_queue_ptr 0
		.amdhsa_user_sgpr_kernarg_segment_ptr 1
		.amdhsa_user_sgpr_dispatch_id 0
		.amdhsa_user_sgpr_flat_scratch_init 0
		.amdhsa_user_sgpr_kernarg_preload_length 0
		.amdhsa_user_sgpr_kernarg_preload_offset 0
		.amdhsa_user_sgpr_private_segment_size 0
		.amdhsa_uses_dynamic_stack 0
		.amdhsa_system_sgpr_private_segment_wavefront_offset 0
		.amdhsa_system_sgpr_workgroup_id_x 1
		.amdhsa_system_sgpr_workgroup_id_y 1
		.amdhsa_system_sgpr_workgroup_id_z 0
		.amdhsa_system_sgpr_workgroup_info 0
		.amdhsa_system_vgpr_workitem_id 0
		.amdhsa_next_free_vgpr 28
		.amdhsa_next_free_sgpr 32
		.amdhsa_accum_offset 28
		.amdhsa_reserve_vcc 1
		.amdhsa_reserve_flat_scratch 0
		.amdhsa_float_round_mode_32 0
		.amdhsa_float_round_mode_16_64 0
		.amdhsa_float_denorm_mode_32 3
		.amdhsa_float_denorm_mode_16_64 3
		.amdhsa_dx10_clamp 1
		.amdhsa_ieee_mode 1
		.amdhsa_fp16_overflow 0
		.amdhsa_tg_split 0
		.amdhsa_exception_fp_ieee_invalid_op 0
		.amdhsa_exception_fp_denorm_src 0
		.amdhsa_exception_fp_ieee_div_zero 0
		.amdhsa_exception_fp_ieee_overflow 0
		.amdhsa_exception_fp_ieee_underflow 0
		.amdhsa_exception_fp_ieee_inexact 0
		.amdhsa_exception_int_div_zero 0
	.end_amdhsa_kernel
	.section	.text._ZN4vllm32paged_attention_v2_reduce_kernelI14__hip_bfloat16Li128ELi128ELi512EEEvPT_PKfS5_PKS2_PKii,"axG",@progbits,_ZN4vllm32paged_attention_v2_reduce_kernelI14__hip_bfloat16Li128ELi128ELi512EEEvPT_PKfS5_PKS2_PKii,comdat
.Lfunc_end139:
	.size	_ZN4vllm32paged_attention_v2_reduce_kernelI14__hip_bfloat16Li128ELi128ELi512EEEvPT_PKfS5_PKS2_PKii, .Lfunc_end139-_ZN4vllm32paged_attention_v2_reduce_kernelI14__hip_bfloat16Li128ELi128ELi512EEEvPT_PKfS5_PKS2_PKii
                                        ; -- End function
	.section	.AMDGPU.csdata,"",@progbits
; Kernel info:
; codeLenInByte = 2300
; NumSgprs: 36
; NumVgprs: 28
; NumAgprs: 0
; TotalNumVgprs: 28
; ScratchSize: 0
; MemoryBound: 0
; FloatMode: 240
; IeeeMode: 1
; LDSByteSize: 16 bytes/workgroup (compile time only)
; SGPRBlocks: 4
; VGPRBlocks: 3
; NumSGPRsForWavesPerEU: 36
; NumVGPRsForWavesPerEU: 28
; AccumOffset: 28
; Occupancy: 8
; WaveLimiterHint : 0
; COMPUTE_PGM_RSRC2:SCRATCH_EN: 0
; COMPUTE_PGM_RSRC2:USER_SGPR: 6
; COMPUTE_PGM_RSRC2:TRAP_HANDLER: 0
; COMPUTE_PGM_RSRC2:TGID_X_EN: 1
; COMPUTE_PGM_RSRC2:TGID_Y_EN: 1
; COMPUTE_PGM_RSRC2:TGID_Z_EN: 0
; COMPUTE_PGM_RSRC2:TIDIG_COMP_CNT: 0
; COMPUTE_PGM_RSRC3_GFX90A:ACCUM_OFFSET: 6
; COMPUTE_PGM_RSRC3_GFX90A:TG_SPLIT: 0
	.section	.text._ZN4vllm25paged_attention_v2_kernelI14__hip_bfloat16S1_Li192ELi8ELi128ELNS_18Fp8KVCacheDataTypeE0ELb1ELi512EEEvPfS3_PT_PKS4_PKT0_SA_ifPKiSC_iPKfiiiSE_SE_iiiii,"axG",@progbits,_ZN4vllm25paged_attention_v2_kernelI14__hip_bfloat16S1_Li192ELi8ELi128ELNS_18Fp8KVCacheDataTypeE0ELb1ELi512EEEvPfS3_PT_PKS4_PKT0_SA_ifPKiSC_iPKfiiiSE_SE_iiiii,comdat
	.protected	_ZN4vllm25paged_attention_v2_kernelI14__hip_bfloat16S1_Li192ELi8ELi128ELNS_18Fp8KVCacheDataTypeE0ELb1ELi512EEEvPfS3_PT_PKS4_PKT0_SA_ifPKiSC_iPKfiiiSE_SE_iiiii ; -- Begin function _ZN4vllm25paged_attention_v2_kernelI14__hip_bfloat16S1_Li192ELi8ELi128ELNS_18Fp8KVCacheDataTypeE0ELb1ELi512EEEvPfS3_PT_PKS4_PKT0_SA_ifPKiSC_iPKfiiiSE_SE_iiiii
	.globl	_ZN4vllm25paged_attention_v2_kernelI14__hip_bfloat16S1_Li192ELi8ELi128ELNS_18Fp8KVCacheDataTypeE0ELb1ELi512EEEvPfS3_PT_PKS4_PKT0_SA_ifPKiSC_iPKfiiiSE_SE_iiiii
	.p2align	8
	.type	_ZN4vllm25paged_attention_v2_kernelI14__hip_bfloat16S1_Li192ELi8ELi128ELNS_18Fp8KVCacheDataTypeE0ELb1ELi512EEEvPfS3_PT_PKS4_PKT0_SA_ifPKiSC_iPKfiiiSE_SE_iiiii,@function
_ZN4vllm25paged_attention_v2_kernelI14__hip_bfloat16S1_Li192ELi8ELi128ELNS_18Fp8KVCacheDataTypeE0ELb1ELi512EEEvPfS3_PT_PKS4_PKT0_SA_ifPKiSC_iPKfiiiSE_SE_iiiii: ; @_ZN4vllm25paged_attention_v2_kernelI14__hip_bfloat16S1_Li192ELi8ELi128ELNS_18Fp8KVCacheDataTypeE0ELb1ELi512EEEvPfS3_PT_PKS4_PKT0_SA_ifPKiSC_iPKfiiiSE_SE_iiiii
; %bb.0:
	s_load_dwordx2 s[0:1], s[4:5], 0x40
	s_mov_b32 s34, s7
	s_ashr_i32 s35, s7, 31
	s_lshl_b64 s[2:3], s[34:35], 2
	s_waitcnt lgkmcnt(0)
	s_add_u32 s0, s0, s2
	s_addc_u32 s1, s1, s3
	s_load_dword s35, s[0:1], 0x0
	s_lshl_b32 s48, s8, 9
	s_waitcnt lgkmcnt(0)
	s_cmp_ge_i32 s48, s35
	s_cbranch_scc1 .LBB140_205
; %bb.1:
	s_load_dword s9, s[4:5], 0x90
	s_load_dwordx2 s[40:41], s[4:5], 0x30
	s_mov_b32 s49, 0
	s_waitcnt lgkmcnt(0)
	s_abs_i32 s2, s9
	s_abs_i32 s0, s40
	v_cvt_f32_u32_e32 v1, s0
	s_sub_i32 s3, 0, s0
	s_xor_b32 s1, s9, s40
	s_ashr_i32 s1, s1, 31
	v_rcp_iflag_f32_e32 v1, v1
	v_mul_f32_e32 v1, 0x4f7ffffe, v1
	v_cvt_u32_f32_e32 v1, v1
	v_readfirstlane_b32 s7, v1
	s_mul_i32 s3, s3, s7
	s_mul_hi_u32 s3, s7, s3
	s_add_i32 s7, s7, s3
	s_mul_hi_u32 s3, s2, s7
	s_mul_i32 s7, s3, s0
	s_sub_i32 s2, s2, s7
	s_add_i32 s10, s3, 1
	s_sub_i32 s7, s2, s0
	s_cmp_ge_u32 s2, s0
	s_cselect_b32 s3, s10, s3
	s_cselect_b32 s2, s7, s2
	s_add_i32 s7, s3, 1
	s_cmp_ge_u32 s2, s0
	s_cselect_b32 s0, s7, s3
	s_xor_b32 s0, s0, s1
	s_sub_i32 s11, s0, s1
	s_abs_i32 s10, s11
	v_cvt_f32_u32_e32 v1, s10
	s_load_dwordx2 s[0:1], s[4:5], 0x50
	s_sub_i32 s2, 0, s10
	s_abs_i32 s24, s6
	v_rcp_iflag_f32_e32 v1, v1
	v_mul_f32_e32 v1, 0x4f7ffffe, v1
	v_cvt_u32_f32_e32 v1, v1
	v_readfirstlane_b32 s3, v1
	s_mul_i32 s2, s2, s3
	s_mul_hi_u32 s2, s3, s2
	s_add_i32 s2, s3, s2
	s_waitcnt lgkmcnt(0)
	s_cmp_eq_u64 s[0:1], 0
	s_cbranch_scc1 .LBB140_3
; %bb.2:
	s_ashr_i32 s7, s6, 31
	s_lshl_b64 s[12:13], s[6:7], 2
	s_add_u32 s0, s0, s12
	s_addc_u32 s1, s1, s13
	s_load_dword s49, s[0:1], 0x0
.LBB140_3:
	s_load_dwordx4 s[20:23], s[4:5], 0x0
	s_load_dwordx2 s[28:29], s[4:5], 0x10
	s_load_dwordx4 s[12:15], s[4:5], 0x20
	s_load_dwordx2 s[36:37], s[4:5], 0x38
	s_load_dword s33, s[4:5], 0x98
	s_load_dwordx4 s[16:19], s[4:5], 0x58
	v_and_b32_e32 v9, 7, v0
	s_movk_i32 s0, 0xc0
	s_mul_i32 s30, s6, 0xc0
	s_mul_hi_u32 s7, s24, s2
	s_ashr_i32 s31, s30, 31
	v_cmp_gt_u32_e32 vcc, s0, v0
	v_lshlrev_b32_e32 v7, 1, v9
	s_and_saveexec_b64 s[0:1], vcc
	s_cbranch_execz .LBB140_6
; %bb.4:
	s_load_dwordx2 s[2:3], s[4:5], 0x18
	s_waitcnt lgkmcnt(0)
	s_mul_i32 s26, s34, s16
	s_ashr_i32 s27, s26, 31
	s_lshl_b64 s[26:27], s[26:27], 1
	s_lshl_b64 s[38:39], s[30:31], 1
	s_add_u32 s16, s26, s38
	s_addc_u32 s19, s27, s39
	v_lshrrev_b32_e32 v2, 3, v0
	s_add_u32 s2, s2, s16
	v_add_u32_e32 v1, -16, v2
	v_lshlrev_b32_e32 v3, 1, v2
	v_lshl_or_b32 v2, v2, 4, v7
	s_addc_u32 s3, s3, s19
	v_mad_u32_u24 v4, v9, 48, v3
	v_mov_b32_e32 v3, s3
	v_add_co_u32_e32 v2, vcc, s2, v2
	v_addc_co_u32_e32 v3, vcc, 0, v3, vcc
	s_mov_b64 s[2:3], 0
.LBB140_5:                              ; =>This Inner Loop Header: Depth=1
	global_load_ushort v5, v[2:3], off
	v_add_co_u32_e32 v2, vcc, 0x100, v2
	v_add_u32_e32 v1, 16, v1
	v_addc_co_u32_e32 v3, vcc, 0, v3, vcc
	v_cmp_lt_u32_e32 vcc, 7, v1
	s_or_b64 s[2:3], vcc, s[2:3]
	s_waitcnt vmcnt(0)
	ds_write_b16 v4, v5
	v_add_u32_e32 v4, 32, v4
	s_andn2_b64 exec, exec, s[2:3]
	s_cbranch_execnz .LBB140_5
.LBB140_6:
	s_or_b64 exec, exec, s[0:1]
	s_ashr_i32 s0, s6, 31
	s_ashr_i32 s1, s11, 31
	s_xor_b32 s0, s0, s1
	s_mul_i32 s1, s7, s10
	s_sub_i32 s1, s24, s1
	s_add_i32 s2, s7, 1
	s_sub_i32 s3, s1, s10
	s_load_dwordx4 s[24:27], s[4:5], 0x78
	s_cmp_ge_u32 s1, s10
	s_cselect_b32 s2, s2, s7
	s_cselect_b32 s1, s3, s1
	s_add_i32 s3, s2, 1
	s_cmp_ge_u32 s1, s10
	s_cselect_b32 s1, s3, s2
	s_load_dword s3, s[4:5], 0x88
	s_waitcnt lgkmcnt(0)
	s_abs_i32 s16, s27
	v_cvt_f32_u32_e32 v1, s16
	s_xor_b32 s1, s1, s0
	s_sub_i32 s2, s1, s0
	s_sub_i32 s0, 0, s16
	v_rcp_iflag_f32_e32 v1, v1
	s_add_i32 s11, s35, -1
	s_abs_i32 s7, s11
	v_mul_f32_e32 v1, 0x4f7ffffe, v1
	v_cvt_u32_f32_e32 v1, v1
	s_barrier
	v_readfirstlane_b32 s31, v1
	s_mul_i32 s0, s0, s31
	s_mul_hi_u32 s0, s31, s0
	s_add_i32 s31, s31, s0
	s_cmp_lt_i32 s3, 0
	s_mul_hi_u32 s10, s7, s31
	s_cbranch_scc0 .LBB140_8
; %bb.7:
	s_mul_i32 s0, s24, s40
	s_add_i32 s0, s2, s0
	s_mul_i32 s0, s0, s3
	s_sub_i32 s46, 1, s0
	s_ashr_i32 s11, s11, 31
	s_ashr_i32 s27, s27, 31
	s_cbranch_execz .LBB140_9
	s_branch .LBB140_10
.LBB140_8:
                                        ; implicit-def: $sgpr46
	s_ashr_i32 s11, s11, 31
	s_ashr_i32 s27, s27, 31
.LBB140_9:
	s_mul_i32 s0, s9, s24
	s_add_i32 s0, s0, s6
	s_mul_i32 s0, s0, s3
	s_add_i32 s46, s0, 1
.LBB140_10:
	s_load_dword s0, s[4:5], 0x48
	s_mul_i32 s3, s10, s16
	s_sub_i32 s3, s7, s3
	s_xor_b32 s1, s11, s27
	s_add_i32 s4, s10, 1
	s_waitcnt lgkmcnt(0)
	s_mul_i32 s38, s34, s0
	s_ashr_i32 s39, s38, 31
	s_sub_i32 s0, s3, s16
	s_cmp_ge_u32 s3, s16
	s_cselect_b32 s4, s4, s10
	s_cselect_b32 s0, s0, s3
	s_add_i32 s3, s4, 1
	s_cmp_ge_u32 s0, s16
	s_cselect_b32 s0, s3, s4
	s_xor_b32 s0, s0, s1
	s_sub_i32 s47, s0, s1
	s_add_i32 s0, s35, 7
	s_ashr_i32 s1, s0, 31
	s_lshr_b32 s1, s1, 29
	s_add_i32 s0, s0, s1
	s_lshl_b32 s40, s8, 6
	s_ashr_i32 s7, s0, 3
	s_add_i32 s0, s40, 64
	v_lshrrev_b32_e32 v4, 6, v0
	s_min_i32 s24, s0, s7
	v_or_b32_e32 v12, s40, v4
	v_cmp_gt_i32_e64 s[0:1], s24, v12
	v_mov_b32_e32 v11, 0xff7fffff
	s_mul_i32 s18, s2, s18
	v_ashrrev_i32_e32 v13, 31, v12
	v_lshl_add_u32 v1, v4, 3, s48
	v_mbcnt_lo_u32_b32 v5, -1, 0
	s_and_saveexec_b64 s[42:43], s[0:1]
	s_cbranch_execz .LBB140_20
; %bb.11:
	s_ashr_i32 s19, s18, 31
	s_sub_i32 s50, s47, s25
	s_lshl_b64 s[2:3], s[18:19], 1
	s_add_u32 s2, s12, s2
	s_addc_u32 s3, s13, s3
	s_abs_i32 s19, s26
	v_cvt_f32_u32_e32 v8, s19
	v_bfe_u32 v6, v0, 3, 3
	v_lshlrev_b32_e32 v2, 4, v6
	v_mov_b32_e32 v3, s3
	v_rcp_iflag_f32_e32 v10, v8
	v_add_co_u32_e64 v2, s[2:3], s2, v2
	v_addc_co_u32_e64 v3, s[2:3], 0, v3, s[2:3]
	v_add_co_u32_e64 v7, s[2:3], v2, v7
	v_mul_f32_e32 v2, 0x4f7ffffe, v10
	v_cvt_u32_f32_e32 v2, v2
	s_sub_i32 s4, 0, s19
	v_addc_co_u32_e64 v8, s[2:3], 0, v3, s[2:3]
	v_mul_lo_u32 v3, s4, v2
	s_lshl_b64 s[4:5], s[38:39], 2
	v_mul_hi_u32 v3, v2, v3
	s_add_u32 s4, s36, s4
	v_add_u32_e32 v10, v2, v3
	v_lshlrev_b64 v[2:3], 2, v[12:13]
	s_addc_u32 s5, s37, s5
	v_mov_b32_e32 v11, s5
	v_add_co_u32_e64 v2, s[4:5], s4, v2
	v_addc_co_u32_e64 v3, s[4:5], v11, v3, s[4:5]
	v_lshlrev_b32_e32 v11, 2, v6
	v_lshl_or_b32 v11, v4, 5, v11
	v_add_u32_e32 v15, 0x190, v11
	v_subrev_u32_e32 v11, s35, v6
	v_mbcnt_hi_u32_b32 v18, -1, v5
	v_add_u32_e32 v16, 1, v11
	v_and_b32_e32 v11, 64, v18
	v_cmp_eq_u32_e32 vcc, 0, v9
	s_mov_b32 s51, s17
	v_mul_u32_u24_e32 v9, 48, v9
	v_cmp_neq_f32_e64 s[2:3], s49, 0
	v_lshl_add_u32 v14, v4, 3, s48
	s_mov_b64 s[12:13], 0
	v_mov_b32_e32 v17, 0xff7fffff
	v_add_u32_e32 v19, 64, v11
	v_xor_b32_e32 v20, 4, v18
	v_xor_b32_e32 v21, 2, v18
	;; [unrolled: 1-line block ×3, first 2 shown]
	v_mov_b32_e32 v11, 0xff7fffff
	v_mov_b32_e32 v23, v12
	s_branch .LBB140_14
.LBB140_12:                             ;   in Loop: Header=BB140_14 Depth=1
	s_or_b64 exec, exec, s[44:45]
.LBB140_13:                             ;   in Loop: Header=BB140_14 Depth=1
	s_or_b64 exec, exec, s[10:11]
	v_add_co_u32_e64 v2, s[4:5], 8, v2
	v_add_u32_e32 v23, 2, v23
	v_addc_co_u32_e64 v3, s[4:5], 0, v3, s[4:5]
	v_cmp_le_i32_e64 s[4:5], s24, v23
	v_add_u32_e32 v14, 16, v14
	s_or_b64 s[12:13], s[4:5], s[12:13]
	v_add_u32_e32 v15, 64, v15
	s_andn2_b64 exec, exec, s[12:13]
	s_cbranch_execz .LBB140_19
.LBB140_14:                             ; =>This Inner Loop Header: Depth=1
	s_waitcnt lgkmcnt(0)
	v_sub_u32_e32 v25, 0, v14
	v_max_i32_e32 v25, v14, v25
	v_mul_hi_u32 v26, v25, s31
	v_mul_lo_u32 v27, v26, s16
	v_sub_u32_e32 v25, v25, v27
	v_add_u32_e32 v27, 1, v26
	v_cmp_le_u32_e64 s[4:5], s16, v25
	v_cndmask_b32_e64 v26, v26, v27, s[4:5]
	v_subrev_u32_e32 v27, s16, v25
	v_cndmask_b32_e64 v25, v25, v27, s[4:5]
	v_ashrrev_i32_e32 v24, 31, v14
	v_add_u32_e32 v27, 1, v26
	v_cmp_le_u32_e64 s[4:5], s16, v25
	v_xor_b32_e32 v24, s27, v24
	v_cndmask_b32_e64 v25, v26, v27, s[4:5]
	v_xor_b32_e32 v25, v25, v24
	v_sub_u32_e32 v24, v25, v24
	v_add_u32_e32 v25, s46, v24
	v_sub_u32_e32 v27, 0, v25
	v_ashrrev_i32_e32 v26, 31, v25
	v_max_i32_e32 v25, v25, v27
	v_mul_hi_u32 v27, v25, v10
	v_mul_lo_u32 v27, v27, s19
	v_sub_u32_e32 v25, v25, v27
	v_subrev_u32_e32 v27, s19, v25
	v_cmp_le_u32_e64 s[4:5], s19, v25
	v_cndmask_b32_e64 v25, v25, v27, s[4:5]
	v_subrev_u32_e32 v27, s19, v25
	v_cmp_le_u32_e64 s[4:5], s19, v25
	v_cndmask_b32_e64 v25, v25, v27, s[4:5]
	v_xor_b32_e32 v25, v25, v26
	v_sub_u32_e32 v25, v25, v26
	v_cmp_ne_u32_e64 s[4:5], 0, v25
	v_cmp_ge_i32_e64 s[10:11], s50, v24
	s_and_b64 s[4:5], s[4:5], s[10:11]
	s_and_b64 s[44:45], vcc, s[4:5]
	s_and_saveexec_b64 s[10:11], s[44:45]
	s_cbranch_execz .LBB140_16
; %bb.15:                               ;   in Loop: Header=BB140_14 Depth=1
	ds_write_b32 v15, v17
.LBB140_16:                             ;   in Loop: Header=BB140_14 Depth=1
	s_or_b64 exec, exec, s[10:11]
	s_xor_b64 s[4:5], s[4:5], -1
	s_and_saveexec_b64 s[10:11], s[4:5]
	s_cbranch_execz .LBB140_13
; %bb.17:                               ;   in Loop: Header=BB140_14 Depth=1
	global_load_dword v24, v[2:3], off
	s_waitcnt vmcnt(0)
	v_mad_i64_i32 v[24:25], s[4:5], v24, s51, 0
	v_lshlrev_b64 v[24:25], 1, v[24:25]
	v_add_co_u32_e64 v24, s[4:5], v7, v24
	v_addc_co_u32_e64 v25, s[4:5], v8, v25, s[4:5]
	global_load_ushort v36, v[24:25], off
	global_load_ushort v37, v[24:25], off offset:128
	global_load_ushort v38, v[24:25], off offset:256
	;; [unrolled: 1-line block ×23, first 2 shown]
	ds_read_b128 v[24:27], v9
	ds_read_b128 v[28:31], v9 offset:16
	ds_read_b128 v[32:35], v9 offset:32
	v_cmp_lt_i32_e64 s[4:5], v20, v19
	v_cndmask_b32_e64 v60, v18, v20, s[4:5]
	s_waitcnt lgkmcnt(2)
	v_lshlrev_b32_e32 v61, 16, v24
	v_and_b32_e32 v24, 0xffff0000, v24
	v_lshlrev_b32_e32 v62, 16, v25
	v_and_b32_e32 v25, 0xffff0000, v25
	v_lshlrev_b32_e32 v63, 16, v26
	v_and_b32_e32 v26, 0xffff0000, v26
	v_lshlrev_b32_e32 v64, 16, v27
	v_and_b32_e32 v27, 0xffff0000, v27
	s_waitcnt lgkmcnt(1)
	v_lshlrev_b32_e32 v65, 16, v28
	v_and_b32_e32 v28, 0xffff0000, v28
	v_lshlrev_b32_e32 v66, 16, v29
	v_and_b32_e32 v29, 0xffff0000, v29
	v_lshlrev_b32_e32 v67, 16, v30
	v_and_b32_e32 v30, 0xffff0000, v30
	v_lshlrev_b32_e32 v68, 16, v31
	v_and_b32_e32 v31, 0xffff0000, v31
	;; [unrolled: 9-line block ×3, first 2 shown]
	v_lshlrev_b32_e32 v60, 2, v60
	v_cmp_lt_i32_e64 s[4:5], v21, v19
	s_waitcnt vmcnt(23)
	v_lshlrev_b32_e32 v36, 16, v36
	s_waitcnt vmcnt(22)
	v_lshlrev_b32_e32 v37, 16, v37
	v_mul_f32_e32 v24, v24, v37
	s_waitcnt vmcnt(21)
	v_lshlrev_b32_e32 v38, 16, v38
	v_fmac_f32_e32 v24, v61, v36
	s_waitcnt vmcnt(20)
	v_lshlrev_b32_e32 v39, 16, v39
	v_fmac_f32_e32 v24, v62, v38
	;; [unrolled: 3-line block ×21, first 2 shown]
	v_fmac_f32_e32 v24, v72, v58
	s_waitcnt vmcnt(0)
	v_lshlrev_b32_e32 v25, 16, v59
	v_fmac_f32_e32 v24, v35, v25
	ds_bpermute_b32 v25, v60, v24
	v_cndmask_b32_e64 v26, v18, v21, s[4:5]
	v_lshlrev_b32_e32 v26, 2, v26
	v_cmp_lt_i32_e64 s[4:5], v22, v19
	s_waitcnt lgkmcnt(0)
	v_add_f32_e32 v24, v24, v25
	ds_bpermute_b32 v25, v26, v24
	v_cndmask_b32_e64 v26, v18, v22, s[4:5]
	v_lshlrev_b32_e32 v26, 2, v26
	s_waitcnt lgkmcnt(0)
	v_add_f32_e32 v24, v24, v25
	ds_bpermute_b32 v25, v26, v24
	s_and_saveexec_b64 s[44:45], vcc
	s_cbranch_execz .LBB140_12
; %bb.18:                               ;   in Loop: Header=BB140_14 Depth=1
	v_add_u32_e32 v26, v16, v14
	v_cvt_f32_i32_e32 v26, v26
	s_waitcnt lgkmcnt(0)
	v_add_f32_e32 v24, v24, v25
	v_add_u32_e32 v27, v6, v14
	v_cmp_gt_i32_e64 s[4:5], s35, v27
	v_mul_f32_e32 v25, s49, v26
	v_cndmask_b32_e64 v25, 0, v25, s[2:3]
	v_fmac_f32_e32 v25, s41, v24
	v_cndmask_b32_e64 v24, 0, v25, s[4:5]
	ds_write_b32 v15, v24
	v_max_f32_e32 v24, v11, v11
	v_max_f32_e32 v24, v24, v25
	v_cndmask_b32_e64 v11, v11, v24, s[4:5]
	s_branch .LBB140_12
.LBB140_19:
	s_or_b64 exec, exec, s[12:13]
.LBB140_20:
	s_or_b64 exec, exec, s[42:43]
	v_mbcnt_hi_u32_b32 v2, -1, v5
	v_and_b32_e32 v3, 64, v2
	v_add_u32_e32 v3, 64, v3
	v_xor_b32_e32 v5, 32, v2
	v_cmp_lt_i32_e32 vcc, v5, v3
	v_cndmask_b32_e32 v5, v2, v5, vcc
	v_lshlrev_b32_e32 v7, 2, v5
	ds_bpermute_b32 v5, v7, v11
	v_xor_b32_e32 v8, 16, v2
	v_max_f32_e32 v6, v11, v11
	v_cmp_lt_i32_e32 vcc, v8, v3
	v_and_b32_e32 v11, 63, v0
	s_waitcnt lgkmcnt(0)
	v_max_f32_e32 v5, v5, v5
	v_max_f32_e32 v5, v6, v5
	v_cndmask_b32_e32 v6, v2, v8, vcc
	v_lshlrev_b32_e32 v9, 2, v6
	ds_bpermute_b32 v6, v9, v5
	v_xor_b32_e32 v8, 8, v2
	v_cmp_lt_i32_e32 vcc, v8, v3
	s_waitcnt lgkmcnt(0)
	v_max_f32_e32 v6, v6, v6
	v_max_f32_e32 v5, v5, v6
	v_cndmask_b32_e32 v6, v2, v8, vcc
	v_lshlrev_b32_e32 v10, 2, v6
	ds_bpermute_b32 v8, v10, v5
	v_cmp_eq_u32_e32 vcc, 0, v11
	v_lshlrev_b32_e32 v6, 2, v4
	s_and_saveexec_b64 s[2:3], vcc
	s_cbranch_execz .LBB140_22
; %bb.21:
	s_waitcnt lgkmcnt(0)
	v_max_f32_e32 v8, v8, v8
	v_max_f32_e32 v5, v5, v5
	;; [unrolled: 1-line block ×3, first 2 shown]
	ds_write_b32 v6, v5 offset:384
.LBB140_22:
	s_or_b64 exec, exec, s[2:3]
	v_cmp_gt_u32_e64 s[2:3], 2, v11
	v_mov_b32_e32 v5, 0xff7fffff
	s_waitcnt lgkmcnt(0)
	v_lshlrev_b32_e32 v8, 2, v11
	s_barrier
	s_and_saveexec_b64 s[4:5], s[2:3]
	s_cbranch_execz .LBB140_24
; %bb.23:
	ds_read_b32 v5, v8 offset:384
.LBB140_24:
	s_or_b64 exec, exec, s[4:5]
	v_xor_b32_e32 v14, 1, v2
	v_cmp_lt_i32_e64 s[4:5], v14, v3
	v_cndmask_b32_e64 v14, v2, v14, s[4:5]
	v_lshlrev_b32_e32 v14, 2, v14
	s_waitcnt lgkmcnt(0)
	ds_bpermute_b32 v15, v14, v5
	v_max_f32_e32 v5, v5, v5
	s_sub_i32 s4, s24, s40
	s_lshl_b32 s4, s4, 3
	s_add_i32 s4, s4, s48
	s_waitcnt lgkmcnt(0)
	v_max_f32_e32 v15, v15, v15
	v_max_f32_e32 v5, v5, v15
	v_lshlrev_b32_e32 v15, 2, v2
	v_and_b32_e32 v15, 0x100, v15
	ds_bpermute_b32 v5, v15, v5
	s_min_i32 s42, s4, s35
	s_sub_i32 s19, s42, s48
	v_cmp_gt_i32_e64 s[4:5], s19, v0
	v_mov_b32_e32 v16, 0
	s_and_saveexec_b64 s[12:13], s[4:5]
	s_cbranch_execz .LBB140_28
; %bb.25:
	v_mov_b32_e32 v16, 0x190
	v_lshl_add_u32 v17, v0, 2, v16
	s_mov_b64 s[40:41], 0
	v_mov_b32_e32 v16, 0
	v_mov_b32_e32 v18, v0
.LBB140_26:                             ; =>This Inner Loop Header: Depth=1
	ds_read_b32 v19, v17
	v_add_u32_e32 v18, 0x80, v18
	v_cmp_le_i32_e64 s[10:11], s19, v18
	s_or_b64 s[40:41], s[10:11], s[40:41]
	s_waitcnt lgkmcnt(0)
	v_sub_f32_e32 v19, v19, v5
	v_mul_f32_e32 v19, 0x3fb8aa3b, v19
	v_exp_f32_e32 v19, v19
	ds_write_b32 v17, v19
	v_add_f32_e32 v16, v16, v19
	v_add_u32_e32 v17, 0x200, v17
	s_andn2_b64 exec, exec, s[40:41]
	s_cbranch_execnz .LBB140_26
; %bb.27:
	s_or_b64 exec, exec, s[40:41]
.LBB140_28:
	s_or_b64 exec, exec, s[12:13]
	ds_bpermute_b32 v7, v7, v16
	s_waitcnt lgkmcnt(0)
	v_add_f32_e32 v7, v16, v7
	ds_bpermute_b32 v9, v9, v7
	s_waitcnt lgkmcnt(0)
	v_add_f32_e32 v7, v7, v9
	ds_bpermute_b32 v9, v10, v7
	v_xor_b32_e32 v10, 4, v2
	v_cmp_lt_i32_e64 s[10:11], v10, v3
	v_cndmask_b32_e64 v10, v2, v10, s[10:11]
	v_lshlrev_b32_e32 v10, 2, v10
	s_waitcnt lgkmcnt(0)
	v_add_f32_e32 v7, v7, v9
	ds_bpermute_b32 v9, v10, v7
	v_xor_b32_e32 v10, 2, v2
	v_cmp_lt_i32_e64 s[10:11], v10, v3
	v_cndmask_b32_e64 v2, v2, v10, s[10:11]
	v_lshlrev_b32_e32 v2, 2, v2
	s_waitcnt lgkmcnt(0)
	v_add_f32_e32 v3, v7, v9
	ds_bpermute_b32 v2, v2, v3
	s_waitcnt lgkmcnt(0)
	v_add_f32_e32 v2, v3, v2
	ds_bpermute_b32 v3, v14, v2
	s_waitcnt lgkmcnt(0)
	v_add_f32_e32 v2, v2, v3
	s_and_saveexec_b64 s[10:11], vcc
	s_cbranch_execz .LBB140_30
; %bb.29:
	ds_write_b32 v6, v2 offset:392
.LBB140_30:
	s_or_b64 exec, exec, s[10:11]
	s_waitcnt lgkmcnt(0)
	s_barrier
	s_and_saveexec_b64 s[10:11], s[2:3]
	s_cbranch_execz .LBB140_32
; %bb.31:
	ds_read_b32 v2, v8 offset:392
.LBB140_32:
	s_or_b64 exec, exec, s[10:11]
	s_waitcnt lgkmcnt(0)
	ds_bpermute_b32 v3, v14, v2
	s_waitcnt lgkmcnt(0)
	v_add_f32_e32 v2, v2, v3
	ds_bpermute_b32 v6, v15, v2
	s_and_saveexec_b64 s[2:3], s[4:5]
	s_cbranch_execz .LBB140_45
; %bb.33:
	s_waitcnt lgkmcnt(0)
	v_add_f32_e32 v2, 0x358637bd, v6
	v_div_scale_f32 v3, s[4:5], v2, v2, 1.0
	v_rcp_f32_e32 v7, v3
	v_div_scale_f32 v8, vcc, 1.0, v2, 1.0
	s_movk_i32 s4, 0x7f
	v_fma_f32 v9, -v3, v7, 1.0
	v_fmac_f32_e32 v7, v9, v7
	v_mul_f32_e32 v9, v8, v7
	v_fma_f32 v10, -v3, v9, v8
	v_fmac_f32_e32 v9, v10, v7
	v_fma_f32 v3, -v3, v9, v8
	v_div_fmas_f32 v3, v3, v7, v9
	v_div_fixup_f32 v2, v3, v2, 1.0
	v_xad_u32 v3, v0, -1, s42
	v_subrev_u32_e32 v7, s48, v3
	v_cmp_lt_u32_e32 vcc, s4, v7
	s_mov_b64 s[10:11], -1
	v_mov_b32_e32 v3, v0
	s_and_saveexec_b64 s[4:5], vcc
	s_cbranch_execz .LBB140_42
; %bb.34:
	v_lshrrev_b32_e32 v7, 7, v7
	v_add_u32_e32 v9, -1, v7
	v_lshrrev_b32_e32 v8, 1, v9
	v_mov_b32_e32 v3, v2
	v_add_u32_e32 v8, 1, v8
	v_cmp_lt_u32_e32 vcc, 13, v9
	v_mov_b32_e32 v14, 0
	s_and_saveexec_b64 s[10:11], vcc
	s_cbranch_execz .LBB140_38
; %bb.35:
	v_mov_b32_e32 v10, 0x190
	v_and_b32_e32 v9, -8, v8
	v_lshl_add_u32 v10, v0, 2, v10
	s_mov_b32 s40, 0
	s_mov_b64 s[12:13], 0
.LBB140_36:                             ; =>This Inner Loop Header: Depth=1
	ds_read2st64_b32 v[14:15], v10 offset1:2
	ds_read2st64_b32 v[16:17], v10 offset0:4 offset1:6
	ds_read2st64_b32 v[18:19], v10 offset0:8 offset1:10
	;; [unrolled: 1-line block ×3, first 2 shown]
	v_add_u32_e32 v9, -8, v9
	s_waitcnt lgkmcnt(3)
	v_pk_mul_f32 v[14:15], v[2:3], v[14:15]
	s_waitcnt lgkmcnt(2)
	v_pk_mul_f32 v[16:17], v[2:3], v[16:17]
	ds_write2st64_b32 v10, v14, v15 offset1:2
	ds_write2st64_b32 v10, v16, v17 offset0:4 offset1:6
	ds_read2st64_b32 v[16:17], v10 offset0:16 offset1:18
	s_waitcnt lgkmcnt(4)
	v_pk_mul_f32 v[14:15], v[2:3], v[18:19]
	ds_write2st64_b32 v10, v14, v15 offset0:8 offset1:10
	s_waitcnt lgkmcnt(4)
	v_pk_mul_f32 v[14:15], v[2:3], v[20:21]
	ds_write2st64_b32 v10, v14, v15 offset0:12 offset1:14
	ds_read2st64_b32 v[14:15], v10 offset0:20 offset1:22
	s_waitcnt lgkmcnt(3)
	v_pk_mul_f32 v[16:17], v[2:3], v[16:17]
	ds_read2st64_b32 v[18:19], v10 offset0:24 offset1:26
	ds_write2st64_b32 v10, v16, v17 offset0:16 offset1:18
	ds_read2st64_b32 v[16:17], v10 offset0:28 offset1:30
	s_waitcnt lgkmcnt(3)
	v_pk_mul_f32 v[14:15], v[2:3], v[14:15]
	ds_write2st64_b32 v10, v14, v15 offset0:20 offset1:22
	s_waitcnt lgkmcnt(3)
	v_pk_mul_f32 v[14:15], v[2:3], v[18:19]
	ds_write2st64_b32 v10, v14, v15 offset0:24 offset1:26
	s_waitcnt lgkmcnt(2)
	v_pk_mul_f32 v[14:15], v[2:3], v[16:17]
	s_add_i32 s40, s40, 16
	v_cmp_eq_u32_e32 vcc, 0, v9
	ds_write2st64_b32 v10, v14, v15 offset0:28 offset1:30
	v_add_u32_e32 v10, 0x2000, v10
	s_or_b64 s[12:13], vcc, s[12:13]
	v_mov_b32_e32 v14, s40
	s_andn2_b64 exec, exec, s[12:13]
	s_cbranch_execnz .LBB140_36
; %bb.37:
	s_or_b64 exec, exec, s[12:13]
.LBB140_38:
	s_or_b64 exec, exec, s[10:11]
	v_and_b32_e32 v8, 7, v8
	v_cmp_ne_u32_e32 vcc, 0, v8
	s_and_saveexec_b64 s[10:11], vcc
	s_cbranch_execz .LBB140_41
; %bb.39:
	v_lshlrev_b32_e32 v9, 9, v14
	v_lshlrev_b32_e32 v10, 2, v0
	s_movk_i32 s12, 0x190
	v_add3_u32 v9, v9, v10, s12
	s_mov_b64 s[12:13], 0
.LBB140_40:                             ; =>This Inner Loop Header: Depth=1
	ds_read2st64_b32 v[14:15], v9 offset1:2
	v_add_u32_e32 v8, -1, v8
	v_cmp_eq_u32_e32 vcc, 0, v8
	s_or_b64 s[12:13], vcc, s[12:13]
	s_waitcnt lgkmcnt(0)
	v_pk_mul_f32 v[14:15], v[2:3], v[14:15]
	ds_write2st64_b32 v9, v14, v15 offset1:2
	v_add_u32_e32 v9, 0x400, v9
	s_andn2_b64 exec, exec, s[12:13]
	s_cbranch_execnz .LBB140_40
.LBB140_41:
	s_or_b64 exec, exec, s[10:11]
	v_add_u32_e32 v7, 1, v7
	v_and_b32_e32 v8, 0x3fffffe, v7
	v_cmp_ne_u32_e32 vcc, v7, v8
	v_lshl_add_u32 v3, v8, 7, v0
	s_orn2_b64 s[10:11], vcc, exec
.LBB140_42:
	s_or_b64 exec, exec, s[4:5]
	s_and_b64 exec, exec, s[10:11]
	s_cbranch_execz .LBB140_45
; %bb.43:
	v_mov_b32_e32 v7, 0x190
	v_lshl_add_u32 v7, v3, 2, v7
	s_mov_b64 s[4:5], 0
.LBB140_44:                             ; =>This Inner Loop Header: Depth=1
	ds_read_b32 v8, v7
	v_add_u32_e32 v3, 0x80, v3
	v_cmp_le_i32_e32 vcc, s19, v3
	s_or_b64 s[4:5], vcc, s[4:5]
	s_waitcnt lgkmcnt(0)
	v_mul_f32_e32 v8, v2, v8
	ds_write_b32 v7, v8
	v_add_u32_e32 v7, 0x200, v7
	s_andn2_b64 exec, exec, s[4:5]
	s_cbranch_execnz .LBB140_44
.LBB140_45:
	s_or_b64 exec, exec, s[2:3]
	s_mul_i32 s2, s33, s34
	v_cmp_eq_u32_e32 vcc, 0, v0
	s_mul_i32 s2, s2, s9
	s_waitcnt lgkmcnt(0)
	s_barrier
	s_and_saveexec_b64 s[4:5], vcc
	s_cbranch_execz .LBB140_47
; %bb.46:
	s_ashr_i32 s3, s2, 31
	s_lshl_b64 s[10:11], s[2:3], 2
	s_add_u32 s3, s22, s10
	s_mul_i32 s12, s33, s6
	s_addc_u32 s9, s23, s11
	s_ashr_i32 s13, s12, 31
	s_lshl_b64 s[12:13], s[12:13], 2
	s_add_u32 s3, s3, s12
	s_addc_u32 s6, s9, s13
	s_ashr_i32 s9, s8, 31
	s_lshl_b64 s[22:23], s[8:9], 2
	s_add_u32 s40, s3, s22
	s_addc_u32 s41, s6, s23
	s_add_u32 s3, s20, s10
	s_addc_u32 s6, s21, s11
	;; [unrolled: 2-line block ×3, first 2 shown]
	s_add_u32 s10, s3, s22
	v_mov_b32_e32 v2, 0
	s_addc_u32 s11, s6, s23
	global_store_dword v2, v5, s[40:41]
	global_store_dword v2, v6, s[10:11]
.LBB140_47:
	s_or_b64 exec, exec, s[4:5]
	v_mov_b32_e32 v10, 0
	v_mov_b32_e32 v15, v10
	;; [unrolled: 1-line block ×3, first 2 shown]
	s_and_saveexec_b64 s[4:5], s[0:1]
	s_cbranch_execz .LBB140_187
; %bb.48:
	s_ashr_i32 s19, s18, 31
	s_sub_i32 s3, s47, s25
	s_lshl_b64 s[0:1], s[18:19], 1
	s_add_u32 s0, s14, s0
	s_addc_u32 s1, s15, s1
	s_abs_i32 s9, s26
	v_cvt_f32_u32_e32 v2, s9
	v_lshlrev_b32_e32 v3, 4, v11
	s_sub_i32 s6, 0, s9
	s_add_i32 s15, s7, -1
	v_rcp_iflag_f32_e32 v2, v2
	v_mov_b32_e32 v5, s1
	v_add_co_u32_e32 v19, vcc, s0, v3
	v_mul_f32_e32 v2, 0x4f7ffffe, v2
	v_cvt_u32_f32_e32 v2, v2
	s_lshl_b64 s[0:1], s[38:39], 2
	s_add_u32 s0, s36, s0
	v_addc_co_u32_e32 v20, vcc, 0, v5, vcc
	v_mul_lo_u32 v6, s6, v2
	v_mul_hi_u32 v6, v2, v6
	v_add_u32_e32 v18, v2, v6
	v_lshlrev_b64 v[2:3], 2, v[12:13]
	s_addc_u32 s1, s37, s1
	v_mov_b32_e32 v5, s1
	v_add_co_u32_e32 v16, vcc, s0, v2
	v_mov_b32_e32 v2, 0x190
	s_mov_b32 s14, s17
	v_addc_co_u32_e32 v17, vcc, v5, v3, vcc
	v_lshl_add_u32 v13, v4, 5, v2
	s_mov_b64 s[6:7], 0
	v_mov_b32_e32 v21, 0
	s_mov_b32 s17, 0x7f800000
	s_movk_i32 s18, 0x7fff
	v_mov_b32_e32 v14, 0
	v_mov_b32_e32 v15, 0
	v_mov_b32_e32 v10, 0
	s_branch .LBB140_51
.LBB140_49:                             ;   in Loop: Header=BB140_51 Depth=1
	s_or_b64 exec, exec, s[0:1]
	v_and_b32_e32 v35, 0xffff0000, v46
	v_and_b32_e32 v34, 0xffff0000, v44
	;; [unrolled: 1-line block ×8, first 2 shown]
	v_pk_add_f32 v[34:35], v[36:37], v[34:35]
	v_pk_add_f32 v[30:31], v[32:33], v[30:31]
	v_add_f32_e32 v32, v34, v35
	v_add_f32_e32 v30, v32, v30
	;; [unrolled: 1-line block ×4, first 2 shown]
	v_and_b32_e32 v31, 0xffff0000, v27
	v_and_b32_e32 v30, 0xffff0000, v25
	;; [unrolled: 1-line block ×8, first 2 shown]
	v_pk_add_f32 v[8:9], v[8:9], v[26:27]
	v_pk_add_f32 v[22:23], v[24:25], v[30:31]
	v_add_f32_e32 v8, v8, v9
	v_add_f32_e32 v8, v8, v22
	;; [unrolled: 1-line block ×3, first 2 shown]
	v_and_b32_e32 v23, 0xffff0000, v28
	v_and_b32_e32 v22, 0xffff0000, v7
	;; [unrolled: 1-line block ×4, first 2 shown]
	v_add_f32_e32 v14, v14, v8
	v_and_b32_e32 v9, 0xffff0000, v6
	v_and_b32_e32 v8, 0xffff0000, v29
	;; [unrolled: 1-line block ×4, first 2 shown]
	v_pk_add_f32 v[2:3], v[2:3], v[22:23]
	v_pk_add_f32 v[4:5], v[4:5], v[8:9]
	v_add_f32_e32 v2, v2, v3
	v_add_f32_e32 v2, v2, v4
	;; [unrolled: 1-line block ×4, first 2 shown]
.LBB140_50:                             ;   in Loop: Header=BB140_51 Depth=1
	s_or_b64 exec, exec, s[10:11]
	v_add_co_u32_e32 v16, vcc, 8, v16
	v_add_u32_e32 v12, 2, v12
	v_addc_co_u32_e32 v17, vcc, 0, v17, vcc
	v_cmp_le_i32_e32 vcc, s24, v12
	v_add_u32_e32 v1, 16, v1
	s_or_b64 s[6:7], vcc, s[6:7]
	v_add_u32_e32 v13, 64, v13
	s_andn2_b64 exec, exec, s[6:7]
	s_cbranch_execz .LBB140_186
.LBB140_51:                             ; =>This Inner Loop Header: Depth=1
	v_sub_u32_e32 v3, 0, v1
	v_max_i32_e32 v3, v1, v3
	v_mul_hi_u32 v4, v3, s31
	v_mul_lo_u32 v5, v4, s16
	v_sub_u32_e32 v3, v3, v5
	v_add_u32_e32 v5, 1, v4
	v_cmp_le_u32_e32 vcc, s16, v3
	v_cndmask_b32_e32 v4, v4, v5, vcc
	v_subrev_u32_e32 v5, s16, v3
	v_cndmask_b32_e32 v3, v3, v5, vcc
	v_ashrrev_i32_e32 v2, 31, v1
	v_add_u32_e32 v5, 1, v4
	v_cmp_le_u32_e32 vcc, s16, v3
	v_xor_b32_e32 v2, s27, v2
	v_cndmask_b32_e32 v3, v4, v5, vcc
	v_xor_b32_e32 v3, v3, v2
	v_sub_u32_e32 v2, v3, v2
	v_add_u32_e32 v3, s46, v2
	v_sub_u32_e32 v5, 0, v3
	v_ashrrev_i32_e32 v4, 31, v3
	v_max_i32_e32 v3, v3, v5
	v_mul_hi_u32 v5, v3, v18
	v_mul_lo_u32 v5, v5, s9
	v_sub_u32_e32 v3, v3, v5
	v_subrev_u32_e32 v5, s9, v3
	v_cmp_le_u32_e32 vcc, s9, v3
	v_cndmask_b32_e32 v3, v3, v5, vcc
	v_subrev_u32_e32 v5, s9, v3
	v_cmp_le_u32_e32 vcc, s9, v3
	v_cndmask_b32_e32 v3, v3, v5, vcc
	v_xor_b32_e32 v3, v3, v4
	v_sub_u32_e32 v3, v3, v4
	v_cmp_eq_u32_e32 vcc, 0, v3
	v_cmp_lt_i32_e64 s[0:1], s3, v2
	s_or_b64 s[0:1], vcc, s[0:1]
	s_and_saveexec_b64 s[10:11], s[0:1]
	s_cbranch_execz .LBB140_50
; %bb.52:                               ;   in Loop: Header=BB140_51 Depth=1
	global_load_dword v28, v[16:17], off
	ds_read2_b64 v[6:9], v13 offset1:1
	ds_read2_b64 v[2:5], v13 offset0:2 offset1:3
                                        ; implicit-def: $vgpr35
	s_waitcnt lgkmcnt(1)
	v_and_b32_e32 v22, 0x7f800000, v6
	v_cmp_ne_u32_e32 vcc, s17, v22
	s_and_saveexec_b64 s[0:1], vcc
	s_xor_b64 s[0:1], exec, s[0:1]
; %bb.53:                               ;   in Loop: Header=BB140_51 Depth=1
	v_bfe_u32 v22, v6, 16, 1
	v_add3_u32 v35, v6, v22, s18
; %bb.54:                               ;   in Loop: Header=BB140_51 Depth=1
	s_andn2_saveexec_b64 s[0:1], s[0:1]
; %bb.55:                               ;   in Loop: Header=BB140_51 Depth=1
	v_or_b32_e32 v22, 0x10000, v6
	v_cmp_eq_u32_sdwa vcc, v6, v21 src0_sel:WORD_0 src1_sel:DWORD
	v_cndmask_b32_e32 v35, v22, v6, vcc
; %bb.56:                               ;   in Loop: Header=BB140_51 Depth=1
	s_or_b64 exec, exec, s[0:1]
	v_and_b32_e32 v6, 0x7f800000, v7
	v_cmp_ne_u32_e32 vcc, s17, v6
                                        ; implicit-def: $vgpr36
	s_and_saveexec_b64 s[0:1], vcc
	s_xor_b64 s[0:1], exec, s[0:1]
; %bb.57:                               ;   in Loop: Header=BB140_51 Depth=1
	v_bfe_u32 v6, v7, 16, 1
	v_add3_u32 v36, v7, v6, s18
; %bb.58:                               ;   in Loop: Header=BB140_51 Depth=1
	s_andn2_saveexec_b64 s[0:1], s[0:1]
; %bb.59:                               ;   in Loop: Header=BB140_51 Depth=1
	v_or_b32_e32 v6, 0x10000, v7
	v_cmp_eq_u32_sdwa vcc, v7, v21 src0_sel:WORD_0 src1_sel:DWORD
	v_cndmask_b32_e32 v36, v6, v7, vcc
; %bb.60:                               ;   in Loop: Header=BB140_51 Depth=1
	s_or_b64 exec, exec, s[0:1]
	v_and_b32_e32 v6, 0x7f800000, v8
	v_cmp_ne_u32_e32 vcc, s17, v6
                                        ; implicit-def: $vgpr22
	s_and_saveexec_b64 s[0:1], vcc
	s_xor_b64 s[0:1], exec, s[0:1]
; %bb.61:                               ;   in Loop: Header=BB140_51 Depth=1
	v_bfe_u32 v6, v8, 16, 1
	v_add3_u32 v22, v8, v6, s18
; %bb.62:                               ;   in Loop: Header=BB140_51 Depth=1
	s_andn2_saveexec_b64 s[0:1], s[0:1]
; %bb.63:                               ;   in Loop: Header=BB140_51 Depth=1
	v_or_b32_e32 v6, 0x10000, v8
	v_cmp_eq_u32_sdwa vcc, v8, v21 src0_sel:WORD_0 src1_sel:DWORD
	v_cndmask_b32_e32 v22, v6, v8, vcc
; %bb.64:                               ;   in Loop: Header=BB140_51 Depth=1
	s_or_b64 exec, exec, s[0:1]
	v_and_b32_e32 v6, 0x7f800000, v9
	v_cmp_ne_u32_e32 vcc, s17, v6
                                        ; implicit-def: $vgpr23
	s_and_saveexec_b64 s[0:1], vcc
	s_xor_b64 s[0:1], exec, s[0:1]
; %bb.65:                               ;   in Loop: Header=BB140_51 Depth=1
	v_bfe_u32 v6, v9, 16, 1
	v_add3_u32 v23, v9, v6, s18
                                        ; implicit-def: $vgpr6_vgpr7_vgpr8_vgpr9
; %bb.66:                               ;   in Loop: Header=BB140_51 Depth=1
	s_andn2_saveexec_b64 s[0:1], s[0:1]
; %bb.67:                               ;   in Loop: Header=BB140_51 Depth=1
	v_or_b32_e32 v6, 0x10000, v9
	v_cmp_eq_u32_sdwa vcc, v9, v21 src0_sel:WORD_0 src1_sel:DWORD
	v_cndmask_b32_e32 v23, v6, v9, vcc
; %bb.68:                               ;   in Loop: Header=BB140_51 Depth=1
	s_or_b64 exec, exec, s[0:1]
	s_waitcnt lgkmcnt(0)
	v_and_b32_e32 v6, 0x7f800000, v2
	v_cmp_ne_u32_e32 vcc, s17, v6
                                        ; implicit-def: $vgpr24
	s_and_saveexec_b64 s[0:1], vcc
	s_xor_b64 s[0:1], exec, s[0:1]
; %bb.69:                               ;   in Loop: Header=BB140_51 Depth=1
	v_bfe_u32 v6, v2, 16, 1
	v_add3_u32 v24, v2, v6, s18
; %bb.70:                               ;   in Loop: Header=BB140_51 Depth=1
	s_andn2_saveexec_b64 s[0:1], s[0:1]
; %bb.71:                               ;   in Loop: Header=BB140_51 Depth=1
	v_or_b32_e32 v6, 0x10000, v2
	v_cmp_eq_u32_sdwa vcc, v2, v21 src0_sel:WORD_0 src1_sel:DWORD
	v_cndmask_b32_e32 v24, v6, v2, vcc
; %bb.72:                               ;   in Loop: Header=BB140_51 Depth=1
	s_or_b64 exec, exec, s[0:1]
	v_and_b32_e32 v2, 0x7f800000, v3
	v_cmp_ne_u32_e32 vcc, s17, v2
                                        ; implicit-def: $vgpr25
	s_and_saveexec_b64 s[0:1], vcc
	s_xor_b64 s[0:1], exec, s[0:1]
; %bb.73:                               ;   in Loop: Header=BB140_51 Depth=1
	v_bfe_u32 v2, v3, 16, 1
	v_add3_u32 v25, v3, v2, s18
; %bb.74:                               ;   in Loop: Header=BB140_51 Depth=1
	s_andn2_saveexec_b64 s[0:1], s[0:1]
; %bb.75:                               ;   in Loop: Header=BB140_51 Depth=1
	v_or_b32_e32 v2, 0x10000, v3
	v_cmp_eq_u32_sdwa vcc, v3, v21 src0_sel:WORD_0 src1_sel:DWORD
	v_cndmask_b32_e32 v25, v2, v3, vcc
; %bb.76:                               ;   in Loop: Header=BB140_51 Depth=1
	s_or_b64 exec, exec, s[0:1]
	v_and_b32_e32 v2, 0x7f800000, v4
	v_cmp_ne_u32_e32 vcc, s17, v2
                                        ; implicit-def: $vgpr26
	s_and_saveexec_b64 s[0:1], vcc
	s_xor_b64 s[0:1], exec, s[0:1]
; %bb.77:                               ;   in Loop: Header=BB140_51 Depth=1
	v_bfe_u32 v2, v4, 16, 1
	v_add3_u32 v26, v4, v2, s18
; %bb.78:                               ;   in Loop: Header=BB140_51 Depth=1
	s_andn2_saveexec_b64 s[0:1], s[0:1]
; %bb.79:                               ;   in Loop: Header=BB140_51 Depth=1
	v_or_b32_e32 v2, 0x10000, v4
	v_cmp_eq_u32_sdwa vcc, v4, v21 src0_sel:WORD_0 src1_sel:DWORD
	v_cndmask_b32_e32 v26, v2, v4, vcc
; %bb.80:                               ;   in Loop: Header=BB140_51 Depth=1
	s_or_b64 exec, exec, s[0:1]
	v_and_b32_e32 v2, 0x7f800000, v5
	v_cmp_ne_u32_e32 vcc, s17, v2
                                        ; implicit-def: $vgpr27
	s_and_saveexec_b64 s[0:1], vcc
	s_xor_b64 s[0:1], exec, s[0:1]
; %bb.81:                               ;   in Loop: Header=BB140_51 Depth=1
	v_bfe_u32 v2, v5, 16, 1
	v_add3_u32 v27, v5, v2, s18
                                        ; implicit-def: $vgpr2_vgpr3_vgpr4_vgpr5
; %bb.82:                               ;   in Loop: Header=BB140_51 Depth=1
	s_andn2_saveexec_b64 s[0:1], s[0:1]
; %bb.83:                               ;   in Loop: Header=BB140_51 Depth=1
	v_or_b32_e32 v2, 0x10000, v5
	v_cmp_eq_u32_sdwa vcc, v5, v21 src0_sel:WORD_0 src1_sel:DWORD
	v_cndmask_b32_e32 v27, v2, v5, vcc
; %bb.84:                               ;   in Loop: Header=BB140_51 Depth=1
	s_or_b64 exec, exec, s[0:1]
	s_waitcnt vmcnt(0)
	v_mad_i64_i32 v[2:3], s[0:1], v28, s14, 0
	v_lshlrev_b64 v[2:3], 1, v[2:3]
	v_add_co_u32_e32 v6, vcc, v19, v2
	v_addc_co_u32_e32 v7, vcc, v20, v3, vcc
	global_load_dwordx4 v[2:5], v[6:7], off
	v_cmp_eq_u32_e32 vcc, s15, v12
	v_add_u32_e32 v34, 1, v1
	v_add_u32_e32 v33, 2, v1
	;; [unrolled: 1-line block ×7, first 2 shown]
	s_waitcnt vmcnt(0)
	v_lshrrev_b32_e32 v9, 16, v2
	v_lshrrev_b32_e32 v39, 16, v3
	;; [unrolled: 1-line block ×4, first 2 shown]
	s_and_saveexec_b64 s[12:13], vcc
	s_cbranch_execz .LBB140_86
; %bb.85:                               ;   in Loop: Header=BB140_51 Depth=1
	v_cmp_gt_i32_e64 s[0:1], s35, v1
	v_cndmask_b32_e64 v2, 0, v2, s[0:1]
	v_cmp_gt_i32_e64 s[0:1], s35, v34
	v_cndmask_b32_e64 v9, 0, v9, s[0:1]
	;; [unrolled: 2-line block ×8, first 2 shown]
.LBB140_86:                             ;   in Loop: Header=BB140_51 Depth=1
	s_or_b64 exec, exec, s[12:13]
	v_and_b32_e32 v35, 0xffff0000, v35
	v_lshlrev_b32_e32 v2, 16, v2
	v_mul_f32_e32 v2, v35, v2
	v_and_b32_e32 v8, 0x7f800000, v2
	v_cmp_ne_u32_e64 s[0:1], s17, v8
                                        ; implicit-def: $vgpr8
	s_and_saveexec_b64 s[12:13], s[0:1]
	s_xor_b64 s[0:1], exec, s[12:13]
; %bb.87:                               ;   in Loop: Header=BB140_51 Depth=1
	v_bfe_u32 v8, v2, 16, 1
	v_add3_u32 v8, v2, v8, s18
                                        ; implicit-def: $vgpr2
; %bb.88:                               ;   in Loop: Header=BB140_51 Depth=1
	s_andn2_saveexec_b64 s[12:13], s[0:1]
; %bb.89:                               ;   in Loop: Header=BB140_51 Depth=1
	v_or_b32_e32 v8, 0x10000, v2
	v_cmp_eq_u32_sdwa s[0:1], v2, v21 src0_sel:WORD_0 src1_sel:DWORD
	v_cndmask_b32_e64 v8, v8, v2, s[0:1]
; %bb.90:                               ;   in Loop: Header=BB140_51 Depth=1
	s_or_b64 exec, exec, s[12:13]
	v_and_b32_e32 v36, 0xffff0000, v36
	v_lshlrev_b32_e32 v2, 16, v9
	v_mul_f32_e32 v2, v36, v2
	v_and_b32_e32 v9, 0x7f800000, v2
	v_cmp_ne_u32_e64 s[0:1], s17, v9
                                        ; implicit-def: $vgpr9
	s_and_saveexec_b64 s[12:13], s[0:1]
	s_xor_b64 s[0:1], exec, s[12:13]
; %bb.91:                               ;   in Loop: Header=BB140_51 Depth=1
	v_bfe_u32 v9, v2, 16, 1
	v_add3_u32 v9, v2, v9, s18
                                        ; implicit-def: $vgpr2
; %bb.92:                               ;   in Loop: Header=BB140_51 Depth=1
	s_andn2_saveexec_b64 s[12:13], s[0:1]
; %bb.93:                               ;   in Loop: Header=BB140_51 Depth=1
	v_or_b32_e32 v9, 0x10000, v2
	v_cmp_eq_u32_sdwa s[0:1], v2, v21 src0_sel:WORD_0 src1_sel:DWORD
	v_cndmask_b32_e64 v9, v9, v2, s[0:1]
; %bb.94:                               ;   in Loop: Header=BB140_51 Depth=1
	s_or_b64 exec, exec, s[12:13]
	v_and_b32_e32 v37, 0xffff0000, v22
	v_lshlrev_b32_e32 v2, 16, v3
	v_mul_f32_e32 v2, v37, v2
	v_and_b32_e32 v3, 0x7f800000, v2
	v_cmp_ne_u32_e64 s[0:1], s17, v3
                                        ; implicit-def: $vgpr22
	s_and_saveexec_b64 s[12:13], s[0:1]
	s_xor_b64 s[0:1], exec, s[12:13]
; %bb.95:                               ;   in Loop: Header=BB140_51 Depth=1
	v_bfe_u32 v3, v2, 16, 1
	v_add3_u32 v22, v2, v3, s18
                                        ; implicit-def: $vgpr2
; %bb.96:                               ;   in Loop: Header=BB140_51 Depth=1
	s_andn2_saveexec_b64 s[12:13], s[0:1]
; %bb.97:                               ;   in Loop: Header=BB140_51 Depth=1
	v_or_b32_e32 v3, 0x10000, v2
	v_cmp_eq_u32_sdwa s[0:1], v2, v21 src0_sel:WORD_0 src1_sel:DWORD
	v_cndmask_b32_e64 v22, v3, v2, s[0:1]
; %bb.98:                               ;   in Loop: Header=BB140_51 Depth=1
	s_or_b64 exec, exec, s[12:13]
	v_and_b32_e32 v38, 0xffff0000, v23
	v_lshlrev_b32_e32 v2, 16, v39
	v_mul_f32_e32 v2, v38, v2
	v_and_b32_e32 v3, 0x7f800000, v2
	v_cmp_ne_u32_e64 s[0:1], s17, v3
                                        ; implicit-def: $vgpr23
	s_and_saveexec_b64 s[12:13], s[0:1]
	s_xor_b64 s[0:1], exec, s[12:13]
; %bb.99:                               ;   in Loop: Header=BB140_51 Depth=1
	v_bfe_u32 v3, v2, 16, 1
	v_add3_u32 v23, v2, v3, s18
                                        ; implicit-def: $vgpr2
; %bb.100:                              ;   in Loop: Header=BB140_51 Depth=1
	s_andn2_saveexec_b64 s[12:13], s[0:1]
; %bb.101:                              ;   in Loop: Header=BB140_51 Depth=1
	v_or_b32_e32 v3, 0x10000, v2
	v_cmp_eq_u32_sdwa s[0:1], v2, v21 src0_sel:WORD_0 src1_sel:DWORD
	v_cndmask_b32_e64 v23, v3, v2, s[0:1]
; %bb.102:                              ;   in Loop: Header=BB140_51 Depth=1
	s_or_b64 exec, exec, s[12:13]
	v_and_b32_e32 v39, 0xffff0000, v24
	v_lshlrev_b32_e32 v2, 16, v4
	v_mul_f32_e32 v2, v39, v2
	v_and_b32_e32 v3, 0x7f800000, v2
	v_cmp_ne_u32_e64 s[0:1], s17, v3
                                        ; implicit-def: $vgpr24
	s_and_saveexec_b64 s[12:13], s[0:1]
	s_xor_b64 s[0:1], exec, s[12:13]
; %bb.103:                              ;   in Loop: Header=BB140_51 Depth=1
	v_bfe_u32 v3, v2, 16, 1
	v_add3_u32 v24, v2, v3, s18
                                        ; implicit-def: $vgpr2
; %bb.104:                              ;   in Loop: Header=BB140_51 Depth=1
	s_andn2_saveexec_b64 s[12:13], s[0:1]
; %bb.105:                              ;   in Loop: Header=BB140_51 Depth=1
	v_or_b32_e32 v3, 0x10000, v2
	v_cmp_eq_u32_sdwa s[0:1], v2, v21 src0_sel:WORD_0 src1_sel:DWORD
	v_cndmask_b32_e64 v24, v3, v2, s[0:1]
; %bb.106:                              ;   in Loop: Header=BB140_51 Depth=1
	s_or_b64 exec, exec, s[12:13]
	v_and_b32_e32 v40, 0xffff0000, v25
	v_lshlrev_b32_e32 v2, 16, v41
	v_mul_f32_e32 v2, v40, v2
	v_and_b32_e32 v3, 0x7f800000, v2
	v_cmp_ne_u32_e64 s[0:1], s17, v3
                                        ; implicit-def: $vgpr25
	s_and_saveexec_b64 s[12:13], s[0:1]
	s_xor_b64 s[0:1], exec, s[12:13]
; %bb.107:                              ;   in Loop: Header=BB140_51 Depth=1
	v_bfe_u32 v3, v2, 16, 1
	v_add3_u32 v25, v2, v3, s18
                                        ; implicit-def: $vgpr2
; %bb.108:                              ;   in Loop: Header=BB140_51 Depth=1
	s_andn2_saveexec_b64 s[12:13], s[0:1]
; %bb.109:                              ;   in Loop: Header=BB140_51 Depth=1
	v_or_b32_e32 v3, 0x10000, v2
	v_cmp_eq_u32_sdwa s[0:1], v2, v21 src0_sel:WORD_0 src1_sel:DWORD
	v_cndmask_b32_e64 v25, v3, v2, s[0:1]
; %bb.110:                              ;   in Loop: Header=BB140_51 Depth=1
	s_or_b64 exec, exec, s[12:13]
	v_and_b32_e32 v41, 0xffff0000, v26
	v_lshlrev_b32_e32 v2, 16, v5
	v_mul_f32_e32 v2, v41, v2
	v_and_b32_e32 v3, 0x7f800000, v2
	v_cmp_ne_u32_e64 s[0:1], s17, v3
                                        ; implicit-def: $vgpr26
	s_and_saveexec_b64 s[12:13], s[0:1]
	s_xor_b64 s[0:1], exec, s[12:13]
; %bb.111:                              ;   in Loop: Header=BB140_51 Depth=1
	v_bfe_u32 v3, v2, 16, 1
	v_add3_u32 v26, v2, v3, s18
                                        ; implicit-def: $vgpr2
; %bb.112:                              ;   in Loop: Header=BB140_51 Depth=1
	s_andn2_saveexec_b64 s[12:13], s[0:1]
; %bb.113:                              ;   in Loop: Header=BB140_51 Depth=1
	v_or_b32_e32 v3, 0x10000, v2
	v_cmp_eq_u32_sdwa s[0:1], v2, v21 src0_sel:WORD_0 src1_sel:DWORD
	v_cndmask_b32_e64 v26, v3, v2, s[0:1]
; %bb.114:                              ;   in Loop: Header=BB140_51 Depth=1
	s_or_b64 exec, exec, s[12:13]
	v_and_b32_e32 v42, 0xffff0000, v27
	v_lshlrev_b32_e32 v2, 16, v43
	v_mul_f32_e32 v2, v42, v2
	v_and_b32_e32 v3, 0x7f800000, v2
	v_cmp_ne_u32_e64 s[0:1], s17, v3
                                        ; implicit-def: $vgpr27
	s_and_saveexec_b64 s[12:13], s[0:1]
	s_xor_b64 s[0:1], exec, s[12:13]
; %bb.115:                              ;   in Loop: Header=BB140_51 Depth=1
	v_bfe_u32 v3, v2, 16, 1
	v_add3_u32 v27, v2, v3, s18
                                        ; implicit-def: $vgpr2
; %bb.116:                              ;   in Loop: Header=BB140_51 Depth=1
	s_andn2_saveexec_b64 s[12:13], s[0:1]
; %bb.117:                              ;   in Loop: Header=BB140_51 Depth=1
	v_or_b32_e32 v3, 0x10000, v2
	v_cmp_eq_u32_sdwa s[0:1], v2, v21 src0_sel:WORD_0 src1_sel:DWORD
	v_cndmask_b32_e64 v27, v3, v2, s[0:1]
; %bb.118:                              ;   in Loop: Header=BB140_51 Depth=1
	s_or_b64 exec, exec, s[12:13]
	global_load_dwordx4 v[2:5], v[6:7], off offset:1024
	s_waitcnt vmcnt(0)
	v_lshrrev_b32_e32 v44, 16, v2
	v_lshrrev_b32_e32 v46, 16, v3
	v_lshrrev_b32_e32 v48, 16, v4
	v_lshrrev_b32_e32 v50, 16, v5
	s_and_saveexec_b64 s[12:13], vcc
	s_cbranch_execz .LBB140_120
; %bb.119:                              ;   in Loop: Header=BB140_51 Depth=1
	v_cmp_gt_i32_e64 s[0:1], s35, v1
	v_cndmask_b32_e64 v2, 0, v2, s[0:1]
	v_cmp_gt_i32_e64 s[0:1], s35, v34
	v_cndmask_b32_e64 v44, 0, v44, s[0:1]
	v_cmp_gt_i32_e64 s[0:1], s35, v33
	v_cndmask_b32_e64 v3, 0, v3, s[0:1]
	v_cmp_gt_i32_e64 s[0:1], s35, v31
	v_cndmask_b32_e64 v46, 0, v46, s[0:1]
	v_cmp_gt_i32_e64 s[0:1], s35, v30
	v_cndmask_b32_e64 v4, 0, v4, s[0:1]
	v_cmp_gt_i32_e64 s[0:1], s35, v29
	v_cndmask_b32_e64 v48, 0, v48, s[0:1]
	v_cmp_gt_i32_e64 s[0:1], s35, v28
	v_cndmask_b32_e64 v5, 0, v5, s[0:1]
	v_cmp_gt_i32_e64 s[0:1], s35, v32
	v_cndmask_b32_e64 v50, 0, v50, s[0:1]
.LBB140_120:                            ;   in Loop: Header=BB140_51 Depth=1
	s_or_b64 exec, exec, s[12:13]
	v_lshlrev_b32_e32 v2, 16, v2
	v_mul_f32_e32 v2, v35, v2
	v_and_b32_e32 v43, 0x7f800000, v2
	v_cmp_ne_u32_e64 s[0:1], s17, v43
                                        ; implicit-def: $vgpr43
	s_and_saveexec_b64 s[12:13], s[0:1]
	s_xor_b64 s[0:1], exec, s[12:13]
; %bb.121:                              ;   in Loop: Header=BB140_51 Depth=1
	v_bfe_u32 v43, v2, 16, 1
	v_add3_u32 v43, v2, v43, s18
                                        ; implicit-def: $vgpr2
; %bb.122:                              ;   in Loop: Header=BB140_51 Depth=1
	s_andn2_saveexec_b64 s[12:13], s[0:1]
; %bb.123:                              ;   in Loop: Header=BB140_51 Depth=1
	v_or_b32_e32 v43, 0x10000, v2
	v_cmp_eq_u32_sdwa s[0:1], v2, v21 src0_sel:WORD_0 src1_sel:DWORD
	v_cndmask_b32_e64 v43, v43, v2, s[0:1]
; %bb.124:                              ;   in Loop: Header=BB140_51 Depth=1
	s_or_b64 exec, exec, s[12:13]
	v_lshlrev_b32_e32 v2, 16, v44
	v_mul_f32_e32 v2, v36, v2
	v_and_b32_e32 v44, 0x7f800000, v2
	v_cmp_ne_u32_e64 s[0:1], s17, v44
                                        ; implicit-def: $vgpr44
	s_and_saveexec_b64 s[12:13], s[0:1]
	s_xor_b64 s[0:1], exec, s[12:13]
; %bb.125:                              ;   in Loop: Header=BB140_51 Depth=1
	v_bfe_u32 v44, v2, 16, 1
	v_add3_u32 v44, v2, v44, s18
                                        ; implicit-def: $vgpr2
; %bb.126:                              ;   in Loop: Header=BB140_51 Depth=1
	s_andn2_saveexec_b64 s[12:13], s[0:1]
; %bb.127:                              ;   in Loop: Header=BB140_51 Depth=1
	v_or_b32_e32 v44, 0x10000, v2
	v_cmp_eq_u32_sdwa s[0:1], v2, v21 src0_sel:WORD_0 src1_sel:DWORD
	v_cndmask_b32_e64 v44, v44, v2, s[0:1]
; %bb.128:                              ;   in Loop: Header=BB140_51 Depth=1
	s_or_b64 exec, exec, s[12:13]
	v_lshlrev_b32_e32 v2, 16, v3
	v_mul_f32_e32 v2, v37, v2
	v_and_b32_e32 v3, 0x7f800000, v2
	v_cmp_ne_u32_e64 s[0:1], s17, v3
                                        ; implicit-def: $vgpr45
	s_and_saveexec_b64 s[12:13], s[0:1]
	s_xor_b64 s[0:1], exec, s[12:13]
; %bb.129:                              ;   in Loop: Header=BB140_51 Depth=1
	v_bfe_u32 v3, v2, 16, 1
	v_add3_u32 v45, v2, v3, s18
                                        ; implicit-def: $vgpr2
; %bb.130:                              ;   in Loop: Header=BB140_51 Depth=1
	s_andn2_saveexec_b64 s[12:13], s[0:1]
; %bb.131:                              ;   in Loop: Header=BB140_51 Depth=1
	v_or_b32_e32 v3, 0x10000, v2
	v_cmp_eq_u32_sdwa s[0:1], v2, v21 src0_sel:WORD_0 src1_sel:DWORD
	v_cndmask_b32_e64 v45, v3, v2, s[0:1]
; %bb.132:                              ;   in Loop: Header=BB140_51 Depth=1
	s_or_b64 exec, exec, s[12:13]
	v_lshlrev_b32_e32 v2, 16, v46
	v_mul_f32_e32 v2, v38, v2
	v_and_b32_e32 v3, 0x7f800000, v2
	v_cmp_ne_u32_e64 s[0:1], s17, v3
                                        ; implicit-def: $vgpr46
	s_and_saveexec_b64 s[12:13], s[0:1]
	s_xor_b64 s[0:1], exec, s[12:13]
; %bb.133:                              ;   in Loop: Header=BB140_51 Depth=1
	v_bfe_u32 v3, v2, 16, 1
	v_add3_u32 v46, v2, v3, s18
                                        ; implicit-def: $vgpr2
; %bb.134:                              ;   in Loop: Header=BB140_51 Depth=1
	s_andn2_saveexec_b64 s[12:13], s[0:1]
; %bb.135:                              ;   in Loop: Header=BB140_51 Depth=1
	v_or_b32_e32 v3, 0x10000, v2
	v_cmp_eq_u32_sdwa s[0:1], v2, v21 src0_sel:WORD_0 src1_sel:DWORD
	v_cndmask_b32_e64 v46, v3, v2, s[0:1]
; %bb.136:                              ;   in Loop: Header=BB140_51 Depth=1
	s_or_b64 exec, exec, s[12:13]
	v_lshlrev_b32_e32 v2, 16, v4
	v_mul_f32_e32 v2, v39, v2
	v_and_b32_e32 v3, 0x7f800000, v2
	v_cmp_ne_u32_e64 s[0:1], s17, v3
                                        ; implicit-def: $vgpr47
	s_and_saveexec_b64 s[12:13], s[0:1]
	s_xor_b64 s[0:1], exec, s[12:13]
; %bb.137:                              ;   in Loop: Header=BB140_51 Depth=1
	v_bfe_u32 v3, v2, 16, 1
	v_add3_u32 v47, v2, v3, s18
                                        ; implicit-def: $vgpr2
; %bb.138:                              ;   in Loop: Header=BB140_51 Depth=1
	s_andn2_saveexec_b64 s[12:13], s[0:1]
; %bb.139:                              ;   in Loop: Header=BB140_51 Depth=1
	v_or_b32_e32 v3, 0x10000, v2
	v_cmp_eq_u32_sdwa s[0:1], v2, v21 src0_sel:WORD_0 src1_sel:DWORD
	v_cndmask_b32_e64 v47, v3, v2, s[0:1]
; %bb.140:                              ;   in Loop: Header=BB140_51 Depth=1
	s_or_b64 exec, exec, s[12:13]
	v_lshlrev_b32_e32 v2, 16, v48
	v_mul_f32_e32 v2, v40, v2
	v_and_b32_e32 v3, 0x7f800000, v2
	v_cmp_ne_u32_e64 s[0:1], s17, v3
                                        ; implicit-def: $vgpr48
	s_and_saveexec_b64 s[12:13], s[0:1]
	s_xor_b64 s[0:1], exec, s[12:13]
; %bb.141:                              ;   in Loop: Header=BB140_51 Depth=1
	v_bfe_u32 v3, v2, 16, 1
	v_add3_u32 v48, v2, v3, s18
                                        ; implicit-def: $vgpr2
; %bb.142:                              ;   in Loop: Header=BB140_51 Depth=1
	s_andn2_saveexec_b64 s[12:13], s[0:1]
; %bb.143:                              ;   in Loop: Header=BB140_51 Depth=1
	v_or_b32_e32 v3, 0x10000, v2
	v_cmp_eq_u32_sdwa s[0:1], v2, v21 src0_sel:WORD_0 src1_sel:DWORD
	v_cndmask_b32_e64 v48, v3, v2, s[0:1]
; %bb.144:                              ;   in Loop: Header=BB140_51 Depth=1
	s_or_b64 exec, exec, s[12:13]
	v_lshlrev_b32_e32 v2, 16, v5
	v_mul_f32_e32 v2, v41, v2
	v_and_b32_e32 v3, 0x7f800000, v2
	v_cmp_ne_u32_e64 s[0:1], s17, v3
                                        ; implicit-def: $vgpr49
	s_and_saveexec_b64 s[12:13], s[0:1]
	s_xor_b64 s[0:1], exec, s[12:13]
; %bb.145:                              ;   in Loop: Header=BB140_51 Depth=1
	v_bfe_u32 v3, v2, 16, 1
	v_add3_u32 v49, v2, v3, s18
                                        ; implicit-def: $vgpr2
; %bb.146:                              ;   in Loop: Header=BB140_51 Depth=1
	s_andn2_saveexec_b64 s[12:13], s[0:1]
; %bb.147:                              ;   in Loop: Header=BB140_51 Depth=1
	v_or_b32_e32 v3, 0x10000, v2
	v_cmp_eq_u32_sdwa s[0:1], v2, v21 src0_sel:WORD_0 src1_sel:DWORD
	v_cndmask_b32_e64 v49, v3, v2, s[0:1]
; %bb.148:                              ;   in Loop: Header=BB140_51 Depth=1
	s_or_b64 exec, exec, s[12:13]
	v_lshlrev_b32_e32 v2, 16, v50
	v_mul_f32_e32 v2, v42, v2
	v_and_b32_e32 v3, 0x7f800000, v2
	v_cmp_ne_u32_e64 s[0:1], s17, v3
                                        ; implicit-def: $vgpr50
	s_and_saveexec_b64 s[12:13], s[0:1]
	s_xor_b64 s[0:1], exec, s[12:13]
; %bb.149:                              ;   in Loop: Header=BB140_51 Depth=1
	v_bfe_u32 v3, v2, 16, 1
	v_add3_u32 v50, v2, v3, s18
                                        ; implicit-def: $vgpr2
; %bb.150:                              ;   in Loop: Header=BB140_51 Depth=1
	s_andn2_saveexec_b64 s[12:13], s[0:1]
; %bb.151:                              ;   in Loop: Header=BB140_51 Depth=1
	v_or_b32_e32 v3, 0x10000, v2
	v_cmp_eq_u32_sdwa s[0:1], v2, v21 src0_sel:WORD_0 src1_sel:DWORD
	v_cndmask_b32_e64 v50, v3, v2, s[0:1]
; %bb.152:                              ;   in Loop: Header=BB140_51 Depth=1
	s_or_b64 exec, exec, s[12:13]
	global_load_dwordx4 v[2:5], v[6:7], off offset:2048
	s_waitcnt vmcnt(0)
	v_lshrrev_b32_e32 v7, 16, v2
	v_lshrrev_b32_e32 v52, 16, v3
	;; [unrolled: 1-line block ×4, first 2 shown]
	s_and_saveexec_b64 s[0:1], vcc
	s_cbranch_execz .LBB140_154
; %bb.153:                              ;   in Loop: Header=BB140_51 Depth=1
	v_cmp_gt_i32_e32 vcc, s35, v1
	v_cndmask_b32_e32 v2, 0, v2, vcc
	v_cmp_gt_i32_e32 vcc, s35, v34
	v_cndmask_b32_e32 v7, 0, v7, vcc
	;; [unrolled: 2-line block ×8, first 2 shown]
.LBB140_154:                            ;   in Loop: Header=BB140_51 Depth=1
	s_or_b64 exec, exec, s[0:1]
	v_lshlrev_b32_e32 v2, 16, v2
	v_mul_f32_e32 v28, v35, v2
	v_and_b32_e32 v2, 0x7f800000, v28
	v_cmp_ne_u32_e32 vcc, s17, v2
                                        ; implicit-def: $vgpr2
	s_and_saveexec_b64 s[0:1], vcc
	s_xor_b64 s[0:1], exec, s[0:1]
; %bb.155:                              ;   in Loop: Header=BB140_51 Depth=1
	v_bfe_u32 v2, v28, 16, 1
	v_add3_u32 v2, v28, v2, s18
                                        ; implicit-def: $vgpr28
; %bb.156:                              ;   in Loop: Header=BB140_51 Depth=1
	s_andn2_saveexec_b64 s[0:1], s[0:1]
; %bb.157:                              ;   in Loop: Header=BB140_51 Depth=1
	v_or_b32_e32 v2, 0x10000, v28
	v_cmp_eq_u32_sdwa vcc, v28, v21 src0_sel:WORD_0 src1_sel:DWORD
	v_cndmask_b32_e32 v2, v2, v28, vcc
; %bb.158:                              ;   in Loop: Header=BB140_51 Depth=1
	s_or_b64 exec, exec, s[0:1]
	v_lshlrev_b32_e32 v7, 16, v7
	v_mul_f32_e32 v28, v36, v7
	v_and_b32_e32 v7, 0x7f800000, v28
	v_cmp_ne_u32_e32 vcc, s17, v7
                                        ; implicit-def: $vgpr7
	s_and_saveexec_b64 s[0:1], vcc
	s_xor_b64 s[0:1], exec, s[0:1]
; %bb.159:                              ;   in Loop: Header=BB140_51 Depth=1
	v_bfe_u32 v7, v28, 16, 1
	v_add3_u32 v7, v28, v7, s18
                                        ; implicit-def: $vgpr28
; %bb.160:                              ;   in Loop: Header=BB140_51 Depth=1
	s_andn2_saveexec_b64 s[0:1], s[0:1]
; %bb.161:                              ;   in Loop: Header=BB140_51 Depth=1
	v_or_b32_e32 v7, 0x10000, v28
	v_cmp_eq_u32_sdwa vcc, v28, v21 src0_sel:WORD_0 src1_sel:DWORD
	v_cndmask_b32_e32 v7, v7, v28, vcc
; %bb.162:                              ;   in Loop: Header=BB140_51 Depth=1
	s_or_b64 exec, exec, s[0:1]
	v_lshlrev_b32_e32 v3, 16, v3
	v_mul_f32_e32 v28, v37, v3
	v_and_b32_e32 v3, 0x7f800000, v28
	v_cmp_ne_u32_e32 vcc, s17, v3
                                        ; implicit-def: $vgpr3
	s_and_saveexec_b64 s[0:1], vcc
	s_xor_b64 s[0:1], exec, s[0:1]
; %bb.163:                              ;   in Loop: Header=BB140_51 Depth=1
	v_bfe_u32 v3, v28, 16, 1
	v_add3_u32 v3, v28, v3, s18
                                        ; implicit-def: $vgpr28
; %bb.164:                              ;   in Loop: Header=BB140_51 Depth=1
	s_andn2_saveexec_b64 s[0:1], s[0:1]
; %bb.165:                              ;   in Loop: Header=BB140_51 Depth=1
	v_or_b32_e32 v3, 0x10000, v28
	v_cmp_eq_u32_sdwa vcc, v28, v21 src0_sel:WORD_0 src1_sel:DWORD
	v_cndmask_b32_e32 v3, v3, v28, vcc
; %bb.166:                              ;   in Loop: Header=BB140_51 Depth=1
	s_or_b64 exec, exec, s[0:1]
	v_lshlrev_b32_e32 v28, 16, v52
	v_mul_f32_e32 v29, v38, v28
	v_and_b32_e32 v28, 0x7f800000, v29
	v_cmp_ne_u32_e32 vcc, s17, v28
                                        ; implicit-def: $vgpr28
	s_and_saveexec_b64 s[0:1], vcc
	s_xor_b64 s[0:1], exec, s[0:1]
; %bb.167:                              ;   in Loop: Header=BB140_51 Depth=1
	v_bfe_u32 v28, v29, 16, 1
	v_add3_u32 v28, v29, v28, s18
                                        ; implicit-def: $vgpr29
; %bb.168:                              ;   in Loop: Header=BB140_51 Depth=1
	s_andn2_saveexec_b64 s[0:1], s[0:1]
; %bb.169:                              ;   in Loop: Header=BB140_51 Depth=1
	v_or_b32_e32 v28, 0x10000, v29
	v_cmp_eq_u32_sdwa vcc, v29, v21 src0_sel:WORD_0 src1_sel:DWORD
	v_cndmask_b32_e32 v28, v28, v29, vcc
; %bb.170:                              ;   in Loop: Header=BB140_51 Depth=1
	s_or_b64 exec, exec, s[0:1]
	v_lshlrev_b32_e32 v4, 16, v4
	v_mul_f32_e32 v29, v39, v4
	v_and_b32_e32 v4, 0x7f800000, v29
	v_cmp_ne_u32_e32 vcc, s17, v4
                                        ; implicit-def: $vgpr4
	s_and_saveexec_b64 s[0:1], vcc
	s_xor_b64 s[0:1], exec, s[0:1]
; %bb.171:                              ;   in Loop: Header=BB140_51 Depth=1
	v_bfe_u32 v4, v29, 16, 1
	v_add3_u32 v4, v29, v4, s18
                                        ; implicit-def: $vgpr29
; %bb.172:                              ;   in Loop: Header=BB140_51 Depth=1
	s_andn2_saveexec_b64 s[0:1], s[0:1]
; %bb.173:                              ;   in Loop: Header=BB140_51 Depth=1
	v_or_b32_e32 v4, 0x10000, v29
	v_cmp_eq_u32_sdwa vcc, v29, v21 src0_sel:WORD_0 src1_sel:DWORD
	v_cndmask_b32_e32 v4, v4, v29, vcc
; %bb.174:                              ;   in Loop: Header=BB140_51 Depth=1
	s_or_b64 exec, exec, s[0:1]
	v_lshlrev_b32_e32 v29, 16, v51
	v_mul_f32_e32 v30, v40, v29
	v_and_b32_e32 v29, 0x7f800000, v30
	v_cmp_ne_u32_e32 vcc, s17, v29
                                        ; implicit-def: $vgpr29
	s_and_saveexec_b64 s[0:1], vcc
	s_xor_b64 s[0:1], exec, s[0:1]
; %bb.175:                              ;   in Loop: Header=BB140_51 Depth=1
	v_bfe_u32 v29, v30, 16, 1
	v_add3_u32 v29, v30, v29, s18
                                        ; implicit-def: $vgpr30
; %bb.176:                              ;   in Loop: Header=BB140_51 Depth=1
	s_andn2_saveexec_b64 s[0:1], s[0:1]
; %bb.177:                              ;   in Loop: Header=BB140_51 Depth=1
	v_or_b32_e32 v29, 0x10000, v30
	v_cmp_eq_u32_sdwa vcc, v30, v21 src0_sel:WORD_0 src1_sel:DWORD
	v_cndmask_b32_e32 v29, v29, v30, vcc
; %bb.178:                              ;   in Loop: Header=BB140_51 Depth=1
	s_or_b64 exec, exec, s[0:1]
	v_lshlrev_b32_e32 v5, 16, v5
	v_mul_f32_e32 v30, v41, v5
	v_and_b32_e32 v5, 0x7f800000, v30
	v_cmp_ne_u32_e32 vcc, s17, v5
                                        ; implicit-def: $vgpr5
	s_and_saveexec_b64 s[0:1], vcc
	s_xor_b64 s[0:1], exec, s[0:1]
; %bb.179:                              ;   in Loop: Header=BB140_51 Depth=1
	v_bfe_u32 v5, v30, 16, 1
	v_add3_u32 v5, v30, v5, s18
                                        ; implicit-def: $vgpr30
; %bb.180:                              ;   in Loop: Header=BB140_51 Depth=1
	s_andn2_saveexec_b64 s[0:1], s[0:1]
; %bb.181:                              ;   in Loop: Header=BB140_51 Depth=1
	v_or_b32_e32 v5, 0x10000, v30
	v_cmp_eq_u32_sdwa vcc, v30, v21 src0_sel:WORD_0 src1_sel:DWORD
	v_cndmask_b32_e32 v5, v5, v30, vcc
; %bb.182:                              ;   in Loop: Header=BB140_51 Depth=1
	s_or_b64 exec, exec, s[0:1]
	v_lshlrev_b32_e32 v6, 16, v6
	v_mul_f32_e32 v30, v42, v6
	v_and_b32_e32 v6, 0x7f800000, v30
	v_cmp_ne_u32_e32 vcc, s17, v6
                                        ; implicit-def: $vgpr6
	s_and_saveexec_b64 s[0:1], vcc
	s_xor_b64 s[0:1], exec, s[0:1]
; %bb.183:                              ;   in Loop: Header=BB140_51 Depth=1
	v_bfe_u32 v6, v30, 16, 1
	v_add3_u32 v6, v30, v6, s18
                                        ; implicit-def: $vgpr30
; %bb.184:                              ;   in Loop: Header=BB140_51 Depth=1
	s_andn2_saveexec_b64 s[0:1], s[0:1]
	s_cbranch_execz .LBB140_49
; %bb.185:                              ;   in Loop: Header=BB140_51 Depth=1
	v_or_b32_e32 v6, 0x10000, v30
	v_cmp_eq_u32_sdwa vcc, v30, v21 src0_sel:WORD_0 src1_sel:DWORD
	v_cndmask_b32_e32 v6, v6, v30, vcc
	s_branch .LBB140_49
.LBB140_186:
	s_or_b64 exec, exec, s[6:7]
.LBB140_187:
	s_or_b64 exec, exec, s[4:5]
	v_and_b32_e32 v1, 0x3c0, v0
	v_cmp_eq_u32_e32 vcc, 64, v1
	s_barrier
	s_and_saveexec_b64 s[0:1], vcc
	s_cbranch_execz .LBB140_189
; %bb.188:
	v_mov_b32_e32 v1, 0x190
	v_lshl_add_u32 v2, v11, 2, v1
	v_lshl_add_u32 v1, v0, 2, v1
	ds_write_b32 v2, v14
	ds_write_b32 v1, v15
	ds_write_b32 v2, v10 offset:512
.LBB140_189:
	s_or_b64 exec, exec, s[0:1]
	v_cmp_gt_u32_e32 vcc, 64, v0
	s_waitcnt lgkmcnt(0)
	s_barrier
	s_and_saveexec_b64 s[0:1], vcc
	s_cbranch_execz .LBB140_191
; %bb.190:
	v_mov_b32_e32 v1, 0x190
	v_lshl_add_u32 v1, v0, 2, v1
	ds_read2st64_b32 v[2:3], v1 offset1:1
	ds_read_b32 v1, v1 offset:512
	s_waitcnt lgkmcnt(1)
	v_pk_add_f32 v[14:15], v[14:15], v[2:3]
	s_waitcnt lgkmcnt(0)
	v_add_f32_e32 v10, v10, v1
.LBB140_191:
	s_or_b64 exec, exec, s[0:1]
	s_barrier
	s_and_saveexec_b64 s[0:1], vcc
	s_cbranch_execz .LBB140_205
; %bb.192:
	s_mov_b32 s0, 0x7f800000
	v_and_b32_e32 v1, 0x7f800000, v14
	v_cmp_ne_u32_e32 vcc, s0, v1
                                        ; implicit-def: $vgpr2
	s_and_saveexec_b64 s[0:1], vcc
	s_xor_b64 s[0:1], exec, s[0:1]
; %bb.193:
	v_bfe_u32 v1, v14, 16, 1
	s_movk_i32 s3, 0x7fff
	v_add3_u32 v2, v14, v1, s3
; %bb.194:
	s_andn2_saveexec_b64 s[0:1], s[0:1]
; %bb.195:
	v_mov_b32_e32 v1, 0
	v_or_b32_e32 v2, 0x10000, v14
	v_cmp_eq_u32_sdwa vcc, v14, v1 src0_sel:WORD_0 src1_sel:DWORD
	v_cndmask_b32_e32 v2, v2, v14, vcc
; %bb.196:
	s_or_b64 exec, exec, s[0:1]
	s_mul_i32 s0, s2, 0xc0
	s_ashr_i32 s1, s0, 31
	s_lshl_b64 s[0:1], s[0:1], 1
	s_add_u32 s2, s28, s0
	s_mul_i32 s0, s33, s30
	s_addc_u32 s3, s29, s1
	s_ashr_i32 s1, s0, 31
	s_lshl_b64 s[0:1], s[0:1], 1
	s_add_u32 s2, s2, s0
	s_mul_i32 s0, s8, 0xc0
	s_addc_u32 s3, s3, s1
	s_ashr_i32 s1, s0, 31
	s_lshl_b64 s[0:1], s[0:1], 1
	s_add_u32 s0, s2, s0
	s_addc_u32 s1, s3, s1
	v_lshlrev_b32_e32 v3, 1, v0
	v_mov_b32_e32 v1, s1
	v_add_co_u32_e32 v0, vcc, s0, v3
	v_addc_co_u32_e32 v1, vcc, 0, v1, vcc
	global_store_short_d16_hi v3, v2, s[0:1]
	s_mov_b32 s0, 0x7f800000
	v_and_b32_e32 v2, 0x7f800000, v15
	v_cmp_ne_u32_e32 vcc, s0, v2
                                        ; implicit-def: $vgpr2
	s_and_saveexec_b64 s[0:1], vcc
	s_xor_b64 s[0:1], exec, s[0:1]
; %bb.197:
	v_bfe_u32 v2, v15, 16, 1
	s_movk_i32 s2, 0x7fff
	v_add3_u32 v2, v15, v2, s2
; %bb.198:
	s_andn2_saveexec_b64 s[0:1], s[0:1]
; %bb.199:
	v_mov_b32_e32 v2, 0
	v_or_b32_e32 v3, 0x10000, v15
	v_cmp_eq_u32_sdwa vcc, v15, v2 src0_sel:WORD_0 src1_sel:DWORD
	v_cndmask_b32_e32 v2, v3, v15, vcc
; %bb.200:
	s_or_b64 exec, exec, s[0:1]
	global_store_short_d16_hi v[0:1], v2, off offset:128
	s_mov_b32 s0, 0x7f800000
	v_and_b32_e32 v2, 0x7f800000, v10
	v_cmp_ne_u32_e32 vcc, s0, v2
                                        ; implicit-def: $vgpr2
	s_and_saveexec_b64 s[0:1], vcc
	s_xor_b64 s[0:1], exec, s[0:1]
; %bb.201:
	v_bfe_u32 v2, v10, 16, 1
	s_movk_i32 s2, 0x7fff
	v_add3_u32 v2, v10, v2, s2
                                        ; implicit-def: $vgpr8_vgpr9_vgpr10
; %bb.202:
	s_andn2_saveexec_b64 s[0:1], s[0:1]
; %bb.203:
	v_mov_b32_e32 v2, 0
	v_or_b32_e32 v3, 0x10000, v10
	v_cmp_eq_u32_sdwa vcc, v10, v2 src0_sel:WORD_0 src1_sel:DWORD
	v_cndmask_b32_e32 v2, v3, v10, vcc
; %bb.204:
	s_or_b64 exec, exec, s[0:1]
	global_store_short_d16_hi v[0:1], v2, off offset:256
.LBB140_205:
	s_endpgm
	.section	.rodata,"a",@progbits
	.p2align	6, 0x0
	.amdhsa_kernel _ZN4vllm25paged_attention_v2_kernelI14__hip_bfloat16S1_Li192ELi8ELi128ELNS_18Fp8KVCacheDataTypeE0ELb1ELi512EEEvPfS3_PT_PKS4_PKT0_SA_ifPKiSC_iPKfiiiSE_SE_iiiii
		.amdhsa_group_segment_fixed_size 400
		.amdhsa_private_segment_fixed_size 0
		.amdhsa_kernarg_size 400
		.amdhsa_user_sgpr_count 6
		.amdhsa_user_sgpr_private_segment_buffer 1
		.amdhsa_user_sgpr_dispatch_ptr 0
		.amdhsa_user_sgpr_queue_ptr 0
		.amdhsa_user_sgpr_kernarg_segment_ptr 1
		.amdhsa_user_sgpr_dispatch_id 0
		.amdhsa_user_sgpr_flat_scratch_init 0
		.amdhsa_user_sgpr_kernarg_preload_length 0
		.amdhsa_user_sgpr_kernarg_preload_offset 0
		.amdhsa_user_sgpr_private_segment_size 0
		.amdhsa_uses_dynamic_stack 0
		.amdhsa_system_sgpr_private_segment_wavefront_offset 0
		.amdhsa_system_sgpr_workgroup_id_x 1
		.amdhsa_system_sgpr_workgroup_id_y 1
		.amdhsa_system_sgpr_workgroup_id_z 1
		.amdhsa_system_sgpr_workgroup_info 0
		.amdhsa_system_vgpr_workitem_id 0
		.amdhsa_next_free_vgpr 73
		.amdhsa_next_free_sgpr 52
		.amdhsa_accum_offset 76
		.amdhsa_reserve_vcc 1
		.amdhsa_reserve_flat_scratch 0
		.amdhsa_float_round_mode_32 0
		.amdhsa_float_round_mode_16_64 0
		.amdhsa_float_denorm_mode_32 3
		.amdhsa_float_denorm_mode_16_64 3
		.amdhsa_dx10_clamp 1
		.amdhsa_ieee_mode 1
		.amdhsa_fp16_overflow 0
		.amdhsa_tg_split 0
		.amdhsa_exception_fp_ieee_invalid_op 0
		.amdhsa_exception_fp_denorm_src 0
		.amdhsa_exception_fp_ieee_div_zero 0
		.amdhsa_exception_fp_ieee_overflow 0
		.amdhsa_exception_fp_ieee_underflow 0
		.amdhsa_exception_fp_ieee_inexact 0
		.amdhsa_exception_int_div_zero 0
	.end_amdhsa_kernel
	.section	.text._ZN4vllm25paged_attention_v2_kernelI14__hip_bfloat16S1_Li192ELi8ELi128ELNS_18Fp8KVCacheDataTypeE0ELb1ELi512EEEvPfS3_PT_PKS4_PKT0_SA_ifPKiSC_iPKfiiiSE_SE_iiiii,"axG",@progbits,_ZN4vllm25paged_attention_v2_kernelI14__hip_bfloat16S1_Li192ELi8ELi128ELNS_18Fp8KVCacheDataTypeE0ELb1ELi512EEEvPfS3_PT_PKS4_PKT0_SA_ifPKiSC_iPKfiiiSE_SE_iiiii,comdat
.Lfunc_end140:
	.size	_ZN4vllm25paged_attention_v2_kernelI14__hip_bfloat16S1_Li192ELi8ELi128ELNS_18Fp8KVCacheDataTypeE0ELb1ELi512EEEvPfS3_PT_PKS4_PKT0_SA_ifPKiSC_iPKfiiiSE_SE_iiiii, .Lfunc_end140-_ZN4vllm25paged_attention_v2_kernelI14__hip_bfloat16S1_Li192ELi8ELi128ELNS_18Fp8KVCacheDataTypeE0ELb1ELi512EEEvPfS3_PT_PKS4_PKT0_SA_ifPKiSC_iPKfiiiSE_SE_iiiii
                                        ; -- End function
	.section	.AMDGPU.csdata,"",@progbits
; Kernel info:
; codeLenInByte = 7996
; NumSgprs: 56
; NumVgprs: 73
; NumAgprs: 0
; TotalNumVgprs: 73
; ScratchSize: 0
; MemoryBound: 0
; FloatMode: 240
; IeeeMode: 1
; LDSByteSize: 400 bytes/workgroup (compile time only)
; SGPRBlocks: 6
; VGPRBlocks: 9
; NumSGPRsForWavesPerEU: 56
; NumVGPRsForWavesPerEU: 73
; AccumOffset: 76
; Occupancy: 6
; WaveLimiterHint : 1
; COMPUTE_PGM_RSRC2:SCRATCH_EN: 0
; COMPUTE_PGM_RSRC2:USER_SGPR: 6
; COMPUTE_PGM_RSRC2:TRAP_HANDLER: 0
; COMPUTE_PGM_RSRC2:TGID_X_EN: 1
; COMPUTE_PGM_RSRC2:TGID_Y_EN: 1
; COMPUTE_PGM_RSRC2:TGID_Z_EN: 1
; COMPUTE_PGM_RSRC2:TIDIG_COMP_CNT: 0
; COMPUTE_PGM_RSRC3_GFX90A:ACCUM_OFFSET: 18
; COMPUTE_PGM_RSRC3_GFX90A:TG_SPLIT: 0
	.section	.text._ZN4vllm32paged_attention_v2_reduce_kernelI14__hip_bfloat16Li192ELi128ELi512EEEvPT_PKfS5_PKS2_PKii,"axG",@progbits,_ZN4vllm32paged_attention_v2_reduce_kernelI14__hip_bfloat16Li192ELi128ELi512EEEvPT_PKfS5_PKS2_PKii,comdat
	.protected	_ZN4vllm32paged_attention_v2_reduce_kernelI14__hip_bfloat16Li192ELi128ELi512EEEvPT_PKfS5_PKS2_PKii ; -- Begin function _ZN4vllm32paged_attention_v2_reduce_kernelI14__hip_bfloat16Li192ELi128ELi512EEEvPT_PKfS5_PKS2_PKii
	.globl	_ZN4vllm32paged_attention_v2_reduce_kernelI14__hip_bfloat16Li192ELi128ELi512EEEvPT_PKfS5_PKS2_PKii
	.p2align	8
	.type	_ZN4vllm32paged_attention_v2_reduce_kernelI14__hip_bfloat16Li192ELi128ELi512EEEvPT_PKfS5_PKS2_PKii,@function
_ZN4vllm32paged_attention_v2_reduce_kernelI14__hip_bfloat16Li192ELi128ELi512EEEvPT_PKfS5_PKS2_PKii: ; @_ZN4vllm32paged_attention_v2_reduce_kernelI14__hip_bfloat16Li192ELi128ELi512EEEvPT_PKfS5_PKS2_PKii
; %bb.0:
	s_load_dwordx4 s[8:11], s[4:5], 0x18
	s_add_u32 s12, s4, 48
	s_mov_b32 s14, s7
	s_addc_u32 s13, s5, 0
	s_ashr_i32 s15, s7, 31
	s_lshl_b64 s[0:1], s[14:15], 2
	s_waitcnt lgkmcnt(0)
	s_add_u32 s0, s10, s0
	s_addc_u32 s1, s11, s1
	s_load_dword s22, s[0:1], 0x0
	s_load_dwordx2 s[10:11], s[4:5], 0x0
	s_load_dword s7, s[4:5], 0x28
	s_load_dword s15, s[4:5], 0x30
	s_waitcnt lgkmcnt(0)
	s_add_i32 s0, s22, -1
	s_cmpk_gt_u32 s0, 0x1ff
	s_mov_b64 s[0:1], -1
	s_cbranch_scc0 .LBB141_28
; %bb.1:
	s_add_i32 s0, s22, 0x1ff
	s_load_dwordx2 s[20:21], s[4:5], 0x8
	s_ashr_i32 s1, s0, 31
	s_lshr_b32 s1, s1, 23
	s_add_i32 s0, s0, s1
	s_mul_i32 s24, s15, s14
	s_ashr_i32 s23, s0, 9
	s_mul_i32 s16, s24, s7
	s_mul_i32 s18, s6, s7
	s_ashr_i32 s17, s16, 31
	s_ashr_i32 s19, s18, 31
	v_cmp_gt_i32_e32 vcc, s23, v0
	v_mov_b32_e32 v4, 0xff7fffff
	s_and_saveexec_b64 s[2:3], vcc
	s_cbranch_execz .LBB141_5
; %bb.2:
	s_load_dword s25, s[12:13], 0xc
	s_load_dwordx2 s[0:1], s[4:5], 0x10
	s_lshl_b64 s[4:5], s[16:17], 2
	s_lshl_b64 s[26:27], s[18:19], 2
	v_lshlrev_b32_e32 v1, 2, v0
	s_waitcnt lgkmcnt(0)
	s_and_b32 s25, s25, 0xffff
	s_add_u32 s4, s4, s26
	s_addc_u32 s5, s5, s27
	s_add_u32 s0, s0, s4
	s_addc_u32 s1, s1, s5
	s_mov_b32 s28, 0
	v_mov_b32_e32 v3, s1
	v_add_co_u32_e64 v2, s[0:1], s0, v1
	v_addc_co_u32_e64 v3, s[0:1], 0, v3, s[0:1]
	s_lshl_b32 s26, s25, 2
	v_add_u32_e32 v1, 16, v1
	s_mov_b64 s[4:5], 0
	v_mov_b32_e32 v4, 0xff7fffff
	v_mov_b32_e32 v5, s28
	;; [unrolled: 1-line block ×3, first 2 shown]
.LBB141_3:                              ; =>This Inner Loop Header: Depth=1
	global_load_dword v7, v[2:3], off
	v_add_co_u32_e64 v2, s[0:1], s26, v2
	v_add_u32_e32 v6, s25, v6
	v_addc_co_u32_e64 v3, s[0:1], v3, v5, s[0:1]
	v_max_f32_e32 v4, v4, v4
	v_cmp_le_i32_e64 s[0:1], s23, v6
	s_or_b64 s[4:5], s[0:1], s[4:5]
	s_waitcnt vmcnt(0)
	ds_write_b32 v1, v7
	v_max_f32_e32 v7, v7, v7
	v_add_u32_e32 v1, s26, v1
	v_max_f32_e32 v4, v4, v7
	s_andn2_b64 exec, exec, s[4:5]
	s_cbranch_execnz .LBB141_3
; %bb.4:
	s_or_b64 exec, exec, s[4:5]
.LBB141_5:
	s_or_b64 exec, exec, s[2:3]
	v_mbcnt_lo_u32_b32 v1, -1, 0
	v_mbcnt_hi_u32_b32 v2, -1, v1
	v_and_b32_e32 v1, 64, v2
	v_add_u32_e32 v5, 64, v1
	v_xor_b32_e32 v1, 32, v2
	v_cmp_lt_i32_e64 s[0:1], v1, v5
	v_cndmask_b32_e64 v1, v2, v1, s[0:1]
	v_lshlrev_b32_e32 v1, 2, v1
	ds_bpermute_b32 v3, v1, v4
	v_xor_b32_e32 v6, 16, v2
	v_max_f32_e32 v4, v4, v4
	v_cmp_lt_i32_e64 s[0:1], v6, v5
	v_xor_b32_e32 v7, 8, v2
	s_waitcnt lgkmcnt(0)
	v_max_f32_e32 v3, v3, v3
	v_max_f32_e32 v3, v4, v3
	v_cndmask_b32_e64 v4, v2, v6, s[0:1]
	v_lshlrev_b32_e32 v6, 2, v4
	ds_bpermute_b32 v4, v6, v3
	v_cmp_lt_i32_e64 s[0:1], v7, v5
	v_xor_b32_e32 v8, 4, v2
	s_waitcnt lgkmcnt(0)
	s_barrier
	v_max_f32_e32 v4, v4, v4
	v_max_f32_e32 v3, v3, v4
	v_cndmask_b32_e64 v4, v2, v7, s[0:1]
	v_lshlrev_b32_e32 v7, 2, v4
	ds_bpermute_b32 v4, v7, v3
	v_cmp_lt_i32_e64 s[0:1], v8, v5
	s_waitcnt lgkmcnt(0)
	v_max_f32_e32 v4, v4, v4
	v_max_f32_e32 v3, v3, v4
	v_cndmask_b32_e64 v4, v2, v8, s[0:1]
	v_lshlrev_b32_e32 v9, 2, v4
	ds_bpermute_b32 v4, v9, v3
	v_xor_b32_e32 v8, 2, v2
	v_cmp_lt_i32_e64 s[0:1], v8, v5
	s_waitcnt lgkmcnt(0)
	v_max_f32_e32 v4, v4, v4
	v_max_f32_e32 v3, v3, v4
	v_cndmask_b32_e64 v4, v2, v8, s[0:1]
	v_lshlrev_b32_e32 v10, 2, v4
	ds_bpermute_b32 v11, v10, v3
	v_and_b32_e32 v4, 63, v0
	v_lshrrev_b32_e32 v8, 6, v0
	s_waitcnt lgkmcnt(0)
	v_max_f32_e32 v11, v11, v11
	v_max_f32_e32 v3, v3, v11
	v_xor_b32_e32 v11, 1, v2
	v_cmp_lt_i32_e64 s[0:1], v11, v5
	v_cndmask_b32_e64 v5, v2, v11, s[0:1]
	v_lshlrev_b32_e32 v5, 2, v5
	ds_bpermute_b32 v11, v5, v3
	v_cmp_eq_u32_e64 s[0:1], 0, v4
	s_and_saveexec_b64 s[2:3], s[0:1]
	s_cbranch_execz .LBB141_7
; %bb.6:
	s_waitcnt lgkmcnt(0)
	v_max_f32_e32 v11, v11, v11
	v_max_f32_e32 v3, v3, v3
	;; [unrolled: 1-line block ×3, first 2 shown]
	v_lshlrev_b32_e32 v11, 2, v8
	ds_write_b32 v11, v3
.LBB141_7:
	s_or_b64 exec, exec, s[2:3]
	v_cmp_gt_u32_e64 s[2:3], 2, v4
	v_mov_b32_e32 v3, 0xff7fffff
	s_waitcnt lgkmcnt(0)
	s_barrier
	s_and_saveexec_b64 s[4:5], s[2:3]
	s_cbranch_execz .LBB141_9
; %bb.8:
	v_lshlrev_b32_e32 v3, 2, v4
	ds_read_b32 v3, v3
.LBB141_9:
	s_or_b64 exec, exec, s[4:5]
	s_waitcnt lgkmcnt(0)
	ds_bpermute_b32 v11, v5, v3
	v_max_f32_e32 v3, v3, v3
	v_lshlrev_b32_e32 v2, 2, v2
	s_lshl_b32 s25, s23, 2
	v_mov_b32_e32 v13, 0
	s_waitcnt lgkmcnt(0)
	v_max_f32_e32 v11, v11, v11
	v_max_f32_e32 v3, v3, v11
	v_and_b32_e32 v11, 0x100, v2
	ds_bpermute_b32 v12, v11, v3
	s_and_saveexec_b64 s[4:5], vcc
	s_cbranch_execz .LBB141_13
; %bb.10:
	s_load_dword s30, s[12:13], 0xc
	s_lshl_b64 s[26:27], s[16:17], 2
	s_lshl_b64 s[28:29], s[18:19], 2
	v_lshlrev_b32_e32 v13, 2, v0
	s_mov_b32 s31, 0
	s_waitcnt lgkmcnt(0)
	s_and_b32 s17, s30, 0xffff
	s_add_u32 s19, s26, s28
	s_addc_u32 s26, s27, s29
	s_add_u32 s19, s20, s19
	s_addc_u32 s20, s21, s26
	v_mov_b32_e32 v3, s20
	v_add_co_u32_e32 v2, vcc, s19, v13
	v_addc_co_u32_e32 v3, vcc, 0, v3, vcc
	s_lshl_b32 s19, s17, 2
	v_add_u32_e32 v14, 16, v13
	s_mov_b64 s[20:21], 0
	v_mov_b32_e32 v13, 0
	s_mov_b32 s26, 0x3fb8aa3b
	s_mov_b32 s27, 0xc2ce8ed0
	;; [unrolled: 1-line block ×3, first 2 shown]
	v_mov_b32_e32 v15, 0x7f800000
	v_mov_b32_e32 v16, s31
	;; [unrolled: 1-line block ×3, first 2 shown]
.LBB141_11:                             ; =>This Inner Loop Header: Depth=1
	global_load_dword v18, v[2:3], off
	ds_read_b32 v19, v14
	v_add_co_u32_e32 v2, vcc, s19, v2
	v_add_u32_e32 v17, s17, v17
	v_addc_co_u32_e32 v3, vcc, v3, v16, vcc
	s_waitcnt lgkmcnt(0)
	v_sub_f32_e32 v19, v19, v12
	v_mul_f32_e32 v21, 0x3fb8aa3b, v19
	v_fma_f32 v22, v19, s26, -v21
	v_rndne_f32_e32 v23, v21
	v_fmac_f32_e32 v22, 0x32a5705f, v19
	v_sub_f32_e32 v21, v21, v23
	v_add_f32_e32 v21, v21, v22
	v_cvt_i32_f32_e32 v23, v23
	v_exp_f32_e32 v21, v21
	v_cmp_le_i32_e32 vcc, s23, v17
	s_or_b64 s[20:21], vcc, s[20:21]
	v_cmp_ngt_f32_e32 vcc, s27, v19
	v_ldexp_f32 v21, v21, v23
	v_cndmask_b32_e32 v21, 0, v21, vcc
	v_cmp_nlt_f32_e32 vcc, s28, v19
	v_cndmask_b32_e32 v19, v15, v21, vcc
	v_add_u32_e32 v20, s25, v14
	v_add_u32_e32 v14, s19, v14
	s_waitcnt vmcnt(0)
	v_mul_f32_e32 v21, v18, v19
	v_fmac_f32_e32 v13, v18, v19
	ds_write_b32 v20, v21
	s_andn2_b64 exec, exec, s[20:21]
	s_cbranch_execnz .LBB141_11
; %bb.12:
	s_or_b64 exec, exec, s[20:21]
.LBB141_13:
	s_or_b64 exec, exec, s[4:5]
	ds_bpermute_b32 v1, v1, v13
	s_waitcnt lgkmcnt(0)
	s_barrier
	v_add_f32_e32 v1, v13, v1
	ds_bpermute_b32 v2, v6, v1
	s_waitcnt lgkmcnt(0)
	v_add_f32_e32 v1, v1, v2
	ds_bpermute_b32 v2, v7, v1
	s_waitcnt lgkmcnt(0)
	;; [unrolled: 3-line block ×5, first 2 shown]
	v_add_f32_e32 v1, v1, v2
	s_and_saveexec_b64 s[4:5], s[0:1]
	s_cbranch_execz .LBB141_15
; %bb.14:
	v_lshlrev_b32_e32 v2, 2, v8
	ds_write_b32 v2, v1 offset:8
.LBB141_15:
	s_or_b64 exec, exec, s[4:5]
	s_waitcnt lgkmcnt(0)
	s_barrier
	s_and_saveexec_b64 s[0:1], s[2:3]
	s_cbranch_execz .LBB141_17
; %bb.16:
	v_lshlrev_b32_e32 v1, 2, v4
	ds_read_b32 v1, v1 offset:8
.LBB141_17:
	s_or_b64 exec, exec, s[0:1]
	s_waitcnt lgkmcnt(0)
	ds_bpermute_b32 v2, v5, v1
	s_movk_i32 s0, 0xc0
	v_cmp_gt_u32_e32 vcc, s0, v0
	s_waitcnt lgkmcnt(0)
	v_add_f32_e32 v1, v1, v2
	ds_bpermute_b32 v1, v11, v1
	s_and_saveexec_b64 s[2:3], vcc
	s_cbranch_execz .LBB141_27
; %bb.18:
	s_waitcnt lgkmcnt(0)
	v_add_f32_e32 v1, 0x358637bd, v1
	v_div_scale_f32 v2, s[0:1], v1, v1, 1.0
	s_mul_i32 s0, s16, 0xc0
	s_mul_i32 s16, s24, 0xc0
	;; [unrolled: 1-line block ×3, first 2 shown]
	s_ashr_i32 s17, s16, 31
	v_rcp_f32_e32 v3, v2
	s_ashr_i32 s1, s0, 31
	s_ashr_i32 s5, s4, 31
	s_lshl_b64 s[16:17], s[16:17], 1
	s_add_u32 s18, s10, s16
	s_mul_i32 s16, s6, 0xc0
	s_addc_u32 s19, s11, s17
	s_ashr_i32 s17, s16, 31
	s_lshl_b64 s[16:17], s[16:17], 1
	v_fma_f32 v5, -v2, v3, 1.0
	s_add_u32 s18, s18, s16
	v_div_scale_f32 v4, vcc, 1.0, v1, 1.0
	v_fmac_f32_e32 v3, v5, v3
	s_addc_u32 s24, s19, s17
	s_add_i32 s19, s25, 16
	v_mul_f32_e32 v5, v4, v3
	s_cmp_gt_i32 s22, 0
	v_fma_f32 v6, -v2, v5, v4
	s_cselect_b64 s[16:17], -1, 0
	s_max_i32 s20, s23, 1
	s_lshl_b64 s[0:1], s[0:1], 1
	s_lshl_b64 s[4:5], s[4:5], 1
	v_fmac_f32_e32 v5, v6, v3
	s_add_u32 s0, s0, s4
	v_fma_f32 v2, -v2, v5, v4
	s_addc_u32 s1, s1, s5
	v_div_fmas_f32 v2, v2, v3, v5
	s_add_u32 s0, s8, s0
	v_div_fixup_f32 v1, v2, v1, 1.0
	v_lshlrev_b32_e32 v2, 1, v0
	s_addc_u32 s1, s9, s1
	v_mov_b32_e32 v5, s1
	v_add_co_u32_e32 v4, vcc, s0, v2
	v_cndmask_b32_e64 v2, 0, 1, s[16:17]
	v_mov_b32_e32 v3, 0
	v_addc_co_u32_e32 v5, vcc, 0, v5, vcc
	s_mov_b64 s[4:5], 0
	v_cmp_ne_u32_e64 s[0:1], 1, v2
	s_mov_b32 s21, 0x7f800000
	s_movk_i32 s22, 0x7fff
	v_mov_b32_e32 v8, s24
	v_mov_b32_e32 v2, v0
	s_branch .LBB141_20
.LBB141_19:                             ;   in Loop: Header=BB141_20 Depth=1
	s_or_b64 exec, exec, s[16:17]
	v_lshlrev_b64 v[10:11], 1, v[2:3]
	v_add_co_u32_e32 v10, vcc, s18, v10
	v_addc_co_u32_e32 v11, vcc, v8, v11, vcc
	v_add_co_u32_e32 v4, vcc, 0x100, v4
	v_addc_co_u32_e32 v5, vcc, 0, v5, vcc
	global_store_short_d16_hi v[10:11], v6, off
	v_add_u32_e32 v6, 0x80, v2
	v_cmp_lt_u32_e32 vcc, 63, v2
	s_or_b64 s[4:5], vcc, s[4:5]
	v_mov_b32_e32 v2, v6
	s_andn2_b64 exec, exec, s[4:5]
	s_cbranch_execz .LBB141_27
.LBB141_20:                             ; =>This Loop Header: Depth=1
                                        ;     Child Loop BB141_22 Depth 2
	s_and_b64 vcc, exec, s[0:1]
	v_mov_b32_e32 v9, 0
	s_cbranch_vccnz .LBB141_23
; %bb.21:                               ;   in Loop: Header=BB141_20 Depth=1
	v_mov_b32_e32 v9, 0
	s_mov_b32 s16, s19
	v_pk_mov_b32 v[6:7], v[4:5], v[4:5] op_sel:[0,1]
	s_mov_b32 s17, s20
.LBB141_22:                             ;   Parent Loop BB141_20 Depth=1
                                        ; =>  This Inner Loop Header: Depth=2
	global_load_ushort v10, v[6:7], off
	v_mov_b32_e32 v11, s16
	ds_read_b32 v11, v11
	s_add_i32 s17, s17, -1
	v_add_co_u32_e32 v6, vcc, 0x180, v6
	s_add_i32 s16, s16, 4
	v_addc_co_u32_e32 v7, vcc, 0, v7, vcc
	s_cmp_eq_u32 s17, 0
	s_waitcnt vmcnt(0)
	v_lshlrev_b32_e32 v10, 16, v10
	s_waitcnt lgkmcnt(0)
	v_mul_f32_e32 v10, v11, v10
	v_fmac_f32_e32 v9, v1, v10
	s_cbranch_scc0 .LBB141_22
.LBB141_23:                             ;   in Loop: Header=BB141_20 Depth=1
	v_and_b32_e32 v6, 0x7f800000, v9
	v_cmp_ne_u32_e32 vcc, s21, v6
                                        ; implicit-def: $vgpr6
	s_and_saveexec_b64 s[16:17], vcc
	s_xor_b64 s[16:17], exec, s[16:17]
; %bb.24:                               ;   in Loop: Header=BB141_20 Depth=1
	v_bfe_u32 v6, v9, 16, 1
	v_add3_u32 v6, v9, v6, s22
                                        ; implicit-def: $vgpr9
; %bb.25:                               ;   in Loop: Header=BB141_20 Depth=1
	s_andn2_saveexec_b64 s[16:17], s[16:17]
	s_cbranch_execz .LBB141_19
; %bb.26:                               ;   in Loop: Header=BB141_20 Depth=1
	v_or_b32_e32 v6, 0x10000, v9
	v_cmp_eq_u32_sdwa vcc, v9, v3 src0_sel:WORD_0 src1_sel:DWORD
	v_cndmask_b32_e32 v6, v6, v9, vcc
	s_branch .LBB141_19
.LBB141_27:
	s_or_b64 exec, exec, s[2:3]
	s_mov_b64 s[0:1], 0
.LBB141_28:
	s_and_b64 vcc, exec, s[0:1]
	s_cbranch_vccz .LBB141_37
; %bb.29:
	s_movk_i32 s0, 0xc0
	v_cmp_gt_u32_e32 vcc, s0, v0
	s_and_saveexec_b64 s[2:3], vcc
	s_cbranch_execz .LBB141_37
; %bb.30:
	s_mul_i32 s1, s15, s14
	s_mul_i32 s2, s1, 0xc0
	s_ashr_i32 s3, s2, 31
	s_lshl_b64 s[4:5], s[2:3], 1
	s_add_u32 s1, s10, s4
	s_mul_i32 s14, s6, 0xc0
	s_addc_u32 s3, s11, s5
	s_ashr_i32 s15, s14, 31
	s_lshl_b64 s[4:5], s[14:15], 1
	s_add_u32 s4, s1, s4
	s_mul_i32 s2, s2, s7
	s_addc_u32 s10, s3, s5
	s_ashr_i32 s3, s2, 31
	s_lshl_b64 s[2:3], s[2:3], 1
	s_add_u32 s1, s8, s2
	s_load_dword s8, s[12:13], 0xc
	s_mul_i32 s2, s14, s7
	s_addc_u32 s6, s9, s3
	s_ashr_i32 s3, s2, 31
	s_lshl_b64 s[2:3], s[2:3], 1
	s_add_u32 s5, s1, s2
	s_addc_u32 s7, s6, s3
	s_waitcnt lgkmcnt(0)
	s_and_b32 s6, s8, 0xffff
	v_cvt_f32_u32_e32 v1, s6
	v_add_u32_e32 v2, s6, v0
	v_mov_b32_e32 v4, s6
	v_cmp_gt_u32_e32 vcc, s0, v2
	v_rcp_iflag_f32_e32 v1, v1
	s_cmp_eq_u32 s6, 1
	v_max_u32_e32 v3, 0xc0, v2
	v_addc_co_u32_e64 v2, s[0:1], v0, v4, vcc
	v_mul_f32_e32 v1, 0x4f7ffffe, v1
	v_cvt_u32_f32_e32 v1, v1
	s_cselect_b64 s[2:3], -1, 0
	s_sub_i32 s0, 0, s6
	v_sub_u32_e32 v2, v3, v2
	v_mul_lo_u32 v3, s0, v1
	v_mul_hi_u32 v3, v1, v3
	v_add_u32_e32 v1, v1, v3
	v_mul_hi_u32 v1, v2, v1
	v_mul_lo_u32 v3, v1, s6
	v_sub_u32_e32 v2, v2, v3
	v_add_u32_e32 v3, 1, v1
	v_cmp_le_u32_e64 s[0:1], s6, v2
	v_cndmask_b32_e64 v1, v1, v3, s[0:1]
	v_subrev_u32_e32 v3, s6, v2
	v_cndmask_b32_e64 v2, v2, v3, s[0:1]
	v_add_u32_e32 v3, 1, v1
	v_cmp_le_u32_e64 s[0:1], s6, v2
	v_cndmask_b32_e64 v1, v1, v3, s[0:1]
	v_addc_co_u32_e32 v1, vcc, 1, v1, vcc
	v_cmp_lt_u32_e32 vcc, 31, v1
	s_and_b64 s[8:9], vcc, s[2:3]
	s_mov_b64 s[2:3], -1
	s_and_saveexec_b64 s[0:1], s[8:9]
	s_cbranch_execz .LBB141_34
; %bb.31:
	v_and_b32_e32 v4, 0xffffffe0, v1
	s_mov_b64 s[2:3], 0
	v_mov_b32_e32 v3, 0
	v_mov_b32_e32 v5, s7
	;; [unrolled: 1-line block ×5, first 2 shown]
.LBB141_32:                             ; =>This Inner Loop Header: Depth=1
	v_lshlrev_b64 v[24:25], 1, v[2:3]
	v_add_co_u32_e32 v26, vcc, s5, v24
	v_addc_co_u32_e32 v27, vcc, v5, v25, vcc
	global_load_dwordx4 v[8:11], v[26:27], off
	global_load_dwordx4 v[12:15], v[26:27], off offset:16
	global_load_dwordx4 v[16:19], v[26:27], off offset:32
	;; [unrolled: 1-line block ×3, first 2 shown]
	v_add_co_u32_e32 v24, vcc, s4, v24
	v_subrev_u32_e32 v7, 32, v7
	v_addc_co_u32_e32 v25, vcc, v6, v25, vcc
	v_cmp_eq_u32_e32 vcc, 0, v7
	v_add_u32_e32 v2, 32, v2
	s_or_b64 s[2:3], vcc, s[2:3]
	s_waitcnt vmcnt(3)
	global_store_dwordx4 v[24:25], v[8:11], off
	s_waitcnt vmcnt(3)
	global_store_dwordx4 v[24:25], v[12:15], off offset:16
	s_waitcnt vmcnt(3)
	global_store_dwordx4 v[24:25], v[16:19], off offset:32
	;; [unrolled: 2-line block ×3, first 2 shown]
	s_andn2_b64 exec, exec, s[2:3]
	s_cbranch_execnz .LBB141_32
; %bb.33:
	s_or_b64 exec, exec, s[2:3]
	v_cmp_ne_u32_e32 vcc, v1, v4
	v_add_u32_e32 v0, v0, v4
	s_orn2_b64 s[2:3], vcc, exec
.LBB141_34:
	s_or_b64 exec, exec, s[0:1]
	s_and_b64 exec, exec, s[2:3]
	s_cbranch_execz .LBB141_37
; %bb.35:
	s_mov_b32 s3, 0
	v_mov_b32_e32 v1, 0
	v_lshlrev_b64 v[2:3], 1, v[0:1]
	s_lshl_b32 s2, s6, 1
	s_mov_b64 s[0:1], 0
	v_mov_b32_e32 v1, s7
	v_mov_b32_e32 v4, s10
	v_mov_b32_e32 v5, s3
	s_movk_i32 s3, 0xbf
.LBB141_36:                             ; =>This Inner Loop Header: Depth=1
	v_add_co_u32_e32 v6, vcc, s5, v2
	v_addc_co_u32_e32 v7, vcc, v1, v3, vcc
	global_load_ushort v8, v[6:7], off
	v_add_co_u32_e32 v6, vcc, s4, v2
	v_addc_co_u32_e32 v7, vcc, v4, v3, vcc
	v_add_co_u32_e32 v2, vcc, s2, v2
	v_add_u32_e32 v0, s6, v0
	v_addc_co_u32_e32 v3, vcc, v3, v5, vcc
	v_cmp_lt_u32_e32 vcc, s3, v0
	s_or_b64 s[0:1], vcc, s[0:1]
	s_waitcnt vmcnt(0)
	global_store_short v[6:7], v8, off
	s_andn2_b64 exec, exec, s[0:1]
	s_cbranch_execnz .LBB141_36
.LBB141_37:
	s_endpgm
	.section	.rodata,"a",@progbits
	.p2align	6, 0x0
	.amdhsa_kernel _ZN4vllm32paged_attention_v2_reduce_kernelI14__hip_bfloat16Li192ELi128ELi512EEEvPT_PKfS5_PKS2_PKii
		.amdhsa_group_segment_fixed_size 16
		.amdhsa_private_segment_fixed_size 0
		.amdhsa_kernarg_size 304
		.amdhsa_user_sgpr_count 6
		.amdhsa_user_sgpr_private_segment_buffer 1
		.amdhsa_user_sgpr_dispatch_ptr 0
		.amdhsa_user_sgpr_queue_ptr 0
		.amdhsa_user_sgpr_kernarg_segment_ptr 1
		.amdhsa_user_sgpr_dispatch_id 0
		.amdhsa_user_sgpr_flat_scratch_init 0
		.amdhsa_user_sgpr_kernarg_preload_length 0
		.amdhsa_user_sgpr_kernarg_preload_offset 0
		.amdhsa_user_sgpr_private_segment_size 0
		.amdhsa_uses_dynamic_stack 0
		.amdhsa_system_sgpr_private_segment_wavefront_offset 0
		.amdhsa_system_sgpr_workgroup_id_x 1
		.amdhsa_system_sgpr_workgroup_id_y 1
		.amdhsa_system_sgpr_workgroup_id_z 0
		.amdhsa_system_sgpr_workgroup_info 0
		.amdhsa_system_vgpr_workitem_id 0
		.amdhsa_next_free_vgpr 28
		.amdhsa_next_free_sgpr 32
		.amdhsa_accum_offset 28
		.amdhsa_reserve_vcc 1
		.amdhsa_reserve_flat_scratch 0
		.amdhsa_float_round_mode_32 0
		.amdhsa_float_round_mode_16_64 0
		.amdhsa_float_denorm_mode_32 3
		.amdhsa_float_denorm_mode_16_64 3
		.amdhsa_dx10_clamp 1
		.amdhsa_ieee_mode 1
		.amdhsa_fp16_overflow 0
		.amdhsa_tg_split 0
		.amdhsa_exception_fp_ieee_invalid_op 0
		.amdhsa_exception_fp_denorm_src 0
		.amdhsa_exception_fp_ieee_div_zero 0
		.amdhsa_exception_fp_ieee_overflow 0
		.amdhsa_exception_fp_ieee_underflow 0
		.amdhsa_exception_fp_ieee_inexact 0
		.amdhsa_exception_int_div_zero 0
	.end_amdhsa_kernel
	.section	.text._ZN4vllm32paged_attention_v2_reduce_kernelI14__hip_bfloat16Li192ELi128ELi512EEEvPT_PKfS5_PKS2_PKii,"axG",@progbits,_ZN4vllm32paged_attention_v2_reduce_kernelI14__hip_bfloat16Li192ELi128ELi512EEEvPT_PKfS5_PKS2_PKii,comdat
.Lfunc_end141:
	.size	_ZN4vllm32paged_attention_v2_reduce_kernelI14__hip_bfloat16Li192ELi128ELi512EEEvPT_PKfS5_PKS2_PKii, .Lfunc_end141-_ZN4vllm32paged_attention_v2_reduce_kernelI14__hip_bfloat16Li192ELi128ELi512EEEvPT_PKfS5_PKS2_PKii
                                        ; -- End function
	.section	.AMDGPU.csdata,"",@progbits
; Kernel info:
; codeLenInByte = 2400
; NumSgprs: 36
; NumVgprs: 28
; NumAgprs: 0
; TotalNumVgprs: 28
; ScratchSize: 0
; MemoryBound: 0
; FloatMode: 240
; IeeeMode: 1
; LDSByteSize: 16 bytes/workgroup (compile time only)
; SGPRBlocks: 4
; VGPRBlocks: 3
; NumSGPRsForWavesPerEU: 36
; NumVGPRsForWavesPerEU: 28
; AccumOffset: 28
; Occupancy: 8
; WaveLimiterHint : 0
; COMPUTE_PGM_RSRC2:SCRATCH_EN: 0
; COMPUTE_PGM_RSRC2:USER_SGPR: 6
; COMPUTE_PGM_RSRC2:TRAP_HANDLER: 0
; COMPUTE_PGM_RSRC2:TGID_X_EN: 1
; COMPUTE_PGM_RSRC2:TGID_Y_EN: 1
; COMPUTE_PGM_RSRC2:TGID_Z_EN: 0
; COMPUTE_PGM_RSRC2:TIDIG_COMP_CNT: 0
; COMPUTE_PGM_RSRC3_GFX90A:ACCUM_OFFSET: 6
; COMPUTE_PGM_RSRC3_GFX90A:TG_SPLIT: 0
	.section	.text._ZN4vllm25paged_attention_v2_kernelI14__hip_bfloat16S1_Li256ELi8ELi128ELNS_18Fp8KVCacheDataTypeE0ELb1ELi512EEEvPfS3_PT_PKS4_PKT0_SA_ifPKiSC_iPKfiiiSE_SE_iiiii,"axG",@progbits,_ZN4vllm25paged_attention_v2_kernelI14__hip_bfloat16S1_Li256ELi8ELi128ELNS_18Fp8KVCacheDataTypeE0ELb1ELi512EEEvPfS3_PT_PKS4_PKT0_SA_ifPKiSC_iPKfiiiSE_SE_iiiii,comdat
	.protected	_ZN4vllm25paged_attention_v2_kernelI14__hip_bfloat16S1_Li256ELi8ELi128ELNS_18Fp8KVCacheDataTypeE0ELb1ELi512EEEvPfS3_PT_PKS4_PKT0_SA_ifPKiSC_iPKfiiiSE_SE_iiiii ; -- Begin function _ZN4vllm25paged_attention_v2_kernelI14__hip_bfloat16S1_Li256ELi8ELi128ELNS_18Fp8KVCacheDataTypeE0ELb1ELi512EEEvPfS3_PT_PKS4_PKT0_SA_ifPKiSC_iPKfiiiSE_SE_iiiii
	.globl	_ZN4vllm25paged_attention_v2_kernelI14__hip_bfloat16S1_Li256ELi8ELi128ELNS_18Fp8KVCacheDataTypeE0ELb1ELi512EEEvPfS3_PT_PKS4_PKT0_SA_ifPKiSC_iPKfiiiSE_SE_iiiii
	.p2align	8
	.type	_ZN4vllm25paged_attention_v2_kernelI14__hip_bfloat16S1_Li256ELi8ELi128ELNS_18Fp8KVCacheDataTypeE0ELb1ELi512EEEvPfS3_PT_PKS4_PKT0_SA_ifPKiSC_iPKfiiiSE_SE_iiiii,@function
_ZN4vllm25paged_attention_v2_kernelI14__hip_bfloat16S1_Li256ELi8ELi128ELNS_18Fp8KVCacheDataTypeE0ELb1ELi512EEEvPfS3_PT_PKS4_PKT0_SA_ifPKiSC_iPKfiiiSE_SE_iiiii: ; @_ZN4vllm25paged_attention_v2_kernelI14__hip_bfloat16S1_Li256ELi8ELi128ELNS_18Fp8KVCacheDataTypeE0ELb1ELi512EEEvPfS3_PT_PKS4_PKT0_SA_ifPKiSC_iPKfiiiSE_SE_iiiii
; %bb.0:
	s_load_dwordx2 s[0:1], s[4:5], 0x40
	s_mov_b32 s34, s7
	s_ashr_i32 s35, s7, 31
	s_lshl_b64 s[2:3], s[34:35], 2
	s_waitcnt lgkmcnt(0)
	s_add_u32 s0, s0, s2
	s_addc_u32 s1, s1, s3
	s_load_dword s35, s[0:1], 0x0
	s_lshl_b32 s49, s8, 9
	s_waitcnt lgkmcnt(0)
	s_cmp_ge_i32 s49, s35
	s_cbranch_scc1 .LBB142_243
; %bb.1:
	s_load_dword s9, s[4:5], 0x90
	s_load_dwordx2 s[40:41], s[4:5], 0x30
	s_waitcnt lgkmcnt(0)
	s_abs_i32 s2, s9
	s_abs_i32 s0, s40
	v_cvt_f32_u32_e32 v1, s0
	s_sub_i32 s3, 0, s0
	s_xor_b32 s1, s9, s40
	s_ashr_i32 s1, s1, 31
	v_rcp_iflag_f32_e32 v1, v1
	v_mul_f32_e32 v1, 0x4f7ffffe, v1
	v_cvt_u32_f32_e32 v1, v1
	v_readfirstlane_b32 s7, v1
	s_mul_i32 s3, s3, s7
	s_mul_hi_u32 s3, s7, s3
	s_add_i32 s7, s7, s3
	s_mul_hi_u32 s3, s2, s7
	s_mul_i32 s7, s3, s0
	s_sub_i32 s2, s2, s7
	s_add_i32 s10, s3, 1
	s_sub_i32 s7, s2, s0
	s_cmp_ge_u32 s2, s0
	s_cselect_b32 s3, s10, s3
	s_cselect_b32 s2, s7, s2
	s_add_i32 s7, s3, 1
	s_cmp_ge_u32 s2, s0
	s_cselect_b32 s0, s7, s3
	s_xor_b32 s0, s0, s1
	s_sub_i32 s24, s0, s1
	s_abs_i32 s38, s24
	v_cvt_f32_u32_e32 v1, s38
	s_load_dwordx2 s[0:1], s[4:5], 0x50
	s_sub_i32 s2, 0, s38
	s_abs_i32 s25, s6
	v_rcp_iflag_f32_e32 v1, v1
	s_mov_b32 s7, 0
	v_mul_f32_e32 v1, 0x4f7ffffe, v1
	v_cvt_u32_f32_e32 v1, v1
	v_readfirstlane_b32 s3, v1
	s_mul_i32 s2, s2, s3
	s_mul_hi_u32 s2, s3, s2
	s_add_i32 s2, s3, s2
	s_waitcnt lgkmcnt(0)
	s_cmp_eq_u64 s[0:1], 0
	s_cbranch_scc1 .LBB142_3
; %bb.2:
	s_ashr_i32 s7, s6, 31
	s_lshl_b64 s[10:11], s[6:7], 2
	s_add_u32 s0, s0, s10
	s_addc_u32 s1, s1, s11
	s_load_dword s7, s[0:1], 0x0
.LBB142_3:
	s_load_dwordx4 s[20:23], s[4:5], 0x0
	s_load_dwordx2 s[28:29], s[4:5], 0x10
	s_load_dwordx4 s[12:15], s[4:5], 0x20
	s_load_dwordx2 s[36:37], s[4:5], 0x38
	s_load_dword s33, s[4:5], 0x98
	s_load_dwordx4 s[16:19], s[4:5], 0x58
	v_and_b32_e32 v4, 7, v0
	s_lshl_b32 s30, s6, 8
	s_movk_i32 s0, 0x100
	s_mul_hi_u32 s26, s25, s2
	s_ashr_i32 s31, s30, 31
	v_cmp_gt_u32_e32 vcc, s0, v0
	v_lshlrev_b32_e32 v5, 1, v4
	s_and_saveexec_b64 s[2:3], vcc
	s_cbranch_execz .LBB142_6
; %bb.4:
	s_load_dwordx2 s[0:1], s[4:5], 0x18
	s_waitcnt lgkmcnt(0)
	s_mul_i32 s10, s34, s16
	s_ashr_i32 s11, s10, 31
	s_lshl_b64 s[10:11], s[10:11], 1
	s_lshl_b64 s[42:43], s[30:31], 1
	s_add_u32 s10, s10, s42
	s_addc_u32 s11, s11, s43
	v_lshrrev_b32_e32 v2, 3, v0
	s_add_u32 s0, s0, s10
	v_add_u32_e32 v1, -16, v2
	v_lshlrev_b32_e32 v3, 1, v2
	v_lshl_or_b32 v2, v2, 4, v5
	s_addc_u32 s1, s1, s11
	v_lshl_add_u32 v6, v4, 6, v3
	v_mov_b32_e32 v3, s1
	v_add_co_u32_e32 v2, vcc, s0, v2
	v_addc_co_u32_e32 v3, vcc, 0, v3, vcc
	s_mov_b64 s[10:11], 0
.LBB142_5:                              ; =>This Inner Loop Header: Depth=1
	global_load_ushort v7, v[2:3], off
	v_add_co_u32_e64 v1, s[0:1], 16, v1
	s_xor_b64 s[0:1], s[0:1], -1
	v_add_co_u32_e32 v2, vcc, 0x100, v2
	s_and_b64 s[0:1], exec, s[0:1]
	v_addc_co_u32_e32 v3, vcc, 0, v3, vcc
	s_or_b64 s[10:11], s[0:1], s[10:11]
	s_waitcnt vmcnt(0)
	ds_write_b16 v6, v7
	v_add_u32_e32 v6, 32, v6
	s_andn2_b64 exec, exec, s[10:11]
	s_cbranch_execnz .LBB142_5
.LBB142_6:
	s_or_b64 exec, exec, s[2:3]
	s_ashr_i32 s0, s6, 31
	s_ashr_i32 s1, s24, 31
	s_xor_b32 s0, s0, s1
	s_mul_i32 s1, s26, s38
	s_sub_i32 s1, s25, s1
	s_add_i32 s2, s26, 1
	s_sub_i32 s3, s1, s38
	s_cmp_ge_u32 s1, s38
	s_cselect_b32 s2, s2, s26
	s_load_dwordx4 s[24:27], s[4:5], 0x78
	s_cselect_b32 s1, s3, s1
	s_add_i32 s3, s2, 1
	s_cmp_ge_u32 s1, s38
	s_cselect_b32 s1, s3, s2
	s_load_dword s3, s[4:5], 0x88
	s_waitcnt lgkmcnt(0)
	s_abs_i32 s16, s27
	v_cvt_f32_u32_e32 v1, s16
	s_xor_b32 s1, s1, s0
	s_sub_i32 s2, s1, s0
	s_sub_i32 s0, 0, s16
	v_rcp_iflag_f32_e32 v1, v1
	s_add_i32 s19, s35, -1
	s_abs_i32 s10, s19
	v_mul_f32_e32 v1, 0x4f7ffffe, v1
	v_cvt_u32_f32_e32 v1, v1
	s_barrier
	v_readfirstlane_b32 s31, v1
	s_mul_i32 s0, s0, s31
	s_mul_hi_u32 s0, s31, s0
	s_add_i32 s31, s31, s0
	s_cmp_lt_i32 s3, 0
	s_mul_hi_u32 s11, s10, s31
	s_cbranch_scc0 .LBB142_8
; %bb.7:
	s_mul_i32 s0, s24, s40
	s_add_i32 s0, s2, s0
	s_mul_i32 s0, s0, s3
	s_sub_i32 s46, 1, s0
	s_ashr_i32 s19, s19, 31
	s_ashr_i32 s27, s27, 31
	s_cbranch_execz .LBB142_9
	s_branch .LBB142_10
.LBB142_8:
                                        ; implicit-def: $sgpr46
	s_ashr_i32 s19, s19, 31
	s_ashr_i32 s27, s27, 31
.LBB142_9:
	s_mul_i32 s0, s9, s24
	s_add_i32 s0, s0, s6
	s_mul_i32 s0, s0, s3
	s_add_i32 s46, s0, 1
.LBB142_10:
	s_load_dword s0, s[4:5], 0x48
	s_mul_i32 s3, s11, s16
	s_sub_i32 s3, s10, s3
	s_xor_b32 s1, s19, s27
	s_add_i32 s4, s11, 1
	s_waitcnt lgkmcnt(0)
	s_mul_i32 s38, s34, s0
	s_ashr_i32 s39, s38, 31
	s_sub_i32 s0, s3, s16
	s_cmp_ge_u32 s3, s16
	s_cselect_b32 s4, s4, s11
	s_cselect_b32 s0, s0, s3
	s_add_i32 s3, s4, 1
	s_cmp_ge_u32 s0, s16
	s_cselect_b32 s0, s3, s4
	s_xor_b32 s0, s0, s1
	s_sub_i32 s48, s0, s1
	s_add_i32 s0, s35, 7
	s_ashr_i32 s1, s0, 31
	s_lshr_b32 s1, s1, 29
	s_add_i32 s0, s0, s1
	s_lshl_b32 s40, s8, 6
	s_ashr_i32 s47, s0, 3
	s_add_i32 s0, s40, 64
	v_lshrrev_b32_e32 v6, 6, v0
	s_min_i32 s24, s0, s47
	v_or_b32_e32 v14, s40, v6
	v_cmp_gt_i32_e64 s[0:1], s24, v14
	v_mov_b32_e32 v13, 0xff7fffff
	s_mul_i32 s18, s2, s18
	v_ashrrev_i32_e32 v15, 31, v14
	v_lshl_add_u32 v1, v6, 3, s49
	v_mbcnt_lo_u32_b32 v7, -1, 0
	s_and_saveexec_b64 s[42:43], s[0:1]
	s_cbranch_execz .LBB142_20
; %bb.11:
	s_ashr_i32 s19, s18, 31
	s_sub_i32 s50, s48, s25
	s_lshl_b64 s[2:3], s[18:19], 1
	s_add_u32 s2, s12, s2
	s_addc_u32 s3, s13, s3
	s_abs_i32 s19, s26
	v_cvt_f32_u32_e32 v9, s19
	v_bfe_u32 v8, v0, 3, 3
	v_lshlrev_b32_e32 v2, 4, v8
	v_mov_b32_e32 v3, s3
	v_rcp_iflag_f32_e32 v11, v9
	v_add_co_u32_e64 v2, s[2:3], s2, v2
	v_addc_co_u32_e64 v3, s[2:3], 0, v3, s[2:3]
	v_add_co_u32_e64 v9, s[2:3], v2, v5
	v_mul_f32_e32 v2, 0x4f7ffffe, v11
	v_cvt_u32_f32_e32 v2, v2
	s_sub_i32 s4, 0, s19
	v_addc_co_u32_e64 v10, s[2:3], 0, v3, s[2:3]
	v_mul_lo_u32 v3, s4, v2
	s_lshl_b64 s[4:5], s[38:39], 2
	v_mul_hi_u32 v3, v2, v3
	s_add_u32 s4, s36, s4
	v_add_u32_e32 v12, v2, v3
	v_lshlrev_b64 v[2:3], 2, v[14:15]
	s_addc_u32 s5, s37, s5
	v_cmp_eq_u32_e32 vcc, 0, v4
	v_lshlrev_b32_e32 v11, 6, v4
	v_mov_b32_e32 v4, s5
	v_add_co_u32_e64 v2, s[4:5], s4, v2
	v_addc_co_u32_e64 v3, s[4:5], v4, v3, s[4:5]
	v_lshlrev_b32_e32 v4, 2, v8
	v_lshl_or_b32 v4, v6, 5, v4
	v_add_u32_e32 v17, 0x210, v4
	v_subrev_u32_e32 v4, s35, v8
	v_mbcnt_hi_u32_b32 v20, -1, v7
	v_add_u32_e32 v18, 1, v4
	v_and_b32_e32 v4, 64, v20
	s_mov_b32 s51, s17
	v_cmp_neq_f32_e64 s[2:3], s7, 0
	v_lshl_add_u32 v16, v6, 3, s49
	s_mov_b64 s[12:13], 0
	v_mov_b32_e32 v19, 0xff7fffff
	v_add_u32_e32 v21, 64, v4
	v_xor_b32_e32 v22, 4, v20
	v_xor_b32_e32 v23, 2, v20
	;; [unrolled: 1-line block ×3, first 2 shown]
	v_mov_b32_e32 v13, 0xff7fffff
	v_mov_b32_e32 v25, v14
	s_branch .LBB142_14
.LBB142_12:                             ;   in Loop: Header=BB142_14 Depth=1
	s_or_b64 exec, exec, s[44:45]
.LBB142_13:                             ;   in Loop: Header=BB142_14 Depth=1
	s_or_b64 exec, exec, s[10:11]
	v_add_co_u32_e64 v2, s[4:5], 8, v2
	v_add_u32_e32 v25, 2, v25
	v_addc_co_u32_e64 v3, s[4:5], 0, v3, s[4:5]
	v_cmp_le_i32_e64 s[4:5], s24, v25
	v_add_u32_e32 v16, 16, v16
	s_or_b64 s[12:13], s[4:5], s[12:13]
	v_add_u32_e32 v17, 64, v17
	s_andn2_b64 exec, exec, s[12:13]
	s_cbranch_execz .LBB142_19
.LBB142_14:                             ; =>This Inner Loop Header: Depth=1
	s_waitcnt lgkmcnt(0)
	v_sub_u32_e32 v5, 0, v16
	v_max_i32_e32 v5, v16, v5
	v_mul_hi_u32 v26, v5, s31
	v_mul_lo_u32 v27, v26, s16
	v_sub_u32_e32 v5, v5, v27
	v_add_u32_e32 v27, 1, v26
	v_cmp_le_u32_e64 s[4:5], s16, v5
	v_cndmask_b32_e64 v26, v26, v27, s[4:5]
	v_subrev_u32_e32 v27, s16, v5
	v_cndmask_b32_e64 v5, v5, v27, s[4:5]
	v_ashrrev_i32_e32 v4, 31, v16
	v_add_u32_e32 v27, 1, v26
	v_cmp_le_u32_e64 s[4:5], s16, v5
	v_xor_b32_e32 v4, s27, v4
	v_cndmask_b32_e64 v5, v26, v27, s[4:5]
	v_xor_b32_e32 v5, v5, v4
	v_sub_u32_e32 v4, v5, v4
	v_add_u32_e32 v5, s46, v4
	v_sub_u32_e32 v27, 0, v5
	v_ashrrev_i32_e32 v26, 31, v5
	v_max_i32_e32 v5, v5, v27
	v_mul_hi_u32 v27, v5, v12
	v_mul_lo_u32 v27, v27, s19
	v_sub_u32_e32 v5, v5, v27
	v_subrev_u32_e32 v27, s19, v5
	v_cmp_le_u32_e64 s[4:5], s19, v5
	v_cndmask_b32_e64 v5, v5, v27, s[4:5]
	v_subrev_u32_e32 v27, s19, v5
	v_cmp_le_u32_e64 s[4:5], s19, v5
	v_cndmask_b32_e64 v5, v5, v27, s[4:5]
	v_xor_b32_e32 v5, v5, v26
	v_sub_u32_e32 v5, v5, v26
	v_cmp_ne_u32_e64 s[4:5], 0, v5
	v_cmp_ge_i32_e64 s[10:11], s50, v4
	s_and_b64 s[4:5], s[4:5], s[10:11]
	s_and_b64 s[44:45], vcc, s[4:5]
	s_and_saveexec_b64 s[10:11], s[44:45]
	s_cbranch_execz .LBB142_16
; %bb.15:                               ;   in Loop: Header=BB142_14 Depth=1
	ds_write_b32 v17, v19
.LBB142_16:                             ;   in Loop: Header=BB142_14 Depth=1
	s_or_b64 exec, exec, s[10:11]
	s_xor_b64 s[4:5], s[4:5], -1
	s_and_saveexec_b64 s[10:11], s[4:5]
	s_cbranch_execz .LBB142_13
; %bb.17:                               ;   in Loop: Header=BB142_14 Depth=1
	global_load_dword v4, v[2:3], off
	ds_read_b128 v[26:29], v11
	ds_read_b128 v[30:33], v11 offset:16
	ds_read_b128 v[34:37], v11 offset:32
	;; [unrolled: 1-line block ×3, first 2 shown]
	s_waitcnt lgkmcnt(3)
	v_lshlrev_b32_e32 v42, 16, v26
	v_and_b32_e32 v26, 0xffff0000, v26
	v_lshlrev_b32_e32 v43, 16, v27
	v_and_b32_e32 v27, 0xffff0000, v27
	v_lshlrev_b32_e32 v44, 16, v28
	v_and_b32_e32 v28, 0xffff0000, v28
	v_lshlrev_b32_e32 v45, 16, v29
	v_and_b32_e32 v29, 0xffff0000, v29
	s_waitcnt lgkmcnt(2)
	v_lshlrev_b32_e32 v46, 16, v30
	v_and_b32_e32 v30, 0xffff0000, v30
	v_lshlrev_b32_e32 v47, 16, v31
	v_and_b32_e32 v31, 0xffff0000, v31
	v_lshlrev_b32_e32 v48, 16, v32
	v_and_b32_e32 v32, 0xffff0000, v32
	v_lshlrev_b32_e32 v49, 16, v33
	v_and_b32_e32 v33, 0xffff0000, v33
	s_waitcnt lgkmcnt(1)
	v_lshlrev_b32_e32 v50, 16, v34
	v_and_b32_e32 v34, 0xffff0000, v34
	v_lshlrev_b32_e32 v51, 16, v35
	v_and_b32_e32 v35, 0xffff0000, v35
	v_lshlrev_b32_e32 v52, 16, v36
	v_and_b32_e32 v36, 0xffff0000, v36
	v_lshlrev_b32_e32 v53, 16, v37
	v_and_b32_e32 v37, 0xffff0000, v37
	s_waitcnt lgkmcnt(0)
	v_lshlrev_b32_e32 v54, 16, v38
	v_and_b32_e32 v38, 0xffff0000, v38
	v_lshlrev_b32_e32 v63, 16, v39
	v_and_b32_e32 v39, 0xffff0000, v39
	v_lshlrev_b32_e32 v64, 16, v40
	v_and_b32_e32 v40, 0xffff0000, v40
	v_lshlrev_b32_e32 v65, 16, v41
	v_and_b32_e32 v41, 0xffff0000, v41
	s_waitcnt vmcnt(0)
	v_mad_i64_i32 v[4:5], s[4:5], v4, s51, 0
	v_lshlrev_b64 v[4:5], 1, v[4:5]
	v_add_co_u32_e64 v4, s[4:5], v9, v4
	v_addc_co_u32_e64 v5, s[4:5], v10, v5, s[4:5]
	global_load_ushort v55, v[4:5], off offset:256
	global_load_ushort v56, v[4:5], off offset:384
	;; [unrolled: 1-line block ×7, first 2 shown]
	global_load_ushort v62, v[4:5], off
	global_load_ushort v66, v[4:5], off offset:1024
	global_load_ushort v67, v[4:5], off offset:1152
	;; [unrolled: 1-line block ×23, first 2 shown]
	s_nop 0
	global_load_ushort v4, v[4:5], off offset:3968
	v_cmp_lt_i32_e64 s[4:5], v22, v21
	v_cndmask_b32_e64 v5, v20, v22, s[4:5]
	v_lshlrev_b32_e32 v5, 2, v5
	v_cmp_lt_i32_e64 s[4:5], v23, v21
	s_waitcnt vmcnt(23)
	v_lshlrev_b32_e32 v66, 16, v66
	s_waitcnt vmcnt(22)
	v_lshlrev_b32_e32 v67, 16, v67
	;; [unrolled: 2-line block ×15, first 2 shown]
	v_lshlrev_b32_e32 v55, 16, v55
	v_lshlrev_b32_e32 v56, 16, v56
	;; [unrolled: 1-line block ×8, first 2 shown]
	v_mul_f32_e32 v26, v26, v61
	v_fmac_f32_e32 v26, v42, v62
	v_fmac_f32_e32 v26, v43, v55
	;; [unrolled: 1-line block ×21, first 2 shown]
	s_waitcnt vmcnt(8)
	v_lshlrev_b32_e32 v81, 16, v81
	v_fmac_f32_e32 v26, v53, v80
	s_waitcnt vmcnt(7)
	v_lshlrev_b32_e32 v82, 16, v82
	v_fmac_f32_e32 v26, v37, v81
	;; [unrolled: 3-line block ×8, first 2 shown]
	v_fmac_f32_e32 v26, v65, v88
	s_waitcnt vmcnt(0)
	v_lshlrev_b32_e32 v4, 16, v4
	v_fmac_f32_e32 v26, v41, v4
	ds_bpermute_b32 v4, v5, v26
	v_cndmask_b32_e64 v5, v20, v23, s[4:5]
	v_lshlrev_b32_e32 v5, 2, v5
	v_cmp_lt_i32_e64 s[4:5], v24, v21
	s_waitcnt lgkmcnt(0)
	v_add_f32_e32 v4, v26, v4
	ds_bpermute_b32 v5, v5, v4
	v_cndmask_b32_e64 v26, v20, v24, s[4:5]
	v_lshlrev_b32_e32 v26, 2, v26
	s_waitcnt lgkmcnt(0)
	v_add_f32_e32 v4, v4, v5
	ds_bpermute_b32 v5, v26, v4
	s_and_saveexec_b64 s[44:45], vcc
	s_cbranch_execz .LBB142_12
; %bb.18:                               ;   in Loop: Header=BB142_14 Depth=1
	v_add_u32_e32 v26, v18, v16
	v_cvt_f32_i32_e32 v26, v26
	s_waitcnt lgkmcnt(0)
	v_add_f32_e32 v4, v4, v5
	v_add_u32_e32 v27, v8, v16
	v_cmp_gt_i32_e64 s[4:5], s35, v27
	v_mul_f32_e32 v5, s7, v26
	v_cndmask_b32_e64 v5, 0, v5, s[2:3]
	v_fmac_f32_e32 v5, s41, v4
	v_cndmask_b32_e64 v4, 0, v5, s[4:5]
	ds_write_b32 v17, v4
	v_max_f32_e32 v4, v13, v13
	v_max_f32_e32 v4, v4, v5
	v_cndmask_b32_e64 v13, v13, v4, s[4:5]
	s_branch .LBB142_12
.LBB142_19:
	s_or_b64 exec, exec, s[12:13]
.LBB142_20:
	s_or_b64 exec, exec, s[42:43]
	v_mbcnt_hi_u32_b32 v2, -1, v7
	v_and_b32_e32 v3, 64, v2
	v_add_u32_e32 v3, 64, v3
	v_xor_b32_e32 v4, 32, v2
	v_cmp_lt_i32_e32 vcc, v4, v3
	v_cndmask_b32_e32 v4, v2, v4, vcc
	v_lshlrev_b32_e32 v7, 2, v4
	ds_bpermute_b32 v4, v7, v13
	v_xor_b32_e32 v8, 16, v2
	s_waitcnt lgkmcnt(1)
	v_max_f32_e32 v5, v13, v13
	v_cmp_lt_i32_e32 vcc, v8, v3
	v_and_b32_e32 v18, 63, v0
	s_waitcnt lgkmcnt(0)
	v_max_f32_e32 v4, v4, v4
	v_max_f32_e32 v4, v5, v4
	v_cndmask_b32_e32 v5, v2, v8, vcc
	v_lshlrev_b32_e32 v9, 2, v5
	ds_bpermute_b32 v5, v9, v4
	v_xor_b32_e32 v8, 8, v2
	v_cmp_lt_i32_e32 vcc, v8, v3
	s_waitcnt lgkmcnt(0)
	v_max_f32_e32 v5, v5, v5
	v_max_f32_e32 v4, v4, v5
	v_cndmask_b32_e32 v5, v2, v8, vcc
	v_lshlrev_b32_e32 v10, 2, v5
	ds_bpermute_b32 v8, v10, v4
	v_cmp_eq_u32_e32 vcc, 0, v18
	v_lshlrev_b32_e32 v5, 2, v6
	s_and_saveexec_b64 s[2:3], vcc
	s_cbranch_execz .LBB142_22
; %bb.21:
	s_waitcnt lgkmcnt(0)
	v_max_f32_e32 v8, v8, v8
	v_max_f32_e32 v4, v4, v4
	v_max_f32_e32 v4, v4, v8
	ds_write_b32 v5, v4 offset:512
.LBB142_22:
	s_or_b64 exec, exec, s[2:3]
	v_cmp_gt_u32_e64 s[2:3], 2, v18
	v_mov_b32_e32 v4, 0xff7fffff
	s_waitcnt lgkmcnt(0)
	v_lshlrev_b32_e32 v8, 2, v18
	s_barrier
	s_and_saveexec_b64 s[4:5], s[2:3]
	s_cbranch_execz .LBB142_24
; %bb.23:
	ds_read_b32 v4, v8 offset:512
.LBB142_24:
	s_or_b64 exec, exec, s[4:5]
	v_xor_b32_e32 v11, 1, v2
	v_cmp_lt_i32_e64 s[4:5], v11, v3
	v_cndmask_b32_e64 v11, v2, v11, s[4:5]
	v_lshlrev_b32_e32 v11, 2, v11
	s_waitcnt lgkmcnt(0)
	ds_bpermute_b32 v12, v11, v4
	v_max_f32_e32 v4, v4, v4
	s_sub_i32 s4, s24, s40
	s_lshl_b32 s4, s4, 3
	s_add_i32 s4, s4, s49
	s_waitcnt lgkmcnt(0)
	v_max_f32_e32 v12, v12, v12
	v_max_f32_e32 v4, v4, v12
	v_lshlrev_b32_e32 v12, 2, v2
	v_and_b32_e32 v12, 0x100, v12
	ds_bpermute_b32 v4, v12, v4
	s_min_i32 s19, s4, s35
	s_sub_i32 s7, s19, s49
	v_cmp_gt_i32_e64 s[4:5], s7, v0
	v_mov_b32_e32 v13, 0
	s_and_saveexec_b64 s[12:13], s[4:5]
	s_cbranch_execz .LBB142_28
; %bb.25:
	v_mov_b32_e32 v13, 0x210
	v_lshl_add_u32 v16, v0, 2, v13
	s_mov_b64 s[40:41], 0
	v_mov_b32_e32 v13, 0
	v_mov_b32_e32 v17, v0
.LBB142_26:                             ; =>This Inner Loop Header: Depth=1
	ds_read_b32 v19, v16
	v_add_u32_e32 v17, 0x80, v17
	v_cmp_le_i32_e64 s[10:11], s7, v17
	s_or_b64 s[40:41], s[10:11], s[40:41]
	s_waitcnt lgkmcnt(0)
	v_sub_f32_e32 v19, v19, v4
	v_mul_f32_e32 v19, 0x3fb8aa3b, v19
	v_exp_f32_e32 v19, v19
	ds_write_b32 v16, v19
	v_add_f32_e32 v13, v13, v19
	v_add_u32_e32 v16, 0x200, v16
	s_andn2_b64 exec, exec, s[40:41]
	s_cbranch_execnz .LBB142_26
; %bb.27:
	s_or_b64 exec, exec, s[40:41]
.LBB142_28:
	s_or_b64 exec, exec, s[12:13]
	ds_bpermute_b32 v7, v7, v13
	s_waitcnt lgkmcnt(0)
	v_add_f32_e32 v7, v13, v7
	ds_bpermute_b32 v9, v9, v7
	s_waitcnt lgkmcnt(0)
	v_add_f32_e32 v7, v7, v9
	ds_bpermute_b32 v9, v10, v7
	v_xor_b32_e32 v10, 4, v2
	v_cmp_lt_i32_e64 s[10:11], v10, v3
	v_cndmask_b32_e64 v10, v2, v10, s[10:11]
	v_lshlrev_b32_e32 v10, 2, v10
	s_waitcnt lgkmcnt(0)
	v_add_f32_e32 v7, v7, v9
	ds_bpermute_b32 v9, v10, v7
	v_xor_b32_e32 v10, 2, v2
	v_cmp_lt_i32_e64 s[10:11], v10, v3
	v_cndmask_b32_e64 v2, v2, v10, s[10:11]
	v_lshlrev_b32_e32 v2, 2, v2
	s_waitcnt lgkmcnt(0)
	v_add_f32_e32 v3, v7, v9
	ds_bpermute_b32 v2, v2, v3
	s_waitcnt lgkmcnt(0)
	v_add_f32_e32 v2, v3, v2
	ds_bpermute_b32 v3, v11, v2
	s_waitcnt lgkmcnt(0)
	v_add_f32_e32 v2, v2, v3
	s_and_saveexec_b64 s[10:11], vcc
	s_cbranch_execz .LBB142_30
; %bb.29:
	ds_write_b32 v5, v2 offset:520
.LBB142_30:
	s_or_b64 exec, exec, s[10:11]
	s_waitcnt lgkmcnt(0)
	s_barrier
	s_and_saveexec_b64 s[10:11], s[2:3]
	s_cbranch_execz .LBB142_32
; %bb.31:
	ds_read_b32 v2, v8 offset:520
.LBB142_32:
	s_or_b64 exec, exec, s[10:11]
	s_waitcnt lgkmcnt(0)
	ds_bpermute_b32 v3, v11, v2
	s_waitcnt lgkmcnt(0)
	v_add_f32_e32 v2, v2, v3
	ds_bpermute_b32 v5, v12, v2
	s_and_saveexec_b64 s[2:3], s[4:5]
	s_cbranch_execz .LBB142_45
; %bb.33:
	s_waitcnt lgkmcnt(0)
	v_add_f32_e32 v2, 0x358637bd, v5
	v_div_scale_f32 v3, s[4:5], v2, v2, 1.0
	v_rcp_f32_e32 v7, v3
	v_div_scale_f32 v8, vcc, 1.0, v2, 1.0
	s_movk_i32 s4, 0x7f
	v_fma_f32 v9, -v3, v7, 1.0
	v_fmac_f32_e32 v7, v9, v7
	v_mul_f32_e32 v9, v8, v7
	v_fma_f32 v10, -v3, v9, v8
	v_fmac_f32_e32 v9, v10, v7
	v_fma_f32 v3, -v3, v9, v8
	v_div_fmas_f32 v3, v3, v7, v9
	v_div_fixup_f32 v2, v3, v2, 1.0
	v_xad_u32 v3, v0, -1, s19
	v_subrev_u32_e32 v7, s49, v3
	v_cmp_lt_u32_e32 vcc, s4, v7
	s_mov_b64 s[10:11], -1
	v_mov_b32_e32 v3, v0
	s_and_saveexec_b64 s[4:5], vcc
	s_cbranch_execz .LBB142_42
; %bb.34:
	v_lshrrev_b32_e32 v7, 7, v7
	v_add_u32_e32 v9, -1, v7
	v_lshrrev_b32_e32 v8, 1, v9
	v_mov_b32_e32 v3, v2
	v_add_u32_e32 v8, 1, v8
	v_cmp_lt_u32_e32 vcc, 13, v9
	v_mov_b32_e32 v11, 0
	s_and_saveexec_b64 s[10:11], vcc
	s_cbranch_execz .LBB142_38
; %bb.35:
	v_mov_b32_e32 v10, 0x210
	v_and_b32_e32 v9, -8, v8
	v_lshl_add_u32 v10, v0, 2, v10
	s_mov_b32 s19, 0
	s_mov_b64 s[12:13], 0
.LBB142_36:                             ; =>This Inner Loop Header: Depth=1
	ds_read2st64_b32 v[12:13], v10 offset1:2
	ds_read2st64_b32 v[16:17], v10 offset0:4 offset1:6
	ds_read2st64_b32 v[20:21], v10 offset0:8 offset1:10
	;; [unrolled: 1-line block ×3, first 2 shown]
	v_add_u32_e32 v9, -8, v9
	s_waitcnt lgkmcnt(3)
	v_pk_mul_f32 v[12:13], v[2:3], v[12:13]
	s_waitcnt lgkmcnt(2)
	v_pk_mul_f32 v[16:17], v[2:3], v[16:17]
	ds_write2st64_b32 v10, v12, v13 offset1:2
	ds_write2st64_b32 v10, v16, v17 offset0:4 offset1:6
	ds_read2st64_b32 v[16:17], v10 offset0:16 offset1:18
	s_waitcnt lgkmcnt(4)
	v_pk_mul_f32 v[12:13], v[2:3], v[20:21]
	ds_write2st64_b32 v10, v12, v13 offset0:8 offset1:10
	s_waitcnt lgkmcnt(4)
	v_pk_mul_f32 v[12:13], v[2:3], v[22:23]
	ds_write2st64_b32 v10, v12, v13 offset0:12 offset1:14
	ds_read2st64_b32 v[12:13], v10 offset0:20 offset1:22
	s_waitcnt lgkmcnt(3)
	v_pk_mul_f32 v[16:17], v[2:3], v[16:17]
	ds_read2st64_b32 v[20:21], v10 offset0:24 offset1:26
	ds_write2st64_b32 v10, v16, v17 offset0:16 offset1:18
	ds_read2st64_b32 v[16:17], v10 offset0:28 offset1:30
	s_waitcnt lgkmcnt(3)
	v_pk_mul_f32 v[12:13], v[2:3], v[12:13]
	ds_write2st64_b32 v10, v12, v13 offset0:20 offset1:22
	s_waitcnt lgkmcnt(3)
	v_pk_mul_f32 v[12:13], v[2:3], v[20:21]
	ds_write2st64_b32 v10, v12, v13 offset0:24 offset1:26
	s_waitcnt lgkmcnt(2)
	v_pk_mul_f32 v[12:13], v[2:3], v[16:17]
	s_add_i32 s19, s19, 16
	v_cmp_eq_u32_e32 vcc, 0, v9
	ds_write2st64_b32 v10, v12, v13 offset0:28 offset1:30
	v_add_u32_e32 v10, 0x2000, v10
	s_or_b64 s[12:13], vcc, s[12:13]
	v_mov_b32_e32 v11, s19
	s_andn2_b64 exec, exec, s[12:13]
	s_cbranch_execnz .LBB142_36
; %bb.37:
	s_or_b64 exec, exec, s[12:13]
.LBB142_38:
	s_or_b64 exec, exec, s[10:11]
	v_and_b32_e32 v8, 7, v8
	v_cmp_ne_u32_e32 vcc, 0, v8
	s_and_saveexec_b64 s[10:11], vcc
	s_cbranch_execz .LBB142_41
; %bb.39:
	v_lshlrev_b32_e32 v9, 9, v11
	v_lshlrev_b32_e32 v10, 2, v0
	s_movk_i32 s12, 0x210
	v_add3_u32 v9, v9, v10, s12
	s_mov_b64 s[12:13], 0
.LBB142_40:                             ; =>This Inner Loop Header: Depth=1
	ds_read2st64_b32 v[10:11], v9 offset1:2
	v_add_u32_e32 v8, -1, v8
	v_cmp_eq_u32_e32 vcc, 0, v8
	s_or_b64 s[12:13], vcc, s[12:13]
	s_waitcnt lgkmcnt(0)
	v_pk_mul_f32 v[10:11], v[2:3], v[10:11]
	ds_write2st64_b32 v9, v10, v11 offset1:2
	v_add_u32_e32 v9, 0x400, v9
	s_andn2_b64 exec, exec, s[12:13]
	s_cbranch_execnz .LBB142_40
.LBB142_41:
	s_or_b64 exec, exec, s[10:11]
	v_add_u32_e32 v7, 1, v7
	v_and_b32_e32 v8, 0x3fffffe, v7
	v_cmp_ne_u32_e32 vcc, v7, v8
	v_lshl_add_u32 v3, v8, 7, v0
	s_orn2_b64 s[10:11], vcc, exec
.LBB142_42:
	s_or_b64 exec, exec, s[4:5]
	s_and_b64 exec, exec, s[10:11]
	s_cbranch_execz .LBB142_45
; %bb.43:
	v_mov_b32_e32 v7, 0x210
	v_lshl_add_u32 v7, v3, 2, v7
	s_mov_b64 s[4:5], 0
.LBB142_44:                             ; =>This Inner Loop Header: Depth=1
	ds_read_b32 v8, v7
	v_add_u32_e32 v3, 0x80, v3
	v_cmp_le_i32_e32 vcc, s7, v3
	s_or_b64 s[4:5], vcc, s[4:5]
	s_waitcnt lgkmcnt(0)
	v_mul_f32_e32 v8, v2, v8
	ds_write_b32 v7, v8
	v_add_u32_e32 v7, 0x200, v7
	s_andn2_b64 exec, exec, s[4:5]
	s_cbranch_execnz .LBB142_44
.LBB142_45:
	s_or_b64 exec, exec, s[2:3]
	s_mul_i32 s2, s33, s34
	s_mov_b32 s4, 0
	v_cmp_eq_u32_e32 vcc, 0, v0
	s_mul_i32 s2, s2, s9
	s_waitcnt lgkmcnt(0)
	s_barrier
	s_and_saveexec_b64 s[10:11], vcc
	s_cbranch_execz .LBB142_47
; %bb.46:
	s_ashr_i32 s3, s2, 31
	s_lshl_b64 s[12:13], s[2:3], 2
	s_add_u32 s3, s22, s12
	s_mul_i32 s6, s33, s6
	s_addc_u32 s5, s23, s13
	s_ashr_i32 s7, s6, 31
	s_lshl_b64 s[6:7], s[6:7], 2
	s_add_u32 s3, s3, s6
	s_addc_u32 s5, s5, s7
	s_ashr_i32 s9, s8, 31
	s_lshl_b64 s[22:23], s[8:9], 2
	s_add_u32 s40, s3, s22
	s_addc_u32 s41, s5, s23
	s_add_u32 s3, s20, s12
	s_addc_u32 s5, s21, s13
	;; [unrolled: 2-line block ×3, first 2 shown]
	s_add_u32 s6, s3, s22
	v_mov_b32_e32 v2, 0
	s_addc_u32 s7, s5, s23
	global_store_dword v2, v4, s[40:41]
	global_store_dword v2, v5, s[6:7]
.LBB142_47:
	s_or_b64 exec, exec, s[10:11]
	s_mov_b32 s5, s4
	s_mov_b32 s6, s4
	s_mov_b32 s7, s4
	v_pk_mov_b32 v[2:3], s[4:5], s[4:5] op_sel:[0,1]
	v_pk_mov_b32 v[4:5], s[6:7], s[6:7] op_sel:[0,1]
	s_and_saveexec_b64 s[4:5], s[0:1]
	s_cbranch_execz .LBB142_221
; %bb.48:
	s_ashr_i32 s19, s18, 31
	s_sub_i32 s3, s48, s25
	s_lshl_b64 s[0:1], s[18:19], 1
	s_add_u32 s0, s14, s0
	s_addc_u32 s1, s15, s1
	s_abs_i32 s9, s26
	v_cvt_f32_u32_e32 v2, s9
	v_lshlrev_b32_e32 v3, 4, v18
	s_sub_i32 s6, 0, s9
	s_add_i32 s15, s47, -1
	v_rcp_iflag_f32_e32 v2, v2
	v_mov_b32_e32 v4, s1
	v_add_co_u32_e32 v20, vcc, s0, v3
	v_mul_f32_e32 v2, 0x4f7ffffe, v2
	v_cvt_u32_f32_e32 v2, v2
	s_lshl_b64 s[0:1], s[38:39], 2
	s_add_u32 s0, s36, s0
	s_mov_b32 s20, 0
	v_mul_lo_u32 v5, s6, v2
	v_mul_hi_u32 v5, v2, v5
	v_add_u32_e32 v19, v2, v5
	v_addc_co_u32_e32 v21, vcc, 0, v4, vcc
	v_lshlrev_b64 v[2:3], 2, v[14:15]
	s_addc_u32 s1, s37, s1
	v_mov_b32_e32 v4, s1
	v_add_co_u32_e32 v16, vcc, s0, v2
	v_mov_b32_e32 v2, 0x210
	s_mov_b32 s21, s20
	v_addc_co_u32_e32 v17, vcc, v4, v3, vcc
	v_lshl_add_u32 v15, v6, 5, v2
	s_mov_b32 s22, s20
	s_mov_b32 s23, s20
	v_pk_mov_b32 v[2:3], s[20:21], s[20:21] op_sel:[0,1]
	s_mov_b32 s14, s17
	s_mov_b64 s[6:7], 0
	v_pk_mov_b32 v[4:5], s[22:23], s[22:23] op_sel:[0,1]
	s_mov_b32 s17, 0x7f800000
	s_movk_i32 s18, 0x7fff
	v_mov_b32_e32 v22, 0
	s_branch .LBB142_51
.LBB142_49:                             ;   in Loop: Header=BB142_51 Depth=1
	s_or_b64 exec, exec, s[0:1]
	v_and_b32_e32 v30, 0xffff0000, v26
	v_and_b32_e32 v26, 0xffff0000, v25
	;; [unrolled: 1-line block ×8, first 2 shown]
	v_pk_add_f32 v[12:13], v[12:13], v[24:25]
	v_pk_add_f32 v[24:25], v[26:27], v[30:31]
	v_add_f32_e32 v12, v12, v13
	v_add_f32_e32 v12, v12, v24
	;; [unrolled: 1-line block ×3, first 2 shown]
	v_and_b32_e32 v27, 0xffff0000, v47
	v_and_b32_e32 v26, 0xffff0000, v45
	;; [unrolled: 1-line block ×4, first 2 shown]
	v_add_f32_e32 v2, v2, v12
	v_and_b32_e32 v13, 0xffff0000, v51
	v_and_b32_e32 v12, 0xffff0000, v49
	;; [unrolled: 1-line block ×4, first 2 shown]
	v_pk_add_f32 v[26:27], v[30:31], v[26:27]
	v_pk_add_f32 v[12:13], v[24:25], v[12:13]
	v_add_f32_e32 v23, v26, v27
	v_add_f32_e32 v12, v23, v12
	;; [unrolled: 1-line block ×3, first 2 shown]
	v_and_b32_e32 v27, 0xffff0000, v55
	v_and_b32_e32 v26, 0xffff0000, v53
	;; [unrolled: 1-line block ×4, first 2 shown]
	v_add_f32_e32 v3, v3, v12
	v_and_b32_e32 v13, 0xffff0000, v59
	v_and_b32_e32 v12, 0xffff0000, v57
	;; [unrolled: 1-line block ×4, first 2 shown]
	v_pk_add_f32 v[26:27], v[30:31], v[26:27]
	v_pk_add_f32 v[12:13], v[24:25], v[12:13]
	v_add_f32_e32 v23, v26, v27
	v_add_f32_e32 v12, v23, v12
	;; [unrolled: 1-line block ×3, first 2 shown]
	v_and_b32_e32 v13, 0xffff0000, v11
	v_and_b32_e32 v11, 0xffff0000, v28
	;; [unrolled: 1-line block ×5, first 2 shown]
	v_add_f32_e32 v4, v4, v12
	v_and_b32_e32 v12, 0xffff0000, v29
	v_and_b32_e32 v9, 0xffff0000, v9
	;; [unrolled: 1-line block ×3, first 2 shown]
	v_pk_add_f32 v[6:7], v[6:7], v[10:11]
	v_pk_add_f32 v[8:9], v[8:9], v[12:13]
	v_add_f32_e32 v6, v6, v7
	v_add_f32_e32 v6, v6, v8
	;; [unrolled: 1-line block ×4, first 2 shown]
.LBB142_50:                             ;   in Loop: Header=BB142_51 Depth=1
	s_or_b64 exec, exec, s[10:11]
	v_add_co_u32_e32 v16, vcc, 8, v16
	v_add_u32_e32 v14, 2, v14
	v_addc_co_u32_e32 v17, vcc, 0, v17, vcc
	v_cmp_le_i32_e32 vcc, s24, v14
	v_add_u32_e32 v1, 16, v1
	s_or_b64 s[6:7], vcc, s[6:7]
	v_add_u32_e32 v15, 64, v15
	s_andn2_b64 exec, exec, s[6:7]
	s_cbranch_execz .LBB142_220
.LBB142_51:                             ; =>This Inner Loop Header: Depth=1
	v_sub_u32_e32 v7, 0, v1
	v_max_i32_e32 v7, v1, v7
	v_mul_hi_u32 v8, v7, s31
	v_mul_lo_u32 v9, v8, s16
	v_sub_u32_e32 v7, v7, v9
	v_add_u32_e32 v9, 1, v8
	v_cmp_le_u32_e32 vcc, s16, v7
	v_cndmask_b32_e32 v8, v8, v9, vcc
	v_subrev_u32_e32 v9, s16, v7
	v_cndmask_b32_e32 v7, v7, v9, vcc
	v_ashrrev_i32_e32 v6, 31, v1
	v_add_u32_e32 v9, 1, v8
	v_cmp_le_u32_e32 vcc, s16, v7
	v_xor_b32_e32 v6, s27, v6
	v_cndmask_b32_e32 v7, v8, v9, vcc
	v_xor_b32_e32 v7, v7, v6
	v_sub_u32_e32 v6, v7, v6
	v_add_u32_e32 v7, s46, v6
	v_sub_u32_e32 v9, 0, v7
	v_ashrrev_i32_e32 v8, 31, v7
	v_max_i32_e32 v7, v7, v9
	v_mul_hi_u32 v9, v7, v19
	v_mul_lo_u32 v9, v9, s9
	v_sub_u32_e32 v7, v7, v9
	v_subrev_u32_e32 v9, s9, v7
	v_cmp_le_u32_e32 vcc, s9, v7
	v_cndmask_b32_e32 v7, v7, v9, vcc
	v_subrev_u32_e32 v9, s9, v7
	v_cmp_le_u32_e32 vcc, s9, v7
	v_cndmask_b32_e32 v7, v7, v9, vcc
	v_xor_b32_e32 v7, v7, v8
	v_sub_u32_e32 v7, v7, v8
	v_cmp_eq_u32_e32 vcc, 0, v7
	v_cmp_lt_i32_e64 s[0:1], s3, v6
	s_or_b64 s[0:1], vcc, s[0:1]
	s_and_saveexec_b64 s[10:11], s[0:1]
	s_cbranch_execz .LBB142_50
; %bb.52:                               ;   in Loop: Header=BB142_51 Depth=1
	global_load_dword v28, v[16:17], off
	ds_read2_b64 v[10:13], v15 offset1:1
	ds_read2_b64 v[6:9], v15 offset0:2 offset1:3
                                        ; implicit-def: $vgpr36
	s_waitcnt lgkmcnt(1)
	v_and_b32_e32 v23, 0x7f800000, v10
	v_cmp_ne_u32_e32 vcc, s17, v23
	s_and_saveexec_b64 s[0:1], vcc
	s_xor_b64 s[0:1], exec, s[0:1]
; %bb.53:                               ;   in Loop: Header=BB142_51 Depth=1
	v_bfe_u32 v23, v10, 16, 1
	v_add3_u32 v36, v10, v23, s18
; %bb.54:                               ;   in Loop: Header=BB142_51 Depth=1
	s_andn2_saveexec_b64 s[0:1], s[0:1]
; %bb.55:                               ;   in Loop: Header=BB142_51 Depth=1
	v_or_b32_e32 v23, 0x10000, v10
	v_cmp_eq_u32_sdwa vcc, v10, v22 src0_sel:WORD_0 src1_sel:DWORD
	v_cndmask_b32_e32 v36, v23, v10, vcc
; %bb.56:                               ;   in Loop: Header=BB142_51 Depth=1
	s_or_b64 exec, exec, s[0:1]
	v_and_b32_e32 v10, 0x7f800000, v11
	v_cmp_ne_u32_e32 vcc, s17, v10
                                        ; implicit-def: $vgpr37
	s_and_saveexec_b64 s[0:1], vcc
	s_xor_b64 s[0:1], exec, s[0:1]
; %bb.57:                               ;   in Loop: Header=BB142_51 Depth=1
	v_bfe_u32 v10, v11, 16, 1
	v_add3_u32 v37, v11, v10, s18
; %bb.58:                               ;   in Loop: Header=BB142_51 Depth=1
	s_andn2_saveexec_b64 s[0:1], s[0:1]
; %bb.59:                               ;   in Loop: Header=BB142_51 Depth=1
	v_or_b32_e32 v10, 0x10000, v11
	v_cmp_eq_u32_sdwa vcc, v11, v22 src0_sel:WORD_0 src1_sel:DWORD
	v_cndmask_b32_e32 v37, v10, v11, vcc
; %bb.60:                               ;   in Loop: Header=BB142_51 Depth=1
	s_or_b64 exec, exec, s[0:1]
	v_and_b32_e32 v10, 0x7f800000, v12
	v_cmp_ne_u32_e32 vcc, s17, v10
                                        ; implicit-def: $vgpr23
	s_and_saveexec_b64 s[0:1], vcc
	s_xor_b64 s[0:1], exec, s[0:1]
; %bb.61:                               ;   in Loop: Header=BB142_51 Depth=1
	v_bfe_u32 v10, v12, 16, 1
	v_add3_u32 v23, v12, v10, s18
; %bb.62:                               ;   in Loop: Header=BB142_51 Depth=1
	s_andn2_saveexec_b64 s[0:1], s[0:1]
; %bb.63:                               ;   in Loop: Header=BB142_51 Depth=1
	v_or_b32_e32 v10, 0x10000, v12
	v_cmp_eq_u32_sdwa vcc, v12, v22 src0_sel:WORD_0 src1_sel:DWORD
	v_cndmask_b32_e32 v23, v10, v12, vcc
; %bb.64:                               ;   in Loop: Header=BB142_51 Depth=1
	s_or_b64 exec, exec, s[0:1]
	v_and_b32_e32 v10, 0x7f800000, v13
	v_cmp_ne_u32_e32 vcc, s17, v10
                                        ; implicit-def: $vgpr24
	s_and_saveexec_b64 s[0:1], vcc
	s_xor_b64 s[0:1], exec, s[0:1]
; %bb.65:                               ;   in Loop: Header=BB142_51 Depth=1
	v_bfe_u32 v10, v13, 16, 1
	v_add3_u32 v24, v13, v10, s18
                                        ; implicit-def: $vgpr10_vgpr11_vgpr12_vgpr13
; %bb.66:                               ;   in Loop: Header=BB142_51 Depth=1
	s_andn2_saveexec_b64 s[0:1], s[0:1]
; %bb.67:                               ;   in Loop: Header=BB142_51 Depth=1
	v_or_b32_e32 v10, 0x10000, v13
	v_cmp_eq_u32_sdwa vcc, v13, v22 src0_sel:WORD_0 src1_sel:DWORD
	v_cndmask_b32_e32 v24, v10, v13, vcc
; %bb.68:                               ;   in Loop: Header=BB142_51 Depth=1
	s_or_b64 exec, exec, s[0:1]
	s_waitcnt lgkmcnt(0)
	v_and_b32_e32 v10, 0x7f800000, v6
	v_cmp_ne_u32_e32 vcc, s17, v10
                                        ; implicit-def: $vgpr25
	s_and_saveexec_b64 s[0:1], vcc
	s_xor_b64 s[0:1], exec, s[0:1]
; %bb.69:                               ;   in Loop: Header=BB142_51 Depth=1
	v_bfe_u32 v10, v6, 16, 1
	v_add3_u32 v25, v6, v10, s18
; %bb.70:                               ;   in Loop: Header=BB142_51 Depth=1
	s_andn2_saveexec_b64 s[0:1], s[0:1]
; %bb.71:                               ;   in Loop: Header=BB142_51 Depth=1
	v_or_b32_e32 v10, 0x10000, v6
	v_cmp_eq_u32_sdwa vcc, v6, v22 src0_sel:WORD_0 src1_sel:DWORD
	v_cndmask_b32_e32 v25, v10, v6, vcc
; %bb.72:                               ;   in Loop: Header=BB142_51 Depth=1
	s_or_b64 exec, exec, s[0:1]
	v_and_b32_e32 v6, 0x7f800000, v7
	v_cmp_ne_u32_e32 vcc, s17, v6
                                        ; implicit-def: $vgpr26
	s_and_saveexec_b64 s[0:1], vcc
	s_xor_b64 s[0:1], exec, s[0:1]
; %bb.73:                               ;   in Loop: Header=BB142_51 Depth=1
	v_bfe_u32 v6, v7, 16, 1
	v_add3_u32 v26, v7, v6, s18
; %bb.74:                               ;   in Loop: Header=BB142_51 Depth=1
	s_andn2_saveexec_b64 s[0:1], s[0:1]
; %bb.75:                               ;   in Loop: Header=BB142_51 Depth=1
	v_or_b32_e32 v6, 0x10000, v7
	v_cmp_eq_u32_sdwa vcc, v7, v22 src0_sel:WORD_0 src1_sel:DWORD
	v_cndmask_b32_e32 v26, v6, v7, vcc
; %bb.76:                               ;   in Loop: Header=BB142_51 Depth=1
	s_or_b64 exec, exec, s[0:1]
	v_and_b32_e32 v6, 0x7f800000, v8
	v_cmp_ne_u32_e32 vcc, s17, v6
                                        ; implicit-def: $vgpr27
	s_and_saveexec_b64 s[0:1], vcc
	s_xor_b64 s[0:1], exec, s[0:1]
; %bb.77:                               ;   in Loop: Header=BB142_51 Depth=1
	v_bfe_u32 v6, v8, 16, 1
	v_add3_u32 v27, v8, v6, s18
; %bb.78:                               ;   in Loop: Header=BB142_51 Depth=1
	s_andn2_saveexec_b64 s[0:1], s[0:1]
; %bb.79:                               ;   in Loop: Header=BB142_51 Depth=1
	v_or_b32_e32 v6, 0x10000, v8
	v_cmp_eq_u32_sdwa vcc, v8, v22 src0_sel:WORD_0 src1_sel:DWORD
	v_cndmask_b32_e32 v27, v6, v8, vcc
; %bb.80:                               ;   in Loop: Header=BB142_51 Depth=1
	s_or_b64 exec, exec, s[0:1]
	v_and_b32_e32 v6, 0x7f800000, v9
	v_cmp_ne_u32_e32 vcc, s17, v6
                                        ; implicit-def: $vgpr35
	s_and_saveexec_b64 s[0:1], vcc
	s_xor_b64 s[0:1], exec, s[0:1]
; %bb.81:                               ;   in Loop: Header=BB142_51 Depth=1
	v_bfe_u32 v6, v9, 16, 1
	v_add3_u32 v35, v9, v6, s18
                                        ; implicit-def: $vgpr6_vgpr7_vgpr8_vgpr9
; %bb.82:                               ;   in Loop: Header=BB142_51 Depth=1
	s_andn2_saveexec_b64 s[0:1], s[0:1]
; %bb.83:                               ;   in Loop: Header=BB142_51 Depth=1
	v_or_b32_e32 v6, 0x10000, v9
	v_cmp_eq_u32_sdwa vcc, v9, v22 src0_sel:WORD_0 src1_sel:DWORD
	v_cndmask_b32_e32 v35, v6, v9, vcc
; %bb.84:                               ;   in Loop: Header=BB142_51 Depth=1
	s_or_b64 exec, exec, s[0:1]
	s_waitcnt vmcnt(0)
	v_mad_i64_i32 v[6:7], s[0:1], v28, s14, 0
	v_lshlrev_b64 v[6:7], 1, v[6:7]
	v_add_co_u32_e32 v10, vcc, v20, v6
	v_addc_co_u32_e32 v11, vcc, v21, v7, vcc
	global_load_dwordx4 v[6:9], v[10:11], off
	v_cmp_eq_u32_e32 vcc, s15, v14
	v_add_u32_e32 v34, 1, v1
	v_add_u32_e32 v33, 2, v1
	v_add_u32_e32 v31, 3, v1
	v_add_u32_e32 v30, 4, v1
	v_add_u32_e32 v29, 5, v1
	v_add_u32_e32 v28, 6, v1
	v_add_u32_e32 v32, 7, v1
	s_waitcnt vmcnt(0)
	v_lshrrev_b32_e32 v13, 16, v6
	v_lshrrev_b32_e32 v40, 16, v7
	;; [unrolled: 1-line block ×4, first 2 shown]
	s_and_saveexec_b64 s[12:13], vcc
	s_cbranch_execz .LBB142_86
; %bb.85:                               ;   in Loop: Header=BB142_51 Depth=1
	v_cmp_gt_i32_e64 s[0:1], s35, v1
	v_cndmask_b32_e64 v6, 0, v6, s[0:1]
	v_cmp_gt_i32_e64 s[0:1], s35, v34
	v_cndmask_b32_e64 v13, 0, v13, s[0:1]
	;; [unrolled: 2-line block ×8, first 2 shown]
.LBB142_86:                             ;   in Loop: Header=BB142_51 Depth=1
	s_or_b64 exec, exec, s[12:13]
	v_and_b32_e32 v36, 0xffff0000, v36
	v_lshlrev_b32_e32 v6, 16, v6
	v_mul_f32_e32 v6, v36, v6
	v_and_b32_e32 v12, 0x7f800000, v6
	v_cmp_ne_u32_e64 s[0:1], s17, v12
                                        ; implicit-def: $vgpr12
	s_and_saveexec_b64 s[12:13], s[0:1]
	s_xor_b64 s[0:1], exec, s[12:13]
; %bb.87:                               ;   in Loop: Header=BB142_51 Depth=1
	v_bfe_u32 v12, v6, 16, 1
	v_add3_u32 v12, v6, v12, s18
                                        ; implicit-def: $vgpr6
; %bb.88:                               ;   in Loop: Header=BB142_51 Depth=1
	s_andn2_saveexec_b64 s[12:13], s[0:1]
; %bb.89:                               ;   in Loop: Header=BB142_51 Depth=1
	v_or_b32_e32 v12, 0x10000, v6
	v_cmp_eq_u32_sdwa s[0:1], v6, v22 src0_sel:WORD_0 src1_sel:DWORD
	v_cndmask_b32_e64 v12, v12, v6, s[0:1]
; %bb.90:                               ;   in Loop: Header=BB142_51 Depth=1
	s_or_b64 exec, exec, s[12:13]
	v_and_b32_e32 v37, 0xffff0000, v37
	v_lshlrev_b32_e32 v6, 16, v13
	v_mul_f32_e32 v6, v37, v6
	v_and_b32_e32 v13, 0x7f800000, v6
	v_cmp_ne_u32_e64 s[0:1], s17, v13
                                        ; implicit-def: $vgpr13
	s_and_saveexec_b64 s[12:13], s[0:1]
	s_xor_b64 s[0:1], exec, s[12:13]
; %bb.91:                               ;   in Loop: Header=BB142_51 Depth=1
	v_bfe_u32 v13, v6, 16, 1
	v_add3_u32 v13, v6, v13, s18
                                        ; implicit-def: $vgpr6
; %bb.92:                               ;   in Loop: Header=BB142_51 Depth=1
	s_andn2_saveexec_b64 s[12:13], s[0:1]
; %bb.93:                               ;   in Loop: Header=BB142_51 Depth=1
	v_or_b32_e32 v13, 0x10000, v6
	v_cmp_eq_u32_sdwa s[0:1], v6, v22 src0_sel:WORD_0 src1_sel:DWORD
	v_cndmask_b32_e64 v13, v13, v6, s[0:1]
; %bb.94:                               ;   in Loop: Header=BB142_51 Depth=1
	s_or_b64 exec, exec, s[12:13]
	v_and_b32_e32 v38, 0xffff0000, v23
	v_lshlrev_b32_e32 v6, 16, v7
	v_mul_f32_e32 v6, v38, v6
	v_and_b32_e32 v7, 0x7f800000, v6
	v_cmp_ne_u32_e64 s[0:1], s17, v7
                                        ; implicit-def: $vgpr23
	s_and_saveexec_b64 s[12:13], s[0:1]
	s_xor_b64 s[0:1], exec, s[12:13]
; %bb.95:                               ;   in Loop: Header=BB142_51 Depth=1
	v_bfe_u32 v7, v6, 16, 1
	v_add3_u32 v23, v6, v7, s18
                                        ; implicit-def: $vgpr6
; %bb.96:                               ;   in Loop: Header=BB142_51 Depth=1
	s_andn2_saveexec_b64 s[12:13], s[0:1]
; %bb.97:                               ;   in Loop: Header=BB142_51 Depth=1
	v_or_b32_e32 v7, 0x10000, v6
	v_cmp_eq_u32_sdwa s[0:1], v6, v22 src0_sel:WORD_0 src1_sel:DWORD
	v_cndmask_b32_e64 v23, v7, v6, s[0:1]
; %bb.98:                               ;   in Loop: Header=BB142_51 Depth=1
	s_or_b64 exec, exec, s[12:13]
	v_and_b32_e32 v39, 0xffff0000, v24
	v_lshlrev_b32_e32 v6, 16, v40
	v_mul_f32_e32 v6, v39, v6
	v_and_b32_e32 v7, 0x7f800000, v6
	v_cmp_ne_u32_e64 s[0:1], s17, v7
                                        ; implicit-def: $vgpr24
	s_and_saveexec_b64 s[12:13], s[0:1]
	s_xor_b64 s[0:1], exec, s[12:13]
; %bb.99:                               ;   in Loop: Header=BB142_51 Depth=1
	v_bfe_u32 v7, v6, 16, 1
	v_add3_u32 v24, v6, v7, s18
                                        ; implicit-def: $vgpr6
; %bb.100:                              ;   in Loop: Header=BB142_51 Depth=1
	s_andn2_saveexec_b64 s[12:13], s[0:1]
; %bb.101:                              ;   in Loop: Header=BB142_51 Depth=1
	v_or_b32_e32 v7, 0x10000, v6
	v_cmp_eq_u32_sdwa s[0:1], v6, v22 src0_sel:WORD_0 src1_sel:DWORD
	v_cndmask_b32_e64 v24, v7, v6, s[0:1]
; %bb.102:                              ;   in Loop: Header=BB142_51 Depth=1
	s_or_b64 exec, exec, s[12:13]
	v_and_b32_e32 v40, 0xffff0000, v25
	v_lshlrev_b32_e32 v6, 16, v8
	v_mul_f32_e32 v6, v40, v6
	v_and_b32_e32 v7, 0x7f800000, v6
	v_cmp_ne_u32_e64 s[0:1], s17, v7
                                        ; implicit-def: $vgpr25
	s_and_saveexec_b64 s[12:13], s[0:1]
	s_xor_b64 s[0:1], exec, s[12:13]
; %bb.103:                              ;   in Loop: Header=BB142_51 Depth=1
	v_bfe_u32 v7, v6, 16, 1
	v_add3_u32 v25, v6, v7, s18
                                        ; implicit-def: $vgpr6
; %bb.104:                              ;   in Loop: Header=BB142_51 Depth=1
	s_andn2_saveexec_b64 s[12:13], s[0:1]
; %bb.105:                              ;   in Loop: Header=BB142_51 Depth=1
	v_or_b32_e32 v7, 0x10000, v6
	v_cmp_eq_u32_sdwa s[0:1], v6, v22 src0_sel:WORD_0 src1_sel:DWORD
	v_cndmask_b32_e64 v25, v7, v6, s[0:1]
; %bb.106:                              ;   in Loop: Header=BB142_51 Depth=1
	s_or_b64 exec, exec, s[12:13]
	v_and_b32_e32 v41, 0xffff0000, v26
	v_lshlrev_b32_e32 v6, 16, v42
	v_mul_f32_e32 v6, v41, v6
	v_and_b32_e32 v7, 0x7f800000, v6
	v_cmp_ne_u32_e64 s[0:1], s17, v7
                                        ; implicit-def: $vgpr26
	s_and_saveexec_b64 s[12:13], s[0:1]
	s_xor_b64 s[0:1], exec, s[12:13]
; %bb.107:                              ;   in Loop: Header=BB142_51 Depth=1
	v_bfe_u32 v7, v6, 16, 1
	v_add3_u32 v26, v6, v7, s18
                                        ; implicit-def: $vgpr6
; %bb.108:                              ;   in Loop: Header=BB142_51 Depth=1
	s_andn2_saveexec_b64 s[12:13], s[0:1]
; %bb.109:                              ;   in Loop: Header=BB142_51 Depth=1
	v_or_b32_e32 v7, 0x10000, v6
	v_cmp_eq_u32_sdwa s[0:1], v6, v22 src0_sel:WORD_0 src1_sel:DWORD
	v_cndmask_b32_e64 v26, v7, v6, s[0:1]
; %bb.110:                              ;   in Loop: Header=BB142_51 Depth=1
	s_or_b64 exec, exec, s[12:13]
	v_and_b32_e32 v42, 0xffff0000, v27
	v_lshlrev_b32_e32 v6, 16, v9
	v_mul_f32_e32 v6, v42, v6
	v_and_b32_e32 v7, 0x7f800000, v6
	v_cmp_ne_u32_e64 s[0:1], s17, v7
                                        ; implicit-def: $vgpr27
	s_and_saveexec_b64 s[12:13], s[0:1]
	s_xor_b64 s[0:1], exec, s[12:13]
; %bb.111:                              ;   in Loop: Header=BB142_51 Depth=1
	v_bfe_u32 v7, v6, 16, 1
	v_add3_u32 v27, v6, v7, s18
                                        ; implicit-def: $vgpr6
; %bb.112:                              ;   in Loop: Header=BB142_51 Depth=1
	s_andn2_saveexec_b64 s[12:13], s[0:1]
; %bb.113:                              ;   in Loop: Header=BB142_51 Depth=1
	v_or_b32_e32 v7, 0x10000, v6
	v_cmp_eq_u32_sdwa s[0:1], v6, v22 src0_sel:WORD_0 src1_sel:DWORD
	v_cndmask_b32_e64 v27, v7, v6, s[0:1]
; %bb.114:                              ;   in Loop: Header=BB142_51 Depth=1
	s_or_b64 exec, exec, s[12:13]
	v_and_b32_e32 v43, 0xffff0000, v35
	v_lshlrev_b32_e32 v6, 16, v44
	v_mul_f32_e32 v6, v43, v6
	v_and_b32_e32 v7, 0x7f800000, v6
	v_cmp_ne_u32_e64 s[0:1], s17, v7
                                        ; implicit-def: $vgpr35
	s_and_saveexec_b64 s[12:13], s[0:1]
	s_xor_b64 s[0:1], exec, s[12:13]
; %bb.115:                              ;   in Loop: Header=BB142_51 Depth=1
	v_bfe_u32 v7, v6, 16, 1
	v_add3_u32 v35, v6, v7, s18
                                        ; implicit-def: $vgpr6
; %bb.116:                              ;   in Loop: Header=BB142_51 Depth=1
	s_andn2_saveexec_b64 s[12:13], s[0:1]
; %bb.117:                              ;   in Loop: Header=BB142_51 Depth=1
	v_or_b32_e32 v7, 0x10000, v6
	v_cmp_eq_u32_sdwa s[0:1], v6, v22 src0_sel:WORD_0 src1_sel:DWORD
	v_cndmask_b32_e64 v35, v7, v6, s[0:1]
; %bb.118:                              ;   in Loop: Header=BB142_51 Depth=1
	s_or_b64 exec, exec, s[12:13]
	global_load_dwordx4 v[6:9], v[10:11], off offset:1024
	s_waitcnt vmcnt(0)
	v_lshrrev_b32_e32 v45, 16, v6
	v_lshrrev_b32_e32 v47, 16, v7
	;; [unrolled: 1-line block ×4, first 2 shown]
	s_and_saveexec_b64 s[12:13], vcc
	s_cbranch_execz .LBB142_120
; %bb.119:                              ;   in Loop: Header=BB142_51 Depth=1
	v_cmp_gt_i32_e64 s[0:1], s35, v1
	v_cndmask_b32_e64 v6, 0, v6, s[0:1]
	v_cmp_gt_i32_e64 s[0:1], s35, v34
	v_cndmask_b32_e64 v45, 0, v45, s[0:1]
	;; [unrolled: 2-line block ×8, first 2 shown]
.LBB142_120:                            ;   in Loop: Header=BB142_51 Depth=1
	s_or_b64 exec, exec, s[12:13]
	v_lshlrev_b32_e32 v6, 16, v6
	v_mul_f32_e32 v6, v36, v6
	v_and_b32_e32 v44, 0x7f800000, v6
	v_cmp_ne_u32_e64 s[0:1], s17, v44
                                        ; implicit-def: $vgpr44
	s_and_saveexec_b64 s[12:13], s[0:1]
	s_xor_b64 s[0:1], exec, s[12:13]
; %bb.121:                              ;   in Loop: Header=BB142_51 Depth=1
	v_bfe_u32 v44, v6, 16, 1
	v_add3_u32 v44, v6, v44, s18
                                        ; implicit-def: $vgpr6
; %bb.122:                              ;   in Loop: Header=BB142_51 Depth=1
	s_andn2_saveexec_b64 s[12:13], s[0:1]
; %bb.123:                              ;   in Loop: Header=BB142_51 Depth=1
	v_or_b32_e32 v44, 0x10000, v6
	v_cmp_eq_u32_sdwa s[0:1], v6, v22 src0_sel:WORD_0 src1_sel:DWORD
	v_cndmask_b32_e64 v44, v44, v6, s[0:1]
; %bb.124:                              ;   in Loop: Header=BB142_51 Depth=1
	s_or_b64 exec, exec, s[12:13]
	v_lshlrev_b32_e32 v6, 16, v45
	v_mul_f32_e32 v6, v37, v6
	v_and_b32_e32 v45, 0x7f800000, v6
	v_cmp_ne_u32_e64 s[0:1], s17, v45
                                        ; implicit-def: $vgpr45
	s_and_saveexec_b64 s[12:13], s[0:1]
	s_xor_b64 s[0:1], exec, s[12:13]
; %bb.125:                              ;   in Loop: Header=BB142_51 Depth=1
	v_bfe_u32 v45, v6, 16, 1
	v_add3_u32 v45, v6, v45, s18
                                        ; implicit-def: $vgpr6
; %bb.126:                              ;   in Loop: Header=BB142_51 Depth=1
	s_andn2_saveexec_b64 s[12:13], s[0:1]
; %bb.127:                              ;   in Loop: Header=BB142_51 Depth=1
	v_or_b32_e32 v45, 0x10000, v6
	v_cmp_eq_u32_sdwa s[0:1], v6, v22 src0_sel:WORD_0 src1_sel:DWORD
	v_cndmask_b32_e64 v45, v45, v6, s[0:1]
; %bb.128:                              ;   in Loop: Header=BB142_51 Depth=1
	s_or_b64 exec, exec, s[12:13]
	v_lshlrev_b32_e32 v6, 16, v7
	v_mul_f32_e32 v6, v38, v6
	v_and_b32_e32 v7, 0x7f800000, v6
	v_cmp_ne_u32_e64 s[0:1], s17, v7
                                        ; implicit-def: $vgpr46
	s_and_saveexec_b64 s[12:13], s[0:1]
	s_xor_b64 s[0:1], exec, s[12:13]
; %bb.129:                              ;   in Loop: Header=BB142_51 Depth=1
	v_bfe_u32 v7, v6, 16, 1
	v_add3_u32 v46, v6, v7, s18
                                        ; implicit-def: $vgpr6
; %bb.130:                              ;   in Loop: Header=BB142_51 Depth=1
	s_andn2_saveexec_b64 s[12:13], s[0:1]
; %bb.131:                              ;   in Loop: Header=BB142_51 Depth=1
	v_or_b32_e32 v7, 0x10000, v6
	v_cmp_eq_u32_sdwa s[0:1], v6, v22 src0_sel:WORD_0 src1_sel:DWORD
	v_cndmask_b32_e64 v46, v7, v6, s[0:1]
; %bb.132:                              ;   in Loop: Header=BB142_51 Depth=1
	s_or_b64 exec, exec, s[12:13]
	v_lshlrev_b32_e32 v6, 16, v47
	v_mul_f32_e32 v6, v39, v6
	v_and_b32_e32 v7, 0x7f800000, v6
	v_cmp_ne_u32_e64 s[0:1], s17, v7
                                        ; implicit-def: $vgpr47
	s_and_saveexec_b64 s[12:13], s[0:1]
	s_xor_b64 s[0:1], exec, s[12:13]
; %bb.133:                              ;   in Loop: Header=BB142_51 Depth=1
	v_bfe_u32 v7, v6, 16, 1
	v_add3_u32 v47, v6, v7, s18
                                        ; implicit-def: $vgpr6
; %bb.134:                              ;   in Loop: Header=BB142_51 Depth=1
	s_andn2_saveexec_b64 s[12:13], s[0:1]
; %bb.135:                              ;   in Loop: Header=BB142_51 Depth=1
	v_or_b32_e32 v7, 0x10000, v6
	v_cmp_eq_u32_sdwa s[0:1], v6, v22 src0_sel:WORD_0 src1_sel:DWORD
	v_cndmask_b32_e64 v47, v7, v6, s[0:1]
; %bb.136:                              ;   in Loop: Header=BB142_51 Depth=1
	s_or_b64 exec, exec, s[12:13]
	v_lshlrev_b32_e32 v6, 16, v8
	v_mul_f32_e32 v6, v40, v6
	v_and_b32_e32 v7, 0x7f800000, v6
	v_cmp_ne_u32_e64 s[0:1], s17, v7
                                        ; implicit-def: $vgpr48
	s_and_saveexec_b64 s[12:13], s[0:1]
	s_xor_b64 s[0:1], exec, s[12:13]
; %bb.137:                              ;   in Loop: Header=BB142_51 Depth=1
	v_bfe_u32 v7, v6, 16, 1
	v_add3_u32 v48, v6, v7, s18
                                        ; implicit-def: $vgpr6
; %bb.138:                              ;   in Loop: Header=BB142_51 Depth=1
	s_andn2_saveexec_b64 s[12:13], s[0:1]
; %bb.139:                              ;   in Loop: Header=BB142_51 Depth=1
	v_or_b32_e32 v7, 0x10000, v6
	v_cmp_eq_u32_sdwa s[0:1], v6, v22 src0_sel:WORD_0 src1_sel:DWORD
	v_cndmask_b32_e64 v48, v7, v6, s[0:1]
; %bb.140:                              ;   in Loop: Header=BB142_51 Depth=1
	s_or_b64 exec, exec, s[12:13]
	v_lshlrev_b32_e32 v6, 16, v49
	v_mul_f32_e32 v6, v41, v6
	v_and_b32_e32 v7, 0x7f800000, v6
	v_cmp_ne_u32_e64 s[0:1], s17, v7
                                        ; implicit-def: $vgpr49
	s_and_saveexec_b64 s[12:13], s[0:1]
	s_xor_b64 s[0:1], exec, s[12:13]
; %bb.141:                              ;   in Loop: Header=BB142_51 Depth=1
	v_bfe_u32 v7, v6, 16, 1
	v_add3_u32 v49, v6, v7, s18
                                        ; implicit-def: $vgpr6
; %bb.142:                              ;   in Loop: Header=BB142_51 Depth=1
	s_andn2_saveexec_b64 s[12:13], s[0:1]
; %bb.143:                              ;   in Loop: Header=BB142_51 Depth=1
	v_or_b32_e32 v7, 0x10000, v6
	v_cmp_eq_u32_sdwa s[0:1], v6, v22 src0_sel:WORD_0 src1_sel:DWORD
	v_cndmask_b32_e64 v49, v7, v6, s[0:1]
; %bb.144:                              ;   in Loop: Header=BB142_51 Depth=1
	s_or_b64 exec, exec, s[12:13]
	v_lshlrev_b32_e32 v6, 16, v9
	v_mul_f32_e32 v6, v42, v6
	v_and_b32_e32 v7, 0x7f800000, v6
	v_cmp_ne_u32_e64 s[0:1], s17, v7
                                        ; implicit-def: $vgpr50
	s_and_saveexec_b64 s[12:13], s[0:1]
	s_xor_b64 s[0:1], exec, s[12:13]
; %bb.145:                              ;   in Loop: Header=BB142_51 Depth=1
	v_bfe_u32 v7, v6, 16, 1
	v_add3_u32 v50, v6, v7, s18
                                        ; implicit-def: $vgpr6
; %bb.146:                              ;   in Loop: Header=BB142_51 Depth=1
	s_andn2_saveexec_b64 s[12:13], s[0:1]
; %bb.147:                              ;   in Loop: Header=BB142_51 Depth=1
	v_or_b32_e32 v7, 0x10000, v6
	v_cmp_eq_u32_sdwa s[0:1], v6, v22 src0_sel:WORD_0 src1_sel:DWORD
	v_cndmask_b32_e64 v50, v7, v6, s[0:1]
; %bb.148:                              ;   in Loop: Header=BB142_51 Depth=1
	s_or_b64 exec, exec, s[12:13]
	v_lshlrev_b32_e32 v6, 16, v51
	v_mul_f32_e32 v6, v43, v6
	v_and_b32_e32 v7, 0x7f800000, v6
	v_cmp_ne_u32_e64 s[0:1], s17, v7
                                        ; implicit-def: $vgpr51
	s_and_saveexec_b64 s[12:13], s[0:1]
	s_xor_b64 s[0:1], exec, s[12:13]
; %bb.149:                              ;   in Loop: Header=BB142_51 Depth=1
	v_bfe_u32 v7, v6, 16, 1
	v_add3_u32 v51, v6, v7, s18
                                        ; implicit-def: $vgpr6
; %bb.150:                              ;   in Loop: Header=BB142_51 Depth=1
	s_andn2_saveexec_b64 s[12:13], s[0:1]
; %bb.151:                              ;   in Loop: Header=BB142_51 Depth=1
	v_or_b32_e32 v7, 0x10000, v6
	v_cmp_eq_u32_sdwa s[0:1], v6, v22 src0_sel:WORD_0 src1_sel:DWORD
	v_cndmask_b32_e64 v51, v7, v6, s[0:1]
; %bb.152:                              ;   in Loop: Header=BB142_51 Depth=1
	s_or_b64 exec, exec, s[12:13]
	global_load_dwordx4 v[6:9], v[10:11], off offset:2048
	s_waitcnt vmcnt(0)
	v_lshrrev_b32_e32 v53, 16, v6
	v_lshrrev_b32_e32 v55, 16, v7
	;; [unrolled: 1-line block ×4, first 2 shown]
	s_and_saveexec_b64 s[12:13], vcc
	s_cbranch_execz .LBB142_154
; %bb.153:                              ;   in Loop: Header=BB142_51 Depth=1
	v_cmp_gt_i32_e64 s[0:1], s35, v1
	v_cndmask_b32_e64 v6, 0, v6, s[0:1]
	v_cmp_gt_i32_e64 s[0:1], s35, v34
	v_cndmask_b32_e64 v53, 0, v53, s[0:1]
	;; [unrolled: 2-line block ×8, first 2 shown]
.LBB142_154:                            ;   in Loop: Header=BB142_51 Depth=1
	s_or_b64 exec, exec, s[12:13]
	v_lshlrev_b32_e32 v6, 16, v6
	v_mul_f32_e32 v6, v36, v6
	v_and_b32_e32 v52, 0x7f800000, v6
	v_cmp_ne_u32_e64 s[0:1], s17, v52
                                        ; implicit-def: $vgpr52
	s_and_saveexec_b64 s[12:13], s[0:1]
	s_xor_b64 s[0:1], exec, s[12:13]
; %bb.155:                              ;   in Loop: Header=BB142_51 Depth=1
	v_bfe_u32 v52, v6, 16, 1
	v_add3_u32 v52, v6, v52, s18
                                        ; implicit-def: $vgpr6
; %bb.156:                              ;   in Loop: Header=BB142_51 Depth=1
	s_andn2_saveexec_b64 s[12:13], s[0:1]
; %bb.157:                              ;   in Loop: Header=BB142_51 Depth=1
	v_or_b32_e32 v52, 0x10000, v6
	v_cmp_eq_u32_sdwa s[0:1], v6, v22 src0_sel:WORD_0 src1_sel:DWORD
	v_cndmask_b32_e64 v52, v52, v6, s[0:1]
; %bb.158:                              ;   in Loop: Header=BB142_51 Depth=1
	s_or_b64 exec, exec, s[12:13]
	v_lshlrev_b32_e32 v6, 16, v53
	v_mul_f32_e32 v6, v37, v6
	v_and_b32_e32 v53, 0x7f800000, v6
	v_cmp_ne_u32_e64 s[0:1], s17, v53
                                        ; implicit-def: $vgpr53
	s_and_saveexec_b64 s[12:13], s[0:1]
	s_xor_b64 s[0:1], exec, s[12:13]
; %bb.159:                              ;   in Loop: Header=BB142_51 Depth=1
	v_bfe_u32 v53, v6, 16, 1
	v_add3_u32 v53, v6, v53, s18
                                        ; implicit-def: $vgpr6
; %bb.160:                              ;   in Loop: Header=BB142_51 Depth=1
	s_andn2_saveexec_b64 s[12:13], s[0:1]
; %bb.161:                              ;   in Loop: Header=BB142_51 Depth=1
	v_or_b32_e32 v53, 0x10000, v6
	v_cmp_eq_u32_sdwa s[0:1], v6, v22 src0_sel:WORD_0 src1_sel:DWORD
	v_cndmask_b32_e64 v53, v53, v6, s[0:1]
; %bb.162:                              ;   in Loop: Header=BB142_51 Depth=1
	s_or_b64 exec, exec, s[12:13]
	v_lshlrev_b32_e32 v6, 16, v7
	v_mul_f32_e32 v6, v38, v6
	v_and_b32_e32 v7, 0x7f800000, v6
	v_cmp_ne_u32_e64 s[0:1], s17, v7
                                        ; implicit-def: $vgpr54
	s_and_saveexec_b64 s[12:13], s[0:1]
	s_xor_b64 s[0:1], exec, s[12:13]
; %bb.163:                              ;   in Loop: Header=BB142_51 Depth=1
	v_bfe_u32 v7, v6, 16, 1
	v_add3_u32 v54, v6, v7, s18
                                        ; implicit-def: $vgpr6
; %bb.164:                              ;   in Loop: Header=BB142_51 Depth=1
	s_andn2_saveexec_b64 s[12:13], s[0:1]
; %bb.165:                              ;   in Loop: Header=BB142_51 Depth=1
	v_or_b32_e32 v7, 0x10000, v6
	v_cmp_eq_u32_sdwa s[0:1], v6, v22 src0_sel:WORD_0 src1_sel:DWORD
	v_cndmask_b32_e64 v54, v7, v6, s[0:1]
; %bb.166:                              ;   in Loop: Header=BB142_51 Depth=1
	s_or_b64 exec, exec, s[12:13]
	v_lshlrev_b32_e32 v6, 16, v55
	v_mul_f32_e32 v6, v39, v6
	v_and_b32_e32 v7, 0x7f800000, v6
	v_cmp_ne_u32_e64 s[0:1], s17, v7
                                        ; implicit-def: $vgpr55
	s_and_saveexec_b64 s[12:13], s[0:1]
	s_xor_b64 s[0:1], exec, s[12:13]
; %bb.167:                              ;   in Loop: Header=BB142_51 Depth=1
	v_bfe_u32 v7, v6, 16, 1
	v_add3_u32 v55, v6, v7, s18
                                        ; implicit-def: $vgpr6
; %bb.168:                              ;   in Loop: Header=BB142_51 Depth=1
	s_andn2_saveexec_b64 s[12:13], s[0:1]
; %bb.169:                              ;   in Loop: Header=BB142_51 Depth=1
	v_or_b32_e32 v7, 0x10000, v6
	v_cmp_eq_u32_sdwa s[0:1], v6, v22 src0_sel:WORD_0 src1_sel:DWORD
	v_cndmask_b32_e64 v55, v7, v6, s[0:1]
; %bb.170:                              ;   in Loop: Header=BB142_51 Depth=1
	s_or_b64 exec, exec, s[12:13]
	v_lshlrev_b32_e32 v6, 16, v8
	v_mul_f32_e32 v6, v40, v6
	v_and_b32_e32 v7, 0x7f800000, v6
	v_cmp_ne_u32_e64 s[0:1], s17, v7
                                        ; implicit-def: $vgpr56
	s_and_saveexec_b64 s[12:13], s[0:1]
	s_xor_b64 s[0:1], exec, s[12:13]
; %bb.171:                              ;   in Loop: Header=BB142_51 Depth=1
	v_bfe_u32 v7, v6, 16, 1
	v_add3_u32 v56, v6, v7, s18
                                        ; implicit-def: $vgpr6
; %bb.172:                              ;   in Loop: Header=BB142_51 Depth=1
	s_andn2_saveexec_b64 s[12:13], s[0:1]
; %bb.173:                              ;   in Loop: Header=BB142_51 Depth=1
	v_or_b32_e32 v7, 0x10000, v6
	v_cmp_eq_u32_sdwa s[0:1], v6, v22 src0_sel:WORD_0 src1_sel:DWORD
	v_cndmask_b32_e64 v56, v7, v6, s[0:1]
; %bb.174:                              ;   in Loop: Header=BB142_51 Depth=1
	s_or_b64 exec, exec, s[12:13]
	v_lshlrev_b32_e32 v6, 16, v57
	v_mul_f32_e32 v6, v41, v6
	v_and_b32_e32 v7, 0x7f800000, v6
	v_cmp_ne_u32_e64 s[0:1], s17, v7
                                        ; implicit-def: $vgpr57
	s_and_saveexec_b64 s[12:13], s[0:1]
	s_xor_b64 s[0:1], exec, s[12:13]
; %bb.175:                              ;   in Loop: Header=BB142_51 Depth=1
	v_bfe_u32 v7, v6, 16, 1
	v_add3_u32 v57, v6, v7, s18
                                        ; implicit-def: $vgpr6
; %bb.176:                              ;   in Loop: Header=BB142_51 Depth=1
	s_andn2_saveexec_b64 s[12:13], s[0:1]
; %bb.177:                              ;   in Loop: Header=BB142_51 Depth=1
	v_or_b32_e32 v7, 0x10000, v6
	v_cmp_eq_u32_sdwa s[0:1], v6, v22 src0_sel:WORD_0 src1_sel:DWORD
	v_cndmask_b32_e64 v57, v7, v6, s[0:1]
; %bb.178:                              ;   in Loop: Header=BB142_51 Depth=1
	s_or_b64 exec, exec, s[12:13]
	v_lshlrev_b32_e32 v6, 16, v9
	v_mul_f32_e32 v6, v42, v6
	v_and_b32_e32 v7, 0x7f800000, v6
	v_cmp_ne_u32_e64 s[0:1], s17, v7
                                        ; implicit-def: $vgpr58
	s_and_saveexec_b64 s[12:13], s[0:1]
	s_xor_b64 s[0:1], exec, s[12:13]
; %bb.179:                              ;   in Loop: Header=BB142_51 Depth=1
	v_bfe_u32 v7, v6, 16, 1
	v_add3_u32 v58, v6, v7, s18
                                        ; implicit-def: $vgpr6
; %bb.180:                              ;   in Loop: Header=BB142_51 Depth=1
	s_andn2_saveexec_b64 s[12:13], s[0:1]
; %bb.181:                              ;   in Loop: Header=BB142_51 Depth=1
	v_or_b32_e32 v7, 0x10000, v6
	v_cmp_eq_u32_sdwa s[0:1], v6, v22 src0_sel:WORD_0 src1_sel:DWORD
	v_cndmask_b32_e64 v58, v7, v6, s[0:1]
; %bb.182:                              ;   in Loop: Header=BB142_51 Depth=1
	s_or_b64 exec, exec, s[12:13]
	v_lshlrev_b32_e32 v6, 16, v59
	v_mul_f32_e32 v6, v43, v6
	v_and_b32_e32 v7, 0x7f800000, v6
	v_cmp_ne_u32_e64 s[0:1], s17, v7
                                        ; implicit-def: $vgpr59
	s_and_saveexec_b64 s[12:13], s[0:1]
	s_xor_b64 s[0:1], exec, s[12:13]
; %bb.183:                              ;   in Loop: Header=BB142_51 Depth=1
	v_bfe_u32 v7, v6, 16, 1
	v_add3_u32 v59, v6, v7, s18
                                        ; implicit-def: $vgpr6
; %bb.184:                              ;   in Loop: Header=BB142_51 Depth=1
	s_andn2_saveexec_b64 s[12:13], s[0:1]
; %bb.185:                              ;   in Loop: Header=BB142_51 Depth=1
	v_or_b32_e32 v7, 0x10000, v6
	v_cmp_eq_u32_sdwa s[0:1], v6, v22 src0_sel:WORD_0 src1_sel:DWORD
	v_cndmask_b32_e64 v59, v7, v6, s[0:1]
; %bb.186:                              ;   in Loop: Header=BB142_51 Depth=1
	s_or_b64 exec, exec, s[12:13]
	global_load_dwordx4 v[6:9], v[10:11], off offset:3072
	s_waitcnt vmcnt(0)
	v_lshrrev_b32_e32 v10, 16, v6
	v_lshrrev_b32_e32 v61, 16, v7
	;; [unrolled: 1-line block ×4, first 2 shown]
	s_and_saveexec_b64 s[0:1], vcc
	s_cbranch_execz .LBB142_188
; %bb.187:                              ;   in Loop: Header=BB142_51 Depth=1
	v_cmp_gt_i32_e32 vcc, s35, v1
	v_cndmask_b32_e32 v6, 0, v6, vcc
	v_cmp_gt_i32_e32 vcc, s35, v34
	v_cndmask_b32_e32 v10, 0, v10, vcc
	;; [unrolled: 2-line block ×8, first 2 shown]
.LBB142_188:                            ;   in Loop: Header=BB142_51 Depth=1
	s_or_b64 exec, exec, s[0:1]
	v_lshlrev_b32_e32 v6, 16, v6
	v_mul_f32_e32 v28, v36, v6
	v_and_b32_e32 v6, 0x7f800000, v28
	v_cmp_ne_u32_e32 vcc, s17, v6
                                        ; implicit-def: $vgpr6
	s_and_saveexec_b64 s[0:1], vcc
	s_xor_b64 s[0:1], exec, s[0:1]
; %bb.189:                              ;   in Loop: Header=BB142_51 Depth=1
	v_bfe_u32 v6, v28, 16, 1
	v_add3_u32 v6, v28, v6, s18
                                        ; implicit-def: $vgpr28
; %bb.190:                              ;   in Loop: Header=BB142_51 Depth=1
	s_andn2_saveexec_b64 s[0:1], s[0:1]
; %bb.191:                              ;   in Loop: Header=BB142_51 Depth=1
	v_or_b32_e32 v6, 0x10000, v28
	v_cmp_eq_u32_sdwa vcc, v28, v22 src0_sel:WORD_0 src1_sel:DWORD
	v_cndmask_b32_e32 v6, v6, v28, vcc
; %bb.192:                              ;   in Loop: Header=BB142_51 Depth=1
	s_or_b64 exec, exec, s[0:1]
	v_lshlrev_b32_e32 v10, 16, v10
	v_mul_f32_e32 v28, v37, v10
	v_and_b32_e32 v10, 0x7f800000, v28
	v_cmp_ne_u32_e32 vcc, s17, v10
                                        ; implicit-def: $vgpr10
	s_and_saveexec_b64 s[0:1], vcc
	s_xor_b64 s[0:1], exec, s[0:1]
; %bb.193:                              ;   in Loop: Header=BB142_51 Depth=1
	v_bfe_u32 v10, v28, 16, 1
	v_add3_u32 v10, v28, v10, s18
                                        ; implicit-def: $vgpr28
; %bb.194:                              ;   in Loop: Header=BB142_51 Depth=1
	s_andn2_saveexec_b64 s[0:1], s[0:1]
; %bb.195:                              ;   in Loop: Header=BB142_51 Depth=1
	v_or_b32_e32 v10, 0x10000, v28
	v_cmp_eq_u32_sdwa vcc, v28, v22 src0_sel:WORD_0 src1_sel:DWORD
	v_cndmask_b32_e32 v10, v10, v28, vcc
; %bb.196:                              ;   in Loop: Header=BB142_51 Depth=1
	s_or_b64 exec, exec, s[0:1]
	v_lshlrev_b32_e32 v7, 16, v7
	v_mul_f32_e32 v28, v38, v7
	v_and_b32_e32 v7, 0x7f800000, v28
	v_cmp_ne_u32_e32 vcc, s17, v7
                                        ; implicit-def: $vgpr7
	s_and_saveexec_b64 s[0:1], vcc
	s_xor_b64 s[0:1], exec, s[0:1]
; %bb.197:                              ;   in Loop: Header=BB142_51 Depth=1
	v_bfe_u32 v7, v28, 16, 1
	v_add3_u32 v7, v28, v7, s18
                                        ; implicit-def: $vgpr28
; %bb.198:                              ;   in Loop: Header=BB142_51 Depth=1
	s_andn2_saveexec_b64 s[0:1], s[0:1]
; %bb.199:                              ;   in Loop: Header=BB142_51 Depth=1
	v_or_b32_e32 v7, 0x10000, v28
	v_cmp_eq_u32_sdwa vcc, v28, v22 src0_sel:WORD_0 src1_sel:DWORD
	v_cndmask_b32_e32 v7, v7, v28, vcc
; %bb.200:                              ;   in Loop: Header=BB142_51 Depth=1
	s_or_b64 exec, exec, s[0:1]
	v_lshlrev_b32_e32 v28, 16, v61
	v_mul_f32_e32 v29, v39, v28
	v_and_b32_e32 v28, 0x7f800000, v29
	v_cmp_ne_u32_e32 vcc, s17, v28
                                        ; implicit-def: $vgpr28
	s_and_saveexec_b64 s[0:1], vcc
	s_xor_b64 s[0:1], exec, s[0:1]
; %bb.201:                              ;   in Loop: Header=BB142_51 Depth=1
	v_bfe_u32 v28, v29, 16, 1
	v_add3_u32 v28, v29, v28, s18
                                        ; implicit-def: $vgpr29
; %bb.202:                              ;   in Loop: Header=BB142_51 Depth=1
	s_andn2_saveexec_b64 s[0:1], s[0:1]
; %bb.203:                              ;   in Loop: Header=BB142_51 Depth=1
	v_or_b32_e32 v28, 0x10000, v29
	v_cmp_eq_u32_sdwa vcc, v29, v22 src0_sel:WORD_0 src1_sel:DWORD
	v_cndmask_b32_e32 v28, v28, v29, vcc
; %bb.204:                              ;   in Loop: Header=BB142_51 Depth=1
	s_or_b64 exec, exec, s[0:1]
	v_lshlrev_b32_e32 v8, 16, v8
	v_mul_f32_e32 v29, v40, v8
	v_and_b32_e32 v8, 0x7f800000, v29
	v_cmp_ne_u32_e32 vcc, s17, v8
                                        ; implicit-def: $vgpr8
	s_and_saveexec_b64 s[0:1], vcc
	s_xor_b64 s[0:1], exec, s[0:1]
; %bb.205:                              ;   in Loop: Header=BB142_51 Depth=1
	v_bfe_u32 v8, v29, 16, 1
	v_add3_u32 v8, v29, v8, s18
                                        ; implicit-def: $vgpr29
; %bb.206:                              ;   in Loop: Header=BB142_51 Depth=1
	s_andn2_saveexec_b64 s[0:1], s[0:1]
; %bb.207:                              ;   in Loop: Header=BB142_51 Depth=1
	v_or_b32_e32 v8, 0x10000, v29
	v_cmp_eq_u32_sdwa vcc, v29, v22 src0_sel:WORD_0 src1_sel:DWORD
	v_cndmask_b32_e32 v8, v8, v29, vcc
; %bb.208:                              ;   in Loop: Header=BB142_51 Depth=1
	s_or_b64 exec, exec, s[0:1]
	v_lshlrev_b32_e32 v29, 16, v60
	v_mul_f32_e32 v30, v41, v29
	v_and_b32_e32 v29, 0x7f800000, v30
	v_cmp_ne_u32_e32 vcc, s17, v29
                                        ; implicit-def: $vgpr29
	s_and_saveexec_b64 s[0:1], vcc
	s_xor_b64 s[0:1], exec, s[0:1]
; %bb.209:                              ;   in Loop: Header=BB142_51 Depth=1
	v_bfe_u32 v29, v30, 16, 1
	v_add3_u32 v29, v30, v29, s18
                                        ; implicit-def: $vgpr30
; %bb.210:                              ;   in Loop: Header=BB142_51 Depth=1
	s_andn2_saveexec_b64 s[0:1], s[0:1]
; %bb.211:                              ;   in Loop: Header=BB142_51 Depth=1
	v_or_b32_e32 v29, 0x10000, v30
	v_cmp_eq_u32_sdwa vcc, v30, v22 src0_sel:WORD_0 src1_sel:DWORD
	v_cndmask_b32_e32 v29, v29, v30, vcc
; %bb.212:                              ;   in Loop: Header=BB142_51 Depth=1
	s_or_b64 exec, exec, s[0:1]
	v_lshlrev_b32_e32 v9, 16, v9
	v_mul_f32_e32 v30, v42, v9
	v_and_b32_e32 v9, 0x7f800000, v30
	v_cmp_ne_u32_e32 vcc, s17, v9
                                        ; implicit-def: $vgpr9
	s_and_saveexec_b64 s[0:1], vcc
	s_xor_b64 s[0:1], exec, s[0:1]
; %bb.213:                              ;   in Loop: Header=BB142_51 Depth=1
	v_bfe_u32 v9, v30, 16, 1
	v_add3_u32 v9, v30, v9, s18
                                        ; implicit-def: $vgpr30
; %bb.214:                              ;   in Loop: Header=BB142_51 Depth=1
	s_andn2_saveexec_b64 s[0:1], s[0:1]
; %bb.215:                              ;   in Loop: Header=BB142_51 Depth=1
	v_or_b32_e32 v9, 0x10000, v30
	v_cmp_eq_u32_sdwa vcc, v30, v22 src0_sel:WORD_0 src1_sel:DWORD
	v_cndmask_b32_e32 v9, v9, v30, vcc
; %bb.216:                              ;   in Loop: Header=BB142_51 Depth=1
	s_or_b64 exec, exec, s[0:1]
	v_lshlrev_b32_e32 v11, 16, v11
	v_mul_f32_e32 v30, v43, v11
	v_and_b32_e32 v11, 0x7f800000, v30
	v_cmp_ne_u32_e32 vcc, s17, v11
                                        ; implicit-def: $vgpr11
	s_and_saveexec_b64 s[0:1], vcc
	s_xor_b64 s[0:1], exec, s[0:1]
; %bb.217:                              ;   in Loop: Header=BB142_51 Depth=1
	v_bfe_u32 v11, v30, 16, 1
	v_add3_u32 v11, v30, v11, s18
                                        ; implicit-def: $vgpr30
; %bb.218:                              ;   in Loop: Header=BB142_51 Depth=1
	s_andn2_saveexec_b64 s[0:1], s[0:1]
	s_cbranch_execz .LBB142_49
; %bb.219:                              ;   in Loop: Header=BB142_51 Depth=1
	v_or_b32_e32 v11, 0x10000, v30
	v_cmp_eq_u32_sdwa vcc, v30, v22 src0_sel:WORD_0 src1_sel:DWORD
	v_cndmask_b32_e32 v11, v11, v30, vcc
	s_branch .LBB142_49
.LBB142_220:
	s_or_b64 exec, exec, s[6:7]
.LBB142_221:
	s_or_b64 exec, exec, s[4:5]
	v_and_b32_e32 v1, 0x3c0, v0
	v_cmp_eq_u32_e32 vcc, 64, v1
	s_barrier
	s_and_saveexec_b64 s[0:1], vcc
	s_cbranch_execz .LBB142_223
; %bb.222:
	v_lshlrev_b32_e32 v1, 2, v0
	v_mov_b32_e32 v7, 0x210
	v_or_b32_e32 v6, 0x300, v1
	v_lshl_add_u32 v7, v18, 2, v7
	v_add_u32_e32 v6, 0x210, v6
	v_add_u32_e32 v1, 0x210, v1
	ds_write_b32 v7, v2
	ds_write_b32 v1, v3
	ds_write_b32 v7, v4 offset:512
	ds_write_b32 v6, v5
.LBB142_223:
	s_or_b64 exec, exec, s[0:1]
	v_cmp_gt_u32_e32 vcc, 64, v0
	s_waitcnt lgkmcnt(0)
	s_barrier
	s_and_saveexec_b64 s[0:1], vcc
	s_cbranch_execz .LBB142_225
; %bb.224:
	v_mov_b32_e32 v1, 0x210
	v_lshl_add_u32 v1, v0, 2, v1
	ds_read2st64_b32 v[6:7], v1 offset0:2 offset1:3
	ds_read2st64_b32 v[8:9], v1 offset1:1
	s_waitcnt lgkmcnt(1)
	v_pk_add_f32 v[4:5], v[4:5], v[6:7]
	s_waitcnt lgkmcnt(0)
	v_pk_add_f32 v[2:3], v[2:3], v[8:9]
.LBB142_225:
	s_or_b64 exec, exec, s[0:1]
	s_barrier
	s_and_saveexec_b64 s[0:1], vcc
	s_cbranch_execz .LBB142_243
; %bb.226:
	s_mov_b32 s0, 0x7f800000
	v_and_b32_e32 v1, 0x7f800000, v2
	v_cmp_ne_u32_e32 vcc, s0, v1
                                        ; implicit-def: $vgpr6
	s_and_saveexec_b64 s[0:1], vcc
	s_xor_b64 s[0:1], exec, s[0:1]
; %bb.227:
	v_bfe_u32 v1, v2, 16, 1
	s_movk_i32 s3, 0x7fff
	v_add3_u32 v6, v2, v1, s3
; %bb.228:
	s_andn2_saveexec_b64 s[0:1], s[0:1]
; %bb.229:
	v_mov_b32_e32 v1, 0
	v_or_b32_e32 v6, 0x10000, v2
	v_cmp_eq_u32_sdwa vcc, v2, v1 src0_sel:WORD_0 src1_sel:DWORD
	v_cndmask_b32_e32 v6, v6, v2, vcc
; %bb.230:
	s_or_b64 exec, exec, s[0:1]
	s_lshl_b32 s0, s2, 8
	s_ashr_i32 s1, s0, 31
	s_lshl_b64 s[0:1], s[0:1], 1
	s_add_u32 s2, s28, s0
	s_mul_i32 s0, s33, s30
	s_addc_u32 s3, s29, s1
	s_ashr_i32 s1, s0, 31
	s_lshl_b64 s[0:1], s[0:1], 1
	s_add_u32 s2, s2, s0
	s_addc_u32 s3, s3, s1
	s_lshl_b32 s0, s8, 8
	s_ashr_i32 s1, s0, 31
	s_lshl_b64 s[0:1], s[0:1], 1
	s_add_u32 s0, s2, s0
	s_addc_u32 s1, s3, s1
	v_lshlrev_b32_e32 v2, 1, v0
	v_mov_b32_e32 v1, s1
	v_add_co_u32_e32 v0, vcc, s0, v2
	v_addc_co_u32_e32 v1, vcc, 0, v1, vcc
	global_store_short_d16_hi v2, v6, s[0:1]
	s_mov_b32 s0, 0x7f800000
	v_and_b32_e32 v2, 0x7f800000, v3
	v_cmp_ne_u32_e32 vcc, s0, v2
                                        ; implicit-def: $vgpr2
	s_and_saveexec_b64 s[0:1], vcc
	s_xor_b64 s[0:1], exec, s[0:1]
; %bb.231:
	v_bfe_u32 v2, v3, 16, 1
	s_movk_i32 s2, 0x7fff
	v_add3_u32 v2, v3, v2, s2
; %bb.232:
	s_andn2_saveexec_b64 s[0:1], s[0:1]
; %bb.233:
	v_mov_b32_e32 v2, 0
	v_or_b32_e32 v6, 0x10000, v3
	v_cmp_eq_u32_sdwa vcc, v3, v2 src0_sel:WORD_0 src1_sel:DWORD
	v_cndmask_b32_e32 v2, v6, v3, vcc
; %bb.234:
	s_or_b64 exec, exec, s[0:1]
	global_store_short_d16_hi v[0:1], v2, off offset:128
	s_mov_b32 s0, 0x7f800000
	v_and_b32_e32 v2, 0x7f800000, v4
	v_cmp_ne_u32_e32 vcc, s0, v2
                                        ; implicit-def: $vgpr2
	s_and_saveexec_b64 s[0:1], vcc
	s_xor_b64 s[0:1], exec, s[0:1]
; %bb.235:
	v_bfe_u32 v2, v4, 16, 1
	s_movk_i32 s2, 0x7fff
	v_add3_u32 v2, v4, v2, s2
; %bb.236:
	s_andn2_saveexec_b64 s[0:1], s[0:1]
; %bb.237:
	v_mov_b32_e32 v2, 0
	v_or_b32_e32 v3, 0x10000, v4
	v_cmp_eq_u32_sdwa vcc, v4, v2 src0_sel:WORD_0 src1_sel:DWORD
	v_cndmask_b32_e32 v2, v3, v4, vcc
; %bb.238:
	s_or_b64 exec, exec, s[0:1]
	global_store_short_d16_hi v[0:1], v2, off offset:256
	s_mov_b32 s0, 0x7f800000
	v_and_b32_e32 v2, 0x7f800000, v5
	v_cmp_ne_u32_e32 vcc, s0, v2
                                        ; implicit-def: $vgpr6
	s_and_saveexec_b64 s[0:1], vcc
	s_xor_b64 s[0:1], exec, s[0:1]
; %bb.239:
	v_bfe_u32 v2, v5, 16, 1
	s_movk_i32 s2, 0x7fff
	v_add3_u32 v6, v5, v2, s2
                                        ; implicit-def: $vgpr2_vgpr3_vgpr4_vgpr5
; %bb.240:
	s_andn2_saveexec_b64 s[0:1], s[0:1]
; %bb.241:
	v_mov_b32_e32 v2, 0
	v_or_b32_e32 v3, 0x10000, v5
	v_cmp_eq_u32_sdwa vcc, v5, v2 src0_sel:WORD_0 src1_sel:DWORD
	v_cndmask_b32_e32 v6, v3, v5, vcc
; %bb.242:
	s_or_b64 exec, exec, s[0:1]
	global_store_short_d16_hi v[0:1], v6, off offset:384
.LBB142_243:
	s_endpgm
	.section	.rodata,"a",@progbits
	.p2align	6, 0x0
	.amdhsa_kernel _ZN4vllm25paged_attention_v2_kernelI14__hip_bfloat16S1_Li256ELi8ELi128ELNS_18Fp8KVCacheDataTypeE0ELb1ELi512EEEvPfS3_PT_PKS4_PKT0_SA_ifPKiSC_iPKfiiiSE_SE_iiiii
		.amdhsa_group_segment_fixed_size 528
		.amdhsa_private_segment_fixed_size 0
		.amdhsa_kernarg_size 400
		.amdhsa_user_sgpr_count 6
		.amdhsa_user_sgpr_private_segment_buffer 1
		.amdhsa_user_sgpr_dispatch_ptr 0
		.amdhsa_user_sgpr_queue_ptr 0
		.amdhsa_user_sgpr_kernarg_segment_ptr 1
		.amdhsa_user_sgpr_dispatch_id 0
		.amdhsa_user_sgpr_flat_scratch_init 0
		.amdhsa_user_sgpr_kernarg_preload_length 0
		.amdhsa_user_sgpr_kernarg_preload_offset 0
		.amdhsa_user_sgpr_private_segment_size 0
		.amdhsa_uses_dynamic_stack 0
		.amdhsa_system_sgpr_private_segment_wavefront_offset 0
		.amdhsa_system_sgpr_workgroup_id_x 1
		.amdhsa_system_sgpr_workgroup_id_y 1
		.amdhsa_system_sgpr_workgroup_id_z 1
		.amdhsa_system_sgpr_workgroup_info 0
		.amdhsa_system_vgpr_workitem_id 0
		.amdhsa_next_free_vgpr 89
		.amdhsa_next_free_sgpr 52
		.amdhsa_accum_offset 92
		.amdhsa_reserve_vcc 1
		.amdhsa_reserve_flat_scratch 0
		.amdhsa_float_round_mode_32 0
		.amdhsa_float_round_mode_16_64 0
		.amdhsa_float_denorm_mode_32 3
		.amdhsa_float_denorm_mode_16_64 3
		.amdhsa_dx10_clamp 1
		.amdhsa_ieee_mode 1
		.amdhsa_fp16_overflow 0
		.amdhsa_tg_split 0
		.amdhsa_exception_fp_ieee_invalid_op 0
		.amdhsa_exception_fp_denorm_src 0
		.amdhsa_exception_fp_ieee_div_zero 0
		.amdhsa_exception_fp_ieee_overflow 0
		.amdhsa_exception_fp_ieee_underflow 0
		.amdhsa_exception_fp_ieee_inexact 0
		.amdhsa_exception_int_div_zero 0
	.end_amdhsa_kernel
	.section	.text._ZN4vllm25paged_attention_v2_kernelI14__hip_bfloat16S1_Li256ELi8ELi128ELNS_18Fp8KVCacheDataTypeE0ELb1ELi512EEEvPfS3_PT_PKS4_PKT0_SA_ifPKiSC_iPKfiiiSE_SE_iiiii,"axG",@progbits,_ZN4vllm25paged_attention_v2_kernelI14__hip_bfloat16S1_Li256ELi8ELi128ELNS_18Fp8KVCacheDataTypeE0ELb1ELi512EEEvPfS3_PT_PKS4_PKT0_SA_ifPKiSC_iPKfiiiSE_SE_iiiii,comdat
.Lfunc_end142:
	.size	_ZN4vllm25paged_attention_v2_kernelI14__hip_bfloat16S1_Li256ELi8ELi128ELNS_18Fp8KVCacheDataTypeE0ELb1ELi512EEEvPfS3_PT_PKS4_PKT0_SA_ifPKiSC_iPKfiiiSE_SE_iiiii, .Lfunc_end142-_ZN4vllm25paged_attention_v2_kernelI14__hip_bfloat16S1_Li256ELi8ELi128ELNS_18Fp8KVCacheDataTypeE0ELb1ELi512EEEvPfS3_PT_PKS4_PKT0_SA_ifPKiSC_iPKfiiiSE_SE_iiiii
                                        ; -- End function
	.section	.AMDGPU.csdata,"",@progbits
; Kernel info:
; codeLenInByte = 9252
; NumSgprs: 56
; NumVgprs: 89
; NumAgprs: 0
; TotalNumVgprs: 89
; ScratchSize: 0
; MemoryBound: 0
; FloatMode: 240
; IeeeMode: 1
; LDSByteSize: 528 bytes/workgroup (compile time only)
; SGPRBlocks: 6
; VGPRBlocks: 11
; NumSGPRsForWavesPerEU: 56
; NumVGPRsForWavesPerEU: 89
; AccumOffset: 92
; Occupancy: 5
; WaveLimiterHint : 1
; COMPUTE_PGM_RSRC2:SCRATCH_EN: 0
; COMPUTE_PGM_RSRC2:USER_SGPR: 6
; COMPUTE_PGM_RSRC2:TRAP_HANDLER: 0
; COMPUTE_PGM_RSRC2:TGID_X_EN: 1
; COMPUTE_PGM_RSRC2:TGID_Y_EN: 1
; COMPUTE_PGM_RSRC2:TGID_Z_EN: 1
; COMPUTE_PGM_RSRC2:TIDIG_COMP_CNT: 0
; COMPUTE_PGM_RSRC3_GFX90A:ACCUM_OFFSET: 22
; COMPUTE_PGM_RSRC3_GFX90A:TG_SPLIT: 0
	.section	.text._ZN4vllm32paged_attention_v2_reduce_kernelI14__hip_bfloat16Li256ELi128ELi512EEEvPT_PKfS5_PKS2_PKii,"axG",@progbits,_ZN4vllm32paged_attention_v2_reduce_kernelI14__hip_bfloat16Li256ELi128ELi512EEEvPT_PKfS5_PKS2_PKii,comdat
	.protected	_ZN4vllm32paged_attention_v2_reduce_kernelI14__hip_bfloat16Li256ELi128ELi512EEEvPT_PKfS5_PKS2_PKii ; -- Begin function _ZN4vllm32paged_attention_v2_reduce_kernelI14__hip_bfloat16Li256ELi128ELi512EEEvPT_PKfS5_PKS2_PKii
	.globl	_ZN4vllm32paged_attention_v2_reduce_kernelI14__hip_bfloat16Li256ELi128ELi512EEEvPT_PKfS5_PKS2_PKii
	.p2align	8
	.type	_ZN4vllm32paged_attention_v2_reduce_kernelI14__hip_bfloat16Li256ELi128ELi512EEEvPT_PKfS5_PKS2_PKii,@function
_ZN4vllm32paged_attention_v2_reduce_kernelI14__hip_bfloat16Li256ELi128ELi512EEEvPT_PKfS5_PKS2_PKii: ; @_ZN4vllm32paged_attention_v2_reduce_kernelI14__hip_bfloat16Li256ELi128ELi512EEEvPT_PKfS5_PKS2_PKii
; %bb.0:
	s_load_dwordx4 s[8:11], s[4:5], 0x18
	s_add_u32 s12, s4, 48
	s_mov_b32 s14, s7
	s_addc_u32 s13, s5, 0
	s_ashr_i32 s15, s7, 31
	s_lshl_b64 s[0:1], s[14:15], 2
	s_waitcnt lgkmcnt(0)
	s_add_u32 s0, s10, s0
	s_addc_u32 s1, s11, s1
	s_load_dword s22, s[0:1], 0x0
	s_load_dwordx2 s[10:11], s[4:5], 0x0
	s_load_dword s7, s[4:5], 0x28
	s_load_dword s15, s[4:5], 0x30
	s_waitcnt lgkmcnt(0)
	s_add_i32 s0, s22, -1
	s_cmpk_gt_u32 s0, 0x1ff
	s_mov_b64 s[0:1], -1
	s_cbranch_scc0 .LBB143_28
; %bb.1:
	s_add_i32 s0, s22, 0x1ff
	s_load_dwordx2 s[20:21], s[4:5], 0x8
	s_ashr_i32 s1, s0, 31
	s_lshr_b32 s1, s1, 23
	s_add_i32 s0, s0, s1
	s_mul_i32 s24, s15, s14
	s_ashr_i32 s23, s0, 9
	s_mul_i32 s16, s24, s7
	s_mul_i32 s18, s6, s7
	s_ashr_i32 s17, s16, 31
	s_ashr_i32 s19, s18, 31
	v_cmp_gt_i32_e32 vcc, s23, v0
	v_mov_b32_e32 v4, 0xff7fffff
	s_and_saveexec_b64 s[2:3], vcc
	s_cbranch_execz .LBB143_5
; %bb.2:
	s_load_dword s25, s[12:13], 0xc
	s_load_dwordx2 s[0:1], s[4:5], 0x10
	s_lshl_b64 s[4:5], s[16:17], 2
	s_lshl_b64 s[26:27], s[18:19], 2
	v_lshlrev_b32_e32 v1, 2, v0
	s_waitcnt lgkmcnt(0)
	s_and_b32 s25, s25, 0xffff
	s_add_u32 s4, s4, s26
	s_addc_u32 s5, s5, s27
	s_add_u32 s0, s0, s4
	s_addc_u32 s1, s1, s5
	s_mov_b32 s28, 0
	v_mov_b32_e32 v3, s1
	v_add_co_u32_e64 v2, s[0:1], s0, v1
	v_addc_co_u32_e64 v3, s[0:1], 0, v3, s[0:1]
	s_lshl_b32 s26, s25, 2
	v_add_u32_e32 v1, 16, v1
	s_mov_b64 s[4:5], 0
	v_mov_b32_e32 v4, 0xff7fffff
	v_mov_b32_e32 v5, s28
	;; [unrolled: 1-line block ×3, first 2 shown]
.LBB143_3:                              ; =>This Inner Loop Header: Depth=1
	global_load_dword v7, v[2:3], off
	v_add_co_u32_e64 v2, s[0:1], s26, v2
	v_add_u32_e32 v6, s25, v6
	v_addc_co_u32_e64 v3, s[0:1], v3, v5, s[0:1]
	v_max_f32_e32 v4, v4, v4
	v_cmp_le_i32_e64 s[0:1], s23, v6
	s_or_b64 s[4:5], s[0:1], s[4:5]
	s_waitcnt vmcnt(0)
	ds_write_b32 v1, v7
	v_max_f32_e32 v7, v7, v7
	v_add_u32_e32 v1, s26, v1
	v_max_f32_e32 v4, v4, v7
	s_andn2_b64 exec, exec, s[4:5]
	s_cbranch_execnz .LBB143_3
; %bb.4:
	s_or_b64 exec, exec, s[4:5]
.LBB143_5:
	s_or_b64 exec, exec, s[2:3]
	v_mbcnt_lo_u32_b32 v1, -1, 0
	v_mbcnt_hi_u32_b32 v2, -1, v1
	v_and_b32_e32 v1, 64, v2
	v_add_u32_e32 v5, 64, v1
	v_xor_b32_e32 v1, 32, v2
	v_cmp_lt_i32_e64 s[0:1], v1, v5
	v_cndmask_b32_e64 v1, v2, v1, s[0:1]
	v_lshlrev_b32_e32 v1, 2, v1
	ds_bpermute_b32 v3, v1, v4
	v_xor_b32_e32 v6, 16, v2
	v_max_f32_e32 v4, v4, v4
	v_cmp_lt_i32_e64 s[0:1], v6, v5
	v_xor_b32_e32 v7, 8, v2
	s_waitcnt lgkmcnt(0)
	v_max_f32_e32 v3, v3, v3
	v_max_f32_e32 v3, v4, v3
	v_cndmask_b32_e64 v4, v2, v6, s[0:1]
	v_lshlrev_b32_e32 v6, 2, v4
	ds_bpermute_b32 v4, v6, v3
	v_cmp_lt_i32_e64 s[0:1], v7, v5
	v_xor_b32_e32 v8, 4, v2
	s_waitcnt lgkmcnt(0)
	s_barrier
	v_max_f32_e32 v4, v4, v4
	v_max_f32_e32 v3, v3, v4
	v_cndmask_b32_e64 v4, v2, v7, s[0:1]
	v_lshlrev_b32_e32 v7, 2, v4
	ds_bpermute_b32 v4, v7, v3
	v_cmp_lt_i32_e64 s[0:1], v8, v5
	s_waitcnt lgkmcnt(0)
	v_max_f32_e32 v4, v4, v4
	v_max_f32_e32 v3, v3, v4
	v_cndmask_b32_e64 v4, v2, v8, s[0:1]
	v_lshlrev_b32_e32 v9, 2, v4
	ds_bpermute_b32 v4, v9, v3
	v_xor_b32_e32 v8, 2, v2
	v_cmp_lt_i32_e64 s[0:1], v8, v5
	s_waitcnt lgkmcnt(0)
	v_max_f32_e32 v4, v4, v4
	v_max_f32_e32 v3, v3, v4
	v_cndmask_b32_e64 v4, v2, v8, s[0:1]
	v_lshlrev_b32_e32 v10, 2, v4
	ds_bpermute_b32 v11, v10, v3
	v_and_b32_e32 v4, 63, v0
	v_lshrrev_b32_e32 v8, 6, v0
	s_waitcnt lgkmcnt(0)
	v_max_f32_e32 v11, v11, v11
	v_max_f32_e32 v3, v3, v11
	v_xor_b32_e32 v11, 1, v2
	v_cmp_lt_i32_e64 s[0:1], v11, v5
	v_cndmask_b32_e64 v5, v2, v11, s[0:1]
	v_lshlrev_b32_e32 v5, 2, v5
	ds_bpermute_b32 v11, v5, v3
	v_cmp_eq_u32_e64 s[0:1], 0, v4
	s_and_saveexec_b64 s[2:3], s[0:1]
	s_cbranch_execz .LBB143_7
; %bb.6:
	s_waitcnt lgkmcnt(0)
	v_max_f32_e32 v11, v11, v11
	v_max_f32_e32 v3, v3, v3
	;; [unrolled: 1-line block ×3, first 2 shown]
	v_lshlrev_b32_e32 v11, 2, v8
	ds_write_b32 v11, v3
.LBB143_7:
	s_or_b64 exec, exec, s[2:3]
	v_cmp_gt_u32_e64 s[2:3], 2, v4
	v_mov_b32_e32 v3, 0xff7fffff
	s_waitcnt lgkmcnt(0)
	s_barrier
	s_and_saveexec_b64 s[4:5], s[2:3]
	s_cbranch_execz .LBB143_9
; %bb.8:
	v_lshlrev_b32_e32 v3, 2, v4
	ds_read_b32 v3, v3
.LBB143_9:
	s_or_b64 exec, exec, s[4:5]
	s_waitcnt lgkmcnt(0)
	ds_bpermute_b32 v11, v5, v3
	v_max_f32_e32 v3, v3, v3
	v_lshlrev_b32_e32 v2, 2, v2
	s_lshl_b32 s25, s23, 2
	v_mov_b32_e32 v13, 0
	s_waitcnt lgkmcnt(0)
	v_max_f32_e32 v11, v11, v11
	v_max_f32_e32 v3, v3, v11
	v_and_b32_e32 v11, 0x100, v2
	ds_bpermute_b32 v12, v11, v3
	s_and_saveexec_b64 s[4:5], vcc
	s_cbranch_execz .LBB143_13
; %bb.10:
	s_load_dword s30, s[12:13], 0xc
	s_lshl_b64 s[26:27], s[16:17], 2
	s_lshl_b64 s[28:29], s[18:19], 2
	v_lshlrev_b32_e32 v13, 2, v0
	s_mov_b32 s31, 0
	s_waitcnt lgkmcnt(0)
	s_and_b32 s17, s30, 0xffff
	s_add_u32 s19, s26, s28
	s_addc_u32 s26, s27, s29
	s_add_u32 s19, s20, s19
	s_addc_u32 s20, s21, s26
	v_mov_b32_e32 v3, s20
	v_add_co_u32_e32 v2, vcc, s19, v13
	v_addc_co_u32_e32 v3, vcc, 0, v3, vcc
	s_lshl_b32 s19, s17, 2
	v_add_u32_e32 v14, 16, v13
	s_mov_b64 s[20:21], 0
	v_mov_b32_e32 v13, 0
	s_mov_b32 s26, 0x3fb8aa3b
	s_mov_b32 s27, 0xc2ce8ed0
	;; [unrolled: 1-line block ×3, first 2 shown]
	v_mov_b32_e32 v15, 0x7f800000
	v_mov_b32_e32 v16, s31
	;; [unrolled: 1-line block ×3, first 2 shown]
.LBB143_11:                             ; =>This Inner Loop Header: Depth=1
	global_load_dword v18, v[2:3], off
	ds_read_b32 v19, v14
	v_add_co_u32_e32 v2, vcc, s19, v2
	v_add_u32_e32 v17, s17, v17
	v_addc_co_u32_e32 v3, vcc, v3, v16, vcc
	s_waitcnt lgkmcnt(0)
	v_sub_f32_e32 v19, v19, v12
	v_mul_f32_e32 v21, 0x3fb8aa3b, v19
	v_fma_f32 v22, v19, s26, -v21
	v_rndne_f32_e32 v23, v21
	v_fmac_f32_e32 v22, 0x32a5705f, v19
	v_sub_f32_e32 v21, v21, v23
	v_add_f32_e32 v21, v21, v22
	v_cvt_i32_f32_e32 v23, v23
	v_exp_f32_e32 v21, v21
	v_cmp_le_i32_e32 vcc, s23, v17
	s_or_b64 s[20:21], vcc, s[20:21]
	v_cmp_ngt_f32_e32 vcc, s27, v19
	v_ldexp_f32 v21, v21, v23
	v_cndmask_b32_e32 v21, 0, v21, vcc
	v_cmp_nlt_f32_e32 vcc, s28, v19
	v_cndmask_b32_e32 v19, v15, v21, vcc
	v_add_u32_e32 v20, s25, v14
	v_add_u32_e32 v14, s19, v14
	s_waitcnt vmcnt(0)
	v_mul_f32_e32 v21, v18, v19
	v_fmac_f32_e32 v13, v18, v19
	ds_write_b32 v20, v21
	s_andn2_b64 exec, exec, s[20:21]
	s_cbranch_execnz .LBB143_11
; %bb.12:
	s_or_b64 exec, exec, s[20:21]
.LBB143_13:
	s_or_b64 exec, exec, s[4:5]
	ds_bpermute_b32 v1, v1, v13
	s_waitcnt lgkmcnt(0)
	s_barrier
	v_add_f32_e32 v1, v13, v1
	ds_bpermute_b32 v2, v6, v1
	s_waitcnt lgkmcnt(0)
	v_add_f32_e32 v1, v1, v2
	ds_bpermute_b32 v2, v7, v1
	s_waitcnt lgkmcnt(0)
	;; [unrolled: 3-line block ×5, first 2 shown]
	v_add_f32_e32 v1, v1, v2
	s_and_saveexec_b64 s[4:5], s[0:1]
	s_cbranch_execz .LBB143_15
; %bb.14:
	v_lshlrev_b32_e32 v2, 2, v8
	ds_write_b32 v2, v1 offset:8
.LBB143_15:
	s_or_b64 exec, exec, s[4:5]
	s_waitcnt lgkmcnt(0)
	s_barrier
	s_and_saveexec_b64 s[0:1], s[2:3]
	s_cbranch_execz .LBB143_17
; %bb.16:
	v_lshlrev_b32_e32 v1, 2, v4
	ds_read_b32 v1, v1 offset:8
.LBB143_17:
	s_or_b64 exec, exec, s[0:1]
	s_waitcnt lgkmcnt(0)
	ds_bpermute_b32 v2, v5, v1
	s_movk_i32 s0, 0x100
	v_cmp_gt_u32_e32 vcc, s0, v0
	s_waitcnt lgkmcnt(0)
	v_add_f32_e32 v1, v1, v2
	ds_bpermute_b32 v1, v11, v1
	s_and_saveexec_b64 s[2:3], vcc
	s_cbranch_execz .LBB143_27
; %bb.18:
	s_waitcnt lgkmcnt(0)
	v_add_f32_e32 v1, 0x358637bd, v1
	v_div_scale_f32 v2, s[0:1], v1, v1, 1.0
	s_lshl_b32 s0, s16, 8
	s_lshl_b32 s16, s24, 8
	;; [unrolled: 1-line block ×3, first 2 shown]
	s_ashr_i32 s17, s16, 31
	s_ashr_i32 s1, s0, 31
	;; [unrolled: 1-line block ×3, first 2 shown]
	s_lshl_b64 s[16:17], s[16:17], 1
	v_rcp_f32_e32 v3, v2
	s_add_u32 s18, s10, s16
	s_addc_u32 s19, s11, s17
	s_lshl_b32 s16, s6, 8
	s_ashr_i32 s17, s16, 31
	s_lshl_b64 s[16:17], s[16:17], 1
	v_fma_f32 v5, -v2, v3, 1.0
	s_add_u32 s18, s18, s16
	v_div_scale_f32 v4, vcc, 1.0, v1, 1.0
	v_fmac_f32_e32 v3, v5, v3
	s_addc_u32 s24, s19, s17
	s_add_i32 s19, s25, 16
	v_mul_f32_e32 v5, v4, v3
	s_cmp_gt_i32 s22, 0
	v_fma_f32 v6, -v2, v5, v4
	s_cselect_b64 s[16:17], -1, 0
	s_max_i32 s20, s23, 1
	s_lshl_b64 s[0:1], s[0:1], 1
	s_lshl_b64 s[4:5], s[4:5], 1
	v_fmac_f32_e32 v5, v6, v3
	s_add_u32 s0, s0, s4
	v_fma_f32 v2, -v2, v5, v4
	s_addc_u32 s1, s1, s5
	v_div_fmas_f32 v2, v2, v3, v5
	s_add_u32 s0, s8, s0
	v_div_fixup_f32 v1, v2, v1, 1.0
	v_lshlrev_b32_e32 v2, 1, v0
	s_addc_u32 s1, s9, s1
	v_mov_b32_e32 v5, s1
	v_add_co_u32_e32 v4, vcc, s0, v2
	v_cndmask_b32_e64 v2, 0, 1, s[16:17]
	v_mov_b32_e32 v3, 0
	v_addc_co_u32_e32 v5, vcc, 0, v5, vcc
	s_mov_b64 s[4:5], 0
	v_cmp_ne_u32_e64 s[0:1], 1, v2
	s_mov_b32 s21, 0x7f800000
	s_movk_i32 s22, 0x7fff
	v_mov_b32_e32 v8, s24
	s_movk_i32 s23, 0x7f
	v_mov_b32_e32 v2, v0
	s_branch .LBB143_20
.LBB143_19:                             ;   in Loop: Header=BB143_20 Depth=1
	s_or_b64 exec, exec, s[16:17]
	v_lshlrev_b64 v[10:11], 1, v[2:3]
	v_add_co_u32_e32 v10, vcc, s18, v10
	v_addc_co_u32_e32 v11, vcc, v8, v11, vcc
	v_add_co_u32_e32 v4, vcc, 0x100, v4
	v_addc_co_u32_e32 v5, vcc, 0, v5, vcc
	global_store_short_d16_hi v[10:11], v6, off
	v_add_u32_e32 v6, 0x80, v2
	v_cmp_lt_u32_e32 vcc, s23, v2
	s_or_b64 s[4:5], vcc, s[4:5]
	v_mov_b32_e32 v2, v6
	s_andn2_b64 exec, exec, s[4:5]
	s_cbranch_execz .LBB143_27
.LBB143_20:                             ; =>This Loop Header: Depth=1
                                        ;     Child Loop BB143_22 Depth 2
	s_and_b64 vcc, exec, s[0:1]
	v_mov_b32_e32 v9, 0
	s_cbranch_vccnz .LBB143_23
; %bb.21:                               ;   in Loop: Header=BB143_20 Depth=1
	v_mov_b32_e32 v9, 0
	s_mov_b32 s16, s19
	v_pk_mov_b32 v[6:7], v[4:5], v[4:5] op_sel:[0,1]
	s_mov_b32 s17, s20
.LBB143_22:                             ;   Parent Loop BB143_20 Depth=1
                                        ; =>  This Inner Loop Header: Depth=2
	global_load_ushort v10, v[6:7], off
	v_mov_b32_e32 v11, s16
	ds_read_b32 v11, v11
	s_add_i32 s17, s17, -1
	v_add_co_u32_e32 v6, vcc, 0x200, v6
	s_add_i32 s16, s16, 4
	v_addc_co_u32_e32 v7, vcc, 0, v7, vcc
	s_cmp_eq_u32 s17, 0
	s_waitcnt vmcnt(0)
	v_lshlrev_b32_e32 v10, 16, v10
	s_waitcnt lgkmcnt(0)
	v_mul_f32_e32 v10, v11, v10
	v_fmac_f32_e32 v9, v1, v10
	s_cbranch_scc0 .LBB143_22
.LBB143_23:                             ;   in Loop: Header=BB143_20 Depth=1
	v_and_b32_e32 v6, 0x7f800000, v9
	v_cmp_ne_u32_e32 vcc, s21, v6
                                        ; implicit-def: $vgpr6
	s_and_saveexec_b64 s[16:17], vcc
	s_xor_b64 s[16:17], exec, s[16:17]
; %bb.24:                               ;   in Loop: Header=BB143_20 Depth=1
	v_bfe_u32 v6, v9, 16, 1
	v_add3_u32 v6, v9, v6, s22
                                        ; implicit-def: $vgpr9
; %bb.25:                               ;   in Loop: Header=BB143_20 Depth=1
	s_andn2_saveexec_b64 s[16:17], s[16:17]
	s_cbranch_execz .LBB143_19
; %bb.26:                               ;   in Loop: Header=BB143_20 Depth=1
	v_or_b32_e32 v6, 0x10000, v9
	v_cmp_eq_u32_sdwa vcc, v9, v3 src0_sel:WORD_0 src1_sel:DWORD
	v_cndmask_b32_e32 v6, v6, v9, vcc
	s_branch .LBB143_19
.LBB143_27:
	s_or_b64 exec, exec, s[2:3]
	s_mov_b64 s[0:1], 0
.LBB143_28:
	s_and_b64 vcc, exec, s[0:1]
	s_cbranch_vccz .LBB143_37
; %bb.29:
	s_movk_i32 s0, 0x100
	v_cmp_gt_u32_e32 vcc, s0, v0
	s_and_saveexec_b64 s[2:3], vcc
	s_cbranch_execz .LBB143_37
; %bb.30:
	s_mul_i32 s15, s15, s14
	s_lshl_b32 s2, s15, 8
	s_ashr_i32 s3, s2, 31
	s_lshl_b64 s[2:3], s[2:3], 1
	s_add_u32 s1, s10, s2
	s_addc_u32 s5, s11, s3
	s_lshl_b32 s2, s6, 8
	s_ashr_i32 s3, s2, 31
	s_lshl_b64 s[2:3], s[2:3], 1
	s_add_u32 s4, s1, s2
	s_mul_i32 s1, s7, s15
	s_addc_u32 s10, s5, s3
	s_lshl_b32 s2, s1, 8
	s_ashr_i32 s3, s2, 31
	s_lshl_b64 s[2:3], s[2:3], 1
	s_add_u32 s1, s8, s2
	s_mul_i32 s6, s6, s7
	s_addc_u32 s8, s9, s3
	s_lshl_b32 s2, s6, 8
	s_load_dword s6, s[12:13], 0xc
	s_ashr_i32 s3, s2, 31
	s_lshl_b64 s[2:3], s[2:3], 1
	s_add_u32 s5, s1, s2
	s_addc_u32 s7, s8, s3
	s_waitcnt lgkmcnt(0)
	s_and_b32 s6, s6, 0xffff
	v_cvt_f32_u32_e32 v1, s6
	v_add_u32_e32 v2, s6, v0
	v_mov_b32_e32 v4, s6
	v_cmp_gt_u32_e32 vcc, s0, v2
	v_rcp_iflag_f32_e32 v1, v1
	s_cmp_eq_u32 s6, 1
	v_max_u32_e32 v3, 0x100, v2
	v_addc_co_u32_e64 v2, s[0:1], v0, v4, vcc
	v_mul_f32_e32 v1, 0x4f7ffffe, v1
	v_cvt_u32_f32_e32 v1, v1
	s_cselect_b64 s[2:3], -1, 0
	s_sub_i32 s0, 0, s6
	v_sub_u32_e32 v2, v3, v2
	v_mul_lo_u32 v3, s0, v1
	v_mul_hi_u32 v3, v1, v3
	v_add_u32_e32 v1, v1, v3
	v_mul_hi_u32 v1, v2, v1
	v_mul_lo_u32 v3, v1, s6
	v_sub_u32_e32 v2, v2, v3
	v_add_u32_e32 v3, 1, v1
	v_cmp_le_u32_e64 s[0:1], s6, v2
	v_cndmask_b32_e64 v1, v1, v3, s[0:1]
	v_subrev_u32_e32 v3, s6, v2
	v_cndmask_b32_e64 v2, v2, v3, s[0:1]
	v_add_u32_e32 v3, 1, v1
	v_cmp_le_u32_e64 s[0:1], s6, v2
	v_cndmask_b32_e64 v1, v1, v3, s[0:1]
	v_addc_co_u32_e32 v1, vcc, 1, v1, vcc
	v_cmp_lt_u32_e32 vcc, 31, v1
	s_and_b64 s[8:9], vcc, s[2:3]
	s_mov_b64 s[2:3], -1
	s_and_saveexec_b64 s[0:1], s[8:9]
	s_cbranch_execz .LBB143_34
; %bb.31:
	v_and_b32_e32 v4, 0xffffffe0, v1
	s_mov_b64 s[2:3], 0
	v_mov_b32_e32 v3, 0
	v_mov_b32_e32 v5, s7
	;; [unrolled: 1-line block ×5, first 2 shown]
.LBB143_32:                             ; =>This Inner Loop Header: Depth=1
	v_lshlrev_b64 v[24:25], 1, v[2:3]
	v_add_co_u32_e32 v26, vcc, s5, v24
	v_addc_co_u32_e32 v27, vcc, v5, v25, vcc
	global_load_dwordx4 v[8:11], v[26:27], off
	global_load_dwordx4 v[12:15], v[26:27], off offset:16
	global_load_dwordx4 v[16:19], v[26:27], off offset:32
	;; [unrolled: 1-line block ×3, first 2 shown]
	v_add_co_u32_e32 v24, vcc, s4, v24
	v_subrev_u32_e32 v7, 32, v7
	v_addc_co_u32_e32 v25, vcc, v6, v25, vcc
	v_cmp_eq_u32_e32 vcc, 0, v7
	v_add_u32_e32 v2, 32, v2
	s_or_b64 s[2:3], vcc, s[2:3]
	s_waitcnt vmcnt(3)
	global_store_dwordx4 v[24:25], v[8:11], off
	s_waitcnt vmcnt(3)
	global_store_dwordx4 v[24:25], v[12:15], off offset:16
	s_waitcnt vmcnt(3)
	global_store_dwordx4 v[24:25], v[16:19], off offset:32
	;; [unrolled: 2-line block ×3, first 2 shown]
	s_andn2_b64 exec, exec, s[2:3]
	s_cbranch_execnz .LBB143_32
; %bb.33:
	s_or_b64 exec, exec, s[2:3]
	v_cmp_ne_u32_e32 vcc, v1, v4
	v_add_u32_e32 v0, v0, v4
	s_orn2_b64 s[2:3], vcc, exec
.LBB143_34:
	s_or_b64 exec, exec, s[0:1]
	s_and_b64 exec, exec, s[2:3]
	s_cbranch_execz .LBB143_37
; %bb.35:
	s_mov_b32 s3, 0
	v_mov_b32_e32 v1, 0
	v_lshlrev_b64 v[2:3], 1, v[0:1]
	s_lshl_b32 s2, s6, 1
	s_mov_b64 s[0:1], 0
	v_mov_b32_e32 v1, s7
	v_mov_b32_e32 v4, s10
	;; [unrolled: 1-line block ×3, first 2 shown]
	s_movk_i32 s3, 0xff
.LBB143_36:                             ; =>This Inner Loop Header: Depth=1
	v_add_co_u32_e32 v6, vcc, s5, v2
	v_addc_co_u32_e32 v7, vcc, v1, v3, vcc
	global_load_ushort v8, v[6:7], off
	v_add_co_u32_e32 v6, vcc, s4, v2
	v_addc_co_u32_e32 v7, vcc, v4, v3, vcc
	v_add_co_u32_e32 v2, vcc, s2, v2
	v_add_u32_e32 v0, s6, v0
	v_addc_co_u32_e32 v3, vcc, v3, v5, vcc
	v_cmp_lt_u32_e32 vcc, s3, v0
	s_or_b64 s[0:1], vcc, s[0:1]
	s_waitcnt vmcnt(0)
	global_store_short v[6:7], v8, off
	s_andn2_b64 exec, exec, s[0:1]
	s_cbranch_execnz .LBB143_36
.LBB143_37:
	s_endpgm
	.section	.rodata,"a",@progbits
	.p2align	6, 0x0
	.amdhsa_kernel _ZN4vllm32paged_attention_v2_reduce_kernelI14__hip_bfloat16Li256ELi128ELi512EEEvPT_PKfS5_PKS2_PKii
		.amdhsa_group_segment_fixed_size 16
		.amdhsa_private_segment_fixed_size 0
		.amdhsa_kernarg_size 304
		.amdhsa_user_sgpr_count 6
		.amdhsa_user_sgpr_private_segment_buffer 1
		.amdhsa_user_sgpr_dispatch_ptr 0
		.amdhsa_user_sgpr_queue_ptr 0
		.amdhsa_user_sgpr_kernarg_segment_ptr 1
		.amdhsa_user_sgpr_dispatch_id 0
		.amdhsa_user_sgpr_flat_scratch_init 0
		.amdhsa_user_sgpr_kernarg_preload_length 0
		.amdhsa_user_sgpr_kernarg_preload_offset 0
		.amdhsa_user_sgpr_private_segment_size 0
		.amdhsa_uses_dynamic_stack 0
		.amdhsa_system_sgpr_private_segment_wavefront_offset 0
		.amdhsa_system_sgpr_workgroup_id_x 1
		.amdhsa_system_sgpr_workgroup_id_y 1
		.amdhsa_system_sgpr_workgroup_id_z 0
		.amdhsa_system_sgpr_workgroup_info 0
		.amdhsa_system_vgpr_workitem_id 0
		.amdhsa_next_free_vgpr 28
		.amdhsa_next_free_sgpr 32
		.amdhsa_accum_offset 28
		.amdhsa_reserve_vcc 1
		.amdhsa_reserve_flat_scratch 0
		.amdhsa_float_round_mode_32 0
		.amdhsa_float_round_mode_16_64 0
		.amdhsa_float_denorm_mode_32 3
		.amdhsa_float_denorm_mode_16_64 3
		.amdhsa_dx10_clamp 1
		.amdhsa_ieee_mode 1
		.amdhsa_fp16_overflow 0
		.amdhsa_tg_split 0
		.amdhsa_exception_fp_ieee_invalid_op 0
		.amdhsa_exception_fp_denorm_src 0
		.amdhsa_exception_fp_ieee_div_zero 0
		.amdhsa_exception_fp_ieee_overflow 0
		.amdhsa_exception_fp_ieee_underflow 0
		.amdhsa_exception_fp_ieee_inexact 0
		.amdhsa_exception_int_div_zero 0
	.end_amdhsa_kernel
	.section	.text._ZN4vllm32paged_attention_v2_reduce_kernelI14__hip_bfloat16Li256ELi128ELi512EEEvPT_PKfS5_PKS2_PKii,"axG",@progbits,_ZN4vllm32paged_attention_v2_reduce_kernelI14__hip_bfloat16Li256ELi128ELi512EEEvPT_PKfS5_PKS2_PKii,comdat
.Lfunc_end143:
	.size	_ZN4vllm32paged_attention_v2_reduce_kernelI14__hip_bfloat16Li256ELi128ELi512EEEvPT_PKfS5_PKS2_PKii, .Lfunc_end143-_ZN4vllm32paged_attention_v2_reduce_kernelI14__hip_bfloat16Li256ELi128ELi512EEEvPT_PKfS5_PKS2_PKii
                                        ; -- End function
	.section	.AMDGPU.csdata,"",@progbits
; Kernel info:
; codeLenInByte = 2388
; NumSgprs: 36
; NumVgprs: 28
; NumAgprs: 0
; TotalNumVgprs: 28
; ScratchSize: 0
; MemoryBound: 0
; FloatMode: 240
; IeeeMode: 1
; LDSByteSize: 16 bytes/workgroup (compile time only)
; SGPRBlocks: 4
; VGPRBlocks: 3
; NumSGPRsForWavesPerEU: 36
; NumVGPRsForWavesPerEU: 28
; AccumOffset: 28
; Occupancy: 8
; WaveLimiterHint : 0
; COMPUTE_PGM_RSRC2:SCRATCH_EN: 0
; COMPUTE_PGM_RSRC2:USER_SGPR: 6
; COMPUTE_PGM_RSRC2:TRAP_HANDLER: 0
; COMPUTE_PGM_RSRC2:TGID_X_EN: 1
; COMPUTE_PGM_RSRC2:TGID_Y_EN: 1
; COMPUTE_PGM_RSRC2:TGID_Z_EN: 0
; COMPUTE_PGM_RSRC2:TIDIG_COMP_CNT: 0
; COMPUTE_PGM_RSRC3_GFX90A:ACCUM_OFFSET: 6
; COMPUTE_PGM_RSRC3_GFX90A:TG_SPLIT: 0
	.section	.text._ZN4vllm25paged_attention_v2_kernelI14__hip_bfloat16S1_Li32ELi8ELi128ELNS_18Fp8KVCacheDataTypeE0ELb0ELi512EEEvPfS3_PT_PKS4_PKT0_SA_ifPKiSC_iPKfiiiSE_SE_iiiii,"axG",@progbits,_ZN4vllm25paged_attention_v2_kernelI14__hip_bfloat16S1_Li32ELi8ELi128ELNS_18Fp8KVCacheDataTypeE0ELb0ELi512EEEvPfS3_PT_PKS4_PKT0_SA_ifPKiSC_iPKfiiiSE_SE_iiiii,comdat
	.protected	_ZN4vllm25paged_attention_v2_kernelI14__hip_bfloat16S1_Li32ELi8ELi128ELNS_18Fp8KVCacheDataTypeE0ELb0ELi512EEEvPfS3_PT_PKS4_PKT0_SA_ifPKiSC_iPKfiiiSE_SE_iiiii ; -- Begin function _ZN4vllm25paged_attention_v2_kernelI14__hip_bfloat16S1_Li32ELi8ELi128ELNS_18Fp8KVCacheDataTypeE0ELb0ELi512EEEvPfS3_PT_PKS4_PKT0_SA_ifPKiSC_iPKfiiiSE_SE_iiiii
	.globl	_ZN4vllm25paged_attention_v2_kernelI14__hip_bfloat16S1_Li32ELi8ELi128ELNS_18Fp8KVCacheDataTypeE0ELb0ELi512EEEvPfS3_PT_PKS4_PKT0_SA_ifPKiSC_iPKfiiiSE_SE_iiiii
	.p2align	8
	.type	_ZN4vllm25paged_attention_v2_kernelI14__hip_bfloat16S1_Li32ELi8ELi128ELNS_18Fp8KVCacheDataTypeE0ELb0ELi512EEEvPfS3_PT_PKS4_PKT0_SA_ifPKiSC_iPKfiiiSE_SE_iiiii,@function
_ZN4vllm25paged_attention_v2_kernelI14__hip_bfloat16S1_Li32ELi8ELi128ELNS_18Fp8KVCacheDataTypeE0ELb0ELi512EEEvPfS3_PT_PKS4_PKT0_SA_ifPKiSC_iPKfiiiSE_SE_iiiii: ; @_ZN4vllm25paged_attention_v2_kernelI14__hip_bfloat16S1_Li32ELi8ELi128ELNS_18Fp8KVCacheDataTypeE0ELb0ELi512EEEvPfS3_PT_PKS4_PKT0_SA_ifPKiSC_iPKfiiiSE_SE_iiiii
; %bb.0:
	s_load_dwordx2 s[0:1], s[4:5], 0x40
	s_mov_b32 s24, s7
	s_ashr_i32 s25, s7, 31
	s_lshl_b64 s[2:3], s[24:25], 2
	s_waitcnt lgkmcnt(0)
	s_add_u32 s0, s0, s2
	s_addc_u32 s1, s1, s3
	s_load_dword s25, s[0:1], 0x0
	s_lshl_b32 s40, s8, 9
	s_waitcnt lgkmcnt(0)
	s_cmp_ge_i32 s40, s25
	s_cbranch_scc1 .LBB144_122
; %bb.1:
	s_load_dword s9, s[4:5], 0x90
	s_load_dwordx2 s[10:11], s[4:5], 0x30
	s_mov_b32 s41, 0
	s_waitcnt lgkmcnt(0)
	s_abs_i32 s2, s9
	s_abs_i32 s0, s10
	v_cvt_f32_u32_e32 v1, s0
	s_sub_i32 s3, 0, s0
	s_xor_b32 s1, s9, s10
	s_ashr_i32 s1, s1, 31
	v_rcp_iflag_f32_e32 v1, v1
	v_mul_f32_e32 v1, 0x4f7ffffe, v1
	v_cvt_u32_f32_e32 v1, v1
	v_readfirstlane_b32 s7, v1
	s_mul_i32 s3, s3, s7
	s_mul_hi_u32 s3, s7, s3
	s_add_i32 s7, s7, s3
	s_mul_hi_u32 s3, s2, s7
	s_mul_i32 s7, s3, s0
	s_sub_i32 s2, s2, s7
	s_add_i32 s10, s3, 1
	s_sub_i32 s7, s2, s0
	s_cmp_ge_u32 s2, s0
	s_cselect_b32 s3, s10, s3
	s_cselect_b32 s2, s7, s2
	s_add_i32 s7, s3, 1
	s_cmp_ge_u32 s2, s0
	s_cselect_b32 s0, s7, s3
	s_xor_b32 s0, s0, s1
	s_sub_i32 s10, s0, s1
	s_abs_i32 s2, s10
	v_cvt_f32_u32_e32 v1, s2
	s_load_dwordx2 s[0:1], s[4:5], 0x50
	s_sub_i32 s7, 0, s2
	s_abs_i32 s3, s6
	v_rcp_iflag_f32_e32 v1, v1
	v_mul_f32_e32 v1, 0x4f7ffffe, v1
	v_cvt_u32_f32_e32 v1, v1
	v_readfirstlane_b32 s12, v1
	s_mul_i32 s7, s7, s12
	s_mul_hi_u32 s7, s12, s7
	s_add_i32 s12, s12, s7
	s_waitcnt lgkmcnt(0)
	s_cmp_eq_u64 s[0:1], 0
	s_mul_hi_u32 s16, s3, s12
	s_cbranch_scc1 .LBB144_3
; %bb.2:
	s_ashr_i32 s7, s6, 31
	s_lshl_b64 s[12:13], s[6:7], 2
	s_add_u32 s0, s0, s12
	s_addc_u32 s1, s1, s13
	s_load_dword s41, s[0:1], 0x0
.LBB144_3:
	s_load_dwordx4 s[12:15], s[4:5], 0x58
	s_ashr_i32 s17, s6, 31
	s_waitcnt lgkmcnt(0)
	s_ashr_i32 s15, s10, 31
	v_and_b32_e32 v1, 7, v0
	s_lshl_b32 s20, s6, 5
	v_cmp_gt_u32_e32 vcc, 32, v0
	s_and_saveexec_b64 s[0:1], vcc
	s_cbranch_execz .LBB144_5
; %bb.4:
	s_load_dwordx2 s[18:19], s[4:5], 0x18
	s_mul_i32 s22, s24, s12
	s_ashr_i32 s23, s22, 31
	s_lshl_b64 s[22:23], s[22:23], 1
	v_lshlrev_b32_e32 v2, 1, v0
	s_waitcnt lgkmcnt(0)
	s_add_u32 s7, s18, s22
	s_addc_u32 s10, s19, s23
	s_ashr_i32 s21, s20, 31
	s_lshl_b64 s[18:19], s[20:21], 1
	s_add_u32 s18, s7, s18
	s_addc_u32 s19, s10, s19
	global_load_ushort v2, v2, s[18:19]
	v_lshrrev_b32_e32 v3, 2, v0
	v_and_b32_e32 v3, 0xfe, v3
	v_lshl_add_u32 v3, v1, 3, v3
	s_waitcnt vmcnt(0)
	ds_write_b16 v3, v2
.LBB144_5:
	s_or_b64 exec, exec, s[0:1]
	s_add_i32 s0, s25, 7
	s_ashr_i32 s1, s0, 31
	s_lshr_b32 s1, s1, 29
	s_add_i32 s0, s0, s1
	s_lshl_b32 s10, s8, 6
	s_mul_i32 s1, s16, s2
	s_ashr_i32 s7, s0, 3
	s_add_i32 s0, s10, 64
	s_sub_i32 s1, s3, s1
	s_min_i32 s33, s0, s7
	s_xor_b32 s0, s17, s15
	s_add_i32 s3, s16, 1
	s_sub_i32 s12, s1, s2
	s_cmp_ge_u32 s1, s2
	s_cselect_b32 s3, s3, s16
	s_cselect_b32 s1, s12, s1
	s_add_i32 s12, s3, 1
	s_cmp_ge_u32 s1, s2
	s_load_dwordx2 s[26:27], s[4:5], 0x38
	s_load_dword s2, s[4:5], 0x48
	v_lshrrev_b32_e32 v4, 6, v0
	s_cselect_b32 s1, s12, s3
	s_xor_b32 s1, s1, s0
	v_or_b32_e32 v10, s10, v4
	s_waitcnt lgkmcnt(0)
	s_mul_i32 s28, s24, s2
	s_sub_i32 s12, s1, s0
	s_ashr_i32 s29, s28, 31
	v_cmp_gt_i32_e64 s[0:1], s33, v10
	v_cmp_le_i32_e32 vcc, s33, v10
	v_mbcnt_lo_u32_b32 v2, -1, 0
	s_barrier
	s_waitcnt lgkmcnt(0)
                                        ; implicit-def: $sgpr15
                                        ; implicit-def: $vgpr7
                                        ; implicit-def: $vgpr8
	s_and_saveexec_b64 s[2:3], vcc
	s_xor_b64 s[2:3], exec, s[2:3]
; %bb.6:
	v_mbcnt_hi_u32_b32 v7, -1, v2
	v_and_b32_e32 v1, 64, v7
	v_add_u32_e32 v8, 64, v1
	s_mov_b32 s15, 0xff7fffff
                                        ; implicit-def: $vgpr1
                                        ; implicit-def: $vgpr2
; %bb.7:
	s_or_saveexec_b64 s[34:35], s[2:3]
	s_load_dwordx4 s[16:19], s[4:5], 0x0
	s_load_dwordx2 s[22:23], s[4:5], 0x10
	s_load_dwordx2 s[30:31], s[4:5], 0x28
	s_load_dword s21, s[4:5], 0x98
	v_mov_b32_e32 v16, s15
	s_mul_i32 s14, s12, s14
	v_ashrrev_i32_e32 v11, 31, v10
	v_lshlrev_b32_e32 v5, 3, v4
	s_xor_b64 exec, exec, s[34:35]
	s_cbranch_execz .LBB144_13
; %bb.8:
	s_load_dwordx2 s[2:3], s[4:5], 0x20
	s_ashr_i32 s15, s14, 31
	s_lshl_b64 s[4:5], s[14:15], 1
	v_bfe_u32 v3, v0, 3, 3
	v_lshlrev_b32_e32 v6, 4, v3
	s_waitcnt lgkmcnt(0)
	s_add_u32 s2, s2, s4
	s_addc_u32 s3, s3, s5
	v_mov_b32_e32 v7, s3
	v_add_co_u32_e32 v6, vcc, s2, v6
	v_addc_co_u32_e32 v7, vcc, 0, v7, vcc
	v_lshlrev_b32_e32 v8, 1, v1
	v_lshlrev_b32_e32 v9, 3, v1
	v_add_co_u32_e32 v6, vcc, v6, v8
	ds_read_b64 v[14:15], v9
	v_addc_co_u32_e32 v9, vcc, 0, v7, vcc
	v_mbcnt_hi_u32_b32 v7, -1, v2
	v_and_b32_e32 v2, 64, v7
	v_add_u32_e32 v8, 64, v2
	v_xor_b32_e32 v2, 4, v7
	v_cmp_lt_i32_e32 vcc, v2, v8
	v_cndmask_b32_e32 v2, v7, v2, vcc
	v_lshlrev_b32_e32 v17, 2, v2
	v_xor_b32_e32 v2, 2, v7
	v_cmp_lt_i32_e32 vcc, v2, v8
	v_cndmask_b32_e32 v2, v7, v2, vcc
	v_lshlrev_b32_e32 v18, 2, v2
	;; [unrolled: 4-line block ×3, first 2 shown]
	s_sub_i32 s15, 1, s25
	v_lshlrev_b32_e32 v2, 2, v3
	s_lshl_b64 s[4:5], s[28:29], 2
	v_lshl_or_b32 v2, v4, 5, v2
	s_add_u32 s4, s26, s4
	v_cmp_eq_u32_e32 vcc, 0, v1
	v_add3_u32 v1, s40, v5, v3
	v_add_u32_e32 v20, 0x50, v2
	v_lshlrev_b64 v[2:3], 2, v[10:11]
	s_addc_u32 s5, s27, s5
	v_mov_b32_e32 v16, s5
	v_add_co_u32_e64 v2, s[4:5], s4, v2
	s_mov_b32 s12, s13
	s_waitcnt lgkmcnt(0)
	v_lshlrev_b32_e32 v12, 16, v14
	v_and_b32_e32 v13, 0xffff0000, v14
	v_lshlrev_b32_e32 v14, 16, v15
	v_and_b32_e32 v15, 0xffff0000, v15
	v_cmp_neq_f32_e64 s[2:3], s41, 0
	v_addc_co_u32_e64 v3, s[4:5], v16, v3, s[4:5]
	s_mov_b64 s[36:37], 0
	v_mov_b32_e32 v16, 0xff7fffff
	v_mov_b32_e32 v21, v10
	s_branch .LBB144_10
.LBB144_9:                              ;   in Loop: Header=BB144_10 Depth=1
	s_or_b64 exec, exec, s[38:39]
	v_add_u32_e32 v21, 2, v21
	v_cmp_le_i32_e64 s[4:5], s33, v21
	s_or_b64 s[36:37], s[4:5], s[36:37]
	v_add_co_u32_e64 v2, s[4:5], 8, v2
	v_add_u32_e32 v1, 16, v1
	v_add_u32_e32 v20, 64, v20
	v_addc_co_u32_e64 v3, s[4:5], 0, v3, s[4:5]
	s_andn2_b64 exec, exec, s[36:37]
	s_cbranch_execz .LBB144_12
.LBB144_10:                             ; =>This Inner Loop Header: Depth=1
	global_load_dword v22, v[2:3], off
	s_waitcnt vmcnt(0) lgkmcnt(0)
	v_mad_i64_i32 v[22:23], s[4:5], v22, s12, 0
	v_lshlrev_b64 v[22:23], 1, v[22:23]
	v_add_co_u32_e64 v22, s[4:5], v6, v22
	v_addc_co_u32_e64 v23, s[4:5], v9, v23, s[4:5]
	global_load_ushort v24, v[22:23], off
	global_load_ushort v25, v[22:23], off offset:128
	global_load_ushort v26, v[22:23], off offset:256
	;; [unrolled: 1-line block ×3, first 2 shown]
	s_waitcnt vmcnt(3)
	v_lshlrev_b32_e32 v22, 16, v24
	s_waitcnt vmcnt(2)
	v_lshlrev_b32_e32 v23, 16, v25
	v_mul_f32_e32 v23, v13, v23
	s_waitcnt vmcnt(1)
	v_lshlrev_b32_e32 v24, 16, v26
	v_fmac_f32_e32 v23, v12, v22
	v_fmac_f32_e32 v23, v14, v24
	s_waitcnt vmcnt(0)
	v_lshlrev_b32_e32 v22, 16, v27
	v_fmac_f32_e32 v23, v15, v22
	ds_bpermute_b32 v22, v17, v23
	s_waitcnt lgkmcnt(0)
	v_add_f32_e32 v22, v23, v22
	ds_bpermute_b32 v23, v18, v22
	s_waitcnt lgkmcnt(0)
	v_add_f32_e32 v22, v22, v23
	ds_bpermute_b32 v23, v19, v22
	s_and_saveexec_b64 s[38:39], vcc
	s_cbranch_execz .LBB144_9
; %bb.11:                               ;   in Loop: Header=BB144_10 Depth=1
	v_add_u32_e32 v24, s15, v1
	v_cvt_f32_i32_e32 v24, v24
	s_waitcnt lgkmcnt(0)
	v_add_f32_e32 v22, v22, v23
	v_cmp_gt_i32_e64 s[4:5], s25, v1
	v_max_f32_e32 v23, v16, v16
	v_mul_f32_e32 v24, s41, v24
	v_cndmask_b32_e64 v24, 0, v24, s[2:3]
	v_fmac_f32_e32 v24, s11, v22
	v_cndmask_b32_e64 v22, 0, v24, s[4:5]
	ds_write_b32 v20, v22
	v_max_f32_e32 v22, v23, v24
	v_cndmask_b32_e64 v16, v16, v22, s[4:5]
	s_branch .LBB144_9
.LBB144_12:
	s_or_b64 exec, exec, s[36:37]
.LBB144_13:
	s_or_b64 exec, exec, s[34:35]
	v_xor_b32_e32 v1, 32, v7
	v_cmp_lt_i32_e32 vcc, v1, v8
	v_cndmask_b32_e32 v1, v7, v1, vcc
	v_lshlrev_b32_e32 v3, 2, v1
	ds_bpermute_b32 v1, v3, v16
	v_xor_b32_e32 v6, 16, v7
	v_max_f32_e32 v2, v16, v16
	v_cmp_lt_i32_e32 vcc, v6, v8
	v_xor_b32_e32 v9, 8, v7
	s_waitcnt lgkmcnt(0)
	v_max_f32_e32 v1, v1, v1
	v_max_f32_e32 v1, v2, v1
	v_cndmask_b32_e32 v2, v7, v6, vcc
	v_lshlrev_b32_e32 v12, 2, v2
	ds_bpermute_b32 v2, v12, v1
	v_cmp_lt_i32_e32 vcc, v9, v8
	s_waitcnt lgkmcnt(0)
	v_max_f32_e32 v2, v2, v2
	v_max_f32_e32 v6, v1, v2
	v_cndmask_b32_e32 v1, v7, v9, vcc
	v_lshlrev_b32_e32 v13, 2, v1
	ds_bpermute_b32 v9, v13, v6
	v_and_b32_e32 v1, 63, v0
	v_cmp_eq_u32_e32 vcc, 0, v1
	v_lshlrev_b32_e32 v2, 2, v4
	s_and_saveexec_b64 s[2:3], vcc
	s_cbranch_execz .LBB144_15
; %bb.14:
	s_waitcnt lgkmcnt(0)
	v_max_f32_e32 v9, v9, v9
	v_max_f32_e32 v6, v6, v6
	;; [unrolled: 1-line block ×3, first 2 shown]
	ds_write_b32 v2, v6 offset:64
.LBB144_15:
	s_or_b64 exec, exec, s[2:3]
	v_cmp_gt_u32_e64 s[2:3], 2, v1
	v_mov_b32_e32 v6, 0xff7fffff
	s_waitcnt lgkmcnt(0)
	v_lshlrev_b32_e32 v9, 2, v1
	s_barrier
	s_and_saveexec_b64 s[4:5], s[2:3]
	s_cbranch_execz .LBB144_17
; %bb.16:
	ds_read_b32 v6, v9 offset:64
.LBB144_17:
	s_or_b64 exec, exec, s[4:5]
	v_xor_b32_e32 v14, 1, v7
	v_cmp_lt_i32_e64 s[4:5], v14, v8
	v_cndmask_b32_e64 v14, v7, v14, s[4:5]
	v_lshlrev_b32_e32 v14, 2, v14
	s_waitcnt lgkmcnt(0)
	ds_bpermute_b32 v15, v14, v6
	v_max_f32_e32 v6, v6, v6
	s_sub_i32 s4, s33, s10
	s_lshl_b32 s4, s4, 3
	s_add_i32 s4, s4, s40
	s_waitcnt lgkmcnt(0)
	v_max_f32_e32 v15, v15, v15
	v_max_f32_e32 v6, v6, v15
	v_lshlrev_b32_e32 v15, 2, v7
	v_and_b32_e32 v15, 0xffffff00, v15
	ds_bpermute_b32 v6, v15, v6
	s_min_i32 s15, s4, s25
	s_sub_i32 s12, s15, s40
	v_cmp_gt_i32_e64 s[4:5], s12, v0
	v_mov_b32_e32 v16, 0
	s_and_saveexec_b64 s[34:35], s[4:5]
	s_cbranch_execz .LBB144_21
; %bb.18:
	v_mov_b32_e32 v16, 0x50
	v_lshl_add_u32 v17, v0, 2, v16
	s_mov_b64 s[36:37], 0
	v_mov_b32_e32 v16, 0
	v_mov_b32_e32 v18, v0
.LBB144_19:                             ; =>This Inner Loop Header: Depth=1
	ds_read_b32 v19, v17
	v_add_u32_e32 v18, 0x80, v18
	v_cmp_le_i32_e64 s[10:11], s12, v18
	s_or_b64 s[36:37], s[10:11], s[36:37]
	s_waitcnt lgkmcnt(0)
	v_sub_f32_e32 v19, v19, v6
	v_mul_f32_e32 v19, 0x3fb8aa3b, v19
	v_exp_f32_e32 v19, v19
	ds_write_b32 v17, v19
	v_add_f32_e32 v16, v16, v19
	v_add_u32_e32 v17, 0x200, v17
	s_andn2_b64 exec, exec, s[36:37]
	s_cbranch_execnz .LBB144_19
; %bb.20:
	s_or_b64 exec, exec, s[36:37]
.LBB144_21:
	s_or_b64 exec, exec, s[34:35]
	ds_bpermute_b32 v3, v3, v16
	s_waitcnt lgkmcnt(0)
	v_add_f32_e32 v3, v16, v3
	ds_bpermute_b32 v12, v12, v3
	s_waitcnt lgkmcnt(0)
	v_add_f32_e32 v3, v3, v12
	ds_bpermute_b32 v12, v13, v3
	v_xor_b32_e32 v13, 4, v7
	v_cmp_lt_i32_e64 s[10:11], v13, v8
	v_cndmask_b32_e64 v13, v7, v13, s[10:11]
	v_lshlrev_b32_e32 v13, 2, v13
	s_waitcnt lgkmcnt(0)
	v_add_f32_e32 v3, v3, v12
	ds_bpermute_b32 v12, v13, v3
	v_xor_b32_e32 v13, 2, v7
	v_cmp_lt_i32_e64 s[10:11], v13, v8
	v_cndmask_b32_e64 v7, v7, v13, s[10:11]
	v_lshlrev_b32_e32 v7, 2, v7
	s_waitcnt lgkmcnt(0)
	v_add_f32_e32 v3, v3, v12
	ds_bpermute_b32 v7, v7, v3
	s_waitcnt lgkmcnt(0)
	v_add_f32_e32 v3, v3, v7
	ds_bpermute_b32 v7, v14, v3
	s_waitcnt lgkmcnt(0)
	v_add_f32_e32 v3, v3, v7
	s_and_saveexec_b64 s[10:11], vcc
	s_cbranch_execz .LBB144_23
; %bb.22:
	ds_write_b32 v2, v3 offset:72
.LBB144_23:
	s_or_b64 exec, exec, s[10:11]
	s_waitcnt lgkmcnt(0)
	s_barrier
	s_and_saveexec_b64 s[10:11], s[2:3]
	s_cbranch_execz .LBB144_25
; %bb.24:
	ds_read_b32 v3, v9 offset:72
.LBB144_25:
	s_or_b64 exec, exec, s[10:11]
	s_waitcnt lgkmcnt(0)
	ds_bpermute_b32 v2, v14, v3
	s_waitcnt lgkmcnt(0)
	v_add_f32_e32 v2, v3, v2
	ds_bpermute_b32 v7, v15, v2
	s_and_saveexec_b64 s[2:3], s[4:5]
	s_cbranch_execz .LBB144_38
; %bb.26:
	s_waitcnt lgkmcnt(0)
	v_add_f32_e32 v2, 0x358637bd, v7
	v_div_scale_f32 v3, s[4:5], v2, v2, 1.0
	v_rcp_f32_e32 v8, v3
	v_div_scale_f32 v9, vcc, 1.0, v2, 1.0
	s_movk_i32 s4, 0x7f
	v_fma_f32 v12, -v3, v8, 1.0
	v_fmac_f32_e32 v8, v12, v8
	v_mul_f32_e32 v12, v9, v8
	v_fma_f32 v13, -v3, v12, v9
	v_fmac_f32_e32 v12, v13, v8
	v_fma_f32 v3, -v3, v12, v9
	v_div_fmas_f32 v3, v3, v8, v12
	v_div_fixup_f32 v2, v3, v2, 1.0
	v_xad_u32 v3, v0, -1, s15
	v_subrev_u32_e32 v8, s40, v3
	v_cmp_lt_u32_e32 vcc, s4, v8
	s_mov_b64 s[10:11], -1
	v_mov_b32_e32 v3, v0
	s_and_saveexec_b64 s[4:5], vcc
	s_cbranch_execz .LBB144_35
; %bb.27:
	v_lshrrev_b32_e32 v8, 7, v8
	v_add_u32_e32 v12, -1, v8
	v_lshrrev_b32_e32 v9, 1, v12
	v_mov_b32_e32 v3, v2
	v_add_u32_e32 v9, 1, v9
	v_cmp_lt_u32_e32 vcc, 13, v12
	v_mov_b32_e32 v14, 0
	s_and_saveexec_b64 s[10:11], vcc
	s_cbranch_execz .LBB144_31
; %bb.28:
	v_mov_b32_e32 v13, 0x50
	v_and_b32_e32 v12, -8, v9
	v_lshl_add_u32 v13, v0, 2, v13
	s_mov_b32 s15, 0
	s_mov_b64 s[34:35], 0
.LBB144_29:                             ; =>This Inner Loop Header: Depth=1
	ds_read2st64_b32 v[14:15], v13 offset1:2
	ds_read2st64_b32 v[16:17], v13 offset0:4 offset1:6
	ds_read2st64_b32 v[18:19], v13 offset0:8 offset1:10
	;; [unrolled: 1-line block ×3, first 2 shown]
	v_add_u32_e32 v12, -8, v12
	s_waitcnt lgkmcnt(3)
	v_pk_mul_f32 v[14:15], v[2:3], v[14:15]
	s_waitcnt lgkmcnt(2)
	v_pk_mul_f32 v[16:17], v[2:3], v[16:17]
	ds_write2st64_b32 v13, v14, v15 offset1:2
	ds_write2st64_b32 v13, v16, v17 offset0:4 offset1:6
	ds_read2st64_b32 v[16:17], v13 offset0:16 offset1:18
	s_waitcnt lgkmcnt(4)
	v_pk_mul_f32 v[14:15], v[2:3], v[18:19]
	ds_write2st64_b32 v13, v14, v15 offset0:8 offset1:10
	s_waitcnt lgkmcnt(4)
	v_pk_mul_f32 v[14:15], v[2:3], v[20:21]
	ds_write2st64_b32 v13, v14, v15 offset0:12 offset1:14
	ds_read2st64_b32 v[14:15], v13 offset0:20 offset1:22
	s_waitcnt lgkmcnt(3)
	v_pk_mul_f32 v[16:17], v[2:3], v[16:17]
	ds_read2st64_b32 v[18:19], v13 offset0:24 offset1:26
	ds_write2st64_b32 v13, v16, v17 offset0:16 offset1:18
	ds_read2st64_b32 v[16:17], v13 offset0:28 offset1:30
	s_waitcnt lgkmcnt(3)
	v_pk_mul_f32 v[14:15], v[2:3], v[14:15]
	ds_write2st64_b32 v13, v14, v15 offset0:20 offset1:22
	s_waitcnt lgkmcnt(3)
	v_pk_mul_f32 v[14:15], v[2:3], v[18:19]
	ds_write2st64_b32 v13, v14, v15 offset0:24 offset1:26
	s_waitcnt lgkmcnt(2)
	v_pk_mul_f32 v[14:15], v[2:3], v[16:17]
	s_add_i32 s15, s15, 16
	v_cmp_eq_u32_e32 vcc, 0, v12
	ds_write2st64_b32 v13, v14, v15 offset0:28 offset1:30
	v_add_u32_e32 v13, 0x2000, v13
	s_or_b64 s[34:35], vcc, s[34:35]
	v_mov_b32_e32 v14, s15
	s_andn2_b64 exec, exec, s[34:35]
	s_cbranch_execnz .LBB144_29
; %bb.30:
	s_or_b64 exec, exec, s[34:35]
.LBB144_31:
	s_or_b64 exec, exec, s[10:11]
	v_and_b32_e32 v9, 7, v9
	v_cmp_ne_u32_e32 vcc, 0, v9
	s_and_saveexec_b64 s[10:11], vcc
	s_cbranch_execz .LBB144_34
; %bb.32:
	v_lshlrev_b32_e32 v12, 9, v14
	v_lshlrev_b32_e32 v13, 2, v0
	s_movk_i32 s15, 0x50
	v_add3_u32 v12, v12, v13, s15
	s_mov_b64 s[34:35], 0
.LBB144_33:                             ; =>This Inner Loop Header: Depth=1
	ds_read2st64_b32 v[14:15], v12 offset1:2
	v_add_u32_e32 v9, -1, v9
	v_cmp_eq_u32_e32 vcc, 0, v9
	s_or_b64 s[34:35], vcc, s[34:35]
	s_waitcnt lgkmcnt(0)
	v_pk_mul_f32 v[14:15], v[2:3], v[14:15]
	ds_write2st64_b32 v12, v14, v15 offset1:2
	v_add_u32_e32 v12, 0x400, v12
	s_andn2_b64 exec, exec, s[34:35]
	s_cbranch_execnz .LBB144_33
.LBB144_34:
	s_or_b64 exec, exec, s[10:11]
	v_add_u32_e32 v8, 1, v8
	v_and_b32_e32 v9, 0x3fffffe, v8
	v_cmp_ne_u32_e32 vcc, v8, v9
	v_lshl_add_u32 v3, v9, 7, v0
	s_orn2_b64 s[10:11], vcc, exec
.LBB144_35:
	s_or_b64 exec, exec, s[4:5]
	s_and_b64 exec, exec, s[10:11]
	s_cbranch_execz .LBB144_38
; %bb.36:
	v_mov_b32_e32 v8, 0x50
	v_lshl_add_u32 v8, v3, 2, v8
	s_mov_b64 s[4:5], 0
.LBB144_37:                             ; =>This Inner Loop Header: Depth=1
	ds_read_b32 v9, v8
	v_add_u32_e32 v3, 0x80, v3
	v_cmp_le_i32_e32 vcc, s12, v3
	s_or_b64 s[4:5], vcc, s[4:5]
	s_waitcnt lgkmcnt(0)
	v_mul_f32_e32 v9, v2, v9
	ds_write_b32 v8, v9
	v_add_u32_e32 v8, 0x200, v8
	s_andn2_b64 exec, exec, s[4:5]
	s_cbranch_execnz .LBB144_37
.LBB144_38:
	s_or_b64 exec, exec, s[2:3]
	s_mul_i32 s2, s21, s24
	v_cmp_eq_u32_e32 vcc, 0, v0
	s_mul_i32 s2, s2, s9
	s_waitcnt lgkmcnt(0)
	s_barrier
	s_and_saveexec_b64 s[4:5], vcc
	s_cbranch_execz .LBB144_40
; %bb.39:
	s_ashr_i32 s3, s2, 31
	s_lshl_b64 s[10:11], s[2:3], 2
	s_add_u32 s3, s18, s10
	s_mul_i32 s18, s21, s6
	s_addc_u32 s9, s19, s11
	s_ashr_i32 s19, s18, 31
	s_lshl_b64 s[18:19], s[18:19], 2
	s_add_u32 s3, s3, s18
	s_addc_u32 s6, s9, s19
	s_ashr_i32 s9, s8, 31
	s_lshl_b64 s[34:35], s[8:9], 2
	s_add_u32 s36, s3, s34
	s_addc_u32 s37, s6, s35
	s_add_u32 s3, s16, s10
	s_addc_u32 s6, s17, s11
	;; [unrolled: 2-line block ×3, first 2 shown]
	s_add_u32 s10, s3, s34
	v_mov_b32_e32 v2, 0
	s_addc_u32 s11, s6, s35
	global_store_dword v2, v6, s[36:37]
	global_store_dword v2, v7, s[10:11]
.LBB144_40:
	s_or_b64 exec, exec, s[4:5]
	v_mov_b32_e32 v14, 0
	s_and_saveexec_b64 s[4:5], s[0:1]
	s_cbranch_execz .LBB144_112
; %bb.41:
	s_ashr_i32 s15, s14, 31
	s_lshl_b64 s[0:1], s[14:15], 1
	s_add_u32 s0, s30, s0
	s_addc_u32 s1, s31, s1
	v_lshlrev_b32_e32 v2, 4, v1
	v_mov_b32_e32 v3, s1
	v_add_co_u32_e64 v16, s[0:1], s0, v2
	v_addc_co_u32_e64 v17, s[0:1], 0, v3, s[0:1]
	s_add_i32 s9, s7, -1
	s_lshl_b64 s[0:1], s[28:29], 2
	v_mov_b32_e32 v2, 0x50
	s_add_u32 s0, s26, s0
	v_lshl_add_u32 v19, v4, 5, v2
	v_lshlrev_b64 v[2:3], 2, v[10:11]
	s_addc_u32 s1, s27, s1
	v_mov_b32_e32 v4, s1
	v_add_co_u32_e64 v12, s[0:1], s0, v2
	v_cmp_gt_u32_e32 vcc, 32, v1
	s_mov_b32 s3, s13
	v_mov_b32_e32 v15, 0
	v_add3_u32 v18, s40, v5, 7
	v_addc_co_u32_e64 v13, s[0:1], v4, v3, s[0:1]
	s_mov_b64 s[6:7], 0
	s_mov_b32 s14, 0x7f800000
	s_movk_i32 s15, 0x7fff
	v_mov_b32_e32 v14, 0
	s_branch .LBB144_44
.LBB144_42:                             ;   in Loop: Header=BB144_44 Depth=1
	s_or_b64 exec, exec, s[12:13]
	v_and_b32_e32 v6, 0xffff0000, v8
	v_and_b32_e32 v9, 0xffff0000, v11
	;; [unrolled: 1-line block ×8, first 2 shown]
	v_pk_add_f32 v[2:3], v[2:3], v[8:9]
	v_pk_add_f32 v[4:5], v[4:5], v[6:7]
	v_add_f32_e32 v2, v2, v3
	v_add_f32_e32 v2, v2, v4
	;; [unrolled: 1-line block ×4, first 2 shown]
.LBB144_43:                             ;   in Loop: Header=BB144_44 Depth=1
	s_or_b64 exec, exec, s[10:11]
	v_add_u32_e32 v10, 2, v10
	v_cmp_le_i32_e64 s[0:1], s33, v10
	s_or_b64 s[6:7], s[0:1], s[6:7]
	v_add_co_u32_e64 v12, s[0:1], 8, v12
	v_add_u32_e32 v18, 16, v18
	v_add_u32_e32 v19, 64, v19
	v_addc_co_u32_e64 v13, s[0:1], 0, v13, s[0:1]
	s_andn2_b64 exec, exec, s[6:7]
	s_cbranch_execz .LBB144_111
.LBB144_44:                             ; =>This Inner Loop Header: Depth=1
	global_load_dword v23, v[12:13], off
	ds_read2_b64 v[6:9], v19 offset1:1
	ds_read2_b64 v[2:5], v19 offset0:2 offset1:3
                                        ; implicit-def: $vgpr22
	s_waitcnt lgkmcnt(1)
	v_and_b32_e32 v11, 0x7f800000, v6
	v_cmp_ne_u32_e64 s[0:1], s14, v11
	s_and_saveexec_b64 s[10:11], s[0:1]
	s_xor_b64 s[0:1], exec, s[10:11]
; %bb.45:                               ;   in Loop: Header=BB144_44 Depth=1
	v_bfe_u32 v11, v6, 16, 1
	v_add3_u32 v22, v6, v11, s15
; %bb.46:                               ;   in Loop: Header=BB144_44 Depth=1
	s_andn2_saveexec_b64 s[10:11], s[0:1]
; %bb.47:                               ;   in Loop: Header=BB144_44 Depth=1
	v_or_b32_e32 v11, 0x10000, v6
	v_cmp_eq_u32_sdwa s[0:1], v6, v15 src0_sel:WORD_0 src1_sel:DWORD
	v_cndmask_b32_e64 v22, v11, v6, s[0:1]
; %bb.48:                               ;   in Loop: Header=BB144_44 Depth=1
	s_or_b64 exec, exec, s[10:11]
	v_and_b32_e32 v6, 0x7f800000, v7
	v_cmp_ne_u32_e64 s[0:1], s14, v6
                                        ; implicit-def: $vgpr21
	s_and_saveexec_b64 s[10:11], s[0:1]
	s_xor_b64 s[0:1], exec, s[10:11]
; %bb.49:                               ;   in Loop: Header=BB144_44 Depth=1
	v_bfe_u32 v6, v7, 16, 1
	v_add3_u32 v21, v7, v6, s15
; %bb.50:                               ;   in Loop: Header=BB144_44 Depth=1
	s_andn2_saveexec_b64 s[10:11], s[0:1]
; %bb.51:                               ;   in Loop: Header=BB144_44 Depth=1
	v_or_b32_e32 v6, 0x10000, v7
	v_cmp_eq_u32_sdwa s[0:1], v7, v15 src0_sel:WORD_0 src1_sel:DWORD
	v_cndmask_b32_e64 v21, v6, v7, s[0:1]
; %bb.52:                               ;   in Loop: Header=BB144_44 Depth=1
	s_or_b64 exec, exec, s[10:11]
	v_and_b32_e32 v6, 0x7f800000, v8
	v_cmp_ne_u32_e64 s[0:1], s14, v6
                                        ; implicit-def: $vgpr20
	s_and_saveexec_b64 s[10:11], s[0:1]
	s_xor_b64 s[0:1], exec, s[10:11]
; %bb.53:                               ;   in Loop: Header=BB144_44 Depth=1
	v_bfe_u32 v6, v8, 16, 1
	v_add3_u32 v20, v8, v6, s15
; %bb.54:                               ;   in Loop: Header=BB144_44 Depth=1
	s_andn2_saveexec_b64 s[10:11], s[0:1]
; %bb.55:                               ;   in Loop: Header=BB144_44 Depth=1
	v_or_b32_e32 v6, 0x10000, v8
	v_cmp_eq_u32_sdwa s[0:1], v8, v15 src0_sel:WORD_0 src1_sel:DWORD
	v_cndmask_b32_e64 v20, v6, v8, s[0:1]
; %bb.56:                               ;   in Loop: Header=BB144_44 Depth=1
	s_or_b64 exec, exec, s[10:11]
	v_and_b32_e32 v6, 0x7f800000, v9
	v_cmp_ne_u32_e64 s[0:1], s14, v6
                                        ; implicit-def: $vgpr11
	s_and_saveexec_b64 s[10:11], s[0:1]
	s_xor_b64 s[0:1], exec, s[10:11]
; %bb.57:                               ;   in Loop: Header=BB144_44 Depth=1
	v_bfe_u32 v6, v9, 16, 1
	v_add3_u32 v11, v9, v6, s15
                                        ; implicit-def: $vgpr6_vgpr7_vgpr8_vgpr9
; %bb.58:                               ;   in Loop: Header=BB144_44 Depth=1
	s_andn2_saveexec_b64 s[10:11], s[0:1]
; %bb.59:                               ;   in Loop: Header=BB144_44 Depth=1
	v_or_b32_e32 v6, 0x10000, v9
	v_cmp_eq_u32_sdwa s[0:1], v9, v15 src0_sel:WORD_0 src1_sel:DWORD
	v_cndmask_b32_e64 v11, v6, v9, s[0:1]
; %bb.60:                               ;   in Loop: Header=BB144_44 Depth=1
	s_or_b64 exec, exec, s[10:11]
	s_waitcnt lgkmcnt(0)
	v_and_b32_e32 v6, 0x7f800000, v2
	v_cmp_ne_u32_e64 s[0:1], s14, v6
                                        ; implicit-def: $vgpr9
	s_and_saveexec_b64 s[10:11], s[0:1]
	s_xor_b64 s[0:1], exec, s[10:11]
; %bb.61:                               ;   in Loop: Header=BB144_44 Depth=1
	v_bfe_u32 v6, v2, 16, 1
	v_add3_u32 v9, v2, v6, s15
; %bb.62:                               ;   in Loop: Header=BB144_44 Depth=1
	s_andn2_saveexec_b64 s[10:11], s[0:1]
; %bb.63:                               ;   in Loop: Header=BB144_44 Depth=1
	v_or_b32_e32 v6, 0x10000, v2
	v_cmp_eq_u32_sdwa s[0:1], v2, v15 src0_sel:WORD_0 src1_sel:DWORD
	v_cndmask_b32_e64 v9, v6, v2, s[0:1]
; %bb.64:                               ;   in Loop: Header=BB144_44 Depth=1
	s_or_b64 exec, exec, s[10:11]
	v_and_b32_e32 v2, 0x7f800000, v3
	v_cmp_ne_u32_e64 s[0:1], s14, v2
                                        ; implicit-def: $vgpr8
	s_and_saveexec_b64 s[10:11], s[0:1]
	s_xor_b64 s[0:1], exec, s[10:11]
; %bb.65:                               ;   in Loop: Header=BB144_44 Depth=1
	v_bfe_u32 v2, v3, 16, 1
	v_add3_u32 v8, v3, v2, s15
; %bb.66:                               ;   in Loop: Header=BB144_44 Depth=1
	s_andn2_saveexec_b64 s[10:11], s[0:1]
; %bb.67:                               ;   in Loop: Header=BB144_44 Depth=1
	v_or_b32_e32 v2, 0x10000, v3
	v_cmp_eq_u32_sdwa s[0:1], v3, v15 src0_sel:WORD_0 src1_sel:DWORD
	v_cndmask_b32_e64 v8, v2, v3, s[0:1]
; %bb.68:                               ;   in Loop: Header=BB144_44 Depth=1
	s_or_b64 exec, exec, s[10:11]
	v_and_b32_e32 v2, 0x7f800000, v4
	v_cmp_ne_u32_e64 s[0:1], s14, v2
                                        ; implicit-def: $vgpr7
	s_and_saveexec_b64 s[10:11], s[0:1]
	s_xor_b64 s[0:1], exec, s[10:11]
; %bb.69:                               ;   in Loop: Header=BB144_44 Depth=1
	v_bfe_u32 v2, v4, 16, 1
	v_add3_u32 v7, v4, v2, s15
; %bb.70:                               ;   in Loop: Header=BB144_44 Depth=1
	s_andn2_saveexec_b64 s[10:11], s[0:1]
; %bb.71:                               ;   in Loop: Header=BB144_44 Depth=1
	v_or_b32_e32 v2, 0x10000, v4
	v_cmp_eq_u32_sdwa s[0:1], v4, v15 src0_sel:WORD_0 src1_sel:DWORD
	v_cndmask_b32_e64 v7, v2, v4, s[0:1]
; %bb.72:                               ;   in Loop: Header=BB144_44 Depth=1
	s_or_b64 exec, exec, s[10:11]
	v_and_b32_e32 v2, 0x7f800000, v5
	v_cmp_ne_u32_e64 s[0:1], s14, v2
                                        ; implicit-def: $vgpr6
	s_and_saveexec_b64 s[10:11], s[0:1]
	s_xor_b64 s[0:1], exec, s[10:11]
	s_cbranch_execnz .LBB144_75
; %bb.73:                               ;   in Loop: Header=BB144_44 Depth=1
	s_andn2_saveexec_b64 s[10:11], s[0:1]
	s_cbranch_execnz .LBB144_76
.LBB144_74:                             ;   in Loop: Header=BB144_44 Depth=1
	s_or_b64 exec, exec, s[10:11]
	s_and_saveexec_b64 s[10:11], vcc
	s_cbranch_execz .LBB144_43
	s_branch .LBB144_77
.LBB144_75:                             ;   in Loop: Header=BB144_44 Depth=1
	v_bfe_u32 v2, v5, 16, 1
	v_add3_u32 v6, v5, v2, s15
                                        ; implicit-def: $vgpr2_vgpr3_vgpr4_vgpr5
	s_andn2_saveexec_b64 s[10:11], s[0:1]
	s_cbranch_execz .LBB144_74
.LBB144_76:                             ;   in Loop: Header=BB144_44 Depth=1
	v_or_b32_e32 v2, 0x10000, v5
	v_cmp_eq_u32_sdwa s[0:1], v5, v15 src0_sel:WORD_0 src1_sel:DWORD
	v_cndmask_b32_e64 v6, v2, v5, s[0:1]
	s_or_b64 exec, exec, s[10:11]
	s_and_saveexec_b64 s[10:11], vcc
	s_cbranch_execz .LBB144_43
.LBB144_77:                             ;   in Loop: Header=BB144_44 Depth=1
	s_waitcnt vmcnt(0)
	v_mad_i64_i32 v[2:3], s[0:1], v23, s3, 0
	v_lshlrev_b64 v[2:3], 1, v[2:3]
	v_add_co_u32_e64 v2, s[0:1], v16, v2
	v_addc_co_u32_e64 v3, s[0:1], v17, v3, s[0:1]
	global_load_dwordx4 v[2:5], v[2:3], off
	v_cmp_eq_u32_e64 s[0:1], s9, v10
	s_waitcnt vmcnt(0)
	v_lshrrev_b32_e32 v26, 16, v2
	v_lshrrev_b32_e32 v25, 16, v3
	;; [unrolled: 1-line block ×4, first 2 shown]
	s_and_saveexec_b64 s[12:13], s[0:1]
	s_cbranch_execz .LBB144_79
; %bb.78:                               ;   in Loop: Header=BB144_44 Depth=1
	v_add_u32_e32 v27, -7, v18
	v_cmp_gt_i32_e64 s[0:1], s25, v27
	v_add_u32_e32 v27, -6, v18
	v_cndmask_b32_e64 v2, 0, v2, s[0:1]
	v_cmp_gt_i32_e64 s[0:1], s25, v27
	v_add_u32_e32 v27, -5, v18
	v_cndmask_b32_e64 v26, 0, v26, s[0:1]
	;; [unrolled: 3-line block ×6, first 2 shown]
	v_cmp_gt_i32_e64 s[0:1], s25, v27
	v_cndmask_b32_e64 v5, 0, v5, s[0:1]
	v_cmp_gt_i32_e64 s[0:1], s25, v18
	v_cndmask_b32_e64 v23, 0, v23, s[0:1]
.LBB144_79:                             ;   in Loop: Header=BB144_44 Depth=1
	s_or_b64 exec, exec, s[12:13]
	v_and_b32_e32 v22, 0xffff0000, v22
	v_lshlrev_b32_e32 v2, 16, v2
	v_mul_f32_e32 v22, v22, v2
	v_and_b32_e32 v2, 0x7f800000, v22
	v_cmp_ne_u32_e64 s[0:1], s14, v2
                                        ; implicit-def: $vgpr2
	s_and_saveexec_b64 s[12:13], s[0:1]
	s_xor_b64 s[0:1], exec, s[12:13]
; %bb.80:                               ;   in Loop: Header=BB144_44 Depth=1
	v_bfe_u32 v2, v22, 16, 1
	v_add3_u32 v2, v22, v2, s15
                                        ; implicit-def: $vgpr22
; %bb.81:                               ;   in Loop: Header=BB144_44 Depth=1
	s_andn2_saveexec_b64 s[12:13], s[0:1]
; %bb.82:                               ;   in Loop: Header=BB144_44 Depth=1
	v_or_b32_e32 v2, 0x10000, v22
	v_cmp_eq_u32_sdwa s[0:1], v22, v15 src0_sel:WORD_0 src1_sel:DWORD
	v_cndmask_b32_e64 v2, v2, v22, s[0:1]
; %bb.83:                               ;   in Loop: Header=BB144_44 Depth=1
	s_or_b64 exec, exec, s[12:13]
	v_and_b32_e32 v21, 0xffff0000, v21
	v_lshlrev_b32_e32 v22, 16, v26
	v_mul_f32_e32 v22, v21, v22
	v_and_b32_e32 v21, 0x7f800000, v22
	v_cmp_ne_u32_e64 s[0:1], s14, v21
                                        ; implicit-def: $vgpr21
	s_and_saveexec_b64 s[12:13], s[0:1]
	s_xor_b64 s[0:1], exec, s[12:13]
; %bb.84:                               ;   in Loop: Header=BB144_44 Depth=1
	v_bfe_u32 v21, v22, 16, 1
	v_add3_u32 v21, v22, v21, s15
                                        ; implicit-def: $vgpr22
; %bb.85:                               ;   in Loop: Header=BB144_44 Depth=1
	s_andn2_saveexec_b64 s[12:13], s[0:1]
; %bb.86:                               ;   in Loop: Header=BB144_44 Depth=1
	v_or_b32_e32 v21, 0x10000, v22
	v_cmp_eq_u32_sdwa s[0:1], v22, v15 src0_sel:WORD_0 src1_sel:DWORD
	v_cndmask_b32_e64 v21, v21, v22, s[0:1]
; %bb.87:                               ;   in Loop: Header=BB144_44 Depth=1
	s_or_b64 exec, exec, s[12:13]
	v_and_b32_e32 v20, 0xffff0000, v20
	v_lshlrev_b32_e32 v3, 16, v3
	v_mul_f32_e32 v20, v20, v3
	v_and_b32_e32 v3, 0x7f800000, v20
	v_cmp_ne_u32_e64 s[0:1], s14, v3
                                        ; implicit-def: $vgpr3
	s_and_saveexec_b64 s[12:13], s[0:1]
	s_xor_b64 s[0:1], exec, s[12:13]
; %bb.88:                               ;   in Loop: Header=BB144_44 Depth=1
	v_bfe_u32 v3, v20, 16, 1
	v_add3_u32 v3, v20, v3, s15
                                        ; implicit-def: $vgpr20
; %bb.89:                               ;   in Loop: Header=BB144_44 Depth=1
	s_andn2_saveexec_b64 s[12:13], s[0:1]
; %bb.90:                               ;   in Loop: Header=BB144_44 Depth=1
	v_or_b32_e32 v3, 0x10000, v20
	v_cmp_eq_u32_sdwa s[0:1], v20, v15 src0_sel:WORD_0 src1_sel:DWORD
	v_cndmask_b32_e64 v3, v3, v20, s[0:1]
; %bb.91:                               ;   in Loop: Header=BB144_44 Depth=1
	s_or_b64 exec, exec, s[12:13]
	v_and_b32_e32 v11, 0xffff0000, v11
	v_lshlrev_b32_e32 v20, 16, v25
	v_mul_f32_e32 v20, v11, v20
	v_and_b32_e32 v11, 0x7f800000, v20
	v_cmp_ne_u32_e64 s[0:1], s14, v11
                                        ; implicit-def: $vgpr11
	s_and_saveexec_b64 s[12:13], s[0:1]
	s_xor_b64 s[0:1], exec, s[12:13]
; %bb.92:                               ;   in Loop: Header=BB144_44 Depth=1
	v_bfe_u32 v11, v20, 16, 1
	v_add3_u32 v11, v20, v11, s15
                                        ; implicit-def: $vgpr20
; %bb.93:                               ;   in Loop: Header=BB144_44 Depth=1
	s_andn2_saveexec_b64 s[12:13], s[0:1]
; %bb.94:                               ;   in Loop: Header=BB144_44 Depth=1
	v_or_b32_e32 v11, 0x10000, v20
	v_cmp_eq_u32_sdwa s[0:1], v20, v15 src0_sel:WORD_0 src1_sel:DWORD
	v_cndmask_b32_e64 v11, v11, v20, s[0:1]
; %bb.95:                               ;   in Loop: Header=BB144_44 Depth=1
	s_or_b64 exec, exec, s[12:13]
	v_and_b32_e32 v9, 0xffff0000, v9
	v_lshlrev_b32_e32 v4, 16, v4
	v_mul_f32_e32 v9, v9, v4
	v_and_b32_e32 v4, 0x7f800000, v9
	v_cmp_ne_u32_e64 s[0:1], s14, v4
                                        ; implicit-def: $vgpr4
	s_and_saveexec_b64 s[12:13], s[0:1]
	s_xor_b64 s[0:1], exec, s[12:13]
; %bb.96:                               ;   in Loop: Header=BB144_44 Depth=1
	v_bfe_u32 v4, v9, 16, 1
	v_add3_u32 v4, v9, v4, s15
                                        ; implicit-def: $vgpr9
; %bb.97:                               ;   in Loop: Header=BB144_44 Depth=1
	s_andn2_saveexec_b64 s[12:13], s[0:1]
; %bb.98:                               ;   in Loop: Header=BB144_44 Depth=1
	v_or_b32_e32 v4, 0x10000, v9
	v_cmp_eq_u32_sdwa s[0:1], v9, v15 src0_sel:WORD_0 src1_sel:DWORD
	v_cndmask_b32_e64 v4, v4, v9, s[0:1]
; %bb.99:                               ;   in Loop: Header=BB144_44 Depth=1
	s_or_b64 exec, exec, s[12:13]
	v_and_b32_e32 v8, 0xffff0000, v8
	v_lshlrev_b32_e32 v9, 16, v24
	v_mul_f32_e32 v9, v8, v9
	v_and_b32_e32 v8, 0x7f800000, v9
	v_cmp_ne_u32_e64 s[0:1], s14, v8
                                        ; implicit-def: $vgpr8
	s_and_saveexec_b64 s[12:13], s[0:1]
	s_xor_b64 s[0:1], exec, s[12:13]
; %bb.100:                              ;   in Loop: Header=BB144_44 Depth=1
	v_bfe_u32 v8, v9, 16, 1
	v_add3_u32 v8, v9, v8, s15
                                        ; implicit-def: $vgpr9
; %bb.101:                              ;   in Loop: Header=BB144_44 Depth=1
	s_andn2_saveexec_b64 s[12:13], s[0:1]
; %bb.102:                              ;   in Loop: Header=BB144_44 Depth=1
	v_or_b32_e32 v8, 0x10000, v9
	v_cmp_eq_u32_sdwa s[0:1], v9, v15 src0_sel:WORD_0 src1_sel:DWORD
	v_cndmask_b32_e64 v8, v8, v9, s[0:1]
; %bb.103:                              ;   in Loop: Header=BB144_44 Depth=1
	s_or_b64 exec, exec, s[12:13]
	v_and_b32_e32 v7, 0xffff0000, v7
	v_lshlrev_b32_e32 v5, 16, v5
	v_mul_f32_e32 v7, v7, v5
	v_and_b32_e32 v5, 0x7f800000, v7
	v_cmp_ne_u32_e64 s[0:1], s14, v5
                                        ; implicit-def: $vgpr5
	s_and_saveexec_b64 s[12:13], s[0:1]
	s_xor_b64 s[0:1], exec, s[12:13]
; %bb.104:                              ;   in Loop: Header=BB144_44 Depth=1
	v_bfe_u32 v5, v7, 16, 1
	v_add3_u32 v5, v7, v5, s15
                                        ; implicit-def: $vgpr7
; %bb.105:                              ;   in Loop: Header=BB144_44 Depth=1
	s_andn2_saveexec_b64 s[12:13], s[0:1]
; %bb.106:                              ;   in Loop: Header=BB144_44 Depth=1
	v_or_b32_e32 v5, 0x10000, v7
	v_cmp_eq_u32_sdwa s[0:1], v7, v15 src0_sel:WORD_0 src1_sel:DWORD
	v_cndmask_b32_e64 v5, v5, v7, s[0:1]
; %bb.107:                              ;   in Loop: Header=BB144_44 Depth=1
	s_or_b64 exec, exec, s[12:13]
	v_and_b32_e32 v6, 0xffff0000, v6
	v_lshlrev_b32_e32 v7, 16, v23
	v_mul_f32_e32 v6, v6, v7
	v_and_b32_e32 v7, 0x7f800000, v6
	v_cmp_ne_u32_e64 s[0:1], s14, v7
                                        ; implicit-def: $vgpr7
	s_and_saveexec_b64 s[12:13], s[0:1]
	s_xor_b64 s[0:1], exec, s[12:13]
; %bb.108:                              ;   in Loop: Header=BB144_44 Depth=1
	v_bfe_u32 v7, v6, 16, 1
	v_add3_u32 v7, v6, v7, s15
                                        ; implicit-def: $vgpr6
; %bb.109:                              ;   in Loop: Header=BB144_44 Depth=1
	s_andn2_saveexec_b64 s[12:13], s[0:1]
	s_cbranch_execz .LBB144_42
; %bb.110:                              ;   in Loop: Header=BB144_44 Depth=1
	v_or_b32_e32 v7, 0x10000, v6
	v_cmp_eq_u32_sdwa s[0:1], v6, v15 src0_sel:WORD_0 src1_sel:DWORD
	v_cndmask_b32_e64 v7, v7, v6, s[0:1]
	s_branch .LBB144_42
.LBB144_111:
	s_or_b64 exec, exec, s[6:7]
.LBB144_112:
	s_or_b64 exec, exec, s[4:5]
	v_and_b32_e32 v2, 0x3c0, v0
	v_cmp_eq_u32_e64 s[0:1], 64, v2
	v_cmp_gt_u32_e32 vcc, 32, v1
	s_and_b64 s[4:5], s[0:1], vcc
	s_barrier
	s_and_saveexec_b64 s[0:1], s[4:5]
	s_cbranch_execz .LBB144_114
; %bb.113:
	v_mov_b32_e32 v2, 0x50
	v_lshl_add_u32 v2, v1, 2, v2
	ds_write_b32 v2, v14
.LBB144_114:
	s_or_b64 exec, exec, s[0:1]
	v_cmp_gt_u32_e64 s[0:1], 64, v0
	s_and_b64 s[0:1], s[0:1], vcc
	s_waitcnt lgkmcnt(0)
	s_barrier
	s_and_saveexec_b64 s[4:5], s[0:1]
	s_cbranch_execz .LBB144_116
; %bb.115:
	v_mov_b32_e32 v0, 0x50
	v_lshl_add_u32 v0, v1, 2, v0
	ds_read_b32 v0, v0
	s_waitcnt lgkmcnt(0)
	v_add_f32_e32 v14, v14, v0
.LBB144_116:
	s_or_b64 exec, exec, s[4:5]
	s_barrier
	s_and_saveexec_b64 s[4:5], s[0:1]
	s_cbranch_execz .LBB144_122
; %bb.117:
	s_mov_b32 s0, 0x7f800000
	v_and_b32_e32 v0, 0x7f800000, v14
	v_cmp_ne_u32_e32 vcc, s0, v0
                                        ; implicit-def: $vgpr0
	s_and_saveexec_b64 s[0:1], vcc
	s_xor_b64 s[0:1], exec, s[0:1]
; %bb.118:
	v_bfe_u32 v0, v14, 16, 1
	s_movk_i32 s3, 0x7fff
	v_add3_u32 v0, v14, v0, s3
                                        ; implicit-def: $vgpr14
; %bb.119:
	s_andn2_saveexec_b64 s[0:1], s[0:1]
; %bb.120:
	v_mov_b32_e32 v0, 0
	v_or_b32_e32 v2, 0x10000, v14
	v_cmp_eq_u32_sdwa vcc, v14, v0 src0_sel:WORD_0 src1_sel:DWORD
	v_cndmask_b32_e32 v0, v2, v14, vcc
; %bb.121:
	s_or_b64 exec, exec, s[0:1]
	s_lshl_b32 s0, s2, 5
	s_ashr_i32 s1, s0, 31
	s_lshl_b64 s[0:1], s[0:1], 1
	s_add_u32 s2, s22, s0
	s_mul_i32 s0, s21, s20
	s_addc_u32 s3, s23, s1
	s_ashr_i32 s1, s0, 31
	s_lshl_b64 s[0:1], s[0:1], 1
	s_add_u32 s2, s2, s0
	s_addc_u32 s3, s3, s1
	s_lshl_b32 s0, s8, 5
	s_ashr_i32 s1, s0, 31
	s_lshl_b64 s[0:1], s[0:1], 1
	s_add_u32 s0, s2, s0
	s_addc_u32 s1, s3, s1
	v_lshlrev_b32_e32 v1, 1, v1
	global_store_short_d16_hi v1, v0, s[0:1]
.LBB144_122:
	s_endpgm
	.section	.rodata,"a",@progbits
	.p2align	6, 0x0
	.amdhsa_kernel _ZN4vllm25paged_attention_v2_kernelI14__hip_bfloat16S1_Li32ELi8ELi128ELNS_18Fp8KVCacheDataTypeE0ELb0ELi512EEEvPfS3_PT_PKS4_PKT0_SA_ifPKiSC_iPKfiiiSE_SE_iiiii
		.amdhsa_group_segment_fixed_size 80
		.amdhsa_private_segment_fixed_size 0
		.amdhsa_kernarg_size 400
		.amdhsa_user_sgpr_count 6
		.amdhsa_user_sgpr_private_segment_buffer 1
		.amdhsa_user_sgpr_dispatch_ptr 0
		.amdhsa_user_sgpr_queue_ptr 0
		.amdhsa_user_sgpr_kernarg_segment_ptr 1
		.amdhsa_user_sgpr_dispatch_id 0
		.amdhsa_user_sgpr_flat_scratch_init 0
		.amdhsa_user_sgpr_kernarg_preload_length 0
		.amdhsa_user_sgpr_kernarg_preload_offset 0
		.amdhsa_user_sgpr_private_segment_size 0
		.amdhsa_uses_dynamic_stack 0
		.amdhsa_system_sgpr_private_segment_wavefront_offset 0
		.amdhsa_system_sgpr_workgroup_id_x 1
		.amdhsa_system_sgpr_workgroup_id_y 1
		.amdhsa_system_sgpr_workgroup_id_z 1
		.amdhsa_system_sgpr_workgroup_info 0
		.amdhsa_system_vgpr_workitem_id 0
		.amdhsa_next_free_vgpr 28
		.amdhsa_next_free_sgpr 42
		.amdhsa_accum_offset 28
		.amdhsa_reserve_vcc 1
		.amdhsa_reserve_flat_scratch 0
		.amdhsa_float_round_mode_32 0
		.amdhsa_float_round_mode_16_64 0
		.amdhsa_float_denorm_mode_32 3
		.amdhsa_float_denorm_mode_16_64 3
		.amdhsa_dx10_clamp 1
		.amdhsa_ieee_mode 1
		.amdhsa_fp16_overflow 0
		.amdhsa_tg_split 0
		.amdhsa_exception_fp_ieee_invalid_op 0
		.amdhsa_exception_fp_denorm_src 0
		.amdhsa_exception_fp_ieee_div_zero 0
		.amdhsa_exception_fp_ieee_overflow 0
		.amdhsa_exception_fp_ieee_underflow 0
		.amdhsa_exception_fp_ieee_inexact 0
		.amdhsa_exception_int_div_zero 0
	.end_amdhsa_kernel
	.section	.text._ZN4vllm25paged_attention_v2_kernelI14__hip_bfloat16S1_Li32ELi8ELi128ELNS_18Fp8KVCacheDataTypeE0ELb0ELi512EEEvPfS3_PT_PKS4_PKT0_SA_ifPKiSC_iPKfiiiSE_SE_iiiii,"axG",@progbits,_ZN4vllm25paged_attention_v2_kernelI14__hip_bfloat16S1_Li32ELi8ELi128ELNS_18Fp8KVCacheDataTypeE0ELb0ELi512EEEvPfS3_PT_PKS4_PKT0_SA_ifPKiSC_iPKfiiiSE_SE_iiiii,comdat
.Lfunc_end144:
	.size	_ZN4vllm25paged_attention_v2_kernelI14__hip_bfloat16S1_Li32ELi8ELi128ELNS_18Fp8KVCacheDataTypeE0ELb0ELi512EEEvPfS3_PT_PKS4_PKT0_SA_ifPKiSC_iPKfiiiSE_SE_iiiii, .Lfunc_end144-_ZN4vllm25paged_attention_v2_kernelI14__hip_bfloat16S1_Li32ELi8ELi128ELNS_18Fp8KVCacheDataTypeE0ELb0ELi512EEEvPfS3_PT_PKS4_PKT0_SA_ifPKiSC_iPKfiiiSE_SE_iiiii
                                        ; -- End function
	.section	.AMDGPU.csdata,"",@progbits
; Kernel info:
; codeLenInByte = 4900
; NumSgprs: 46
; NumVgprs: 28
; NumAgprs: 0
; TotalNumVgprs: 28
; ScratchSize: 0
; MemoryBound: 0
; FloatMode: 240
; IeeeMode: 1
; LDSByteSize: 80 bytes/workgroup (compile time only)
; SGPRBlocks: 5
; VGPRBlocks: 3
; NumSGPRsForWavesPerEU: 46
; NumVGPRsForWavesPerEU: 28
; AccumOffset: 28
; Occupancy: 8
; WaveLimiterHint : 1
; COMPUTE_PGM_RSRC2:SCRATCH_EN: 0
; COMPUTE_PGM_RSRC2:USER_SGPR: 6
; COMPUTE_PGM_RSRC2:TRAP_HANDLER: 0
; COMPUTE_PGM_RSRC2:TGID_X_EN: 1
; COMPUTE_PGM_RSRC2:TGID_Y_EN: 1
; COMPUTE_PGM_RSRC2:TGID_Z_EN: 1
; COMPUTE_PGM_RSRC2:TIDIG_COMP_CNT: 0
; COMPUTE_PGM_RSRC3_GFX90A:ACCUM_OFFSET: 6
; COMPUTE_PGM_RSRC3_GFX90A:TG_SPLIT: 0
	.section	.text._ZN4vllm25paged_attention_v2_kernelI14__hip_bfloat16S1_Li64ELi8ELi128ELNS_18Fp8KVCacheDataTypeE0ELb0ELi512EEEvPfS3_PT_PKS4_PKT0_SA_ifPKiSC_iPKfiiiSE_SE_iiiii,"axG",@progbits,_ZN4vllm25paged_attention_v2_kernelI14__hip_bfloat16S1_Li64ELi8ELi128ELNS_18Fp8KVCacheDataTypeE0ELb0ELi512EEEvPfS3_PT_PKS4_PKT0_SA_ifPKiSC_iPKfiiiSE_SE_iiiii,comdat
	.protected	_ZN4vllm25paged_attention_v2_kernelI14__hip_bfloat16S1_Li64ELi8ELi128ELNS_18Fp8KVCacheDataTypeE0ELb0ELi512EEEvPfS3_PT_PKS4_PKT0_SA_ifPKiSC_iPKfiiiSE_SE_iiiii ; -- Begin function _ZN4vllm25paged_attention_v2_kernelI14__hip_bfloat16S1_Li64ELi8ELi128ELNS_18Fp8KVCacheDataTypeE0ELb0ELi512EEEvPfS3_PT_PKS4_PKT0_SA_ifPKiSC_iPKfiiiSE_SE_iiiii
	.globl	_ZN4vllm25paged_attention_v2_kernelI14__hip_bfloat16S1_Li64ELi8ELi128ELNS_18Fp8KVCacheDataTypeE0ELb0ELi512EEEvPfS3_PT_PKS4_PKT0_SA_ifPKiSC_iPKfiiiSE_SE_iiiii
	.p2align	8
	.type	_ZN4vllm25paged_attention_v2_kernelI14__hip_bfloat16S1_Li64ELi8ELi128ELNS_18Fp8KVCacheDataTypeE0ELb0ELi512EEEvPfS3_PT_PKS4_PKT0_SA_ifPKiSC_iPKfiiiSE_SE_iiiii,@function
_ZN4vllm25paged_attention_v2_kernelI14__hip_bfloat16S1_Li64ELi8ELi128ELNS_18Fp8KVCacheDataTypeE0ELb0ELi512EEEvPfS3_PT_PKS4_PKT0_SA_ifPKiSC_iPKfiiiSE_SE_iiiii: ; @_ZN4vllm25paged_attention_v2_kernelI14__hip_bfloat16S1_Li64ELi8ELi128ELNS_18Fp8KVCacheDataTypeE0ELb0ELi512EEEvPfS3_PT_PKS4_PKT0_SA_ifPKiSC_iPKfiiiSE_SE_iiiii
; %bb.0:
	s_load_dwordx2 s[0:1], s[4:5], 0x40
	s_mov_b32 s26, s7
	s_ashr_i32 s27, s7, 31
	s_lshl_b64 s[2:3], s[26:27], 2
	s_waitcnt lgkmcnt(0)
	s_add_u32 s0, s0, s2
	s_addc_u32 s1, s1, s3
	s_load_dword s27, s[0:1], 0x0
	s_lshl_b32 s42, s8, 9
	s_waitcnt lgkmcnt(0)
	s_cmp_ge_i32 s42, s27
	s_cbranch_scc1 .LBB145_120
; %bb.1:
	s_load_dword s9, s[4:5], 0x90
	s_load_dwordx2 s[12:13], s[4:5], 0x30
	s_waitcnt lgkmcnt(0)
	s_abs_i32 s2, s9
	s_abs_i32 s0, s12
	v_cvt_f32_u32_e32 v1, s0
	s_sub_i32 s3, 0, s0
	s_xor_b32 s1, s9, s12
	s_ashr_i32 s1, s1, 31
	v_rcp_iflag_f32_e32 v1, v1
	v_mul_f32_e32 v1, 0x4f7ffffe, v1
	v_cvt_u32_f32_e32 v1, v1
	v_readfirstlane_b32 s7, v1
	s_mul_i32 s3, s3, s7
	s_mul_hi_u32 s3, s7, s3
	s_add_i32 s7, s7, s3
	s_mul_hi_u32 s3, s2, s7
	s_mul_i32 s7, s3, s0
	s_sub_i32 s2, s2, s7
	s_add_i32 s10, s3, 1
	s_sub_i32 s7, s2, s0
	s_cmp_ge_u32 s2, s0
	s_cselect_b32 s3, s10, s3
	s_cselect_b32 s2, s7, s2
	s_add_i32 s7, s3, 1
	s_cmp_ge_u32 s2, s0
	s_cselect_b32 s0, s7, s3
	s_xor_b32 s0, s0, s1
	s_sub_i32 s2, s0, s1
	s_abs_i32 s10, s2
	v_cvt_f32_u32_e32 v1, s10
	s_load_dwordx2 s[0:1], s[4:5], 0x50
	s_sub_i32 s3, 0, s10
	s_abs_i32 s11, s6
	v_rcp_iflag_f32_e32 v1, v1
	s_mov_b32 s7, 0
	v_mul_f32_e32 v1, 0x4f7ffffe, v1
	v_cvt_u32_f32_e32 v1, v1
	v_readfirstlane_b32 s12, v1
	s_mul_i32 s3, s3, s12
	s_mul_hi_u32 s3, s12, s3
	s_add_i32 s12, s12, s3
	s_waitcnt lgkmcnt(0)
	s_cmp_eq_u64 s[0:1], 0
	s_mul_hi_u32 s12, s11, s12
	s_cbranch_scc1 .LBB145_3
; %bb.2:
	s_ashr_i32 s7, s6, 31
	s_lshl_b64 s[14:15], s[6:7], 2
	s_add_u32 s0, s0, s14
	s_addc_u32 s1, s1, s15
	s_load_dword s7, s[0:1], 0x0
.LBB145_3:
	s_load_dwordx4 s[16:19], s[4:5], 0x58
	s_ashr_i32 s20, s6, 31
	s_waitcnt lgkmcnt(0)
	s_ashr_i32 s19, s2, 31
	v_and_b32_e32 v2, 7, v0
	s_lshl_b32 s14, s6, 6
	v_cmp_gt_u32_e64 s[0:1], 64, v0
	s_and_saveexec_b64 s[2:3], s[0:1]
	s_cbranch_execz .LBB145_5
; %bb.4:
	s_load_dwordx2 s[22:23], s[4:5], 0x18
	s_mul_i32 s24, s26, s16
	s_ashr_i32 s25, s24, 31
	s_lshl_b64 s[24:25], s[24:25], 1
	v_lshlrev_b32_e32 v1, 1, v0
	s_waitcnt lgkmcnt(0)
	s_add_u32 s16, s22, s24
	s_addc_u32 s21, s23, s25
	s_ashr_i32 s15, s14, 31
	s_lshl_b64 s[22:23], s[14:15], 1
	s_add_u32 s22, s16, s22
	s_addc_u32 s23, s21, s23
	global_load_ushort v1, v1, s[22:23]
	v_lshrrev_b32_e32 v3, 2, v0
	v_and_b32_e32 v3, 0xfe, v3
	v_lshl_add_u32 v3, v2, 4, v3
	s_waitcnt vmcnt(0)
	ds_write_b16 v3, v1
.LBB145_5:
	s_or_b64 exec, exec, s[2:3]
	s_add_i32 s2, s27, 7
	s_ashr_i32 s3, s2, 31
	s_lshr_b32 s3, s3, 29
	s_add_i32 s2, s2, s3
	s_lshl_b32 s16, s8, 6
	s_mul_i32 s3, s12, s10
	s_ashr_i32 s43, s2, 3
	s_add_i32 s2, s16, 64
	s_sub_i32 s3, s11, s3
	s_min_i32 s33, s2, s43
	s_xor_b32 s2, s20, s19
	s_add_i32 s11, s12, 1
	s_sub_i32 s15, s3, s10
	s_cmp_ge_u32 s3, s10
	s_cselect_b32 s11, s11, s12
	s_cselect_b32 s3, s15, s3
	s_add_i32 s12, s11, 1
	s_cmp_ge_u32 s3, s10
	s_load_dwordx2 s[28:29], s[4:5], 0x38
	s_load_dword s10, s[4:5], 0x48
	v_lshrrev_b32_e32 v4, 6, v0
	s_cselect_b32 s3, s12, s11
	s_xor_b32 s3, s3, s2
	v_or_b32_e32 v10, s16, v4
	s_waitcnt lgkmcnt(0)
	s_mul_i32 s30, s26, s10
	s_sub_i32 s12, s3, s2
	s_ashr_i32 s31, s30, 31
	v_cmp_gt_i32_e64 s[2:3], s33, v10
	v_cmp_le_i32_e32 vcc, s33, v10
	v_mbcnt_lo_u32_b32 v3, -1, 0
	s_barrier
	s_waitcnt lgkmcnt(0)
                                        ; implicit-def: $sgpr19
                                        ; implicit-def: $vgpr7
                                        ; implicit-def: $vgpr8
	s_and_saveexec_b64 s[10:11], vcc
	s_xor_b64 s[10:11], exec, s[10:11]
; %bb.6:
	v_mbcnt_hi_u32_b32 v7, -1, v3
	v_and_b32_e32 v1, 64, v7
	v_add_u32_e32 v8, 64, v1
	s_mov_b32 s19, 0xff7fffff
                                        ; implicit-def: $vgpr2
                                        ; implicit-def: $vgpr3
; %bb.7:
	s_or_saveexec_b64 s[36:37], s[10:11]
	s_load_dwordx4 s[20:23], s[4:5], 0x0
	s_load_dwordx2 s[24:25], s[4:5], 0x10
	s_load_dwordx2 s[34:35], s[4:5], 0x28
	s_load_dword s15, s[4:5], 0x98
	v_mov_b32_e32 v19, s19
	s_mul_i32 s18, s12, s18
	v_ashrrev_i32_e32 v11, 31, v10
	v_lshlrev_b32_e32 v5, 3, v4
	s_xor_b64 exec, exec, s[36:37]
	s_cbranch_execz .LBB145_13
; %bb.8:
	s_load_dwordx2 s[4:5], s[4:5], 0x20
	s_ashr_i32 s19, s18, 31
	s_lshl_b64 s[10:11], s[18:19], 1
	v_bfe_u32 v24, v0, 3, 3
	v_lshlrev_b32_e32 v1, 4, v24
	s_waitcnt lgkmcnt(0)
	s_add_u32 s4, s4, s10
	s_addc_u32 s5, s5, s11
	v_mov_b32_e32 v6, s5
	v_add_co_u32_e32 v1, vcc, s4, v1
	v_addc_co_u32_e32 v6, vcc, 0, v6, vcc
	v_lshlrev_b32_e32 v7, 1, v2
	v_add_co_u32_e32 v1, vcc, v1, v7
	v_mbcnt_hi_u32_b32 v7, -1, v3
	v_lshlrev_b32_e32 v8, 4, v2
	v_and_b32_e32 v3, 64, v7
	ds_read_b128 v[16:19], v8
	v_addc_co_u32_e32 v6, vcc, 0, v6, vcc
	v_add_u32_e32 v8, 64, v3
	v_xor_b32_e32 v3, 4, v7
	v_cmp_lt_i32_e32 vcc, v3, v8
	v_cndmask_b32_e32 v3, v7, v3, vcc
	v_lshlrev_b32_e32 v20, 2, v3
	v_xor_b32_e32 v3, 2, v7
	v_cmp_lt_i32_e32 vcc, v3, v8
	v_cndmask_b32_e32 v3, v7, v3, vcc
	v_lshlrev_b32_e32 v21, 2, v3
	v_xor_b32_e32 v3, 1, v7
	v_cmp_lt_i32_e32 vcc, v3, v8
	v_cndmask_b32_e32 v3, v7, v3, vcc
	v_cmp_eq_u32_e32 vcc, 0, v2
	s_sub_i32 s19, 1, s27
	v_lshlrev_b32_e32 v2, 2, v24
	s_lshl_b64 s[10:11], s[30:31], 2
	v_lshl_or_b32 v2, v4, 5, v2
	s_add_u32 s10, s28, s10
	v_lshlrev_b32_e32 v22, 2, v3
	v_add3_u32 v23, s42, v5, v24
	v_add_u32_e32 v24, 0x90, v2
	v_lshlrev_b64 v[2:3], 2, v[10:11]
	s_addc_u32 s11, s29, s11
	s_waitcnt lgkmcnt(0)
	v_lshlrev_b32_e32 v9, 16, v16
	v_and_b32_e32 v12, 0xffff0000, v16
	v_lshlrev_b32_e32 v13, 16, v17
	v_and_b32_e32 v14, 0xffff0000, v17
	;; [unrolled: 2-line block ×4, first 2 shown]
	v_mov_b32_e32 v19, s11
	v_add_co_u32_e64 v2, s[10:11], s10, v2
	s_mov_b32 s12, s17
	v_cmp_neq_f32_e64 s[4:5], s7, 0
	v_addc_co_u32_e64 v3, s[10:11], v19, v3, s[10:11]
	s_mov_b64 s[38:39], 0
	v_mov_b32_e32 v19, 0xff7fffff
	v_mov_b32_e32 v25, v10
	s_branch .LBB145_10
.LBB145_9:                              ;   in Loop: Header=BB145_10 Depth=1
	s_or_b64 exec, exec, s[40:41]
	v_add_u32_e32 v25, 2, v25
	v_cmp_le_i32_e64 s[10:11], s33, v25
	s_or_b64 s[38:39], s[10:11], s[38:39]
	v_add_co_u32_e64 v2, s[10:11], 8, v2
	v_add_u32_e32 v23, 16, v23
	v_add_u32_e32 v24, 64, v24
	v_addc_co_u32_e64 v3, s[10:11], 0, v3, s[10:11]
	s_andn2_b64 exec, exec, s[38:39]
	s_cbranch_execz .LBB145_12
.LBB145_10:                             ; =>This Inner Loop Header: Depth=1
	global_load_dword v26, v[2:3], off
	s_waitcnt vmcnt(0) lgkmcnt(0)
	v_mad_i64_i32 v[26:27], s[10:11], v26, s12, 0
	v_lshlrev_b64 v[26:27], 1, v[26:27]
	v_add_co_u32_e64 v26, s[10:11], v1, v26
	v_addc_co_u32_e64 v27, s[10:11], v6, v27, s[10:11]
	global_load_ushort v28, v[26:27], off
	global_load_ushort v29, v[26:27], off offset:128
	global_load_ushort v30, v[26:27], off offset:256
	;; [unrolled: 1-line block ×7, first 2 shown]
	s_waitcnt vmcnt(7)
	v_lshlrev_b32_e32 v26, 16, v28
	s_waitcnt vmcnt(6)
	v_lshlrev_b32_e32 v27, 16, v29
	v_mul_f32_e32 v27, v12, v27
	s_waitcnt vmcnt(5)
	v_lshlrev_b32_e32 v28, 16, v30
	v_fmac_f32_e32 v27, v9, v26
	s_waitcnt vmcnt(4)
	v_lshlrev_b32_e32 v29, 16, v31
	v_fmac_f32_e32 v27, v13, v28
	;; [unrolled: 3-line block ×5, first 2 shown]
	v_fmac_f32_e32 v27, v17, v32
	s_waitcnt vmcnt(0)
	v_lshlrev_b32_e32 v26, 16, v35
	v_fmac_f32_e32 v27, v18, v26
	ds_bpermute_b32 v26, v20, v27
	s_waitcnt lgkmcnt(0)
	v_add_f32_e32 v26, v27, v26
	ds_bpermute_b32 v27, v21, v26
	s_waitcnt lgkmcnt(0)
	v_add_f32_e32 v26, v26, v27
	ds_bpermute_b32 v27, v22, v26
	s_and_saveexec_b64 s[40:41], vcc
	s_cbranch_execz .LBB145_9
; %bb.11:                               ;   in Loop: Header=BB145_10 Depth=1
	v_add_u32_e32 v28, s19, v23
	v_cvt_f32_i32_e32 v28, v28
	s_waitcnt lgkmcnt(0)
	v_add_f32_e32 v26, v26, v27
	v_cmp_gt_i32_e64 s[10:11], s27, v23
	v_max_f32_e32 v27, v19, v19
	v_mul_f32_e32 v28, s7, v28
	v_cndmask_b32_e64 v28, 0, v28, s[4:5]
	v_fmac_f32_e32 v28, s13, v26
	v_cndmask_b32_e64 v26, 0, v28, s[10:11]
	ds_write_b32 v24, v26
	v_max_f32_e32 v26, v27, v28
	v_cndmask_b32_e64 v19, v19, v26, s[10:11]
	s_branch .LBB145_9
.LBB145_12:
	s_or_b64 exec, exec, s[38:39]
.LBB145_13:
	s_or_b64 exec, exec, s[36:37]
	v_xor_b32_e32 v1, 32, v7
	v_cmp_lt_i32_e32 vcc, v1, v8
	v_cndmask_b32_e32 v1, v7, v1, vcc
	v_lshlrev_b32_e32 v3, 2, v1
	ds_bpermute_b32 v1, v3, v19
	v_xor_b32_e32 v6, 16, v7
	v_max_f32_e32 v2, v19, v19
	v_cmp_lt_i32_e32 vcc, v6, v8
	v_xor_b32_e32 v9, 8, v7
	s_waitcnt lgkmcnt(0)
	v_max_f32_e32 v1, v1, v1
	v_max_f32_e32 v1, v2, v1
	v_cndmask_b32_e32 v2, v7, v6, vcc
	v_lshlrev_b32_e32 v12, 2, v2
	ds_bpermute_b32 v2, v12, v1
	v_cmp_lt_i32_e32 vcc, v9, v8
	s_waitcnt lgkmcnt(0)
	v_max_f32_e32 v2, v2, v2
	v_max_f32_e32 v6, v1, v2
	v_cndmask_b32_e32 v1, v7, v9, vcc
	v_lshlrev_b32_e32 v13, 2, v1
	ds_bpermute_b32 v9, v13, v6
	v_and_b32_e32 v1, 63, v0
	v_cmp_eq_u32_e32 vcc, 0, v1
	v_lshlrev_b32_e32 v2, 2, v4
	s_and_saveexec_b64 s[4:5], vcc
	s_cbranch_execz .LBB145_15
; %bb.14:
	s_waitcnt lgkmcnt(0)
	v_max_f32_e32 v9, v9, v9
	v_max_f32_e32 v6, v6, v6
	;; [unrolled: 1-line block ×3, first 2 shown]
	ds_write_b32 v2, v6 offset:128
.LBB145_15:
	s_or_b64 exec, exec, s[4:5]
	v_cmp_gt_u32_e64 s[4:5], 2, v1
	v_mov_b32_e32 v6, 0xff7fffff
	s_waitcnt lgkmcnt(0)
	v_lshlrev_b32_e32 v9, 2, v1
	s_barrier
	s_and_saveexec_b64 s[10:11], s[4:5]
	s_cbranch_execz .LBB145_17
; %bb.16:
	ds_read_b32 v6, v9 offset:128
.LBB145_17:
	s_or_b64 exec, exec, s[10:11]
	v_xor_b32_e32 v14, 1, v7
	v_cmp_lt_i32_e64 s[10:11], v14, v8
	v_cndmask_b32_e64 v14, v7, v14, s[10:11]
	v_lshlrev_b32_e32 v14, 2, v14
	s_waitcnt lgkmcnt(0)
	ds_bpermute_b32 v15, v14, v6
	v_max_f32_e32 v6, v6, v6
	s_sub_i32 s7, s33, s16
	s_lshl_b32 s7, s7, 3
	s_add_i32 s7, s7, s42
	s_waitcnt lgkmcnt(0)
	v_max_f32_e32 v15, v15, v15
	v_max_f32_e32 v6, v6, v15
	v_lshlrev_b32_e32 v15, 2, v7
	v_and_b32_e32 v15, 0xffffff00, v15
	ds_bpermute_b32 v6, v15, v6
	s_min_i32 s19, s7, s27
	s_sub_i32 s7, s19, s42
	v_cmp_gt_i32_e64 s[10:11], s7, v0
	v_mov_b32_e32 v16, 0
	s_and_saveexec_b64 s[36:37], s[10:11]
	s_cbranch_execz .LBB145_21
; %bb.18:
	v_mov_b32_e32 v16, 0x90
	v_lshl_add_u32 v17, v0, 2, v16
	s_mov_b64 s[38:39], 0
	v_mov_b32_e32 v16, 0
	v_mov_b32_e32 v18, v0
.LBB145_19:                             ; =>This Inner Loop Header: Depth=1
	ds_read_b32 v19, v17
	v_add_u32_e32 v18, 0x80, v18
	v_cmp_le_i32_e64 s[12:13], s7, v18
	s_or_b64 s[38:39], s[12:13], s[38:39]
	s_waitcnt lgkmcnt(0)
	v_sub_f32_e32 v19, v19, v6
	v_mul_f32_e32 v19, 0x3fb8aa3b, v19
	v_exp_f32_e32 v19, v19
	ds_write_b32 v17, v19
	v_add_f32_e32 v16, v16, v19
	v_add_u32_e32 v17, 0x200, v17
	s_andn2_b64 exec, exec, s[38:39]
	s_cbranch_execnz .LBB145_19
; %bb.20:
	s_or_b64 exec, exec, s[38:39]
.LBB145_21:
	s_or_b64 exec, exec, s[36:37]
	ds_bpermute_b32 v3, v3, v16
	s_waitcnt lgkmcnt(0)
	v_add_f32_e32 v3, v16, v3
	ds_bpermute_b32 v12, v12, v3
	s_waitcnt lgkmcnt(0)
	v_add_f32_e32 v3, v3, v12
	ds_bpermute_b32 v12, v13, v3
	v_xor_b32_e32 v13, 4, v7
	v_cmp_lt_i32_e64 s[12:13], v13, v8
	v_cndmask_b32_e64 v13, v7, v13, s[12:13]
	v_lshlrev_b32_e32 v13, 2, v13
	s_waitcnt lgkmcnt(0)
	v_add_f32_e32 v3, v3, v12
	ds_bpermute_b32 v12, v13, v3
	v_xor_b32_e32 v13, 2, v7
	v_cmp_lt_i32_e64 s[12:13], v13, v8
	v_cndmask_b32_e64 v7, v7, v13, s[12:13]
	v_lshlrev_b32_e32 v7, 2, v7
	s_waitcnt lgkmcnt(0)
	v_add_f32_e32 v3, v3, v12
	ds_bpermute_b32 v7, v7, v3
	s_waitcnt lgkmcnt(0)
	v_add_f32_e32 v3, v3, v7
	ds_bpermute_b32 v7, v14, v3
	s_waitcnt lgkmcnt(0)
	v_add_f32_e32 v3, v3, v7
	s_and_saveexec_b64 s[12:13], vcc
	s_cbranch_execz .LBB145_23
; %bb.22:
	ds_write_b32 v2, v3 offset:136
.LBB145_23:
	s_or_b64 exec, exec, s[12:13]
	s_waitcnt lgkmcnt(0)
	s_barrier
	s_and_saveexec_b64 s[12:13], s[4:5]
	s_cbranch_execz .LBB145_25
; %bb.24:
	ds_read_b32 v3, v9 offset:136
.LBB145_25:
	s_or_b64 exec, exec, s[12:13]
	s_waitcnt lgkmcnt(0)
	ds_bpermute_b32 v2, v14, v3
	s_waitcnt lgkmcnt(0)
	v_add_f32_e32 v2, v3, v2
	ds_bpermute_b32 v7, v15, v2
	s_and_saveexec_b64 s[4:5], s[10:11]
	s_cbranch_execz .LBB145_38
; %bb.26:
	s_waitcnt lgkmcnt(0)
	v_add_f32_e32 v2, 0x358637bd, v7
	v_div_scale_f32 v3, s[10:11], v2, v2, 1.0
	v_rcp_f32_e32 v8, v3
	v_div_scale_f32 v9, vcc, 1.0, v2, 1.0
	s_movk_i32 s10, 0x7f
	v_fma_f32 v12, -v3, v8, 1.0
	v_fmac_f32_e32 v8, v12, v8
	v_mul_f32_e32 v12, v9, v8
	v_fma_f32 v13, -v3, v12, v9
	v_fmac_f32_e32 v12, v13, v8
	v_fma_f32 v3, -v3, v12, v9
	v_div_fmas_f32 v3, v3, v8, v12
	v_div_fixup_f32 v2, v3, v2, 1.0
	v_xad_u32 v3, v0, -1, s19
	v_subrev_u32_e32 v8, s42, v3
	v_cmp_lt_u32_e32 vcc, s10, v8
	s_mov_b64 s[12:13], -1
	v_mov_b32_e32 v3, v0
	s_and_saveexec_b64 s[10:11], vcc
	s_cbranch_execz .LBB145_35
; %bb.27:
	v_lshrrev_b32_e32 v8, 7, v8
	v_add_u32_e32 v12, -1, v8
	v_lshrrev_b32_e32 v9, 1, v12
	v_mov_b32_e32 v3, v2
	v_add_u32_e32 v9, 1, v9
	v_cmp_lt_u32_e32 vcc, 13, v12
	v_mov_b32_e32 v14, 0
	s_and_saveexec_b64 s[12:13], vcc
	s_cbranch_execz .LBB145_31
; %bb.28:
	v_mov_b32_e32 v13, 0x90
	v_and_b32_e32 v12, -8, v9
	v_lshl_add_u32 v13, v0, 2, v13
	s_mov_b32 s19, 0
	s_mov_b64 s[36:37], 0
.LBB145_29:                             ; =>This Inner Loop Header: Depth=1
	ds_read2st64_b32 v[14:15], v13 offset1:2
	ds_read2st64_b32 v[16:17], v13 offset0:4 offset1:6
	ds_read2st64_b32 v[18:19], v13 offset0:8 offset1:10
	;; [unrolled: 1-line block ×3, first 2 shown]
	v_add_u32_e32 v12, -8, v12
	s_waitcnt lgkmcnt(3)
	v_pk_mul_f32 v[14:15], v[2:3], v[14:15]
	s_waitcnt lgkmcnt(2)
	v_pk_mul_f32 v[16:17], v[2:3], v[16:17]
	ds_write2st64_b32 v13, v14, v15 offset1:2
	ds_write2st64_b32 v13, v16, v17 offset0:4 offset1:6
	ds_read2st64_b32 v[16:17], v13 offset0:16 offset1:18
	s_waitcnt lgkmcnt(4)
	v_pk_mul_f32 v[14:15], v[2:3], v[18:19]
	ds_write2st64_b32 v13, v14, v15 offset0:8 offset1:10
	s_waitcnt lgkmcnt(4)
	v_pk_mul_f32 v[14:15], v[2:3], v[20:21]
	ds_write2st64_b32 v13, v14, v15 offset0:12 offset1:14
	ds_read2st64_b32 v[14:15], v13 offset0:20 offset1:22
	s_waitcnt lgkmcnt(3)
	v_pk_mul_f32 v[16:17], v[2:3], v[16:17]
	ds_read2st64_b32 v[18:19], v13 offset0:24 offset1:26
	ds_write2st64_b32 v13, v16, v17 offset0:16 offset1:18
	ds_read2st64_b32 v[16:17], v13 offset0:28 offset1:30
	s_waitcnt lgkmcnt(3)
	v_pk_mul_f32 v[14:15], v[2:3], v[14:15]
	ds_write2st64_b32 v13, v14, v15 offset0:20 offset1:22
	s_waitcnt lgkmcnt(3)
	v_pk_mul_f32 v[14:15], v[2:3], v[18:19]
	ds_write2st64_b32 v13, v14, v15 offset0:24 offset1:26
	s_waitcnt lgkmcnt(2)
	v_pk_mul_f32 v[14:15], v[2:3], v[16:17]
	s_add_i32 s19, s19, 16
	v_cmp_eq_u32_e32 vcc, 0, v12
	ds_write2st64_b32 v13, v14, v15 offset0:28 offset1:30
	v_add_u32_e32 v13, 0x2000, v13
	s_or_b64 s[36:37], vcc, s[36:37]
	v_mov_b32_e32 v14, s19
	s_andn2_b64 exec, exec, s[36:37]
	s_cbranch_execnz .LBB145_29
; %bb.30:
	s_or_b64 exec, exec, s[36:37]
.LBB145_31:
	s_or_b64 exec, exec, s[12:13]
	v_and_b32_e32 v9, 7, v9
	v_cmp_ne_u32_e32 vcc, 0, v9
	s_and_saveexec_b64 s[12:13], vcc
	s_cbranch_execz .LBB145_34
; %bb.32:
	v_lshlrev_b32_e32 v12, 9, v14
	v_lshlrev_b32_e32 v13, 2, v0
	s_movk_i32 s19, 0x90
	v_add3_u32 v12, v12, v13, s19
	s_mov_b64 s[36:37], 0
.LBB145_33:                             ; =>This Inner Loop Header: Depth=1
	ds_read2st64_b32 v[14:15], v12 offset1:2
	v_add_u32_e32 v9, -1, v9
	v_cmp_eq_u32_e32 vcc, 0, v9
	s_or_b64 s[36:37], vcc, s[36:37]
	s_waitcnt lgkmcnt(0)
	v_pk_mul_f32 v[14:15], v[2:3], v[14:15]
	ds_write2st64_b32 v12, v14, v15 offset1:2
	v_add_u32_e32 v12, 0x400, v12
	s_andn2_b64 exec, exec, s[36:37]
	s_cbranch_execnz .LBB145_33
.LBB145_34:
	s_or_b64 exec, exec, s[12:13]
	v_add_u32_e32 v8, 1, v8
	v_and_b32_e32 v9, 0x3fffffe, v8
	v_cmp_ne_u32_e32 vcc, v8, v9
	v_lshl_add_u32 v3, v9, 7, v0
	s_orn2_b64 s[12:13], vcc, exec
.LBB145_35:
	s_or_b64 exec, exec, s[10:11]
	s_and_b64 exec, exec, s[12:13]
	s_cbranch_execz .LBB145_38
; %bb.36:
	v_mov_b32_e32 v8, 0x90
	v_lshl_add_u32 v8, v3, 2, v8
	s_mov_b64 s[10:11], 0
.LBB145_37:                             ; =>This Inner Loop Header: Depth=1
	ds_read_b32 v9, v8
	v_add_u32_e32 v3, 0x80, v3
	v_cmp_le_i32_e32 vcc, s7, v3
	s_or_b64 s[10:11], vcc, s[10:11]
	s_waitcnt lgkmcnt(0)
	v_mul_f32_e32 v9, v2, v9
	ds_write_b32 v8, v9
	v_add_u32_e32 v8, 0x200, v8
	s_andn2_b64 exec, exec, s[10:11]
	s_cbranch_execnz .LBB145_37
.LBB145_38:
	s_or_b64 exec, exec, s[4:5]
	s_mul_i32 s4, s15, s26
	v_cmp_eq_u32_e32 vcc, 0, v0
	s_mul_i32 s4, s4, s9
	s_waitcnt lgkmcnt(0)
	s_barrier
	s_and_saveexec_b64 s[10:11], vcc
	s_cbranch_execz .LBB145_40
; %bb.39:
	s_ashr_i32 s5, s4, 31
	s_lshl_b64 s[12:13], s[4:5], 2
	s_add_u32 s5, s22, s12
	s_mul_i32 s6, s15, s6
	s_addc_u32 s9, s23, s13
	s_ashr_i32 s7, s6, 31
	s_lshl_b64 s[6:7], s[6:7], 2
	s_add_u32 s5, s5, s6
	s_addc_u32 s19, s9, s7
	s_ashr_i32 s9, s8, 31
	s_lshl_b64 s[8:9], s[8:9], 2
	s_add_u32 s22, s5, s8
	s_addc_u32 s23, s19, s9
	s_add_u32 s5, s20, s12
	s_addc_u32 s12, s21, s13
	;; [unrolled: 2-line block ×3, first 2 shown]
	s_add_u32 s6, s5, s8
	v_mov_b32_e32 v2, 0
	s_addc_u32 s7, s7, s9
	global_store_dword v2, v6, s[22:23]
	global_store_dword v2, v7, s[6:7]
.LBB145_40:
	s_or_b64 exec, exec, s[10:11]
	v_mov_b32_e32 v14, 0
	s_and_saveexec_b64 s[6:7], s[2:3]
	s_cbranch_execz .LBB145_110
; %bb.41:
	s_ashr_i32 s19, s18, 31
	s_lshl_b64 s[2:3], s[18:19], 1
	s_add_u32 s2, s34, s2
	s_addc_u32 s3, s35, s3
	v_lshlrev_b32_e32 v2, 4, v1
	v_mov_b32_e32 v3, s3
	v_add_co_u32_e32 v16, vcc, s2, v2
	s_add_i32 s43, s43, -1
	s_lshl_b64 s[2:3], s[30:31], 2
	v_mov_b32_e32 v2, 0x90
	s_add_u32 s2, s28, s2
	v_addc_co_u32_e32 v17, vcc, 0, v3, vcc
	v_lshl_add_u32 v19, v4, 5, v2
	v_lshlrev_b64 v[2:3], 2, v[10:11]
	s_addc_u32 s3, s29, s3
	v_mov_b32_e32 v4, s3
	v_add_co_u32_e32 v12, vcc, s2, v2
	s_mov_b32 s5, s17
	v_mov_b32_e32 v15, 0
	v_add3_u32 v18, s42, v5, 7
	v_addc_co_u32_e32 v13, vcc, v4, v3, vcc
	s_mov_b64 s[2:3], 0
	s_mov_b32 s10, 0x7f800000
	s_movk_i32 s11, 0x7fff
	v_mov_b32_e32 v14, 0
	s_branch .LBB145_43
.LBB145_42:                             ;   in Loop: Header=BB145_43 Depth=1
	s_or_b64 exec, exec, s[8:9]
	v_and_b32_e32 v6, 0xffff0000, v8
	v_and_b32_e32 v9, 0xffff0000, v11
	;; [unrolled: 1-line block ×8, first 2 shown]
	v_pk_add_f32 v[2:3], v[2:3], v[8:9]
	v_pk_add_f32 v[4:5], v[4:5], v[6:7]
	v_add_f32_e32 v2, v2, v3
	v_add_u32_e32 v10, 2, v10
	v_add_f32_e32 v2, v2, v4
	v_cmp_le_i32_e32 vcc, s33, v10
	v_add_f32_e32 v2, v2, v5
	s_or_b64 s[2:3], vcc, s[2:3]
	v_add_co_u32_e32 v12, vcc, 8, v12
	v_add_f32_e32 v14, v14, v2
	v_add_u32_e32 v18, 16, v18
	v_add_u32_e32 v19, 64, v19
	v_addc_co_u32_e32 v13, vcc, 0, v13, vcc
	s_andn2_b64 exec, exec, s[2:3]
	s_cbranch_execz .LBB145_109
.LBB145_43:                             ; =>This Inner Loop Header: Depth=1
	global_load_dword v23, v[12:13], off
	ds_read2_b64 v[6:9], v19 offset1:1
	ds_read2_b64 v[2:5], v19 offset0:2 offset1:3
                                        ; implicit-def: $vgpr22
	s_waitcnt lgkmcnt(1)
	v_and_b32_e32 v11, 0x7f800000, v6
	v_cmp_ne_u32_e32 vcc, s10, v11
	s_and_saveexec_b64 s[8:9], vcc
	s_xor_b64 s[8:9], exec, s[8:9]
; %bb.44:                               ;   in Loop: Header=BB145_43 Depth=1
	v_bfe_u32 v11, v6, 16, 1
	v_add3_u32 v22, v6, v11, s11
; %bb.45:                               ;   in Loop: Header=BB145_43 Depth=1
	s_andn2_saveexec_b64 s[8:9], s[8:9]
; %bb.46:                               ;   in Loop: Header=BB145_43 Depth=1
	v_or_b32_e32 v11, 0x10000, v6
	v_cmp_eq_u32_sdwa vcc, v6, v15 src0_sel:WORD_0 src1_sel:DWORD
	v_cndmask_b32_e32 v22, v11, v6, vcc
; %bb.47:                               ;   in Loop: Header=BB145_43 Depth=1
	s_or_b64 exec, exec, s[8:9]
	v_and_b32_e32 v6, 0x7f800000, v7
	v_cmp_ne_u32_e32 vcc, s10, v6
                                        ; implicit-def: $vgpr21
	s_and_saveexec_b64 s[8:9], vcc
	s_xor_b64 s[8:9], exec, s[8:9]
; %bb.48:                               ;   in Loop: Header=BB145_43 Depth=1
	v_bfe_u32 v6, v7, 16, 1
	v_add3_u32 v21, v7, v6, s11
; %bb.49:                               ;   in Loop: Header=BB145_43 Depth=1
	s_andn2_saveexec_b64 s[8:9], s[8:9]
; %bb.50:                               ;   in Loop: Header=BB145_43 Depth=1
	v_or_b32_e32 v6, 0x10000, v7
	v_cmp_eq_u32_sdwa vcc, v7, v15 src0_sel:WORD_0 src1_sel:DWORD
	v_cndmask_b32_e32 v21, v6, v7, vcc
; %bb.51:                               ;   in Loop: Header=BB145_43 Depth=1
	s_or_b64 exec, exec, s[8:9]
	v_and_b32_e32 v6, 0x7f800000, v8
	v_cmp_ne_u32_e32 vcc, s10, v6
                                        ; implicit-def: $vgpr20
	s_and_saveexec_b64 s[8:9], vcc
	s_xor_b64 s[8:9], exec, s[8:9]
; %bb.52:                               ;   in Loop: Header=BB145_43 Depth=1
	v_bfe_u32 v6, v8, 16, 1
	v_add3_u32 v20, v8, v6, s11
; %bb.53:                               ;   in Loop: Header=BB145_43 Depth=1
	s_andn2_saveexec_b64 s[8:9], s[8:9]
; %bb.54:                               ;   in Loop: Header=BB145_43 Depth=1
	v_or_b32_e32 v6, 0x10000, v8
	v_cmp_eq_u32_sdwa vcc, v8, v15 src0_sel:WORD_0 src1_sel:DWORD
	v_cndmask_b32_e32 v20, v6, v8, vcc
; %bb.55:                               ;   in Loop: Header=BB145_43 Depth=1
	s_or_b64 exec, exec, s[8:9]
	v_and_b32_e32 v6, 0x7f800000, v9
	v_cmp_ne_u32_e32 vcc, s10, v6
                                        ; implicit-def: $vgpr11
	s_and_saveexec_b64 s[8:9], vcc
	s_xor_b64 s[8:9], exec, s[8:9]
; %bb.56:                               ;   in Loop: Header=BB145_43 Depth=1
	v_bfe_u32 v6, v9, 16, 1
	v_add3_u32 v11, v9, v6, s11
                                        ; implicit-def: $vgpr6_vgpr7_vgpr8_vgpr9
; %bb.57:                               ;   in Loop: Header=BB145_43 Depth=1
	s_andn2_saveexec_b64 s[8:9], s[8:9]
; %bb.58:                               ;   in Loop: Header=BB145_43 Depth=1
	v_or_b32_e32 v6, 0x10000, v9
	v_cmp_eq_u32_sdwa vcc, v9, v15 src0_sel:WORD_0 src1_sel:DWORD
	v_cndmask_b32_e32 v11, v6, v9, vcc
; %bb.59:                               ;   in Loop: Header=BB145_43 Depth=1
	s_or_b64 exec, exec, s[8:9]
	s_waitcnt lgkmcnt(0)
	v_and_b32_e32 v6, 0x7f800000, v2
	v_cmp_ne_u32_e32 vcc, s10, v6
                                        ; implicit-def: $vgpr9
	s_and_saveexec_b64 s[8:9], vcc
	s_xor_b64 s[8:9], exec, s[8:9]
; %bb.60:                               ;   in Loop: Header=BB145_43 Depth=1
	v_bfe_u32 v6, v2, 16, 1
	v_add3_u32 v9, v2, v6, s11
; %bb.61:                               ;   in Loop: Header=BB145_43 Depth=1
	s_andn2_saveexec_b64 s[8:9], s[8:9]
; %bb.62:                               ;   in Loop: Header=BB145_43 Depth=1
	v_or_b32_e32 v6, 0x10000, v2
	v_cmp_eq_u32_sdwa vcc, v2, v15 src0_sel:WORD_0 src1_sel:DWORD
	v_cndmask_b32_e32 v9, v6, v2, vcc
; %bb.63:                               ;   in Loop: Header=BB145_43 Depth=1
	s_or_b64 exec, exec, s[8:9]
	v_and_b32_e32 v2, 0x7f800000, v3
	v_cmp_ne_u32_e32 vcc, s10, v2
                                        ; implicit-def: $vgpr8
	s_and_saveexec_b64 s[8:9], vcc
	s_xor_b64 s[8:9], exec, s[8:9]
; %bb.64:                               ;   in Loop: Header=BB145_43 Depth=1
	v_bfe_u32 v2, v3, 16, 1
	v_add3_u32 v8, v3, v2, s11
; %bb.65:                               ;   in Loop: Header=BB145_43 Depth=1
	s_andn2_saveexec_b64 s[8:9], s[8:9]
; %bb.66:                               ;   in Loop: Header=BB145_43 Depth=1
	v_or_b32_e32 v2, 0x10000, v3
	v_cmp_eq_u32_sdwa vcc, v3, v15 src0_sel:WORD_0 src1_sel:DWORD
	v_cndmask_b32_e32 v8, v2, v3, vcc
; %bb.67:                               ;   in Loop: Header=BB145_43 Depth=1
	s_or_b64 exec, exec, s[8:9]
	v_and_b32_e32 v2, 0x7f800000, v4
	v_cmp_ne_u32_e32 vcc, s10, v2
                                        ; implicit-def: $vgpr7
	s_and_saveexec_b64 s[8:9], vcc
	s_xor_b64 s[8:9], exec, s[8:9]
; %bb.68:                               ;   in Loop: Header=BB145_43 Depth=1
	v_bfe_u32 v2, v4, 16, 1
	v_add3_u32 v7, v4, v2, s11
; %bb.69:                               ;   in Loop: Header=BB145_43 Depth=1
	s_andn2_saveexec_b64 s[8:9], s[8:9]
; %bb.70:                               ;   in Loop: Header=BB145_43 Depth=1
	v_or_b32_e32 v2, 0x10000, v4
	v_cmp_eq_u32_sdwa vcc, v4, v15 src0_sel:WORD_0 src1_sel:DWORD
	v_cndmask_b32_e32 v7, v2, v4, vcc
; %bb.71:                               ;   in Loop: Header=BB145_43 Depth=1
	s_or_b64 exec, exec, s[8:9]
	v_and_b32_e32 v2, 0x7f800000, v5
	v_cmp_ne_u32_e32 vcc, s10, v2
                                        ; implicit-def: $vgpr6
	s_and_saveexec_b64 s[8:9], vcc
	s_xor_b64 s[8:9], exec, s[8:9]
; %bb.72:                               ;   in Loop: Header=BB145_43 Depth=1
	v_bfe_u32 v2, v5, 16, 1
	v_add3_u32 v6, v5, v2, s11
                                        ; implicit-def: $vgpr2_vgpr3_vgpr4_vgpr5
; %bb.73:                               ;   in Loop: Header=BB145_43 Depth=1
	s_andn2_saveexec_b64 s[8:9], s[8:9]
; %bb.74:                               ;   in Loop: Header=BB145_43 Depth=1
	v_or_b32_e32 v2, 0x10000, v5
	v_cmp_eq_u32_sdwa vcc, v5, v15 src0_sel:WORD_0 src1_sel:DWORD
	v_cndmask_b32_e32 v6, v2, v5, vcc
; %bb.75:                               ;   in Loop: Header=BB145_43 Depth=1
	s_or_b64 exec, exec, s[8:9]
	s_waitcnt vmcnt(0)
	v_mad_i64_i32 v[2:3], s[8:9], v23, s5, 0
	v_lshlrev_b64 v[2:3], 1, v[2:3]
	v_add_co_u32_e32 v2, vcc, v16, v2
	v_addc_co_u32_e32 v3, vcc, v17, v3, vcc
	global_load_dwordx4 v[2:5], v[2:3], off
	v_cmp_eq_u32_e32 vcc, s43, v10
	s_waitcnt vmcnt(0)
	v_lshrrev_b32_e32 v26, 16, v2
	v_lshrrev_b32_e32 v25, 16, v3
	;; [unrolled: 1-line block ×4, first 2 shown]
	s_and_saveexec_b64 s[8:9], vcc
	s_cbranch_execz .LBB145_77
; %bb.76:                               ;   in Loop: Header=BB145_43 Depth=1
	v_add_u32_e32 v27, -7, v18
	v_cmp_gt_i32_e32 vcc, s27, v27
	v_add_u32_e32 v27, -6, v18
	v_cndmask_b32_e32 v2, 0, v2, vcc
	v_cmp_gt_i32_e32 vcc, s27, v27
	v_add_u32_e32 v27, -5, v18
	v_cndmask_b32_e32 v26, 0, v26, vcc
	;; [unrolled: 3-line block ×6, first 2 shown]
	v_cmp_gt_i32_e32 vcc, s27, v27
	v_cndmask_b32_e32 v5, 0, v5, vcc
	v_cmp_gt_i32_e32 vcc, s27, v18
	v_cndmask_b32_e32 v23, 0, v23, vcc
.LBB145_77:                             ;   in Loop: Header=BB145_43 Depth=1
	s_or_b64 exec, exec, s[8:9]
	v_and_b32_e32 v22, 0xffff0000, v22
	v_lshlrev_b32_e32 v2, 16, v2
	v_mul_f32_e32 v22, v22, v2
	v_and_b32_e32 v2, 0x7f800000, v22
	v_cmp_ne_u32_e32 vcc, s10, v2
                                        ; implicit-def: $vgpr2
	s_and_saveexec_b64 s[8:9], vcc
	s_xor_b64 s[8:9], exec, s[8:9]
; %bb.78:                               ;   in Loop: Header=BB145_43 Depth=1
	v_bfe_u32 v2, v22, 16, 1
	v_add3_u32 v2, v22, v2, s11
                                        ; implicit-def: $vgpr22
; %bb.79:                               ;   in Loop: Header=BB145_43 Depth=1
	s_andn2_saveexec_b64 s[8:9], s[8:9]
; %bb.80:                               ;   in Loop: Header=BB145_43 Depth=1
	v_or_b32_e32 v2, 0x10000, v22
	v_cmp_eq_u32_sdwa vcc, v22, v15 src0_sel:WORD_0 src1_sel:DWORD
	v_cndmask_b32_e32 v2, v2, v22, vcc
; %bb.81:                               ;   in Loop: Header=BB145_43 Depth=1
	s_or_b64 exec, exec, s[8:9]
	v_and_b32_e32 v21, 0xffff0000, v21
	v_lshlrev_b32_e32 v22, 16, v26
	v_mul_f32_e32 v22, v21, v22
	v_and_b32_e32 v21, 0x7f800000, v22
	v_cmp_ne_u32_e32 vcc, s10, v21
                                        ; implicit-def: $vgpr21
	s_and_saveexec_b64 s[8:9], vcc
	s_xor_b64 s[8:9], exec, s[8:9]
; %bb.82:                               ;   in Loop: Header=BB145_43 Depth=1
	v_bfe_u32 v21, v22, 16, 1
	v_add3_u32 v21, v22, v21, s11
                                        ; implicit-def: $vgpr22
; %bb.83:                               ;   in Loop: Header=BB145_43 Depth=1
	s_andn2_saveexec_b64 s[8:9], s[8:9]
; %bb.84:                               ;   in Loop: Header=BB145_43 Depth=1
	v_or_b32_e32 v21, 0x10000, v22
	v_cmp_eq_u32_sdwa vcc, v22, v15 src0_sel:WORD_0 src1_sel:DWORD
	v_cndmask_b32_e32 v21, v21, v22, vcc
; %bb.85:                               ;   in Loop: Header=BB145_43 Depth=1
	s_or_b64 exec, exec, s[8:9]
	v_and_b32_e32 v20, 0xffff0000, v20
	v_lshlrev_b32_e32 v3, 16, v3
	v_mul_f32_e32 v20, v20, v3
	v_and_b32_e32 v3, 0x7f800000, v20
	v_cmp_ne_u32_e32 vcc, s10, v3
                                        ; implicit-def: $vgpr3
	s_and_saveexec_b64 s[8:9], vcc
	s_xor_b64 s[8:9], exec, s[8:9]
; %bb.86:                               ;   in Loop: Header=BB145_43 Depth=1
	v_bfe_u32 v3, v20, 16, 1
	v_add3_u32 v3, v20, v3, s11
                                        ; implicit-def: $vgpr20
; %bb.87:                               ;   in Loop: Header=BB145_43 Depth=1
	s_andn2_saveexec_b64 s[8:9], s[8:9]
; %bb.88:                               ;   in Loop: Header=BB145_43 Depth=1
	v_or_b32_e32 v3, 0x10000, v20
	v_cmp_eq_u32_sdwa vcc, v20, v15 src0_sel:WORD_0 src1_sel:DWORD
	v_cndmask_b32_e32 v3, v3, v20, vcc
; %bb.89:                               ;   in Loop: Header=BB145_43 Depth=1
	s_or_b64 exec, exec, s[8:9]
	v_and_b32_e32 v11, 0xffff0000, v11
	v_lshlrev_b32_e32 v20, 16, v25
	v_mul_f32_e32 v20, v11, v20
	v_and_b32_e32 v11, 0x7f800000, v20
	v_cmp_ne_u32_e32 vcc, s10, v11
                                        ; implicit-def: $vgpr11
	s_and_saveexec_b64 s[8:9], vcc
	s_xor_b64 s[8:9], exec, s[8:9]
; %bb.90:                               ;   in Loop: Header=BB145_43 Depth=1
	v_bfe_u32 v11, v20, 16, 1
	v_add3_u32 v11, v20, v11, s11
                                        ; implicit-def: $vgpr20
; %bb.91:                               ;   in Loop: Header=BB145_43 Depth=1
	s_andn2_saveexec_b64 s[8:9], s[8:9]
; %bb.92:                               ;   in Loop: Header=BB145_43 Depth=1
	v_or_b32_e32 v11, 0x10000, v20
	v_cmp_eq_u32_sdwa vcc, v20, v15 src0_sel:WORD_0 src1_sel:DWORD
	v_cndmask_b32_e32 v11, v11, v20, vcc
; %bb.93:                               ;   in Loop: Header=BB145_43 Depth=1
	s_or_b64 exec, exec, s[8:9]
	v_and_b32_e32 v9, 0xffff0000, v9
	v_lshlrev_b32_e32 v4, 16, v4
	v_mul_f32_e32 v9, v9, v4
	v_and_b32_e32 v4, 0x7f800000, v9
	v_cmp_ne_u32_e32 vcc, s10, v4
                                        ; implicit-def: $vgpr4
	s_and_saveexec_b64 s[8:9], vcc
	s_xor_b64 s[8:9], exec, s[8:9]
; %bb.94:                               ;   in Loop: Header=BB145_43 Depth=1
	v_bfe_u32 v4, v9, 16, 1
	v_add3_u32 v4, v9, v4, s11
                                        ; implicit-def: $vgpr9
; %bb.95:                               ;   in Loop: Header=BB145_43 Depth=1
	s_andn2_saveexec_b64 s[8:9], s[8:9]
; %bb.96:                               ;   in Loop: Header=BB145_43 Depth=1
	v_or_b32_e32 v4, 0x10000, v9
	v_cmp_eq_u32_sdwa vcc, v9, v15 src0_sel:WORD_0 src1_sel:DWORD
	v_cndmask_b32_e32 v4, v4, v9, vcc
; %bb.97:                               ;   in Loop: Header=BB145_43 Depth=1
	s_or_b64 exec, exec, s[8:9]
	v_and_b32_e32 v8, 0xffff0000, v8
	v_lshlrev_b32_e32 v9, 16, v24
	v_mul_f32_e32 v9, v8, v9
	v_and_b32_e32 v8, 0x7f800000, v9
	v_cmp_ne_u32_e32 vcc, s10, v8
                                        ; implicit-def: $vgpr8
	s_and_saveexec_b64 s[8:9], vcc
	s_xor_b64 s[8:9], exec, s[8:9]
; %bb.98:                               ;   in Loop: Header=BB145_43 Depth=1
	v_bfe_u32 v8, v9, 16, 1
	v_add3_u32 v8, v9, v8, s11
                                        ; implicit-def: $vgpr9
; %bb.99:                               ;   in Loop: Header=BB145_43 Depth=1
	s_andn2_saveexec_b64 s[8:9], s[8:9]
; %bb.100:                              ;   in Loop: Header=BB145_43 Depth=1
	v_or_b32_e32 v8, 0x10000, v9
	v_cmp_eq_u32_sdwa vcc, v9, v15 src0_sel:WORD_0 src1_sel:DWORD
	v_cndmask_b32_e32 v8, v8, v9, vcc
; %bb.101:                              ;   in Loop: Header=BB145_43 Depth=1
	s_or_b64 exec, exec, s[8:9]
	v_and_b32_e32 v7, 0xffff0000, v7
	v_lshlrev_b32_e32 v5, 16, v5
	v_mul_f32_e32 v7, v7, v5
	v_and_b32_e32 v5, 0x7f800000, v7
	v_cmp_ne_u32_e32 vcc, s10, v5
                                        ; implicit-def: $vgpr5
	s_and_saveexec_b64 s[8:9], vcc
	s_xor_b64 s[8:9], exec, s[8:9]
; %bb.102:                              ;   in Loop: Header=BB145_43 Depth=1
	v_bfe_u32 v5, v7, 16, 1
	v_add3_u32 v5, v7, v5, s11
                                        ; implicit-def: $vgpr7
; %bb.103:                              ;   in Loop: Header=BB145_43 Depth=1
	s_andn2_saveexec_b64 s[8:9], s[8:9]
; %bb.104:                              ;   in Loop: Header=BB145_43 Depth=1
	v_or_b32_e32 v5, 0x10000, v7
	v_cmp_eq_u32_sdwa vcc, v7, v15 src0_sel:WORD_0 src1_sel:DWORD
	v_cndmask_b32_e32 v5, v5, v7, vcc
; %bb.105:                              ;   in Loop: Header=BB145_43 Depth=1
	s_or_b64 exec, exec, s[8:9]
	v_and_b32_e32 v6, 0xffff0000, v6
	v_lshlrev_b32_e32 v7, 16, v23
	v_mul_f32_e32 v6, v6, v7
	v_and_b32_e32 v7, 0x7f800000, v6
	v_cmp_ne_u32_e32 vcc, s10, v7
                                        ; implicit-def: $vgpr7
	s_and_saveexec_b64 s[8:9], vcc
	s_xor_b64 s[8:9], exec, s[8:9]
; %bb.106:                              ;   in Loop: Header=BB145_43 Depth=1
	v_bfe_u32 v7, v6, 16, 1
	v_add3_u32 v7, v6, v7, s11
                                        ; implicit-def: $vgpr6
; %bb.107:                              ;   in Loop: Header=BB145_43 Depth=1
	s_andn2_saveexec_b64 s[8:9], s[8:9]
	s_cbranch_execz .LBB145_42
; %bb.108:                              ;   in Loop: Header=BB145_43 Depth=1
	v_or_b32_e32 v7, 0x10000, v6
	v_cmp_eq_u32_sdwa vcc, v6, v15 src0_sel:WORD_0 src1_sel:DWORD
	v_cndmask_b32_e32 v7, v7, v6, vcc
	s_branch .LBB145_42
.LBB145_109:
	s_or_b64 exec, exec, s[2:3]
.LBB145_110:
	s_or_b64 exec, exec, s[6:7]
	v_and_b32_e32 v0, 0x3c0, v0
	v_cmp_eq_u32_e32 vcc, 64, v0
	s_barrier
	s_and_saveexec_b64 s[2:3], vcc
	s_cbranch_execz .LBB145_112
; %bb.111:
	v_mov_b32_e32 v0, 0x90
	v_lshl_add_u32 v0, v1, 2, v0
	ds_write_b32 v0, v14
.LBB145_112:
	s_or_b64 exec, exec, s[2:3]
	s_waitcnt lgkmcnt(0)
	s_barrier
	s_and_saveexec_b64 s[2:3], s[0:1]
	s_cbranch_execz .LBB145_114
; %bb.113:
	v_mov_b32_e32 v0, 0x90
	v_lshl_add_u32 v0, v1, 2, v0
	ds_read_b32 v0, v0
	s_waitcnt lgkmcnt(0)
	v_add_f32_e32 v14, v14, v0
.LBB145_114:
	s_or_b64 exec, exec, s[2:3]
	s_barrier
	s_and_saveexec_b64 s[2:3], s[0:1]
	s_cbranch_execz .LBB145_120
; %bb.115:
	s_mov_b32 s0, 0x7f800000
	v_and_b32_e32 v0, 0x7f800000, v14
	v_cmp_ne_u32_e32 vcc, s0, v0
                                        ; implicit-def: $vgpr0
	s_and_saveexec_b64 s[0:1], vcc
	s_xor_b64 s[0:1], exec, s[0:1]
; %bb.116:
	v_bfe_u32 v0, v14, 16, 1
	s_movk_i32 s2, 0x7fff
	v_add3_u32 v0, v14, v0, s2
                                        ; implicit-def: $vgpr14
; %bb.117:
	s_andn2_saveexec_b64 s[0:1], s[0:1]
; %bb.118:
	v_mov_b32_e32 v0, 0
	v_or_b32_e32 v2, 0x10000, v14
	v_cmp_eq_u32_sdwa vcc, v14, v0 src0_sel:WORD_0 src1_sel:DWORD
	v_cndmask_b32_e32 v0, v2, v14, vcc
; %bb.119:
	s_or_b64 exec, exec, s[0:1]
	s_lshl_b32 s0, s4, 6
	s_ashr_i32 s1, s0, 31
	s_lshl_b64 s[0:1], s[0:1], 1
	s_add_u32 s2, s24, s0
	s_mul_i32 s0, s15, s14
	s_addc_u32 s3, s25, s1
	s_ashr_i32 s1, s0, 31
	s_lshl_b64 s[0:1], s[0:1], 1
	s_add_u32 s2, s2, s0
	s_addc_u32 s3, s3, s1
	s_ashr_i32 s17, s16, 31
	s_lshl_b64 s[0:1], s[16:17], 1
	s_add_u32 s0, s2, s0
	s_addc_u32 s1, s3, s1
	v_lshlrev_b32_e32 v1, 1, v1
	global_store_short_d16_hi v1, v0, s[0:1]
.LBB145_120:
	s_endpgm
	.section	.rodata,"a",@progbits
	.p2align	6, 0x0
	.amdhsa_kernel _ZN4vllm25paged_attention_v2_kernelI14__hip_bfloat16S1_Li64ELi8ELi128ELNS_18Fp8KVCacheDataTypeE0ELb0ELi512EEEvPfS3_PT_PKS4_PKT0_SA_ifPKiSC_iPKfiiiSE_SE_iiiii
		.amdhsa_group_segment_fixed_size 144
		.amdhsa_private_segment_fixed_size 0
		.amdhsa_kernarg_size 400
		.amdhsa_user_sgpr_count 6
		.amdhsa_user_sgpr_private_segment_buffer 1
		.amdhsa_user_sgpr_dispatch_ptr 0
		.amdhsa_user_sgpr_queue_ptr 0
		.amdhsa_user_sgpr_kernarg_segment_ptr 1
		.amdhsa_user_sgpr_dispatch_id 0
		.amdhsa_user_sgpr_flat_scratch_init 0
		.amdhsa_user_sgpr_kernarg_preload_length 0
		.amdhsa_user_sgpr_kernarg_preload_offset 0
		.amdhsa_user_sgpr_private_segment_size 0
		.amdhsa_uses_dynamic_stack 0
		.amdhsa_system_sgpr_private_segment_wavefront_offset 0
		.amdhsa_system_sgpr_workgroup_id_x 1
		.amdhsa_system_sgpr_workgroup_id_y 1
		.amdhsa_system_sgpr_workgroup_id_z 1
		.amdhsa_system_sgpr_workgroup_info 0
		.amdhsa_system_vgpr_workitem_id 0
		.amdhsa_next_free_vgpr 36
		.amdhsa_next_free_sgpr 44
		.amdhsa_accum_offset 36
		.amdhsa_reserve_vcc 1
		.amdhsa_reserve_flat_scratch 0
		.amdhsa_float_round_mode_32 0
		.amdhsa_float_round_mode_16_64 0
		.amdhsa_float_denorm_mode_32 3
		.amdhsa_float_denorm_mode_16_64 3
		.amdhsa_dx10_clamp 1
		.amdhsa_ieee_mode 1
		.amdhsa_fp16_overflow 0
		.amdhsa_tg_split 0
		.amdhsa_exception_fp_ieee_invalid_op 0
		.amdhsa_exception_fp_denorm_src 0
		.amdhsa_exception_fp_ieee_div_zero 0
		.amdhsa_exception_fp_ieee_overflow 0
		.amdhsa_exception_fp_ieee_underflow 0
		.amdhsa_exception_fp_ieee_inexact 0
		.amdhsa_exception_int_div_zero 0
	.end_amdhsa_kernel
	.section	.text._ZN4vllm25paged_attention_v2_kernelI14__hip_bfloat16S1_Li64ELi8ELi128ELNS_18Fp8KVCacheDataTypeE0ELb0ELi512EEEvPfS3_PT_PKS4_PKT0_SA_ifPKiSC_iPKfiiiSE_SE_iiiii,"axG",@progbits,_ZN4vllm25paged_attention_v2_kernelI14__hip_bfloat16S1_Li64ELi8ELi128ELNS_18Fp8KVCacheDataTypeE0ELb0ELi512EEEvPfS3_PT_PKS4_PKT0_SA_ifPKiSC_iPKfiiiSE_SE_iiiii,comdat
.Lfunc_end145:
	.size	_ZN4vllm25paged_attention_v2_kernelI14__hip_bfloat16S1_Li64ELi8ELi128ELNS_18Fp8KVCacheDataTypeE0ELb0ELi512EEEvPfS3_PT_PKS4_PKT0_SA_ifPKiSC_iPKfiiiSE_SE_iiiii, .Lfunc_end145-_ZN4vllm25paged_attention_v2_kernelI14__hip_bfloat16S1_Li64ELi8ELi128ELNS_18Fp8KVCacheDataTypeE0ELb0ELi512EEEvPfS3_PT_PKS4_PKT0_SA_ifPKiSC_iPKfiiiSE_SE_iiiii
                                        ; -- End function
	.section	.AMDGPU.csdata,"",@progbits
; Kernel info:
; codeLenInByte = 4700
; NumSgprs: 48
; NumVgprs: 36
; NumAgprs: 0
; TotalNumVgprs: 36
; ScratchSize: 0
; MemoryBound: 0
; FloatMode: 240
; IeeeMode: 1
; LDSByteSize: 144 bytes/workgroup (compile time only)
; SGPRBlocks: 5
; VGPRBlocks: 4
; NumSGPRsForWavesPerEU: 48
; NumVGPRsForWavesPerEU: 36
; AccumOffset: 36
; Occupancy: 8
; WaveLimiterHint : 1
; COMPUTE_PGM_RSRC2:SCRATCH_EN: 0
; COMPUTE_PGM_RSRC2:USER_SGPR: 6
; COMPUTE_PGM_RSRC2:TRAP_HANDLER: 0
; COMPUTE_PGM_RSRC2:TGID_X_EN: 1
; COMPUTE_PGM_RSRC2:TGID_Y_EN: 1
; COMPUTE_PGM_RSRC2:TGID_Z_EN: 1
; COMPUTE_PGM_RSRC2:TIDIG_COMP_CNT: 0
; COMPUTE_PGM_RSRC3_GFX90A:ACCUM_OFFSET: 8
; COMPUTE_PGM_RSRC3_GFX90A:TG_SPLIT: 0
	.section	.text._ZN4vllm25paged_attention_v2_kernelI14__hip_bfloat16S1_Li80ELi8ELi128ELNS_18Fp8KVCacheDataTypeE0ELb0ELi512EEEvPfS3_PT_PKS4_PKT0_SA_ifPKiSC_iPKfiiiSE_SE_iiiii,"axG",@progbits,_ZN4vllm25paged_attention_v2_kernelI14__hip_bfloat16S1_Li80ELi8ELi128ELNS_18Fp8KVCacheDataTypeE0ELb0ELi512EEEvPfS3_PT_PKS4_PKT0_SA_ifPKiSC_iPKfiiiSE_SE_iiiii,comdat
	.protected	_ZN4vllm25paged_attention_v2_kernelI14__hip_bfloat16S1_Li80ELi8ELi128ELNS_18Fp8KVCacheDataTypeE0ELb0ELi512EEEvPfS3_PT_PKS4_PKT0_SA_ifPKiSC_iPKfiiiSE_SE_iiiii ; -- Begin function _ZN4vllm25paged_attention_v2_kernelI14__hip_bfloat16S1_Li80ELi8ELi128ELNS_18Fp8KVCacheDataTypeE0ELb0ELi512EEEvPfS3_PT_PKS4_PKT0_SA_ifPKiSC_iPKfiiiSE_SE_iiiii
	.globl	_ZN4vllm25paged_attention_v2_kernelI14__hip_bfloat16S1_Li80ELi8ELi128ELNS_18Fp8KVCacheDataTypeE0ELb0ELi512EEEvPfS3_PT_PKS4_PKT0_SA_ifPKiSC_iPKfiiiSE_SE_iiiii
	.p2align	8
	.type	_ZN4vllm25paged_attention_v2_kernelI14__hip_bfloat16S1_Li80ELi8ELi128ELNS_18Fp8KVCacheDataTypeE0ELb0ELi512EEEvPfS3_PT_PKS4_PKT0_SA_ifPKiSC_iPKfiiiSE_SE_iiiii,@function
_ZN4vllm25paged_attention_v2_kernelI14__hip_bfloat16S1_Li80ELi8ELi128ELNS_18Fp8KVCacheDataTypeE0ELb0ELi512EEEvPfS3_PT_PKS4_PKT0_SA_ifPKiSC_iPKfiiiSE_SE_iiiii: ; @_ZN4vllm25paged_attention_v2_kernelI14__hip_bfloat16S1_Li80ELi8ELi128ELNS_18Fp8KVCacheDataTypeE0ELb0ELi512EEEvPfS3_PT_PKS4_PKT0_SA_ifPKiSC_iPKfiiiSE_SE_iiiii
; %bb.0:
	s_load_dwordx2 s[0:1], s[4:5], 0x40
	s_mov_b32 s26, s7
	s_ashr_i32 s27, s7, 31
	s_lshl_b64 s[2:3], s[26:27], 2
	s_waitcnt lgkmcnt(0)
	s_add_u32 s0, s0, s2
	s_addc_u32 s1, s1, s3
	s_load_dword s27, s[0:1], 0x0
	s_lshl_b32 s42, s8, 9
	s_waitcnt lgkmcnt(0)
	s_cmp_ge_i32 s42, s27
	s_cbranch_scc1 .LBB146_164
; %bb.1:
	s_load_dword s9, s[4:5], 0x90
	s_load_dwordx2 s[12:13], s[4:5], 0x30
	s_waitcnt lgkmcnt(0)
	s_abs_i32 s2, s9
	s_abs_i32 s0, s12
	v_cvt_f32_u32_e32 v1, s0
	s_sub_i32 s3, 0, s0
	s_xor_b32 s1, s9, s12
	s_ashr_i32 s1, s1, 31
	v_rcp_iflag_f32_e32 v1, v1
	s_mov_b32 s12, 0
	v_mul_f32_e32 v1, 0x4f7ffffe, v1
	v_cvt_u32_f32_e32 v1, v1
	v_readfirstlane_b32 s7, v1
	s_mul_i32 s3, s3, s7
	s_mul_hi_u32 s3, s7, s3
	s_add_i32 s7, s7, s3
	s_mul_hi_u32 s3, s2, s7
	s_mul_i32 s7, s3, s0
	s_sub_i32 s2, s2, s7
	s_add_i32 s10, s3, 1
	s_sub_i32 s7, s2, s0
	s_cmp_ge_u32 s2, s0
	s_cselect_b32 s3, s10, s3
	s_cselect_b32 s2, s7, s2
	s_add_i32 s7, s3, 1
	s_cmp_ge_u32 s2, s0
	s_cselect_b32 s0, s7, s3
	s_xor_b32 s0, s0, s1
	s_sub_i32 s2, s0, s1
	s_abs_i32 s10, s2
	v_cvt_f32_u32_e32 v1, s10
	s_load_dwordx2 s[0:1], s[4:5], 0x50
	s_sub_i32 s3, 0, s10
	s_abs_i32 s11, s6
	v_rcp_iflag_f32_e32 v1, v1
	v_mul_f32_e32 v1, 0x4f7ffffe, v1
	v_cvt_u32_f32_e32 v1, v1
	v_readfirstlane_b32 s7, v1
	s_mul_i32 s3, s3, s7
	s_mul_hi_u32 s3, s7, s3
	s_add_i32 s7, s7, s3
	s_waitcnt lgkmcnt(0)
	s_cmp_eq_u64 s[0:1], 0
	s_mul_hi_u32 s20, s11, s7
	s_cbranch_scc1 .LBB146_3
; %bb.2:
	s_ashr_i32 s7, s6, 31
	s_lshl_b64 s[14:15], s[6:7], 2
	s_add_u32 s0, s0, s14
	s_addc_u32 s1, s1, s15
	s_load_dword s12, s[0:1], 0x0
.LBB146_3:
	s_load_dwordx4 s[16:19], s[4:5], 0x58
	s_movk_i32 s0, 0x50
	s_ashr_i32 s21, s6, 31
	s_ashr_i32 s22, s2, 31
	v_and_b32_e32 v2, 7, v0
	s_mul_i32 s14, s6, 0x50
	v_cmp_gt_u32_e64 s[0:1], s0, v0
	v_lshlrev_b32_e32 v1, 1, v0
	s_and_saveexec_b64 s[2:3], s[0:1]
	s_cbranch_execz .LBB146_5
; %bb.4:
	s_load_dwordx2 s[24:25], s[4:5], 0x18
	s_waitcnt lgkmcnt(0)
	s_mul_i32 s28, s26, s16
	s_ashr_i32 s29, s28, 31
	s_lshl_b64 s[28:29], s[28:29], 1
	v_lshrrev_b32_e32 v4, 2, v0
	s_add_u32 s7, s24, s28
	s_addc_u32 s16, s25, s29
	s_ashr_i32 s15, s14, 31
	s_lshl_b64 s[24:25], s[14:15], 1
	s_add_u32 s24, s7, s24
	s_addc_u32 s25, s16, s25
	global_load_ushort v3, v1, s[24:25]
	v_and_b32_e32 v4, 0xfe, v4
	v_mad_u32_u24 v4, v2, 20, v4
	s_waitcnt vmcnt(0)
	ds_write_b16 v4, v3
.LBB146_5:
	s_or_b64 exec, exec, s[2:3]
	s_add_i32 s2, s27, 7
	s_ashr_i32 s3, s2, 31
	s_lshr_b32 s3, s3, 29
	s_add_i32 s2, s2, s3
	s_lshl_b32 s7, s8, 6
	s_mul_i32 s3, s20, s10
	s_waitcnt lgkmcnt(0)
	s_ashr_i32 s16, s2, 3
	s_add_i32 s2, s7, 64
	s_sub_i32 s3, s11, s3
	s_min_i32 s33, s2, s16
	s_xor_b32 s2, s21, s22
	s_add_i32 s11, s20, 1
	s_sub_i32 s15, s3, s10
	s_cmp_ge_u32 s3, s10
	s_cselect_b32 s11, s11, s20
	s_cselect_b32 s3, s15, s3
	s_add_i32 s15, s11, 1
	s_cmp_ge_u32 s3, s10
	s_load_dwordx2 s[28:29], s[4:5], 0x38
	s_load_dword s10, s[4:5], 0x48
	v_lshrrev_b32_e32 v4, 6, v0
	s_cselect_b32 s3, s15, s11
	s_xor_b32 s3, s3, s2
	v_or_b32_e32 v10, s7, v4
	s_waitcnt lgkmcnt(0)
	s_mul_i32 s30, s26, s10
	s_sub_i32 s19, s3, s2
	s_ashr_i32 s31, s30, 31
	v_cmp_gt_i32_e64 s[2:3], s33, v10
	v_cmp_le_i32_e32 vcc, s33, v10
	v_mbcnt_lo_u32_b32 v3, -1, 0
	s_barrier
	s_waitcnt lgkmcnt(0)
                                        ; implicit-def: $sgpr38
                                        ; implicit-def: $vgpr7
                                        ; implicit-def: $vgpr8
	s_and_saveexec_b64 s[10:11], vcc
	s_xor_b64 s[10:11], exec, s[10:11]
; %bb.6:
	v_mbcnt_hi_u32_b32 v7, -1, v3
	v_and_b32_e32 v2, 64, v7
	v_add_u32_e32 v8, 64, v2
	s_mov_b32 s38, 0xff7fffff
                                        ; implicit-def: $vgpr2
                                        ; implicit-def: $vgpr3
; %bb.7:
	s_or_saveexec_b64 s[36:37], s[10:11]
	s_load_dwordx4 s[20:23], s[4:5], 0x0
	s_load_dwordx2 s[24:25], s[4:5], 0x10
	s_load_dwordx2 s[34:35], s[4:5], 0x28
	s_load_dword s15, s[4:5], 0x98
	v_mov_b32_e32 v22, s38
	s_mul_i32 s18, s19, s18
	v_ashrrev_i32_e32 v11, 31, v10
	v_lshlrev_b32_e32 v5, 3, v4
	s_xor_b64 exec, exec, s[36:37]
	s_cbranch_execz .LBB146_13
; %bb.8:
	s_load_dwordx2 s[4:5], s[4:5], 0x20
	s_ashr_i32 s19, s18, 31
	s_lshl_b64 s[10:11], s[18:19], 1
	v_bfe_u32 v22, v0, 3, 3
	v_lshlrev_b32_e32 v6, 4, v22
	s_waitcnt lgkmcnt(0)
	s_add_u32 s4, s4, s10
	s_addc_u32 s5, s5, s11
	v_mov_b32_e32 v7, s5
	v_add_co_u32_e32 v6, vcc, s4, v6
	v_addc_co_u32_e32 v7, vcc, 0, v7, vcc
	v_lshlrev_b32_e32 v8, 1, v2
	v_mul_u32_u24_e32 v12, 20, v2
	v_add_co_u32_e32 v6, vcc, v6, v8
	ds_read2_b32 v[14:15], v12 offset1:1
	v_addc_co_u32_e32 v9, vcc, 0, v7, vcc
	ds_read2_b32 v[18:19], v12 offset0:2 offset1:3
	ds_read_b32 v7, v12 offset:16
	s_sub_i32 s19, 1, s27
	s_lshl_b64 s[10:11], s[30:31], 2
	s_add_u32 s10, s28, s10
	s_addc_u32 s11, s29, s11
	s_waitcnt lgkmcnt(0)
	v_lshlrev_b32_e32 v20, 16, v7
	v_and_b32_e32 v21, 0xffff0000, v7
	v_mbcnt_hi_u32_b32 v7, -1, v3
	v_and_b32_e32 v3, 64, v7
	v_add_u32_e32 v8, 64, v3
	v_xor_b32_e32 v3, 4, v7
	v_cmp_lt_i32_e32 vcc, v3, v8
	v_cndmask_b32_e32 v3, v7, v3, vcc
	v_lshlrev_b32_e32 v23, 2, v3
	v_xor_b32_e32 v3, 2, v7
	v_cmp_lt_i32_e32 vcc, v3, v8
	v_cndmask_b32_e32 v3, v7, v3, vcc
	v_lshlrev_b32_e32 v24, 2, v3
	v_xor_b32_e32 v3, 1, v7
	v_cmp_lt_i32_e32 vcc, v3, v8
	v_cndmask_b32_e32 v3, v7, v3, vcc
	v_cmp_eq_u32_e32 vcc, 0, v2
	v_lshlrev_b32_e32 v2, 2, v22
	v_lshl_or_b32 v2, v4, 5, v2
	v_lshlrev_b32_e32 v25, 2, v3
	v_add_u32_e32 v27, 0xb0, v2
	v_lshlrev_b64 v[2:3], 2, v[10:11]
	v_add3_u32 v26, s42, v5, v22
	v_mov_b32_e32 v22, s11
	v_add_co_u32_e64 v2, s[10:11], s10, v2
	s_mov_b32 s43, s17
	v_lshlrev_b32_e32 v12, 16, v14
	v_and_b32_e32 v13, 0xffff0000, v14
	v_lshlrev_b32_e32 v14, 16, v15
	v_and_b32_e32 v15, 0xffff0000, v15
	;; [unrolled: 2-line block ×4, first 2 shown]
	v_cmp_neq_f32_e64 s[4:5], s12, 0
	v_addc_co_u32_e64 v3, s[10:11], v22, v3, s[10:11]
	s_mov_b64 s[38:39], 0
	v_mov_b32_e32 v22, 0xff7fffff
	v_mov_b32_e32 v28, v10
	s_branch .LBB146_10
.LBB146_9:                              ;   in Loop: Header=BB146_10 Depth=1
	s_or_b64 exec, exec, s[40:41]
	v_add_u32_e32 v28, 2, v28
	v_cmp_le_i32_e64 s[10:11], s33, v28
	s_or_b64 s[38:39], s[10:11], s[38:39]
	v_add_co_u32_e64 v2, s[10:11], 8, v2
	v_add_u32_e32 v26, 16, v26
	v_add_u32_e32 v27, 64, v27
	v_addc_co_u32_e64 v3, s[10:11], 0, v3, s[10:11]
	s_andn2_b64 exec, exec, s[38:39]
	s_cbranch_execz .LBB146_12
.LBB146_10:                             ; =>This Inner Loop Header: Depth=1
	global_load_dword v29, v[2:3], off
	s_waitcnt vmcnt(0) lgkmcnt(0)
	v_mad_i64_i32 v[30:31], s[10:11], v29, s43, 0
	v_lshlrev_b64 v[30:31], 1, v[30:31]
	v_add_co_u32_e64 v30, s[10:11], v6, v30
	v_addc_co_u32_e64 v31, s[10:11], v9, v31, s[10:11]
	global_load_ushort v29, v[30:31], off
	global_load_ushort v32, v[30:31], off offset:128
	global_load_ushort v33, v[30:31], off offset:256
	;; [unrolled: 1-line block ×9, first 2 shown]
	s_waitcnt vmcnt(9)
	v_lshlrev_b32_e32 v29, 16, v29
	s_waitcnt vmcnt(8)
	v_lshlrev_b32_e32 v30, 16, v32
	v_mul_f32_e32 v30, v13, v30
	s_waitcnt vmcnt(7)
	v_lshlrev_b32_e32 v31, 16, v33
	v_fmac_f32_e32 v30, v12, v29
	s_waitcnt vmcnt(6)
	v_lshlrev_b32_e32 v32, 16, v34
	v_fmac_f32_e32 v30, v14, v31
	;; [unrolled: 3-line block ×7, first 2 shown]
	v_fmac_f32_e32 v30, v20, v37
	s_waitcnt vmcnt(0)
	v_lshlrev_b32_e32 v29, 16, v40
	v_fmac_f32_e32 v30, v21, v29
	ds_bpermute_b32 v29, v23, v30
	s_waitcnt lgkmcnt(0)
	v_add_f32_e32 v29, v30, v29
	ds_bpermute_b32 v30, v24, v29
	s_waitcnt lgkmcnt(0)
	v_add_f32_e32 v29, v29, v30
	ds_bpermute_b32 v30, v25, v29
	s_and_saveexec_b64 s[40:41], vcc
	s_cbranch_execz .LBB146_9
; %bb.11:                               ;   in Loop: Header=BB146_10 Depth=1
	v_add_u32_e32 v31, s19, v26
	v_cvt_f32_i32_e32 v31, v31
	s_waitcnt lgkmcnt(0)
	v_add_f32_e32 v29, v29, v30
	v_cmp_gt_i32_e64 s[10:11], s27, v26
	v_max_f32_e32 v30, v22, v22
	v_mul_f32_e32 v31, s12, v31
	v_cndmask_b32_e64 v31, 0, v31, s[4:5]
	v_fmac_f32_e32 v31, s13, v29
	v_cndmask_b32_e64 v29, 0, v31, s[10:11]
	ds_write_b32 v27, v29
	v_max_f32_e32 v29, v30, v31
	v_cndmask_b32_e64 v22, v22, v29, s[10:11]
	s_branch .LBB146_9
.LBB146_12:
	s_or_b64 exec, exec, s[38:39]
.LBB146_13:
	s_or_b64 exec, exec, s[36:37]
	v_xor_b32_e32 v2, 32, v7
	v_cmp_lt_i32_e32 vcc, v2, v8
	v_cndmask_b32_e32 v2, v7, v2, vcc
	v_lshlrev_b32_e32 v3, 2, v2
	ds_bpermute_b32 v2, v3, v22
	v_xor_b32_e32 v9, 16, v7
	v_max_f32_e32 v6, v22, v22
	v_cmp_lt_i32_e32 vcc, v9, v8
	v_and_b32_e32 v16, 63, v0
	s_waitcnt lgkmcnt(0)
	v_max_f32_e32 v2, v2, v2
	v_max_f32_e32 v2, v6, v2
	v_cndmask_b32_e32 v6, v7, v9, vcc
	v_lshlrev_b32_e32 v12, 2, v6
	ds_bpermute_b32 v6, v12, v2
	v_xor_b32_e32 v9, 8, v7
	v_cmp_lt_i32_e32 vcc, v9, v8
	s_waitcnt lgkmcnt(0)
	v_max_f32_e32 v6, v6, v6
	v_max_f32_e32 v6, v2, v6
	v_cndmask_b32_e32 v2, v7, v9, vcc
	v_lshlrev_b32_e32 v13, 2, v2
	ds_bpermute_b32 v9, v13, v6
	v_cmp_eq_u32_e32 vcc, 0, v16
	v_lshlrev_b32_e32 v2, 2, v4
	s_and_saveexec_b64 s[4:5], vcc
	s_cbranch_execz .LBB146_15
; %bb.14:
	s_waitcnt lgkmcnt(0)
	v_max_f32_e32 v9, v9, v9
	v_max_f32_e32 v6, v6, v6
	;; [unrolled: 1-line block ×3, first 2 shown]
	ds_write_b32 v2, v6 offset:160
.LBB146_15:
	s_or_b64 exec, exec, s[4:5]
	v_cmp_gt_u32_e64 s[4:5], 2, v16
	v_mov_b32_e32 v6, 0xff7fffff
	s_waitcnt lgkmcnt(0)
	v_lshlrev_b32_e32 v9, 2, v16
	s_barrier
	s_and_saveexec_b64 s[10:11], s[4:5]
	s_cbranch_execz .LBB146_17
; %bb.16:
	ds_read_b32 v6, v9 offset:160
.LBB146_17:
	s_or_b64 exec, exec, s[10:11]
	v_xor_b32_e32 v14, 1, v7
	v_cmp_lt_i32_e64 s[10:11], v14, v8
	v_cndmask_b32_e64 v14, v7, v14, s[10:11]
	v_lshlrev_b32_e32 v14, 2, v14
	s_waitcnt lgkmcnt(0)
	ds_bpermute_b32 v15, v14, v6
	v_max_f32_e32 v6, v6, v6
	s_sub_i32 s7, s33, s7
	s_lshl_b32 s7, s7, 3
	s_add_i32 s7, s7, s42
	s_waitcnt lgkmcnt(0)
	v_max_f32_e32 v15, v15, v15
	v_max_f32_e32 v6, v6, v15
	v_lshlrev_b32_e32 v15, 2, v7
	v_and_b32_e32 v15, 0xffffff00, v15
	ds_bpermute_b32 v6, v15, v6
	s_min_i32 s19, s7, s27
	s_sub_i32 s7, s19, s42
	v_cmp_gt_i32_e64 s[10:11], s7, v0
	v_mov_b32_e32 v17, 0
	s_and_saveexec_b64 s[36:37], s[10:11]
	s_cbranch_execz .LBB146_21
; %bb.18:
	v_mov_b32_e32 v17, 0xb0
	v_lshl_add_u32 v18, v0, 2, v17
	s_mov_b64 s[38:39], 0
	v_mov_b32_e32 v17, 0
	v_mov_b32_e32 v19, v0
.LBB146_19:                             ; =>This Inner Loop Header: Depth=1
	ds_read_b32 v20, v18
	v_add_u32_e32 v19, 0x80, v19
	v_cmp_le_i32_e64 s[12:13], s7, v19
	s_or_b64 s[38:39], s[12:13], s[38:39]
	s_waitcnt lgkmcnt(0)
	v_sub_f32_e32 v20, v20, v6
	v_mul_f32_e32 v20, 0x3fb8aa3b, v20
	v_exp_f32_e32 v20, v20
	ds_write_b32 v18, v20
	v_add_f32_e32 v17, v17, v20
	v_add_u32_e32 v18, 0x200, v18
	s_andn2_b64 exec, exec, s[38:39]
	s_cbranch_execnz .LBB146_19
; %bb.20:
	s_or_b64 exec, exec, s[38:39]
.LBB146_21:
	s_or_b64 exec, exec, s[36:37]
	ds_bpermute_b32 v3, v3, v17
	s_waitcnt lgkmcnt(0)
	v_add_f32_e32 v3, v17, v3
	ds_bpermute_b32 v12, v12, v3
	s_waitcnt lgkmcnt(0)
	v_add_f32_e32 v3, v3, v12
	ds_bpermute_b32 v12, v13, v3
	v_xor_b32_e32 v13, 4, v7
	v_cmp_lt_i32_e64 s[12:13], v13, v8
	v_cndmask_b32_e64 v13, v7, v13, s[12:13]
	v_lshlrev_b32_e32 v13, 2, v13
	s_waitcnt lgkmcnt(0)
	v_add_f32_e32 v3, v3, v12
	ds_bpermute_b32 v12, v13, v3
	v_xor_b32_e32 v13, 2, v7
	v_cmp_lt_i32_e64 s[12:13], v13, v8
	v_cndmask_b32_e64 v7, v7, v13, s[12:13]
	v_lshlrev_b32_e32 v7, 2, v7
	s_waitcnt lgkmcnt(0)
	v_add_f32_e32 v3, v3, v12
	ds_bpermute_b32 v7, v7, v3
	s_waitcnt lgkmcnt(0)
	v_add_f32_e32 v3, v3, v7
	ds_bpermute_b32 v7, v14, v3
	s_waitcnt lgkmcnt(0)
	v_add_f32_e32 v3, v3, v7
	s_and_saveexec_b64 s[12:13], vcc
	s_cbranch_execz .LBB146_23
; %bb.22:
	ds_write_b32 v2, v3 offset:168
.LBB146_23:
	s_or_b64 exec, exec, s[12:13]
	s_waitcnt lgkmcnt(0)
	s_barrier
	s_and_saveexec_b64 s[12:13], s[4:5]
	s_cbranch_execz .LBB146_25
; %bb.24:
	ds_read_b32 v3, v9 offset:168
.LBB146_25:
	s_or_b64 exec, exec, s[12:13]
	s_waitcnt lgkmcnt(0)
	ds_bpermute_b32 v2, v14, v3
	s_waitcnt lgkmcnt(0)
	v_add_f32_e32 v2, v3, v2
	ds_bpermute_b32 v7, v15, v2
	s_and_saveexec_b64 s[4:5], s[10:11]
	s_cbranch_execz .LBB146_38
; %bb.26:
	s_waitcnt lgkmcnt(0)
	v_add_f32_e32 v2, 0x358637bd, v7
	v_div_scale_f32 v3, s[10:11], v2, v2, 1.0
	v_rcp_f32_e32 v8, v3
	v_div_scale_f32 v9, vcc, 1.0, v2, 1.0
	s_movk_i32 s10, 0x7f
	v_fma_f32 v12, -v3, v8, 1.0
	v_fmac_f32_e32 v8, v12, v8
	v_mul_f32_e32 v12, v9, v8
	v_fma_f32 v13, -v3, v12, v9
	v_fmac_f32_e32 v12, v13, v8
	v_fma_f32 v3, -v3, v12, v9
	v_div_fmas_f32 v3, v3, v8, v12
	v_div_fixup_f32 v2, v3, v2, 1.0
	v_xad_u32 v3, v0, -1, s19
	v_subrev_u32_e32 v8, s42, v3
	v_cmp_lt_u32_e32 vcc, s10, v8
	s_mov_b64 s[12:13], -1
	v_mov_b32_e32 v3, v0
	s_and_saveexec_b64 s[10:11], vcc
	s_cbranch_execz .LBB146_35
; %bb.27:
	v_lshrrev_b32_e32 v8, 7, v8
	v_add_u32_e32 v12, -1, v8
	v_lshrrev_b32_e32 v9, 1, v12
	v_mov_b32_e32 v3, v2
	v_add_u32_e32 v9, 1, v9
	v_cmp_lt_u32_e32 vcc, 13, v12
	v_mov_b32_e32 v14, 0
	s_and_saveexec_b64 s[12:13], vcc
	s_cbranch_execz .LBB146_31
; %bb.28:
	v_mov_b32_e32 v13, 0xb0
	v_and_b32_e32 v12, -8, v9
	v_lshl_add_u32 v13, v0, 2, v13
	s_mov_b32 s19, 0
	s_mov_b64 s[36:37], 0
.LBB146_29:                             ; =>This Inner Loop Header: Depth=1
	ds_read2st64_b32 v[14:15], v13 offset1:2
	ds_read2st64_b32 v[18:19], v13 offset0:4 offset1:6
	ds_read2st64_b32 v[20:21], v13 offset0:8 offset1:10
	;; [unrolled: 1-line block ×3, first 2 shown]
	v_add_u32_e32 v12, -8, v12
	s_waitcnt lgkmcnt(3)
	v_pk_mul_f32 v[14:15], v[2:3], v[14:15]
	s_waitcnt lgkmcnt(2)
	v_pk_mul_f32 v[18:19], v[2:3], v[18:19]
	ds_write2st64_b32 v13, v14, v15 offset1:2
	ds_write2st64_b32 v13, v18, v19 offset0:4 offset1:6
	ds_read2st64_b32 v[18:19], v13 offset0:16 offset1:18
	s_waitcnt lgkmcnt(4)
	v_pk_mul_f32 v[14:15], v[2:3], v[20:21]
	ds_write2st64_b32 v13, v14, v15 offset0:8 offset1:10
	s_waitcnt lgkmcnt(4)
	v_pk_mul_f32 v[14:15], v[2:3], v[22:23]
	ds_write2st64_b32 v13, v14, v15 offset0:12 offset1:14
	ds_read2st64_b32 v[14:15], v13 offset0:20 offset1:22
	s_waitcnt lgkmcnt(3)
	v_pk_mul_f32 v[18:19], v[2:3], v[18:19]
	ds_read2st64_b32 v[20:21], v13 offset0:24 offset1:26
	ds_write2st64_b32 v13, v18, v19 offset0:16 offset1:18
	ds_read2st64_b32 v[18:19], v13 offset0:28 offset1:30
	s_waitcnt lgkmcnt(3)
	v_pk_mul_f32 v[14:15], v[2:3], v[14:15]
	ds_write2st64_b32 v13, v14, v15 offset0:20 offset1:22
	s_waitcnt lgkmcnt(3)
	v_pk_mul_f32 v[14:15], v[2:3], v[20:21]
	ds_write2st64_b32 v13, v14, v15 offset0:24 offset1:26
	s_waitcnt lgkmcnt(2)
	v_pk_mul_f32 v[14:15], v[2:3], v[18:19]
	s_add_i32 s19, s19, 16
	v_cmp_eq_u32_e32 vcc, 0, v12
	ds_write2st64_b32 v13, v14, v15 offset0:28 offset1:30
	v_add_u32_e32 v13, 0x2000, v13
	s_or_b64 s[36:37], vcc, s[36:37]
	v_mov_b32_e32 v14, s19
	s_andn2_b64 exec, exec, s[36:37]
	s_cbranch_execnz .LBB146_29
; %bb.30:
	s_or_b64 exec, exec, s[36:37]
.LBB146_31:
	s_or_b64 exec, exec, s[12:13]
	v_and_b32_e32 v9, 7, v9
	v_cmp_ne_u32_e32 vcc, 0, v9
	s_and_saveexec_b64 s[12:13], vcc
	s_cbranch_execz .LBB146_34
; %bb.32:
	v_lshlrev_b32_e32 v12, 9, v14
	v_lshlrev_b32_e32 v13, 2, v0
	s_movk_i32 s19, 0xb0
	v_add3_u32 v12, v12, v13, s19
	s_mov_b64 s[36:37], 0
.LBB146_33:                             ; =>This Inner Loop Header: Depth=1
	ds_read2st64_b32 v[14:15], v12 offset1:2
	v_add_u32_e32 v9, -1, v9
	v_cmp_eq_u32_e32 vcc, 0, v9
	s_or_b64 s[36:37], vcc, s[36:37]
	s_waitcnt lgkmcnt(0)
	v_pk_mul_f32 v[14:15], v[2:3], v[14:15]
	ds_write2st64_b32 v12, v14, v15 offset1:2
	v_add_u32_e32 v12, 0x400, v12
	s_andn2_b64 exec, exec, s[36:37]
	s_cbranch_execnz .LBB146_33
.LBB146_34:
	s_or_b64 exec, exec, s[12:13]
	v_add_u32_e32 v8, 1, v8
	v_and_b32_e32 v9, 0x3fffffe, v8
	v_cmp_ne_u32_e32 vcc, v8, v9
	v_lshl_add_u32 v3, v9, 7, v0
	s_orn2_b64 s[12:13], vcc, exec
.LBB146_35:
	s_or_b64 exec, exec, s[10:11]
	s_and_b64 exec, exec, s[12:13]
	s_cbranch_execz .LBB146_38
; %bb.36:
	v_mov_b32_e32 v8, 0xb0
	v_lshl_add_u32 v8, v3, 2, v8
	s_mov_b64 s[10:11], 0
.LBB146_37:                             ; =>This Inner Loop Header: Depth=1
	ds_read_b32 v9, v8
	v_add_u32_e32 v3, 0x80, v3
	v_cmp_le_i32_e32 vcc, s7, v3
	s_or_b64 s[10:11], vcc, s[10:11]
	s_waitcnt lgkmcnt(0)
	v_mul_f32_e32 v9, v2, v9
	ds_write_b32 v8, v9
	v_add_u32_e32 v8, 0x200, v8
	s_andn2_b64 exec, exec, s[10:11]
	s_cbranch_execnz .LBB146_37
.LBB146_38:
	s_or_b64 exec, exec, s[4:5]
	s_mul_i32 s4, s15, s26
	v_cmp_eq_u32_e32 vcc, 0, v0
	s_mul_i32 s10, s4, s9
	s_waitcnt lgkmcnt(0)
	s_barrier
	s_and_saveexec_b64 s[4:5], vcc
	s_cbranch_execz .LBB146_40
; %bb.39:
	s_ashr_i32 s11, s10, 31
	s_lshl_b64 s[12:13], s[10:11], 2
	s_add_u32 s9, s22, s12
	s_mul_i32 s6, s15, s6
	s_addc_u32 s11, s23, s13
	s_ashr_i32 s7, s6, 31
	s_lshl_b64 s[6:7], s[6:7], 2
	s_add_u32 s19, s9, s6
	s_addc_u32 s11, s11, s7
	s_ashr_i32 s9, s8, 31
	s_lshl_b64 s[22:23], s[8:9], 2
	s_add_u32 s36, s19, s22
	s_addc_u32 s37, s11, s23
	s_add_u32 s9, s20, s12
	s_addc_u32 s11, s21, s13
	;; [unrolled: 2-line block ×3, first 2 shown]
	s_add_u32 s6, s6, s22
	v_mov_b32_e32 v2, 0
	s_addc_u32 s7, s7, s23
	global_store_dword v2, v6, s[36:37]
	global_store_dword v2, v7, s[6:7]
.LBB146_40:
	s_or_b64 exec, exec, s[4:5]
	v_mov_b32_e32 v13, 0
	v_mov_b32_e32 v6, v13
	s_and_saveexec_b64 s[6:7], s[2:3]
	s_cbranch_execz .LBB146_146
; %bb.41:
	s_ashr_i32 s19, s18, 31
	s_lshl_b64 s[2:3], s[18:19], 1
	s_add_u32 s11, s34, s2
	v_or_b32_e32 v3, 64, v16
	s_movk_i32 s2, 0x50
	s_addc_u32 s18, s35, s3
	s_add_i32 s19, s16, -1
	v_cmp_gt_u32_e32 vcc, s2, v3
	s_lshl_b64 s[2:3], s[30:31], 2
	v_lshlrev_b32_e32 v6, 3, v3
	v_mov_b32_e32 v3, 0xb0
	s_add_u32 s2, s28, s2
	v_add3_u32 v18, s42, v5, 7
	v_lshl_add_u32 v19, v4, 5, v3
	v_lshlrev_b64 v[4:5], 2, v[10:11]
	s_addc_u32 s3, s29, s3
	v_lshlrev_b32_e32 v2, 3, v16
	v_mov_b32_e32 v17, 0
	v_mov_b32_e32 v3, s3
	v_add_co_u32_e64 v14, s[2:3], s2, v4
	s_mov_b32 s9, s17
	v_addc_co_u32_e64 v15, s[2:3], v3, v5, s[2:3]
	s_mov_b64 s[12:13], 0
	s_mov_b32 s20, 0x7f800000
	s_movk_i32 s21, 0x7fff
	v_lshlrev_b32_e32 v11, 1, v2
	v_lshlrev_b32_e32 v20, 1, v6
	v_mov_b32_e32 v12, 0
	v_mov_b32_e32 v13, v17
	s_branch .LBB146_44
.LBB146_42:                             ;   in Loop: Header=BB146_44 Depth=1
	s_or_b64 exec, exec, s[4:5]
	v_and_b32_e32 v23, 0xffff0000, v22
	v_and_b32_e32 v22, 0xffff0000, v9
	;; [unrolled: 1-line block ×6, first 2 shown]
	v_pk_add_f32 v[2:3], v[2:3], v[8:9]
	v_and_b32_e32 v5, 0xffff0000, v5
	v_and_b32_e32 v4, 0xffff0000, v4
	v_mov_b32_e32 v8, v3
	v_pk_add_f32 v[2:3], v[2:3], v[8:9]
	v_pk_add_f32 v[4:5], v[4:5], v[22:23]
	;; [unrolled: 1-line block ×3, first 2 shown]
	v_mov_b32_e32 v4, v5
	v_pk_add_f32 v[2:3], v[2:3], v[4:5]
	v_mov_b32_e32 v3, v2
	v_pk_add_f32 v[12:13], v[12:13], v[2:3]
.LBB146_43:                             ;   in Loop: Header=BB146_44 Depth=1
	s_or_b64 exec, exec, s[16:17]
	v_add_co_u32_e64 v14, s[2:3], 8, v14
	v_add_u32_e32 v10, 2, v10
	v_addc_co_u32_e64 v15, s[2:3], 0, v15, s[2:3]
	v_cmp_le_i32_e64 s[2:3], s33, v10
	v_add_u32_e32 v18, 16, v18
	v_add_u32_e32 v19, 64, v19
	s_or_b64 s[12:13], s[2:3], s[12:13]
	v_mov_b32_e32 v12, v6
	s_andn2_b64 exec, exec, s[12:13]
	s_cbranch_execz .LBB146_145
.LBB146_44:                             ; =>This Inner Loop Header: Depth=1
	global_load_dword v21, v[14:15], off
	ds_read2_b64 v[6:9], v19 offset1:1
	ds_read2_b64 v[2:5], v19 offset0:2 offset1:3
	s_waitcnt lgkmcnt(1)
	v_and_b32_e32 v22, 0x7f800000, v6
	v_cmp_ne_u32_e64 s[2:3], s20, v22
                                        ; implicit-def: $vgpr22
	s_and_saveexec_b64 s[4:5], s[2:3]
	s_xor_b64 s[2:3], exec, s[4:5]
; %bb.45:                               ;   in Loop: Header=BB146_44 Depth=1
	v_bfe_u32 v22, v6, 16, 1
	v_add3_u32 v22, v6, v22, s21
; %bb.46:                               ;   in Loop: Header=BB146_44 Depth=1
	s_andn2_saveexec_b64 s[4:5], s[2:3]
; %bb.47:                               ;   in Loop: Header=BB146_44 Depth=1
	v_or_b32_e32 v22, 0x10000, v6
	v_cmp_eq_u32_sdwa s[2:3], v6, v17 src0_sel:WORD_0 src1_sel:DWORD
	v_cndmask_b32_e64 v22, v22, v6, s[2:3]
; %bb.48:                               ;   in Loop: Header=BB146_44 Depth=1
	s_or_b64 exec, exec, s[4:5]
	v_and_b32_e32 v6, 0x7f800000, v7
	v_cmp_ne_u32_e64 s[2:3], s20, v6
                                        ; implicit-def: $vgpr23
	s_and_saveexec_b64 s[4:5], s[2:3]
	s_xor_b64 s[2:3], exec, s[4:5]
; %bb.49:                               ;   in Loop: Header=BB146_44 Depth=1
	v_bfe_u32 v6, v7, 16, 1
	v_add3_u32 v23, v7, v6, s21
; %bb.50:                               ;   in Loop: Header=BB146_44 Depth=1
	s_andn2_saveexec_b64 s[4:5], s[2:3]
; %bb.51:                               ;   in Loop: Header=BB146_44 Depth=1
	v_or_b32_e32 v6, 0x10000, v7
	v_cmp_eq_u32_sdwa s[2:3], v7, v17 src0_sel:WORD_0 src1_sel:DWORD
	v_cndmask_b32_e64 v23, v6, v7, s[2:3]
; %bb.52:                               ;   in Loop: Header=BB146_44 Depth=1
	s_or_b64 exec, exec, s[4:5]
	v_and_b32_e32 v6, 0x7f800000, v8
	v_cmp_ne_u32_e64 s[2:3], s20, v6
                                        ; implicit-def: $vgpr24
	s_and_saveexec_b64 s[4:5], s[2:3]
	s_xor_b64 s[2:3], exec, s[4:5]
; %bb.53:                               ;   in Loop: Header=BB146_44 Depth=1
	v_bfe_u32 v6, v8, 16, 1
	v_add3_u32 v24, v8, v6, s21
; %bb.54:                               ;   in Loop: Header=BB146_44 Depth=1
	s_andn2_saveexec_b64 s[4:5], s[2:3]
; %bb.55:                               ;   in Loop: Header=BB146_44 Depth=1
	v_or_b32_e32 v6, 0x10000, v8
	v_cmp_eq_u32_sdwa s[2:3], v8, v17 src0_sel:WORD_0 src1_sel:DWORD
	v_cndmask_b32_e64 v24, v6, v8, s[2:3]
; %bb.56:                               ;   in Loop: Header=BB146_44 Depth=1
	s_or_b64 exec, exec, s[4:5]
	v_and_b32_e32 v6, 0x7f800000, v9
	v_cmp_ne_u32_e64 s[2:3], s20, v6
                                        ; implicit-def: $vgpr25
	s_and_saveexec_b64 s[4:5], s[2:3]
	s_xor_b64 s[2:3], exec, s[4:5]
; %bb.57:                               ;   in Loop: Header=BB146_44 Depth=1
	v_bfe_u32 v6, v9, 16, 1
	v_add3_u32 v25, v9, v6, s21
                                        ; implicit-def: $vgpr6_vgpr7_vgpr8_vgpr9
; %bb.58:                               ;   in Loop: Header=BB146_44 Depth=1
	s_andn2_saveexec_b64 s[4:5], s[2:3]
; %bb.59:                               ;   in Loop: Header=BB146_44 Depth=1
	v_or_b32_e32 v6, 0x10000, v9
	v_cmp_eq_u32_sdwa s[2:3], v9, v17 src0_sel:WORD_0 src1_sel:DWORD
	v_cndmask_b32_e64 v25, v6, v9, s[2:3]
; %bb.60:                               ;   in Loop: Header=BB146_44 Depth=1
	s_or_b64 exec, exec, s[4:5]
	s_waitcnt lgkmcnt(0)
	v_and_b32_e32 v6, 0x7f800000, v2
	v_cmp_ne_u32_e64 s[2:3], s20, v6
                                        ; implicit-def: $vgpr26
	s_and_saveexec_b64 s[4:5], s[2:3]
	s_xor_b64 s[2:3], exec, s[4:5]
; %bb.61:                               ;   in Loop: Header=BB146_44 Depth=1
	v_bfe_u32 v6, v2, 16, 1
	v_add3_u32 v26, v2, v6, s21
; %bb.62:                               ;   in Loop: Header=BB146_44 Depth=1
	s_andn2_saveexec_b64 s[4:5], s[2:3]
; %bb.63:                               ;   in Loop: Header=BB146_44 Depth=1
	v_or_b32_e32 v6, 0x10000, v2
	v_cmp_eq_u32_sdwa s[2:3], v2, v17 src0_sel:WORD_0 src1_sel:DWORD
	v_cndmask_b32_e64 v26, v6, v2, s[2:3]
; %bb.64:                               ;   in Loop: Header=BB146_44 Depth=1
	s_or_b64 exec, exec, s[4:5]
	v_and_b32_e32 v2, 0x7f800000, v3
	v_cmp_ne_u32_e64 s[2:3], s20, v2
                                        ; implicit-def: $vgpr27
	s_and_saveexec_b64 s[4:5], s[2:3]
	s_xor_b64 s[2:3], exec, s[4:5]
; %bb.65:                               ;   in Loop: Header=BB146_44 Depth=1
	v_bfe_u32 v2, v3, 16, 1
	v_add3_u32 v27, v3, v2, s21
; %bb.66:                               ;   in Loop: Header=BB146_44 Depth=1
	s_andn2_saveexec_b64 s[4:5], s[2:3]
; %bb.67:                               ;   in Loop: Header=BB146_44 Depth=1
	v_or_b32_e32 v2, 0x10000, v3
	v_cmp_eq_u32_sdwa s[2:3], v3, v17 src0_sel:WORD_0 src1_sel:DWORD
	v_cndmask_b32_e64 v27, v2, v3, s[2:3]
; %bb.68:                               ;   in Loop: Header=BB146_44 Depth=1
	s_or_b64 exec, exec, s[4:5]
	v_and_b32_e32 v2, 0x7f800000, v4
	v_cmp_ne_u32_e64 s[2:3], s20, v2
                                        ; implicit-def: $vgpr7
	s_and_saveexec_b64 s[4:5], s[2:3]
	s_xor_b64 s[2:3], exec, s[4:5]
; %bb.69:                               ;   in Loop: Header=BB146_44 Depth=1
	v_bfe_u32 v2, v4, 16, 1
	v_add3_u32 v7, v4, v2, s21
; %bb.70:                               ;   in Loop: Header=BB146_44 Depth=1
	s_andn2_saveexec_b64 s[4:5], s[2:3]
; %bb.71:                               ;   in Loop: Header=BB146_44 Depth=1
	v_or_b32_e32 v2, 0x10000, v4
	v_cmp_eq_u32_sdwa s[2:3], v4, v17 src0_sel:WORD_0 src1_sel:DWORD
	v_cndmask_b32_e64 v7, v2, v4, s[2:3]
; %bb.72:                               ;   in Loop: Header=BB146_44 Depth=1
	s_or_b64 exec, exec, s[4:5]
	v_and_b32_e32 v2, 0x7f800000, v5
	v_cmp_ne_u32_e64 s[2:3], s20, v2
                                        ; implicit-def: $vgpr6
	s_and_saveexec_b64 s[4:5], s[2:3]
	s_xor_b64 s[2:3], exec, s[4:5]
; %bb.73:                               ;   in Loop: Header=BB146_44 Depth=1
	v_bfe_u32 v2, v5, 16, 1
	v_add3_u32 v6, v5, v2, s21
                                        ; implicit-def: $vgpr2_vgpr3_vgpr4_vgpr5
; %bb.74:                               ;   in Loop: Header=BB146_44 Depth=1
	s_andn2_saveexec_b64 s[4:5], s[2:3]
; %bb.75:                               ;   in Loop: Header=BB146_44 Depth=1
	v_or_b32_e32 v2, 0x10000, v5
	v_cmp_eq_u32_sdwa s[2:3], v5, v17 src0_sel:WORD_0 src1_sel:DWORD
	v_cndmask_b32_e64 v6, v2, v5, s[2:3]
; %bb.76:                               ;   in Loop: Header=BB146_44 Depth=1
	s_or_b64 exec, exec, s[4:5]
	s_waitcnt vmcnt(0)
	v_mad_i64_i32 v[2:3], s[2:3], v21, s9, 0
	v_lshlrev_b64 v[2:3], 1, v[2:3]
	v_mov_b32_e32 v4, s18
	v_add_co_u32_e64 v9, s[2:3], s11, v2
	v_addc_co_u32_e64 v21, s[2:3], v4, v3, s[2:3]
	v_add_co_u32_e64 v2, s[2:3], v9, v11
	v_addc_co_u32_e64 v3, s[2:3], 0, v21, s[2:3]
	global_load_dwordx4 v[2:5], v[2:3], off
	v_add_u32_e32 v8, -7, v18
	v_cmp_eq_u32_e64 s[2:3], s19, v10
	s_waitcnt vmcnt(0)
	v_lshrrev_b32_e32 v31, 16, v2
	v_lshrrev_b32_e32 v29, 16, v3
	;; [unrolled: 1-line block ×4, first 2 shown]
	s_and_saveexec_b64 s[16:17], s[2:3]
	s_cbranch_execz .LBB146_78
; %bb.77:                               ;   in Loop: Header=BB146_44 Depth=1
	v_cmp_gt_i32_e64 s[4:5], s27, v8
	v_add_u32_e32 v32, -6, v18
	v_cndmask_b32_e64 v2, 0, v2, s[4:5]
	v_cmp_gt_i32_e64 s[4:5], s27, v32
	v_add_u32_e32 v32, -5, v18
	v_cndmask_b32_e64 v31, 0, v31, s[4:5]
	;; [unrolled: 3-line block ×6, first 2 shown]
	v_cmp_gt_i32_e64 s[4:5], s27, v32
	v_cndmask_b32_e64 v5, 0, v5, s[4:5]
	v_cmp_gt_i32_e64 s[4:5], s27, v18
	v_cndmask_b32_e64 v30, 0, v30, s[4:5]
.LBB146_78:                             ;   in Loop: Header=BB146_44 Depth=1
	s_or_b64 exec, exec, s[16:17]
	v_and_b32_e32 v22, 0xffff0000, v22
	v_lshlrev_b32_e32 v2, 16, v2
	v_mul_f32_e32 v32, v22, v2
	v_and_b32_e32 v2, 0x7f800000, v32
	v_cmp_ne_u32_e64 s[4:5], s20, v2
                                        ; implicit-def: $vgpr2
	s_and_saveexec_b64 s[16:17], s[4:5]
	s_xor_b64 s[4:5], exec, s[16:17]
; %bb.79:                               ;   in Loop: Header=BB146_44 Depth=1
	v_bfe_u32 v2, v32, 16, 1
	v_add3_u32 v2, v32, v2, s21
                                        ; implicit-def: $vgpr32
; %bb.80:                               ;   in Loop: Header=BB146_44 Depth=1
	s_andn2_saveexec_b64 s[16:17], s[4:5]
; %bb.81:                               ;   in Loop: Header=BB146_44 Depth=1
	v_or_b32_e32 v2, 0x10000, v32
	v_cmp_eq_u32_sdwa s[4:5], v32, v17 src0_sel:WORD_0 src1_sel:DWORD
	v_cndmask_b32_e64 v2, v2, v32, s[4:5]
; %bb.82:                               ;   in Loop: Header=BB146_44 Depth=1
	s_or_b64 exec, exec, s[16:17]
	v_and_b32_e32 v23, 0xffff0000, v23
	v_lshlrev_b32_e32 v31, 16, v31
	v_mul_f32_e32 v32, v23, v31
	v_and_b32_e32 v31, 0x7f800000, v32
	v_cmp_ne_u32_e64 s[4:5], s20, v31
                                        ; implicit-def: $vgpr31
	s_and_saveexec_b64 s[16:17], s[4:5]
	s_xor_b64 s[4:5], exec, s[16:17]
; %bb.83:                               ;   in Loop: Header=BB146_44 Depth=1
	v_bfe_u32 v31, v32, 16, 1
	v_add3_u32 v31, v32, v31, s21
                                        ; implicit-def: $vgpr32
; %bb.84:                               ;   in Loop: Header=BB146_44 Depth=1
	s_andn2_saveexec_b64 s[16:17], s[4:5]
; %bb.85:                               ;   in Loop: Header=BB146_44 Depth=1
	v_or_b32_e32 v31, 0x10000, v32
	v_cmp_eq_u32_sdwa s[4:5], v32, v17 src0_sel:WORD_0 src1_sel:DWORD
	v_cndmask_b32_e64 v31, v31, v32, s[4:5]
; %bb.86:                               ;   in Loop: Header=BB146_44 Depth=1
	s_or_b64 exec, exec, s[16:17]
	v_and_b32_e32 v24, 0xffff0000, v24
	v_lshlrev_b32_e32 v3, 16, v3
	v_mul_f32_e32 v32, v24, v3
	v_and_b32_e32 v3, 0x7f800000, v32
	v_cmp_ne_u32_e64 s[4:5], s20, v3
                                        ; implicit-def: $vgpr3
	s_and_saveexec_b64 s[16:17], s[4:5]
	s_xor_b64 s[4:5], exec, s[16:17]
; %bb.87:                               ;   in Loop: Header=BB146_44 Depth=1
	v_bfe_u32 v3, v32, 16, 1
	v_add3_u32 v3, v32, v3, s21
                                        ; implicit-def: $vgpr32
; %bb.88:                               ;   in Loop: Header=BB146_44 Depth=1
	s_andn2_saveexec_b64 s[16:17], s[4:5]
; %bb.89:                               ;   in Loop: Header=BB146_44 Depth=1
	v_or_b32_e32 v3, 0x10000, v32
	v_cmp_eq_u32_sdwa s[4:5], v32, v17 src0_sel:WORD_0 src1_sel:DWORD
	v_cndmask_b32_e64 v3, v3, v32, s[4:5]
; %bb.90:                               ;   in Loop: Header=BB146_44 Depth=1
	s_or_b64 exec, exec, s[16:17]
	v_and_b32_e32 v25, 0xffff0000, v25
	v_lshlrev_b32_e32 v29, 16, v29
	v_mul_f32_e32 v29, v25, v29
	v_and_b32_e32 v32, 0x7f800000, v29
	v_cmp_ne_u32_e64 s[4:5], s20, v32
                                        ; implicit-def: $vgpr32
	s_and_saveexec_b64 s[16:17], s[4:5]
	s_xor_b64 s[4:5], exec, s[16:17]
; %bb.91:                               ;   in Loop: Header=BB146_44 Depth=1
	v_bfe_u32 v32, v29, 16, 1
	v_add3_u32 v32, v29, v32, s21
                                        ; implicit-def: $vgpr29
; %bb.92:                               ;   in Loop: Header=BB146_44 Depth=1
	s_andn2_saveexec_b64 s[16:17], s[4:5]
; %bb.93:                               ;   in Loop: Header=BB146_44 Depth=1
	v_or_b32_e32 v32, 0x10000, v29
	v_cmp_eq_u32_sdwa s[4:5], v29, v17 src0_sel:WORD_0 src1_sel:DWORD
	v_cndmask_b32_e64 v32, v32, v29, s[4:5]
; %bb.94:                               ;   in Loop: Header=BB146_44 Depth=1
	s_or_b64 exec, exec, s[16:17]
	v_and_b32_e32 v26, 0xffff0000, v26
	v_lshlrev_b32_e32 v4, 16, v4
	v_mul_f32_e32 v29, v26, v4
	v_and_b32_e32 v4, 0x7f800000, v29
	v_cmp_ne_u32_e64 s[4:5], s20, v4
                                        ; implicit-def: $vgpr4
	s_and_saveexec_b64 s[16:17], s[4:5]
	s_xor_b64 s[4:5], exec, s[16:17]
; %bb.95:                               ;   in Loop: Header=BB146_44 Depth=1
	v_bfe_u32 v4, v29, 16, 1
	v_add3_u32 v4, v29, v4, s21
                                        ; implicit-def: $vgpr29
; %bb.96:                               ;   in Loop: Header=BB146_44 Depth=1
	s_andn2_saveexec_b64 s[16:17], s[4:5]
; %bb.97:                               ;   in Loop: Header=BB146_44 Depth=1
	v_or_b32_e32 v4, 0x10000, v29
	v_cmp_eq_u32_sdwa s[4:5], v29, v17 src0_sel:WORD_0 src1_sel:DWORD
	v_cndmask_b32_e64 v4, v4, v29, s[4:5]
; %bb.98:                               ;   in Loop: Header=BB146_44 Depth=1
	s_or_b64 exec, exec, s[16:17]
	v_and_b32_e32 v27, 0xffff0000, v27
	v_lshlrev_b32_e32 v28, 16, v28
	v_mul_f32_e32 v28, v27, v28
	v_and_b32_e32 v29, 0x7f800000, v28
	v_cmp_ne_u32_e64 s[4:5], s20, v29
                                        ; implicit-def: $vgpr33
	s_and_saveexec_b64 s[16:17], s[4:5]
	s_xor_b64 s[4:5], exec, s[16:17]
; %bb.99:                               ;   in Loop: Header=BB146_44 Depth=1
	v_bfe_u32 v29, v28, 16, 1
	v_add3_u32 v33, v28, v29, s21
                                        ; implicit-def: $vgpr28
; %bb.100:                              ;   in Loop: Header=BB146_44 Depth=1
	s_andn2_saveexec_b64 s[16:17], s[4:5]
; %bb.101:                              ;   in Loop: Header=BB146_44 Depth=1
	v_or_b32_e32 v29, 0x10000, v28
	v_cmp_eq_u32_sdwa s[4:5], v28, v17 src0_sel:WORD_0 src1_sel:DWORD
	v_cndmask_b32_e64 v33, v29, v28, s[4:5]
; %bb.102:                              ;   in Loop: Header=BB146_44 Depth=1
	s_or_b64 exec, exec, s[16:17]
	v_and_b32_e32 v28, 0xffff0000, v7
	v_lshlrev_b32_e32 v5, 16, v5
	v_mul_f32_e32 v7, v28, v5
	v_and_b32_e32 v5, 0x7f800000, v7
	v_cmp_ne_u32_e64 s[4:5], s20, v5
                                        ; implicit-def: $vgpr5
	s_and_saveexec_b64 s[16:17], s[4:5]
	s_xor_b64 s[4:5], exec, s[16:17]
; %bb.103:                              ;   in Loop: Header=BB146_44 Depth=1
	v_bfe_u32 v5, v7, 16, 1
	v_add3_u32 v5, v7, v5, s21
                                        ; implicit-def: $vgpr7
; %bb.104:                              ;   in Loop: Header=BB146_44 Depth=1
	s_andn2_saveexec_b64 s[16:17], s[4:5]
; %bb.105:                              ;   in Loop: Header=BB146_44 Depth=1
	v_or_b32_e32 v5, 0x10000, v7
	v_cmp_eq_u32_sdwa s[4:5], v7, v17 src0_sel:WORD_0 src1_sel:DWORD
	v_cndmask_b32_e64 v5, v5, v7, s[4:5]
; %bb.106:                              ;   in Loop: Header=BB146_44 Depth=1
	s_or_b64 exec, exec, s[16:17]
	v_and_b32_e32 v29, 0xffff0000, v6
	v_lshlrev_b32_e32 v6, 16, v30
	v_mul_f32_e32 v6, v29, v6
	v_and_b32_e32 v7, 0x7f800000, v6
	v_cmp_ne_u32_e64 s[4:5], s20, v7
                                        ; implicit-def: $vgpr7
	s_and_saveexec_b64 s[16:17], s[4:5]
	s_xor_b64 s[4:5], exec, s[16:17]
; %bb.107:                              ;   in Loop: Header=BB146_44 Depth=1
	v_bfe_u32 v7, v6, 16, 1
	v_add3_u32 v7, v6, v7, s21
                                        ; implicit-def: $vgpr6
; %bb.108:                              ;   in Loop: Header=BB146_44 Depth=1
	s_andn2_saveexec_b64 s[16:17], s[4:5]
; %bb.109:                              ;   in Loop: Header=BB146_44 Depth=1
	v_or_b32_e32 v7, 0x10000, v6
	v_cmp_eq_u32_sdwa s[4:5], v6, v17 src0_sel:WORD_0 src1_sel:DWORD
	v_cndmask_b32_e64 v7, v7, v6, s[4:5]
; %bb.110:                              ;   in Loop: Header=BB146_44 Depth=1
	s_or_b64 exec, exec, s[16:17]
	v_and_b32_e32 v6, 0xffff0000, v33
	v_and_b32_e32 v33, 0xffff0000, v32
	;; [unrolled: 1-line block ×5, first 2 shown]
	v_pk_add_f32 v[2:3], v[2:3], v[32:33]
	v_and_b32_e32 v7, 0xffff0000, v7
	v_and_b32_e32 v5, 0xffff0000, v5
	;; [unrolled: 1-line block ×3, first 2 shown]
	v_mov_b32_e32 v30, v3
	v_pk_add_f32 v[2:3], v[2:3], v[30:31]
	v_pk_add_f32 v[4:5], v[4:5], v[6:7]
	;; [unrolled: 1-line block ×3, first 2 shown]
	v_mov_b32_e32 v4, v5
	v_pk_add_f32 v[2:3], v[2:3], v[4:5]
	v_pk_add_f32 v[6:7], v[12:13], v[2:3]
	s_and_saveexec_b64 s[16:17], vcc
	s_cbranch_execz .LBB146_43
; %bb.111:                              ;   in Loop: Header=BB146_44 Depth=1
	v_add_co_u32_e64 v2, s[4:5], v9, v20
	v_addc_co_u32_e64 v3, s[4:5], 0, v21, s[4:5]
	global_load_dwordx4 v[2:5], v[2:3], off
	s_waitcnt vmcnt(0)
	v_lshrrev_b32_e32 v30, 16, v2
	v_lshrrev_b32_e32 v21, 16, v3
	;; [unrolled: 1-line block ×4, first 2 shown]
	s_and_saveexec_b64 s[4:5], s[2:3]
	s_cbranch_execz .LBB146_113
; %bb.112:                              ;   in Loop: Header=BB146_44 Depth=1
	v_cmp_gt_i32_e64 s[2:3], s27, v8
	v_add_u32_e32 v8, -6, v18
	v_cndmask_b32_e64 v2, 0, v2, s[2:3]
	v_cmp_gt_i32_e64 s[2:3], s27, v8
	v_add_u32_e32 v8, -5, v18
	v_cndmask_b32_e64 v30, 0, v30, s[2:3]
	;; [unrolled: 3-line block ×6, first 2 shown]
	v_cmp_gt_i32_e64 s[2:3], s27, v8
	v_cndmask_b32_e64 v5, 0, v5, s[2:3]
	v_cmp_gt_i32_e64 s[2:3], s27, v18
	v_cndmask_b32_e64 v7, 0, v7, s[2:3]
.LBB146_113:                            ;   in Loop: Header=BB146_44 Depth=1
	s_or_b64 exec, exec, s[4:5]
	v_lshlrev_b32_e32 v2, 16, v2
	v_mul_f32_e32 v8, v22, v2
	v_and_b32_e32 v2, 0x7f800000, v8
	v_cmp_ne_u32_e64 s[2:3], s20, v2
                                        ; implicit-def: $vgpr2
	s_and_saveexec_b64 s[4:5], s[2:3]
	s_xor_b64 s[2:3], exec, s[4:5]
; %bb.114:                              ;   in Loop: Header=BB146_44 Depth=1
	v_bfe_u32 v2, v8, 16, 1
	v_add3_u32 v2, v8, v2, s21
                                        ; implicit-def: $vgpr8
; %bb.115:                              ;   in Loop: Header=BB146_44 Depth=1
	s_andn2_saveexec_b64 s[4:5], s[2:3]
; %bb.116:                              ;   in Loop: Header=BB146_44 Depth=1
	v_or_b32_e32 v2, 0x10000, v8
	v_cmp_eq_u32_sdwa s[2:3], v8, v17 src0_sel:WORD_0 src1_sel:DWORD
	v_cndmask_b32_e64 v2, v2, v8, s[2:3]
; %bb.117:                              ;   in Loop: Header=BB146_44 Depth=1
	s_or_b64 exec, exec, s[4:5]
	v_lshlrev_b32_e32 v8, 16, v30
	v_mul_f32_e32 v22, v23, v8
	v_and_b32_e32 v8, 0x7f800000, v22
	v_cmp_ne_u32_e64 s[2:3], s20, v8
                                        ; implicit-def: $vgpr8
	s_and_saveexec_b64 s[4:5], s[2:3]
	s_xor_b64 s[2:3], exec, s[4:5]
; %bb.118:                              ;   in Loop: Header=BB146_44 Depth=1
	v_bfe_u32 v8, v22, 16, 1
	v_add3_u32 v8, v22, v8, s21
                                        ; implicit-def: $vgpr22
; %bb.119:                              ;   in Loop: Header=BB146_44 Depth=1
	s_andn2_saveexec_b64 s[4:5], s[2:3]
; %bb.120:                              ;   in Loop: Header=BB146_44 Depth=1
	v_or_b32_e32 v8, 0x10000, v22
	v_cmp_eq_u32_sdwa s[2:3], v22, v17 src0_sel:WORD_0 src1_sel:DWORD
	v_cndmask_b32_e64 v8, v8, v22, s[2:3]
; %bb.121:                              ;   in Loop: Header=BB146_44 Depth=1
	s_or_b64 exec, exec, s[4:5]
	v_lshlrev_b32_e32 v3, 16, v3
	v_mul_f32_e32 v22, v24, v3
	v_and_b32_e32 v3, 0x7f800000, v22
	v_cmp_ne_u32_e64 s[2:3], s20, v3
                                        ; implicit-def: $vgpr3
	s_and_saveexec_b64 s[4:5], s[2:3]
	s_xor_b64 s[2:3], exec, s[4:5]
; %bb.122:                              ;   in Loop: Header=BB146_44 Depth=1
	v_bfe_u32 v3, v22, 16, 1
	v_add3_u32 v3, v22, v3, s21
                                        ; implicit-def: $vgpr22
; %bb.123:                              ;   in Loop: Header=BB146_44 Depth=1
	s_andn2_saveexec_b64 s[4:5], s[2:3]
; %bb.124:                              ;   in Loop: Header=BB146_44 Depth=1
	v_or_b32_e32 v3, 0x10000, v22
	v_cmp_eq_u32_sdwa s[2:3], v22, v17 src0_sel:WORD_0 src1_sel:DWORD
	v_cndmask_b32_e64 v3, v3, v22, s[2:3]
; %bb.125:                              ;   in Loop: Header=BB146_44 Depth=1
	s_or_b64 exec, exec, s[4:5]
	v_lshlrev_b32_e32 v21, 16, v21
	v_mul_f32_e32 v22, v25, v21
	v_and_b32_e32 v21, 0x7f800000, v22
	v_cmp_ne_u32_e64 s[2:3], s20, v21
                                        ; implicit-def: $vgpr21
	s_and_saveexec_b64 s[4:5], s[2:3]
	s_xor_b64 s[2:3], exec, s[4:5]
; %bb.126:                              ;   in Loop: Header=BB146_44 Depth=1
	v_bfe_u32 v21, v22, 16, 1
	v_add3_u32 v21, v22, v21, s21
                                        ; implicit-def: $vgpr22
; %bb.127:                              ;   in Loop: Header=BB146_44 Depth=1
	s_andn2_saveexec_b64 s[4:5], s[2:3]
; %bb.128:                              ;   in Loop: Header=BB146_44 Depth=1
	v_or_b32_e32 v21, 0x10000, v22
	v_cmp_eq_u32_sdwa s[2:3], v22, v17 src0_sel:WORD_0 src1_sel:DWORD
	v_cndmask_b32_e64 v21, v21, v22, s[2:3]
; %bb.129:                              ;   in Loop: Header=BB146_44 Depth=1
	s_or_b64 exec, exec, s[4:5]
	v_lshlrev_b32_e32 v4, 16, v4
	v_mul_f32_e32 v22, v26, v4
	v_and_b32_e32 v4, 0x7f800000, v22
	v_cmp_ne_u32_e64 s[2:3], s20, v4
                                        ; implicit-def: $vgpr4
	s_and_saveexec_b64 s[4:5], s[2:3]
	s_xor_b64 s[2:3], exec, s[4:5]
; %bb.130:                              ;   in Loop: Header=BB146_44 Depth=1
	v_bfe_u32 v4, v22, 16, 1
	v_add3_u32 v4, v22, v4, s21
                                        ; implicit-def: $vgpr22
; %bb.131:                              ;   in Loop: Header=BB146_44 Depth=1
	s_andn2_saveexec_b64 s[4:5], s[2:3]
; %bb.132:                              ;   in Loop: Header=BB146_44 Depth=1
	v_or_b32_e32 v4, 0x10000, v22
	v_cmp_eq_u32_sdwa s[2:3], v22, v17 src0_sel:WORD_0 src1_sel:DWORD
	v_cndmask_b32_e64 v4, v4, v22, s[2:3]
; %bb.133:                              ;   in Loop: Header=BB146_44 Depth=1
	s_or_b64 exec, exec, s[4:5]
	v_lshlrev_b32_e32 v9, 16, v9
	v_mul_f32_e32 v22, v27, v9
	v_and_b32_e32 v9, 0x7f800000, v22
	v_cmp_ne_u32_e64 s[2:3], s20, v9
                                        ; implicit-def: $vgpr9
	s_and_saveexec_b64 s[4:5], s[2:3]
	s_xor_b64 s[2:3], exec, s[4:5]
; %bb.134:                              ;   in Loop: Header=BB146_44 Depth=1
	v_bfe_u32 v9, v22, 16, 1
	v_add3_u32 v9, v22, v9, s21
                                        ; implicit-def: $vgpr22
; %bb.135:                              ;   in Loop: Header=BB146_44 Depth=1
	s_andn2_saveexec_b64 s[4:5], s[2:3]
; %bb.136:                              ;   in Loop: Header=BB146_44 Depth=1
	v_or_b32_e32 v9, 0x10000, v22
	v_cmp_eq_u32_sdwa s[2:3], v22, v17 src0_sel:WORD_0 src1_sel:DWORD
	v_cndmask_b32_e64 v9, v9, v22, s[2:3]
; %bb.137:                              ;   in Loop: Header=BB146_44 Depth=1
	s_or_b64 exec, exec, s[4:5]
	v_lshlrev_b32_e32 v5, 16, v5
	v_mul_f32_e32 v22, v28, v5
	v_and_b32_e32 v5, 0x7f800000, v22
	v_cmp_ne_u32_e64 s[2:3], s20, v5
                                        ; implicit-def: $vgpr5
	s_and_saveexec_b64 s[4:5], s[2:3]
	s_xor_b64 s[2:3], exec, s[4:5]
; %bb.138:                              ;   in Loop: Header=BB146_44 Depth=1
	v_bfe_u32 v5, v22, 16, 1
	v_add3_u32 v5, v22, v5, s21
                                        ; implicit-def: $vgpr22
; %bb.139:                              ;   in Loop: Header=BB146_44 Depth=1
	s_andn2_saveexec_b64 s[4:5], s[2:3]
; %bb.140:                              ;   in Loop: Header=BB146_44 Depth=1
	v_or_b32_e32 v5, 0x10000, v22
	v_cmp_eq_u32_sdwa s[2:3], v22, v17 src0_sel:WORD_0 src1_sel:DWORD
	v_cndmask_b32_e64 v5, v5, v22, s[2:3]
; %bb.141:                              ;   in Loop: Header=BB146_44 Depth=1
	s_or_b64 exec, exec, s[4:5]
	v_lshlrev_b32_e32 v7, 16, v7
	v_mul_f32_e32 v7, v29, v7
	v_and_b32_e32 v22, 0x7f800000, v7
	v_cmp_ne_u32_e64 s[2:3], s20, v22
                                        ; implicit-def: $vgpr22
	s_and_saveexec_b64 s[4:5], s[2:3]
	s_xor_b64 s[2:3], exec, s[4:5]
; %bb.142:                              ;   in Loop: Header=BB146_44 Depth=1
	v_bfe_u32 v22, v7, 16, 1
	v_add3_u32 v22, v7, v22, s21
                                        ; implicit-def: $vgpr7
; %bb.143:                              ;   in Loop: Header=BB146_44 Depth=1
	s_andn2_saveexec_b64 s[4:5], s[2:3]
	s_cbranch_execz .LBB146_42
; %bb.144:                              ;   in Loop: Header=BB146_44 Depth=1
	v_or_b32_e32 v22, 0x10000, v7
	v_cmp_eq_u32_sdwa s[2:3], v7, v17 src0_sel:WORD_0 src1_sel:DWORD
	v_cndmask_b32_e64 v22, v22, v7, s[2:3]
	s_branch .LBB146_42
.LBB146_145:
	s_or_b64 exec, exec, s[12:13]
.LBB146_146:
	s_or_b64 exec, exec, s[6:7]
	v_and_b32_e32 v2, 0x3c0, v0
	v_cmp_eq_u32_e32 vcc, 64, v2
	s_barrier
	s_and_saveexec_b64 s[2:3], vcc
	s_cbranch_execz .LBB146_149
; %bb.147:
	v_mov_b32_e32 v2, 0xb0
	v_lshl_add_u32 v3, v16, 2, v2
	ds_write_b32 v3, v6
	s_and_b64 exec, exec, s[0:1]
	s_cbranch_execz .LBB146_149
; %bb.148:
	v_lshl_add_u32 v2, v0, 2, v2
	ds_write_b32 v2, v13
.LBB146_149:
	s_or_b64 exec, exec, s[2:3]
	v_cmp_gt_u32_e32 vcc, 64, v0
	v_or_b32_e32 v2, 64, v0
	s_waitcnt lgkmcnt(0)
	s_barrier
	s_and_saveexec_b64 s[2:3], vcc
	s_cbranch_execz .LBB146_153
; %bb.150:
	v_mov_b32_e32 v3, 0xb0
	v_lshl_add_u32 v3, v0, 2, v3
	ds_read_b32 v0, v3
	s_movk_i32 s0, 0x50
	v_cmp_gt_u32_e64 s[0:1], s0, v2
	s_and_saveexec_b64 s[4:5], s[0:1]
	s_cbranch_execz .LBB146_152
; %bb.151:
	ds_read_b32 v3, v3 offset:256
	s_waitcnt lgkmcnt(0)
	v_add_f32_e32 v13, v13, v3
.LBB146_152:
	s_or_b64 exec, exec, s[4:5]
	s_waitcnt lgkmcnt(0)
	v_add_f32_e32 v6, v6, v0
.LBB146_153:
	s_or_b64 exec, exec, s[2:3]
	s_barrier
	s_and_saveexec_b64 s[0:1], vcc
	s_cbranch_execz .LBB146_164
; %bb.154:
	s_mov_b32 s0, 0x7f800000
	v_and_b32_e32 v0, 0x7f800000, v6
	v_cmp_ne_u32_e32 vcc, s0, v0
                                        ; implicit-def: $vgpr0
	s_and_saveexec_b64 s[0:1], vcc
	s_xor_b64 s[0:1], exec, s[0:1]
; %bb.155:
	v_bfe_u32 v0, v6, 16, 1
	s_movk_i32 s2, 0x7fff
	v_add3_u32 v0, v6, v0, s2
                                        ; implicit-def: $vgpr6
; %bb.156:
	s_andn2_saveexec_b64 s[0:1], s[0:1]
; %bb.157:
	v_mov_b32_e32 v0, 0
	v_or_b32_e32 v3, 0x10000, v6
	v_cmp_eq_u32_sdwa vcc, v6, v0 src0_sel:WORD_0 src1_sel:DWORD
	v_cndmask_b32_e32 v0, v3, v6, vcc
; %bb.158:
	s_or_b64 exec, exec, s[0:1]
	s_mul_i32 s0, s10, 0x50
	s_ashr_i32 s1, s0, 31
	s_lshl_b64 s[0:1], s[0:1], 1
	s_add_u32 s3, s24, s0
	s_mul_i32 s0, s15, s14
	s_addc_u32 s4, s25, s1
	s_ashr_i32 s1, s0, 31
	s_lshl_b64 s[0:1], s[0:1], 1
	s_add_u32 s3, s3, s0
	s_mul_i32 s0, s8, 0x50
	s_addc_u32 s4, s4, s1
	s_ashr_i32 s1, s0, 31
	s_lshl_b64 s[0:1], s[0:1], 1
	s_movk_i32 s2, 0x50
	s_add_u32 s0, s3, s0
	s_addc_u32 s1, s4, s1
	v_cmp_gt_u32_e32 vcc, s2, v2
	global_store_short_d16_hi v1, v0, s[0:1]
	s_and_b64 exec, exec, vcc
	s_cbranch_execz .LBB146_164
; %bb.159:
	v_mov_b32_e32 v2, s1
	v_add_co_u32_e32 v0, vcc, s0, v1
	v_addc_co_u32_e32 v1, vcc, 0, v2, vcc
	s_mov_b32 s0, 0x7f800000
	v_and_b32_e32 v2, 0x7f800000, v13
	v_cmp_ne_u32_e32 vcc, s0, v2
                                        ; implicit-def: $vgpr2
	s_and_saveexec_b64 s[0:1], vcc
	s_xor_b64 s[0:1], exec, s[0:1]
; %bb.160:
	v_bfe_u32 v2, v13, 16, 1
	s_movk_i32 s2, 0x7fff
	v_add3_u32 v2, v13, v2, s2
                                        ; implicit-def: $vgpr13
; %bb.161:
	s_andn2_saveexec_b64 s[0:1], s[0:1]
; %bb.162:
	v_mov_b32_e32 v2, 0
	v_or_b32_e32 v3, 0x10000, v13
	v_cmp_eq_u32_sdwa vcc, v13, v2 src0_sel:WORD_0 src1_sel:DWORD
	v_cndmask_b32_e32 v2, v3, v13, vcc
; %bb.163:
	s_or_b64 exec, exec, s[0:1]
	global_store_short_d16_hi v[0:1], v2, off offset:128
.LBB146_164:
	s_endpgm
	.section	.rodata,"a",@progbits
	.p2align	6, 0x0
	.amdhsa_kernel _ZN4vllm25paged_attention_v2_kernelI14__hip_bfloat16S1_Li80ELi8ELi128ELNS_18Fp8KVCacheDataTypeE0ELb0ELi512EEEvPfS3_PT_PKS4_PKT0_SA_ifPKiSC_iPKfiiiSE_SE_iiiii
		.amdhsa_group_segment_fixed_size 176
		.amdhsa_private_segment_fixed_size 0
		.amdhsa_kernarg_size 400
		.amdhsa_user_sgpr_count 6
		.amdhsa_user_sgpr_private_segment_buffer 1
		.amdhsa_user_sgpr_dispatch_ptr 0
		.amdhsa_user_sgpr_queue_ptr 0
		.amdhsa_user_sgpr_kernarg_segment_ptr 1
		.amdhsa_user_sgpr_dispatch_id 0
		.amdhsa_user_sgpr_flat_scratch_init 0
		.amdhsa_user_sgpr_kernarg_preload_length 0
		.amdhsa_user_sgpr_kernarg_preload_offset 0
		.amdhsa_user_sgpr_private_segment_size 0
		.amdhsa_uses_dynamic_stack 0
		.amdhsa_system_sgpr_private_segment_wavefront_offset 0
		.amdhsa_system_sgpr_workgroup_id_x 1
		.amdhsa_system_sgpr_workgroup_id_y 1
		.amdhsa_system_sgpr_workgroup_id_z 1
		.amdhsa_system_sgpr_workgroup_info 0
		.amdhsa_system_vgpr_workitem_id 0
		.amdhsa_next_free_vgpr 41
		.amdhsa_next_free_sgpr 44
		.amdhsa_accum_offset 44
		.amdhsa_reserve_vcc 1
		.amdhsa_reserve_flat_scratch 0
		.amdhsa_float_round_mode_32 0
		.amdhsa_float_round_mode_16_64 0
		.amdhsa_float_denorm_mode_32 3
		.amdhsa_float_denorm_mode_16_64 3
		.amdhsa_dx10_clamp 1
		.amdhsa_ieee_mode 1
		.amdhsa_fp16_overflow 0
		.amdhsa_tg_split 0
		.amdhsa_exception_fp_ieee_invalid_op 0
		.amdhsa_exception_fp_denorm_src 0
		.amdhsa_exception_fp_ieee_div_zero 0
		.amdhsa_exception_fp_ieee_overflow 0
		.amdhsa_exception_fp_ieee_underflow 0
		.amdhsa_exception_fp_ieee_inexact 0
		.amdhsa_exception_int_div_zero 0
	.end_amdhsa_kernel
	.section	.text._ZN4vllm25paged_attention_v2_kernelI14__hip_bfloat16S1_Li80ELi8ELi128ELNS_18Fp8KVCacheDataTypeE0ELb0ELi512EEEvPfS3_PT_PKS4_PKT0_SA_ifPKiSC_iPKfiiiSE_SE_iiiii,"axG",@progbits,_ZN4vllm25paged_attention_v2_kernelI14__hip_bfloat16S1_Li80ELi8ELi128ELNS_18Fp8KVCacheDataTypeE0ELb0ELi512EEEvPfS3_PT_PKS4_PKT0_SA_ifPKiSC_iPKfiiiSE_SE_iiiii,comdat
.Lfunc_end146:
	.size	_ZN4vllm25paged_attention_v2_kernelI14__hip_bfloat16S1_Li80ELi8ELi128ELNS_18Fp8KVCacheDataTypeE0ELb0ELi512EEEvPfS3_PT_PKS4_PKT0_SA_ifPKiSC_iPKfiiiSE_SE_iiiii, .Lfunc_end146-_ZN4vllm25paged_attention_v2_kernelI14__hip_bfloat16S1_Li80ELi8ELi128ELNS_18Fp8KVCacheDataTypeE0ELb0ELi512EEEvPfS3_PT_PKS4_PKT0_SA_ifPKiSC_iPKfiiiSE_SE_iiiii
                                        ; -- End function
	.section	.AMDGPU.csdata,"",@progbits
; Kernel info:
; codeLenInByte = 6248
; NumSgprs: 48
; NumVgprs: 41
; NumAgprs: 0
; TotalNumVgprs: 41
; ScratchSize: 0
; MemoryBound: 0
; FloatMode: 240
; IeeeMode: 1
; LDSByteSize: 176 bytes/workgroup (compile time only)
; SGPRBlocks: 5
; VGPRBlocks: 5
; NumSGPRsForWavesPerEU: 48
; NumVGPRsForWavesPerEU: 41
; AccumOffset: 44
; Occupancy: 8
; WaveLimiterHint : 1
; COMPUTE_PGM_RSRC2:SCRATCH_EN: 0
; COMPUTE_PGM_RSRC2:USER_SGPR: 6
; COMPUTE_PGM_RSRC2:TRAP_HANDLER: 0
; COMPUTE_PGM_RSRC2:TGID_X_EN: 1
; COMPUTE_PGM_RSRC2:TGID_Y_EN: 1
; COMPUTE_PGM_RSRC2:TGID_Z_EN: 1
; COMPUTE_PGM_RSRC2:TIDIG_COMP_CNT: 0
; COMPUTE_PGM_RSRC3_GFX90A:ACCUM_OFFSET: 10
; COMPUTE_PGM_RSRC3_GFX90A:TG_SPLIT: 0
	.section	.text._ZN4vllm25paged_attention_v2_kernelI14__hip_bfloat16S1_Li96ELi8ELi128ELNS_18Fp8KVCacheDataTypeE0ELb0ELi512EEEvPfS3_PT_PKS4_PKT0_SA_ifPKiSC_iPKfiiiSE_SE_iiiii,"axG",@progbits,_ZN4vllm25paged_attention_v2_kernelI14__hip_bfloat16S1_Li96ELi8ELi128ELNS_18Fp8KVCacheDataTypeE0ELb0ELi512EEEvPfS3_PT_PKS4_PKT0_SA_ifPKiSC_iPKfiiiSE_SE_iiiii,comdat
	.protected	_ZN4vllm25paged_attention_v2_kernelI14__hip_bfloat16S1_Li96ELi8ELi128ELNS_18Fp8KVCacheDataTypeE0ELb0ELi512EEEvPfS3_PT_PKS4_PKT0_SA_ifPKiSC_iPKfiiiSE_SE_iiiii ; -- Begin function _ZN4vllm25paged_attention_v2_kernelI14__hip_bfloat16S1_Li96ELi8ELi128ELNS_18Fp8KVCacheDataTypeE0ELb0ELi512EEEvPfS3_PT_PKS4_PKT0_SA_ifPKiSC_iPKfiiiSE_SE_iiiii
	.globl	_ZN4vllm25paged_attention_v2_kernelI14__hip_bfloat16S1_Li96ELi8ELi128ELNS_18Fp8KVCacheDataTypeE0ELb0ELi512EEEvPfS3_PT_PKS4_PKT0_SA_ifPKiSC_iPKfiiiSE_SE_iiiii
	.p2align	8
	.type	_ZN4vllm25paged_attention_v2_kernelI14__hip_bfloat16S1_Li96ELi8ELi128ELNS_18Fp8KVCacheDataTypeE0ELb0ELi512EEEvPfS3_PT_PKS4_PKT0_SA_ifPKiSC_iPKfiiiSE_SE_iiiii,@function
_ZN4vllm25paged_attention_v2_kernelI14__hip_bfloat16S1_Li96ELi8ELi128ELNS_18Fp8KVCacheDataTypeE0ELb0ELi512EEEvPfS3_PT_PKS4_PKT0_SA_ifPKiSC_iPKfiiiSE_SE_iiiii: ; @_ZN4vllm25paged_attention_v2_kernelI14__hip_bfloat16S1_Li96ELi8ELi128ELNS_18Fp8KVCacheDataTypeE0ELb0ELi512EEEvPfS3_PT_PKS4_PKT0_SA_ifPKiSC_iPKfiiiSE_SE_iiiii
; %bb.0:
	s_load_dwordx2 s[0:1], s[4:5], 0x40
	s_mov_b32 s26, s7
	s_ashr_i32 s27, s7, 31
	s_lshl_b64 s[2:3], s[26:27], 2
	s_waitcnt lgkmcnt(0)
	s_add_u32 s0, s0, s2
	s_addc_u32 s1, s1, s3
	s_load_dword s27, s[0:1], 0x0
	s_lshl_b32 s42, s8, 9
	s_waitcnt lgkmcnt(0)
	s_cmp_ge_i32 s42, s27
	s_cbranch_scc1 .LBB147_164
; %bb.1:
	s_load_dword s9, s[4:5], 0x90
	s_load_dwordx2 s[12:13], s[4:5], 0x30
	s_waitcnt lgkmcnt(0)
	s_abs_i32 s2, s9
	s_abs_i32 s0, s12
	v_cvt_f32_u32_e32 v1, s0
	s_sub_i32 s3, 0, s0
	s_xor_b32 s1, s9, s12
	s_ashr_i32 s1, s1, 31
	v_rcp_iflag_f32_e32 v1, v1
	s_mov_b32 s12, 0
	v_mul_f32_e32 v1, 0x4f7ffffe, v1
	v_cvt_u32_f32_e32 v1, v1
	v_readfirstlane_b32 s7, v1
	s_mul_i32 s3, s3, s7
	s_mul_hi_u32 s3, s7, s3
	s_add_i32 s7, s7, s3
	s_mul_hi_u32 s3, s2, s7
	s_mul_i32 s7, s3, s0
	s_sub_i32 s2, s2, s7
	s_add_i32 s10, s3, 1
	s_sub_i32 s7, s2, s0
	s_cmp_ge_u32 s2, s0
	s_cselect_b32 s3, s10, s3
	s_cselect_b32 s2, s7, s2
	s_add_i32 s7, s3, 1
	s_cmp_ge_u32 s2, s0
	s_cselect_b32 s0, s7, s3
	s_xor_b32 s0, s0, s1
	s_sub_i32 s2, s0, s1
	s_abs_i32 s10, s2
	v_cvt_f32_u32_e32 v1, s10
	s_load_dwordx2 s[0:1], s[4:5], 0x50
	s_sub_i32 s3, 0, s10
	s_abs_i32 s11, s6
	v_rcp_iflag_f32_e32 v1, v1
	v_mul_f32_e32 v1, 0x4f7ffffe, v1
	v_cvt_u32_f32_e32 v1, v1
	v_readfirstlane_b32 s7, v1
	s_mul_i32 s3, s3, s7
	s_mul_hi_u32 s3, s7, s3
	s_add_i32 s7, s7, s3
	s_waitcnt lgkmcnt(0)
	s_cmp_eq_u64 s[0:1], 0
	s_mul_hi_u32 s20, s11, s7
	s_cbranch_scc1 .LBB147_3
; %bb.2:
	s_ashr_i32 s7, s6, 31
	s_lshl_b64 s[14:15], s[6:7], 2
	s_add_u32 s0, s0, s14
	s_addc_u32 s1, s1, s15
	s_load_dword s12, s[0:1], 0x0
.LBB147_3:
	s_load_dwordx4 s[16:19], s[4:5], 0x58
	s_movk_i32 s0, 0x60
	s_ashr_i32 s21, s6, 31
	s_ashr_i32 s22, s2, 31
	v_and_b32_e32 v2, 7, v0
	s_mul_i32 s14, s6, 0x60
	v_cmp_gt_u32_e64 s[0:1], s0, v0
	v_lshlrev_b32_e32 v1, 1, v0
	s_and_saveexec_b64 s[2:3], s[0:1]
	s_cbranch_execz .LBB147_5
; %bb.4:
	s_load_dwordx2 s[24:25], s[4:5], 0x18
	s_waitcnt lgkmcnt(0)
	s_mul_i32 s28, s26, s16
	s_ashr_i32 s29, s28, 31
	s_lshl_b64 s[28:29], s[28:29], 1
	v_lshrrev_b32_e32 v4, 2, v0
	s_add_u32 s7, s24, s28
	s_addc_u32 s16, s25, s29
	s_ashr_i32 s15, s14, 31
	s_lshl_b64 s[24:25], s[14:15], 1
	s_add_u32 s24, s7, s24
	s_addc_u32 s25, s16, s25
	global_load_ushort v3, v1, s[24:25]
	v_and_b32_e32 v4, 0xfe, v4
	v_mad_u32_u24 v4, v2, 24, v4
	s_waitcnt vmcnt(0)
	ds_write_b16 v4, v3
.LBB147_5:
	s_or_b64 exec, exec, s[2:3]
	s_add_i32 s2, s27, 7
	s_ashr_i32 s3, s2, 31
	s_lshr_b32 s3, s3, 29
	s_add_i32 s2, s2, s3
	s_lshl_b32 s7, s8, 6
	s_mul_i32 s3, s20, s10
	s_waitcnt lgkmcnt(0)
	s_ashr_i32 s16, s2, 3
	s_add_i32 s2, s7, 64
	s_sub_i32 s3, s11, s3
	s_min_i32 s33, s2, s16
	s_xor_b32 s2, s21, s22
	s_add_i32 s11, s20, 1
	s_sub_i32 s15, s3, s10
	s_cmp_ge_u32 s3, s10
	s_cselect_b32 s11, s11, s20
	s_cselect_b32 s3, s15, s3
	s_add_i32 s15, s11, 1
	s_cmp_ge_u32 s3, s10
	s_load_dwordx2 s[28:29], s[4:5], 0x38
	s_load_dword s10, s[4:5], 0x48
	v_lshrrev_b32_e32 v4, 6, v0
	s_cselect_b32 s3, s15, s11
	s_xor_b32 s3, s3, s2
	v_or_b32_e32 v10, s7, v4
	s_waitcnt lgkmcnt(0)
	s_mul_i32 s30, s26, s10
	s_sub_i32 s19, s3, s2
	s_ashr_i32 s31, s30, 31
	v_cmp_gt_i32_e64 s[2:3], s33, v10
	v_cmp_le_i32_e32 vcc, s33, v10
	v_mbcnt_lo_u32_b32 v3, -1, 0
	s_barrier
	s_waitcnt lgkmcnt(0)
                                        ; implicit-def: $sgpr38
                                        ; implicit-def: $vgpr6
                                        ; implicit-def: $vgpr8
	s_and_saveexec_b64 s[10:11], vcc
	s_xor_b64 s[10:11], exec, s[10:11]
; %bb.6:
	v_mbcnt_hi_u32_b32 v6, -1, v3
	v_and_b32_e32 v2, 64, v6
	v_add_u32_e32 v8, 64, v2
	s_mov_b32 s38, 0xff7fffff
                                        ; implicit-def: $vgpr2
                                        ; implicit-def: $vgpr3
; %bb.7:
	s_or_saveexec_b64 s[36:37], s[10:11]
	s_load_dwordx4 s[20:23], s[4:5], 0x0
	s_load_dwordx2 s[24:25], s[4:5], 0x10
	s_load_dwordx2 s[34:35], s[4:5], 0x28
	s_load_dword s15, s[4:5], 0x98
	v_mov_b32_e32 v24, s38
	s_mul_i32 s18, s19, s18
	v_ashrrev_i32_e32 v11, 31, v10
	v_lshlrev_b32_e32 v5, 3, v4
	s_xor_b64 exec, exec, s[36:37]
	s_cbranch_execz .LBB147_13
; %bb.8:
	s_load_dwordx2 s[4:5], s[4:5], 0x20
	s_ashr_i32 s19, s18, 31
	s_lshl_b64 s[10:11], s[18:19], 1
	v_bfe_u32 v24, v0, 3, 3
	v_lshlrev_b32_e32 v6, 4, v24
	s_waitcnt lgkmcnt(0)
	s_add_u32 s4, s4, s10
	s_addc_u32 s5, s5, s11
	v_mov_b32_e32 v7, s5
	v_add_co_u32_e32 v6, vcc, s4, v6
	v_addc_co_u32_e32 v8, vcc, 0, v7, vcc
	v_lshlrev_b32_e32 v7, 1, v2
	v_add_co_u32_e32 v7, vcc, v6, v7
	v_mbcnt_hi_u32_b32 v6, -1, v3
	v_and_b32_e32 v3, 64, v6
	v_addc_co_u32_e32 v9, vcc, 0, v8, vcc
	v_add_u32_e32 v8, 64, v3
	v_xor_b32_e32 v3, 4, v6
	v_cmp_lt_i32_e32 vcc, v3, v8
	v_cndmask_b32_e32 v3, v6, v3, vcc
	v_lshlrev_b32_e32 v25, 2, v3
	v_xor_b32_e32 v3, 2, v6
	v_cmp_lt_i32_e32 vcc, v3, v8
	v_cndmask_b32_e32 v3, v6, v3, vcc
	v_mul_u32_u24_e32 v12, 24, v2
	v_lshlrev_b32_e32 v26, 2, v3
	v_xor_b32_e32 v3, 1, v6
	ds_read2_b64 v[16:19], v12 offset1:1
	ds_read_b64 v[22:23], v12 offset:16
	v_cmp_lt_i32_e32 vcc, v3, v8
	v_cndmask_b32_e32 v3, v6, v3, vcc
	v_cmp_eq_u32_e32 vcc, 0, v2
	s_sub_i32 s19, 1, s27
	v_lshlrev_b32_e32 v2, 2, v24
	s_lshl_b64 s[10:11], s[30:31], 2
	v_lshl_or_b32 v2, v4, 5, v2
	s_add_u32 s10, s28, s10
	v_lshlrev_b32_e32 v27, 2, v3
	v_add_u32_e32 v29, 0xd0, v2
	v_lshlrev_b64 v[2:3], 2, v[10:11]
	s_addc_u32 s11, s29, s11
	v_add3_u32 v28, s42, v5, v24
	v_mov_b32_e32 v24, s11
	v_add_co_u32_e64 v2, s[10:11], s10, v2
	s_mov_b32 s43, s17
	s_waitcnt lgkmcnt(1)
	v_lshlrev_b32_e32 v12, 16, v16
	v_and_b32_e32 v13, 0xffff0000, v16
	v_lshlrev_b32_e32 v14, 16, v17
	v_and_b32_e32 v15, 0xffff0000, v17
	;; [unrolled: 2-line block ×4, first 2 shown]
	s_waitcnt lgkmcnt(0)
	v_lshlrev_b32_e32 v20, 16, v22
	v_and_b32_e32 v21, 0xffff0000, v22
	v_lshlrev_b32_e32 v22, 16, v23
	v_and_b32_e32 v23, 0xffff0000, v23
	v_cmp_neq_f32_e64 s[4:5], s12, 0
	v_addc_co_u32_e64 v3, s[10:11], v24, v3, s[10:11]
	s_mov_b64 s[38:39], 0
	v_mov_b32_e32 v24, 0xff7fffff
	v_mov_b32_e32 v30, v10
	s_branch .LBB147_10
.LBB147_9:                              ;   in Loop: Header=BB147_10 Depth=1
	s_or_b64 exec, exec, s[40:41]
	v_add_u32_e32 v30, 2, v30
	v_cmp_le_i32_e64 s[10:11], s33, v30
	s_or_b64 s[38:39], s[10:11], s[38:39]
	v_add_co_u32_e64 v2, s[10:11], 8, v2
	v_add_u32_e32 v28, 16, v28
	v_add_u32_e32 v29, 64, v29
	v_addc_co_u32_e64 v3, s[10:11], 0, v3, s[10:11]
	s_andn2_b64 exec, exec, s[38:39]
	s_cbranch_execz .LBB147_12
.LBB147_10:                             ; =>This Inner Loop Header: Depth=1
	global_load_dword v31, v[2:3], off
	s_waitcnt vmcnt(0) lgkmcnt(0)
	v_mad_i64_i32 v[32:33], s[10:11], v31, s43, 0
	v_lshlrev_b64 v[32:33], 1, v[32:33]
	v_add_co_u32_e64 v32, s[10:11], v7, v32
	v_addc_co_u32_e64 v33, s[10:11], v9, v33, s[10:11]
	global_load_ushort v31, v[32:33], off
	global_load_ushort v34, v[32:33], off offset:128
	global_load_ushort v35, v[32:33], off offset:256
	;; [unrolled: 1-line block ×11, first 2 shown]
	s_waitcnt vmcnt(11)
	v_lshlrev_b32_e32 v31, 16, v31
	s_waitcnt vmcnt(10)
	v_lshlrev_b32_e32 v32, 16, v34
	v_mul_f32_e32 v32, v13, v32
	s_waitcnt vmcnt(9)
	v_lshlrev_b32_e32 v33, 16, v35
	v_fmac_f32_e32 v32, v12, v31
	s_waitcnt vmcnt(8)
	v_lshlrev_b32_e32 v34, 16, v36
	v_fmac_f32_e32 v32, v14, v33
	;; [unrolled: 3-line block ×9, first 2 shown]
	v_fmac_f32_e32 v32, v22, v41
	s_waitcnt vmcnt(0)
	v_lshlrev_b32_e32 v31, 16, v44
	v_fmac_f32_e32 v32, v23, v31
	ds_bpermute_b32 v31, v25, v32
	s_waitcnt lgkmcnt(0)
	v_add_f32_e32 v31, v32, v31
	ds_bpermute_b32 v32, v26, v31
	s_waitcnt lgkmcnt(0)
	v_add_f32_e32 v31, v31, v32
	ds_bpermute_b32 v32, v27, v31
	s_and_saveexec_b64 s[40:41], vcc
	s_cbranch_execz .LBB147_9
; %bb.11:                               ;   in Loop: Header=BB147_10 Depth=1
	v_add_u32_e32 v33, s19, v28
	v_cvt_f32_i32_e32 v33, v33
	s_waitcnt lgkmcnt(0)
	v_add_f32_e32 v31, v31, v32
	v_cmp_gt_i32_e64 s[10:11], s27, v28
	v_max_f32_e32 v32, v24, v24
	v_mul_f32_e32 v33, s12, v33
	v_cndmask_b32_e64 v33, 0, v33, s[4:5]
	v_fmac_f32_e32 v33, s13, v31
	v_cndmask_b32_e64 v31, 0, v33, s[10:11]
	ds_write_b32 v29, v31
	v_max_f32_e32 v31, v32, v33
	v_cndmask_b32_e64 v24, v24, v31, s[10:11]
	s_branch .LBB147_9
.LBB147_12:
	s_or_b64 exec, exec, s[38:39]
.LBB147_13:
	s_or_b64 exec, exec, s[36:37]
	v_xor_b32_e32 v2, 32, v6
	v_cmp_lt_i32_e32 vcc, v2, v8
	v_cndmask_b32_e32 v2, v6, v2, vcc
	v_lshlrev_b32_e32 v3, 2, v2
	ds_bpermute_b32 v2, v3, v24
	v_xor_b32_e32 v9, 16, v6
	v_max_f32_e32 v7, v24, v24
	v_cmp_lt_i32_e32 vcc, v9, v8
	v_and_b32_e32 v16, 63, v0
	s_waitcnt lgkmcnt(0)
	v_max_f32_e32 v2, v2, v2
	v_max_f32_e32 v2, v7, v2
	v_cndmask_b32_e32 v7, v6, v9, vcc
	v_lshlrev_b32_e32 v12, 2, v7
	ds_bpermute_b32 v7, v12, v2
	v_xor_b32_e32 v9, 8, v6
	v_cmp_lt_i32_e32 vcc, v9, v8
	s_waitcnt lgkmcnt(0)
	v_max_f32_e32 v7, v7, v7
	v_max_f32_e32 v7, v2, v7
	v_cndmask_b32_e32 v2, v6, v9, vcc
	v_lshlrev_b32_e32 v13, 2, v2
	ds_bpermute_b32 v9, v13, v7
	v_cmp_eq_u32_e32 vcc, 0, v16
	v_lshlrev_b32_e32 v2, 2, v4
	s_and_saveexec_b64 s[4:5], vcc
	s_cbranch_execz .LBB147_15
; %bb.14:
	s_waitcnt lgkmcnt(0)
	v_max_f32_e32 v9, v9, v9
	v_max_f32_e32 v7, v7, v7
	;; [unrolled: 1-line block ×3, first 2 shown]
	ds_write_b32 v2, v7 offset:192
.LBB147_15:
	s_or_b64 exec, exec, s[4:5]
	v_cmp_gt_u32_e64 s[4:5], 2, v16
	v_mov_b32_e32 v7, 0xff7fffff
	s_waitcnt lgkmcnt(0)
	v_lshlrev_b32_e32 v9, 2, v16
	s_barrier
	s_and_saveexec_b64 s[10:11], s[4:5]
	s_cbranch_execz .LBB147_17
; %bb.16:
	ds_read_b32 v7, v9 offset:192
.LBB147_17:
	s_or_b64 exec, exec, s[10:11]
	v_xor_b32_e32 v14, 1, v6
	v_cmp_lt_i32_e64 s[10:11], v14, v8
	v_cndmask_b32_e64 v14, v6, v14, s[10:11]
	v_lshlrev_b32_e32 v14, 2, v14
	s_waitcnt lgkmcnt(0)
	ds_bpermute_b32 v15, v14, v7
	v_max_f32_e32 v7, v7, v7
	s_sub_i32 s7, s33, s7
	s_lshl_b32 s7, s7, 3
	s_add_i32 s7, s7, s42
	s_waitcnt lgkmcnt(0)
	v_max_f32_e32 v15, v15, v15
	v_max_f32_e32 v7, v7, v15
	v_lshlrev_b32_e32 v15, 2, v6
	v_and_b32_e32 v15, 0xffffff00, v15
	ds_bpermute_b32 v7, v15, v7
	s_min_i32 s19, s7, s27
	s_sub_i32 s7, s19, s42
	v_cmp_gt_i32_e64 s[10:11], s7, v0
	v_mov_b32_e32 v17, 0
	s_and_saveexec_b64 s[36:37], s[10:11]
	s_cbranch_execz .LBB147_21
; %bb.18:
	v_mov_b32_e32 v17, 0xd0
	v_lshl_add_u32 v18, v0, 2, v17
	s_mov_b64 s[38:39], 0
	v_mov_b32_e32 v17, 0
	v_mov_b32_e32 v19, v0
.LBB147_19:                             ; =>This Inner Loop Header: Depth=1
	ds_read_b32 v20, v18
	v_add_u32_e32 v19, 0x80, v19
	v_cmp_le_i32_e64 s[12:13], s7, v19
	s_or_b64 s[38:39], s[12:13], s[38:39]
	s_waitcnt lgkmcnt(0)
	v_sub_f32_e32 v20, v20, v7
	v_mul_f32_e32 v20, 0x3fb8aa3b, v20
	v_exp_f32_e32 v20, v20
	ds_write_b32 v18, v20
	v_add_f32_e32 v17, v17, v20
	v_add_u32_e32 v18, 0x200, v18
	s_andn2_b64 exec, exec, s[38:39]
	s_cbranch_execnz .LBB147_19
; %bb.20:
	s_or_b64 exec, exec, s[38:39]
.LBB147_21:
	s_or_b64 exec, exec, s[36:37]
	ds_bpermute_b32 v3, v3, v17
	s_waitcnt lgkmcnt(0)
	v_add_f32_e32 v3, v17, v3
	ds_bpermute_b32 v12, v12, v3
	s_waitcnt lgkmcnt(0)
	v_add_f32_e32 v3, v3, v12
	ds_bpermute_b32 v12, v13, v3
	v_xor_b32_e32 v13, 4, v6
	v_cmp_lt_i32_e64 s[12:13], v13, v8
	v_cndmask_b32_e64 v13, v6, v13, s[12:13]
	v_lshlrev_b32_e32 v13, 2, v13
	s_waitcnt lgkmcnt(0)
	v_add_f32_e32 v3, v3, v12
	ds_bpermute_b32 v12, v13, v3
	v_xor_b32_e32 v13, 2, v6
	v_cmp_lt_i32_e64 s[12:13], v13, v8
	v_cndmask_b32_e64 v6, v6, v13, s[12:13]
	v_lshlrev_b32_e32 v6, 2, v6
	s_waitcnt lgkmcnt(0)
	v_add_f32_e32 v3, v3, v12
	ds_bpermute_b32 v6, v6, v3
	s_waitcnt lgkmcnt(0)
	v_add_f32_e32 v3, v3, v6
	ds_bpermute_b32 v6, v14, v3
	s_waitcnt lgkmcnt(0)
	v_add_f32_e32 v3, v3, v6
	s_and_saveexec_b64 s[12:13], vcc
	s_cbranch_execz .LBB147_23
; %bb.22:
	ds_write_b32 v2, v3 offset:200
.LBB147_23:
	s_or_b64 exec, exec, s[12:13]
	s_waitcnt lgkmcnt(0)
	s_barrier
	s_and_saveexec_b64 s[12:13], s[4:5]
	s_cbranch_execz .LBB147_25
; %bb.24:
	ds_read_b32 v3, v9 offset:200
.LBB147_25:
	s_or_b64 exec, exec, s[12:13]
	s_waitcnt lgkmcnt(0)
	ds_bpermute_b32 v2, v14, v3
	s_waitcnt lgkmcnt(0)
	v_add_f32_e32 v2, v3, v2
	ds_bpermute_b32 v6, v15, v2
	s_and_saveexec_b64 s[4:5], s[10:11]
	s_cbranch_execz .LBB147_38
; %bb.26:
	s_waitcnt lgkmcnt(0)
	v_add_f32_e32 v2, 0x358637bd, v6
	v_div_scale_f32 v3, s[10:11], v2, v2, 1.0
	v_rcp_f32_e32 v8, v3
	v_div_scale_f32 v9, vcc, 1.0, v2, 1.0
	s_movk_i32 s10, 0x7f
	v_fma_f32 v12, -v3, v8, 1.0
	v_fmac_f32_e32 v8, v12, v8
	v_mul_f32_e32 v12, v9, v8
	v_fma_f32 v13, -v3, v12, v9
	v_fmac_f32_e32 v12, v13, v8
	v_fma_f32 v3, -v3, v12, v9
	v_div_fmas_f32 v3, v3, v8, v12
	v_div_fixup_f32 v2, v3, v2, 1.0
	v_xad_u32 v3, v0, -1, s19
	v_subrev_u32_e32 v8, s42, v3
	v_cmp_lt_u32_e32 vcc, s10, v8
	s_mov_b64 s[12:13], -1
	v_mov_b32_e32 v3, v0
	s_and_saveexec_b64 s[10:11], vcc
	s_cbranch_execz .LBB147_35
; %bb.27:
	v_lshrrev_b32_e32 v8, 7, v8
	v_add_u32_e32 v12, -1, v8
	v_lshrrev_b32_e32 v9, 1, v12
	v_mov_b32_e32 v3, v2
	v_add_u32_e32 v9, 1, v9
	v_cmp_lt_u32_e32 vcc, 13, v12
	v_mov_b32_e32 v14, 0
	s_and_saveexec_b64 s[12:13], vcc
	s_cbranch_execz .LBB147_31
; %bb.28:
	v_mov_b32_e32 v13, 0xd0
	v_and_b32_e32 v12, -8, v9
	v_lshl_add_u32 v13, v0, 2, v13
	s_mov_b32 s19, 0
	s_mov_b64 s[36:37], 0
.LBB147_29:                             ; =>This Inner Loop Header: Depth=1
	ds_read2st64_b32 v[14:15], v13 offset1:2
	ds_read2st64_b32 v[18:19], v13 offset0:4 offset1:6
	ds_read2st64_b32 v[20:21], v13 offset0:8 offset1:10
	;; [unrolled: 1-line block ×3, first 2 shown]
	v_add_u32_e32 v12, -8, v12
	s_waitcnt lgkmcnt(3)
	v_pk_mul_f32 v[14:15], v[2:3], v[14:15]
	s_waitcnt lgkmcnt(2)
	v_pk_mul_f32 v[18:19], v[2:3], v[18:19]
	ds_write2st64_b32 v13, v14, v15 offset1:2
	ds_write2st64_b32 v13, v18, v19 offset0:4 offset1:6
	ds_read2st64_b32 v[18:19], v13 offset0:16 offset1:18
	s_waitcnt lgkmcnt(4)
	v_pk_mul_f32 v[14:15], v[2:3], v[20:21]
	ds_write2st64_b32 v13, v14, v15 offset0:8 offset1:10
	s_waitcnt lgkmcnt(4)
	v_pk_mul_f32 v[14:15], v[2:3], v[22:23]
	ds_write2st64_b32 v13, v14, v15 offset0:12 offset1:14
	ds_read2st64_b32 v[14:15], v13 offset0:20 offset1:22
	s_waitcnt lgkmcnt(3)
	v_pk_mul_f32 v[18:19], v[2:3], v[18:19]
	ds_read2st64_b32 v[20:21], v13 offset0:24 offset1:26
	ds_write2st64_b32 v13, v18, v19 offset0:16 offset1:18
	ds_read2st64_b32 v[18:19], v13 offset0:28 offset1:30
	s_waitcnt lgkmcnt(3)
	v_pk_mul_f32 v[14:15], v[2:3], v[14:15]
	ds_write2st64_b32 v13, v14, v15 offset0:20 offset1:22
	s_waitcnt lgkmcnt(3)
	v_pk_mul_f32 v[14:15], v[2:3], v[20:21]
	ds_write2st64_b32 v13, v14, v15 offset0:24 offset1:26
	s_waitcnt lgkmcnt(2)
	v_pk_mul_f32 v[14:15], v[2:3], v[18:19]
	s_add_i32 s19, s19, 16
	v_cmp_eq_u32_e32 vcc, 0, v12
	ds_write2st64_b32 v13, v14, v15 offset0:28 offset1:30
	v_add_u32_e32 v13, 0x2000, v13
	s_or_b64 s[36:37], vcc, s[36:37]
	v_mov_b32_e32 v14, s19
	s_andn2_b64 exec, exec, s[36:37]
	s_cbranch_execnz .LBB147_29
; %bb.30:
	s_or_b64 exec, exec, s[36:37]
.LBB147_31:
	s_or_b64 exec, exec, s[12:13]
	v_and_b32_e32 v9, 7, v9
	v_cmp_ne_u32_e32 vcc, 0, v9
	s_and_saveexec_b64 s[12:13], vcc
	s_cbranch_execz .LBB147_34
; %bb.32:
	v_lshlrev_b32_e32 v12, 9, v14
	v_lshlrev_b32_e32 v13, 2, v0
	s_movk_i32 s19, 0xd0
	v_add3_u32 v12, v12, v13, s19
	s_mov_b64 s[36:37], 0
.LBB147_33:                             ; =>This Inner Loop Header: Depth=1
	ds_read2st64_b32 v[14:15], v12 offset1:2
	v_add_u32_e32 v9, -1, v9
	v_cmp_eq_u32_e32 vcc, 0, v9
	s_or_b64 s[36:37], vcc, s[36:37]
	s_waitcnt lgkmcnt(0)
	v_pk_mul_f32 v[14:15], v[2:3], v[14:15]
	ds_write2st64_b32 v12, v14, v15 offset1:2
	v_add_u32_e32 v12, 0x400, v12
	s_andn2_b64 exec, exec, s[36:37]
	s_cbranch_execnz .LBB147_33
.LBB147_34:
	s_or_b64 exec, exec, s[12:13]
	v_add_u32_e32 v8, 1, v8
	v_and_b32_e32 v9, 0x3fffffe, v8
	v_cmp_ne_u32_e32 vcc, v8, v9
	v_lshl_add_u32 v3, v9, 7, v0
	s_orn2_b64 s[12:13], vcc, exec
.LBB147_35:
	s_or_b64 exec, exec, s[10:11]
	s_and_b64 exec, exec, s[12:13]
	s_cbranch_execz .LBB147_38
; %bb.36:
	v_mov_b32_e32 v8, 0xd0
	v_lshl_add_u32 v8, v3, 2, v8
	s_mov_b64 s[10:11], 0
.LBB147_37:                             ; =>This Inner Loop Header: Depth=1
	ds_read_b32 v9, v8
	v_add_u32_e32 v3, 0x80, v3
	v_cmp_le_i32_e32 vcc, s7, v3
	s_or_b64 s[10:11], vcc, s[10:11]
	s_waitcnt lgkmcnt(0)
	v_mul_f32_e32 v9, v2, v9
	ds_write_b32 v8, v9
	v_add_u32_e32 v8, 0x200, v8
	s_andn2_b64 exec, exec, s[10:11]
	s_cbranch_execnz .LBB147_37
.LBB147_38:
	s_or_b64 exec, exec, s[4:5]
	s_mul_i32 s4, s15, s26
	v_cmp_eq_u32_e32 vcc, 0, v0
	s_mul_i32 s10, s4, s9
	s_waitcnt lgkmcnt(0)
	s_barrier
	s_and_saveexec_b64 s[4:5], vcc
	s_cbranch_execz .LBB147_40
; %bb.39:
	s_ashr_i32 s11, s10, 31
	s_lshl_b64 s[12:13], s[10:11], 2
	s_add_u32 s9, s22, s12
	s_mul_i32 s6, s15, s6
	s_addc_u32 s11, s23, s13
	s_ashr_i32 s7, s6, 31
	s_lshl_b64 s[6:7], s[6:7], 2
	s_add_u32 s19, s9, s6
	s_addc_u32 s11, s11, s7
	s_ashr_i32 s9, s8, 31
	s_lshl_b64 s[22:23], s[8:9], 2
	s_add_u32 s36, s19, s22
	s_addc_u32 s37, s11, s23
	s_add_u32 s9, s20, s12
	s_addc_u32 s11, s21, s13
	;; [unrolled: 2-line block ×3, first 2 shown]
	s_add_u32 s6, s6, s22
	v_mov_b32_e32 v2, 0
	s_addc_u32 s7, s7, s23
	global_store_dword v2, v7, s[36:37]
	global_store_dword v2, v6, s[6:7]
.LBB147_40:
	s_or_b64 exec, exec, s[4:5]
	v_mov_b32_e32 v13, 0
	v_mov_b32_e32 v6, v13
	s_and_saveexec_b64 s[6:7], s[2:3]
	s_cbranch_execz .LBB147_146
; %bb.41:
	s_ashr_i32 s19, s18, 31
	s_lshl_b64 s[2:3], s[18:19], 1
	s_add_u32 s11, s34, s2
	v_or_b32_e32 v3, 64, v16
	s_movk_i32 s2, 0x60
	s_addc_u32 s18, s35, s3
	s_add_i32 s19, s16, -1
	v_cmp_gt_u32_e32 vcc, s2, v3
	s_lshl_b64 s[2:3], s[30:31], 2
	v_lshlrev_b32_e32 v6, 3, v3
	v_mov_b32_e32 v3, 0xd0
	s_add_u32 s2, s28, s2
	v_add3_u32 v18, s42, v5, 7
	v_lshl_add_u32 v19, v4, 5, v3
	v_lshlrev_b64 v[4:5], 2, v[10:11]
	s_addc_u32 s3, s29, s3
	v_lshlrev_b32_e32 v2, 3, v16
	v_mov_b32_e32 v17, 0
	v_mov_b32_e32 v3, s3
	v_add_co_u32_e64 v14, s[2:3], s2, v4
	s_mov_b32 s9, s17
	v_addc_co_u32_e64 v15, s[2:3], v3, v5, s[2:3]
	s_mov_b64 s[12:13], 0
	s_mov_b32 s20, 0x7f800000
	s_movk_i32 s21, 0x7fff
	v_lshlrev_b32_e32 v11, 1, v2
	v_lshlrev_b32_e32 v20, 1, v6
	v_mov_b32_e32 v12, 0
	v_mov_b32_e32 v13, v17
	s_branch .LBB147_44
.LBB147_42:                             ;   in Loop: Header=BB147_44 Depth=1
	s_or_b64 exec, exec, s[4:5]
	v_and_b32_e32 v23, 0xffff0000, v22
	v_and_b32_e32 v22, 0xffff0000, v9
	v_and_b32_e32 v9, 0xffff0000, v21
	v_and_b32_e32 v8, 0xffff0000, v8
	v_and_b32_e32 v3, 0xffff0000, v3
	v_and_b32_e32 v2, 0xffff0000, v2
	v_pk_add_f32 v[2:3], v[2:3], v[8:9]
	v_and_b32_e32 v5, 0xffff0000, v5
	v_and_b32_e32 v4, 0xffff0000, v4
	v_mov_b32_e32 v8, v3
	v_pk_add_f32 v[2:3], v[2:3], v[8:9]
	v_pk_add_f32 v[4:5], v[4:5], v[22:23]
	;; [unrolled: 1-line block ×3, first 2 shown]
	v_mov_b32_e32 v4, v5
	v_pk_add_f32 v[2:3], v[2:3], v[4:5]
	v_mov_b32_e32 v3, v2
	v_pk_add_f32 v[12:13], v[12:13], v[2:3]
.LBB147_43:                             ;   in Loop: Header=BB147_44 Depth=1
	s_or_b64 exec, exec, s[16:17]
	v_add_co_u32_e64 v14, s[2:3], 8, v14
	v_add_u32_e32 v10, 2, v10
	v_addc_co_u32_e64 v15, s[2:3], 0, v15, s[2:3]
	v_cmp_le_i32_e64 s[2:3], s33, v10
	v_add_u32_e32 v18, 16, v18
	v_add_u32_e32 v19, 64, v19
	s_or_b64 s[12:13], s[2:3], s[12:13]
	v_mov_b32_e32 v12, v6
	s_andn2_b64 exec, exec, s[12:13]
	s_cbranch_execz .LBB147_145
.LBB147_44:                             ; =>This Inner Loop Header: Depth=1
	global_load_dword v21, v[14:15], off
	ds_read2_b64 v[6:9], v19 offset1:1
	ds_read2_b64 v[2:5], v19 offset0:2 offset1:3
	s_waitcnt lgkmcnt(1)
	v_and_b32_e32 v22, 0x7f800000, v6
	v_cmp_ne_u32_e64 s[2:3], s20, v22
                                        ; implicit-def: $vgpr22
	s_and_saveexec_b64 s[4:5], s[2:3]
	s_xor_b64 s[2:3], exec, s[4:5]
; %bb.45:                               ;   in Loop: Header=BB147_44 Depth=1
	v_bfe_u32 v22, v6, 16, 1
	v_add3_u32 v22, v6, v22, s21
; %bb.46:                               ;   in Loop: Header=BB147_44 Depth=1
	s_andn2_saveexec_b64 s[4:5], s[2:3]
; %bb.47:                               ;   in Loop: Header=BB147_44 Depth=1
	v_or_b32_e32 v22, 0x10000, v6
	v_cmp_eq_u32_sdwa s[2:3], v6, v17 src0_sel:WORD_0 src1_sel:DWORD
	v_cndmask_b32_e64 v22, v22, v6, s[2:3]
; %bb.48:                               ;   in Loop: Header=BB147_44 Depth=1
	s_or_b64 exec, exec, s[4:5]
	v_and_b32_e32 v6, 0x7f800000, v7
	v_cmp_ne_u32_e64 s[2:3], s20, v6
                                        ; implicit-def: $vgpr23
	s_and_saveexec_b64 s[4:5], s[2:3]
	s_xor_b64 s[2:3], exec, s[4:5]
; %bb.49:                               ;   in Loop: Header=BB147_44 Depth=1
	v_bfe_u32 v6, v7, 16, 1
	v_add3_u32 v23, v7, v6, s21
; %bb.50:                               ;   in Loop: Header=BB147_44 Depth=1
	s_andn2_saveexec_b64 s[4:5], s[2:3]
; %bb.51:                               ;   in Loop: Header=BB147_44 Depth=1
	v_or_b32_e32 v6, 0x10000, v7
	v_cmp_eq_u32_sdwa s[2:3], v7, v17 src0_sel:WORD_0 src1_sel:DWORD
	v_cndmask_b32_e64 v23, v6, v7, s[2:3]
; %bb.52:                               ;   in Loop: Header=BB147_44 Depth=1
	s_or_b64 exec, exec, s[4:5]
	v_and_b32_e32 v6, 0x7f800000, v8
	v_cmp_ne_u32_e64 s[2:3], s20, v6
                                        ; implicit-def: $vgpr24
	s_and_saveexec_b64 s[4:5], s[2:3]
	s_xor_b64 s[2:3], exec, s[4:5]
; %bb.53:                               ;   in Loop: Header=BB147_44 Depth=1
	v_bfe_u32 v6, v8, 16, 1
	v_add3_u32 v24, v8, v6, s21
; %bb.54:                               ;   in Loop: Header=BB147_44 Depth=1
	s_andn2_saveexec_b64 s[4:5], s[2:3]
; %bb.55:                               ;   in Loop: Header=BB147_44 Depth=1
	v_or_b32_e32 v6, 0x10000, v8
	v_cmp_eq_u32_sdwa s[2:3], v8, v17 src0_sel:WORD_0 src1_sel:DWORD
	v_cndmask_b32_e64 v24, v6, v8, s[2:3]
; %bb.56:                               ;   in Loop: Header=BB147_44 Depth=1
	s_or_b64 exec, exec, s[4:5]
	v_and_b32_e32 v6, 0x7f800000, v9
	v_cmp_ne_u32_e64 s[2:3], s20, v6
                                        ; implicit-def: $vgpr25
	s_and_saveexec_b64 s[4:5], s[2:3]
	s_xor_b64 s[2:3], exec, s[4:5]
; %bb.57:                               ;   in Loop: Header=BB147_44 Depth=1
	v_bfe_u32 v6, v9, 16, 1
	v_add3_u32 v25, v9, v6, s21
                                        ; implicit-def: $vgpr6_vgpr7_vgpr8_vgpr9
; %bb.58:                               ;   in Loop: Header=BB147_44 Depth=1
	s_andn2_saveexec_b64 s[4:5], s[2:3]
; %bb.59:                               ;   in Loop: Header=BB147_44 Depth=1
	v_or_b32_e32 v6, 0x10000, v9
	v_cmp_eq_u32_sdwa s[2:3], v9, v17 src0_sel:WORD_0 src1_sel:DWORD
	v_cndmask_b32_e64 v25, v6, v9, s[2:3]
; %bb.60:                               ;   in Loop: Header=BB147_44 Depth=1
	s_or_b64 exec, exec, s[4:5]
	s_waitcnt lgkmcnt(0)
	v_and_b32_e32 v6, 0x7f800000, v2
	v_cmp_ne_u32_e64 s[2:3], s20, v6
                                        ; implicit-def: $vgpr26
	s_and_saveexec_b64 s[4:5], s[2:3]
	s_xor_b64 s[2:3], exec, s[4:5]
; %bb.61:                               ;   in Loop: Header=BB147_44 Depth=1
	v_bfe_u32 v6, v2, 16, 1
	v_add3_u32 v26, v2, v6, s21
; %bb.62:                               ;   in Loop: Header=BB147_44 Depth=1
	s_andn2_saveexec_b64 s[4:5], s[2:3]
; %bb.63:                               ;   in Loop: Header=BB147_44 Depth=1
	v_or_b32_e32 v6, 0x10000, v2
	v_cmp_eq_u32_sdwa s[2:3], v2, v17 src0_sel:WORD_0 src1_sel:DWORD
	v_cndmask_b32_e64 v26, v6, v2, s[2:3]
; %bb.64:                               ;   in Loop: Header=BB147_44 Depth=1
	s_or_b64 exec, exec, s[4:5]
	v_and_b32_e32 v2, 0x7f800000, v3
	v_cmp_ne_u32_e64 s[2:3], s20, v2
                                        ; implicit-def: $vgpr27
	s_and_saveexec_b64 s[4:5], s[2:3]
	s_xor_b64 s[2:3], exec, s[4:5]
; %bb.65:                               ;   in Loop: Header=BB147_44 Depth=1
	v_bfe_u32 v2, v3, 16, 1
	v_add3_u32 v27, v3, v2, s21
; %bb.66:                               ;   in Loop: Header=BB147_44 Depth=1
	s_andn2_saveexec_b64 s[4:5], s[2:3]
; %bb.67:                               ;   in Loop: Header=BB147_44 Depth=1
	v_or_b32_e32 v2, 0x10000, v3
	v_cmp_eq_u32_sdwa s[2:3], v3, v17 src0_sel:WORD_0 src1_sel:DWORD
	v_cndmask_b32_e64 v27, v2, v3, s[2:3]
; %bb.68:                               ;   in Loop: Header=BB147_44 Depth=1
	s_or_b64 exec, exec, s[4:5]
	v_and_b32_e32 v2, 0x7f800000, v4
	v_cmp_ne_u32_e64 s[2:3], s20, v2
                                        ; implicit-def: $vgpr7
	s_and_saveexec_b64 s[4:5], s[2:3]
	s_xor_b64 s[2:3], exec, s[4:5]
; %bb.69:                               ;   in Loop: Header=BB147_44 Depth=1
	v_bfe_u32 v2, v4, 16, 1
	v_add3_u32 v7, v4, v2, s21
; %bb.70:                               ;   in Loop: Header=BB147_44 Depth=1
	s_andn2_saveexec_b64 s[4:5], s[2:3]
; %bb.71:                               ;   in Loop: Header=BB147_44 Depth=1
	v_or_b32_e32 v2, 0x10000, v4
	v_cmp_eq_u32_sdwa s[2:3], v4, v17 src0_sel:WORD_0 src1_sel:DWORD
	v_cndmask_b32_e64 v7, v2, v4, s[2:3]
; %bb.72:                               ;   in Loop: Header=BB147_44 Depth=1
	s_or_b64 exec, exec, s[4:5]
	v_and_b32_e32 v2, 0x7f800000, v5
	v_cmp_ne_u32_e64 s[2:3], s20, v2
                                        ; implicit-def: $vgpr6
	s_and_saveexec_b64 s[4:5], s[2:3]
	s_xor_b64 s[2:3], exec, s[4:5]
; %bb.73:                               ;   in Loop: Header=BB147_44 Depth=1
	v_bfe_u32 v2, v5, 16, 1
	v_add3_u32 v6, v5, v2, s21
                                        ; implicit-def: $vgpr2_vgpr3_vgpr4_vgpr5
; %bb.74:                               ;   in Loop: Header=BB147_44 Depth=1
	s_andn2_saveexec_b64 s[4:5], s[2:3]
; %bb.75:                               ;   in Loop: Header=BB147_44 Depth=1
	v_or_b32_e32 v2, 0x10000, v5
	v_cmp_eq_u32_sdwa s[2:3], v5, v17 src0_sel:WORD_0 src1_sel:DWORD
	v_cndmask_b32_e64 v6, v2, v5, s[2:3]
; %bb.76:                               ;   in Loop: Header=BB147_44 Depth=1
	s_or_b64 exec, exec, s[4:5]
	s_waitcnt vmcnt(0)
	v_mad_i64_i32 v[2:3], s[2:3], v21, s9, 0
	v_lshlrev_b64 v[2:3], 1, v[2:3]
	v_mov_b32_e32 v4, s18
	v_add_co_u32_e64 v9, s[2:3], s11, v2
	v_addc_co_u32_e64 v21, s[2:3], v4, v3, s[2:3]
	v_add_co_u32_e64 v2, s[2:3], v9, v11
	v_addc_co_u32_e64 v3, s[2:3], 0, v21, s[2:3]
	global_load_dwordx4 v[2:5], v[2:3], off
	v_add_u32_e32 v8, -7, v18
	v_cmp_eq_u32_e64 s[2:3], s19, v10
	s_waitcnt vmcnt(0)
	v_lshrrev_b32_e32 v31, 16, v2
	v_lshrrev_b32_e32 v29, 16, v3
	;; [unrolled: 1-line block ×4, first 2 shown]
	s_and_saveexec_b64 s[16:17], s[2:3]
	s_cbranch_execz .LBB147_78
; %bb.77:                               ;   in Loop: Header=BB147_44 Depth=1
	v_cmp_gt_i32_e64 s[4:5], s27, v8
	v_add_u32_e32 v32, -6, v18
	v_cndmask_b32_e64 v2, 0, v2, s[4:5]
	v_cmp_gt_i32_e64 s[4:5], s27, v32
	v_add_u32_e32 v32, -5, v18
	v_cndmask_b32_e64 v31, 0, v31, s[4:5]
	;; [unrolled: 3-line block ×6, first 2 shown]
	v_cmp_gt_i32_e64 s[4:5], s27, v32
	v_cndmask_b32_e64 v5, 0, v5, s[4:5]
	v_cmp_gt_i32_e64 s[4:5], s27, v18
	v_cndmask_b32_e64 v30, 0, v30, s[4:5]
.LBB147_78:                             ;   in Loop: Header=BB147_44 Depth=1
	s_or_b64 exec, exec, s[16:17]
	v_and_b32_e32 v22, 0xffff0000, v22
	v_lshlrev_b32_e32 v2, 16, v2
	v_mul_f32_e32 v32, v22, v2
	v_and_b32_e32 v2, 0x7f800000, v32
	v_cmp_ne_u32_e64 s[4:5], s20, v2
                                        ; implicit-def: $vgpr2
	s_and_saveexec_b64 s[16:17], s[4:5]
	s_xor_b64 s[4:5], exec, s[16:17]
; %bb.79:                               ;   in Loop: Header=BB147_44 Depth=1
	v_bfe_u32 v2, v32, 16, 1
	v_add3_u32 v2, v32, v2, s21
                                        ; implicit-def: $vgpr32
; %bb.80:                               ;   in Loop: Header=BB147_44 Depth=1
	s_andn2_saveexec_b64 s[16:17], s[4:5]
; %bb.81:                               ;   in Loop: Header=BB147_44 Depth=1
	v_or_b32_e32 v2, 0x10000, v32
	v_cmp_eq_u32_sdwa s[4:5], v32, v17 src0_sel:WORD_0 src1_sel:DWORD
	v_cndmask_b32_e64 v2, v2, v32, s[4:5]
; %bb.82:                               ;   in Loop: Header=BB147_44 Depth=1
	s_or_b64 exec, exec, s[16:17]
	v_and_b32_e32 v23, 0xffff0000, v23
	v_lshlrev_b32_e32 v31, 16, v31
	v_mul_f32_e32 v32, v23, v31
	v_and_b32_e32 v31, 0x7f800000, v32
	v_cmp_ne_u32_e64 s[4:5], s20, v31
                                        ; implicit-def: $vgpr31
	s_and_saveexec_b64 s[16:17], s[4:5]
	s_xor_b64 s[4:5], exec, s[16:17]
; %bb.83:                               ;   in Loop: Header=BB147_44 Depth=1
	v_bfe_u32 v31, v32, 16, 1
	v_add3_u32 v31, v32, v31, s21
                                        ; implicit-def: $vgpr32
; %bb.84:                               ;   in Loop: Header=BB147_44 Depth=1
	s_andn2_saveexec_b64 s[16:17], s[4:5]
; %bb.85:                               ;   in Loop: Header=BB147_44 Depth=1
	v_or_b32_e32 v31, 0x10000, v32
	v_cmp_eq_u32_sdwa s[4:5], v32, v17 src0_sel:WORD_0 src1_sel:DWORD
	v_cndmask_b32_e64 v31, v31, v32, s[4:5]
; %bb.86:                               ;   in Loop: Header=BB147_44 Depth=1
	s_or_b64 exec, exec, s[16:17]
	v_and_b32_e32 v24, 0xffff0000, v24
	v_lshlrev_b32_e32 v3, 16, v3
	v_mul_f32_e32 v32, v24, v3
	v_and_b32_e32 v3, 0x7f800000, v32
	v_cmp_ne_u32_e64 s[4:5], s20, v3
                                        ; implicit-def: $vgpr3
	s_and_saveexec_b64 s[16:17], s[4:5]
	s_xor_b64 s[4:5], exec, s[16:17]
; %bb.87:                               ;   in Loop: Header=BB147_44 Depth=1
	v_bfe_u32 v3, v32, 16, 1
	v_add3_u32 v3, v32, v3, s21
                                        ; implicit-def: $vgpr32
; %bb.88:                               ;   in Loop: Header=BB147_44 Depth=1
	s_andn2_saveexec_b64 s[16:17], s[4:5]
; %bb.89:                               ;   in Loop: Header=BB147_44 Depth=1
	v_or_b32_e32 v3, 0x10000, v32
	v_cmp_eq_u32_sdwa s[4:5], v32, v17 src0_sel:WORD_0 src1_sel:DWORD
	v_cndmask_b32_e64 v3, v3, v32, s[4:5]
; %bb.90:                               ;   in Loop: Header=BB147_44 Depth=1
	s_or_b64 exec, exec, s[16:17]
	v_and_b32_e32 v25, 0xffff0000, v25
	v_lshlrev_b32_e32 v29, 16, v29
	v_mul_f32_e32 v29, v25, v29
	v_and_b32_e32 v32, 0x7f800000, v29
	v_cmp_ne_u32_e64 s[4:5], s20, v32
                                        ; implicit-def: $vgpr32
	s_and_saveexec_b64 s[16:17], s[4:5]
	s_xor_b64 s[4:5], exec, s[16:17]
; %bb.91:                               ;   in Loop: Header=BB147_44 Depth=1
	v_bfe_u32 v32, v29, 16, 1
	v_add3_u32 v32, v29, v32, s21
                                        ; implicit-def: $vgpr29
; %bb.92:                               ;   in Loop: Header=BB147_44 Depth=1
	s_andn2_saveexec_b64 s[16:17], s[4:5]
; %bb.93:                               ;   in Loop: Header=BB147_44 Depth=1
	v_or_b32_e32 v32, 0x10000, v29
	v_cmp_eq_u32_sdwa s[4:5], v29, v17 src0_sel:WORD_0 src1_sel:DWORD
	v_cndmask_b32_e64 v32, v32, v29, s[4:5]
; %bb.94:                               ;   in Loop: Header=BB147_44 Depth=1
	s_or_b64 exec, exec, s[16:17]
	v_and_b32_e32 v26, 0xffff0000, v26
	v_lshlrev_b32_e32 v4, 16, v4
	v_mul_f32_e32 v29, v26, v4
	v_and_b32_e32 v4, 0x7f800000, v29
	v_cmp_ne_u32_e64 s[4:5], s20, v4
                                        ; implicit-def: $vgpr4
	s_and_saveexec_b64 s[16:17], s[4:5]
	s_xor_b64 s[4:5], exec, s[16:17]
; %bb.95:                               ;   in Loop: Header=BB147_44 Depth=1
	v_bfe_u32 v4, v29, 16, 1
	v_add3_u32 v4, v29, v4, s21
                                        ; implicit-def: $vgpr29
; %bb.96:                               ;   in Loop: Header=BB147_44 Depth=1
	s_andn2_saveexec_b64 s[16:17], s[4:5]
; %bb.97:                               ;   in Loop: Header=BB147_44 Depth=1
	v_or_b32_e32 v4, 0x10000, v29
	v_cmp_eq_u32_sdwa s[4:5], v29, v17 src0_sel:WORD_0 src1_sel:DWORD
	v_cndmask_b32_e64 v4, v4, v29, s[4:5]
; %bb.98:                               ;   in Loop: Header=BB147_44 Depth=1
	s_or_b64 exec, exec, s[16:17]
	v_and_b32_e32 v27, 0xffff0000, v27
	v_lshlrev_b32_e32 v28, 16, v28
	v_mul_f32_e32 v28, v27, v28
	v_and_b32_e32 v29, 0x7f800000, v28
	v_cmp_ne_u32_e64 s[4:5], s20, v29
                                        ; implicit-def: $vgpr33
	s_and_saveexec_b64 s[16:17], s[4:5]
	s_xor_b64 s[4:5], exec, s[16:17]
; %bb.99:                               ;   in Loop: Header=BB147_44 Depth=1
	v_bfe_u32 v29, v28, 16, 1
	v_add3_u32 v33, v28, v29, s21
                                        ; implicit-def: $vgpr28
; %bb.100:                              ;   in Loop: Header=BB147_44 Depth=1
	s_andn2_saveexec_b64 s[16:17], s[4:5]
; %bb.101:                              ;   in Loop: Header=BB147_44 Depth=1
	v_or_b32_e32 v29, 0x10000, v28
	v_cmp_eq_u32_sdwa s[4:5], v28, v17 src0_sel:WORD_0 src1_sel:DWORD
	v_cndmask_b32_e64 v33, v29, v28, s[4:5]
; %bb.102:                              ;   in Loop: Header=BB147_44 Depth=1
	s_or_b64 exec, exec, s[16:17]
	v_and_b32_e32 v28, 0xffff0000, v7
	v_lshlrev_b32_e32 v5, 16, v5
	v_mul_f32_e32 v7, v28, v5
	v_and_b32_e32 v5, 0x7f800000, v7
	v_cmp_ne_u32_e64 s[4:5], s20, v5
                                        ; implicit-def: $vgpr5
	s_and_saveexec_b64 s[16:17], s[4:5]
	s_xor_b64 s[4:5], exec, s[16:17]
; %bb.103:                              ;   in Loop: Header=BB147_44 Depth=1
	v_bfe_u32 v5, v7, 16, 1
	v_add3_u32 v5, v7, v5, s21
                                        ; implicit-def: $vgpr7
; %bb.104:                              ;   in Loop: Header=BB147_44 Depth=1
	s_andn2_saveexec_b64 s[16:17], s[4:5]
; %bb.105:                              ;   in Loop: Header=BB147_44 Depth=1
	v_or_b32_e32 v5, 0x10000, v7
	v_cmp_eq_u32_sdwa s[4:5], v7, v17 src0_sel:WORD_0 src1_sel:DWORD
	v_cndmask_b32_e64 v5, v5, v7, s[4:5]
; %bb.106:                              ;   in Loop: Header=BB147_44 Depth=1
	s_or_b64 exec, exec, s[16:17]
	v_and_b32_e32 v29, 0xffff0000, v6
	v_lshlrev_b32_e32 v6, 16, v30
	v_mul_f32_e32 v6, v29, v6
	v_and_b32_e32 v7, 0x7f800000, v6
	v_cmp_ne_u32_e64 s[4:5], s20, v7
                                        ; implicit-def: $vgpr7
	s_and_saveexec_b64 s[16:17], s[4:5]
	s_xor_b64 s[4:5], exec, s[16:17]
; %bb.107:                              ;   in Loop: Header=BB147_44 Depth=1
	v_bfe_u32 v7, v6, 16, 1
	v_add3_u32 v7, v6, v7, s21
                                        ; implicit-def: $vgpr6
; %bb.108:                              ;   in Loop: Header=BB147_44 Depth=1
	s_andn2_saveexec_b64 s[16:17], s[4:5]
; %bb.109:                              ;   in Loop: Header=BB147_44 Depth=1
	v_or_b32_e32 v7, 0x10000, v6
	v_cmp_eq_u32_sdwa s[4:5], v6, v17 src0_sel:WORD_0 src1_sel:DWORD
	v_cndmask_b32_e64 v7, v7, v6, s[4:5]
; %bb.110:                              ;   in Loop: Header=BB147_44 Depth=1
	s_or_b64 exec, exec, s[16:17]
	v_and_b32_e32 v6, 0xffff0000, v33
	v_and_b32_e32 v33, 0xffff0000, v32
	;; [unrolled: 1-line block ×5, first 2 shown]
	v_pk_add_f32 v[2:3], v[2:3], v[32:33]
	v_and_b32_e32 v7, 0xffff0000, v7
	v_and_b32_e32 v5, 0xffff0000, v5
	;; [unrolled: 1-line block ×3, first 2 shown]
	v_mov_b32_e32 v30, v3
	v_pk_add_f32 v[2:3], v[2:3], v[30:31]
	v_pk_add_f32 v[4:5], v[4:5], v[6:7]
	;; [unrolled: 1-line block ×3, first 2 shown]
	v_mov_b32_e32 v4, v5
	v_pk_add_f32 v[2:3], v[2:3], v[4:5]
	v_pk_add_f32 v[6:7], v[12:13], v[2:3]
	s_and_saveexec_b64 s[16:17], vcc
	s_cbranch_execz .LBB147_43
; %bb.111:                              ;   in Loop: Header=BB147_44 Depth=1
	v_add_co_u32_e64 v2, s[4:5], v9, v20
	v_addc_co_u32_e64 v3, s[4:5], 0, v21, s[4:5]
	global_load_dwordx4 v[2:5], v[2:3], off
	s_waitcnt vmcnt(0)
	v_lshrrev_b32_e32 v30, 16, v2
	v_lshrrev_b32_e32 v21, 16, v3
	;; [unrolled: 1-line block ×4, first 2 shown]
	s_and_saveexec_b64 s[4:5], s[2:3]
	s_cbranch_execz .LBB147_113
; %bb.112:                              ;   in Loop: Header=BB147_44 Depth=1
	v_cmp_gt_i32_e64 s[2:3], s27, v8
	v_add_u32_e32 v8, -6, v18
	v_cndmask_b32_e64 v2, 0, v2, s[2:3]
	v_cmp_gt_i32_e64 s[2:3], s27, v8
	v_add_u32_e32 v8, -5, v18
	v_cndmask_b32_e64 v30, 0, v30, s[2:3]
	;; [unrolled: 3-line block ×6, first 2 shown]
	v_cmp_gt_i32_e64 s[2:3], s27, v8
	v_cndmask_b32_e64 v5, 0, v5, s[2:3]
	v_cmp_gt_i32_e64 s[2:3], s27, v18
	v_cndmask_b32_e64 v7, 0, v7, s[2:3]
.LBB147_113:                            ;   in Loop: Header=BB147_44 Depth=1
	s_or_b64 exec, exec, s[4:5]
	v_lshlrev_b32_e32 v2, 16, v2
	v_mul_f32_e32 v8, v22, v2
	v_and_b32_e32 v2, 0x7f800000, v8
	v_cmp_ne_u32_e64 s[2:3], s20, v2
                                        ; implicit-def: $vgpr2
	s_and_saveexec_b64 s[4:5], s[2:3]
	s_xor_b64 s[2:3], exec, s[4:5]
; %bb.114:                              ;   in Loop: Header=BB147_44 Depth=1
	v_bfe_u32 v2, v8, 16, 1
	v_add3_u32 v2, v8, v2, s21
                                        ; implicit-def: $vgpr8
; %bb.115:                              ;   in Loop: Header=BB147_44 Depth=1
	s_andn2_saveexec_b64 s[4:5], s[2:3]
; %bb.116:                              ;   in Loop: Header=BB147_44 Depth=1
	v_or_b32_e32 v2, 0x10000, v8
	v_cmp_eq_u32_sdwa s[2:3], v8, v17 src0_sel:WORD_0 src1_sel:DWORD
	v_cndmask_b32_e64 v2, v2, v8, s[2:3]
; %bb.117:                              ;   in Loop: Header=BB147_44 Depth=1
	s_or_b64 exec, exec, s[4:5]
	v_lshlrev_b32_e32 v8, 16, v30
	v_mul_f32_e32 v22, v23, v8
	v_and_b32_e32 v8, 0x7f800000, v22
	v_cmp_ne_u32_e64 s[2:3], s20, v8
                                        ; implicit-def: $vgpr8
	s_and_saveexec_b64 s[4:5], s[2:3]
	s_xor_b64 s[2:3], exec, s[4:5]
; %bb.118:                              ;   in Loop: Header=BB147_44 Depth=1
	v_bfe_u32 v8, v22, 16, 1
	v_add3_u32 v8, v22, v8, s21
                                        ; implicit-def: $vgpr22
; %bb.119:                              ;   in Loop: Header=BB147_44 Depth=1
	s_andn2_saveexec_b64 s[4:5], s[2:3]
; %bb.120:                              ;   in Loop: Header=BB147_44 Depth=1
	v_or_b32_e32 v8, 0x10000, v22
	v_cmp_eq_u32_sdwa s[2:3], v22, v17 src0_sel:WORD_0 src1_sel:DWORD
	v_cndmask_b32_e64 v8, v8, v22, s[2:3]
; %bb.121:                              ;   in Loop: Header=BB147_44 Depth=1
	s_or_b64 exec, exec, s[4:5]
	v_lshlrev_b32_e32 v3, 16, v3
	v_mul_f32_e32 v22, v24, v3
	v_and_b32_e32 v3, 0x7f800000, v22
	v_cmp_ne_u32_e64 s[2:3], s20, v3
                                        ; implicit-def: $vgpr3
	s_and_saveexec_b64 s[4:5], s[2:3]
	s_xor_b64 s[2:3], exec, s[4:5]
; %bb.122:                              ;   in Loop: Header=BB147_44 Depth=1
	v_bfe_u32 v3, v22, 16, 1
	v_add3_u32 v3, v22, v3, s21
                                        ; implicit-def: $vgpr22
; %bb.123:                              ;   in Loop: Header=BB147_44 Depth=1
	s_andn2_saveexec_b64 s[4:5], s[2:3]
; %bb.124:                              ;   in Loop: Header=BB147_44 Depth=1
	v_or_b32_e32 v3, 0x10000, v22
	v_cmp_eq_u32_sdwa s[2:3], v22, v17 src0_sel:WORD_0 src1_sel:DWORD
	v_cndmask_b32_e64 v3, v3, v22, s[2:3]
; %bb.125:                              ;   in Loop: Header=BB147_44 Depth=1
	s_or_b64 exec, exec, s[4:5]
	v_lshlrev_b32_e32 v21, 16, v21
	v_mul_f32_e32 v22, v25, v21
	v_and_b32_e32 v21, 0x7f800000, v22
	v_cmp_ne_u32_e64 s[2:3], s20, v21
                                        ; implicit-def: $vgpr21
	s_and_saveexec_b64 s[4:5], s[2:3]
	s_xor_b64 s[2:3], exec, s[4:5]
; %bb.126:                              ;   in Loop: Header=BB147_44 Depth=1
	v_bfe_u32 v21, v22, 16, 1
	v_add3_u32 v21, v22, v21, s21
                                        ; implicit-def: $vgpr22
; %bb.127:                              ;   in Loop: Header=BB147_44 Depth=1
	s_andn2_saveexec_b64 s[4:5], s[2:3]
; %bb.128:                              ;   in Loop: Header=BB147_44 Depth=1
	v_or_b32_e32 v21, 0x10000, v22
	v_cmp_eq_u32_sdwa s[2:3], v22, v17 src0_sel:WORD_0 src1_sel:DWORD
	v_cndmask_b32_e64 v21, v21, v22, s[2:3]
; %bb.129:                              ;   in Loop: Header=BB147_44 Depth=1
	s_or_b64 exec, exec, s[4:5]
	v_lshlrev_b32_e32 v4, 16, v4
	v_mul_f32_e32 v22, v26, v4
	v_and_b32_e32 v4, 0x7f800000, v22
	v_cmp_ne_u32_e64 s[2:3], s20, v4
                                        ; implicit-def: $vgpr4
	s_and_saveexec_b64 s[4:5], s[2:3]
	s_xor_b64 s[2:3], exec, s[4:5]
; %bb.130:                              ;   in Loop: Header=BB147_44 Depth=1
	v_bfe_u32 v4, v22, 16, 1
	v_add3_u32 v4, v22, v4, s21
                                        ; implicit-def: $vgpr22
; %bb.131:                              ;   in Loop: Header=BB147_44 Depth=1
	s_andn2_saveexec_b64 s[4:5], s[2:3]
; %bb.132:                              ;   in Loop: Header=BB147_44 Depth=1
	v_or_b32_e32 v4, 0x10000, v22
	v_cmp_eq_u32_sdwa s[2:3], v22, v17 src0_sel:WORD_0 src1_sel:DWORD
	v_cndmask_b32_e64 v4, v4, v22, s[2:3]
; %bb.133:                              ;   in Loop: Header=BB147_44 Depth=1
	s_or_b64 exec, exec, s[4:5]
	v_lshlrev_b32_e32 v9, 16, v9
	v_mul_f32_e32 v22, v27, v9
	v_and_b32_e32 v9, 0x7f800000, v22
	v_cmp_ne_u32_e64 s[2:3], s20, v9
                                        ; implicit-def: $vgpr9
	s_and_saveexec_b64 s[4:5], s[2:3]
	s_xor_b64 s[2:3], exec, s[4:5]
; %bb.134:                              ;   in Loop: Header=BB147_44 Depth=1
	v_bfe_u32 v9, v22, 16, 1
	v_add3_u32 v9, v22, v9, s21
                                        ; implicit-def: $vgpr22
; %bb.135:                              ;   in Loop: Header=BB147_44 Depth=1
	s_andn2_saveexec_b64 s[4:5], s[2:3]
; %bb.136:                              ;   in Loop: Header=BB147_44 Depth=1
	v_or_b32_e32 v9, 0x10000, v22
	v_cmp_eq_u32_sdwa s[2:3], v22, v17 src0_sel:WORD_0 src1_sel:DWORD
	v_cndmask_b32_e64 v9, v9, v22, s[2:3]
; %bb.137:                              ;   in Loop: Header=BB147_44 Depth=1
	s_or_b64 exec, exec, s[4:5]
	v_lshlrev_b32_e32 v5, 16, v5
	v_mul_f32_e32 v22, v28, v5
	v_and_b32_e32 v5, 0x7f800000, v22
	v_cmp_ne_u32_e64 s[2:3], s20, v5
                                        ; implicit-def: $vgpr5
	s_and_saveexec_b64 s[4:5], s[2:3]
	s_xor_b64 s[2:3], exec, s[4:5]
; %bb.138:                              ;   in Loop: Header=BB147_44 Depth=1
	v_bfe_u32 v5, v22, 16, 1
	v_add3_u32 v5, v22, v5, s21
                                        ; implicit-def: $vgpr22
; %bb.139:                              ;   in Loop: Header=BB147_44 Depth=1
	s_andn2_saveexec_b64 s[4:5], s[2:3]
; %bb.140:                              ;   in Loop: Header=BB147_44 Depth=1
	v_or_b32_e32 v5, 0x10000, v22
	v_cmp_eq_u32_sdwa s[2:3], v22, v17 src0_sel:WORD_0 src1_sel:DWORD
	v_cndmask_b32_e64 v5, v5, v22, s[2:3]
; %bb.141:                              ;   in Loop: Header=BB147_44 Depth=1
	s_or_b64 exec, exec, s[4:5]
	v_lshlrev_b32_e32 v7, 16, v7
	v_mul_f32_e32 v7, v29, v7
	v_and_b32_e32 v22, 0x7f800000, v7
	v_cmp_ne_u32_e64 s[2:3], s20, v22
                                        ; implicit-def: $vgpr22
	s_and_saveexec_b64 s[4:5], s[2:3]
	s_xor_b64 s[2:3], exec, s[4:5]
; %bb.142:                              ;   in Loop: Header=BB147_44 Depth=1
	v_bfe_u32 v22, v7, 16, 1
	v_add3_u32 v22, v7, v22, s21
                                        ; implicit-def: $vgpr7
; %bb.143:                              ;   in Loop: Header=BB147_44 Depth=1
	s_andn2_saveexec_b64 s[4:5], s[2:3]
	s_cbranch_execz .LBB147_42
; %bb.144:                              ;   in Loop: Header=BB147_44 Depth=1
	v_or_b32_e32 v22, 0x10000, v7
	v_cmp_eq_u32_sdwa s[2:3], v7, v17 src0_sel:WORD_0 src1_sel:DWORD
	v_cndmask_b32_e64 v22, v22, v7, s[2:3]
	s_branch .LBB147_42
.LBB147_145:
	s_or_b64 exec, exec, s[12:13]
.LBB147_146:
	s_or_b64 exec, exec, s[6:7]
	v_and_b32_e32 v2, 0x3c0, v0
	v_cmp_eq_u32_e32 vcc, 64, v2
	s_barrier
	s_and_saveexec_b64 s[2:3], vcc
	s_cbranch_execz .LBB147_149
; %bb.147:
	v_mov_b32_e32 v2, 0xd0
	v_lshl_add_u32 v3, v16, 2, v2
	ds_write_b32 v3, v6
	s_and_b64 exec, exec, s[0:1]
	s_cbranch_execz .LBB147_149
; %bb.148:
	v_lshl_add_u32 v2, v0, 2, v2
	ds_write_b32 v2, v13
.LBB147_149:
	s_or_b64 exec, exec, s[2:3]
	v_cmp_gt_u32_e32 vcc, 64, v0
	v_or_b32_e32 v2, 64, v0
	s_waitcnt lgkmcnt(0)
	s_barrier
	s_and_saveexec_b64 s[2:3], vcc
	s_cbranch_execz .LBB147_153
; %bb.150:
	v_mov_b32_e32 v3, 0xd0
	v_lshl_add_u32 v3, v0, 2, v3
	ds_read_b32 v0, v3
	s_movk_i32 s0, 0x60
	v_cmp_gt_u32_e64 s[0:1], s0, v2
	s_and_saveexec_b64 s[4:5], s[0:1]
	s_cbranch_execz .LBB147_152
; %bb.151:
	ds_read_b32 v3, v3 offset:256
	s_waitcnt lgkmcnt(0)
	v_add_f32_e32 v13, v13, v3
.LBB147_152:
	s_or_b64 exec, exec, s[4:5]
	s_waitcnt lgkmcnt(0)
	v_add_f32_e32 v6, v6, v0
.LBB147_153:
	s_or_b64 exec, exec, s[2:3]
	s_barrier
	s_and_saveexec_b64 s[0:1], vcc
	s_cbranch_execz .LBB147_164
; %bb.154:
	s_mov_b32 s0, 0x7f800000
	v_and_b32_e32 v0, 0x7f800000, v6
	v_cmp_ne_u32_e32 vcc, s0, v0
                                        ; implicit-def: $vgpr0
	s_and_saveexec_b64 s[0:1], vcc
	s_xor_b64 s[0:1], exec, s[0:1]
; %bb.155:
	v_bfe_u32 v0, v6, 16, 1
	s_movk_i32 s2, 0x7fff
	v_add3_u32 v0, v6, v0, s2
                                        ; implicit-def: $vgpr6
; %bb.156:
	s_andn2_saveexec_b64 s[0:1], s[0:1]
; %bb.157:
	v_mov_b32_e32 v0, 0
	v_or_b32_e32 v3, 0x10000, v6
	v_cmp_eq_u32_sdwa vcc, v6, v0 src0_sel:WORD_0 src1_sel:DWORD
	v_cndmask_b32_e32 v0, v3, v6, vcc
; %bb.158:
	s_or_b64 exec, exec, s[0:1]
	s_mul_i32 s0, s10, 0x60
	s_ashr_i32 s1, s0, 31
	s_lshl_b64 s[0:1], s[0:1], 1
	s_add_u32 s3, s24, s0
	s_mul_i32 s0, s15, s14
	s_addc_u32 s4, s25, s1
	s_ashr_i32 s1, s0, 31
	s_lshl_b64 s[0:1], s[0:1], 1
	s_add_u32 s3, s3, s0
	s_mul_i32 s0, s8, 0x60
	s_addc_u32 s4, s4, s1
	s_ashr_i32 s1, s0, 31
	s_lshl_b64 s[0:1], s[0:1], 1
	s_movk_i32 s2, 0x60
	s_add_u32 s0, s3, s0
	s_addc_u32 s1, s4, s1
	v_cmp_gt_u32_e32 vcc, s2, v2
	global_store_short_d16_hi v1, v0, s[0:1]
	s_and_b64 exec, exec, vcc
	s_cbranch_execz .LBB147_164
; %bb.159:
	v_mov_b32_e32 v2, s1
	v_add_co_u32_e32 v0, vcc, s0, v1
	v_addc_co_u32_e32 v1, vcc, 0, v2, vcc
	s_mov_b32 s0, 0x7f800000
	v_and_b32_e32 v2, 0x7f800000, v13
	v_cmp_ne_u32_e32 vcc, s0, v2
                                        ; implicit-def: $vgpr2
	s_and_saveexec_b64 s[0:1], vcc
	s_xor_b64 s[0:1], exec, s[0:1]
; %bb.160:
	v_bfe_u32 v2, v13, 16, 1
	s_movk_i32 s2, 0x7fff
	v_add3_u32 v2, v13, v2, s2
                                        ; implicit-def: $vgpr13
; %bb.161:
	s_andn2_saveexec_b64 s[0:1], s[0:1]
; %bb.162:
	v_mov_b32_e32 v2, 0
	v_or_b32_e32 v3, 0x10000, v13
	v_cmp_eq_u32_sdwa vcc, v13, v2 src0_sel:WORD_0 src1_sel:DWORD
	v_cndmask_b32_e32 v2, v3, v13, vcc
; %bb.163:
	s_or_b64 exec, exec, s[0:1]
	global_store_short_d16_hi v[0:1], v2, off offset:128
.LBB147_164:
	s_endpgm
	.section	.rodata,"a",@progbits
	.p2align	6, 0x0
	.amdhsa_kernel _ZN4vllm25paged_attention_v2_kernelI14__hip_bfloat16S1_Li96ELi8ELi128ELNS_18Fp8KVCacheDataTypeE0ELb0ELi512EEEvPfS3_PT_PKS4_PKT0_SA_ifPKiSC_iPKfiiiSE_SE_iiiii
		.amdhsa_group_segment_fixed_size 208
		.amdhsa_private_segment_fixed_size 0
		.amdhsa_kernarg_size 400
		.amdhsa_user_sgpr_count 6
		.amdhsa_user_sgpr_private_segment_buffer 1
		.amdhsa_user_sgpr_dispatch_ptr 0
		.amdhsa_user_sgpr_queue_ptr 0
		.amdhsa_user_sgpr_kernarg_segment_ptr 1
		.amdhsa_user_sgpr_dispatch_id 0
		.amdhsa_user_sgpr_flat_scratch_init 0
		.amdhsa_user_sgpr_kernarg_preload_length 0
		.amdhsa_user_sgpr_kernarg_preload_offset 0
		.amdhsa_user_sgpr_private_segment_size 0
		.amdhsa_uses_dynamic_stack 0
		.amdhsa_system_sgpr_private_segment_wavefront_offset 0
		.amdhsa_system_sgpr_workgroup_id_x 1
		.amdhsa_system_sgpr_workgroup_id_y 1
		.amdhsa_system_sgpr_workgroup_id_z 1
		.amdhsa_system_sgpr_workgroup_info 0
		.amdhsa_system_vgpr_workitem_id 0
		.amdhsa_next_free_vgpr 45
		.amdhsa_next_free_sgpr 44
		.amdhsa_accum_offset 48
		.amdhsa_reserve_vcc 1
		.amdhsa_reserve_flat_scratch 0
		.amdhsa_float_round_mode_32 0
		.amdhsa_float_round_mode_16_64 0
		.amdhsa_float_denorm_mode_32 3
		.amdhsa_float_denorm_mode_16_64 3
		.amdhsa_dx10_clamp 1
		.amdhsa_ieee_mode 1
		.amdhsa_fp16_overflow 0
		.amdhsa_tg_split 0
		.amdhsa_exception_fp_ieee_invalid_op 0
		.amdhsa_exception_fp_denorm_src 0
		.amdhsa_exception_fp_ieee_div_zero 0
		.amdhsa_exception_fp_ieee_overflow 0
		.amdhsa_exception_fp_ieee_underflow 0
		.amdhsa_exception_fp_ieee_inexact 0
		.amdhsa_exception_int_div_zero 0
	.end_amdhsa_kernel
	.section	.text._ZN4vllm25paged_attention_v2_kernelI14__hip_bfloat16S1_Li96ELi8ELi128ELNS_18Fp8KVCacheDataTypeE0ELb0ELi512EEEvPfS3_PT_PKS4_PKT0_SA_ifPKiSC_iPKfiiiSE_SE_iiiii,"axG",@progbits,_ZN4vllm25paged_attention_v2_kernelI14__hip_bfloat16S1_Li96ELi8ELi128ELNS_18Fp8KVCacheDataTypeE0ELb0ELi512EEEvPfS3_PT_PKS4_PKT0_SA_ifPKiSC_iPKfiiiSE_SE_iiiii,comdat
.Lfunc_end147:
	.size	_ZN4vllm25paged_attention_v2_kernelI14__hip_bfloat16S1_Li96ELi8ELi128ELNS_18Fp8KVCacheDataTypeE0ELb0ELi512EEEvPfS3_PT_PKS4_PKT0_SA_ifPKiSC_iPKfiiiSE_SE_iiiii, .Lfunc_end147-_ZN4vllm25paged_attention_v2_kernelI14__hip_bfloat16S1_Li96ELi8ELi128ELNS_18Fp8KVCacheDataTypeE0ELb0ELi512EEEvPfS3_PT_PKS4_PKT0_SA_ifPKiSC_iPKfiiiSE_SE_iiiii
                                        ; -- End function
	.section	.AMDGPU.csdata,"",@progbits
; Kernel info:
; codeLenInByte = 6296
; NumSgprs: 48
; NumVgprs: 45
; NumAgprs: 0
; TotalNumVgprs: 45
; ScratchSize: 0
; MemoryBound: 0
; FloatMode: 240
; IeeeMode: 1
; LDSByteSize: 208 bytes/workgroup (compile time only)
; SGPRBlocks: 5
; VGPRBlocks: 5
; NumSGPRsForWavesPerEU: 48
; NumVGPRsForWavesPerEU: 45
; AccumOffset: 48
; Occupancy: 8
; WaveLimiterHint : 1
; COMPUTE_PGM_RSRC2:SCRATCH_EN: 0
; COMPUTE_PGM_RSRC2:USER_SGPR: 6
; COMPUTE_PGM_RSRC2:TRAP_HANDLER: 0
; COMPUTE_PGM_RSRC2:TGID_X_EN: 1
; COMPUTE_PGM_RSRC2:TGID_Y_EN: 1
; COMPUTE_PGM_RSRC2:TGID_Z_EN: 1
; COMPUTE_PGM_RSRC2:TIDIG_COMP_CNT: 0
; COMPUTE_PGM_RSRC3_GFX90A:ACCUM_OFFSET: 11
; COMPUTE_PGM_RSRC3_GFX90A:TG_SPLIT: 0
	.section	.text._ZN4vllm25paged_attention_v2_kernelI14__hip_bfloat16S1_Li112ELi8ELi128ELNS_18Fp8KVCacheDataTypeE0ELb0ELi512EEEvPfS3_PT_PKS4_PKT0_SA_ifPKiSC_iPKfiiiSE_SE_iiiii,"axG",@progbits,_ZN4vllm25paged_attention_v2_kernelI14__hip_bfloat16S1_Li112ELi8ELi128ELNS_18Fp8KVCacheDataTypeE0ELb0ELi512EEEvPfS3_PT_PKS4_PKT0_SA_ifPKiSC_iPKfiiiSE_SE_iiiii,comdat
	.protected	_ZN4vllm25paged_attention_v2_kernelI14__hip_bfloat16S1_Li112ELi8ELi128ELNS_18Fp8KVCacheDataTypeE0ELb0ELi512EEEvPfS3_PT_PKS4_PKT0_SA_ifPKiSC_iPKfiiiSE_SE_iiiii ; -- Begin function _ZN4vllm25paged_attention_v2_kernelI14__hip_bfloat16S1_Li112ELi8ELi128ELNS_18Fp8KVCacheDataTypeE0ELb0ELi512EEEvPfS3_PT_PKS4_PKT0_SA_ifPKiSC_iPKfiiiSE_SE_iiiii
	.globl	_ZN4vllm25paged_attention_v2_kernelI14__hip_bfloat16S1_Li112ELi8ELi128ELNS_18Fp8KVCacheDataTypeE0ELb0ELi512EEEvPfS3_PT_PKS4_PKT0_SA_ifPKiSC_iPKfiiiSE_SE_iiiii
	.p2align	8
	.type	_ZN4vllm25paged_attention_v2_kernelI14__hip_bfloat16S1_Li112ELi8ELi128ELNS_18Fp8KVCacheDataTypeE0ELb0ELi512EEEvPfS3_PT_PKS4_PKT0_SA_ifPKiSC_iPKfiiiSE_SE_iiiii,@function
_ZN4vllm25paged_attention_v2_kernelI14__hip_bfloat16S1_Li112ELi8ELi128ELNS_18Fp8KVCacheDataTypeE0ELb0ELi512EEEvPfS3_PT_PKS4_PKT0_SA_ifPKiSC_iPKfiiiSE_SE_iiiii: ; @_ZN4vllm25paged_attention_v2_kernelI14__hip_bfloat16S1_Li112ELi8ELi128ELNS_18Fp8KVCacheDataTypeE0ELb0ELi512EEEvPfS3_PT_PKS4_PKT0_SA_ifPKiSC_iPKfiiiSE_SE_iiiii
; %bb.0:
	s_load_dwordx2 s[0:1], s[4:5], 0x40
	s_mov_b32 s26, s7
	s_ashr_i32 s27, s7, 31
	s_lshl_b64 s[2:3], s[26:27], 2
	s_waitcnt lgkmcnt(0)
	s_add_u32 s0, s0, s2
	s_addc_u32 s1, s1, s3
	s_load_dword s27, s[0:1], 0x0
	s_lshl_b32 s42, s8, 9
	s_waitcnt lgkmcnt(0)
	s_cmp_ge_i32 s42, s27
	s_cbranch_scc1 .LBB148_164
; %bb.1:
	s_load_dword s9, s[4:5], 0x90
	s_load_dwordx2 s[12:13], s[4:5], 0x30
	s_waitcnt lgkmcnt(0)
	s_abs_i32 s2, s9
	s_abs_i32 s0, s12
	v_cvt_f32_u32_e32 v1, s0
	s_sub_i32 s3, 0, s0
	s_xor_b32 s1, s9, s12
	s_ashr_i32 s1, s1, 31
	v_rcp_iflag_f32_e32 v1, v1
	s_mov_b32 s12, 0
	v_mul_f32_e32 v1, 0x4f7ffffe, v1
	v_cvt_u32_f32_e32 v1, v1
	v_readfirstlane_b32 s7, v1
	s_mul_i32 s3, s3, s7
	s_mul_hi_u32 s3, s7, s3
	s_add_i32 s7, s7, s3
	s_mul_hi_u32 s3, s2, s7
	s_mul_i32 s7, s3, s0
	s_sub_i32 s2, s2, s7
	s_add_i32 s10, s3, 1
	s_sub_i32 s7, s2, s0
	s_cmp_ge_u32 s2, s0
	s_cselect_b32 s3, s10, s3
	s_cselect_b32 s2, s7, s2
	s_add_i32 s7, s3, 1
	s_cmp_ge_u32 s2, s0
	s_cselect_b32 s0, s7, s3
	s_xor_b32 s0, s0, s1
	s_sub_i32 s2, s0, s1
	s_abs_i32 s10, s2
	v_cvt_f32_u32_e32 v1, s10
	s_load_dwordx2 s[0:1], s[4:5], 0x50
	s_sub_i32 s3, 0, s10
	s_abs_i32 s11, s6
	v_rcp_iflag_f32_e32 v1, v1
	v_mul_f32_e32 v1, 0x4f7ffffe, v1
	v_cvt_u32_f32_e32 v1, v1
	v_readfirstlane_b32 s7, v1
	s_mul_i32 s3, s3, s7
	s_mul_hi_u32 s3, s7, s3
	s_add_i32 s7, s7, s3
	s_waitcnt lgkmcnt(0)
	s_cmp_eq_u64 s[0:1], 0
	s_mul_hi_u32 s20, s11, s7
	s_cbranch_scc1 .LBB148_3
; %bb.2:
	s_ashr_i32 s7, s6, 31
	s_lshl_b64 s[14:15], s[6:7], 2
	s_add_u32 s0, s0, s14
	s_addc_u32 s1, s1, s15
	s_load_dword s12, s[0:1], 0x0
.LBB148_3:
	s_load_dwordx4 s[16:19], s[4:5], 0x58
	s_movk_i32 s0, 0x70
	s_ashr_i32 s21, s6, 31
	s_ashr_i32 s22, s2, 31
	v_and_b32_e32 v2, 7, v0
	s_mul_i32 s14, s6, 0x70
	v_cmp_gt_u32_e64 s[0:1], s0, v0
	v_lshlrev_b32_e32 v1, 1, v0
	s_and_saveexec_b64 s[2:3], s[0:1]
	s_cbranch_execz .LBB148_5
; %bb.4:
	s_load_dwordx2 s[24:25], s[4:5], 0x18
	s_waitcnt lgkmcnt(0)
	s_mul_i32 s28, s26, s16
	s_ashr_i32 s29, s28, 31
	s_lshl_b64 s[28:29], s[28:29], 1
	v_lshrrev_b32_e32 v4, 2, v0
	s_add_u32 s7, s24, s28
	s_addc_u32 s16, s25, s29
	s_ashr_i32 s15, s14, 31
	s_lshl_b64 s[24:25], s[14:15], 1
	s_add_u32 s24, s7, s24
	s_addc_u32 s25, s16, s25
	global_load_ushort v3, v1, s[24:25]
	v_and_b32_e32 v4, 0xfe, v4
	v_mad_u32_u24 v4, v2, 28, v4
	s_waitcnt vmcnt(0)
	ds_write_b16 v4, v3
.LBB148_5:
	s_or_b64 exec, exec, s[2:3]
	s_add_i32 s2, s27, 7
	s_ashr_i32 s3, s2, 31
	s_lshr_b32 s3, s3, 29
	s_add_i32 s2, s2, s3
	s_lshl_b32 s7, s8, 6
	s_mul_i32 s3, s20, s10
	s_waitcnt lgkmcnt(0)
	s_ashr_i32 s16, s2, 3
	s_add_i32 s2, s7, 64
	s_sub_i32 s3, s11, s3
	s_min_i32 s33, s2, s16
	s_xor_b32 s2, s21, s22
	s_add_i32 s11, s20, 1
	s_sub_i32 s15, s3, s10
	s_cmp_ge_u32 s3, s10
	s_cselect_b32 s11, s11, s20
	s_cselect_b32 s3, s15, s3
	s_add_i32 s15, s11, 1
	s_cmp_ge_u32 s3, s10
	s_load_dwordx2 s[28:29], s[4:5], 0x38
	s_load_dword s10, s[4:5], 0x48
	v_lshrrev_b32_e32 v4, 6, v0
	s_cselect_b32 s3, s15, s11
	s_xor_b32 s3, s3, s2
	v_or_b32_e32 v10, s7, v4
	s_waitcnt lgkmcnt(0)
	s_mul_i32 s30, s26, s10
	s_sub_i32 s19, s3, s2
	s_ashr_i32 s31, s30, 31
	v_cmp_gt_i32_e64 s[2:3], s33, v10
	v_cmp_le_i32_e32 vcc, s33, v10
	v_mbcnt_lo_u32_b32 v3, -1, 0
	s_barrier
	s_waitcnt lgkmcnt(0)
                                        ; implicit-def: $sgpr38
                                        ; implicit-def: $vgpr6
                                        ; implicit-def: $vgpr7
	s_and_saveexec_b64 s[10:11], vcc
	s_xor_b64 s[10:11], exec, s[10:11]
; %bb.6:
	v_mbcnt_hi_u32_b32 v6, -1, v3
	v_and_b32_e32 v2, 64, v6
	v_add_u32_e32 v7, 64, v2
	s_mov_b32 s38, 0xff7fffff
                                        ; implicit-def: $vgpr2
                                        ; implicit-def: $vgpr3
; %bb.7:
	s_or_saveexec_b64 s[36:37], s[10:11]
	s_load_dwordx4 s[20:23], s[4:5], 0x0
	s_load_dwordx2 s[24:25], s[4:5], 0x10
	s_load_dwordx2 s[34:35], s[4:5], 0x28
	s_load_dword s15, s[4:5], 0x98
	v_mov_b32_e32 v26, s38
	s_mul_i32 s18, s19, s18
	v_ashrrev_i32_e32 v11, 31, v10
	v_lshlrev_b32_e32 v5, 3, v4
	s_xor_b64 exec, exec, s[36:37]
	s_cbranch_execz .LBB148_13
; %bb.8:
	s_load_dwordx2 s[4:5], s[4:5], 0x20
	s_ashr_i32 s19, s18, 31
	s_lshl_b64 s[10:11], s[18:19], 1
	v_bfe_u32 v26, v0, 3, 3
	v_lshlrev_b32_e32 v6, 4, v26
	s_waitcnt lgkmcnt(0)
	s_add_u32 s4, s4, s10
	s_addc_u32 s5, s5, s11
	v_mov_b32_e32 v7, s5
	v_add_co_u32_e32 v8, vcc, s4, v6
	v_mul_u32_u24_e32 v13, 28, v2
	v_addc_co_u32_e32 v9, vcc, 0, v7, vcc
	ds_read2_b32 v[6:7], v13 offset1:1
	v_lshlrev_b32_e32 v12, 1, v2
	v_add_co_u32_e32 v8, vcc, v8, v12
	ds_read2_b32 v[18:19], v13 offset0:2 offset1:3
	ds_read2_b32 v[22:23], v13 offset0:4 offset1:5
	ds_read_b32 v25, v13 offset:24
	s_waitcnt lgkmcnt(3)
	v_lshlrev_b32_e32 v12, 16, v6
	v_and_b32_e32 v13, 0xffff0000, v6
	v_mbcnt_hi_u32_b32 v6, -1, v3
	v_and_b32_e32 v3, 64, v6
	v_addc_co_u32_e32 v9, vcc, 0, v9, vcc
	v_lshlrev_b32_e32 v14, 16, v7
	v_and_b32_e32 v15, 0xffff0000, v7
	v_add_u32_e32 v7, 64, v3
	v_xor_b32_e32 v3, 4, v6
	v_cmp_lt_i32_e32 vcc, v3, v7
	v_cndmask_b32_e32 v3, v6, v3, vcc
	v_lshlrev_b32_e32 v27, 2, v3
	v_xor_b32_e32 v3, 2, v6
	v_cmp_lt_i32_e32 vcc, v3, v7
	v_cndmask_b32_e32 v3, v6, v3, vcc
	v_lshlrev_b32_e32 v28, 2, v3
	v_xor_b32_e32 v3, 1, v6
	v_cmp_lt_i32_e32 vcc, v3, v7
	v_cndmask_b32_e32 v3, v6, v3, vcc
	v_cmp_eq_u32_e32 vcc, 0, v2
	s_sub_i32 s19, 1, s27
	v_lshlrev_b32_e32 v2, 2, v26
	s_lshl_b64 s[10:11], s[30:31], 2
	v_lshl_or_b32 v2, v4, 5, v2
	s_add_u32 s10, s28, s10
	v_lshlrev_b32_e32 v29, 2, v3
	v_add_u32_e32 v31, 0xf0, v2
	v_lshlrev_b64 v[2:3], 2, v[10:11]
	s_addc_u32 s11, s29, s11
	v_add3_u32 v30, s42, v5, v26
	v_mov_b32_e32 v26, s11
	v_add_co_u32_e64 v2, s[10:11], s10, v2
	s_mov_b32 s43, s17
	s_waitcnt lgkmcnt(2)
	v_lshlrev_b32_e32 v16, 16, v18
	v_and_b32_e32 v17, 0xffff0000, v18
	v_lshlrev_b32_e32 v18, 16, v19
	v_and_b32_e32 v19, 0xffff0000, v19
	s_waitcnt lgkmcnt(1)
	v_lshlrev_b32_e32 v20, 16, v22
	v_and_b32_e32 v21, 0xffff0000, v22
	v_lshlrev_b32_e32 v22, 16, v23
	v_and_b32_e32 v23, 0xffff0000, v23
	s_waitcnt lgkmcnt(0)
	v_lshlrev_b32_e32 v24, 16, v25
	v_and_b32_e32 v25, 0xffff0000, v25
	v_cmp_neq_f32_e64 s[4:5], s12, 0
	v_addc_co_u32_e64 v3, s[10:11], v26, v3, s[10:11]
	s_mov_b64 s[38:39], 0
	v_mov_b32_e32 v26, 0xff7fffff
	v_mov_b32_e32 v32, v10
	s_branch .LBB148_10
.LBB148_9:                              ;   in Loop: Header=BB148_10 Depth=1
	s_or_b64 exec, exec, s[40:41]
	v_add_u32_e32 v32, 2, v32
	v_cmp_le_i32_e64 s[10:11], s33, v32
	s_or_b64 s[38:39], s[10:11], s[38:39]
	v_add_co_u32_e64 v2, s[10:11], 8, v2
	v_add_u32_e32 v30, 16, v30
	v_add_u32_e32 v31, 64, v31
	v_addc_co_u32_e64 v3, s[10:11], 0, v3, s[10:11]
	s_andn2_b64 exec, exec, s[38:39]
	s_cbranch_execz .LBB148_12
.LBB148_10:                             ; =>This Inner Loop Header: Depth=1
	global_load_dword v33, v[2:3], off
	s_waitcnt vmcnt(0) lgkmcnt(0)
	v_mad_i64_i32 v[34:35], s[10:11], v33, s43, 0
	v_lshlrev_b64 v[34:35], 1, v[34:35]
	v_add_co_u32_e64 v34, s[10:11], v8, v34
	v_addc_co_u32_e64 v35, s[10:11], v9, v35, s[10:11]
	global_load_ushort v33, v[34:35], off
	global_load_ushort v36, v[34:35], off offset:128
	global_load_ushort v37, v[34:35], off offset:256
	;; [unrolled: 1-line block ×13, first 2 shown]
	s_waitcnt vmcnt(13)
	v_lshlrev_b32_e32 v33, 16, v33
	s_waitcnt vmcnt(12)
	v_lshlrev_b32_e32 v34, 16, v36
	v_mul_f32_e32 v34, v13, v34
	s_waitcnt vmcnt(11)
	v_lshlrev_b32_e32 v35, 16, v37
	v_fmac_f32_e32 v34, v12, v33
	s_waitcnt vmcnt(10)
	v_lshlrev_b32_e32 v36, 16, v38
	v_fmac_f32_e32 v34, v14, v35
	;; [unrolled: 3-line block ×11, first 2 shown]
	v_fmac_f32_e32 v34, v24, v45
	s_waitcnt vmcnt(0)
	v_lshlrev_b32_e32 v33, 16, v48
	v_fmac_f32_e32 v34, v25, v33
	ds_bpermute_b32 v33, v27, v34
	s_waitcnt lgkmcnt(0)
	v_add_f32_e32 v33, v34, v33
	ds_bpermute_b32 v34, v28, v33
	s_waitcnt lgkmcnt(0)
	v_add_f32_e32 v33, v33, v34
	ds_bpermute_b32 v34, v29, v33
	s_and_saveexec_b64 s[40:41], vcc
	s_cbranch_execz .LBB148_9
; %bb.11:                               ;   in Loop: Header=BB148_10 Depth=1
	v_add_u32_e32 v35, s19, v30
	v_cvt_f32_i32_e32 v35, v35
	s_waitcnt lgkmcnt(0)
	v_add_f32_e32 v33, v33, v34
	v_cmp_gt_i32_e64 s[10:11], s27, v30
	v_max_f32_e32 v34, v26, v26
	v_mul_f32_e32 v35, s12, v35
	v_cndmask_b32_e64 v35, 0, v35, s[4:5]
	v_fmac_f32_e32 v35, s13, v33
	v_cndmask_b32_e64 v33, 0, v35, s[10:11]
	ds_write_b32 v31, v33
	v_max_f32_e32 v33, v34, v35
	v_cndmask_b32_e64 v26, v26, v33, s[10:11]
	s_branch .LBB148_9
.LBB148_12:
	s_or_b64 exec, exec, s[38:39]
.LBB148_13:
	s_or_b64 exec, exec, s[36:37]
	v_xor_b32_e32 v2, 32, v6
	v_cmp_lt_i32_e32 vcc, v2, v7
	v_cndmask_b32_e32 v2, v6, v2, vcc
	v_lshlrev_b32_e32 v3, 2, v2
	ds_bpermute_b32 v2, v3, v26
	v_xor_b32_e32 v9, 16, v6
	v_max_f32_e32 v8, v26, v26
	v_cmp_lt_i32_e32 vcc, v9, v7
	v_and_b32_e32 v16, 63, v0
	s_waitcnt lgkmcnt(0)
	v_max_f32_e32 v2, v2, v2
	v_max_f32_e32 v2, v8, v2
	v_cndmask_b32_e32 v8, v6, v9, vcc
	v_lshlrev_b32_e32 v12, 2, v8
	ds_bpermute_b32 v8, v12, v2
	v_xor_b32_e32 v9, 8, v6
	v_cmp_lt_i32_e32 vcc, v9, v7
	s_waitcnt lgkmcnt(0)
	v_max_f32_e32 v8, v8, v8
	v_max_f32_e32 v8, v2, v8
	v_cndmask_b32_e32 v2, v6, v9, vcc
	v_lshlrev_b32_e32 v13, 2, v2
	ds_bpermute_b32 v9, v13, v8
	v_cmp_eq_u32_e32 vcc, 0, v16
	v_lshlrev_b32_e32 v2, 2, v4
	s_and_saveexec_b64 s[4:5], vcc
	s_cbranch_execz .LBB148_15
; %bb.14:
	s_waitcnt lgkmcnt(0)
	v_max_f32_e32 v9, v9, v9
	v_max_f32_e32 v8, v8, v8
	;; [unrolled: 1-line block ×3, first 2 shown]
	ds_write_b32 v2, v8 offset:224
.LBB148_15:
	s_or_b64 exec, exec, s[4:5]
	v_cmp_gt_u32_e64 s[4:5], 2, v16
	v_mov_b32_e32 v8, 0xff7fffff
	s_waitcnt lgkmcnt(0)
	v_lshlrev_b32_e32 v9, 2, v16
	s_barrier
	s_and_saveexec_b64 s[10:11], s[4:5]
	s_cbranch_execz .LBB148_17
; %bb.16:
	ds_read_b32 v8, v9 offset:224
.LBB148_17:
	s_or_b64 exec, exec, s[10:11]
	v_xor_b32_e32 v14, 1, v6
	v_cmp_lt_i32_e64 s[10:11], v14, v7
	v_cndmask_b32_e64 v14, v6, v14, s[10:11]
	v_lshlrev_b32_e32 v14, 2, v14
	s_waitcnt lgkmcnt(0)
	ds_bpermute_b32 v15, v14, v8
	v_max_f32_e32 v8, v8, v8
	s_sub_i32 s7, s33, s7
	s_lshl_b32 s7, s7, 3
	s_add_i32 s7, s7, s42
	s_waitcnt lgkmcnt(0)
	v_max_f32_e32 v15, v15, v15
	v_max_f32_e32 v8, v8, v15
	v_lshlrev_b32_e32 v15, 2, v6
	v_and_b32_e32 v15, 0xffffff00, v15
	ds_bpermute_b32 v8, v15, v8
	s_min_i32 s19, s7, s27
	s_sub_i32 s7, s19, s42
	v_cmp_gt_i32_e64 s[10:11], s7, v0
	v_mov_b32_e32 v17, 0
	s_and_saveexec_b64 s[36:37], s[10:11]
	s_cbranch_execz .LBB148_21
; %bb.18:
	v_mov_b32_e32 v17, 0xf0
	v_lshl_add_u32 v18, v0, 2, v17
	s_mov_b64 s[38:39], 0
	v_mov_b32_e32 v17, 0
	v_mov_b32_e32 v19, v0
.LBB148_19:                             ; =>This Inner Loop Header: Depth=1
	ds_read_b32 v20, v18
	v_add_u32_e32 v19, 0x80, v19
	v_cmp_le_i32_e64 s[12:13], s7, v19
	s_or_b64 s[38:39], s[12:13], s[38:39]
	s_waitcnt lgkmcnt(0)
	v_sub_f32_e32 v20, v20, v8
	v_mul_f32_e32 v20, 0x3fb8aa3b, v20
	v_exp_f32_e32 v20, v20
	ds_write_b32 v18, v20
	v_add_f32_e32 v17, v17, v20
	v_add_u32_e32 v18, 0x200, v18
	s_andn2_b64 exec, exec, s[38:39]
	s_cbranch_execnz .LBB148_19
; %bb.20:
	s_or_b64 exec, exec, s[38:39]
.LBB148_21:
	s_or_b64 exec, exec, s[36:37]
	ds_bpermute_b32 v3, v3, v17
	s_waitcnt lgkmcnt(0)
	v_add_f32_e32 v3, v17, v3
	ds_bpermute_b32 v12, v12, v3
	s_waitcnt lgkmcnt(0)
	v_add_f32_e32 v3, v3, v12
	ds_bpermute_b32 v12, v13, v3
	v_xor_b32_e32 v13, 4, v6
	v_cmp_lt_i32_e64 s[12:13], v13, v7
	v_cndmask_b32_e64 v13, v6, v13, s[12:13]
	v_lshlrev_b32_e32 v13, 2, v13
	s_waitcnt lgkmcnt(0)
	v_add_f32_e32 v3, v3, v12
	ds_bpermute_b32 v12, v13, v3
	v_xor_b32_e32 v13, 2, v6
	v_cmp_lt_i32_e64 s[12:13], v13, v7
	v_cndmask_b32_e64 v6, v6, v13, s[12:13]
	v_lshlrev_b32_e32 v6, 2, v6
	s_waitcnt lgkmcnt(0)
	v_add_f32_e32 v3, v3, v12
	ds_bpermute_b32 v6, v6, v3
	s_waitcnt lgkmcnt(0)
	v_add_f32_e32 v3, v3, v6
	ds_bpermute_b32 v6, v14, v3
	s_waitcnt lgkmcnt(0)
	v_add_f32_e32 v3, v3, v6
	s_and_saveexec_b64 s[12:13], vcc
	s_cbranch_execz .LBB148_23
; %bb.22:
	ds_write_b32 v2, v3 offset:232
.LBB148_23:
	s_or_b64 exec, exec, s[12:13]
	s_waitcnt lgkmcnt(0)
	s_barrier
	s_and_saveexec_b64 s[12:13], s[4:5]
	s_cbranch_execz .LBB148_25
; %bb.24:
	ds_read_b32 v3, v9 offset:232
.LBB148_25:
	s_or_b64 exec, exec, s[12:13]
	s_waitcnt lgkmcnt(0)
	ds_bpermute_b32 v2, v14, v3
	s_waitcnt lgkmcnt(0)
	v_add_f32_e32 v2, v3, v2
	ds_bpermute_b32 v6, v15, v2
	s_and_saveexec_b64 s[4:5], s[10:11]
	s_cbranch_execz .LBB148_38
; %bb.26:
	s_waitcnt lgkmcnt(0)
	v_add_f32_e32 v2, 0x358637bd, v6
	v_div_scale_f32 v3, s[10:11], v2, v2, 1.0
	v_rcp_f32_e32 v7, v3
	v_div_scale_f32 v9, vcc, 1.0, v2, 1.0
	s_movk_i32 s10, 0x7f
	v_fma_f32 v12, -v3, v7, 1.0
	v_fmac_f32_e32 v7, v12, v7
	v_mul_f32_e32 v12, v9, v7
	v_fma_f32 v13, -v3, v12, v9
	v_fmac_f32_e32 v12, v13, v7
	v_fma_f32 v3, -v3, v12, v9
	v_div_fmas_f32 v3, v3, v7, v12
	v_div_fixup_f32 v2, v3, v2, 1.0
	v_xad_u32 v3, v0, -1, s19
	v_subrev_u32_e32 v7, s42, v3
	v_cmp_lt_u32_e32 vcc, s10, v7
	s_mov_b64 s[12:13], -1
	v_mov_b32_e32 v3, v0
	s_and_saveexec_b64 s[10:11], vcc
	s_cbranch_execz .LBB148_35
; %bb.27:
	v_lshrrev_b32_e32 v7, 7, v7
	v_add_u32_e32 v12, -1, v7
	v_lshrrev_b32_e32 v9, 1, v12
	v_mov_b32_e32 v3, v2
	v_add_u32_e32 v9, 1, v9
	v_cmp_lt_u32_e32 vcc, 13, v12
	v_mov_b32_e32 v14, 0
	s_and_saveexec_b64 s[12:13], vcc
	s_cbranch_execz .LBB148_31
; %bb.28:
	v_mov_b32_e32 v13, 0xf0
	v_and_b32_e32 v12, -8, v9
	v_lshl_add_u32 v13, v0, 2, v13
	s_mov_b32 s19, 0
	s_mov_b64 s[36:37], 0
.LBB148_29:                             ; =>This Inner Loop Header: Depth=1
	ds_read2st64_b32 v[14:15], v13 offset1:2
	ds_read2st64_b32 v[18:19], v13 offset0:4 offset1:6
	ds_read2st64_b32 v[20:21], v13 offset0:8 offset1:10
	;; [unrolled: 1-line block ×3, first 2 shown]
	v_add_u32_e32 v12, -8, v12
	s_waitcnt lgkmcnt(3)
	v_pk_mul_f32 v[14:15], v[2:3], v[14:15]
	s_waitcnt lgkmcnt(2)
	v_pk_mul_f32 v[18:19], v[2:3], v[18:19]
	ds_write2st64_b32 v13, v14, v15 offset1:2
	ds_write2st64_b32 v13, v18, v19 offset0:4 offset1:6
	ds_read2st64_b32 v[18:19], v13 offset0:16 offset1:18
	s_waitcnt lgkmcnt(4)
	v_pk_mul_f32 v[14:15], v[2:3], v[20:21]
	ds_write2st64_b32 v13, v14, v15 offset0:8 offset1:10
	s_waitcnt lgkmcnt(4)
	v_pk_mul_f32 v[14:15], v[2:3], v[22:23]
	ds_write2st64_b32 v13, v14, v15 offset0:12 offset1:14
	ds_read2st64_b32 v[14:15], v13 offset0:20 offset1:22
	s_waitcnt lgkmcnt(3)
	v_pk_mul_f32 v[18:19], v[2:3], v[18:19]
	ds_read2st64_b32 v[20:21], v13 offset0:24 offset1:26
	ds_write2st64_b32 v13, v18, v19 offset0:16 offset1:18
	ds_read2st64_b32 v[18:19], v13 offset0:28 offset1:30
	s_waitcnt lgkmcnt(3)
	v_pk_mul_f32 v[14:15], v[2:3], v[14:15]
	ds_write2st64_b32 v13, v14, v15 offset0:20 offset1:22
	s_waitcnt lgkmcnt(3)
	v_pk_mul_f32 v[14:15], v[2:3], v[20:21]
	ds_write2st64_b32 v13, v14, v15 offset0:24 offset1:26
	s_waitcnt lgkmcnt(2)
	v_pk_mul_f32 v[14:15], v[2:3], v[18:19]
	s_add_i32 s19, s19, 16
	v_cmp_eq_u32_e32 vcc, 0, v12
	ds_write2st64_b32 v13, v14, v15 offset0:28 offset1:30
	v_add_u32_e32 v13, 0x2000, v13
	s_or_b64 s[36:37], vcc, s[36:37]
	v_mov_b32_e32 v14, s19
	s_andn2_b64 exec, exec, s[36:37]
	s_cbranch_execnz .LBB148_29
; %bb.30:
	s_or_b64 exec, exec, s[36:37]
.LBB148_31:
	s_or_b64 exec, exec, s[12:13]
	v_and_b32_e32 v9, 7, v9
	v_cmp_ne_u32_e32 vcc, 0, v9
	s_and_saveexec_b64 s[12:13], vcc
	s_cbranch_execz .LBB148_34
; %bb.32:
	v_lshlrev_b32_e32 v12, 9, v14
	v_lshlrev_b32_e32 v13, 2, v0
	s_movk_i32 s19, 0xf0
	v_add3_u32 v12, v12, v13, s19
	s_mov_b64 s[36:37], 0
.LBB148_33:                             ; =>This Inner Loop Header: Depth=1
	ds_read2st64_b32 v[14:15], v12 offset1:2
	v_add_u32_e32 v9, -1, v9
	v_cmp_eq_u32_e32 vcc, 0, v9
	s_or_b64 s[36:37], vcc, s[36:37]
	s_waitcnt lgkmcnt(0)
	v_pk_mul_f32 v[14:15], v[2:3], v[14:15]
	ds_write2st64_b32 v12, v14, v15 offset1:2
	v_add_u32_e32 v12, 0x400, v12
	s_andn2_b64 exec, exec, s[36:37]
	s_cbranch_execnz .LBB148_33
.LBB148_34:
	s_or_b64 exec, exec, s[12:13]
	v_add_u32_e32 v7, 1, v7
	v_and_b32_e32 v9, 0x3fffffe, v7
	v_cmp_ne_u32_e32 vcc, v7, v9
	v_lshl_add_u32 v3, v9, 7, v0
	s_orn2_b64 s[12:13], vcc, exec
.LBB148_35:
	s_or_b64 exec, exec, s[10:11]
	s_and_b64 exec, exec, s[12:13]
	s_cbranch_execz .LBB148_38
; %bb.36:
	v_mov_b32_e32 v7, 0xf0
	v_lshl_add_u32 v7, v3, 2, v7
	s_mov_b64 s[10:11], 0
.LBB148_37:                             ; =>This Inner Loop Header: Depth=1
	ds_read_b32 v9, v7
	v_add_u32_e32 v3, 0x80, v3
	v_cmp_le_i32_e32 vcc, s7, v3
	s_or_b64 s[10:11], vcc, s[10:11]
	s_waitcnt lgkmcnt(0)
	v_mul_f32_e32 v9, v2, v9
	ds_write_b32 v7, v9
	v_add_u32_e32 v7, 0x200, v7
	s_andn2_b64 exec, exec, s[10:11]
	s_cbranch_execnz .LBB148_37
.LBB148_38:
	s_or_b64 exec, exec, s[4:5]
	s_mul_i32 s4, s15, s26
	v_cmp_eq_u32_e32 vcc, 0, v0
	s_mul_i32 s10, s4, s9
	s_waitcnt lgkmcnt(0)
	s_barrier
	s_and_saveexec_b64 s[4:5], vcc
	s_cbranch_execz .LBB148_40
; %bb.39:
	s_ashr_i32 s11, s10, 31
	s_lshl_b64 s[12:13], s[10:11], 2
	s_add_u32 s9, s22, s12
	s_mul_i32 s6, s15, s6
	s_addc_u32 s11, s23, s13
	s_ashr_i32 s7, s6, 31
	s_lshl_b64 s[6:7], s[6:7], 2
	s_add_u32 s19, s9, s6
	s_addc_u32 s11, s11, s7
	s_ashr_i32 s9, s8, 31
	s_lshl_b64 s[22:23], s[8:9], 2
	s_add_u32 s36, s19, s22
	s_addc_u32 s37, s11, s23
	s_add_u32 s9, s20, s12
	s_addc_u32 s11, s21, s13
	;; [unrolled: 2-line block ×3, first 2 shown]
	s_add_u32 s6, s6, s22
	v_mov_b32_e32 v2, 0
	s_addc_u32 s7, s7, s23
	global_store_dword v2, v8, s[36:37]
	global_store_dword v2, v6, s[6:7]
.LBB148_40:
	s_or_b64 exec, exec, s[4:5]
	v_mov_b32_e32 v13, 0
	v_mov_b32_e32 v6, v13
	s_and_saveexec_b64 s[6:7], s[2:3]
	s_cbranch_execz .LBB148_146
; %bb.41:
	s_ashr_i32 s19, s18, 31
	s_lshl_b64 s[2:3], s[18:19], 1
	s_add_u32 s11, s34, s2
	v_or_b32_e32 v3, 64, v16
	s_movk_i32 s2, 0x70
	s_addc_u32 s18, s35, s3
	s_add_i32 s19, s16, -1
	v_cmp_gt_u32_e32 vcc, s2, v3
	s_lshl_b64 s[2:3], s[30:31], 2
	v_lshlrev_b32_e32 v6, 3, v3
	v_mov_b32_e32 v3, 0xf0
	s_add_u32 s2, s28, s2
	v_add3_u32 v18, s42, v5, 7
	v_lshl_add_u32 v19, v4, 5, v3
	v_lshlrev_b64 v[4:5], 2, v[10:11]
	s_addc_u32 s3, s29, s3
	v_lshlrev_b32_e32 v2, 3, v16
	v_mov_b32_e32 v17, 0
	v_mov_b32_e32 v3, s3
	v_add_co_u32_e64 v14, s[2:3], s2, v4
	s_mov_b32 s9, s17
	v_addc_co_u32_e64 v15, s[2:3], v3, v5, s[2:3]
	s_mov_b64 s[12:13], 0
	s_mov_b32 s20, 0x7f800000
	s_movk_i32 s21, 0x7fff
	v_lshlrev_b32_e32 v11, 1, v2
	v_lshlrev_b32_e32 v20, 1, v6
	v_mov_b32_e32 v12, 0
	v_mov_b32_e32 v13, v17
	s_branch .LBB148_44
.LBB148_42:                             ;   in Loop: Header=BB148_44 Depth=1
	s_or_b64 exec, exec, s[4:5]
	v_and_b32_e32 v23, 0xffff0000, v22
	v_and_b32_e32 v22, 0xffff0000, v9
	v_and_b32_e32 v9, 0xffff0000, v21
	v_and_b32_e32 v8, 0xffff0000, v8
	v_and_b32_e32 v3, 0xffff0000, v3
	v_and_b32_e32 v2, 0xffff0000, v2
	v_pk_add_f32 v[2:3], v[2:3], v[8:9]
	v_and_b32_e32 v5, 0xffff0000, v5
	v_and_b32_e32 v4, 0xffff0000, v4
	v_mov_b32_e32 v8, v3
	v_pk_add_f32 v[2:3], v[2:3], v[8:9]
	v_pk_add_f32 v[4:5], v[4:5], v[22:23]
	;; [unrolled: 1-line block ×3, first 2 shown]
	v_mov_b32_e32 v4, v5
	v_pk_add_f32 v[2:3], v[2:3], v[4:5]
	v_mov_b32_e32 v3, v2
	v_pk_add_f32 v[12:13], v[12:13], v[2:3]
.LBB148_43:                             ;   in Loop: Header=BB148_44 Depth=1
	s_or_b64 exec, exec, s[16:17]
	v_add_co_u32_e64 v14, s[2:3], 8, v14
	v_add_u32_e32 v10, 2, v10
	v_addc_co_u32_e64 v15, s[2:3], 0, v15, s[2:3]
	v_cmp_le_i32_e64 s[2:3], s33, v10
	v_add_u32_e32 v18, 16, v18
	v_add_u32_e32 v19, 64, v19
	s_or_b64 s[12:13], s[2:3], s[12:13]
	v_mov_b32_e32 v12, v6
	s_andn2_b64 exec, exec, s[12:13]
	s_cbranch_execz .LBB148_145
.LBB148_44:                             ; =>This Inner Loop Header: Depth=1
	global_load_dword v21, v[14:15], off
	ds_read2_b64 v[6:9], v19 offset1:1
	ds_read2_b64 v[2:5], v19 offset0:2 offset1:3
	s_waitcnt lgkmcnt(1)
	v_and_b32_e32 v22, 0x7f800000, v6
	v_cmp_ne_u32_e64 s[2:3], s20, v22
                                        ; implicit-def: $vgpr22
	s_and_saveexec_b64 s[4:5], s[2:3]
	s_xor_b64 s[2:3], exec, s[4:5]
; %bb.45:                               ;   in Loop: Header=BB148_44 Depth=1
	v_bfe_u32 v22, v6, 16, 1
	v_add3_u32 v22, v6, v22, s21
; %bb.46:                               ;   in Loop: Header=BB148_44 Depth=1
	s_andn2_saveexec_b64 s[4:5], s[2:3]
; %bb.47:                               ;   in Loop: Header=BB148_44 Depth=1
	v_or_b32_e32 v22, 0x10000, v6
	v_cmp_eq_u32_sdwa s[2:3], v6, v17 src0_sel:WORD_0 src1_sel:DWORD
	v_cndmask_b32_e64 v22, v22, v6, s[2:3]
; %bb.48:                               ;   in Loop: Header=BB148_44 Depth=1
	s_or_b64 exec, exec, s[4:5]
	v_and_b32_e32 v6, 0x7f800000, v7
	v_cmp_ne_u32_e64 s[2:3], s20, v6
                                        ; implicit-def: $vgpr23
	s_and_saveexec_b64 s[4:5], s[2:3]
	s_xor_b64 s[2:3], exec, s[4:5]
; %bb.49:                               ;   in Loop: Header=BB148_44 Depth=1
	v_bfe_u32 v6, v7, 16, 1
	v_add3_u32 v23, v7, v6, s21
; %bb.50:                               ;   in Loop: Header=BB148_44 Depth=1
	s_andn2_saveexec_b64 s[4:5], s[2:3]
; %bb.51:                               ;   in Loop: Header=BB148_44 Depth=1
	v_or_b32_e32 v6, 0x10000, v7
	v_cmp_eq_u32_sdwa s[2:3], v7, v17 src0_sel:WORD_0 src1_sel:DWORD
	v_cndmask_b32_e64 v23, v6, v7, s[2:3]
; %bb.52:                               ;   in Loop: Header=BB148_44 Depth=1
	s_or_b64 exec, exec, s[4:5]
	v_and_b32_e32 v6, 0x7f800000, v8
	v_cmp_ne_u32_e64 s[2:3], s20, v6
                                        ; implicit-def: $vgpr24
	s_and_saveexec_b64 s[4:5], s[2:3]
	s_xor_b64 s[2:3], exec, s[4:5]
; %bb.53:                               ;   in Loop: Header=BB148_44 Depth=1
	v_bfe_u32 v6, v8, 16, 1
	v_add3_u32 v24, v8, v6, s21
; %bb.54:                               ;   in Loop: Header=BB148_44 Depth=1
	s_andn2_saveexec_b64 s[4:5], s[2:3]
; %bb.55:                               ;   in Loop: Header=BB148_44 Depth=1
	v_or_b32_e32 v6, 0x10000, v8
	v_cmp_eq_u32_sdwa s[2:3], v8, v17 src0_sel:WORD_0 src1_sel:DWORD
	v_cndmask_b32_e64 v24, v6, v8, s[2:3]
; %bb.56:                               ;   in Loop: Header=BB148_44 Depth=1
	s_or_b64 exec, exec, s[4:5]
	v_and_b32_e32 v6, 0x7f800000, v9
	v_cmp_ne_u32_e64 s[2:3], s20, v6
                                        ; implicit-def: $vgpr25
	s_and_saveexec_b64 s[4:5], s[2:3]
	s_xor_b64 s[2:3], exec, s[4:5]
; %bb.57:                               ;   in Loop: Header=BB148_44 Depth=1
	v_bfe_u32 v6, v9, 16, 1
	v_add3_u32 v25, v9, v6, s21
                                        ; implicit-def: $vgpr6_vgpr7_vgpr8_vgpr9
; %bb.58:                               ;   in Loop: Header=BB148_44 Depth=1
	s_andn2_saveexec_b64 s[4:5], s[2:3]
; %bb.59:                               ;   in Loop: Header=BB148_44 Depth=1
	v_or_b32_e32 v6, 0x10000, v9
	v_cmp_eq_u32_sdwa s[2:3], v9, v17 src0_sel:WORD_0 src1_sel:DWORD
	v_cndmask_b32_e64 v25, v6, v9, s[2:3]
; %bb.60:                               ;   in Loop: Header=BB148_44 Depth=1
	s_or_b64 exec, exec, s[4:5]
	s_waitcnt lgkmcnt(0)
	v_and_b32_e32 v6, 0x7f800000, v2
	v_cmp_ne_u32_e64 s[2:3], s20, v6
                                        ; implicit-def: $vgpr26
	s_and_saveexec_b64 s[4:5], s[2:3]
	s_xor_b64 s[2:3], exec, s[4:5]
; %bb.61:                               ;   in Loop: Header=BB148_44 Depth=1
	v_bfe_u32 v6, v2, 16, 1
	v_add3_u32 v26, v2, v6, s21
; %bb.62:                               ;   in Loop: Header=BB148_44 Depth=1
	s_andn2_saveexec_b64 s[4:5], s[2:3]
; %bb.63:                               ;   in Loop: Header=BB148_44 Depth=1
	v_or_b32_e32 v6, 0x10000, v2
	v_cmp_eq_u32_sdwa s[2:3], v2, v17 src0_sel:WORD_0 src1_sel:DWORD
	v_cndmask_b32_e64 v26, v6, v2, s[2:3]
; %bb.64:                               ;   in Loop: Header=BB148_44 Depth=1
	s_or_b64 exec, exec, s[4:5]
	v_and_b32_e32 v2, 0x7f800000, v3
	v_cmp_ne_u32_e64 s[2:3], s20, v2
                                        ; implicit-def: $vgpr27
	s_and_saveexec_b64 s[4:5], s[2:3]
	s_xor_b64 s[2:3], exec, s[4:5]
; %bb.65:                               ;   in Loop: Header=BB148_44 Depth=1
	v_bfe_u32 v2, v3, 16, 1
	v_add3_u32 v27, v3, v2, s21
; %bb.66:                               ;   in Loop: Header=BB148_44 Depth=1
	s_andn2_saveexec_b64 s[4:5], s[2:3]
; %bb.67:                               ;   in Loop: Header=BB148_44 Depth=1
	v_or_b32_e32 v2, 0x10000, v3
	v_cmp_eq_u32_sdwa s[2:3], v3, v17 src0_sel:WORD_0 src1_sel:DWORD
	v_cndmask_b32_e64 v27, v2, v3, s[2:3]
; %bb.68:                               ;   in Loop: Header=BB148_44 Depth=1
	s_or_b64 exec, exec, s[4:5]
	v_and_b32_e32 v2, 0x7f800000, v4
	v_cmp_ne_u32_e64 s[2:3], s20, v2
                                        ; implicit-def: $vgpr7
	s_and_saveexec_b64 s[4:5], s[2:3]
	s_xor_b64 s[2:3], exec, s[4:5]
; %bb.69:                               ;   in Loop: Header=BB148_44 Depth=1
	v_bfe_u32 v2, v4, 16, 1
	v_add3_u32 v7, v4, v2, s21
; %bb.70:                               ;   in Loop: Header=BB148_44 Depth=1
	s_andn2_saveexec_b64 s[4:5], s[2:3]
; %bb.71:                               ;   in Loop: Header=BB148_44 Depth=1
	v_or_b32_e32 v2, 0x10000, v4
	v_cmp_eq_u32_sdwa s[2:3], v4, v17 src0_sel:WORD_0 src1_sel:DWORD
	v_cndmask_b32_e64 v7, v2, v4, s[2:3]
; %bb.72:                               ;   in Loop: Header=BB148_44 Depth=1
	s_or_b64 exec, exec, s[4:5]
	v_and_b32_e32 v2, 0x7f800000, v5
	v_cmp_ne_u32_e64 s[2:3], s20, v2
                                        ; implicit-def: $vgpr6
	s_and_saveexec_b64 s[4:5], s[2:3]
	s_xor_b64 s[2:3], exec, s[4:5]
; %bb.73:                               ;   in Loop: Header=BB148_44 Depth=1
	v_bfe_u32 v2, v5, 16, 1
	v_add3_u32 v6, v5, v2, s21
                                        ; implicit-def: $vgpr2_vgpr3_vgpr4_vgpr5
; %bb.74:                               ;   in Loop: Header=BB148_44 Depth=1
	s_andn2_saveexec_b64 s[4:5], s[2:3]
; %bb.75:                               ;   in Loop: Header=BB148_44 Depth=1
	v_or_b32_e32 v2, 0x10000, v5
	v_cmp_eq_u32_sdwa s[2:3], v5, v17 src0_sel:WORD_0 src1_sel:DWORD
	v_cndmask_b32_e64 v6, v2, v5, s[2:3]
; %bb.76:                               ;   in Loop: Header=BB148_44 Depth=1
	s_or_b64 exec, exec, s[4:5]
	s_waitcnt vmcnt(0)
	v_mad_i64_i32 v[2:3], s[2:3], v21, s9, 0
	v_lshlrev_b64 v[2:3], 1, v[2:3]
	v_mov_b32_e32 v4, s18
	v_add_co_u32_e64 v9, s[2:3], s11, v2
	v_addc_co_u32_e64 v21, s[2:3], v4, v3, s[2:3]
	v_add_co_u32_e64 v2, s[2:3], v9, v11
	v_addc_co_u32_e64 v3, s[2:3], 0, v21, s[2:3]
	global_load_dwordx4 v[2:5], v[2:3], off
	v_add_u32_e32 v8, -7, v18
	v_cmp_eq_u32_e64 s[2:3], s19, v10
	s_waitcnt vmcnt(0)
	v_lshrrev_b32_e32 v31, 16, v2
	v_lshrrev_b32_e32 v29, 16, v3
	;; [unrolled: 1-line block ×4, first 2 shown]
	s_and_saveexec_b64 s[16:17], s[2:3]
	s_cbranch_execz .LBB148_78
; %bb.77:                               ;   in Loop: Header=BB148_44 Depth=1
	v_cmp_gt_i32_e64 s[4:5], s27, v8
	v_add_u32_e32 v32, -6, v18
	v_cndmask_b32_e64 v2, 0, v2, s[4:5]
	v_cmp_gt_i32_e64 s[4:5], s27, v32
	v_add_u32_e32 v32, -5, v18
	v_cndmask_b32_e64 v31, 0, v31, s[4:5]
	;; [unrolled: 3-line block ×6, first 2 shown]
	v_cmp_gt_i32_e64 s[4:5], s27, v32
	v_cndmask_b32_e64 v5, 0, v5, s[4:5]
	v_cmp_gt_i32_e64 s[4:5], s27, v18
	v_cndmask_b32_e64 v30, 0, v30, s[4:5]
.LBB148_78:                             ;   in Loop: Header=BB148_44 Depth=1
	s_or_b64 exec, exec, s[16:17]
	v_and_b32_e32 v22, 0xffff0000, v22
	v_lshlrev_b32_e32 v2, 16, v2
	v_mul_f32_e32 v32, v22, v2
	v_and_b32_e32 v2, 0x7f800000, v32
	v_cmp_ne_u32_e64 s[4:5], s20, v2
                                        ; implicit-def: $vgpr2
	s_and_saveexec_b64 s[16:17], s[4:5]
	s_xor_b64 s[4:5], exec, s[16:17]
; %bb.79:                               ;   in Loop: Header=BB148_44 Depth=1
	v_bfe_u32 v2, v32, 16, 1
	v_add3_u32 v2, v32, v2, s21
                                        ; implicit-def: $vgpr32
; %bb.80:                               ;   in Loop: Header=BB148_44 Depth=1
	s_andn2_saveexec_b64 s[16:17], s[4:5]
; %bb.81:                               ;   in Loop: Header=BB148_44 Depth=1
	v_or_b32_e32 v2, 0x10000, v32
	v_cmp_eq_u32_sdwa s[4:5], v32, v17 src0_sel:WORD_0 src1_sel:DWORD
	v_cndmask_b32_e64 v2, v2, v32, s[4:5]
; %bb.82:                               ;   in Loop: Header=BB148_44 Depth=1
	s_or_b64 exec, exec, s[16:17]
	v_and_b32_e32 v23, 0xffff0000, v23
	v_lshlrev_b32_e32 v31, 16, v31
	v_mul_f32_e32 v32, v23, v31
	v_and_b32_e32 v31, 0x7f800000, v32
	v_cmp_ne_u32_e64 s[4:5], s20, v31
                                        ; implicit-def: $vgpr31
	s_and_saveexec_b64 s[16:17], s[4:5]
	s_xor_b64 s[4:5], exec, s[16:17]
; %bb.83:                               ;   in Loop: Header=BB148_44 Depth=1
	v_bfe_u32 v31, v32, 16, 1
	v_add3_u32 v31, v32, v31, s21
                                        ; implicit-def: $vgpr32
; %bb.84:                               ;   in Loop: Header=BB148_44 Depth=1
	s_andn2_saveexec_b64 s[16:17], s[4:5]
; %bb.85:                               ;   in Loop: Header=BB148_44 Depth=1
	v_or_b32_e32 v31, 0x10000, v32
	v_cmp_eq_u32_sdwa s[4:5], v32, v17 src0_sel:WORD_0 src1_sel:DWORD
	v_cndmask_b32_e64 v31, v31, v32, s[4:5]
; %bb.86:                               ;   in Loop: Header=BB148_44 Depth=1
	s_or_b64 exec, exec, s[16:17]
	v_and_b32_e32 v24, 0xffff0000, v24
	v_lshlrev_b32_e32 v3, 16, v3
	v_mul_f32_e32 v32, v24, v3
	v_and_b32_e32 v3, 0x7f800000, v32
	v_cmp_ne_u32_e64 s[4:5], s20, v3
                                        ; implicit-def: $vgpr3
	s_and_saveexec_b64 s[16:17], s[4:5]
	s_xor_b64 s[4:5], exec, s[16:17]
; %bb.87:                               ;   in Loop: Header=BB148_44 Depth=1
	v_bfe_u32 v3, v32, 16, 1
	v_add3_u32 v3, v32, v3, s21
                                        ; implicit-def: $vgpr32
; %bb.88:                               ;   in Loop: Header=BB148_44 Depth=1
	s_andn2_saveexec_b64 s[16:17], s[4:5]
; %bb.89:                               ;   in Loop: Header=BB148_44 Depth=1
	v_or_b32_e32 v3, 0x10000, v32
	v_cmp_eq_u32_sdwa s[4:5], v32, v17 src0_sel:WORD_0 src1_sel:DWORD
	v_cndmask_b32_e64 v3, v3, v32, s[4:5]
; %bb.90:                               ;   in Loop: Header=BB148_44 Depth=1
	s_or_b64 exec, exec, s[16:17]
	v_and_b32_e32 v25, 0xffff0000, v25
	v_lshlrev_b32_e32 v29, 16, v29
	v_mul_f32_e32 v29, v25, v29
	v_and_b32_e32 v32, 0x7f800000, v29
	v_cmp_ne_u32_e64 s[4:5], s20, v32
                                        ; implicit-def: $vgpr32
	s_and_saveexec_b64 s[16:17], s[4:5]
	s_xor_b64 s[4:5], exec, s[16:17]
; %bb.91:                               ;   in Loop: Header=BB148_44 Depth=1
	v_bfe_u32 v32, v29, 16, 1
	v_add3_u32 v32, v29, v32, s21
                                        ; implicit-def: $vgpr29
; %bb.92:                               ;   in Loop: Header=BB148_44 Depth=1
	s_andn2_saveexec_b64 s[16:17], s[4:5]
; %bb.93:                               ;   in Loop: Header=BB148_44 Depth=1
	v_or_b32_e32 v32, 0x10000, v29
	v_cmp_eq_u32_sdwa s[4:5], v29, v17 src0_sel:WORD_0 src1_sel:DWORD
	v_cndmask_b32_e64 v32, v32, v29, s[4:5]
; %bb.94:                               ;   in Loop: Header=BB148_44 Depth=1
	s_or_b64 exec, exec, s[16:17]
	v_and_b32_e32 v26, 0xffff0000, v26
	v_lshlrev_b32_e32 v4, 16, v4
	v_mul_f32_e32 v29, v26, v4
	v_and_b32_e32 v4, 0x7f800000, v29
	v_cmp_ne_u32_e64 s[4:5], s20, v4
                                        ; implicit-def: $vgpr4
	s_and_saveexec_b64 s[16:17], s[4:5]
	s_xor_b64 s[4:5], exec, s[16:17]
; %bb.95:                               ;   in Loop: Header=BB148_44 Depth=1
	v_bfe_u32 v4, v29, 16, 1
	v_add3_u32 v4, v29, v4, s21
                                        ; implicit-def: $vgpr29
; %bb.96:                               ;   in Loop: Header=BB148_44 Depth=1
	s_andn2_saveexec_b64 s[16:17], s[4:5]
; %bb.97:                               ;   in Loop: Header=BB148_44 Depth=1
	v_or_b32_e32 v4, 0x10000, v29
	v_cmp_eq_u32_sdwa s[4:5], v29, v17 src0_sel:WORD_0 src1_sel:DWORD
	v_cndmask_b32_e64 v4, v4, v29, s[4:5]
; %bb.98:                               ;   in Loop: Header=BB148_44 Depth=1
	s_or_b64 exec, exec, s[16:17]
	v_and_b32_e32 v27, 0xffff0000, v27
	v_lshlrev_b32_e32 v28, 16, v28
	v_mul_f32_e32 v28, v27, v28
	v_and_b32_e32 v29, 0x7f800000, v28
	v_cmp_ne_u32_e64 s[4:5], s20, v29
                                        ; implicit-def: $vgpr33
	s_and_saveexec_b64 s[16:17], s[4:5]
	s_xor_b64 s[4:5], exec, s[16:17]
; %bb.99:                               ;   in Loop: Header=BB148_44 Depth=1
	v_bfe_u32 v29, v28, 16, 1
	v_add3_u32 v33, v28, v29, s21
                                        ; implicit-def: $vgpr28
; %bb.100:                              ;   in Loop: Header=BB148_44 Depth=1
	s_andn2_saveexec_b64 s[16:17], s[4:5]
; %bb.101:                              ;   in Loop: Header=BB148_44 Depth=1
	v_or_b32_e32 v29, 0x10000, v28
	v_cmp_eq_u32_sdwa s[4:5], v28, v17 src0_sel:WORD_0 src1_sel:DWORD
	v_cndmask_b32_e64 v33, v29, v28, s[4:5]
; %bb.102:                              ;   in Loop: Header=BB148_44 Depth=1
	s_or_b64 exec, exec, s[16:17]
	v_and_b32_e32 v28, 0xffff0000, v7
	v_lshlrev_b32_e32 v5, 16, v5
	v_mul_f32_e32 v7, v28, v5
	v_and_b32_e32 v5, 0x7f800000, v7
	v_cmp_ne_u32_e64 s[4:5], s20, v5
                                        ; implicit-def: $vgpr5
	s_and_saveexec_b64 s[16:17], s[4:5]
	s_xor_b64 s[4:5], exec, s[16:17]
; %bb.103:                              ;   in Loop: Header=BB148_44 Depth=1
	v_bfe_u32 v5, v7, 16, 1
	v_add3_u32 v5, v7, v5, s21
                                        ; implicit-def: $vgpr7
; %bb.104:                              ;   in Loop: Header=BB148_44 Depth=1
	s_andn2_saveexec_b64 s[16:17], s[4:5]
; %bb.105:                              ;   in Loop: Header=BB148_44 Depth=1
	v_or_b32_e32 v5, 0x10000, v7
	v_cmp_eq_u32_sdwa s[4:5], v7, v17 src0_sel:WORD_0 src1_sel:DWORD
	v_cndmask_b32_e64 v5, v5, v7, s[4:5]
; %bb.106:                              ;   in Loop: Header=BB148_44 Depth=1
	s_or_b64 exec, exec, s[16:17]
	v_and_b32_e32 v29, 0xffff0000, v6
	v_lshlrev_b32_e32 v6, 16, v30
	v_mul_f32_e32 v6, v29, v6
	v_and_b32_e32 v7, 0x7f800000, v6
	v_cmp_ne_u32_e64 s[4:5], s20, v7
                                        ; implicit-def: $vgpr7
	s_and_saveexec_b64 s[16:17], s[4:5]
	s_xor_b64 s[4:5], exec, s[16:17]
; %bb.107:                              ;   in Loop: Header=BB148_44 Depth=1
	v_bfe_u32 v7, v6, 16, 1
	v_add3_u32 v7, v6, v7, s21
                                        ; implicit-def: $vgpr6
; %bb.108:                              ;   in Loop: Header=BB148_44 Depth=1
	s_andn2_saveexec_b64 s[16:17], s[4:5]
; %bb.109:                              ;   in Loop: Header=BB148_44 Depth=1
	v_or_b32_e32 v7, 0x10000, v6
	v_cmp_eq_u32_sdwa s[4:5], v6, v17 src0_sel:WORD_0 src1_sel:DWORD
	v_cndmask_b32_e64 v7, v7, v6, s[4:5]
; %bb.110:                              ;   in Loop: Header=BB148_44 Depth=1
	s_or_b64 exec, exec, s[16:17]
	v_and_b32_e32 v6, 0xffff0000, v33
	v_and_b32_e32 v33, 0xffff0000, v32
	v_and_b32_e32 v32, 0xffff0000, v31
	v_and_b32_e32 v3, 0xffff0000, v3
	v_and_b32_e32 v2, 0xffff0000, v2
	v_pk_add_f32 v[2:3], v[2:3], v[32:33]
	v_and_b32_e32 v7, 0xffff0000, v7
	v_and_b32_e32 v5, 0xffff0000, v5
	;; [unrolled: 1-line block ×3, first 2 shown]
	v_mov_b32_e32 v30, v3
	v_pk_add_f32 v[2:3], v[2:3], v[30:31]
	v_pk_add_f32 v[4:5], v[4:5], v[6:7]
	;; [unrolled: 1-line block ×3, first 2 shown]
	v_mov_b32_e32 v4, v5
	v_pk_add_f32 v[2:3], v[2:3], v[4:5]
	v_pk_add_f32 v[6:7], v[12:13], v[2:3]
	s_and_saveexec_b64 s[16:17], vcc
	s_cbranch_execz .LBB148_43
; %bb.111:                              ;   in Loop: Header=BB148_44 Depth=1
	v_add_co_u32_e64 v2, s[4:5], v9, v20
	v_addc_co_u32_e64 v3, s[4:5], 0, v21, s[4:5]
	global_load_dwordx4 v[2:5], v[2:3], off
	s_waitcnt vmcnt(0)
	v_lshrrev_b32_e32 v30, 16, v2
	v_lshrrev_b32_e32 v21, 16, v3
	;; [unrolled: 1-line block ×4, first 2 shown]
	s_and_saveexec_b64 s[4:5], s[2:3]
	s_cbranch_execz .LBB148_113
; %bb.112:                              ;   in Loop: Header=BB148_44 Depth=1
	v_cmp_gt_i32_e64 s[2:3], s27, v8
	v_add_u32_e32 v8, -6, v18
	v_cndmask_b32_e64 v2, 0, v2, s[2:3]
	v_cmp_gt_i32_e64 s[2:3], s27, v8
	v_add_u32_e32 v8, -5, v18
	v_cndmask_b32_e64 v30, 0, v30, s[2:3]
	;; [unrolled: 3-line block ×6, first 2 shown]
	v_cmp_gt_i32_e64 s[2:3], s27, v8
	v_cndmask_b32_e64 v5, 0, v5, s[2:3]
	v_cmp_gt_i32_e64 s[2:3], s27, v18
	v_cndmask_b32_e64 v7, 0, v7, s[2:3]
.LBB148_113:                            ;   in Loop: Header=BB148_44 Depth=1
	s_or_b64 exec, exec, s[4:5]
	v_lshlrev_b32_e32 v2, 16, v2
	v_mul_f32_e32 v8, v22, v2
	v_and_b32_e32 v2, 0x7f800000, v8
	v_cmp_ne_u32_e64 s[2:3], s20, v2
                                        ; implicit-def: $vgpr2
	s_and_saveexec_b64 s[4:5], s[2:3]
	s_xor_b64 s[2:3], exec, s[4:5]
; %bb.114:                              ;   in Loop: Header=BB148_44 Depth=1
	v_bfe_u32 v2, v8, 16, 1
	v_add3_u32 v2, v8, v2, s21
                                        ; implicit-def: $vgpr8
; %bb.115:                              ;   in Loop: Header=BB148_44 Depth=1
	s_andn2_saveexec_b64 s[4:5], s[2:3]
; %bb.116:                              ;   in Loop: Header=BB148_44 Depth=1
	v_or_b32_e32 v2, 0x10000, v8
	v_cmp_eq_u32_sdwa s[2:3], v8, v17 src0_sel:WORD_0 src1_sel:DWORD
	v_cndmask_b32_e64 v2, v2, v8, s[2:3]
; %bb.117:                              ;   in Loop: Header=BB148_44 Depth=1
	s_or_b64 exec, exec, s[4:5]
	v_lshlrev_b32_e32 v8, 16, v30
	v_mul_f32_e32 v22, v23, v8
	v_and_b32_e32 v8, 0x7f800000, v22
	v_cmp_ne_u32_e64 s[2:3], s20, v8
                                        ; implicit-def: $vgpr8
	s_and_saveexec_b64 s[4:5], s[2:3]
	s_xor_b64 s[2:3], exec, s[4:5]
; %bb.118:                              ;   in Loop: Header=BB148_44 Depth=1
	v_bfe_u32 v8, v22, 16, 1
	v_add3_u32 v8, v22, v8, s21
                                        ; implicit-def: $vgpr22
; %bb.119:                              ;   in Loop: Header=BB148_44 Depth=1
	s_andn2_saveexec_b64 s[4:5], s[2:3]
; %bb.120:                              ;   in Loop: Header=BB148_44 Depth=1
	v_or_b32_e32 v8, 0x10000, v22
	v_cmp_eq_u32_sdwa s[2:3], v22, v17 src0_sel:WORD_0 src1_sel:DWORD
	v_cndmask_b32_e64 v8, v8, v22, s[2:3]
; %bb.121:                              ;   in Loop: Header=BB148_44 Depth=1
	s_or_b64 exec, exec, s[4:5]
	v_lshlrev_b32_e32 v3, 16, v3
	v_mul_f32_e32 v22, v24, v3
	v_and_b32_e32 v3, 0x7f800000, v22
	v_cmp_ne_u32_e64 s[2:3], s20, v3
                                        ; implicit-def: $vgpr3
	s_and_saveexec_b64 s[4:5], s[2:3]
	s_xor_b64 s[2:3], exec, s[4:5]
; %bb.122:                              ;   in Loop: Header=BB148_44 Depth=1
	v_bfe_u32 v3, v22, 16, 1
	v_add3_u32 v3, v22, v3, s21
                                        ; implicit-def: $vgpr22
; %bb.123:                              ;   in Loop: Header=BB148_44 Depth=1
	s_andn2_saveexec_b64 s[4:5], s[2:3]
; %bb.124:                              ;   in Loop: Header=BB148_44 Depth=1
	v_or_b32_e32 v3, 0x10000, v22
	v_cmp_eq_u32_sdwa s[2:3], v22, v17 src0_sel:WORD_0 src1_sel:DWORD
	v_cndmask_b32_e64 v3, v3, v22, s[2:3]
; %bb.125:                              ;   in Loop: Header=BB148_44 Depth=1
	s_or_b64 exec, exec, s[4:5]
	v_lshlrev_b32_e32 v21, 16, v21
	v_mul_f32_e32 v22, v25, v21
	v_and_b32_e32 v21, 0x7f800000, v22
	v_cmp_ne_u32_e64 s[2:3], s20, v21
                                        ; implicit-def: $vgpr21
	s_and_saveexec_b64 s[4:5], s[2:3]
	s_xor_b64 s[2:3], exec, s[4:5]
; %bb.126:                              ;   in Loop: Header=BB148_44 Depth=1
	v_bfe_u32 v21, v22, 16, 1
	v_add3_u32 v21, v22, v21, s21
                                        ; implicit-def: $vgpr22
; %bb.127:                              ;   in Loop: Header=BB148_44 Depth=1
	s_andn2_saveexec_b64 s[4:5], s[2:3]
; %bb.128:                              ;   in Loop: Header=BB148_44 Depth=1
	v_or_b32_e32 v21, 0x10000, v22
	v_cmp_eq_u32_sdwa s[2:3], v22, v17 src0_sel:WORD_0 src1_sel:DWORD
	v_cndmask_b32_e64 v21, v21, v22, s[2:3]
; %bb.129:                              ;   in Loop: Header=BB148_44 Depth=1
	s_or_b64 exec, exec, s[4:5]
	v_lshlrev_b32_e32 v4, 16, v4
	v_mul_f32_e32 v22, v26, v4
	v_and_b32_e32 v4, 0x7f800000, v22
	v_cmp_ne_u32_e64 s[2:3], s20, v4
                                        ; implicit-def: $vgpr4
	s_and_saveexec_b64 s[4:5], s[2:3]
	s_xor_b64 s[2:3], exec, s[4:5]
; %bb.130:                              ;   in Loop: Header=BB148_44 Depth=1
	v_bfe_u32 v4, v22, 16, 1
	v_add3_u32 v4, v22, v4, s21
                                        ; implicit-def: $vgpr22
; %bb.131:                              ;   in Loop: Header=BB148_44 Depth=1
	s_andn2_saveexec_b64 s[4:5], s[2:3]
; %bb.132:                              ;   in Loop: Header=BB148_44 Depth=1
	v_or_b32_e32 v4, 0x10000, v22
	v_cmp_eq_u32_sdwa s[2:3], v22, v17 src0_sel:WORD_0 src1_sel:DWORD
	v_cndmask_b32_e64 v4, v4, v22, s[2:3]
; %bb.133:                              ;   in Loop: Header=BB148_44 Depth=1
	s_or_b64 exec, exec, s[4:5]
	v_lshlrev_b32_e32 v9, 16, v9
	v_mul_f32_e32 v22, v27, v9
	v_and_b32_e32 v9, 0x7f800000, v22
	v_cmp_ne_u32_e64 s[2:3], s20, v9
                                        ; implicit-def: $vgpr9
	s_and_saveexec_b64 s[4:5], s[2:3]
	s_xor_b64 s[2:3], exec, s[4:5]
; %bb.134:                              ;   in Loop: Header=BB148_44 Depth=1
	v_bfe_u32 v9, v22, 16, 1
	v_add3_u32 v9, v22, v9, s21
                                        ; implicit-def: $vgpr22
; %bb.135:                              ;   in Loop: Header=BB148_44 Depth=1
	s_andn2_saveexec_b64 s[4:5], s[2:3]
; %bb.136:                              ;   in Loop: Header=BB148_44 Depth=1
	v_or_b32_e32 v9, 0x10000, v22
	v_cmp_eq_u32_sdwa s[2:3], v22, v17 src0_sel:WORD_0 src1_sel:DWORD
	v_cndmask_b32_e64 v9, v9, v22, s[2:3]
; %bb.137:                              ;   in Loop: Header=BB148_44 Depth=1
	s_or_b64 exec, exec, s[4:5]
	v_lshlrev_b32_e32 v5, 16, v5
	v_mul_f32_e32 v22, v28, v5
	v_and_b32_e32 v5, 0x7f800000, v22
	v_cmp_ne_u32_e64 s[2:3], s20, v5
                                        ; implicit-def: $vgpr5
	s_and_saveexec_b64 s[4:5], s[2:3]
	s_xor_b64 s[2:3], exec, s[4:5]
; %bb.138:                              ;   in Loop: Header=BB148_44 Depth=1
	v_bfe_u32 v5, v22, 16, 1
	v_add3_u32 v5, v22, v5, s21
                                        ; implicit-def: $vgpr22
; %bb.139:                              ;   in Loop: Header=BB148_44 Depth=1
	s_andn2_saveexec_b64 s[4:5], s[2:3]
; %bb.140:                              ;   in Loop: Header=BB148_44 Depth=1
	v_or_b32_e32 v5, 0x10000, v22
	v_cmp_eq_u32_sdwa s[2:3], v22, v17 src0_sel:WORD_0 src1_sel:DWORD
	v_cndmask_b32_e64 v5, v5, v22, s[2:3]
; %bb.141:                              ;   in Loop: Header=BB148_44 Depth=1
	s_or_b64 exec, exec, s[4:5]
	v_lshlrev_b32_e32 v7, 16, v7
	v_mul_f32_e32 v7, v29, v7
	v_and_b32_e32 v22, 0x7f800000, v7
	v_cmp_ne_u32_e64 s[2:3], s20, v22
                                        ; implicit-def: $vgpr22
	s_and_saveexec_b64 s[4:5], s[2:3]
	s_xor_b64 s[2:3], exec, s[4:5]
; %bb.142:                              ;   in Loop: Header=BB148_44 Depth=1
	v_bfe_u32 v22, v7, 16, 1
	v_add3_u32 v22, v7, v22, s21
                                        ; implicit-def: $vgpr7
; %bb.143:                              ;   in Loop: Header=BB148_44 Depth=1
	s_andn2_saveexec_b64 s[4:5], s[2:3]
	s_cbranch_execz .LBB148_42
; %bb.144:                              ;   in Loop: Header=BB148_44 Depth=1
	v_or_b32_e32 v22, 0x10000, v7
	v_cmp_eq_u32_sdwa s[2:3], v7, v17 src0_sel:WORD_0 src1_sel:DWORD
	v_cndmask_b32_e64 v22, v22, v7, s[2:3]
	s_branch .LBB148_42
.LBB148_145:
	s_or_b64 exec, exec, s[12:13]
.LBB148_146:
	s_or_b64 exec, exec, s[6:7]
	v_and_b32_e32 v2, 0x3c0, v0
	v_cmp_eq_u32_e32 vcc, 64, v2
	s_barrier
	s_and_saveexec_b64 s[2:3], vcc
	s_cbranch_execz .LBB148_149
; %bb.147:
	v_mov_b32_e32 v2, 0xf0
	v_lshl_add_u32 v3, v16, 2, v2
	ds_write_b32 v3, v6
	s_and_b64 exec, exec, s[0:1]
	s_cbranch_execz .LBB148_149
; %bb.148:
	v_lshl_add_u32 v2, v0, 2, v2
	ds_write_b32 v2, v13
.LBB148_149:
	s_or_b64 exec, exec, s[2:3]
	v_cmp_gt_u32_e32 vcc, 64, v0
	v_or_b32_e32 v2, 64, v0
	s_waitcnt lgkmcnt(0)
	s_barrier
	s_and_saveexec_b64 s[2:3], vcc
	s_cbranch_execz .LBB148_153
; %bb.150:
	v_mov_b32_e32 v3, 0xf0
	v_lshl_add_u32 v3, v0, 2, v3
	ds_read_b32 v0, v3
	s_movk_i32 s0, 0x70
	v_cmp_gt_u32_e64 s[0:1], s0, v2
	s_and_saveexec_b64 s[4:5], s[0:1]
	s_cbranch_execz .LBB148_152
; %bb.151:
	ds_read_b32 v3, v3 offset:256
	s_waitcnt lgkmcnt(0)
	v_add_f32_e32 v13, v13, v3
.LBB148_152:
	s_or_b64 exec, exec, s[4:5]
	s_waitcnt lgkmcnt(0)
	v_add_f32_e32 v6, v6, v0
.LBB148_153:
	s_or_b64 exec, exec, s[2:3]
	s_barrier
	s_and_saveexec_b64 s[0:1], vcc
	s_cbranch_execz .LBB148_164
; %bb.154:
	s_mov_b32 s0, 0x7f800000
	v_and_b32_e32 v0, 0x7f800000, v6
	v_cmp_ne_u32_e32 vcc, s0, v0
                                        ; implicit-def: $vgpr0
	s_and_saveexec_b64 s[0:1], vcc
	s_xor_b64 s[0:1], exec, s[0:1]
; %bb.155:
	v_bfe_u32 v0, v6, 16, 1
	s_movk_i32 s2, 0x7fff
	v_add3_u32 v0, v6, v0, s2
                                        ; implicit-def: $vgpr6
; %bb.156:
	s_andn2_saveexec_b64 s[0:1], s[0:1]
; %bb.157:
	v_mov_b32_e32 v0, 0
	v_or_b32_e32 v3, 0x10000, v6
	v_cmp_eq_u32_sdwa vcc, v6, v0 src0_sel:WORD_0 src1_sel:DWORD
	v_cndmask_b32_e32 v0, v3, v6, vcc
; %bb.158:
	s_or_b64 exec, exec, s[0:1]
	s_mul_i32 s0, s10, 0x70
	s_ashr_i32 s1, s0, 31
	s_lshl_b64 s[0:1], s[0:1], 1
	s_add_u32 s3, s24, s0
	s_mul_i32 s0, s15, s14
	s_addc_u32 s4, s25, s1
	s_ashr_i32 s1, s0, 31
	s_lshl_b64 s[0:1], s[0:1], 1
	s_add_u32 s3, s3, s0
	s_mul_i32 s0, s8, 0x70
	s_addc_u32 s4, s4, s1
	s_ashr_i32 s1, s0, 31
	s_lshl_b64 s[0:1], s[0:1], 1
	s_movk_i32 s2, 0x70
	s_add_u32 s0, s3, s0
	s_addc_u32 s1, s4, s1
	v_cmp_gt_u32_e32 vcc, s2, v2
	global_store_short_d16_hi v1, v0, s[0:1]
	s_and_b64 exec, exec, vcc
	s_cbranch_execz .LBB148_164
; %bb.159:
	v_mov_b32_e32 v2, s1
	v_add_co_u32_e32 v0, vcc, s0, v1
	v_addc_co_u32_e32 v1, vcc, 0, v2, vcc
	s_mov_b32 s0, 0x7f800000
	v_and_b32_e32 v2, 0x7f800000, v13
	v_cmp_ne_u32_e32 vcc, s0, v2
                                        ; implicit-def: $vgpr2
	s_and_saveexec_b64 s[0:1], vcc
	s_xor_b64 s[0:1], exec, s[0:1]
; %bb.160:
	v_bfe_u32 v2, v13, 16, 1
	s_movk_i32 s2, 0x7fff
	v_add3_u32 v2, v13, v2, s2
                                        ; implicit-def: $vgpr13
; %bb.161:
	s_andn2_saveexec_b64 s[0:1], s[0:1]
; %bb.162:
	v_mov_b32_e32 v2, 0
	v_or_b32_e32 v3, 0x10000, v13
	v_cmp_eq_u32_sdwa vcc, v13, v2 src0_sel:WORD_0 src1_sel:DWORD
	v_cndmask_b32_e32 v2, v3, v13, vcc
; %bb.163:
	s_or_b64 exec, exec, s[0:1]
	global_store_short_d16_hi v[0:1], v2, off offset:128
.LBB148_164:
	s_endpgm
	.section	.rodata,"a",@progbits
	.p2align	6, 0x0
	.amdhsa_kernel _ZN4vllm25paged_attention_v2_kernelI14__hip_bfloat16S1_Li112ELi8ELi128ELNS_18Fp8KVCacheDataTypeE0ELb0ELi512EEEvPfS3_PT_PKS4_PKT0_SA_ifPKiSC_iPKfiiiSE_SE_iiiii
		.amdhsa_group_segment_fixed_size 240
		.amdhsa_private_segment_fixed_size 0
		.amdhsa_kernarg_size 400
		.amdhsa_user_sgpr_count 6
		.amdhsa_user_sgpr_private_segment_buffer 1
		.amdhsa_user_sgpr_dispatch_ptr 0
		.amdhsa_user_sgpr_queue_ptr 0
		.amdhsa_user_sgpr_kernarg_segment_ptr 1
		.amdhsa_user_sgpr_dispatch_id 0
		.amdhsa_user_sgpr_flat_scratch_init 0
		.amdhsa_user_sgpr_kernarg_preload_length 0
		.amdhsa_user_sgpr_kernarg_preload_offset 0
		.amdhsa_user_sgpr_private_segment_size 0
		.amdhsa_uses_dynamic_stack 0
		.amdhsa_system_sgpr_private_segment_wavefront_offset 0
		.amdhsa_system_sgpr_workgroup_id_x 1
		.amdhsa_system_sgpr_workgroup_id_y 1
		.amdhsa_system_sgpr_workgroup_id_z 1
		.amdhsa_system_sgpr_workgroup_info 0
		.amdhsa_system_vgpr_workitem_id 0
		.amdhsa_next_free_vgpr 49
		.amdhsa_next_free_sgpr 44
		.amdhsa_accum_offset 52
		.amdhsa_reserve_vcc 1
		.amdhsa_reserve_flat_scratch 0
		.amdhsa_float_round_mode_32 0
		.amdhsa_float_round_mode_16_64 0
		.amdhsa_float_denorm_mode_32 3
		.amdhsa_float_denorm_mode_16_64 3
		.amdhsa_dx10_clamp 1
		.amdhsa_ieee_mode 1
		.amdhsa_fp16_overflow 0
		.amdhsa_tg_split 0
		.amdhsa_exception_fp_ieee_invalid_op 0
		.amdhsa_exception_fp_denorm_src 0
		.amdhsa_exception_fp_ieee_div_zero 0
		.amdhsa_exception_fp_ieee_overflow 0
		.amdhsa_exception_fp_ieee_underflow 0
		.amdhsa_exception_fp_ieee_inexact 0
		.amdhsa_exception_int_div_zero 0
	.end_amdhsa_kernel
	.section	.text._ZN4vllm25paged_attention_v2_kernelI14__hip_bfloat16S1_Li112ELi8ELi128ELNS_18Fp8KVCacheDataTypeE0ELb0ELi512EEEvPfS3_PT_PKS4_PKT0_SA_ifPKiSC_iPKfiiiSE_SE_iiiii,"axG",@progbits,_ZN4vllm25paged_attention_v2_kernelI14__hip_bfloat16S1_Li112ELi8ELi128ELNS_18Fp8KVCacheDataTypeE0ELb0ELi512EEEvPfS3_PT_PKS4_PKT0_SA_ifPKiSC_iPKfiiiSE_SE_iiiii,comdat
.Lfunc_end148:
	.size	_ZN4vllm25paged_attention_v2_kernelI14__hip_bfloat16S1_Li112ELi8ELi128ELNS_18Fp8KVCacheDataTypeE0ELb0ELi512EEEvPfS3_PT_PKS4_PKT0_SA_ifPKiSC_iPKfiiiSE_SE_iiiii, .Lfunc_end148-_ZN4vllm25paged_attention_v2_kernelI14__hip_bfloat16S1_Li112ELi8ELi128ELNS_18Fp8KVCacheDataTypeE0ELb0ELi512EEEvPfS3_PT_PKS4_PKT0_SA_ifPKiSC_iPKfiiiSE_SE_iiiii
                                        ; -- End function
	.section	.AMDGPU.csdata,"",@progbits
; Kernel info:
; codeLenInByte = 6372
; NumSgprs: 48
; NumVgprs: 49
; NumAgprs: 0
; TotalNumVgprs: 49
; ScratchSize: 0
; MemoryBound: 0
; FloatMode: 240
; IeeeMode: 1
; LDSByteSize: 240 bytes/workgroup (compile time only)
; SGPRBlocks: 5
; VGPRBlocks: 6
; NumSGPRsForWavesPerEU: 48
; NumVGPRsForWavesPerEU: 49
; AccumOffset: 52
; Occupancy: 8
; WaveLimiterHint : 1
; COMPUTE_PGM_RSRC2:SCRATCH_EN: 0
; COMPUTE_PGM_RSRC2:USER_SGPR: 6
; COMPUTE_PGM_RSRC2:TRAP_HANDLER: 0
; COMPUTE_PGM_RSRC2:TGID_X_EN: 1
; COMPUTE_PGM_RSRC2:TGID_Y_EN: 1
; COMPUTE_PGM_RSRC2:TGID_Z_EN: 1
; COMPUTE_PGM_RSRC2:TIDIG_COMP_CNT: 0
; COMPUTE_PGM_RSRC3_GFX90A:ACCUM_OFFSET: 12
; COMPUTE_PGM_RSRC3_GFX90A:TG_SPLIT: 0
	.section	.text._ZN4vllm25paged_attention_v2_kernelI14__hip_bfloat16S1_Li120ELi8ELi128ELNS_18Fp8KVCacheDataTypeE0ELb0ELi512EEEvPfS3_PT_PKS4_PKT0_SA_ifPKiSC_iPKfiiiSE_SE_iiiii,"axG",@progbits,_ZN4vllm25paged_attention_v2_kernelI14__hip_bfloat16S1_Li120ELi8ELi128ELNS_18Fp8KVCacheDataTypeE0ELb0ELi512EEEvPfS3_PT_PKS4_PKT0_SA_ifPKiSC_iPKfiiiSE_SE_iiiii,comdat
	.protected	_ZN4vllm25paged_attention_v2_kernelI14__hip_bfloat16S1_Li120ELi8ELi128ELNS_18Fp8KVCacheDataTypeE0ELb0ELi512EEEvPfS3_PT_PKS4_PKT0_SA_ifPKiSC_iPKfiiiSE_SE_iiiii ; -- Begin function _ZN4vllm25paged_attention_v2_kernelI14__hip_bfloat16S1_Li120ELi8ELi128ELNS_18Fp8KVCacheDataTypeE0ELb0ELi512EEEvPfS3_PT_PKS4_PKT0_SA_ifPKiSC_iPKfiiiSE_SE_iiiii
	.globl	_ZN4vllm25paged_attention_v2_kernelI14__hip_bfloat16S1_Li120ELi8ELi128ELNS_18Fp8KVCacheDataTypeE0ELb0ELi512EEEvPfS3_PT_PKS4_PKT0_SA_ifPKiSC_iPKfiiiSE_SE_iiiii
	.p2align	8
	.type	_ZN4vllm25paged_attention_v2_kernelI14__hip_bfloat16S1_Li120ELi8ELi128ELNS_18Fp8KVCacheDataTypeE0ELb0ELi512EEEvPfS3_PT_PKS4_PKT0_SA_ifPKiSC_iPKfiiiSE_SE_iiiii,@function
_ZN4vllm25paged_attention_v2_kernelI14__hip_bfloat16S1_Li120ELi8ELi128ELNS_18Fp8KVCacheDataTypeE0ELb0ELi512EEEvPfS3_PT_PKS4_PKT0_SA_ifPKiSC_iPKfiiiSE_SE_iiiii: ; @_ZN4vllm25paged_attention_v2_kernelI14__hip_bfloat16S1_Li120ELi8ELi128ELNS_18Fp8KVCacheDataTypeE0ELb0ELi512EEEvPfS3_PT_PKS4_PKT0_SA_ifPKiSC_iPKfiiiSE_SE_iiiii
; %bb.0:
	s_load_dwordx2 s[0:1], s[4:5], 0x40
	s_mov_b32 s26, s7
	s_ashr_i32 s27, s7, 31
	s_lshl_b64 s[2:3], s[26:27], 2
	s_waitcnt lgkmcnt(0)
	s_add_u32 s0, s0, s2
	s_addc_u32 s1, s1, s3
	s_load_dword s27, s[0:1], 0x0
	s_lshl_b32 s42, s8, 9
	s_waitcnt lgkmcnt(0)
	s_cmp_ge_i32 s42, s27
	s_cbranch_scc1 .LBB149_164
; %bb.1:
	s_load_dword s9, s[4:5], 0x90
	s_load_dwordx2 s[12:13], s[4:5], 0x30
	s_waitcnt lgkmcnt(0)
	s_abs_i32 s2, s9
	s_abs_i32 s0, s12
	v_cvt_f32_u32_e32 v1, s0
	s_sub_i32 s3, 0, s0
	s_xor_b32 s1, s9, s12
	s_ashr_i32 s1, s1, 31
	v_rcp_iflag_f32_e32 v1, v1
	s_mov_b32 s12, 0
	v_mul_f32_e32 v1, 0x4f7ffffe, v1
	v_cvt_u32_f32_e32 v1, v1
	v_readfirstlane_b32 s7, v1
	s_mul_i32 s3, s3, s7
	s_mul_hi_u32 s3, s7, s3
	s_add_i32 s7, s7, s3
	s_mul_hi_u32 s3, s2, s7
	s_mul_i32 s7, s3, s0
	s_sub_i32 s2, s2, s7
	s_add_i32 s10, s3, 1
	s_sub_i32 s7, s2, s0
	s_cmp_ge_u32 s2, s0
	s_cselect_b32 s3, s10, s3
	s_cselect_b32 s2, s7, s2
	s_add_i32 s7, s3, 1
	s_cmp_ge_u32 s2, s0
	s_cselect_b32 s0, s7, s3
	s_xor_b32 s0, s0, s1
	s_sub_i32 s2, s0, s1
	s_abs_i32 s10, s2
	v_cvt_f32_u32_e32 v1, s10
	s_load_dwordx2 s[0:1], s[4:5], 0x50
	s_sub_i32 s3, 0, s10
	s_abs_i32 s11, s6
	v_rcp_iflag_f32_e32 v1, v1
	v_mul_f32_e32 v1, 0x4f7ffffe, v1
	v_cvt_u32_f32_e32 v1, v1
	v_readfirstlane_b32 s7, v1
	s_mul_i32 s3, s3, s7
	s_mul_hi_u32 s3, s7, s3
	s_add_i32 s7, s7, s3
	s_waitcnt lgkmcnt(0)
	s_cmp_eq_u64 s[0:1], 0
	s_mul_hi_u32 s20, s11, s7
	s_cbranch_scc1 .LBB149_3
; %bb.2:
	s_ashr_i32 s7, s6, 31
	s_lshl_b64 s[14:15], s[6:7], 2
	s_add_u32 s0, s0, s14
	s_addc_u32 s1, s1, s15
	s_load_dword s12, s[0:1], 0x0
.LBB149_3:
	s_load_dwordx4 s[16:19], s[4:5], 0x58
	s_movk_i32 s0, 0x78
	s_ashr_i32 s21, s6, 31
	s_ashr_i32 s22, s2, 31
	v_and_b32_e32 v2, 7, v0
	s_mul_i32 s14, s6, 0x78
	v_cmp_gt_u32_e64 s[0:1], s0, v0
	v_lshlrev_b32_e32 v1, 1, v0
	s_and_saveexec_b64 s[2:3], s[0:1]
	s_cbranch_execz .LBB149_5
; %bb.4:
	s_load_dwordx2 s[24:25], s[4:5], 0x18
	s_waitcnt lgkmcnt(0)
	s_mul_i32 s28, s26, s16
	s_ashr_i32 s29, s28, 31
	s_lshl_b64 s[28:29], s[28:29], 1
	v_lshrrev_b32_e32 v4, 2, v0
	s_add_u32 s7, s24, s28
	s_addc_u32 s16, s25, s29
	s_ashr_i32 s15, s14, 31
	s_lshl_b64 s[24:25], s[14:15], 1
	s_add_u32 s24, s7, s24
	s_addc_u32 s25, s16, s25
	global_load_ushort v3, v1, s[24:25]
	v_and_b32_e32 v4, 0xfe, v4
	v_mad_u32_u24 v4, v2, 30, v4
	s_waitcnt vmcnt(0)
	ds_write_b16 v4, v3
.LBB149_5:
	s_or_b64 exec, exec, s[2:3]
	s_add_i32 s2, s27, 7
	s_ashr_i32 s3, s2, 31
	s_lshr_b32 s3, s3, 29
	s_add_i32 s2, s2, s3
	s_lshl_b32 s7, s8, 6
	s_mul_i32 s3, s20, s10
	s_waitcnt lgkmcnt(0)
	s_ashr_i32 s16, s2, 3
	s_add_i32 s2, s7, 64
	s_sub_i32 s3, s11, s3
	s_min_i32 s33, s2, s16
	s_xor_b32 s2, s21, s22
	s_add_i32 s11, s20, 1
	s_sub_i32 s15, s3, s10
	s_cmp_ge_u32 s3, s10
	s_cselect_b32 s11, s11, s20
	s_cselect_b32 s3, s15, s3
	s_add_i32 s15, s11, 1
	s_cmp_ge_u32 s3, s10
	s_load_dwordx2 s[28:29], s[4:5], 0x38
	s_load_dword s10, s[4:5], 0x48
	v_lshrrev_b32_e32 v4, 6, v0
	s_cselect_b32 s3, s15, s11
	s_xor_b32 s3, s3, s2
	v_or_b32_e32 v10, s7, v4
	s_waitcnt lgkmcnt(0)
	s_mul_i32 s30, s26, s10
	s_sub_i32 s19, s3, s2
	s_ashr_i32 s31, s30, 31
	v_cmp_gt_i32_e64 s[2:3], s33, v10
	v_cmp_le_i32_e32 vcc, s33, v10
	v_mbcnt_lo_u32_b32 v3, -1, 0
	s_barrier
	s_waitcnt lgkmcnt(0)
                                        ; implicit-def: $sgpr38
                                        ; implicit-def: $vgpr6
                                        ; implicit-def: $vgpr7
	s_and_saveexec_b64 s[10:11], vcc
	s_xor_b64 s[10:11], exec, s[10:11]
; %bb.6:
	v_mbcnt_hi_u32_b32 v6, -1, v3
	v_and_b32_e32 v2, 64, v6
	v_add_u32_e32 v7, 64, v2
	s_mov_b32 s38, 0xff7fffff
                                        ; implicit-def: $vgpr2
                                        ; implicit-def: $vgpr3
; %bb.7:
	s_or_saveexec_b64 s[36:37], s[10:11]
	s_load_dwordx4 s[20:23], s[4:5], 0x0
	s_load_dwordx2 s[24:25], s[4:5], 0x10
	s_load_dwordx2 s[34:35], s[4:5], 0x28
	s_load_dword s15, s[4:5], 0x98
	v_mov_b32_e32 v27, s38
	s_mul_i32 s18, s19, s18
	v_ashrrev_i32_e32 v11, 31, v10
	v_lshlrev_b32_e32 v5, 3, v4
	s_xor_b64 exec, exec, s[36:37]
	s_cbranch_execz .LBB149_13
; %bb.8:
	s_load_dwordx2 s[4:5], s[4:5], 0x20
	s_ashr_i32 s19, s18, 31
	s_lshl_b64 s[10:11], s[18:19], 1
	v_bfe_u32 v27, v0, 3, 3
	v_lshlrev_b32_e32 v6, 4, v27
	s_waitcnt lgkmcnt(0)
	s_add_u32 s4, s4, s10
	s_addc_u32 s5, s5, s11
	v_mov_b32_e32 v7, s5
	v_add_co_u32_e32 v6, vcc, s4, v6
	v_addc_co_u32_e32 v7, vcc, 0, v7, vcc
	v_lshlrev_b32_e32 v8, 1, v2
	v_mul_u32_u24_e32 v12, 30, v2
	ds_read_b128 v[16:19], v12
	v_add_co_u32_e32 v8, vcc, v6, v8
	ds_read_b96 v[24:26], v12 offset:16
	ds_read_u16 v6, v12 offset:28
	v_addc_co_u32_e32 v9, vcc, 0, v7, vcc
	s_sub_i32 s19, 1, s27
	s_waitcnt lgkmcnt(1)
	v_lshlrev_b32_e32 v20, 16, v24
	v_and_b32_e32 v21, 0xffff0000, v24
	v_lshlrev_b32_e32 v22, 16, v25
	v_and_b32_e32 v23, 0xffff0000, v25
	;; [unrolled: 2-line block ×3, first 2 shown]
	s_waitcnt lgkmcnt(0)
	v_lshlrev_b32_e32 v26, 16, v6
	v_mbcnt_hi_u32_b32 v6, -1, v3
	v_and_b32_e32 v3, 64, v6
	v_add_u32_e32 v7, 64, v3
	v_xor_b32_e32 v3, 4, v6
	v_cmp_lt_i32_e32 vcc, v3, v7
	v_cndmask_b32_e32 v3, v6, v3, vcc
	v_lshlrev_b32_e32 v28, 2, v3
	v_xor_b32_e32 v3, 2, v6
	v_cmp_lt_i32_e32 vcc, v3, v7
	v_cndmask_b32_e32 v3, v6, v3, vcc
	v_lshlrev_b32_e32 v29, 2, v3
	v_xor_b32_e32 v3, 1, v6
	v_cmp_lt_i32_e32 vcc, v3, v7
	v_cndmask_b32_e32 v3, v6, v3, vcc
	v_cmp_eq_u32_e32 vcc, 0, v2
	v_lshlrev_b32_e32 v2, 2, v27
	s_lshl_b64 s[10:11], s[30:31], 2
	v_lshl_or_b32 v2, v4, 5, v2
	s_add_u32 s10, s28, s10
	v_lshlrev_b32_e32 v30, 2, v3
	v_add_u32_e32 v32, 0x100, v2
	v_lshlrev_b64 v[2:3], 2, v[10:11]
	s_addc_u32 s11, s29, s11
	v_add3_u32 v31, s42, v5, v27
	v_mov_b32_e32 v27, s11
	v_add_co_u32_e64 v2, s[10:11], s10, v2
	s_mov_b32 s43, s17
	v_lshlrev_b32_e32 v12, 16, v16
	v_and_b32_e32 v13, 0xffff0000, v16
	v_lshlrev_b32_e32 v14, 16, v17
	v_and_b32_e32 v15, 0xffff0000, v17
	v_lshlrev_b32_e32 v16, 16, v18
	v_and_b32_e32 v17, 0xffff0000, v18
	v_lshlrev_b32_e32 v18, 16, v19
	v_and_b32_e32 v19, 0xffff0000, v19
	v_cmp_neq_f32_e64 s[4:5], s12, 0
	v_addc_co_u32_e64 v3, s[10:11], v27, v3, s[10:11]
	s_mov_b64 s[38:39], 0
	v_mov_b32_e32 v27, 0xff7fffff
	v_mov_b32_e32 v33, v10
	s_branch .LBB149_10
.LBB149_9:                              ;   in Loop: Header=BB149_10 Depth=1
	s_or_b64 exec, exec, s[40:41]
	v_add_u32_e32 v33, 2, v33
	v_cmp_le_i32_e64 s[10:11], s33, v33
	s_or_b64 s[38:39], s[10:11], s[38:39]
	v_add_co_u32_e64 v2, s[10:11], 8, v2
	v_add_u32_e32 v31, 16, v31
	v_add_u32_e32 v32, 64, v32
	v_addc_co_u32_e64 v3, s[10:11], 0, v3, s[10:11]
	s_andn2_b64 exec, exec, s[38:39]
	s_cbranch_execz .LBB149_12
.LBB149_10:                             ; =>This Inner Loop Header: Depth=1
	global_load_dword v34, v[2:3], off
	s_waitcnt vmcnt(0) lgkmcnt(0)
	v_mad_i64_i32 v[34:35], s[10:11], v34, s43, 0
	v_lshlrev_b64 v[34:35], 1, v[34:35]
	v_add_co_u32_e64 v34, s[10:11], v8, v34
	v_addc_co_u32_e64 v35, s[10:11], v9, v35, s[10:11]
	global_load_ushort v36, v[34:35], off
	global_load_ushort v37, v[34:35], off offset:128
	global_load_ushort v38, v[34:35], off offset:256
	;; [unrolled: 1-line block ×14, first 2 shown]
	s_waitcnt vmcnt(14)
	v_lshlrev_b32_e32 v34, 16, v36
	s_waitcnt vmcnt(13)
	v_lshlrev_b32_e32 v35, 16, v37
	v_mul_f32_e32 v35, v13, v35
	s_waitcnt vmcnt(12)
	v_lshlrev_b32_e32 v36, 16, v38
	v_fmac_f32_e32 v35, v12, v34
	s_waitcnt vmcnt(11)
	v_lshlrev_b32_e32 v37, 16, v39
	v_fmac_f32_e32 v35, v14, v36
	;; [unrolled: 3-line block ×12, first 2 shown]
	v_fmac_f32_e32 v35, v25, v47
	s_waitcnt vmcnt(0)
	v_lshlrev_b32_e32 v34, 16, v50
	v_fmac_f32_e32 v35, v26, v34
	ds_bpermute_b32 v34, v28, v35
	s_waitcnt lgkmcnt(0)
	v_add_f32_e32 v34, v35, v34
	ds_bpermute_b32 v35, v29, v34
	s_waitcnt lgkmcnt(0)
	v_add_f32_e32 v34, v34, v35
	ds_bpermute_b32 v35, v30, v34
	s_and_saveexec_b64 s[40:41], vcc
	s_cbranch_execz .LBB149_9
; %bb.11:                               ;   in Loop: Header=BB149_10 Depth=1
	v_add_u32_e32 v36, s19, v31
	v_cvt_f32_i32_e32 v36, v36
	s_waitcnt lgkmcnt(0)
	v_add_f32_e32 v34, v34, v35
	v_cmp_gt_i32_e64 s[10:11], s27, v31
	v_max_f32_e32 v35, v27, v27
	v_mul_f32_e32 v36, s12, v36
	v_cndmask_b32_e64 v36, 0, v36, s[4:5]
	v_fmac_f32_e32 v36, s13, v34
	v_cndmask_b32_e64 v34, 0, v36, s[10:11]
	ds_write_b32 v32, v34
	v_max_f32_e32 v34, v35, v36
	v_cndmask_b32_e64 v27, v27, v34, s[10:11]
	s_branch .LBB149_9
.LBB149_12:
	s_or_b64 exec, exec, s[38:39]
.LBB149_13:
	s_or_b64 exec, exec, s[36:37]
	v_xor_b32_e32 v2, 32, v6
	v_cmp_lt_i32_e32 vcc, v2, v7
	v_cndmask_b32_e32 v2, v6, v2, vcc
	v_lshlrev_b32_e32 v3, 2, v2
	ds_bpermute_b32 v2, v3, v27
	v_xor_b32_e32 v9, 16, v6
	v_max_f32_e32 v8, v27, v27
	v_cmp_lt_i32_e32 vcc, v9, v7
	v_and_b32_e32 v16, 63, v0
	s_waitcnt lgkmcnt(0)
	v_max_f32_e32 v2, v2, v2
	v_max_f32_e32 v2, v8, v2
	v_cndmask_b32_e32 v8, v6, v9, vcc
	v_lshlrev_b32_e32 v12, 2, v8
	ds_bpermute_b32 v8, v12, v2
	v_xor_b32_e32 v9, 8, v6
	v_cmp_lt_i32_e32 vcc, v9, v7
	s_waitcnt lgkmcnt(0)
	v_max_f32_e32 v8, v8, v8
	v_max_f32_e32 v8, v2, v8
	v_cndmask_b32_e32 v2, v6, v9, vcc
	v_lshlrev_b32_e32 v13, 2, v2
	ds_bpermute_b32 v9, v13, v8
	v_cmp_eq_u32_e32 vcc, 0, v16
	v_lshlrev_b32_e32 v2, 2, v4
	s_and_saveexec_b64 s[4:5], vcc
	s_cbranch_execz .LBB149_15
; %bb.14:
	s_waitcnt lgkmcnt(0)
	v_max_f32_e32 v9, v9, v9
	v_max_f32_e32 v8, v8, v8
	;; [unrolled: 1-line block ×3, first 2 shown]
	ds_write_b32 v2, v8 offset:240
.LBB149_15:
	s_or_b64 exec, exec, s[4:5]
	v_cmp_gt_u32_e64 s[4:5], 2, v16
	v_mov_b32_e32 v8, 0xff7fffff
	s_waitcnt lgkmcnt(0)
	v_lshlrev_b32_e32 v9, 2, v16
	s_barrier
	s_and_saveexec_b64 s[10:11], s[4:5]
	s_cbranch_execz .LBB149_17
; %bb.16:
	ds_read_b32 v8, v9 offset:240
.LBB149_17:
	s_or_b64 exec, exec, s[10:11]
	v_xor_b32_e32 v14, 1, v6
	v_cmp_lt_i32_e64 s[10:11], v14, v7
	v_cndmask_b32_e64 v14, v6, v14, s[10:11]
	v_lshlrev_b32_e32 v14, 2, v14
	s_waitcnt lgkmcnt(0)
	ds_bpermute_b32 v15, v14, v8
	v_max_f32_e32 v8, v8, v8
	s_sub_i32 s7, s33, s7
	s_lshl_b32 s7, s7, 3
	s_add_i32 s7, s7, s42
	s_waitcnt lgkmcnt(0)
	v_max_f32_e32 v15, v15, v15
	v_max_f32_e32 v8, v8, v15
	v_lshlrev_b32_e32 v15, 2, v6
	v_and_b32_e32 v15, 0xffffff00, v15
	ds_bpermute_b32 v8, v15, v8
	s_min_i32 s19, s7, s27
	s_sub_i32 s7, s19, s42
	v_cmp_gt_i32_e64 s[10:11], s7, v0
	v_mov_b32_e32 v17, 0
	s_and_saveexec_b64 s[36:37], s[10:11]
	s_cbranch_execz .LBB149_21
; %bb.18:
	v_mov_b32_e32 v17, 0x100
	v_lshl_add_u32 v18, v0, 2, v17
	s_mov_b64 s[38:39], 0
	v_mov_b32_e32 v17, 0
	v_mov_b32_e32 v19, v0
.LBB149_19:                             ; =>This Inner Loop Header: Depth=1
	ds_read_b32 v20, v18
	v_add_u32_e32 v19, 0x80, v19
	v_cmp_le_i32_e64 s[12:13], s7, v19
	s_or_b64 s[38:39], s[12:13], s[38:39]
	s_waitcnt lgkmcnt(0)
	v_sub_f32_e32 v20, v20, v8
	v_mul_f32_e32 v20, 0x3fb8aa3b, v20
	v_exp_f32_e32 v20, v20
	ds_write_b32 v18, v20
	v_add_f32_e32 v17, v17, v20
	v_add_u32_e32 v18, 0x200, v18
	s_andn2_b64 exec, exec, s[38:39]
	s_cbranch_execnz .LBB149_19
; %bb.20:
	s_or_b64 exec, exec, s[38:39]
.LBB149_21:
	s_or_b64 exec, exec, s[36:37]
	ds_bpermute_b32 v3, v3, v17
	s_waitcnt lgkmcnt(0)
	v_add_f32_e32 v3, v17, v3
	ds_bpermute_b32 v12, v12, v3
	s_waitcnt lgkmcnt(0)
	v_add_f32_e32 v3, v3, v12
	ds_bpermute_b32 v12, v13, v3
	v_xor_b32_e32 v13, 4, v6
	v_cmp_lt_i32_e64 s[12:13], v13, v7
	v_cndmask_b32_e64 v13, v6, v13, s[12:13]
	v_lshlrev_b32_e32 v13, 2, v13
	s_waitcnt lgkmcnt(0)
	v_add_f32_e32 v3, v3, v12
	ds_bpermute_b32 v12, v13, v3
	v_xor_b32_e32 v13, 2, v6
	v_cmp_lt_i32_e64 s[12:13], v13, v7
	v_cndmask_b32_e64 v6, v6, v13, s[12:13]
	v_lshlrev_b32_e32 v6, 2, v6
	s_waitcnt lgkmcnt(0)
	v_add_f32_e32 v3, v3, v12
	ds_bpermute_b32 v6, v6, v3
	s_waitcnt lgkmcnt(0)
	v_add_f32_e32 v3, v3, v6
	ds_bpermute_b32 v6, v14, v3
	s_waitcnt lgkmcnt(0)
	v_add_f32_e32 v3, v3, v6
	s_and_saveexec_b64 s[12:13], vcc
	s_cbranch_execz .LBB149_23
; %bb.22:
	ds_write_b32 v2, v3 offset:248
.LBB149_23:
	s_or_b64 exec, exec, s[12:13]
	s_waitcnt lgkmcnt(0)
	s_barrier
	s_and_saveexec_b64 s[12:13], s[4:5]
	s_cbranch_execz .LBB149_25
; %bb.24:
	ds_read_b32 v3, v9 offset:248
.LBB149_25:
	s_or_b64 exec, exec, s[12:13]
	s_waitcnt lgkmcnt(0)
	ds_bpermute_b32 v2, v14, v3
	s_waitcnt lgkmcnt(0)
	v_add_f32_e32 v2, v3, v2
	ds_bpermute_b32 v6, v15, v2
	s_and_saveexec_b64 s[4:5], s[10:11]
	s_cbranch_execz .LBB149_38
; %bb.26:
	s_waitcnt lgkmcnt(0)
	v_add_f32_e32 v2, 0x358637bd, v6
	v_div_scale_f32 v3, s[10:11], v2, v2, 1.0
	v_rcp_f32_e32 v7, v3
	v_div_scale_f32 v9, vcc, 1.0, v2, 1.0
	s_movk_i32 s10, 0x7f
	v_fma_f32 v12, -v3, v7, 1.0
	v_fmac_f32_e32 v7, v12, v7
	v_mul_f32_e32 v12, v9, v7
	v_fma_f32 v13, -v3, v12, v9
	v_fmac_f32_e32 v12, v13, v7
	v_fma_f32 v3, -v3, v12, v9
	v_div_fmas_f32 v3, v3, v7, v12
	v_div_fixup_f32 v2, v3, v2, 1.0
	v_xad_u32 v3, v0, -1, s19
	v_subrev_u32_e32 v7, s42, v3
	v_cmp_lt_u32_e32 vcc, s10, v7
	s_mov_b64 s[12:13], -1
	v_mov_b32_e32 v3, v0
	s_and_saveexec_b64 s[10:11], vcc
	s_cbranch_execz .LBB149_35
; %bb.27:
	v_lshrrev_b32_e32 v7, 7, v7
	v_add_u32_e32 v12, -1, v7
	v_lshrrev_b32_e32 v9, 1, v12
	v_mov_b32_e32 v3, v2
	v_add_u32_e32 v9, 1, v9
	v_cmp_lt_u32_e32 vcc, 13, v12
	v_mov_b32_e32 v14, 0
	s_and_saveexec_b64 s[12:13], vcc
	s_cbranch_execz .LBB149_31
; %bb.28:
	v_mov_b32_e32 v13, 0x100
	v_and_b32_e32 v12, -8, v9
	v_lshl_add_u32 v13, v0, 2, v13
	s_mov_b32 s19, 0
	s_mov_b64 s[36:37], 0
.LBB149_29:                             ; =>This Inner Loop Header: Depth=1
	ds_read2st64_b32 v[14:15], v13 offset1:2
	ds_read2st64_b32 v[18:19], v13 offset0:4 offset1:6
	ds_read2st64_b32 v[20:21], v13 offset0:8 offset1:10
	;; [unrolled: 1-line block ×3, first 2 shown]
	v_add_u32_e32 v12, -8, v12
	s_waitcnt lgkmcnt(3)
	v_pk_mul_f32 v[14:15], v[2:3], v[14:15]
	s_waitcnt lgkmcnt(2)
	v_pk_mul_f32 v[18:19], v[2:3], v[18:19]
	ds_write2st64_b32 v13, v14, v15 offset1:2
	ds_write2st64_b32 v13, v18, v19 offset0:4 offset1:6
	ds_read2st64_b32 v[18:19], v13 offset0:16 offset1:18
	s_waitcnt lgkmcnt(4)
	v_pk_mul_f32 v[14:15], v[2:3], v[20:21]
	ds_write2st64_b32 v13, v14, v15 offset0:8 offset1:10
	s_waitcnt lgkmcnt(4)
	v_pk_mul_f32 v[14:15], v[2:3], v[22:23]
	ds_write2st64_b32 v13, v14, v15 offset0:12 offset1:14
	ds_read2st64_b32 v[14:15], v13 offset0:20 offset1:22
	s_waitcnt lgkmcnt(3)
	v_pk_mul_f32 v[18:19], v[2:3], v[18:19]
	ds_read2st64_b32 v[20:21], v13 offset0:24 offset1:26
	ds_write2st64_b32 v13, v18, v19 offset0:16 offset1:18
	ds_read2st64_b32 v[18:19], v13 offset0:28 offset1:30
	s_waitcnt lgkmcnt(3)
	v_pk_mul_f32 v[14:15], v[2:3], v[14:15]
	ds_write2st64_b32 v13, v14, v15 offset0:20 offset1:22
	s_waitcnt lgkmcnt(3)
	v_pk_mul_f32 v[14:15], v[2:3], v[20:21]
	ds_write2st64_b32 v13, v14, v15 offset0:24 offset1:26
	s_waitcnt lgkmcnt(2)
	v_pk_mul_f32 v[14:15], v[2:3], v[18:19]
	s_add_i32 s19, s19, 16
	v_cmp_eq_u32_e32 vcc, 0, v12
	ds_write2st64_b32 v13, v14, v15 offset0:28 offset1:30
	v_add_u32_e32 v13, 0x2000, v13
	s_or_b64 s[36:37], vcc, s[36:37]
	v_mov_b32_e32 v14, s19
	s_andn2_b64 exec, exec, s[36:37]
	s_cbranch_execnz .LBB149_29
; %bb.30:
	s_or_b64 exec, exec, s[36:37]
.LBB149_31:
	s_or_b64 exec, exec, s[12:13]
	v_and_b32_e32 v9, 7, v9
	v_cmp_ne_u32_e32 vcc, 0, v9
	s_and_saveexec_b64 s[12:13], vcc
	s_cbranch_execz .LBB149_34
; %bb.32:
	v_lshlrev_b32_e32 v12, 9, v14
	v_lshlrev_b32_e32 v13, 2, v0
	s_movk_i32 s19, 0x100
	v_add3_u32 v12, v12, v13, s19
	s_mov_b64 s[36:37], 0
.LBB149_33:                             ; =>This Inner Loop Header: Depth=1
	ds_read2st64_b32 v[14:15], v12 offset1:2
	v_add_u32_e32 v9, -1, v9
	v_cmp_eq_u32_e32 vcc, 0, v9
	s_or_b64 s[36:37], vcc, s[36:37]
	s_waitcnt lgkmcnt(0)
	v_pk_mul_f32 v[14:15], v[2:3], v[14:15]
	ds_write2st64_b32 v12, v14, v15 offset1:2
	v_add_u32_e32 v12, 0x400, v12
	s_andn2_b64 exec, exec, s[36:37]
	s_cbranch_execnz .LBB149_33
.LBB149_34:
	s_or_b64 exec, exec, s[12:13]
	v_add_u32_e32 v7, 1, v7
	v_and_b32_e32 v9, 0x3fffffe, v7
	v_cmp_ne_u32_e32 vcc, v7, v9
	v_lshl_add_u32 v3, v9, 7, v0
	s_orn2_b64 s[12:13], vcc, exec
.LBB149_35:
	s_or_b64 exec, exec, s[10:11]
	s_and_b64 exec, exec, s[12:13]
	s_cbranch_execz .LBB149_38
; %bb.36:
	v_mov_b32_e32 v7, 0x100
	v_lshl_add_u32 v7, v3, 2, v7
	s_mov_b64 s[10:11], 0
.LBB149_37:                             ; =>This Inner Loop Header: Depth=1
	ds_read_b32 v9, v7
	v_add_u32_e32 v3, 0x80, v3
	v_cmp_le_i32_e32 vcc, s7, v3
	s_or_b64 s[10:11], vcc, s[10:11]
	s_waitcnt lgkmcnt(0)
	v_mul_f32_e32 v9, v2, v9
	ds_write_b32 v7, v9
	v_add_u32_e32 v7, 0x200, v7
	s_andn2_b64 exec, exec, s[10:11]
	s_cbranch_execnz .LBB149_37
.LBB149_38:
	s_or_b64 exec, exec, s[4:5]
	s_mul_i32 s4, s15, s26
	v_cmp_eq_u32_e32 vcc, 0, v0
	s_mul_i32 s10, s4, s9
	s_waitcnt lgkmcnt(0)
	s_barrier
	s_and_saveexec_b64 s[4:5], vcc
	s_cbranch_execz .LBB149_40
; %bb.39:
	s_ashr_i32 s11, s10, 31
	s_lshl_b64 s[12:13], s[10:11], 2
	s_add_u32 s9, s22, s12
	s_mul_i32 s6, s15, s6
	s_addc_u32 s11, s23, s13
	s_ashr_i32 s7, s6, 31
	s_lshl_b64 s[6:7], s[6:7], 2
	s_add_u32 s19, s9, s6
	s_addc_u32 s11, s11, s7
	s_ashr_i32 s9, s8, 31
	s_lshl_b64 s[22:23], s[8:9], 2
	s_add_u32 s36, s19, s22
	s_addc_u32 s37, s11, s23
	s_add_u32 s9, s20, s12
	s_addc_u32 s11, s21, s13
	;; [unrolled: 2-line block ×3, first 2 shown]
	s_add_u32 s6, s6, s22
	v_mov_b32_e32 v2, 0
	s_addc_u32 s7, s7, s23
	global_store_dword v2, v8, s[36:37]
	global_store_dword v2, v6, s[6:7]
.LBB149_40:
	s_or_b64 exec, exec, s[4:5]
	v_mov_b32_e32 v13, 0
	v_mov_b32_e32 v6, v13
	s_and_saveexec_b64 s[6:7], s[2:3]
	s_cbranch_execz .LBB149_146
; %bb.41:
	s_ashr_i32 s19, s18, 31
	s_lshl_b64 s[2:3], s[18:19], 1
	s_add_u32 s11, s34, s2
	v_or_b32_e32 v3, 64, v16
	s_movk_i32 s2, 0x78
	s_addc_u32 s18, s35, s3
	s_add_i32 s19, s16, -1
	v_cmp_gt_u32_e32 vcc, s2, v3
	s_lshl_b64 s[2:3], s[30:31], 2
	v_lshlrev_b32_e32 v6, 3, v3
	v_mov_b32_e32 v3, 0x100
	s_add_u32 s2, s28, s2
	v_add3_u32 v18, s42, v5, 7
	v_lshl_add_u32 v19, v4, 5, v3
	v_lshlrev_b64 v[4:5], 2, v[10:11]
	s_addc_u32 s3, s29, s3
	v_lshlrev_b32_e32 v2, 3, v16
	v_mov_b32_e32 v17, 0
	v_mov_b32_e32 v3, s3
	v_add_co_u32_e64 v14, s[2:3], s2, v4
	s_mov_b32 s9, s17
	v_addc_co_u32_e64 v15, s[2:3], v3, v5, s[2:3]
	s_mov_b64 s[12:13], 0
	s_mov_b32 s20, 0x7f800000
	s_movk_i32 s21, 0x7fff
	v_lshlrev_b32_e32 v11, 1, v2
	v_lshlrev_b32_e32 v20, 1, v6
	v_mov_b32_e32 v12, 0
	v_mov_b32_e32 v13, v17
	s_branch .LBB149_44
.LBB149_42:                             ;   in Loop: Header=BB149_44 Depth=1
	s_or_b64 exec, exec, s[4:5]
	v_and_b32_e32 v23, 0xffff0000, v22
	v_and_b32_e32 v22, 0xffff0000, v9
	;; [unrolled: 1-line block ×6, first 2 shown]
	v_pk_add_f32 v[2:3], v[2:3], v[8:9]
	v_and_b32_e32 v5, 0xffff0000, v5
	v_and_b32_e32 v4, 0xffff0000, v4
	v_mov_b32_e32 v8, v3
	v_pk_add_f32 v[2:3], v[2:3], v[8:9]
	v_pk_add_f32 v[4:5], v[4:5], v[22:23]
	;; [unrolled: 1-line block ×3, first 2 shown]
	v_mov_b32_e32 v4, v5
	v_pk_add_f32 v[2:3], v[2:3], v[4:5]
	v_mov_b32_e32 v3, v2
	v_pk_add_f32 v[12:13], v[12:13], v[2:3]
.LBB149_43:                             ;   in Loop: Header=BB149_44 Depth=1
	s_or_b64 exec, exec, s[16:17]
	v_add_co_u32_e64 v14, s[2:3], 8, v14
	v_add_u32_e32 v10, 2, v10
	v_addc_co_u32_e64 v15, s[2:3], 0, v15, s[2:3]
	v_cmp_le_i32_e64 s[2:3], s33, v10
	v_add_u32_e32 v18, 16, v18
	v_add_u32_e32 v19, 64, v19
	s_or_b64 s[12:13], s[2:3], s[12:13]
	v_mov_b32_e32 v12, v6
	s_andn2_b64 exec, exec, s[12:13]
	s_cbranch_execz .LBB149_145
.LBB149_44:                             ; =>This Inner Loop Header: Depth=1
	global_load_dword v21, v[14:15], off
	ds_read2_b64 v[6:9], v19 offset1:1
	ds_read2_b64 v[2:5], v19 offset0:2 offset1:3
	s_waitcnt lgkmcnt(1)
	v_and_b32_e32 v22, 0x7f800000, v6
	v_cmp_ne_u32_e64 s[2:3], s20, v22
                                        ; implicit-def: $vgpr22
	s_and_saveexec_b64 s[4:5], s[2:3]
	s_xor_b64 s[2:3], exec, s[4:5]
; %bb.45:                               ;   in Loop: Header=BB149_44 Depth=1
	v_bfe_u32 v22, v6, 16, 1
	v_add3_u32 v22, v6, v22, s21
; %bb.46:                               ;   in Loop: Header=BB149_44 Depth=1
	s_andn2_saveexec_b64 s[4:5], s[2:3]
; %bb.47:                               ;   in Loop: Header=BB149_44 Depth=1
	v_or_b32_e32 v22, 0x10000, v6
	v_cmp_eq_u32_sdwa s[2:3], v6, v17 src0_sel:WORD_0 src1_sel:DWORD
	v_cndmask_b32_e64 v22, v22, v6, s[2:3]
; %bb.48:                               ;   in Loop: Header=BB149_44 Depth=1
	s_or_b64 exec, exec, s[4:5]
	v_and_b32_e32 v6, 0x7f800000, v7
	v_cmp_ne_u32_e64 s[2:3], s20, v6
                                        ; implicit-def: $vgpr23
	s_and_saveexec_b64 s[4:5], s[2:3]
	s_xor_b64 s[2:3], exec, s[4:5]
; %bb.49:                               ;   in Loop: Header=BB149_44 Depth=1
	v_bfe_u32 v6, v7, 16, 1
	v_add3_u32 v23, v7, v6, s21
; %bb.50:                               ;   in Loop: Header=BB149_44 Depth=1
	s_andn2_saveexec_b64 s[4:5], s[2:3]
; %bb.51:                               ;   in Loop: Header=BB149_44 Depth=1
	v_or_b32_e32 v6, 0x10000, v7
	v_cmp_eq_u32_sdwa s[2:3], v7, v17 src0_sel:WORD_0 src1_sel:DWORD
	v_cndmask_b32_e64 v23, v6, v7, s[2:3]
; %bb.52:                               ;   in Loop: Header=BB149_44 Depth=1
	s_or_b64 exec, exec, s[4:5]
	v_and_b32_e32 v6, 0x7f800000, v8
	v_cmp_ne_u32_e64 s[2:3], s20, v6
                                        ; implicit-def: $vgpr24
	s_and_saveexec_b64 s[4:5], s[2:3]
	s_xor_b64 s[2:3], exec, s[4:5]
; %bb.53:                               ;   in Loop: Header=BB149_44 Depth=1
	v_bfe_u32 v6, v8, 16, 1
	v_add3_u32 v24, v8, v6, s21
; %bb.54:                               ;   in Loop: Header=BB149_44 Depth=1
	s_andn2_saveexec_b64 s[4:5], s[2:3]
; %bb.55:                               ;   in Loop: Header=BB149_44 Depth=1
	v_or_b32_e32 v6, 0x10000, v8
	v_cmp_eq_u32_sdwa s[2:3], v8, v17 src0_sel:WORD_0 src1_sel:DWORD
	v_cndmask_b32_e64 v24, v6, v8, s[2:3]
; %bb.56:                               ;   in Loop: Header=BB149_44 Depth=1
	s_or_b64 exec, exec, s[4:5]
	v_and_b32_e32 v6, 0x7f800000, v9
	v_cmp_ne_u32_e64 s[2:3], s20, v6
                                        ; implicit-def: $vgpr25
	s_and_saveexec_b64 s[4:5], s[2:3]
	s_xor_b64 s[2:3], exec, s[4:5]
; %bb.57:                               ;   in Loop: Header=BB149_44 Depth=1
	v_bfe_u32 v6, v9, 16, 1
	v_add3_u32 v25, v9, v6, s21
                                        ; implicit-def: $vgpr6_vgpr7_vgpr8_vgpr9
; %bb.58:                               ;   in Loop: Header=BB149_44 Depth=1
	s_andn2_saveexec_b64 s[4:5], s[2:3]
; %bb.59:                               ;   in Loop: Header=BB149_44 Depth=1
	v_or_b32_e32 v6, 0x10000, v9
	v_cmp_eq_u32_sdwa s[2:3], v9, v17 src0_sel:WORD_0 src1_sel:DWORD
	v_cndmask_b32_e64 v25, v6, v9, s[2:3]
; %bb.60:                               ;   in Loop: Header=BB149_44 Depth=1
	s_or_b64 exec, exec, s[4:5]
	s_waitcnt lgkmcnt(0)
	v_and_b32_e32 v6, 0x7f800000, v2
	v_cmp_ne_u32_e64 s[2:3], s20, v6
                                        ; implicit-def: $vgpr26
	s_and_saveexec_b64 s[4:5], s[2:3]
	s_xor_b64 s[2:3], exec, s[4:5]
; %bb.61:                               ;   in Loop: Header=BB149_44 Depth=1
	v_bfe_u32 v6, v2, 16, 1
	v_add3_u32 v26, v2, v6, s21
; %bb.62:                               ;   in Loop: Header=BB149_44 Depth=1
	s_andn2_saveexec_b64 s[4:5], s[2:3]
; %bb.63:                               ;   in Loop: Header=BB149_44 Depth=1
	v_or_b32_e32 v6, 0x10000, v2
	v_cmp_eq_u32_sdwa s[2:3], v2, v17 src0_sel:WORD_0 src1_sel:DWORD
	v_cndmask_b32_e64 v26, v6, v2, s[2:3]
; %bb.64:                               ;   in Loop: Header=BB149_44 Depth=1
	s_or_b64 exec, exec, s[4:5]
	v_and_b32_e32 v2, 0x7f800000, v3
	v_cmp_ne_u32_e64 s[2:3], s20, v2
                                        ; implicit-def: $vgpr27
	s_and_saveexec_b64 s[4:5], s[2:3]
	s_xor_b64 s[2:3], exec, s[4:5]
; %bb.65:                               ;   in Loop: Header=BB149_44 Depth=1
	v_bfe_u32 v2, v3, 16, 1
	v_add3_u32 v27, v3, v2, s21
; %bb.66:                               ;   in Loop: Header=BB149_44 Depth=1
	s_andn2_saveexec_b64 s[4:5], s[2:3]
; %bb.67:                               ;   in Loop: Header=BB149_44 Depth=1
	v_or_b32_e32 v2, 0x10000, v3
	v_cmp_eq_u32_sdwa s[2:3], v3, v17 src0_sel:WORD_0 src1_sel:DWORD
	v_cndmask_b32_e64 v27, v2, v3, s[2:3]
; %bb.68:                               ;   in Loop: Header=BB149_44 Depth=1
	s_or_b64 exec, exec, s[4:5]
	v_and_b32_e32 v2, 0x7f800000, v4
	v_cmp_ne_u32_e64 s[2:3], s20, v2
                                        ; implicit-def: $vgpr7
	s_and_saveexec_b64 s[4:5], s[2:3]
	s_xor_b64 s[2:3], exec, s[4:5]
; %bb.69:                               ;   in Loop: Header=BB149_44 Depth=1
	v_bfe_u32 v2, v4, 16, 1
	v_add3_u32 v7, v4, v2, s21
; %bb.70:                               ;   in Loop: Header=BB149_44 Depth=1
	s_andn2_saveexec_b64 s[4:5], s[2:3]
; %bb.71:                               ;   in Loop: Header=BB149_44 Depth=1
	v_or_b32_e32 v2, 0x10000, v4
	v_cmp_eq_u32_sdwa s[2:3], v4, v17 src0_sel:WORD_0 src1_sel:DWORD
	v_cndmask_b32_e64 v7, v2, v4, s[2:3]
; %bb.72:                               ;   in Loop: Header=BB149_44 Depth=1
	s_or_b64 exec, exec, s[4:5]
	v_and_b32_e32 v2, 0x7f800000, v5
	v_cmp_ne_u32_e64 s[2:3], s20, v2
                                        ; implicit-def: $vgpr6
	s_and_saveexec_b64 s[4:5], s[2:3]
	s_xor_b64 s[2:3], exec, s[4:5]
; %bb.73:                               ;   in Loop: Header=BB149_44 Depth=1
	v_bfe_u32 v2, v5, 16, 1
	v_add3_u32 v6, v5, v2, s21
                                        ; implicit-def: $vgpr2_vgpr3_vgpr4_vgpr5
; %bb.74:                               ;   in Loop: Header=BB149_44 Depth=1
	s_andn2_saveexec_b64 s[4:5], s[2:3]
; %bb.75:                               ;   in Loop: Header=BB149_44 Depth=1
	v_or_b32_e32 v2, 0x10000, v5
	v_cmp_eq_u32_sdwa s[2:3], v5, v17 src0_sel:WORD_0 src1_sel:DWORD
	v_cndmask_b32_e64 v6, v2, v5, s[2:3]
; %bb.76:                               ;   in Loop: Header=BB149_44 Depth=1
	s_or_b64 exec, exec, s[4:5]
	s_waitcnt vmcnt(0)
	v_mad_i64_i32 v[2:3], s[2:3], v21, s9, 0
	v_lshlrev_b64 v[2:3], 1, v[2:3]
	v_mov_b32_e32 v4, s18
	v_add_co_u32_e64 v9, s[2:3], s11, v2
	v_addc_co_u32_e64 v21, s[2:3], v4, v3, s[2:3]
	v_add_co_u32_e64 v2, s[2:3], v9, v11
	v_addc_co_u32_e64 v3, s[2:3], 0, v21, s[2:3]
	global_load_dwordx4 v[2:5], v[2:3], off
	v_add_u32_e32 v8, -7, v18
	v_cmp_eq_u32_e64 s[2:3], s19, v10
	s_waitcnt vmcnt(0)
	v_lshrrev_b32_e32 v31, 16, v2
	v_lshrrev_b32_e32 v29, 16, v3
	;; [unrolled: 1-line block ×4, first 2 shown]
	s_and_saveexec_b64 s[16:17], s[2:3]
	s_cbranch_execz .LBB149_78
; %bb.77:                               ;   in Loop: Header=BB149_44 Depth=1
	v_cmp_gt_i32_e64 s[4:5], s27, v8
	v_add_u32_e32 v32, -6, v18
	v_cndmask_b32_e64 v2, 0, v2, s[4:5]
	v_cmp_gt_i32_e64 s[4:5], s27, v32
	v_add_u32_e32 v32, -5, v18
	v_cndmask_b32_e64 v31, 0, v31, s[4:5]
	;; [unrolled: 3-line block ×6, first 2 shown]
	v_cmp_gt_i32_e64 s[4:5], s27, v32
	v_cndmask_b32_e64 v5, 0, v5, s[4:5]
	v_cmp_gt_i32_e64 s[4:5], s27, v18
	v_cndmask_b32_e64 v30, 0, v30, s[4:5]
.LBB149_78:                             ;   in Loop: Header=BB149_44 Depth=1
	s_or_b64 exec, exec, s[16:17]
	v_and_b32_e32 v22, 0xffff0000, v22
	v_lshlrev_b32_e32 v2, 16, v2
	v_mul_f32_e32 v32, v22, v2
	v_and_b32_e32 v2, 0x7f800000, v32
	v_cmp_ne_u32_e64 s[4:5], s20, v2
                                        ; implicit-def: $vgpr2
	s_and_saveexec_b64 s[16:17], s[4:5]
	s_xor_b64 s[4:5], exec, s[16:17]
; %bb.79:                               ;   in Loop: Header=BB149_44 Depth=1
	v_bfe_u32 v2, v32, 16, 1
	v_add3_u32 v2, v32, v2, s21
                                        ; implicit-def: $vgpr32
; %bb.80:                               ;   in Loop: Header=BB149_44 Depth=1
	s_andn2_saveexec_b64 s[16:17], s[4:5]
; %bb.81:                               ;   in Loop: Header=BB149_44 Depth=1
	v_or_b32_e32 v2, 0x10000, v32
	v_cmp_eq_u32_sdwa s[4:5], v32, v17 src0_sel:WORD_0 src1_sel:DWORD
	v_cndmask_b32_e64 v2, v2, v32, s[4:5]
; %bb.82:                               ;   in Loop: Header=BB149_44 Depth=1
	s_or_b64 exec, exec, s[16:17]
	v_and_b32_e32 v23, 0xffff0000, v23
	v_lshlrev_b32_e32 v31, 16, v31
	v_mul_f32_e32 v32, v23, v31
	v_and_b32_e32 v31, 0x7f800000, v32
	v_cmp_ne_u32_e64 s[4:5], s20, v31
                                        ; implicit-def: $vgpr31
	s_and_saveexec_b64 s[16:17], s[4:5]
	s_xor_b64 s[4:5], exec, s[16:17]
; %bb.83:                               ;   in Loop: Header=BB149_44 Depth=1
	v_bfe_u32 v31, v32, 16, 1
	v_add3_u32 v31, v32, v31, s21
                                        ; implicit-def: $vgpr32
; %bb.84:                               ;   in Loop: Header=BB149_44 Depth=1
	s_andn2_saveexec_b64 s[16:17], s[4:5]
; %bb.85:                               ;   in Loop: Header=BB149_44 Depth=1
	v_or_b32_e32 v31, 0x10000, v32
	v_cmp_eq_u32_sdwa s[4:5], v32, v17 src0_sel:WORD_0 src1_sel:DWORD
	v_cndmask_b32_e64 v31, v31, v32, s[4:5]
; %bb.86:                               ;   in Loop: Header=BB149_44 Depth=1
	s_or_b64 exec, exec, s[16:17]
	v_and_b32_e32 v24, 0xffff0000, v24
	v_lshlrev_b32_e32 v3, 16, v3
	v_mul_f32_e32 v32, v24, v3
	v_and_b32_e32 v3, 0x7f800000, v32
	v_cmp_ne_u32_e64 s[4:5], s20, v3
                                        ; implicit-def: $vgpr3
	s_and_saveexec_b64 s[16:17], s[4:5]
	s_xor_b64 s[4:5], exec, s[16:17]
; %bb.87:                               ;   in Loop: Header=BB149_44 Depth=1
	v_bfe_u32 v3, v32, 16, 1
	v_add3_u32 v3, v32, v3, s21
                                        ; implicit-def: $vgpr32
; %bb.88:                               ;   in Loop: Header=BB149_44 Depth=1
	s_andn2_saveexec_b64 s[16:17], s[4:5]
; %bb.89:                               ;   in Loop: Header=BB149_44 Depth=1
	v_or_b32_e32 v3, 0x10000, v32
	v_cmp_eq_u32_sdwa s[4:5], v32, v17 src0_sel:WORD_0 src1_sel:DWORD
	v_cndmask_b32_e64 v3, v3, v32, s[4:5]
; %bb.90:                               ;   in Loop: Header=BB149_44 Depth=1
	s_or_b64 exec, exec, s[16:17]
	v_and_b32_e32 v25, 0xffff0000, v25
	v_lshlrev_b32_e32 v29, 16, v29
	v_mul_f32_e32 v29, v25, v29
	v_and_b32_e32 v32, 0x7f800000, v29
	v_cmp_ne_u32_e64 s[4:5], s20, v32
                                        ; implicit-def: $vgpr32
	s_and_saveexec_b64 s[16:17], s[4:5]
	s_xor_b64 s[4:5], exec, s[16:17]
; %bb.91:                               ;   in Loop: Header=BB149_44 Depth=1
	v_bfe_u32 v32, v29, 16, 1
	v_add3_u32 v32, v29, v32, s21
                                        ; implicit-def: $vgpr29
; %bb.92:                               ;   in Loop: Header=BB149_44 Depth=1
	s_andn2_saveexec_b64 s[16:17], s[4:5]
; %bb.93:                               ;   in Loop: Header=BB149_44 Depth=1
	v_or_b32_e32 v32, 0x10000, v29
	v_cmp_eq_u32_sdwa s[4:5], v29, v17 src0_sel:WORD_0 src1_sel:DWORD
	v_cndmask_b32_e64 v32, v32, v29, s[4:5]
; %bb.94:                               ;   in Loop: Header=BB149_44 Depth=1
	s_or_b64 exec, exec, s[16:17]
	v_and_b32_e32 v26, 0xffff0000, v26
	v_lshlrev_b32_e32 v4, 16, v4
	v_mul_f32_e32 v29, v26, v4
	v_and_b32_e32 v4, 0x7f800000, v29
	v_cmp_ne_u32_e64 s[4:5], s20, v4
                                        ; implicit-def: $vgpr4
	s_and_saveexec_b64 s[16:17], s[4:5]
	s_xor_b64 s[4:5], exec, s[16:17]
; %bb.95:                               ;   in Loop: Header=BB149_44 Depth=1
	v_bfe_u32 v4, v29, 16, 1
	v_add3_u32 v4, v29, v4, s21
                                        ; implicit-def: $vgpr29
; %bb.96:                               ;   in Loop: Header=BB149_44 Depth=1
	s_andn2_saveexec_b64 s[16:17], s[4:5]
; %bb.97:                               ;   in Loop: Header=BB149_44 Depth=1
	v_or_b32_e32 v4, 0x10000, v29
	v_cmp_eq_u32_sdwa s[4:5], v29, v17 src0_sel:WORD_0 src1_sel:DWORD
	v_cndmask_b32_e64 v4, v4, v29, s[4:5]
; %bb.98:                               ;   in Loop: Header=BB149_44 Depth=1
	s_or_b64 exec, exec, s[16:17]
	v_and_b32_e32 v27, 0xffff0000, v27
	v_lshlrev_b32_e32 v28, 16, v28
	v_mul_f32_e32 v28, v27, v28
	v_and_b32_e32 v29, 0x7f800000, v28
	v_cmp_ne_u32_e64 s[4:5], s20, v29
                                        ; implicit-def: $vgpr33
	s_and_saveexec_b64 s[16:17], s[4:5]
	s_xor_b64 s[4:5], exec, s[16:17]
; %bb.99:                               ;   in Loop: Header=BB149_44 Depth=1
	v_bfe_u32 v29, v28, 16, 1
	v_add3_u32 v33, v28, v29, s21
                                        ; implicit-def: $vgpr28
; %bb.100:                              ;   in Loop: Header=BB149_44 Depth=1
	s_andn2_saveexec_b64 s[16:17], s[4:5]
; %bb.101:                              ;   in Loop: Header=BB149_44 Depth=1
	v_or_b32_e32 v29, 0x10000, v28
	v_cmp_eq_u32_sdwa s[4:5], v28, v17 src0_sel:WORD_0 src1_sel:DWORD
	v_cndmask_b32_e64 v33, v29, v28, s[4:5]
; %bb.102:                              ;   in Loop: Header=BB149_44 Depth=1
	s_or_b64 exec, exec, s[16:17]
	v_and_b32_e32 v28, 0xffff0000, v7
	v_lshlrev_b32_e32 v5, 16, v5
	v_mul_f32_e32 v7, v28, v5
	v_and_b32_e32 v5, 0x7f800000, v7
	v_cmp_ne_u32_e64 s[4:5], s20, v5
                                        ; implicit-def: $vgpr5
	s_and_saveexec_b64 s[16:17], s[4:5]
	s_xor_b64 s[4:5], exec, s[16:17]
; %bb.103:                              ;   in Loop: Header=BB149_44 Depth=1
	v_bfe_u32 v5, v7, 16, 1
	v_add3_u32 v5, v7, v5, s21
                                        ; implicit-def: $vgpr7
; %bb.104:                              ;   in Loop: Header=BB149_44 Depth=1
	s_andn2_saveexec_b64 s[16:17], s[4:5]
; %bb.105:                              ;   in Loop: Header=BB149_44 Depth=1
	v_or_b32_e32 v5, 0x10000, v7
	v_cmp_eq_u32_sdwa s[4:5], v7, v17 src0_sel:WORD_0 src1_sel:DWORD
	v_cndmask_b32_e64 v5, v5, v7, s[4:5]
; %bb.106:                              ;   in Loop: Header=BB149_44 Depth=1
	s_or_b64 exec, exec, s[16:17]
	v_and_b32_e32 v29, 0xffff0000, v6
	v_lshlrev_b32_e32 v6, 16, v30
	v_mul_f32_e32 v6, v29, v6
	v_and_b32_e32 v7, 0x7f800000, v6
	v_cmp_ne_u32_e64 s[4:5], s20, v7
                                        ; implicit-def: $vgpr7
	s_and_saveexec_b64 s[16:17], s[4:5]
	s_xor_b64 s[4:5], exec, s[16:17]
; %bb.107:                              ;   in Loop: Header=BB149_44 Depth=1
	v_bfe_u32 v7, v6, 16, 1
	v_add3_u32 v7, v6, v7, s21
                                        ; implicit-def: $vgpr6
; %bb.108:                              ;   in Loop: Header=BB149_44 Depth=1
	s_andn2_saveexec_b64 s[16:17], s[4:5]
; %bb.109:                              ;   in Loop: Header=BB149_44 Depth=1
	v_or_b32_e32 v7, 0x10000, v6
	v_cmp_eq_u32_sdwa s[4:5], v6, v17 src0_sel:WORD_0 src1_sel:DWORD
	v_cndmask_b32_e64 v7, v7, v6, s[4:5]
; %bb.110:                              ;   in Loop: Header=BB149_44 Depth=1
	s_or_b64 exec, exec, s[16:17]
	v_and_b32_e32 v6, 0xffff0000, v33
	v_and_b32_e32 v33, 0xffff0000, v32
	;; [unrolled: 1-line block ×5, first 2 shown]
	v_pk_add_f32 v[2:3], v[2:3], v[32:33]
	v_and_b32_e32 v7, 0xffff0000, v7
	v_and_b32_e32 v5, 0xffff0000, v5
	;; [unrolled: 1-line block ×3, first 2 shown]
	v_mov_b32_e32 v30, v3
	v_pk_add_f32 v[2:3], v[2:3], v[30:31]
	v_pk_add_f32 v[4:5], v[4:5], v[6:7]
	;; [unrolled: 1-line block ×3, first 2 shown]
	v_mov_b32_e32 v4, v5
	v_pk_add_f32 v[2:3], v[2:3], v[4:5]
	v_pk_add_f32 v[6:7], v[12:13], v[2:3]
	s_and_saveexec_b64 s[16:17], vcc
	s_cbranch_execz .LBB149_43
; %bb.111:                              ;   in Loop: Header=BB149_44 Depth=1
	v_add_co_u32_e64 v2, s[4:5], v9, v20
	v_addc_co_u32_e64 v3, s[4:5], 0, v21, s[4:5]
	global_load_dwordx4 v[2:5], v[2:3], off
	s_waitcnt vmcnt(0)
	v_lshrrev_b32_e32 v30, 16, v2
	v_lshrrev_b32_e32 v21, 16, v3
	;; [unrolled: 1-line block ×4, first 2 shown]
	s_and_saveexec_b64 s[4:5], s[2:3]
	s_cbranch_execz .LBB149_113
; %bb.112:                              ;   in Loop: Header=BB149_44 Depth=1
	v_cmp_gt_i32_e64 s[2:3], s27, v8
	v_add_u32_e32 v8, -6, v18
	v_cndmask_b32_e64 v2, 0, v2, s[2:3]
	v_cmp_gt_i32_e64 s[2:3], s27, v8
	v_add_u32_e32 v8, -5, v18
	v_cndmask_b32_e64 v30, 0, v30, s[2:3]
	;; [unrolled: 3-line block ×6, first 2 shown]
	v_cmp_gt_i32_e64 s[2:3], s27, v8
	v_cndmask_b32_e64 v5, 0, v5, s[2:3]
	v_cmp_gt_i32_e64 s[2:3], s27, v18
	v_cndmask_b32_e64 v7, 0, v7, s[2:3]
.LBB149_113:                            ;   in Loop: Header=BB149_44 Depth=1
	s_or_b64 exec, exec, s[4:5]
	v_lshlrev_b32_e32 v2, 16, v2
	v_mul_f32_e32 v8, v22, v2
	v_and_b32_e32 v2, 0x7f800000, v8
	v_cmp_ne_u32_e64 s[2:3], s20, v2
                                        ; implicit-def: $vgpr2
	s_and_saveexec_b64 s[4:5], s[2:3]
	s_xor_b64 s[2:3], exec, s[4:5]
; %bb.114:                              ;   in Loop: Header=BB149_44 Depth=1
	v_bfe_u32 v2, v8, 16, 1
	v_add3_u32 v2, v8, v2, s21
                                        ; implicit-def: $vgpr8
; %bb.115:                              ;   in Loop: Header=BB149_44 Depth=1
	s_andn2_saveexec_b64 s[4:5], s[2:3]
; %bb.116:                              ;   in Loop: Header=BB149_44 Depth=1
	v_or_b32_e32 v2, 0x10000, v8
	v_cmp_eq_u32_sdwa s[2:3], v8, v17 src0_sel:WORD_0 src1_sel:DWORD
	v_cndmask_b32_e64 v2, v2, v8, s[2:3]
; %bb.117:                              ;   in Loop: Header=BB149_44 Depth=1
	s_or_b64 exec, exec, s[4:5]
	v_lshlrev_b32_e32 v8, 16, v30
	v_mul_f32_e32 v22, v23, v8
	v_and_b32_e32 v8, 0x7f800000, v22
	v_cmp_ne_u32_e64 s[2:3], s20, v8
                                        ; implicit-def: $vgpr8
	s_and_saveexec_b64 s[4:5], s[2:3]
	s_xor_b64 s[2:3], exec, s[4:5]
; %bb.118:                              ;   in Loop: Header=BB149_44 Depth=1
	v_bfe_u32 v8, v22, 16, 1
	v_add3_u32 v8, v22, v8, s21
                                        ; implicit-def: $vgpr22
; %bb.119:                              ;   in Loop: Header=BB149_44 Depth=1
	s_andn2_saveexec_b64 s[4:5], s[2:3]
; %bb.120:                              ;   in Loop: Header=BB149_44 Depth=1
	v_or_b32_e32 v8, 0x10000, v22
	v_cmp_eq_u32_sdwa s[2:3], v22, v17 src0_sel:WORD_0 src1_sel:DWORD
	v_cndmask_b32_e64 v8, v8, v22, s[2:3]
; %bb.121:                              ;   in Loop: Header=BB149_44 Depth=1
	s_or_b64 exec, exec, s[4:5]
	v_lshlrev_b32_e32 v3, 16, v3
	v_mul_f32_e32 v22, v24, v3
	v_and_b32_e32 v3, 0x7f800000, v22
	v_cmp_ne_u32_e64 s[2:3], s20, v3
                                        ; implicit-def: $vgpr3
	s_and_saveexec_b64 s[4:5], s[2:3]
	s_xor_b64 s[2:3], exec, s[4:5]
; %bb.122:                              ;   in Loop: Header=BB149_44 Depth=1
	v_bfe_u32 v3, v22, 16, 1
	v_add3_u32 v3, v22, v3, s21
                                        ; implicit-def: $vgpr22
; %bb.123:                              ;   in Loop: Header=BB149_44 Depth=1
	s_andn2_saveexec_b64 s[4:5], s[2:3]
; %bb.124:                              ;   in Loop: Header=BB149_44 Depth=1
	v_or_b32_e32 v3, 0x10000, v22
	v_cmp_eq_u32_sdwa s[2:3], v22, v17 src0_sel:WORD_0 src1_sel:DWORD
	v_cndmask_b32_e64 v3, v3, v22, s[2:3]
; %bb.125:                              ;   in Loop: Header=BB149_44 Depth=1
	s_or_b64 exec, exec, s[4:5]
	v_lshlrev_b32_e32 v21, 16, v21
	v_mul_f32_e32 v22, v25, v21
	v_and_b32_e32 v21, 0x7f800000, v22
	v_cmp_ne_u32_e64 s[2:3], s20, v21
                                        ; implicit-def: $vgpr21
	s_and_saveexec_b64 s[4:5], s[2:3]
	s_xor_b64 s[2:3], exec, s[4:5]
; %bb.126:                              ;   in Loop: Header=BB149_44 Depth=1
	v_bfe_u32 v21, v22, 16, 1
	v_add3_u32 v21, v22, v21, s21
                                        ; implicit-def: $vgpr22
; %bb.127:                              ;   in Loop: Header=BB149_44 Depth=1
	s_andn2_saveexec_b64 s[4:5], s[2:3]
; %bb.128:                              ;   in Loop: Header=BB149_44 Depth=1
	v_or_b32_e32 v21, 0x10000, v22
	v_cmp_eq_u32_sdwa s[2:3], v22, v17 src0_sel:WORD_0 src1_sel:DWORD
	v_cndmask_b32_e64 v21, v21, v22, s[2:3]
; %bb.129:                              ;   in Loop: Header=BB149_44 Depth=1
	s_or_b64 exec, exec, s[4:5]
	v_lshlrev_b32_e32 v4, 16, v4
	v_mul_f32_e32 v22, v26, v4
	v_and_b32_e32 v4, 0x7f800000, v22
	v_cmp_ne_u32_e64 s[2:3], s20, v4
                                        ; implicit-def: $vgpr4
	s_and_saveexec_b64 s[4:5], s[2:3]
	s_xor_b64 s[2:3], exec, s[4:5]
; %bb.130:                              ;   in Loop: Header=BB149_44 Depth=1
	v_bfe_u32 v4, v22, 16, 1
	v_add3_u32 v4, v22, v4, s21
                                        ; implicit-def: $vgpr22
; %bb.131:                              ;   in Loop: Header=BB149_44 Depth=1
	s_andn2_saveexec_b64 s[4:5], s[2:3]
; %bb.132:                              ;   in Loop: Header=BB149_44 Depth=1
	v_or_b32_e32 v4, 0x10000, v22
	v_cmp_eq_u32_sdwa s[2:3], v22, v17 src0_sel:WORD_0 src1_sel:DWORD
	v_cndmask_b32_e64 v4, v4, v22, s[2:3]
; %bb.133:                              ;   in Loop: Header=BB149_44 Depth=1
	s_or_b64 exec, exec, s[4:5]
	v_lshlrev_b32_e32 v9, 16, v9
	v_mul_f32_e32 v22, v27, v9
	v_and_b32_e32 v9, 0x7f800000, v22
	v_cmp_ne_u32_e64 s[2:3], s20, v9
                                        ; implicit-def: $vgpr9
	s_and_saveexec_b64 s[4:5], s[2:3]
	s_xor_b64 s[2:3], exec, s[4:5]
; %bb.134:                              ;   in Loop: Header=BB149_44 Depth=1
	v_bfe_u32 v9, v22, 16, 1
	v_add3_u32 v9, v22, v9, s21
                                        ; implicit-def: $vgpr22
; %bb.135:                              ;   in Loop: Header=BB149_44 Depth=1
	s_andn2_saveexec_b64 s[4:5], s[2:3]
; %bb.136:                              ;   in Loop: Header=BB149_44 Depth=1
	v_or_b32_e32 v9, 0x10000, v22
	v_cmp_eq_u32_sdwa s[2:3], v22, v17 src0_sel:WORD_0 src1_sel:DWORD
	v_cndmask_b32_e64 v9, v9, v22, s[2:3]
; %bb.137:                              ;   in Loop: Header=BB149_44 Depth=1
	s_or_b64 exec, exec, s[4:5]
	v_lshlrev_b32_e32 v5, 16, v5
	v_mul_f32_e32 v22, v28, v5
	v_and_b32_e32 v5, 0x7f800000, v22
	v_cmp_ne_u32_e64 s[2:3], s20, v5
                                        ; implicit-def: $vgpr5
	s_and_saveexec_b64 s[4:5], s[2:3]
	s_xor_b64 s[2:3], exec, s[4:5]
; %bb.138:                              ;   in Loop: Header=BB149_44 Depth=1
	v_bfe_u32 v5, v22, 16, 1
	v_add3_u32 v5, v22, v5, s21
                                        ; implicit-def: $vgpr22
; %bb.139:                              ;   in Loop: Header=BB149_44 Depth=1
	s_andn2_saveexec_b64 s[4:5], s[2:3]
; %bb.140:                              ;   in Loop: Header=BB149_44 Depth=1
	v_or_b32_e32 v5, 0x10000, v22
	v_cmp_eq_u32_sdwa s[2:3], v22, v17 src0_sel:WORD_0 src1_sel:DWORD
	v_cndmask_b32_e64 v5, v5, v22, s[2:3]
; %bb.141:                              ;   in Loop: Header=BB149_44 Depth=1
	s_or_b64 exec, exec, s[4:5]
	v_lshlrev_b32_e32 v7, 16, v7
	v_mul_f32_e32 v7, v29, v7
	v_and_b32_e32 v22, 0x7f800000, v7
	v_cmp_ne_u32_e64 s[2:3], s20, v22
                                        ; implicit-def: $vgpr22
	s_and_saveexec_b64 s[4:5], s[2:3]
	s_xor_b64 s[2:3], exec, s[4:5]
; %bb.142:                              ;   in Loop: Header=BB149_44 Depth=1
	v_bfe_u32 v22, v7, 16, 1
	v_add3_u32 v22, v7, v22, s21
                                        ; implicit-def: $vgpr7
; %bb.143:                              ;   in Loop: Header=BB149_44 Depth=1
	s_andn2_saveexec_b64 s[4:5], s[2:3]
	s_cbranch_execz .LBB149_42
; %bb.144:                              ;   in Loop: Header=BB149_44 Depth=1
	v_or_b32_e32 v22, 0x10000, v7
	v_cmp_eq_u32_sdwa s[2:3], v7, v17 src0_sel:WORD_0 src1_sel:DWORD
	v_cndmask_b32_e64 v22, v22, v7, s[2:3]
	s_branch .LBB149_42
.LBB149_145:
	s_or_b64 exec, exec, s[12:13]
.LBB149_146:
	s_or_b64 exec, exec, s[6:7]
	v_and_b32_e32 v2, 0x3c0, v0
	v_cmp_eq_u32_e32 vcc, 64, v2
	s_barrier
	s_and_saveexec_b64 s[2:3], vcc
	s_cbranch_execz .LBB149_149
; %bb.147:
	v_mov_b32_e32 v2, 0x100
	v_lshl_add_u32 v3, v16, 2, v2
	ds_write_b32 v3, v6
	s_and_b64 exec, exec, s[0:1]
	s_cbranch_execz .LBB149_149
; %bb.148:
	v_lshl_add_u32 v2, v0, 2, v2
	ds_write_b32 v2, v13
.LBB149_149:
	s_or_b64 exec, exec, s[2:3]
	v_cmp_gt_u32_e32 vcc, 64, v0
	v_or_b32_e32 v2, 64, v0
	s_waitcnt lgkmcnt(0)
	s_barrier
	s_and_saveexec_b64 s[2:3], vcc
	s_cbranch_execz .LBB149_153
; %bb.150:
	v_mov_b32_e32 v3, 0x100
	v_lshl_add_u32 v3, v0, 2, v3
	ds_read_b32 v0, v3
	s_movk_i32 s0, 0x78
	v_cmp_gt_u32_e64 s[0:1], s0, v2
	s_and_saveexec_b64 s[4:5], s[0:1]
	s_cbranch_execz .LBB149_152
; %bb.151:
	ds_read_b32 v3, v3 offset:256
	s_waitcnt lgkmcnt(0)
	v_add_f32_e32 v13, v13, v3
.LBB149_152:
	s_or_b64 exec, exec, s[4:5]
	s_waitcnt lgkmcnt(0)
	v_add_f32_e32 v6, v6, v0
.LBB149_153:
	s_or_b64 exec, exec, s[2:3]
	s_barrier
	s_and_saveexec_b64 s[0:1], vcc
	s_cbranch_execz .LBB149_164
; %bb.154:
	s_mov_b32 s0, 0x7f800000
	v_and_b32_e32 v0, 0x7f800000, v6
	v_cmp_ne_u32_e32 vcc, s0, v0
                                        ; implicit-def: $vgpr0
	s_and_saveexec_b64 s[0:1], vcc
	s_xor_b64 s[0:1], exec, s[0:1]
; %bb.155:
	v_bfe_u32 v0, v6, 16, 1
	s_movk_i32 s2, 0x7fff
	v_add3_u32 v0, v6, v0, s2
                                        ; implicit-def: $vgpr6
; %bb.156:
	s_andn2_saveexec_b64 s[0:1], s[0:1]
; %bb.157:
	v_mov_b32_e32 v0, 0
	v_or_b32_e32 v3, 0x10000, v6
	v_cmp_eq_u32_sdwa vcc, v6, v0 src0_sel:WORD_0 src1_sel:DWORD
	v_cndmask_b32_e32 v0, v3, v6, vcc
; %bb.158:
	s_or_b64 exec, exec, s[0:1]
	s_mul_i32 s0, s10, 0x78
	s_ashr_i32 s1, s0, 31
	s_lshl_b64 s[0:1], s[0:1], 1
	s_add_u32 s3, s24, s0
	s_mul_i32 s0, s15, s14
	s_addc_u32 s4, s25, s1
	s_ashr_i32 s1, s0, 31
	s_lshl_b64 s[0:1], s[0:1], 1
	s_add_u32 s3, s3, s0
	s_mul_i32 s0, s8, 0x78
	s_addc_u32 s4, s4, s1
	s_ashr_i32 s1, s0, 31
	s_lshl_b64 s[0:1], s[0:1], 1
	s_movk_i32 s2, 0x78
	s_add_u32 s0, s3, s0
	s_addc_u32 s1, s4, s1
	v_cmp_gt_u32_e32 vcc, s2, v2
	global_store_short_d16_hi v1, v0, s[0:1]
	s_and_b64 exec, exec, vcc
	s_cbranch_execz .LBB149_164
; %bb.159:
	v_mov_b32_e32 v2, s1
	v_add_co_u32_e32 v0, vcc, s0, v1
	v_addc_co_u32_e32 v1, vcc, 0, v2, vcc
	s_mov_b32 s0, 0x7f800000
	v_and_b32_e32 v2, 0x7f800000, v13
	v_cmp_ne_u32_e32 vcc, s0, v2
                                        ; implicit-def: $vgpr2
	s_and_saveexec_b64 s[0:1], vcc
	s_xor_b64 s[0:1], exec, s[0:1]
; %bb.160:
	v_bfe_u32 v2, v13, 16, 1
	s_movk_i32 s2, 0x7fff
	v_add3_u32 v2, v13, v2, s2
                                        ; implicit-def: $vgpr13
; %bb.161:
	s_andn2_saveexec_b64 s[0:1], s[0:1]
; %bb.162:
	v_mov_b32_e32 v2, 0
	v_or_b32_e32 v3, 0x10000, v13
	v_cmp_eq_u32_sdwa vcc, v13, v2 src0_sel:WORD_0 src1_sel:DWORD
	v_cndmask_b32_e32 v2, v3, v13, vcc
; %bb.163:
	s_or_b64 exec, exec, s[0:1]
	global_store_short_d16_hi v[0:1], v2, off offset:128
.LBB149_164:
	s_endpgm
	.section	.rodata,"a",@progbits
	.p2align	6, 0x0
	.amdhsa_kernel _ZN4vllm25paged_attention_v2_kernelI14__hip_bfloat16S1_Li120ELi8ELi128ELNS_18Fp8KVCacheDataTypeE0ELb0ELi512EEEvPfS3_PT_PKS4_PKT0_SA_ifPKiSC_iPKfiiiSE_SE_iiiii
		.amdhsa_group_segment_fixed_size 256
		.amdhsa_private_segment_fixed_size 0
		.amdhsa_kernarg_size 400
		.amdhsa_user_sgpr_count 6
		.amdhsa_user_sgpr_private_segment_buffer 1
		.amdhsa_user_sgpr_dispatch_ptr 0
		.amdhsa_user_sgpr_queue_ptr 0
		.amdhsa_user_sgpr_kernarg_segment_ptr 1
		.amdhsa_user_sgpr_dispatch_id 0
		.amdhsa_user_sgpr_flat_scratch_init 0
		.amdhsa_user_sgpr_kernarg_preload_length 0
		.amdhsa_user_sgpr_kernarg_preload_offset 0
		.amdhsa_user_sgpr_private_segment_size 0
		.amdhsa_uses_dynamic_stack 0
		.amdhsa_system_sgpr_private_segment_wavefront_offset 0
		.amdhsa_system_sgpr_workgroup_id_x 1
		.amdhsa_system_sgpr_workgroup_id_y 1
		.amdhsa_system_sgpr_workgroup_id_z 1
		.amdhsa_system_sgpr_workgroup_info 0
		.amdhsa_system_vgpr_workitem_id 0
		.amdhsa_next_free_vgpr 51
		.amdhsa_next_free_sgpr 44
		.amdhsa_accum_offset 52
		.amdhsa_reserve_vcc 1
		.amdhsa_reserve_flat_scratch 0
		.amdhsa_float_round_mode_32 0
		.amdhsa_float_round_mode_16_64 0
		.amdhsa_float_denorm_mode_32 3
		.amdhsa_float_denorm_mode_16_64 3
		.amdhsa_dx10_clamp 1
		.amdhsa_ieee_mode 1
		.amdhsa_fp16_overflow 0
		.amdhsa_tg_split 0
		.amdhsa_exception_fp_ieee_invalid_op 0
		.amdhsa_exception_fp_denorm_src 0
		.amdhsa_exception_fp_ieee_div_zero 0
		.amdhsa_exception_fp_ieee_overflow 0
		.amdhsa_exception_fp_ieee_underflow 0
		.amdhsa_exception_fp_ieee_inexact 0
		.amdhsa_exception_int_div_zero 0
	.end_amdhsa_kernel
	.section	.text._ZN4vllm25paged_attention_v2_kernelI14__hip_bfloat16S1_Li120ELi8ELi128ELNS_18Fp8KVCacheDataTypeE0ELb0ELi512EEEvPfS3_PT_PKS4_PKT0_SA_ifPKiSC_iPKfiiiSE_SE_iiiii,"axG",@progbits,_ZN4vllm25paged_attention_v2_kernelI14__hip_bfloat16S1_Li120ELi8ELi128ELNS_18Fp8KVCacheDataTypeE0ELb0ELi512EEEvPfS3_PT_PKS4_PKT0_SA_ifPKiSC_iPKfiiiSE_SE_iiiii,comdat
.Lfunc_end149:
	.size	_ZN4vllm25paged_attention_v2_kernelI14__hip_bfloat16S1_Li120ELi8ELi128ELNS_18Fp8KVCacheDataTypeE0ELb0ELi512EEEvPfS3_PT_PKS4_PKT0_SA_ifPKiSC_iPKfiiiSE_SE_iiiii, .Lfunc_end149-_ZN4vllm25paged_attention_v2_kernelI14__hip_bfloat16S1_Li120ELi8ELi128ELNS_18Fp8KVCacheDataTypeE0ELb0ELi512EEEvPfS3_PT_PKS4_PKT0_SA_ifPKiSC_iPKfiiiSE_SE_iiiii
                                        ; -- End function
	.section	.AMDGPU.csdata,"",@progbits
; Kernel info:
; codeLenInByte = 6380
; NumSgprs: 48
; NumVgprs: 51
; NumAgprs: 0
; TotalNumVgprs: 51
; ScratchSize: 0
; MemoryBound: 0
; FloatMode: 240
; IeeeMode: 1
; LDSByteSize: 256 bytes/workgroup (compile time only)
; SGPRBlocks: 5
; VGPRBlocks: 6
; NumSGPRsForWavesPerEU: 48
; NumVGPRsForWavesPerEU: 51
; AccumOffset: 52
; Occupancy: 8
; WaveLimiterHint : 1
; COMPUTE_PGM_RSRC2:SCRATCH_EN: 0
; COMPUTE_PGM_RSRC2:USER_SGPR: 6
; COMPUTE_PGM_RSRC2:TRAP_HANDLER: 0
; COMPUTE_PGM_RSRC2:TGID_X_EN: 1
; COMPUTE_PGM_RSRC2:TGID_Y_EN: 1
; COMPUTE_PGM_RSRC2:TGID_Z_EN: 1
; COMPUTE_PGM_RSRC2:TIDIG_COMP_CNT: 0
; COMPUTE_PGM_RSRC3_GFX90A:ACCUM_OFFSET: 12
; COMPUTE_PGM_RSRC3_GFX90A:TG_SPLIT: 0
	.section	.text._ZN4vllm25paged_attention_v2_kernelI14__hip_bfloat16S1_Li128ELi8ELi128ELNS_18Fp8KVCacheDataTypeE0ELb0ELi512EEEvPfS3_PT_PKS4_PKT0_SA_ifPKiSC_iPKfiiiSE_SE_iiiii,"axG",@progbits,_ZN4vllm25paged_attention_v2_kernelI14__hip_bfloat16S1_Li128ELi8ELi128ELNS_18Fp8KVCacheDataTypeE0ELb0ELi512EEEvPfS3_PT_PKS4_PKT0_SA_ifPKiSC_iPKfiiiSE_SE_iiiii,comdat
	.protected	_ZN4vllm25paged_attention_v2_kernelI14__hip_bfloat16S1_Li128ELi8ELi128ELNS_18Fp8KVCacheDataTypeE0ELb0ELi512EEEvPfS3_PT_PKS4_PKT0_SA_ifPKiSC_iPKfiiiSE_SE_iiiii ; -- Begin function _ZN4vllm25paged_attention_v2_kernelI14__hip_bfloat16S1_Li128ELi8ELi128ELNS_18Fp8KVCacheDataTypeE0ELb0ELi512EEEvPfS3_PT_PKS4_PKT0_SA_ifPKiSC_iPKfiiiSE_SE_iiiii
	.globl	_ZN4vllm25paged_attention_v2_kernelI14__hip_bfloat16S1_Li128ELi8ELi128ELNS_18Fp8KVCacheDataTypeE0ELb0ELi512EEEvPfS3_PT_PKS4_PKT0_SA_ifPKiSC_iPKfiiiSE_SE_iiiii
	.p2align	8
	.type	_ZN4vllm25paged_attention_v2_kernelI14__hip_bfloat16S1_Li128ELi8ELi128ELNS_18Fp8KVCacheDataTypeE0ELb0ELi512EEEvPfS3_PT_PKS4_PKT0_SA_ifPKiSC_iPKfiiiSE_SE_iiiii,@function
_ZN4vllm25paged_attention_v2_kernelI14__hip_bfloat16S1_Li128ELi8ELi128ELNS_18Fp8KVCacheDataTypeE0ELb0ELi512EEEvPfS3_PT_PKS4_PKT0_SA_ifPKiSC_iPKfiiiSE_SE_iiiii: ; @_ZN4vllm25paged_attention_v2_kernelI14__hip_bfloat16S1_Li128ELi8ELi128ELNS_18Fp8KVCacheDataTypeE0ELb0ELi512EEEvPfS3_PT_PKS4_PKT0_SA_ifPKiSC_iPKfiiiSE_SE_iiiii
; %bb.0:
	s_load_dwordx2 s[0:1], s[4:5], 0x40
	s_mov_b32 s24, s7
	s_ashr_i32 s25, s7, 31
	s_lshl_b64 s[2:3], s[24:25], 2
	s_waitcnt lgkmcnt(0)
	s_add_u32 s0, s0, s2
	s_addc_u32 s1, s1, s3
	s_load_dword s25, s[0:1], 0x0
	s_lshl_b32 s33, s8, 9
	s_waitcnt lgkmcnt(0)
	s_cmp_ge_i32 s33, s25
	s_cbranch_scc1 .LBB150_158
; %bb.1:
	s_load_dword s9, s[4:5], 0x90
	s_load_dwordx2 s[10:11], s[4:5], 0x30
	s_mov_b32 s40, 0
	s_waitcnt lgkmcnt(0)
	s_abs_i32 s2, s9
	s_abs_i32 s0, s10
	v_cvt_f32_u32_e32 v1, s0
	s_sub_i32 s3, 0, s0
	s_xor_b32 s1, s9, s10
	s_ashr_i32 s1, s1, 31
	v_rcp_iflag_f32_e32 v1, v1
	v_mul_f32_e32 v1, 0x4f7ffffe, v1
	v_cvt_u32_f32_e32 v1, v1
	v_readfirstlane_b32 s7, v1
	s_mul_i32 s3, s3, s7
	s_mul_hi_u32 s3, s7, s3
	s_add_i32 s7, s7, s3
	s_mul_hi_u32 s3, s2, s7
	s_mul_i32 s7, s3, s0
	s_sub_i32 s2, s2, s7
	s_add_i32 s10, s3, 1
	s_sub_i32 s7, s2, s0
	s_cmp_ge_u32 s2, s0
	s_cselect_b32 s3, s10, s3
	s_cselect_b32 s2, s7, s2
	s_add_i32 s7, s3, 1
	s_cmp_ge_u32 s2, s0
	s_cselect_b32 s0, s7, s3
	s_xor_b32 s0, s0, s1
	s_sub_i32 s10, s0, s1
	s_abs_i32 s2, s10
	v_cvt_f32_u32_e32 v1, s2
	s_load_dwordx2 s[0:1], s[4:5], 0x50
	s_sub_i32 s7, 0, s2
	s_abs_i32 s3, s6
	v_rcp_iflag_f32_e32 v1, v1
	v_mul_f32_e32 v1, 0x4f7ffffe, v1
	v_cvt_u32_f32_e32 v1, v1
	v_readfirstlane_b32 s12, v1
	s_mul_i32 s7, s7, s12
	s_mul_hi_u32 s7, s12, s7
	s_add_i32 s12, s12, s7
	s_waitcnt lgkmcnt(0)
	s_cmp_eq_u64 s[0:1], 0
	s_mul_hi_u32 s16, s3, s12
	s_cbranch_scc1 .LBB150_3
; %bb.2:
	s_ashr_i32 s7, s6, 31
	s_lshl_b64 s[12:13], s[6:7], 2
	s_add_u32 s0, s0, s12
	s_addc_u32 s1, s1, s13
	s_load_dword s40, s[0:1], 0x0
.LBB150_3:
	s_load_dwordx4 s[12:15], s[4:5], 0x58
	s_movk_i32 s0, 0x80
	s_ashr_i32 s17, s6, 31
	s_ashr_i32 s18, s10, 31
	v_and_b32_e32 v2, 7, v0
	s_lshl_b32 s20, s6, 7
	v_cmp_gt_u32_e32 vcc, s0, v0
	v_lshlrev_b32_e32 v16, 1, v0
	s_and_saveexec_b64 s[0:1], vcc
	s_cbranch_execz .LBB150_5
; %bb.4:
	s_load_dwordx2 s[22:23], s[4:5], 0x18
	s_waitcnt lgkmcnt(0)
	s_mul_i32 s26, s24, s12
	s_ashr_i32 s27, s26, 31
	s_lshl_b64 s[26:27], s[26:27], 1
	v_lshrrev_b32_e32 v3, 2, v0
	s_add_u32 s7, s22, s26
	s_addc_u32 s10, s23, s27
	s_ashr_i32 s21, s20, 31
	s_lshl_b64 s[22:23], s[20:21], 1
	s_add_u32 s22, s7, s22
	s_addc_u32 s23, s10, s23
	global_load_ushort v1, v16, s[22:23]
	v_and_b32_e32 v3, 0xfe, v3
	v_lshl_add_u32 v3, v2, 5, v3
	s_waitcnt vmcnt(0)
	ds_write_b16 v3, v1
.LBB150_5:
	s_or_b64 exec, exec, s[0:1]
	s_add_i32 s0, s25, 7
	s_ashr_i32 s1, s0, 31
	s_lshr_b32 s1, s1, 29
	s_add_i32 s0, s0, s1
	s_lshl_b32 s10, s8, 6
	s_mul_i32 s1, s16, s2
	s_ashr_i32 s7, s0, 3
	s_add_i32 s0, s10, 64
	s_sub_i32 s1, s3, s1
	s_min_i32 s21, s0, s7
	s_xor_b32 s0, s17, s18
	s_add_i32 s3, s16, 1
	s_waitcnt lgkmcnt(0)
	s_sub_i32 s12, s1, s2
	s_cmp_ge_u32 s1, s2
	s_cselect_b32 s3, s3, s16
	s_cselect_b32 s1, s12, s1
	s_add_i32 s12, s3, 1
	s_cmp_ge_u32 s1, s2
	s_load_dwordx2 s[26:27], s[4:5], 0x38
	s_load_dword s2, s[4:5], 0x48
	v_lshrrev_b32_e32 v4, 6, v0
	s_cselect_b32 s1, s12, s3
	s_xor_b32 s1, s1, s0
	v_or_b32_e32 v10, s10, v4
	s_waitcnt lgkmcnt(0)
	s_mul_i32 s28, s24, s2
	s_sub_i32 s15, s1, s0
	s_ashr_i32 s29, s28, 31
	v_cmp_gt_i32_e64 s[0:1], s21, v10
	v_cmp_le_i32_e32 vcc, s21, v10
	v_mbcnt_lo_u32_b32 v3, -1, 0
	s_barrier
	s_waitcnt lgkmcnt(0)
                                        ; implicit-def: $sgpr36
                                        ; implicit-def: $vgpr6
                                        ; implicit-def: $vgpr7
	s_and_saveexec_b64 s[2:3], vcc
	s_xor_b64 s[2:3], exec, s[2:3]
; %bb.6:
	v_mbcnt_hi_u32_b32 v6, -1, v3
	v_and_b32_e32 v1, 64, v6
	v_add_u32_e32 v7, 64, v1
	s_mov_b32 s36, 0xff7fffff
                                        ; implicit-def: $vgpr2
                                        ; implicit-def: $vgpr3
; %bb.7:
	s_or_saveexec_b64 s[34:35], s[2:3]
	s_load_dwordx4 s[16:19], s[4:5], 0x0
	s_load_dwordx2 s[22:23], s[4:5], 0x10
	s_load_dwordx2 s[30:31], s[4:5], 0x28
	s_load_dword s12, s[4:5], 0x98
	v_mov_b32_e32 v28, s36
	s_mul_i32 s14, s15, s14
	v_ashrrev_i32_e32 v11, 31, v10
	v_lshlrev_b32_e32 v5, 3, v4
	s_xor_b64 exec, exec, s[34:35]
	s_cbranch_execz .LBB150_13
; %bb.8:
	s_load_dwordx2 s[2:3], s[4:5], 0x20
	s_ashr_i32 s15, s14, 31
	s_lshl_b64 s[4:5], s[14:15], 1
	v_bfe_u32 v28, v0, 3, 3
	v_lshlrev_b32_e32 v1, 4, v28
	s_waitcnt lgkmcnt(0)
	s_add_u32 s2, s2, s4
	s_addc_u32 s3, s3, s5
	v_mov_b32_e32 v6, s3
	v_add_co_u32_e32 v1, vcc, s2, v1
	v_addc_co_u32_e32 v6, vcc, 0, v6, vcc
	v_lshlrev_b32_e32 v7, 1, v2
	v_add_co_u32_e32 v1, vcc, v1, v7
	v_addc_co_u32_e32 v8, vcc, 0, v6, vcc
	v_mbcnt_hi_u32_b32 v6, -1, v3
	v_and_b32_e32 v3, 64, v6
	v_add_u32_e32 v7, 64, v3
	v_xor_b32_e32 v3, 4, v6
	v_cmp_lt_i32_e32 vcc, v3, v7
	v_cndmask_b32_e32 v3, v6, v3, vcc
	v_lshlrev_b32_e32 v29, 2, v3
	v_xor_b32_e32 v3, 2, v6
	v_cmp_lt_i32_e32 vcc, v3, v7
	v_cndmask_b32_e32 v3, v6, v3, vcc
	v_lshlrev_b32_e32 v9, 5, v2
	v_lshlrev_b32_e32 v30, 2, v3
	v_xor_b32_e32 v3, 1, v6
	ds_read_b128 v[18:21], v9
	ds_read_b128 v[24:27], v9 offset:16
	v_cmp_lt_i32_e32 vcc, v3, v7
	v_cndmask_b32_e32 v3, v6, v3, vcc
	v_cmp_eq_u32_e32 vcc, 0, v2
	s_sub_i32 s15, 1, s25
	v_lshlrev_b32_e32 v2, 2, v28
	s_lshl_b64 s[4:5], s[28:29], 2
	v_lshl_or_b32 v2, v4, 5, v2
	s_add_u32 s4, s26, s4
	v_lshlrev_b32_e32 v31, 2, v3
	v_add_u32_e32 v33, 0x110, v2
	v_lshlrev_b64 v[2:3], 2, v[10:11]
	s_addc_u32 s5, s27, s5
	v_add3_u32 v32, s33, v5, v28
	v_mov_b32_e32 v28, s5
	v_add_co_u32_e64 v2, s[4:5], s4, v2
	s_mov_b32 s41, s13
	s_waitcnt lgkmcnt(1)
	v_lshlrev_b32_e32 v9, 16, v18
	v_and_b32_e32 v12, 0xffff0000, v18
	v_lshlrev_b32_e32 v13, 16, v19
	v_and_b32_e32 v14, 0xffff0000, v19
	;; [unrolled: 2-line block ×4, first 2 shown]
	s_waitcnt lgkmcnt(0)
	v_lshlrev_b32_e32 v20, 16, v24
	v_and_b32_e32 v21, 0xffff0000, v24
	v_lshlrev_b32_e32 v22, 16, v25
	v_and_b32_e32 v23, 0xffff0000, v25
	;; [unrolled: 2-line block ×4, first 2 shown]
	v_cmp_neq_f32_e64 s[2:3], s40, 0
	v_addc_co_u32_e64 v3, s[4:5], v28, v3, s[4:5]
	s_mov_b64 s[36:37], 0
	v_mov_b32_e32 v28, 0xff7fffff
	v_mov_b32_e32 v34, v10
	s_branch .LBB150_10
.LBB150_9:                              ;   in Loop: Header=BB150_10 Depth=1
	s_or_b64 exec, exec, s[38:39]
	v_add_u32_e32 v34, 2, v34
	v_cmp_le_i32_e64 s[4:5], s21, v34
	s_or_b64 s[36:37], s[4:5], s[36:37]
	v_add_co_u32_e64 v2, s[4:5], 8, v2
	v_add_u32_e32 v32, 16, v32
	v_add_u32_e32 v33, 64, v33
	v_addc_co_u32_e64 v3, s[4:5], 0, v3, s[4:5]
	s_andn2_b64 exec, exec, s[36:37]
	s_cbranch_execz .LBB150_12
.LBB150_10:                             ; =>This Inner Loop Header: Depth=1
	global_load_dword v35, v[2:3], off
	s_waitcnt vmcnt(0) lgkmcnt(0)
	v_mad_i64_i32 v[36:37], s[4:5], v35, s41, 0
	v_lshlrev_b64 v[36:37], 1, v[36:37]
	v_add_co_u32_e64 v36, s[4:5], v1, v36
	v_addc_co_u32_e64 v37, s[4:5], v8, v37, s[4:5]
	global_load_ushort v35, v[36:37], off
	global_load_ushort v38, v[36:37], off offset:128
	global_load_ushort v39, v[36:37], off offset:256
	global_load_ushort v40, v[36:37], off offset:384
	global_load_ushort v41, v[36:37], off offset:512
	global_load_ushort v42, v[36:37], off offset:640
	global_load_ushort v43, v[36:37], off offset:768
	global_load_ushort v44, v[36:37], off offset:896
	global_load_ushort v45, v[36:37], off offset:1024
	global_load_ushort v46, v[36:37], off offset:1152
	global_load_ushort v47, v[36:37], off offset:1280
	global_load_ushort v48, v[36:37], off offset:1408
	global_load_ushort v49, v[36:37], off offset:1536
	global_load_ushort v50, v[36:37], off offset:1664
	global_load_ushort v51, v[36:37], off offset:1792
	s_nop 0
	global_load_ushort v36, v[36:37], off offset:1920
	s_waitcnt vmcnt(15)
	v_lshlrev_b32_e32 v35, 16, v35
	s_waitcnt vmcnt(14)
	v_lshlrev_b32_e32 v37, 16, v38
	v_mul_f32_e32 v37, v12, v37
	s_waitcnt vmcnt(13)
	v_lshlrev_b32_e32 v38, 16, v39
	v_fmac_f32_e32 v37, v9, v35
	s_waitcnt vmcnt(12)
	v_lshlrev_b32_e32 v39, 16, v40
	v_fmac_f32_e32 v37, v13, v38
	s_waitcnt vmcnt(11)
	v_lshlrev_b32_e32 v40, 16, v41
	v_fmac_f32_e32 v37, v14, v39
	s_waitcnt vmcnt(10)
	v_lshlrev_b32_e32 v41, 16, v42
	v_fmac_f32_e32 v37, v15, v40
	s_waitcnt vmcnt(9)
	v_lshlrev_b32_e32 v42, 16, v43
	v_fmac_f32_e32 v37, v17, v41
	s_waitcnt vmcnt(8)
	v_lshlrev_b32_e32 v43, 16, v44
	v_fmac_f32_e32 v37, v18, v42
	s_waitcnt vmcnt(7)
	v_lshlrev_b32_e32 v44, 16, v45
	v_fmac_f32_e32 v37, v19, v43
	s_waitcnt vmcnt(6)
	v_lshlrev_b32_e32 v45, 16, v46
	v_fmac_f32_e32 v37, v20, v44
	s_waitcnt vmcnt(5)
	v_lshlrev_b32_e32 v46, 16, v47
	v_fmac_f32_e32 v37, v21, v45
	s_waitcnt vmcnt(4)
	v_lshlrev_b32_e32 v47, 16, v48
	v_fmac_f32_e32 v37, v22, v46
	s_waitcnt vmcnt(3)
	v_lshlrev_b32_e32 v48, 16, v49
	v_fmac_f32_e32 v37, v23, v47
	s_waitcnt vmcnt(2)
	v_lshlrev_b32_e32 v49, 16, v50
	v_fmac_f32_e32 v37, v24, v48
	s_waitcnt vmcnt(1)
	v_lshlrev_b32_e32 v50, 16, v51
	v_fmac_f32_e32 v37, v25, v49
	v_fmac_f32_e32 v37, v26, v50
	s_waitcnt vmcnt(0)
	v_lshlrev_b32_e32 v35, 16, v36
	v_fmac_f32_e32 v37, v27, v35
	ds_bpermute_b32 v35, v29, v37
	s_waitcnt lgkmcnt(0)
	v_add_f32_e32 v35, v37, v35
	ds_bpermute_b32 v36, v30, v35
	s_waitcnt lgkmcnt(0)
	v_add_f32_e32 v35, v35, v36
	ds_bpermute_b32 v36, v31, v35
	s_and_saveexec_b64 s[38:39], vcc
	s_cbranch_execz .LBB150_9
; %bb.11:                               ;   in Loop: Header=BB150_10 Depth=1
	v_add_u32_e32 v37, s15, v32
	v_cvt_f32_i32_e32 v37, v37
	s_waitcnt lgkmcnt(0)
	v_add_f32_e32 v35, v35, v36
	v_cmp_gt_i32_e64 s[4:5], s25, v32
	v_max_f32_e32 v36, v28, v28
	v_mul_f32_e32 v37, s40, v37
	v_cndmask_b32_e64 v37, 0, v37, s[2:3]
	v_fmac_f32_e32 v37, s11, v35
	v_cndmask_b32_e64 v35, 0, v37, s[4:5]
	ds_write_b32 v33, v35
	v_max_f32_e32 v35, v36, v37
	v_cndmask_b32_e64 v28, v28, v35, s[4:5]
	s_branch .LBB150_9
.LBB150_12:
	s_or_b64 exec, exec, s[36:37]
.LBB150_13:
	s_or_b64 exec, exec, s[34:35]
	v_xor_b32_e32 v1, 32, v6
	v_cmp_lt_i32_e32 vcc, v1, v7
	v_cndmask_b32_e32 v1, v6, v1, vcc
	v_lshlrev_b32_e32 v3, 2, v1
	ds_bpermute_b32 v1, v3, v28
	v_xor_b32_e32 v8, 16, v6
	v_max_f32_e32 v2, v28, v28
	v_cmp_lt_i32_e32 vcc, v8, v7
	v_xor_b32_e32 v9, 8, v6
	s_waitcnt lgkmcnt(0)
	v_max_f32_e32 v1, v1, v1
	v_max_f32_e32 v1, v2, v1
	v_cndmask_b32_e32 v2, v6, v8, vcc
	v_lshlrev_b32_e32 v12, 2, v2
	ds_bpermute_b32 v2, v12, v1
	v_cmp_lt_i32_e32 vcc, v9, v7
	s_waitcnt lgkmcnt(0)
	v_max_f32_e32 v2, v2, v2
	v_max_f32_e32 v8, v1, v2
	v_cndmask_b32_e32 v1, v6, v9, vcc
	v_lshlrev_b32_e32 v13, 2, v1
	ds_bpermute_b32 v9, v13, v8
	v_and_b32_e32 v1, 63, v0
	v_cmp_eq_u32_e32 vcc, 0, v1
	v_lshlrev_b32_e32 v2, 2, v4
	s_and_saveexec_b64 s[2:3], vcc
	s_cbranch_execz .LBB150_15
; %bb.14:
	s_waitcnt lgkmcnt(0)
	v_max_f32_e32 v9, v9, v9
	v_max_f32_e32 v8, v8, v8
	;; [unrolled: 1-line block ×3, first 2 shown]
	ds_write_b32 v2, v8 offset:256
.LBB150_15:
	s_or_b64 exec, exec, s[2:3]
	v_cmp_gt_u32_e64 s[2:3], 2, v1
	v_mov_b32_e32 v8, 0xff7fffff
	s_waitcnt lgkmcnt(0)
	v_lshlrev_b32_e32 v9, 2, v1
	s_barrier
	s_and_saveexec_b64 s[4:5], s[2:3]
	s_cbranch_execz .LBB150_17
; %bb.16:
	ds_read_b32 v8, v9 offset:256
.LBB150_17:
	s_or_b64 exec, exec, s[4:5]
	v_xor_b32_e32 v14, 1, v6
	v_cmp_lt_i32_e64 s[4:5], v14, v7
	v_cndmask_b32_e64 v14, v6, v14, s[4:5]
	v_lshlrev_b32_e32 v14, 2, v14
	s_waitcnt lgkmcnt(0)
	ds_bpermute_b32 v15, v14, v8
	v_max_f32_e32 v8, v8, v8
	s_sub_i32 s4, s21, s10
	s_lshl_b32 s4, s4, 3
	s_add_i32 s4, s4, s33
	s_waitcnt lgkmcnt(0)
	v_max_f32_e32 v15, v15, v15
	v_max_f32_e32 v8, v8, v15
	v_lshlrev_b32_e32 v15, 2, v6
	v_and_b32_e32 v15, 0xffffff00, v15
	ds_bpermute_b32 v8, v15, v8
	s_min_i32 s38, s4, s25
	s_sub_i32 s15, s38, s33
	v_cmp_gt_i32_e64 s[4:5], s15, v0
	v_mov_b32_e32 v17, 0
	s_and_saveexec_b64 s[34:35], s[4:5]
	s_cbranch_execz .LBB150_21
; %bb.18:
	v_mov_b32_e32 v17, 0x110
	v_lshl_add_u32 v18, v0, 2, v17
	s_mov_b64 s[36:37], 0
	v_mov_b32_e32 v17, 0
	v_mov_b32_e32 v19, v0
.LBB150_19:                             ; =>This Inner Loop Header: Depth=1
	ds_read_b32 v20, v18
	v_add_u32_e32 v19, 0x80, v19
	v_cmp_le_i32_e64 s[10:11], s15, v19
	s_or_b64 s[36:37], s[10:11], s[36:37]
	s_waitcnt lgkmcnt(0)
	v_sub_f32_e32 v20, v20, v8
	v_mul_f32_e32 v20, 0x3fb8aa3b, v20
	v_exp_f32_e32 v20, v20
	ds_write_b32 v18, v20
	v_add_f32_e32 v17, v17, v20
	v_add_u32_e32 v18, 0x200, v18
	s_andn2_b64 exec, exec, s[36:37]
	s_cbranch_execnz .LBB150_19
; %bb.20:
	s_or_b64 exec, exec, s[36:37]
.LBB150_21:
	s_or_b64 exec, exec, s[34:35]
	ds_bpermute_b32 v3, v3, v17
	s_waitcnt lgkmcnt(0)
	v_add_f32_e32 v3, v17, v3
	ds_bpermute_b32 v12, v12, v3
	s_waitcnt lgkmcnt(0)
	v_add_f32_e32 v3, v3, v12
	ds_bpermute_b32 v12, v13, v3
	v_xor_b32_e32 v13, 4, v6
	v_cmp_lt_i32_e64 s[10:11], v13, v7
	v_cndmask_b32_e64 v13, v6, v13, s[10:11]
	v_lshlrev_b32_e32 v13, 2, v13
	s_waitcnt lgkmcnt(0)
	v_add_f32_e32 v3, v3, v12
	ds_bpermute_b32 v12, v13, v3
	v_xor_b32_e32 v13, 2, v6
	v_cmp_lt_i32_e64 s[10:11], v13, v7
	v_cndmask_b32_e64 v6, v6, v13, s[10:11]
	v_lshlrev_b32_e32 v6, 2, v6
	s_waitcnt lgkmcnt(0)
	v_add_f32_e32 v3, v3, v12
	ds_bpermute_b32 v6, v6, v3
	s_waitcnt lgkmcnt(0)
	v_add_f32_e32 v3, v3, v6
	ds_bpermute_b32 v6, v14, v3
	s_waitcnt lgkmcnt(0)
	v_add_f32_e32 v3, v3, v6
	s_and_saveexec_b64 s[10:11], vcc
	s_cbranch_execz .LBB150_23
; %bb.22:
	ds_write_b32 v2, v3 offset:264
.LBB150_23:
	s_or_b64 exec, exec, s[10:11]
	s_waitcnt lgkmcnt(0)
	s_barrier
	s_and_saveexec_b64 s[10:11], s[2:3]
	s_cbranch_execz .LBB150_25
; %bb.24:
	ds_read_b32 v3, v9 offset:264
.LBB150_25:
	s_or_b64 exec, exec, s[10:11]
	s_waitcnt lgkmcnt(0)
	ds_bpermute_b32 v2, v14, v3
	s_waitcnt lgkmcnt(0)
	v_add_f32_e32 v2, v3, v2
	ds_bpermute_b32 v6, v15, v2
	s_and_saveexec_b64 s[2:3], s[4:5]
	s_cbranch_execz .LBB150_38
; %bb.26:
	s_waitcnt lgkmcnt(0)
	v_add_f32_e32 v2, 0x358637bd, v6
	v_div_scale_f32 v3, s[4:5], v2, v2, 1.0
	v_rcp_f32_e32 v7, v3
	v_div_scale_f32 v9, vcc, 1.0, v2, 1.0
	s_movk_i32 s4, 0x7f
	v_fma_f32 v12, -v3, v7, 1.0
	v_fmac_f32_e32 v7, v12, v7
	v_mul_f32_e32 v12, v9, v7
	v_fma_f32 v13, -v3, v12, v9
	v_fmac_f32_e32 v12, v13, v7
	v_fma_f32 v3, -v3, v12, v9
	v_div_fmas_f32 v3, v3, v7, v12
	v_div_fixup_f32 v2, v3, v2, 1.0
	v_xad_u32 v3, v0, -1, s38
	v_subrev_u32_e32 v7, s33, v3
	v_cmp_lt_u32_e32 vcc, s4, v7
	s_mov_b64 s[10:11], -1
	v_mov_b32_e32 v3, v0
	s_and_saveexec_b64 s[4:5], vcc
	s_cbranch_execz .LBB150_35
; %bb.27:
	v_lshrrev_b32_e32 v7, 7, v7
	v_add_u32_e32 v12, -1, v7
	v_lshrrev_b32_e32 v9, 1, v12
	v_mov_b32_e32 v3, v2
	v_add_u32_e32 v9, 1, v9
	v_cmp_lt_u32_e32 vcc, 13, v12
	v_mov_b32_e32 v14, 0
	s_and_saveexec_b64 s[10:11], vcc
	s_cbranch_execz .LBB150_31
; %bb.28:
	v_mov_b32_e32 v13, 0x110
	v_and_b32_e32 v12, -8, v9
	v_lshl_add_u32 v13, v0, 2, v13
	s_mov_b32 s36, 0
	s_mov_b64 s[34:35], 0
.LBB150_29:                             ; =>This Inner Loop Header: Depth=1
	ds_read2st64_b32 v[14:15], v13 offset1:2
	ds_read2st64_b32 v[18:19], v13 offset0:4 offset1:6
	ds_read2st64_b32 v[20:21], v13 offset0:8 offset1:10
	;; [unrolled: 1-line block ×3, first 2 shown]
	v_add_u32_e32 v12, -8, v12
	s_waitcnt lgkmcnt(3)
	v_pk_mul_f32 v[14:15], v[2:3], v[14:15]
	s_waitcnt lgkmcnt(2)
	v_pk_mul_f32 v[18:19], v[2:3], v[18:19]
	ds_write2st64_b32 v13, v14, v15 offset1:2
	ds_write2st64_b32 v13, v18, v19 offset0:4 offset1:6
	ds_read2st64_b32 v[18:19], v13 offset0:16 offset1:18
	s_waitcnt lgkmcnt(4)
	v_pk_mul_f32 v[14:15], v[2:3], v[20:21]
	ds_write2st64_b32 v13, v14, v15 offset0:8 offset1:10
	s_waitcnt lgkmcnt(4)
	v_pk_mul_f32 v[14:15], v[2:3], v[22:23]
	ds_write2st64_b32 v13, v14, v15 offset0:12 offset1:14
	ds_read2st64_b32 v[14:15], v13 offset0:20 offset1:22
	s_waitcnt lgkmcnt(3)
	v_pk_mul_f32 v[18:19], v[2:3], v[18:19]
	ds_read2st64_b32 v[20:21], v13 offset0:24 offset1:26
	ds_write2st64_b32 v13, v18, v19 offset0:16 offset1:18
	ds_read2st64_b32 v[18:19], v13 offset0:28 offset1:30
	s_waitcnt lgkmcnt(3)
	v_pk_mul_f32 v[14:15], v[2:3], v[14:15]
	ds_write2st64_b32 v13, v14, v15 offset0:20 offset1:22
	s_waitcnt lgkmcnt(3)
	v_pk_mul_f32 v[14:15], v[2:3], v[20:21]
	ds_write2st64_b32 v13, v14, v15 offset0:24 offset1:26
	s_waitcnt lgkmcnt(2)
	v_pk_mul_f32 v[14:15], v[2:3], v[18:19]
	s_add_i32 s36, s36, 16
	v_cmp_eq_u32_e32 vcc, 0, v12
	ds_write2st64_b32 v13, v14, v15 offset0:28 offset1:30
	v_add_u32_e32 v13, 0x2000, v13
	s_or_b64 s[34:35], vcc, s[34:35]
	v_mov_b32_e32 v14, s36
	s_andn2_b64 exec, exec, s[34:35]
	s_cbranch_execnz .LBB150_29
; %bb.30:
	s_or_b64 exec, exec, s[34:35]
.LBB150_31:
	s_or_b64 exec, exec, s[10:11]
	v_and_b32_e32 v9, 7, v9
	v_cmp_ne_u32_e32 vcc, 0, v9
	s_and_saveexec_b64 s[10:11], vcc
	s_cbranch_execz .LBB150_34
; %bb.32:
	v_lshlrev_b32_e32 v12, 9, v14
	v_lshlrev_b32_e32 v13, 2, v0
	s_movk_i32 s34, 0x110
	v_add3_u32 v12, v12, v13, s34
	s_mov_b64 s[34:35], 0
.LBB150_33:                             ; =>This Inner Loop Header: Depth=1
	ds_read2st64_b32 v[14:15], v12 offset1:2
	v_add_u32_e32 v9, -1, v9
	v_cmp_eq_u32_e32 vcc, 0, v9
	s_or_b64 s[34:35], vcc, s[34:35]
	s_waitcnt lgkmcnt(0)
	v_pk_mul_f32 v[14:15], v[2:3], v[14:15]
	ds_write2st64_b32 v12, v14, v15 offset1:2
	v_add_u32_e32 v12, 0x400, v12
	s_andn2_b64 exec, exec, s[34:35]
	s_cbranch_execnz .LBB150_33
.LBB150_34:
	s_or_b64 exec, exec, s[10:11]
	v_add_u32_e32 v7, 1, v7
	v_and_b32_e32 v9, 0x3fffffe, v7
	v_cmp_ne_u32_e32 vcc, v7, v9
	v_lshl_add_u32 v3, v9, 7, v0
	s_orn2_b64 s[10:11], vcc, exec
.LBB150_35:
	s_or_b64 exec, exec, s[4:5]
	s_and_b64 exec, exec, s[10:11]
	s_cbranch_execz .LBB150_38
; %bb.36:
	v_mov_b32_e32 v7, 0x110
	v_lshl_add_u32 v7, v3, 2, v7
	s_mov_b64 s[4:5], 0
.LBB150_37:                             ; =>This Inner Loop Header: Depth=1
	ds_read_b32 v9, v7
	v_add_u32_e32 v3, 0x80, v3
	v_cmp_le_i32_e32 vcc, s15, v3
	s_or_b64 s[4:5], vcc, s[4:5]
	s_waitcnt lgkmcnt(0)
	v_mul_f32_e32 v9, v2, v9
	ds_write_b32 v7, v9
	v_add_u32_e32 v7, 0x200, v7
	s_andn2_b64 exec, exec, s[4:5]
	s_cbranch_execnz .LBB150_37
.LBB150_38:
	s_or_b64 exec, exec, s[2:3]
	s_mul_i32 s2, s12, s24
	s_mov_b32 s4, 0
	v_cmp_eq_u32_e32 vcc, 0, v0
	s_mul_i32 s2, s2, s9
	s_waitcnt lgkmcnt(0)
	s_barrier
	s_and_saveexec_b64 s[10:11], vcc
	s_cbranch_execz .LBB150_40
; %bb.39:
	s_ashr_i32 s3, s2, 31
	s_lshl_b64 s[34:35], s[2:3], 2
	s_add_u32 s3, s18, s34
	s_mul_i32 s18, s12, s6
	s_addc_u32 s5, s19, s35
	s_ashr_i32 s19, s18, 31
	s_lshl_b64 s[18:19], s[18:19], 2
	s_add_u32 s3, s3, s18
	s_addc_u32 s5, s5, s19
	s_ashr_i32 s9, s8, 31
	s_lshl_b64 s[36:37], s[8:9], 2
	s_add_u32 s38, s3, s36
	s_addc_u32 s39, s5, s37
	s_add_u32 s3, s16, s34
	s_addc_u32 s5, s17, s35
	;; [unrolled: 2-line block ×3, first 2 shown]
	s_add_u32 s16, s3, s36
	v_mov_b32_e32 v2, 0
	s_addc_u32 s17, s5, s37
	global_store_dword v2, v8, s[38:39]
	global_store_dword v2, v6, s[16:17]
.LBB150_40:
	s_or_b64 exec, exec, s[10:11]
	s_mov_b32 s5, s4
	v_pk_mov_b32 v[2:3], s[4:5], s[4:5] op_sel:[0,1]
	s_and_saveexec_b64 s[4:5], s[0:1]
	s_cbranch_execz .LBB150_144
; %bb.41:
	s_ashr_i32 s15, s14, 31
	s_lshl_b64 s[0:1], s[14:15], 1
	s_add_u32 s0, s30, s0
	s_addc_u32 s1, s31, s1
	v_lshlrev_b32_e32 v2, 4, v1
	s_add_i32 s9, s7, -1
	v_mov_b32_e32 v3, s1
	v_add_co_u32_e32 v17, vcc, s0, v2
	s_lshl_b64 s[0:1], s[28:29], 2
	v_mov_b32_e32 v2, 0x110
	s_add_u32 s0, s26, s0
	v_addc_co_u32_e32 v18, vcc, 0, v3, vcc
	v_lshl_add_u32 v20, v4, 5, v2
	v_lshlrev_b64 v[2:3], 2, v[10:11]
	s_addc_u32 s1, s27, s1
	v_mov_b32_e32 v4, s1
	v_add_co_u32_e32 v12, vcc, s0, v2
	v_mov_b32_e32 v11, 0
	s_mov_b32 s3, s13
	v_add3_u32 v19, s33, v5, 7
	v_addc_co_u32_e32 v13, vcc, v4, v3, vcc
	s_mov_b64 s[6:7], 0
	s_mov_b32 s13, 0x7f800000
	s_movk_i32 s14, 0x7fff
	v_mov_b32_e32 v14, 0
	v_mov_b32_e32 v15, v11
	s_branch .LBB150_43
.LBB150_42:                             ;   in Loop: Header=BB150_43 Depth=1
	s_or_b64 exec, exec, s[0:1]
	v_and_b32_e32 v2, 0xffff0000, v24
	v_and_b32_e32 v24, 0xffff0000, v23
	;; [unrolled: 1-line block ×6, first 2 shown]
	v_pk_add_f32 v[8:9], v[8:9], v[22:23]
	v_and_b32_e32 v3, 0xffff0000, v33
	v_and_b32_e32 v25, 0xffff0000, v25
	v_mov_b32_e32 v22, v9
	v_pk_add_f32 v[8:9], v[8:9], v[22:23]
	v_pk_add_f32 v[2:3], v[24:25], v[2:3]
	;; [unrolled: 1-line block ×3, first 2 shown]
	v_mov_b32_e32 v2, v3
	v_pk_add_f32 v[2:3], v[8:9], v[2:3]
	v_and_b32_e32 v9, 0xffff0000, v7
	v_and_b32_e32 v23, 0xffff0000, v28
	v_and_b32_e32 v22, 0xffff0000, v26
	v_and_b32_e32 v7, 0xffff0000, v27
	v_and_b32_e32 v6, 0xffff0000, v6
	v_pk_add_f32 v[6:7], v[6:7], v[22:23]
	v_and_b32_e32 v8, 0xffff0000, v29
	v_and_b32_e32 v5, 0xffff0000, v5
	;; [unrolled: 1-line block ×3, first 2 shown]
	v_mov_b32_e32 v22, v7
	v_pk_add_f32 v[6:7], v[6:7], v[22:23]
	v_pk_add_f32 v[4:5], v[4:5], v[8:9]
	;; [unrolled: 1-line block ×3, first 2 shown]
	v_mov_b32_e32 v4, v5
	v_pk_add_f32 v[2:3], v[14:15], v[2:3]
	v_pk_add_f32 v[4:5], v[6:7], v[4:5]
	v_add_co_u32_e32 v12, vcc, 8, v12
	v_mov_b32_e32 v3, v4
	v_add_u32_e32 v10, 2, v10
	v_addc_co_u32_e32 v13, vcc, 0, v13, vcc
	v_pk_add_f32 v[14:15], v[14:15], v[2:3]
	v_cmp_le_i32_e32 vcc, s21, v10
	v_add_u32_e32 v19, 16, v19
	v_add_u32_e32 v20, 64, v20
	s_or_b64 s[6:7], vcc, s[6:7]
	v_mov_b32_e32 v14, v2
	s_andn2_b64 exec, exec, s[6:7]
	s_cbranch_execz .LBB150_143
.LBB150_43:                             ; =>This Inner Loop Header: Depth=1
	global_load_dword v26, v[12:13], off
	ds_read2_b64 v[6:9], v20 offset1:1
	ds_read2_b64 v[2:5], v20 offset0:2 offset1:3
                                        ; implicit-def: $vgpr34
	s_waitcnt lgkmcnt(1)
	v_and_b32_e32 v21, 0x7f800000, v6
	v_cmp_ne_u32_e32 vcc, s13, v21
	s_and_saveexec_b64 s[0:1], vcc
	s_xor_b64 s[0:1], exec, s[0:1]
; %bb.44:                               ;   in Loop: Header=BB150_43 Depth=1
	v_bfe_u32 v21, v6, 16, 1
	v_add3_u32 v34, v6, v21, s14
; %bb.45:                               ;   in Loop: Header=BB150_43 Depth=1
	s_andn2_saveexec_b64 s[0:1], s[0:1]
; %bb.46:                               ;   in Loop: Header=BB150_43 Depth=1
	v_or_b32_e32 v21, 0x10000, v6
	v_cmp_eq_u32_sdwa vcc, v6, v11 src0_sel:WORD_0 src1_sel:DWORD
	v_cndmask_b32_e32 v34, v21, v6, vcc
; %bb.47:                               ;   in Loop: Header=BB150_43 Depth=1
	s_or_b64 exec, exec, s[0:1]
	v_and_b32_e32 v6, 0x7f800000, v7
	v_cmp_ne_u32_e32 vcc, s13, v6
                                        ; implicit-def: $vgpr35
	s_and_saveexec_b64 s[0:1], vcc
	s_xor_b64 s[0:1], exec, s[0:1]
; %bb.48:                               ;   in Loop: Header=BB150_43 Depth=1
	v_bfe_u32 v6, v7, 16, 1
	v_add3_u32 v35, v7, v6, s14
; %bb.49:                               ;   in Loop: Header=BB150_43 Depth=1
	s_andn2_saveexec_b64 s[0:1], s[0:1]
; %bb.50:                               ;   in Loop: Header=BB150_43 Depth=1
	v_or_b32_e32 v6, 0x10000, v7
	v_cmp_eq_u32_sdwa vcc, v7, v11 src0_sel:WORD_0 src1_sel:DWORD
	v_cndmask_b32_e32 v35, v6, v7, vcc
; %bb.51:                               ;   in Loop: Header=BB150_43 Depth=1
	s_or_b64 exec, exec, s[0:1]
	v_and_b32_e32 v6, 0x7f800000, v8
	v_cmp_ne_u32_e32 vcc, s13, v6
                                        ; implicit-def: $vgpr21
	s_and_saveexec_b64 s[0:1], vcc
	s_xor_b64 s[0:1], exec, s[0:1]
; %bb.52:                               ;   in Loop: Header=BB150_43 Depth=1
	v_bfe_u32 v6, v8, 16, 1
	v_add3_u32 v21, v8, v6, s14
; %bb.53:                               ;   in Loop: Header=BB150_43 Depth=1
	s_andn2_saveexec_b64 s[0:1], s[0:1]
; %bb.54:                               ;   in Loop: Header=BB150_43 Depth=1
	v_or_b32_e32 v6, 0x10000, v8
	v_cmp_eq_u32_sdwa vcc, v8, v11 src0_sel:WORD_0 src1_sel:DWORD
	v_cndmask_b32_e32 v21, v6, v8, vcc
; %bb.55:                               ;   in Loop: Header=BB150_43 Depth=1
	s_or_b64 exec, exec, s[0:1]
	v_and_b32_e32 v6, 0x7f800000, v9
	v_cmp_ne_u32_e32 vcc, s13, v6
                                        ; implicit-def: $vgpr22
	s_and_saveexec_b64 s[0:1], vcc
	s_xor_b64 s[0:1], exec, s[0:1]
; %bb.56:                               ;   in Loop: Header=BB150_43 Depth=1
	v_bfe_u32 v6, v9, 16, 1
	v_add3_u32 v22, v9, v6, s14
                                        ; implicit-def: $vgpr6_vgpr7_vgpr8_vgpr9
; %bb.57:                               ;   in Loop: Header=BB150_43 Depth=1
	s_andn2_saveexec_b64 s[0:1], s[0:1]
; %bb.58:                               ;   in Loop: Header=BB150_43 Depth=1
	v_or_b32_e32 v6, 0x10000, v9
	v_cmp_eq_u32_sdwa vcc, v9, v11 src0_sel:WORD_0 src1_sel:DWORD
	v_cndmask_b32_e32 v22, v6, v9, vcc
; %bb.59:                               ;   in Loop: Header=BB150_43 Depth=1
	s_or_b64 exec, exec, s[0:1]
	s_waitcnt lgkmcnt(0)
	v_and_b32_e32 v6, 0x7f800000, v2
	v_cmp_ne_u32_e32 vcc, s13, v6
                                        ; implicit-def: $vgpr23
	s_and_saveexec_b64 s[0:1], vcc
	s_xor_b64 s[0:1], exec, s[0:1]
; %bb.60:                               ;   in Loop: Header=BB150_43 Depth=1
	v_bfe_u32 v6, v2, 16, 1
	v_add3_u32 v23, v2, v6, s14
; %bb.61:                               ;   in Loop: Header=BB150_43 Depth=1
	s_andn2_saveexec_b64 s[0:1], s[0:1]
; %bb.62:                               ;   in Loop: Header=BB150_43 Depth=1
	v_or_b32_e32 v6, 0x10000, v2
	v_cmp_eq_u32_sdwa vcc, v2, v11 src0_sel:WORD_0 src1_sel:DWORD
	v_cndmask_b32_e32 v23, v6, v2, vcc
; %bb.63:                               ;   in Loop: Header=BB150_43 Depth=1
	s_or_b64 exec, exec, s[0:1]
	v_and_b32_e32 v2, 0x7f800000, v3
	v_cmp_ne_u32_e32 vcc, s13, v2
                                        ; implicit-def: $vgpr24
	s_and_saveexec_b64 s[0:1], vcc
	s_xor_b64 s[0:1], exec, s[0:1]
; %bb.64:                               ;   in Loop: Header=BB150_43 Depth=1
	v_bfe_u32 v2, v3, 16, 1
	v_add3_u32 v24, v3, v2, s14
; %bb.65:                               ;   in Loop: Header=BB150_43 Depth=1
	s_andn2_saveexec_b64 s[0:1], s[0:1]
; %bb.66:                               ;   in Loop: Header=BB150_43 Depth=1
	v_or_b32_e32 v2, 0x10000, v3
	v_cmp_eq_u32_sdwa vcc, v3, v11 src0_sel:WORD_0 src1_sel:DWORD
	v_cndmask_b32_e32 v24, v2, v3, vcc
; %bb.67:                               ;   in Loop: Header=BB150_43 Depth=1
	s_or_b64 exec, exec, s[0:1]
	v_and_b32_e32 v2, 0x7f800000, v4
	v_cmp_ne_u32_e32 vcc, s13, v2
                                        ; implicit-def: $vgpr25
	s_and_saveexec_b64 s[0:1], vcc
	s_xor_b64 s[0:1], exec, s[0:1]
; %bb.68:                               ;   in Loop: Header=BB150_43 Depth=1
	v_bfe_u32 v2, v4, 16, 1
	v_add3_u32 v25, v4, v2, s14
; %bb.69:                               ;   in Loop: Header=BB150_43 Depth=1
	s_andn2_saveexec_b64 s[0:1], s[0:1]
; %bb.70:                               ;   in Loop: Header=BB150_43 Depth=1
	v_or_b32_e32 v2, 0x10000, v4
	v_cmp_eq_u32_sdwa vcc, v4, v11 src0_sel:WORD_0 src1_sel:DWORD
	v_cndmask_b32_e32 v25, v2, v4, vcc
; %bb.71:                               ;   in Loop: Header=BB150_43 Depth=1
	s_or_b64 exec, exec, s[0:1]
	v_and_b32_e32 v2, 0x7f800000, v5
	v_cmp_ne_u32_e32 vcc, s13, v2
                                        ; implicit-def: $vgpr33
	s_and_saveexec_b64 s[0:1], vcc
	s_xor_b64 s[0:1], exec, s[0:1]
; %bb.72:                               ;   in Loop: Header=BB150_43 Depth=1
	v_bfe_u32 v2, v5, 16, 1
	v_add3_u32 v33, v5, v2, s14
                                        ; implicit-def: $vgpr2_vgpr3_vgpr4_vgpr5
; %bb.73:                               ;   in Loop: Header=BB150_43 Depth=1
	s_andn2_saveexec_b64 s[0:1], s[0:1]
; %bb.74:                               ;   in Loop: Header=BB150_43 Depth=1
	v_or_b32_e32 v2, 0x10000, v5
	v_cmp_eq_u32_sdwa vcc, v5, v11 src0_sel:WORD_0 src1_sel:DWORD
	v_cndmask_b32_e32 v33, v2, v5, vcc
; %bb.75:                               ;   in Loop: Header=BB150_43 Depth=1
	s_or_b64 exec, exec, s[0:1]
	s_waitcnt vmcnt(0)
	v_mad_i64_i32 v[2:3], s[0:1], v26, s3, 0
	v_lshlrev_b64 v[2:3], 1, v[2:3]
	v_add_co_u32_e32 v6, vcc, v17, v2
	v_addc_co_u32_e32 v7, vcc, v18, v3, vcc
	global_load_dwordx4 v[2:5], v[6:7], off
	v_add_u32_e32 v26, -7, v19
	v_cmp_eq_u32_e32 vcc, s9, v10
	v_add_u32_e32 v32, -6, v19
	v_add_u32_e32 v30, -5, v19
	;; [unrolled: 1-line block ×6, first 2 shown]
	s_waitcnt vmcnt(0)
	v_lshrrev_b32_e32 v9, 16, v2
	v_lshrrev_b32_e32 v38, 16, v3
	;; [unrolled: 1-line block ×4, first 2 shown]
	s_and_saveexec_b64 s[10:11], vcc
	s_cbranch_execz .LBB150_77
; %bb.76:                               ;   in Loop: Header=BB150_43 Depth=1
	v_cmp_gt_i32_e64 s[0:1], s25, v26
	v_cndmask_b32_e64 v2, 0, v2, s[0:1]
	v_cmp_gt_i32_e64 s[0:1], s25, v32
	v_cndmask_b32_e64 v9, 0, v9, s[0:1]
	;; [unrolled: 2-line block ×8, first 2 shown]
.LBB150_77:                             ;   in Loop: Header=BB150_43 Depth=1
	s_or_b64 exec, exec, s[10:11]
	v_and_b32_e32 v34, 0xffff0000, v34
	v_lshlrev_b32_e32 v2, 16, v2
	v_mul_f32_e32 v2, v34, v2
	v_and_b32_e32 v8, 0x7f800000, v2
	v_cmp_ne_u32_e64 s[0:1], s13, v8
                                        ; implicit-def: $vgpr8
	s_and_saveexec_b64 s[10:11], s[0:1]
	s_xor_b64 s[0:1], exec, s[10:11]
; %bb.78:                               ;   in Loop: Header=BB150_43 Depth=1
	v_bfe_u32 v8, v2, 16, 1
	v_add3_u32 v8, v2, v8, s14
                                        ; implicit-def: $vgpr2
; %bb.79:                               ;   in Loop: Header=BB150_43 Depth=1
	s_andn2_saveexec_b64 s[10:11], s[0:1]
; %bb.80:                               ;   in Loop: Header=BB150_43 Depth=1
	v_or_b32_e32 v8, 0x10000, v2
	v_cmp_eq_u32_sdwa s[0:1], v2, v11 src0_sel:WORD_0 src1_sel:DWORD
	v_cndmask_b32_e64 v8, v8, v2, s[0:1]
; %bb.81:                               ;   in Loop: Header=BB150_43 Depth=1
	s_or_b64 exec, exec, s[10:11]
	v_and_b32_e32 v35, 0xffff0000, v35
	v_lshlrev_b32_e32 v2, 16, v9
	v_mul_f32_e32 v2, v35, v2
	v_and_b32_e32 v9, 0x7f800000, v2
	v_cmp_ne_u32_e64 s[0:1], s13, v9
                                        ; implicit-def: $vgpr9
	s_and_saveexec_b64 s[10:11], s[0:1]
	s_xor_b64 s[0:1], exec, s[10:11]
; %bb.82:                               ;   in Loop: Header=BB150_43 Depth=1
	v_bfe_u32 v9, v2, 16, 1
	v_add3_u32 v9, v2, v9, s14
                                        ; implicit-def: $vgpr2
; %bb.83:                               ;   in Loop: Header=BB150_43 Depth=1
	s_andn2_saveexec_b64 s[10:11], s[0:1]
; %bb.84:                               ;   in Loop: Header=BB150_43 Depth=1
	v_or_b32_e32 v9, 0x10000, v2
	v_cmp_eq_u32_sdwa s[0:1], v2, v11 src0_sel:WORD_0 src1_sel:DWORD
	v_cndmask_b32_e64 v9, v9, v2, s[0:1]
; %bb.85:                               ;   in Loop: Header=BB150_43 Depth=1
	s_or_b64 exec, exec, s[10:11]
	v_and_b32_e32 v36, 0xffff0000, v21
	v_lshlrev_b32_e32 v2, 16, v3
	v_mul_f32_e32 v2, v36, v2
	v_and_b32_e32 v3, 0x7f800000, v2
	v_cmp_ne_u32_e64 s[0:1], s13, v3
                                        ; implicit-def: $vgpr21
	s_and_saveexec_b64 s[10:11], s[0:1]
	s_xor_b64 s[0:1], exec, s[10:11]
; %bb.86:                               ;   in Loop: Header=BB150_43 Depth=1
	v_bfe_u32 v3, v2, 16, 1
	v_add3_u32 v21, v2, v3, s14
                                        ; implicit-def: $vgpr2
; %bb.87:                               ;   in Loop: Header=BB150_43 Depth=1
	s_andn2_saveexec_b64 s[10:11], s[0:1]
; %bb.88:                               ;   in Loop: Header=BB150_43 Depth=1
	v_or_b32_e32 v3, 0x10000, v2
	v_cmp_eq_u32_sdwa s[0:1], v2, v11 src0_sel:WORD_0 src1_sel:DWORD
	v_cndmask_b32_e64 v21, v3, v2, s[0:1]
; %bb.89:                               ;   in Loop: Header=BB150_43 Depth=1
	s_or_b64 exec, exec, s[10:11]
	v_and_b32_e32 v37, 0xffff0000, v22
	v_lshlrev_b32_e32 v2, 16, v38
	v_mul_f32_e32 v2, v37, v2
	v_and_b32_e32 v3, 0x7f800000, v2
	v_cmp_ne_u32_e64 s[0:1], s13, v3
                                        ; implicit-def: $vgpr22
	s_and_saveexec_b64 s[10:11], s[0:1]
	s_xor_b64 s[0:1], exec, s[10:11]
; %bb.90:                               ;   in Loop: Header=BB150_43 Depth=1
	v_bfe_u32 v3, v2, 16, 1
	v_add3_u32 v22, v2, v3, s14
                                        ; implicit-def: $vgpr2
; %bb.91:                               ;   in Loop: Header=BB150_43 Depth=1
	s_andn2_saveexec_b64 s[10:11], s[0:1]
; %bb.92:                               ;   in Loop: Header=BB150_43 Depth=1
	v_or_b32_e32 v3, 0x10000, v2
	v_cmp_eq_u32_sdwa s[0:1], v2, v11 src0_sel:WORD_0 src1_sel:DWORD
	v_cndmask_b32_e64 v22, v3, v2, s[0:1]
; %bb.93:                               ;   in Loop: Header=BB150_43 Depth=1
	s_or_b64 exec, exec, s[10:11]
	v_and_b32_e32 v38, 0xffff0000, v23
	v_lshlrev_b32_e32 v2, 16, v4
	v_mul_f32_e32 v2, v38, v2
	v_and_b32_e32 v3, 0x7f800000, v2
	v_cmp_ne_u32_e64 s[0:1], s13, v3
                                        ; implicit-def: $vgpr23
	s_and_saveexec_b64 s[10:11], s[0:1]
	s_xor_b64 s[0:1], exec, s[10:11]
; %bb.94:                               ;   in Loop: Header=BB150_43 Depth=1
	v_bfe_u32 v3, v2, 16, 1
	v_add3_u32 v23, v2, v3, s14
                                        ; implicit-def: $vgpr2
; %bb.95:                               ;   in Loop: Header=BB150_43 Depth=1
	s_andn2_saveexec_b64 s[10:11], s[0:1]
; %bb.96:                               ;   in Loop: Header=BB150_43 Depth=1
	v_or_b32_e32 v3, 0x10000, v2
	v_cmp_eq_u32_sdwa s[0:1], v2, v11 src0_sel:WORD_0 src1_sel:DWORD
	v_cndmask_b32_e64 v23, v3, v2, s[0:1]
; %bb.97:                               ;   in Loop: Header=BB150_43 Depth=1
	s_or_b64 exec, exec, s[10:11]
	v_and_b32_e32 v39, 0xffff0000, v24
	v_lshlrev_b32_e32 v2, 16, v40
	v_mul_f32_e32 v2, v39, v2
	v_and_b32_e32 v3, 0x7f800000, v2
	v_cmp_ne_u32_e64 s[0:1], s13, v3
                                        ; implicit-def: $vgpr24
	s_and_saveexec_b64 s[10:11], s[0:1]
	s_xor_b64 s[0:1], exec, s[10:11]
; %bb.98:                               ;   in Loop: Header=BB150_43 Depth=1
	v_bfe_u32 v3, v2, 16, 1
	v_add3_u32 v24, v2, v3, s14
                                        ; implicit-def: $vgpr2
; %bb.99:                               ;   in Loop: Header=BB150_43 Depth=1
	s_andn2_saveexec_b64 s[10:11], s[0:1]
; %bb.100:                              ;   in Loop: Header=BB150_43 Depth=1
	v_or_b32_e32 v3, 0x10000, v2
	v_cmp_eq_u32_sdwa s[0:1], v2, v11 src0_sel:WORD_0 src1_sel:DWORD
	v_cndmask_b32_e64 v24, v3, v2, s[0:1]
; %bb.101:                              ;   in Loop: Header=BB150_43 Depth=1
	s_or_b64 exec, exec, s[10:11]
	v_and_b32_e32 v40, 0xffff0000, v25
	v_lshlrev_b32_e32 v2, 16, v5
	v_mul_f32_e32 v2, v40, v2
	v_and_b32_e32 v3, 0x7f800000, v2
	v_cmp_ne_u32_e64 s[0:1], s13, v3
                                        ; implicit-def: $vgpr25
	s_and_saveexec_b64 s[10:11], s[0:1]
	s_xor_b64 s[0:1], exec, s[10:11]
; %bb.102:                              ;   in Loop: Header=BB150_43 Depth=1
	v_bfe_u32 v3, v2, 16, 1
	v_add3_u32 v25, v2, v3, s14
                                        ; implicit-def: $vgpr2
; %bb.103:                              ;   in Loop: Header=BB150_43 Depth=1
	s_andn2_saveexec_b64 s[10:11], s[0:1]
; %bb.104:                              ;   in Loop: Header=BB150_43 Depth=1
	v_or_b32_e32 v3, 0x10000, v2
	v_cmp_eq_u32_sdwa s[0:1], v2, v11 src0_sel:WORD_0 src1_sel:DWORD
	v_cndmask_b32_e64 v25, v3, v2, s[0:1]
; %bb.105:                              ;   in Loop: Header=BB150_43 Depth=1
	s_or_b64 exec, exec, s[10:11]
	v_and_b32_e32 v41, 0xffff0000, v33
	v_lshlrev_b32_e32 v2, 16, v42
	v_mul_f32_e32 v2, v41, v2
	v_and_b32_e32 v3, 0x7f800000, v2
	v_cmp_ne_u32_e64 s[0:1], s13, v3
                                        ; implicit-def: $vgpr33
	s_and_saveexec_b64 s[10:11], s[0:1]
	s_xor_b64 s[0:1], exec, s[10:11]
; %bb.106:                              ;   in Loop: Header=BB150_43 Depth=1
	v_bfe_u32 v3, v2, 16, 1
	v_add3_u32 v33, v2, v3, s14
                                        ; implicit-def: $vgpr2
; %bb.107:                              ;   in Loop: Header=BB150_43 Depth=1
	s_andn2_saveexec_b64 s[10:11], s[0:1]
; %bb.108:                              ;   in Loop: Header=BB150_43 Depth=1
	v_or_b32_e32 v3, 0x10000, v2
	v_cmp_eq_u32_sdwa s[0:1], v2, v11 src0_sel:WORD_0 src1_sel:DWORD
	v_cndmask_b32_e64 v33, v3, v2, s[0:1]
; %bb.109:                              ;   in Loop: Header=BB150_43 Depth=1
	s_or_b64 exec, exec, s[10:11]
	global_load_dwordx4 v[2:5], v[6:7], off offset:1024
	s_waitcnt vmcnt(0)
	v_lshrrev_b32_e32 v44, 16, v2
	v_lshrrev_b32_e32 v43, 16, v3
	;; [unrolled: 1-line block ×4, first 2 shown]
	s_and_saveexec_b64 s[0:1], vcc
	s_cbranch_execz .LBB150_111
; %bb.110:                              ;   in Loop: Header=BB150_43 Depth=1
	v_cmp_gt_i32_e32 vcc, s25, v26
	v_cndmask_b32_e32 v2, 0, v2, vcc
	v_cmp_gt_i32_e32 vcc, s25, v32
	v_cndmask_b32_e32 v44, 0, v44, vcc
	;; [unrolled: 2-line block ×8, first 2 shown]
.LBB150_111:                            ;   in Loop: Header=BB150_43 Depth=1
	s_or_b64 exec, exec, s[0:1]
	v_lshlrev_b32_e32 v2, 16, v2
	v_mul_f32_e32 v2, v34, v2
	v_and_b32_e32 v6, 0x7f800000, v2
	v_cmp_ne_u32_e32 vcc, s13, v6
                                        ; implicit-def: $vgpr6
	s_and_saveexec_b64 s[0:1], vcc
	s_xor_b64 s[0:1], exec, s[0:1]
; %bb.112:                              ;   in Loop: Header=BB150_43 Depth=1
	v_bfe_u32 v6, v2, 16, 1
	v_add3_u32 v6, v2, v6, s14
                                        ; implicit-def: $vgpr2
; %bb.113:                              ;   in Loop: Header=BB150_43 Depth=1
	s_andn2_saveexec_b64 s[0:1], s[0:1]
; %bb.114:                              ;   in Loop: Header=BB150_43 Depth=1
	v_or_b32_e32 v6, 0x10000, v2
	v_cmp_eq_u32_sdwa vcc, v2, v11 src0_sel:WORD_0 src1_sel:DWORD
	v_cndmask_b32_e32 v6, v6, v2, vcc
; %bb.115:                              ;   in Loop: Header=BB150_43 Depth=1
	s_or_b64 exec, exec, s[0:1]
	v_lshlrev_b32_e32 v2, 16, v44
	v_mul_f32_e32 v2, v35, v2
	v_and_b32_e32 v26, 0x7f800000, v2
	v_cmp_ne_u32_e32 vcc, s13, v26
                                        ; implicit-def: $vgpr26
	s_and_saveexec_b64 s[0:1], vcc
	s_xor_b64 s[0:1], exec, s[0:1]
; %bb.116:                              ;   in Loop: Header=BB150_43 Depth=1
	v_bfe_u32 v26, v2, 16, 1
	v_add3_u32 v26, v2, v26, s14
                                        ; implicit-def: $vgpr2
; %bb.117:                              ;   in Loop: Header=BB150_43 Depth=1
	s_andn2_saveexec_b64 s[0:1], s[0:1]
; %bb.118:                              ;   in Loop: Header=BB150_43 Depth=1
	v_or_b32_e32 v26, 0x10000, v2
	v_cmp_eq_u32_sdwa vcc, v2, v11 src0_sel:WORD_0 src1_sel:DWORD
	v_cndmask_b32_e32 v26, v26, v2, vcc
; %bb.119:                              ;   in Loop: Header=BB150_43 Depth=1
	s_or_b64 exec, exec, s[0:1]
	v_lshlrev_b32_e32 v2, 16, v3
	v_mul_f32_e32 v2, v36, v2
	v_and_b32_e32 v3, 0x7f800000, v2
	v_cmp_ne_u32_e32 vcc, s13, v3
                                        ; implicit-def: $vgpr27
	s_and_saveexec_b64 s[0:1], vcc
	s_xor_b64 s[0:1], exec, s[0:1]
; %bb.120:                              ;   in Loop: Header=BB150_43 Depth=1
	v_bfe_u32 v3, v2, 16, 1
	v_add3_u32 v27, v2, v3, s14
                                        ; implicit-def: $vgpr2
; %bb.121:                              ;   in Loop: Header=BB150_43 Depth=1
	s_andn2_saveexec_b64 s[0:1], s[0:1]
; %bb.122:                              ;   in Loop: Header=BB150_43 Depth=1
	v_or_b32_e32 v3, 0x10000, v2
	v_cmp_eq_u32_sdwa vcc, v2, v11 src0_sel:WORD_0 src1_sel:DWORD
	v_cndmask_b32_e32 v27, v3, v2, vcc
; %bb.123:                              ;   in Loop: Header=BB150_43 Depth=1
	s_or_b64 exec, exec, s[0:1]
	v_lshlrev_b32_e32 v2, 16, v43
	v_mul_f32_e32 v2, v37, v2
	v_and_b32_e32 v3, 0x7f800000, v2
	v_cmp_ne_u32_e32 vcc, s13, v3
                                        ; implicit-def: $vgpr28
	s_and_saveexec_b64 s[0:1], vcc
	s_xor_b64 s[0:1], exec, s[0:1]
; %bb.124:                              ;   in Loop: Header=BB150_43 Depth=1
	v_bfe_u32 v3, v2, 16, 1
	v_add3_u32 v28, v2, v3, s14
                                        ; implicit-def: $vgpr2
; %bb.125:                              ;   in Loop: Header=BB150_43 Depth=1
	s_andn2_saveexec_b64 s[0:1], s[0:1]
; %bb.126:                              ;   in Loop: Header=BB150_43 Depth=1
	v_or_b32_e32 v3, 0x10000, v2
	v_cmp_eq_u32_sdwa vcc, v2, v11 src0_sel:WORD_0 src1_sel:DWORD
	v_cndmask_b32_e32 v28, v3, v2, vcc
; %bb.127:                              ;   in Loop: Header=BB150_43 Depth=1
	s_or_b64 exec, exec, s[0:1]
	v_lshlrev_b32_e32 v2, 16, v4
	v_mul_f32_e32 v2, v38, v2
	v_and_b32_e32 v3, 0x7f800000, v2
	v_cmp_ne_u32_e32 vcc, s13, v3
                                        ; implicit-def: $vgpr4
	s_and_saveexec_b64 s[0:1], vcc
	s_xor_b64 s[0:1], exec, s[0:1]
; %bb.128:                              ;   in Loop: Header=BB150_43 Depth=1
	v_bfe_u32 v3, v2, 16, 1
	v_add3_u32 v4, v2, v3, s14
                                        ; implicit-def: $vgpr2
; %bb.129:                              ;   in Loop: Header=BB150_43 Depth=1
	s_andn2_saveexec_b64 s[0:1], s[0:1]
; %bb.130:                              ;   in Loop: Header=BB150_43 Depth=1
	v_or_b32_e32 v3, 0x10000, v2
	v_cmp_eq_u32_sdwa vcc, v2, v11 src0_sel:WORD_0 src1_sel:DWORD
	v_cndmask_b32_e32 v4, v3, v2, vcc
; %bb.131:                              ;   in Loop: Header=BB150_43 Depth=1
	s_or_b64 exec, exec, s[0:1]
	v_lshlrev_b32_e32 v2, 16, v42
	v_mul_f32_e32 v2, v39, v2
	v_and_b32_e32 v3, 0x7f800000, v2
	v_cmp_ne_u32_e32 vcc, s13, v3
                                        ; implicit-def: $vgpr29
	s_and_saveexec_b64 s[0:1], vcc
	s_xor_b64 s[0:1], exec, s[0:1]
; %bb.132:                              ;   in Loop: Header=BB150_43 Depth=1
	v_bfe_u32 v3, v2, 16, 1
	v_add3_u32 v29, v2, v3, s14
                                        ; implicit-def: $vgpr2
; %bb.133:                              ;   in Loop: Header=BB150_43 Depth=1
	s_andn2_saveexec_b64 s[0:1], s[0:1]
; %bb.134:                              ;   in Loop: Header=BB150_43 Depth=1
	v_or_b32_e32 v3, 0x10000, v2
	v_cmp_eq_u32_sdwa vcc, v2, v11 src0_sel:WORD_0 src1_sel:DWORD
	v_cndmask_b32_e32 v29, v3, v2, vcc
; %bb.135:                              ;   in Loop: Header=BB150_43 Depth=1
	s_or_b64 exec, exec, s[0:1]
	v_lshlrev_b32_e32 v2, 16, v5
	v_mul_f32_e32 v2, v40, v2
	v_and_b32_e32 v3, 0x7f800000, v2
	v_cmp_ne_u32_e32 vcc, s13, v3
                                        ; implicit-def: $vgpr5
	s_and_saveexec_b64 s[0:1], vcc
	s_xor_b64 s[0:1], exec, s[0:1]
; %bb.136:                              ;   in Loop: Header=BB150_43 Depth=1
	v_bfe_u32 v3, v2, 16, 1
	v_add3_u32 v5, v2, v3, s14
                                        ; implicit-def: $vgpr2
; %bb.137:                              ;   in Loop: Header=BB150_43 Depth=1
	s_andn2_saveexec_b64 s[0:1], s[0:1]
; %bb.138:                              ;   in Loop: Header=BB150_43 Depth=1
	v_or_b32_e32 v3, 0x10000, v2
	v_cmp_eq_u32_sdwa vcc, v2, v11 src0_sel:WORD_0 src1_sel:DWORD
	v_cndmask_b32_e32 v5, v3, v2, vcc
; %bb.139:                              ;   in Loop: Header=BB150_43 Depth=1
	s_or_b64 exec, exec, s[0:1]
	v_lshlrev_b32_e32 v2, 16, v7
	v_mul_f32_e32 v2, v41, v2
	v_and_b32_e32 v3, 0x7f800000, v2
	v_cmp_ne_u32_e32 vcc, s13, v3
                                        ; implicit-def: $vgpr7
	s_and_saveexec_b64 s[0:1], vcc
	s_xor_b64 s[0:1], exec, s[0:1]
; %bb.140:                              ;   in Loop: Header=BB150_43 Depth=1
	v_bfe_u32 v3, v2, 16, 1
	v_add3_u32 v7, v2, v3, s14
                                        ; implicit-def: $vgpr2
; %bb.141:                              ;   in Loop: Header=BB150_43 Depth=1
	s_andn2_saveexec_b64 s[0:1], s[0:1]
	s_cbranch_execz .LBB150_42
; %bb.142:                              ;   in Loop: Header=BB150_43 Depth=1
	v_or_b32_e32 v3, 0x10000, v2
	v_cmp_eq_u32_sdwa vcc, v2, v11 src0_sel:WORD_0 src1_sel:DWORD
	v_cndmask_b32_e32 v7, v3, v2, vcc
	s_branch .LBB150_42
.LBB150_143:
	s_or_b64 exec, exec, s[6:7]
	v_mov_b32_e32 v3, v15
.LBB150_144:
	s_or_b64 exec, exec, s[4:5]
	v_and_b32_e32 v4, 0x3c0, v0
	v_cmp_eq_u32_e32 vcc, 64, v4
	s_barrier
	s_and_saveexec_b64 s[0:1], vcc
	s_cbranch_execz .LBB150_146
; %bb.145:
	v_mov_b32_e32 v4, 0x110
	v_lshl_add_u32 v1, v1, 2, v4
	v_lshl_add_u32 v5, v0, 2, v4
	ds_write_b32 v1, v2
	ds_write_b32 v5, v3
.LBB150_146:
	s_or_b64 exec, exec, s[0:1]
	v_cmp_gt_u32_e32 vcc, 64, v0
	s_waitcnt lgkmcnt(0)
	s_barrier
	s_and_saveexec_b64 s[0:1], vcc
	s_cbranch_execz .LBB150_148
; %bb.147:
	v_mov_b32_e32 v1, 0x110
	v_lshl_add_u32 v0, v0, 2, v1
	ds_read2st64_b32 v[0:1], v0 offset1:1
	s_waitcnt lgkmcnt(0)
	v_pk_add_f32 v[2:3], v[2:3], v[0:1]
.LBB150_148:
	s_or_b64 exec, exec, s[0:1]
	s_barrier
	s_and_saveexec_b64 s[0:1], vcc
	s_cbranch_execz .LBB150_158
; %bb.149:
	s_mov_b32 s0, 0x7f800000
	v_and_b32_e32 v0, 0x7f800000, v2
	v_cmp_ne_u32_e32 vcc, s0, v0
                                        ; implicit-def: $vgpr4
	s_and_saveexec_b64 s[0:1], vcc
	s_xor_b64 s[0:1], exec, s[0:1]
; %bb.150:
	v_bfe_u32 v0, v2, 16, 1
	s_movk_i32 s3, 0x7fff
	v_add3_u32 v4, v2, v0, s3
; %bb.151:
	s_andn2_saveexec_b64 s[0:1], s[0:1]
; %bb.152:
	v_mov_b32_e32 v0, 0
	v_or_b32_e32 v1, 0x10000, v2
	v_cmp_eq_u32_sdwa vcc, v2, v0 src0_sel:WORD_0 src1_sel:DWORD
	v_cndmask_b32_e32 v4, v1, v2, vcc
; %bb.153:
	s_or_b64 exec, exec, s[0:1]
	s_lshl_b32 s0, s2, 7
	s_ashr_i32 s1, s0, 31
	s_lshl_b64 s[0:1], s[0:1], 1
	s_add_u32 s2, s22, s0
	s_mul_i32 s0, s12, s20
	s_addc_u32 s3, s23, s1
	s_ashr_i32 s1, s0, 31
	s_lshl_b64 s[0:1], s[0:1], 1
	s_add_u32 s2, s2, s0
	s_addc_u32 s3, s3, s1
	s_lshl_b32 s0, s8, 7
	s_ashr_i32 s1, s0, 31
	s_lshl_b64 s[0:1], s[0:1], 1
	s_add_u32 s0, s2, s0
	s_addc_u32 s1, s3, s1
	v_mov_b32_e32 v1, s1
	v_add_co_u32_e32 v0, vcc, s0, v16
	v_addc_co_u32_e32 v1, vcc, 0, v1, vcc
	global_store_short_d16_hi v16, v4, s[0:1]
	s_mov_b32 s0, 0x7f800000
	v_and_b32_e32 v2, 0x7f800000, v3
	v_cmp_ne_u32_e32 vcc, s0, v2
                                        ; implicit-def: $vgpr4
	s_and_saveexec_b64 s[0:1], vcc
	s_xor_b64 s[0:1], exec, s[0:1]
; %bb.154:
	v_bfe_u32 v2, v3, 16, 1
	s_movk_i32 s2, 0x7fff
	v_add3_u32 v4, v3, v2, s2
                                        ; implicit-def: $vgpr2_vgpr3
; %bb.155:
	s_andn2_saveexec_b64 s[0:1], s[0:1]
; %bb.156:
	v_mov_b32_e32 v2, 0
	v_or_b32_e32 v4, 0x10000, v3
	v_cmp_eq_u32_sdwa vcc, v3, v2 src0_sel:WORD_0 src1_sel:DWORD
	v_cndmask_b32_e32 v4, v4, v3, vcc
; %bb.157:
	s_or_b64 exec, exec, s[0:1]
	global_store_short_d16_hi v[0:1], v4, off offset:128
.LBB150_158:
	s_endpgm
	.section	.rodata,"a",@progbits
	.p2align	6, 0x0
	.amdhsa_kernel _ZN4vllm25paged_attention_v2_kernelI14__hip_bfloat16S1_Li128ELi8ELi128ELNS_18Fp8KVCacheDataTypeE0ELb0ELi512EEEvPfS3_PT_PKS4_PKT0_SA_ifPKiSC_iPKfiiiSE_SE_iiiii
		.amdhsa_group_segment_fixed_size 272
		.amdhsa_private_segment_fixed_size 0
		.amdhsa_kernarg_size 400
		.amdhsa_user_sgpr_count 6
		.amdhsa_user_sgpr_private_segment_buffer 1
		.amdhsa_user_sgpr_dispatch_ptr 0
		.amdhsa_user_sgpr_queue_ptr 0
		.amdhsa_user_sgpr_kernarg_segment_ptr 1
		.amdhsa_user_sgpr_dispatch_id 0
		.amdhsa_user_sgpr_flat_scratch_init 0
		.amdhsa_user_sgpr_kernarg_preload_length 0
		.amdhsa_user_sgpr_kernarg_preload_offset 0
		.amdhsa_user_sgpr_private_segment_size 0
		.amdhsa_uses_dynamic_stack 0
		.amdhsa_system_sgpr_private_segment_wavefront_offset 0
		.amdhsa_system_sgpr_workgroup_id_x 1
		.amdhsa_system_sgpr_workgroup_id_y 1
		.amdhsa_system_sgpr_workgroup_id_z 1
		.amdhsa_system_sgpr_workgroup_info 0
		.amdhsa_system_vgpr_workitem_id 0
		.amdhsa_next_free_vgpr 52
		.amdhsa_next_free_sgpr 42
		.amdhsa_accum_offset 52
		.amdhsa_reserve_vcc 1
		.amdhsa_reserve_flat_scratch 0
		.amdhsa_float_round_mode_32 0
		.amdhsa_float_round_mode_16_64 0
		.amdhsa_float_denorm_mode_32 3
		.amdhsa_float_denorm_mode_16_64 3
		.amdhsa_dx10_clamp 1
		.amdhsa_ieee_mode 1
		.amdhsa_fp16_overflow 0
		.amdhsa_tg_split 0
		.amdhsa_exception_fp_ieee_invalid_op 0
		.amdhsa_exception_fp_denorm_src 0
		.amdhsa_exception_fp_ieee_div_zero 0
		.amdhsa_exception_fp_ieee_overflow 0
		.amdhsa_exception_fp_ieee_underflow 0
		.amdhsa_exception_fp_ieee_inexact 0
		.amdhsa_exception_int_div_zero 0
	.end_amdhsa_kernel
	.section	.text._ZN4vllm25paged_attention_v2_kernelI14__hip_bfloat16S1_Li128ELi8ELi128ELNS_18Fp8KVCacheDataTypeE0ELb0ELi512EEEvPfS3_PT_PKS4_PKT0_SA_ifPKiSC_iPKfiiiSE_SE_iiiii,"axG",@progbits,_ZN4vllm25paged_attention_v2_kernelI14__hip_bfloat16S1_Li128ELi8ELi128ELNS_18Fp8KVCacheDataTypeE0ELb0ELi512EEEvPfS3_PT_PKS4_PKT0_SA_ifPKiSC_iPKfiiiSE_SE_iiiii,comdat
.Lfunc_end150:
	.size	_ZN4vllm25paged_attention_v2_kernelI14__hip_bfloat16S1_Li128ELi8ELi128ELNS_18Fp8KVCacheDataTypeE0ELb0ELi512EEEvPfS3_PT_PKS4_PKT0_SA_ifPKiSC_iPKfiiiSE_SE_iiiii, .Lfunc_end150-_ZN4vllm25paged_attention_v2_kernelI14__hip_bfloat16S1_Li128ELi8ELi128ELNS_18Fp8KVCacheDataTypeE0ELb0ELi512EEEvPfS3_PT_PKS4_PKT0_SA_ifPKiSC_iPKfiiiSE_SE_iiiii
                                        ; -- End function
	.section	.AMDGPU.csdata,"",@progbits
; Kernel info:
; codeLenInByte = 6028
; NumSgprs: 46
; NumVgprs: 52
; NumAgprs: 0
; TotalNumVgprs: 52
; ScratchSize: 0
; MemoryBound: 0
; FloatMode: 240
; IeeeMode: 1
; LDSByteSize: 272 bytes/workgroup (compile time only)
; SGPRBlocks: 5
; VGPRBlocks: 6
; NumSGPRsForWavesPerEU: 46
; NumVGPRsForWavesPerEU: 52
; AccumOffset: 52
; Occupancy: 8
; WaveLimiterHint : 1
; COMPUTE_PGM_RSRC2:SCRATCH_EN: 0
; COMPUTE_PGM_RSRC2:USER_SGPR: 6
; COMPUTE_PGM_RSRC2:TRAP_HANDLER: 0
; COMPUTE_PGM_RSRC2:TGID_X_EN: 1
; COMPUTE_PGM_RSRC2:TGID_Y_EN: 1
; COMPUTE_PGM_RSRC2:TGID_Z_EN: 1
; COMPUTE_PGM_RSRC2:TIDIG_COMP_CNT: 0
; COMPUTE_PGM_RSRC3_GFX90A:ACCUM_OFFSET: 12
; COMPUTE_PGM_RSRC3_GFX90A:TG_SPLIT: 0
	.section	.text._ZN4vllm25paged_attention_v2_kernelI14__hip_bfloat16S1_Li192ELi8ELi128ELNS_18Fp8KVCacheDataTypeE0ELb0ELi512EEEvPfS3_PT_PKS4_PKT0_SA_ifPKiSC_iPKfiiiSE_SE_iiiii,"axG",@progbits,_ZN4vllm25paged_attention_v2_kernelI14__hip_bfloat16S1_Li192ELi8ELi128ELNS_18Fp8KVCacheDataTypeE0ELb0ELi512EEEvPfS3_PT_PKS4_PKT0_SA_ifPKiSC_iPKfiiiSE_SE_iiiii,comdat
	.protected	_ZN4vllm25paged_attention_v2_kernelI14__hip_bfloat16S1_Li192ELi8ELi128ELNS_18Fp8KVCacheDataTypeE0ELb0ELi512EEEvPfS3_PT_PKS4_PKT0_SA_ifPKiSC_iPKfiiiSE_SE_iiiii ; -- Begin function _ZN4vllm25paged_attention_v2_kernelI14__hip_bfloat16S1_Li192ELi8ELi128ELNS_18Fp8KVCacheDataTypeE0ELb0ELi512EEEvPfS3_PT_PKS4_PKT0_SA_ifPKiSC_iPKfiiiSE_SE_iiiii
	.globl	_ZN4vllm25paged_attention_v2_kernelI14__hip_bfloat16S1_Li192ELi8ELi128ELNS_18Fp8KVCacheDataTypeE0ELb0ELi512EEEvPfS3_PT_PKS4_PKT0_SA_ifPKiSC_iPKfiiiSE_SE_iiiii
	.p2align	8
	.type	_ZN4vllm25paged_attention_v2_kernelI14__hip_bfloat16S1_Li192ELi8ELi128ELNS_18Fp8KVCacheDataTypeE0ELb0ELi512EEEvPfS3_PT_PKS4_PKT0_SA_ifPKiSC_iPKfiiiSE_SE_iiiii,@function
_ZN4vllm25paged_attention_v2_kernelI14__hip_bfloat16S1_Li192ELi8ELi128ELNS_18Fp8KVCacheDataTypeE0ELb0ELi512EEEvPfS3_PT_PKS4_PKT0_SA_ifPKiSC_iPKfiiiSE_SE_iiiii: ; @_ZN4vllm25paged_attention_v2_kernelI14__hip_bfloat16S1_Li192ELi8ELi128ELNS_18Fp8KVCacheDataTypeE0ELb0ELi512EEEvPfS3_PT_PKS4_PKT0_SA_ifPKiSC_iPKfiiiSE_SE_iiiii
; %bb.0:
	s_load_dwordx2 s[0:1], s[4:5], 0x40
	s_mov_b32 s28, s7
	s_ashr_i32 s29, s7, 31
	s_lshl_b64 s[2:3], s[28:29], 2
	s_waitcnt lgkmcnt(0)
	s_add_u32 s0, s0, s2
	s_addc_u32 s1, s1, s3
	s_load_dword s33, s[0:1], 0x0
	s_lshl_b32 s40, s8, 9
	s_waitcnt lgkmcnt(0)
	s_cmp_ge_i32 s40, s33
	s_cbranch_scc1 .LBB151_197
; %bb.1:
	s_load_dword s9, s[4:5], 0x90
	s_load_dwordx2 s[10:11], s[4:5], 0x30
	s_waitcnt lgkmcnt(0)
	s_abs_i32 s2, s9
	s_abs_i32 s0, s10
	v_cvt_f32_u32_e32 v1, s0
	s_sub_i32 s3, 0, s0
	s_xor_b32 s1, s9, s10
	s_ashr_i32 s1, s1, 31
	v_rcp_iflag_f32_e32 v1, v1
	v_mul_f32_e32 v1, 0x4f7ffffe, v1
	v_cvt_u32_f32_e32 v1, v1
	v_readfirstlane_b32 s7, v1
	s_mul_i32 s3, s3, s7
	s_mul_hi_u32 s3, s7, s3
	s_add_i32 s7, s7, s3
	s_mul_hi_u32 s3, s2, s7
	s_mul_i32 s7, s3, s0
	s_sub_i32 s2, s2, s7
	s_add_i32 s10, s3, 1
	s_sub_i32 s7, s2, s0
	s_cmp_ge_u32 s2, s0
	s_cselect_b32 s3, s10, s3
	s_cselect_b32 s2, s7, s2
	s_add_i32 s7, s3, 1
	s_cmp_ge_u32 s2, s0
	s_cselect_b32 s0, s7, s3
	s_xor_b32 s0, s0, s1
	s_sub_i32 s36, s0, s1
	s_abs_i32 s34, s36
	v_cvt_f32_u32_e32 v1, s34
	s_load_dwordx2 s[0:1], s[4:5], 0x50
	s_sub_i32 s2, 0, s34
	s_abs_i32 s35, s6
	v_rcp_iflag_f32_e32 v1, v1
	s_mov_b32 s10, 0
	v_mul_f32_e32 v1, 0x4f7ffffe, v1
	v_cvt_u32_f32_e32 v1, v1
	v_readfirstlane_b32 s3, v1
	s_mul_i32 s2, s2, s3
	s_mul_hi_u32 s2, s3, s2
	s_add_i32 s2, s3, s2
	s_waitcnt lgkmcnt(0)
	s_cmp_eq_u64 s[0:1], 0
	s_cbranch_scc1 .LBB151_3
; %bb.2:
	s_ashr_i32 s7, s6, 31
	s_lshl_b64 s[12:13], s[6:7], 2
	s_add_u32 s0, s0, s12
	s_addc_u32 s1, s1, s13
	s_load_dword s10, s[0:1], 0x0
.LBB151_3:
	s_load_dwordx4 s[20:23], s[4:5], 0x0
	s_load_dwordx2 s[24:25], s[4:5], 0x10
	s_load_dwordx4 s[12:15], s[4:5], 0x20
	s_load_dwordx2 s[30:31], s[4:5], 0x38
	s_load_dword s29, s[4:5], 0x98
	s_load_dwordx4 s[16:19], s[4:5], 0x58
	v_and_b32_e32 v39, 7, v0
	s_movk_i32 s0, 0xc0
	s_mul_i32 s26, s6, 0xc0
	s_mul_hi_u32 s37, s35, s2
	s_ashr_i32 s27, s26, 31
	v_cmp_gt_u32_e32 vcc, s0, v0
	v_lshlrev_b32_e32 v1, 1, v39
	s_and_saveexec_b64 s[0:1], vcc
	s_cbranch_execz .LBB151_6
; %bb.4:
	s_load_dwordx2 s[2:3], s[4:5], 0x18
	s_waitcnt lgkmcnt(0)
	s_mul_i32 s38, s28, s16
	s_ashr_i32 s39, s38, 31
	s_lshl_b64 s[38:39], s[38:39], 1
	s_lshl_b64 s[42:43], s[26:27], 1
	s_add_u32 s7, s38, s42
	s_addc_u32 s16, s39, s43
	v_lshrrev_b32_e32 v2, 3, v0
	s_add_u32 s2, s2, s7
	v_add_u32_e32 v4, -16, v2
	v_lshlrev_b32_e32 v3, 1, v2
	v_lshl_or_b32 v2, v2, 4, v1
	s_addc_u32 s3, s3, s16
	v_mad_u32_u24 v5, v39, 48, v3
	v_mov_b32_e32 v3, s3
	v_add_co_u32_e32 v2, vcc, s2, v2
	v_addc_co_u32_e32 v3, vcc, 0, v3, vcc
	s_mov_b64 s[2:3], 0
.LBB151_5:                              ; =>This Inner Loop Header: Depth=1
	global_load_ushort v6, v[2:3], off
	v_add_co_u32_e32 v2, vcc, 0x100, v2
	v_add_u32_e32 v4, 16, v4
	v_addc_co_u32_e32 v3, vcc, 0, v3, vcc
	v_cmp_lt_u32_e32 vcc, 7, v4
	s_or_b64 s[2:3], vcc, s[2:3]
	s_waitcnt vmcnt(0)
	ds_write_b16 v5, v6
	v_add_u32_e32 v5, 32, v5
	s_andn2_b64 exec, exec, s[2:3]
	s_cbranch_execnz .LBB151_5
.LBB151_6:
	s_or_b64 exec, exec, s[0:1]
	s_add_i32 s2, s33, 7
	s_ashr_i32 s3, s2, 31
	s_ashr_i32 s0, s6, 31
	;; [unrolled: 1-line block ×3, first 2 shown]
	s_lshr_b32 s3, s3, 29
	s_add_i32 s2, s2, s3
	s_lshl_b32 s27, s8, 6
	s_xor_b32 s0, s0, s1
	s_mul_i32 s1, s37, s34
	s_ashr_i32 s7, s2, 3
	s_add_i32 s2, s27, 64
	s_sub_i32 s1, s35, s1
	s_waitcnt lgkmcnt(0)
	s_min_i32 s16, s2, s7
	s_add_i32 s2, s37, 1
	s_sub_i32 s3, s1, s34
	s_cmp_ge_u32 s1, s34
	s_cselect_b32 s2, s2, s37
	s_cselect_b32 s1, s3, s1
	s_add_i32 s3, s2, 1
	s_cmp_ge_u32 s1, s34
	s_cselect_b32 s1, s3, s2
	s_load_dword s2, s[4:5], 0x48
	v_lshrrev_b32_e32 v4, 6, v0
	s_xor_b32 s1, s1, s0
	v_or_b32_e32 v12, s27, v4
	s_sub_i32 s4, s1, s0
	s_waitcnt lgkmcnt(0)
	s_mul_i32 s34, s28, s2
	s_ashr_i32 s35, s34, 31
	v_cmp_gt_i32_e64 s[0:1], s16, v12
	v_cmp_le_i32_e32 vcc, s16, v12
	v_mbcnt_lo_u32_b32 v2, -1, 0
	s_barrier
	s_waitcnt lgkmcnt(0)
                                        ; implicit-def: $sgpr5
                                        ; implicit-def: $vgpr6
                                        ; implicit-def: $vgpr7
	s_and_saveexec_b64 s[2:3], vcc
	s_xor_b64 s[2:3], exec, s[2:3]
; %bb.7:
	v_mbcnt_hi_u32_b32 v6, -1, v2
	v_and_b32_e32 v1, 64, v6
	v_add_u32_e32 v7, 64, v1
	s_mov_b32 s5, 0xff7fffff
                                        ; implicit-def: $vgpr1
                                        ; implicit-def: $vgpr39
                                        ; implicit-def: $vgpr2
; %bb.8:
	s_or_saveexec_b64 s[36:37], s[2:3]
	v_mov_b32_e32 v35, s5
	s_mul_i32 s18, s4, s18
	v_ashrrev_i32_e32 v13, 31, v12
	v_lshlrev_b32_e32 v5, 3, v4
	s_xor_b64 exec, exec, s[36:37]
	s_cbranch_execz .LBB151_14
; %bb.9:
	s_ashr_i32 s19, s18, 31
	s_lshl_b64 s[2:3], s[18:19], 1
	v_bfe_u32 v3, v0, 3, 3
	s_add_u32 s2, s12, s2
	s_addc_u32 s3, s13, s3
	v_lshlrev_b32_e32 v6, 4, v3
	v_mov_b32_e32 v7, s3
	v_add_co_u32_e32 v6, vcc, s2, v6
	v_addc_co_u32_e32 v7, vcc, 0, v7, vcc
	v_add_co_u32_e32 v1, vcc, v6, v1
	v_mbcnt_hi_u32_b32 v6, -1, v2
	v_and_b32_e32 v2, 64, v6
	v_addc_co_u32_e32 v8, vcc, 0, v7, vcc
	v_add_u32_e32 v7, 64, v2
	v_xor_b32_e32 v2, 4, v6
	v_cmp_lt_i32_e32 vcc, v2, v7
	v_cndmask_b32_e32 v2, v6, v2, vcc
	v_lshlrev_b32_e32 v36, 2, v2
	v_xor_b32_e32 v2, 2, v6
	v_cmp_lt_i32_e32 vcc, v2, v7
	v_cndmask_b32_e32 v2, v6, v2, vcc
	v_mul_u32_u24_e32 v9, 48, v39
	v_lshlrev_b32_e32 v37, 2, v2
	v_xor_b32_e32 v2, 1, v6
	ds_read_b128 v[16:19], v9
	ds_read_b128 v[24:27], v9 offset:16
	ds_read_b128 v[32:35], v9 offset:32
	v_cmp_lt_i32_e32 vcc, v2, v7
	v_cndmask_b32_e32 v2, v6, v2, vcc
	v_lshlrev_b32_e32 v38, 2, v2
	s_sub_i32 s19, 1, s33
	v_lshlrev_b32_e32 v2, 2, v3
	s_lshl_b64 s[4:5], s[34:35], 2
	v_lshl_or_b32 v2, v4, 5, v2
	s_add_u32 s4, s30, s4
	v_cmp_eq_u32_e32 vcc, 0, v39
	v_add3_u32 v39, s40, v5, v3
	v_add_u32_e32 v40, 0x190, v2
	v_lshlrev_b64 v[2:3], 2, v[12:13]
	s_addc_u32 s5, s31, s5
	s_waitcnt lgkmcnt(2)
	v_lshlrev_b32_e32 v9, 16, v16
	v_and_b32_e32 v10, 0xffff0000, v16
	v_lshlrev_b32_e32 v11, 16, v17
	v_and_b32_e32 v14, 0xffff0000, v17
	v_lshlrev_b32_e32 v15, 16, v18
	v_and_b32_e32 v16, 0xffff0000, v18
	v_lshlrev_b32_e32 v17, 16, v19
	v_and_b32_e32 v18, 0xffff0000, v19
	s_waitcnt lgkmcnt(1)
	v_lshlrev_b32_e32 v19, 16, v24
	v_and_b32_e32 v20, 0xffff0000, v24
	v_lshlrev_b32_e32 v21, 16, v25
	v_and_b32_e32 v22, 0xffff0000, v25
	v_lshlrev_b32_e32 v23, 16, v26
	v_and_b32_e32 v24, 0xffff0000, v26
	v_lshlrev_b32_e32 v25, 16, v27
	v_and_b32_e32 v26, 0xffff0000, v27
	;; [unrolled: 9-line block ×3, first 2 shown]
	v_mov_b32_e32 v35, s5
	v_add_co_u32_e64 v2, s[4:5], s4, v2
	s_mov_b32 s41, s17
	v_cmp_neq_f32_e64 s[2:3], s10, 0
	v_addc_co_u32_e64 v3, s[4:5], v35, v3, s[4:5]
	s_mov_b64 s[12:13], 0
	v_mov_b32_e32 v35, 0xff7fffff
	v_mov_b32_e32 v41, v12
	s_branch .LBB151_11
.LBB151_10:                             ;   in Loop: Header=BB151_11 Depth=1
	s_or_b64 exec, exec, s[38:39]
	v_add_u32_e32 v41, 2, v41
	v_cmp_le_i32_e64 s[4:5], s16, v41
	s_or_b64 s[12:13], s[4:5], s[12:13]
	v_add_co_u32_e64 v2, s[4:5], 8, v2
	v_add_u32_e32 v39, 16, v39
	v_add_u32_e32 v40, 64, v40
	v_addc_co_u32_e64 v3, s[4:5], 0, v3, s[4:5]
	s_andn2_b64 exec, exec, s[12:13]
	s_cbranch_execz .LBB151_13
.LBB151_11:                             ; =>This Inner Loop Header: Depth=1
	global_load_dword v42, v[2:3], off
	s_waitcnt vmcnt(0) lgkmcnt(0)
	v_mad_i64_i32 v[42:43], s[4:5], v42, s41, 0
	v_lshlrev_b64 v[42:43], 1, v[42:43]
	v_add_co_u32_e64 v42, s[4:5], v1, v42
	v_addc_co_u32_e64 v43, s[4:5], v8, v43, s[4:5]
	global_load_ushort v44, v[42:43], off
	global_load_ushort v45, v[42:43], off offset:128
	global_load_ushort v46, v[42:43], off offset:256
	;; [unrolled: 1-line block ×22, first 2 shown]
	s_nop 0
	global_load_ushort v42, v[42:43], off offset:2944
	s_waitcnt vmcnt(23)
	v_lshlrev_b32_e32 v43, 16, v44
	s_waitcnt vmcnt(22)
	v_lshlrev_b32_e32 v44, 16, v45
	v_mul_f32_e32 v44, v10, v44
	s_waitcnt vmcnt(21)
	v_lshlrev_b32_e32 v45, 16, v46
	v_fmac_f32_e32 v44, v9, v43
	s_waitcnt vmcnt(20)
	v_lshlrev_b32_e32 v46, 16, v47
	v_fmac_f32_e32 v44, v11, v45
	;; [unrolled: 3-line block ×21, first 2 shown]
	v_fmac_f32_e32 v44, v33, v65
	s_waitcnt vmcnt(0)
	v_lshlrev_b32_e32 v42, 16, v42
	v_fmac_f32_e32 v44, v34, v42
	ds_bpermute_b32 v42, v36, v44
	s_waitcnt lgkmcnt(0)
	v_add_f32_e32 v42, v44, v42
	ds_bpermute_b32 v43, v37, v42
	s_waitcnt lgkmcnt(0)
	v_add_f32_e32 v42, v42, v43
	ds_bpermute_b32 v43, v38, v42
	s_and_saveexec_b64 s[38:39], vcc
	s_cbranch_execz .LBB151_10
; %bb.12:                               ;   in Loop: Header=BB151_11 Depth=1
	v_add_u32_e32 v44, s19, v39
	v_cvt_f32_i32_e32 v44, v44
	s_waitcnt lgkmcnt(0)
	v_add_f32_e32 v42, v42, v43
	v_cmp_gt_i32_e64 s[4:5], s33, v39
	v_max_f32_e32 v43, v35, v35
	v_mul_f32_e32 v44, s10, v44
	v_cndmask_b32_e64 v44, 0, v44, s[2:3]
	v_fmac_f32_e32 v44, s11, v42
	v_cndmask_b32_e64 v42, 0, v44, s[4:5]
	ds_write_b32 v40, v42
	v_max_f32_e32 v42, v43, v44
	v_cndmask_b32_e64 v35, v35, v42, s[4:5]
	s_branch .LBB151_10
.LBB151_13:
	s_or_b64 exec, exec, s[12:13]
.LBB151_14:
	s_or_b64 exec, exec, s[36:37]
	v_xor_b32_e32 v1, 32, v6
	v_cmp_lt_i32_e32 vcc, v1, v7
	v_cndmask_b32_e32 v1, v6, v1, vcc
	v_lshlrev_b32_e32 v3, 2, v1
	ds_bpermute_b32 v1, v3, v35
	v_xor_b32_e32 v8, 16, v6
	v_max_f32_e32 v2, v35, v35
	v_cmp_lt_i32_e32 vcc, v8, v7
	v_xor_b32_e32 v9, 8, v6
	s_waitcnt lgkmcnt(0)
	v_max_f32_e32 v1, v1, v1
	v_max_f32_e32 v1, v2, v1
	v_cndmask_b32_e32 v2, v6, v8, vcc
	v_lshlrev_b32_e32 v10, 2, v2
	ds_bpermute_b32 v2, v10, v1
	v_cmp_lt_i32_e32 vcc, v9, v7
	s_waitcnt lgkmcnt(0)
	v_max_f32_e32 v2, v2, v2
	v_max_f32_e32 v8, v1, v2
	v_cndmask_b32_e32 v1, v6, v9, vcc
	v_lshlrev_b32_e32 v11, 2, v1
	ds_bpermute_b32 v9, v11, v8
	v_and_b32_e32 v1, 63, v0
	v_cmp_eq_u32_e32 vcc, 0, v1
	v_lshlrev_b32_e32 v2, 2, v4
	s_and_saveexec_b64 s[2:3], vcc
	s_cbranch_execz .LBB151_16
; %bb.15:
	s_waitcnt lgkmcnt(0)
	v_max_f32_e32 v9, v9, v9
	v_max_f32_e32 v8, v8, v8
	;; [unrolled: 1-line block ×3, first 2 shown]
	ds_write_b32 v2, v8 offset:384
.LBB151_16:
	s_or_b64 exec, exec, s[2:3]
	v_cmp_gt_u32_e64 s[2:3], 2, v1
	v_mov_b32_e32 v8, 0xff7fffff
	s_waitcnt lgkmcnt(0)
	v_lshlrev_b32_e32 v9, 2, v1
	s_barrier
	s_and_saveexec_b64 s[4:5], s[2:3]
	s_cbranch_execz .LBB151_18
; %bb.17:
	ds_read_b32 v8, v9 offset:384
.LBB151_18:
	s_or_b64 exec, exec, s[4:5]
	v_xor_b32_e32 v14, 1, v6
	v_cmp_lt_i32_e64 s[4:5], v14, v7
	v_cndmask_b32_e64 v14, v6, v14, s[4:5]
	v_lshlrev_b32_e32 v14, 2, v14
	s_waitcnt lgkmcnt(0)
	ds_bpermute_b32 v15, v14, v8
	v_max_f32_e32 v8, v8, v8
	s_sub_i32 s4, s16, s27
	s_lshl_b32 s4, s4, 3
	s_add_i32 s4, s4, s40
	s_waitcnt lgkmcnt(0)
	v_max_f32_e32 v15, v15, v15
	v_max_f32_e32 v8, v8, v15
	v_lshlrev_b32_e32 v15, 2, v6
	v_and_b32_e32 v15, 0xffffff00, v15
	ds_bpermute_b32 v8, v15, v8
	s_min_i32 s27, s4, s33
	s_sub_i32 s19, s27, s40
	v_cmp_gt_i32_e64 s[4:5], s19, v0
	v_mov_b32_e32 v16, 0
	s_and_saveexec_b64 s[12:13], s[4:5]
	s_cbranch_execz .LBB151_22
; %bb.19:
	v_mov_b32_e32 v16, 0x190
	v_lshl_add_u32 v17, v0, 2, v16
	s_mov_b64 s[36:37], 0
	v_mov_b32_e32 v16, 0
	v_mov_b32_e32 v18, v0
.LBB151_20:                             ; =>This Inner Loop Header: Depth=1
	ds_read_b32 v19, v17
	v_add_u32_e32 v18, 0x80, v18
	v_cmp_le_i32_e64 s[10:11], s19, v18
	s_or_b64 s[36:37], s[10:11], s[36:37]
	s_waitcnt lgkmcnt(0)
	v_sub_f32_e32 v19, v19, v8
	v_mul_f32_e32 v19, 0x3fb8aa3b, v19
	v_exp_f32_e32 v19, v19
	ds_write_b32 v17, v19
	v_add_f32_e32 v16, v16, v19
	v_add_u32_e32 v17, 0x200, v17
	s_andn2_b64 exec, exec, s[36:37]
	s_cbranch_execnz .LBB151_20
; %bb.21:
	s_or_b64 exec, exec, s[36:37]
.LBB151_22:
	s_or_b64 exec, exec, s[12:13]
	ds_bpermute_b32 v3, v3, v16
	s_waitcnt lgkmcnt(0)
	v_add_f32_e32 v3, v16, v3
	ds_bpermute_b32 v10, v10, v3
	s_waitcnt lgkmcnt(0)
	v_add_f32_e32 v3, v3, v10
	ds_bpermute_b32 v10, v11, v3
	v_xor_b32_e32 v11, 4, v6
	v_cmp_lt_i32_e64 s[10:11], v11, v7
	v_cndmask_b32_e64 v11, v6, v11, s[10:11]
	v_lshlrev_b32_e32 v11, 2, v11
	s_waitcnt lgkmcnt(0)
	v_add_f32_e32 v3, v3, v10
	ds_bpermute_b32 v10, v11, v3
	v_xor_b32_e32 v11, 2, v6
	v_cmp_lt_i32_e64 s[10:11], v11, v7
	v_cndmask_b32_e64 v6, v6, v11, s[10:11]
	v_lshlrev_b32_e32 v6, 2, v6
	s_waitcnt lgkmcnt(0)
	v_add_f32_e32 v3, v3, v10
	ds_bpermute_b32 v6, v6, v3
	s_waitcnt lgkmcnt(0)
	v_add_f32_e32 v3, v3, v6
	ds_bpermute_b32 v6, v14, v3
	s_waitcnt lgkmcnt(0)
	v_add_f32_e32 v3, v3, v6
	s_and_saveexec_b64 s[10:11], vcc
	s_cbranch_execz .LBB151_24
; %bb.23:
	ds_write_b32 v2, v3 offset:392
.LBB151_24:
	s_or_b64 exec, exec, s[10:11]
	s_waitcnt lgkmcnt(0)
	s_barrier
	s_and_saveexec_b64 s[10:11], s[2:3]
	s_cbranch_execz .LBB151_26
; %bb.25:
	ds_read_b32 v3, v9 offset:392
.LBB151_26:
	s_or_b64 exec, exec, s[10:11]
	s_waitcnt lgkmcnt(0)
	ds_bpermute_b32 v2, v14, v3
	s_waitcnt lgkmcnt(0)
	v_add_f32_e32 v2, v3, v2
	ds_bpermute_b32 v6, v15, v2
	s_and_saveexec_b64 s[2:3], s[4:5]
	s_cbranch_execz .LBB151_39
; %bb.27:
	s_waitcnt lgkmcnt(0)
	v_add_f32_e32 v2, 0x358637bd, v6
	v_div_scale_f32 v3, s[4:5], v2, v2, 1.0
	v_rcp_f32_e32 v7, v3
	v_div_scale_f32 v9, vcc, 1.0, v2, 1.0
	s_movk_i32 s4, 0x7f
	v_fma_f32 v10, -v3, v7, 1.0
	v_fmac_f32_e32 v7, v10, v7
	v_mul_f32_e32 v10, v9, v7
	v_fma_f32 v11, -v3, v10, v9
	v_fmac_f32_e32 v10, v11, v7
	v_fma_f32 v3, -v3, v10, v9
	v_div_fmas_f32 v3, v3, v7, v10
	v_div_fixup_f32 v2, v3, v2, 1.0
	v_xad_u32 v3, v0, -1, s27
	v_subrev_u32_e32 v7, s40, v3
	v_cmp_lt_u32_e32 vcc, s4, v7
	s_mov_b64 s[10:11], -1
	v_mov_b32_e32 v3, v0
	s_and_saveexec_b64 s[4:5], vcc
	s_cbranch_execz .LBB151_36
; %bb.28:
	v_lshrrev_b32_e32 v7, 7, v7
	v_add_u32_e32 v10, -1, v7
	v_lshrrev_b32_e32 v9, 1, v10
	v_mov_b32_e32 v3, v2
	v_add_u32_e32 v9, 1, v9
	v_cmp_lt_u32_e32 vcc, 13, v10
	v_mov_b32_e32 v14, 0
	s_and_saveexec_b64 s[10:11], vcc
	s_cbranch_execz .LBB151_32
; %bb.29:
	v_mov_b32_e32 v11, 0x190
	v_and_b32_e32 v10, -8, v9
	v_lshl_add_u32 v11, v0, 2, v11
	s_mov_b32 s27, 0
	s_mov_b64 s[12:13], 0
.LBB151_30:                             ; =>This Inner Loop Header: Depth=1
	ds_read2st64_b32 v[14:15], v11 offset1:2
	ds_read2st64_b32 v[16:17], v11 offset0:4 offset1:6
	ds_read2st64_b32 v[18:19], v11 offset0:8 offset1:10
	;; [unrolled: 1-line block ×3, first 2 shown]
	v_add_u32_e32 v10, -8, v10
	s_waitcnt lgkmcnt(3)
	v_pk_mul_f32 v[14:15], v[2:3], v[14:15]
	s_waitcnt lgkmcnt(2)
	v_pk_mul_f32 v[16:17], v[2:3], v[16:17]
	ds_write2st64_b32 v11, v14, v15 offset1:2
	ds_write2st64_b32 v11, v16, v17 offset0:4 offset1:6
	ds_read2st64_b32 v[16:17], v11 offset0:16 offset1:18
	s_waitcnt lgkmcnt(4)
	v_pk_mul_f32 v[14:15], v[2:3], v[18:19]
	ds_write2st64_b32 v11, v14, v15 offset0:8 offset1:10
	s_waitcnt lgkmcnt(4)
	v_pk_mul_f32 v[14:15], v[2:3], v[20:21]
	ds_write2st64_b32 v11, v14, v15 offset0:12 offset1:14
	ds_read2st64_b32 v[14:15], v11 offset0:20 offset1:22
	s_waitcnt lgkmcnt(3)
	v_pk_mul_f32 v[16:17], v[2:3], v[16:17]
	ds_read2st64_b32 v[18:19], v11 offset0:24 offset1:26
	ds_write2st64_b32 v11, v16, v17 offset0:16 offset1:18
	ds_read2st64_b32 v[16:17], v11 offset0:28 offset1:30
	s_waitcnt lgkmcnt(3)
	v_pk_mul_f32 v[14:15], v[2:3], v[14:15]
	ds_write2st64_b32 v11, v14, v15 offset0:20 offset1:22
	s_waitcnt lgkmcnt(3)
	v_pk_mul_f32 v[14:15], v[2:3], v[18:19]
	ds_write2st64_b32 v11, v14, v15 offset0:24 offset1:26
	s_waitcnt lgkmcnt(2)
	v_pk_mul_f32 v[14:15], v[2:3], v[16:17]
	s_add_i32 s27, s27, 16
	v_cmp_eq_u32_e32 vcc, 0, v10
	ds_write2st64_b32 v11, v14, v15 offset0:28 offset1:30
	v_add_u32_e32 v11, 0x2000, v11
	s_or_b64 s[12:13], vcc, s[12:13]
	v_mov_b32_e32 v14, s27
	s_andn2_b64 exec, exec, s[12:13]
	s_cbranch_execnz .LBB151_30
; %bb.31:
	s_or_b64 exec, exec, s[12:13]
.LBB151_32:
	s_or_b64 exec, exec, s[10:11]
	v_and_b32_e32 v9, 7, v9
	v_cmp_ne_u32_e32 vcc, 0, v9
	s_and_saveexec_b64 s[10:11], vcc
	s_cbranch_execz .LBB151_35
; %bb.33:
	v_lshlrev_b32_e32 v10, 9, v14
	v_lshlrev_b32_e32 v11, 2, v0
	s_movk_i32 s12, 0x190
	v_add3_u32 v10, v10, v11, s12
	s_mov_b64 s[12:13], 0
.LBB151_34:                             ; =>This Inner Loop Header: Depth=1
	ds_read2st64_b32 v[14:15], v10 offset1:2
	v_add_u32_e32 v9, -1, v9
	v_cmp_eq_u32_e32 vcc, 0, v9
	s_or_b64 s[12:13], vcc, s[12:13]
	s_waitcnt lgkmcnt(0)
	v_pk_mul_f32 v[14:15], v[2:3], v[14:15]
	ds_write2st64_b32 v10, v14, v15 offset1:2
	v_add_u32_e32 v10, 0x400, v10
	s_andn2_b64 exec, exec, s[12:13]
	s_cbranch_execnz .LBB151_34
.LBB151_35:
	s_or_b64 exec, exec, s[10:11]
	v_add_u32_e32 v7, 1, v7
	v_and_b32_e32 v9, 0x3fffffe, v7
	v_cmp_ne_u32_e32 vcc, v7, v9
	v_lshl_add_u32 v3, v9, 7, v0
	s_orn2_b64 s[10:11], vcc, exec
.LBB151_36:
	s_or_b64 exec, exec, s[4:5]
	s_and_b64 exec, exec, s[10:11]
	s_cbranch_execz .LBB151_39
; %bb.37:
	v_mov_b32_e32 v7, 0x190
	v_lshl_add_u32 v7, v3, 2, v7
	s_mov_b64 s[4:5], 0
.LBB151_38:                             ; =>This Inner Loop Header: Depth=1
	ds_read_b32 v9, v7
	v_add_u32_e32 v3, 0x80, v3
	v_cmp_le_i32_e32 vcc, s19, v3
	s_or_b64 s[4:5], vcc, s[4:5]
	s_waitcnt lgkmcnt(0)
	v_mul_f32_e32 v9, v2, v9
	ds_write_b32 v7, v9
	v_add_u32_e32 v7, 0x200, v7
	s_andn2_b64 exec, exec, s[4:5]
	s_cbranch_execnz .LBB151_38
.LBB151_39:
	s_or_b64 exec, exec, s[2:3]
	s_mul_i32 s2, s29, s28
	v_cmp_eq_u32_e32 vcc, 0, v0
	s_mul_i32 s2, s2, s9
	s_waitcnt lgkmcnt(0)
	s_barrier
	s_and_saveexec_b64 s[4:5], vcc
	s_cbranch_execz .LBB151_41
; %bb.40:
	s_ashr_i32 s3, s2, 31
	s_lshl_b64 s[10:11], s[2:3], 2
	s_add_u32 s3, s22, s10
	s_mul_i32 s12, s29, s6
	s_addc_u32 s9, s23, s11
	s_ashr_i32 s13, s12, 31
	s_lshl_b64 s[12:13], s[12:13], 2
	s_add_u32 s3, s3, s12
	s_addc_u32 s6, s9, s13
	s_ashr_i32 s9, s8, 31
	s_lshl_b64 s[22:23], s[8:9], 2
	s_add_u32 s36, s3, s22
	s_addc_u32 s37, s6, s23
	s_add_u32 s3, s20, s10
	s_addc_u32 s6, s21, s11
	s_add_u32 s3, s3, s12
	s_addc_u32 s6, s6, s13
	s_add_u32 s10, s3, s22
	v_mov_b32_e32 v2, 0
	s_addc_u32 s11, s6, s23
	global_store_dword v2, v8, s[36:37]
	global_store_dword v2, v6, s[10:11]
.LBB151_41:
	s_or_b64 exec, exec, s[4:5]
	v_mov_b32_e32 v10, 0
	v_mov_b32_e32 v15, v10
	;; [unrolled: 1-line block ×3, first 2 shown]
	s_and_saveexec_b64 s[4:5], s[0:1]
	s_cbranch_execz .LBB151_179
; %bb.42:
	s_ashr_i32 s19, s18, 31
	s_lshl_b64 s[0:1], s[18:19], 1
	s_add_u32 s0, s14, s0
	s_addc_u32 s1, s15, s1
	v_lshlrev_b32_e32 v2, 4, v1
	s_add_i32 s9, s7, -1
	v_mov_b32_e32 v3, s1
	v_add_co_u32_e32 v11, vcc, s0, v2
	s_lshl_b64 s[0:1], s[34:35], 2
	v_mov_b32_e32 v2, 0x190
	s_add_u32 s0, s30, s0
	v_addc_co_u32_e32 v18, vcc, 0, v3, vcc
	v_lshl_add_u32 v20, v4, 5, v2
	v_lshlrev_b64 v[2:3], 2, v[12:13]
	s_addc_u32 s1, s31, s1
	v_mov_b32_e32 v4, s1
	v_add_co_u32_e32 v16, vcc, s0, v2
	s_mov_b32 s3, s17
	v_add3_u32 v19, s40, v5, 7
	v_addc_co_u32_e32 v17, vcc, v4, v3, vcc
	s_mov_b64 s[6:7], 0
	v_mov_b32_e32 v13, 0
	s_mov_b32 s12, 0x7f800000
	s_movk_i32 s13, 0x7fff
	v_mov_b32_e32 v14, 0
	v_mov_b32_e32 v15, 0
	;; [unrolled: 1-line block ×3, first 2 shown]
	s_branch .LBB151_44
.LBB151_43:                             ;   in Loop: Header=BB151_44 Depth=1
	s_or_b64 exec, exec, s[0:1]
	v_and_b32_e32 v28, 0xffff0000, v24
	v_and_b32_e32 v24, 0xffff0000, v23
	;; [unrolled: 1-line block ×8, first 2 shown]
	v_pk_add_f32 v[8:9], v[8:9], v[22:23]
	v_pk_add_f32 v[22:23], v[24:25], v[28:29]
	v_add_f32_e32 v8, v8, v9
	v_add_f32_e32 v8, v8, v22
	;; [unrolled: 1-line block ×3, first 2 shown]
	v_and_b32_e32 v25, 0xffff0000, v45
	v_and_b32_e32 v24, 0xffff0000, v43
	;; [unrolled: 1-line block ×4, first 2 shown]
	v_add_f32_e32 v14, v14, v8
	v_and_b32_e32 v9, 0xffff0000, v49
	v_and_b32_e32 v8, 0xffff0000, v47
	;; [unrolled: 1-line block ×4, first 2 shown]
	v_pk_add_f32 v[24:25], v[28:29], v[24:25]
	v_pk_add_f32 v[8:9], v[22:23], v[8:9]
	v_add_f32_e32 v21, v24, v25
	v_add_f32_e32 v8, v21, v8
	;; [unrolled: 1-line block ×3, first 2 shown]
	v_and_b32_e32 v23, 0xffff0000, v26
	v_and_b32_e32 v22, 0xffff0000, v7
	v_and_b32_e32 v3, 0xffff0000, v3
	v_and_b32_e32 v2, 0xffff0000, v2
	v_add_f32_e32 v15, v15, v8
	v_and_b32_e32 v9, 0xffff0000, v6
	v_and_b32_e32 v8, 0xffff0000, v27
	;; [unrolled: 1-line block ×4, first 2 shown]
	v_pk_add_f32 v[2:3], v[2:3], v[22:23]
	v_pk_add_f32 v[4:5], v[4:5], v[8:9]
	v_add_f32_e32 v2, v2, v3
	v_add_u32_e32 v12, 2, v12
	v_add_f32_e32 v2, v2, v4
	v_cmp_le_i32_e32 vcc, s16, v12
	v_add_f32_e32 v2, v2, v5
	s_or_b64 s[6:7], vcc, s[6:7]
	v_add_co_u32_e32 v16, vcc, 8, v16
	v_add_f32_e32 v10, v10, v2
	v_add_u32_e32 v19, 16, v19
	v_add_u32_e32 v20, 64, v20
	v_addc_co_u32_e32 v17, vcc, 0, v17, vcc
	s_andn2_b64 exec, exec, s[6:7]
	s_cbranch_execz .LBB151_178
.LBB151_44:                             ; =>This Inner Loop Header: Depth=1
	global_load_dword v26, v[16:17], off
	ds_read2_b64 v[6:9], v20 offset1:1
	ds_read2_b64 v[2:5], v20 offset0:2 offset1:3
                                        ; implicit-def: $vgpr34
	s_waitcnt lgkmcnt(1)
	v_and_b32_e32 v21, 0x7f800000, v6
	v_cmp_ne_u32_e32 vcc, s12, v21
	s_and_saveexec_b64 s[0:1], vcc
	s_xor_b64 s[0:1], exec, s[0:1]
; %bb.45:                               ;   in Loop: Header=BB151_44 Depth=1
	v_bfe_u32 v21, v6, 16, 1
	v_add3_u32 v34, v6, v21, s13
; %bb.46:                               ;   in Loop: Header=BB151_44 Depth=1
	s_andn2_saveexec_b64 s[0:1], s[0:1]
; %bb.47:                               ;   in Loop: Header=BB151_44 Depth=1
	v_or_b32_e32 v21, 0x10000, v6
	v_cmp_eq_u32_sdwa vcc, v6, v13 src0_sel:WORD_0 src1_sel:DWORD
	v_cndmask_b32_e32 v34, v21, v6, vcc
; %bb.48:                               ;   in Loop: Header=BB151_44 Depth=1
	s_or_b64 exec, exec, s[0:1]
	v_and_b32_e32 v6, 0x7f800000, v7
	v_cmp_ne_u32_e32 vcc, s12, v6
                                        ; implicit-def: $vgpr35
	s_and_saveexec_b64 s[0:1], vcc
	s_xor_b64 s[0:1], exec, s[0:1]
; %bb.49:                               ;   in Loop: Header=BB151_44 Depth=1
	v_bfe_u32 v6, v7, 16, 1
	v_add3_u32 v35, v7, v6, s13
; %bb.50:                               ;   in Loop: Header=BB151_44 Depth=1
	s_andn2_saveexec_b64 s[0:1], s[0:1]
; %bb.51:                               ;   in Loop: Header=BB151_44 Depth=1
	v_or_b32_e32 v6, 0x10000, v7
	v_cmp_eq_u32_sdwa vcc, v7, v13 src0_sel:WORD_0 src1_sel:DWORD
	v_cndmask_b32_e32 v35, v6, v7, vcc
; %bb.52:                               ;   in Loop: Header=BB151_44 Depth=1
	s_or_b64 exec, exec, s[0:1]
	v_and_b32_e32 v6, 0x7f800000, v8
	v_cmp_ne_u32_e32 vcc, s12, v6
                                        ; implicit-def: $vgpr21
	s_and_saveexec_b64 s[0:1], vcc
	s_xor_b64 s[0:1], exec, s[0:1]
; %bb.53:                               ;   in Loop: Header=BB151_44 Depth=1
	v_bfe_u32 v6, v8, 16, 1
	v_add3_u32 v21, v8, v6, s13
; %bb.54:                               ;   in Loop: Header=BB151_44 Depth=1
	s_andn2_saveexec_b64 s[0:1], s[0:1]
; %bb.55:                               ;   in Loop: Header=BB151_44 Depth=1
	v_or_b32_e32 v6, 0x10000, v8
	v_cmp_eq_u32_sdwa vcc, v8, v13 src0_sel:WORD_0 src1_sel:DWORD
	v_cndmask_b32_e32 v21, v6, v8, vcc
; %bb.56:                               ;   in Loop: Header=BB151_44 Depth=1
	s_or_b64 exec, exec, s[0:1]
	v_and_b32_e32 v6, 0x7f800000, v9
	v_cmp_ne_u32_e32 vcc, s12, v6
                                        ; implicit-def: $vgpr22
	s_and_saveexec_b64 s[0:1], vcc
	s_xor_b64 s[0:1], exec, s[0:1]
; %bb.57:                               ;   in Loop: Header=BB151_44 Depth=1
	v_bfe_u32 v6, v9, 16, 1
	v_add3_u32 v22, v9, v6, s13
                                        ; implicit-def: $vgpr6_vgpr7_vgpr8_vgpr9
; %bb.58:                               ;   in Loop: Header=BB151_44 Depth=1
	s_andn2_saveexec_b64 s[0:1], s[0:1]
; %bb.59:                               ;   in Loop: Header=BB151_44 Depth=1
	v_or_b32_e32 v6, 0x10000, v9
	v_cmp_eq_u32_sdwa vcc, v9, v13 src0_sel:WORD_0 src1_sel:DWORD
	v_cndmask_b32_e32 v22, v6, v9, vcc
; %bb.60:                               ;   in Loop: Header=BB151_44 Depth=1
	s_or_b64 exec, exec, s[0:1]
	s_waitcnt lgkmcnt(0)
	v_and_b32_e32 v6, 0x7f800000, v2
	v_cmp_ne_u32_e32 vcc, s12, v6
                                        ; implicit-def: $vgpr23
	s_and_saveexec_b64 s[0:1], vcc
	s_xor_b64 s[0:1], exec, s[0:1]
; %bb.61:                               ;   in Loop: Header=BB151_44 Depth=1
	v_bfe_u32 v6, v2, 16, 1
	v_add3_u32 v23, v2, v6, s13
; %bb.62:                               ;   in Loop: Header=BB151_44 Depth=1
	s_andn2_saveexec_b64 s[0:1], s[0:1]
; %bb.63:                               ;   in Loop: Header=BB151_44 Depth=1
	v_or_b32_e32 v6, 0x10000, v2
	v_cmp_eq_u32_sdwa vcc, v2, v13 src0_sel:WORD_0 src1_sel:DWORD
	v_cndmask_b32_e32 v23, v6, v2, vcc
; %bb.64:                               ;   in Loop: Header=BB151_44 Depth=1
	s_or_b64 exec, exec, s[0:1]
	v_and_b32_e32 v2, 0x7f800000, v3
	v_cmp_ne_u32_e32 vcc, s12, v2
                                        ; implicit-def: $vgpr24
	s_and_saveexec_b64 s[0:1], vcc
	s_xor_b64 s[0:1], exec, s[0:1]
; %bb.65:                               ;   in Loop: Header=BB151_44 Depth=1
	v_bfe_u32 v2, v3, 16, 1
	v_add3_u32 v24, v3, v2, s13
; %bb.66:                               ;   in Loop: Header=BB151_44 Depth=1
	s_andn2_saveexec_b64 s[0:1], s[0:1]
; %bb.67:                               ;   in Loop: Header=BB151_44 Depth=1
	v_or_b32_e32 v2, 0x10000, v3
	v_cmp_eq_u32_sdwa vcc, v3, v13 src0_sel:WORD_0 src1_sel:DWORD
	v_cndmask_b32_e32 v24, v2, v3, vcc
; %bb.68:                               ;   in Loop: Header=BB151_44 Depth=1
	s_or_b64 exec, exec, s[0:1]
	v_and_b32_e32 v2, 0x7f800000, v4
	v_cmp_ne_u32_e32 vcc, s12, v2
                                        ; implicit-def: $vgpr25
	s_and_saveexec_b64 s[0:1], vcc
	s_xor_b64 s[0:1], exec, s[0:1]
; %bb.69:                               ;   in Loop: Header=BB151_44 Depth=1
	v_bfe_u32 v2, v4, 16, 1
	v_add3_u32 v25, v4, v2, s13
; %bb.70:                               ;   in Loop: Header=BB151_44 Depth=1
	s_andn2_saveexec_b64 s[0:1], s[0:1]
; %bb.71:                               ;   in Loop: Header=BB151_44 Depth=1
	v_or_b32_e32 v2, 0x10000, v4
	v_cmp_eq_u32_sdwa vcc, v4, v13 src0_sel:WORD_0 src1_sel:DWORD
	v_cndmask_b32_e32 v25, v2, v4, vcc
; %bb.72:                               ;   in Loop: Header=BB151_44 Depth=1
	s_or_b64 exec, exec, s[0:1]
	v_and_b32_e32 v2, 0x7f800000, v5
	v_cmp_ne_u32_e32 vcc, s12, v2
                                        ; implicit-def: $vgpr33
	s_and_saveexec_b64 s[0:1], vcc
	s_xor_b64 s[0:1], exec, s[0:1]
; %bb.73:                               ;   in Loop: Header=BB151_44 Depth=1
	v_bfe_u32 v2, v5, 16, 1
	v_add3_u32 v33, v5, v2, s13
                                        ; implicit-def: $vgpr2_vgpr3_vgpr4_vgpr5
; %bb.74:                               ;   in Loop: Header=BB151_44 Depth=1
	s_andn2_saveexec_b64 s[0:1], s[0:1]
; %bb.75:                               ;   in Loop: Header=BB151_44 Depth=1
	v_or_b32_e32 v2, 0x10000, v5
	v_cmp_eq_u32_sdwa vcc, v5, v13 src0_sel:WORD_0 src1_sel:DWORD
	v_cndmask_b32_e32 v33, v2, v5, vcc
; %bb.76:                               ;   in Loop: Header=BB151_44 Depth=1
	s_or_b64 exec, exec, s[0:1]
	s_waitcnt vmcnt(0)
	v_mad_i64_i32 v[2:3], s[0:1], v26, s3, 0
	v_lshlrev_b64 v[2:3], 1, v[2:3]
	v_add_co_u32_e32 v6, vcc, v11, v2
	v_addc_co_u32_e32 v7, vcc, v18, v3, vcc
	global_load_dwordx4 v[2:5], v[6:7], off
	v_add_u32_e32 v26, -7, v19
	v_cmp_eq_u32_e32 vcc, s9, v12
	v_add_u32_e32 v32, -6, v19
	v_add_u32_e32 v30, -5, v19
	;; [unrolled: 1-line block ×6, first 2 shown]
	s_waitcnt vmcnt(0)
	v_lshrrev_b32_e32 v9, 16, v2
	v_lshrrev_b32_e32 v38, 16, v3
	;; [unrolled: 1-line block ×4, first 2 shown]
	s_and_saveexec_b64 s[10:11], vcc
	s_cbranch_execz .LBB151_78
; %bb.77:                               ;   in Loop: Header=BB151_44 Depth=1
	v_cmp_gt_i32_e64 s[0:1], s33, v26
	v_cndmask_b32_e64 v2, 0, v2, s[0:1]
	v_cmp_gt_i32_e64 s[0:1], s33, v32
	v_cndmask_b32_e64 v9, 0, v9, s[0:1]
	;; [unrolled: 2-line block ×8, first 2 shown]
.LBB151_78:                             ;   in Loop: Header=BB151_44 Depth=1
	s_or_b64 exec, exec, s[10:11]
	v_and_b32_e32 v34, 0xffff0000, v34
	v_lshlrev_b32_e32 v2, 16, v2
	v_mul_f32_e32 v2, v34, v2
	v_and_b32_e32 v8, 0x7f800000, v2
	v_cmp_ne_u32_e64 s[0:1], s12, v8
                                        ; implicit-def: $vgpr8
	s_and_saveexec_b64 s[10:11], s[0:1]
	s_xor_b64 s[0:1], exec, s[10:11]
; %bb.79:                               ;   in Loop: Header=BB151_44 Depth=1
	v_bfe_u32 v8, v2, 16, 1
	v_add3_u32 v8, v2, v8, s13
                                        ; implicit-def: $vgpr2
; %bb.80:                               ;   in Loop: Header=BB151_44 Depth=1
	s_andn2_saveexec_b64 s[10:11], s[0:1]
; %bb.81:                               ;   in Loop: Header=BB151_44 Depth=1
	v_or_b32_e32 v8, 0x10000, v2
	v_cmp_eq_u32_sdwa s[0:1], v2, v13 src0_sel:WORD_0 src1_sel:DWORD
	v_cndmask_b32_e64 v8, v8, v2, s[0:1]
; %bb.82:                               ;   in Loop: Header=BB151_44 Depth=1
	s_or_b64 exec, exec, s[10:11]
	v_and_b32_e32 v35, 0xffff0000, v35
	v_lshlrev_b32_e32 v2, 16, v9
	v_mul_f32_e32 v2, v35, v2
	v_and_b32_e32 v9, 0x7f800000, v2
	v_cmp_ne_u32_e64 s[0:1], s12, v9
                                        ; implicit-def: $vgpr9
	s_and_saveexec_b64 s[10:11], s[0:1]
	s_xor_b64 s[0:1], exec, s[10:11]
; %bb.83:                               ;   in Loop: Header=BB151_44 Depth=1
	v_bfe_u32 v9, v2, 16, 1
	v_add3_u32 v9, v2, v9, s13
                                        ; implicit-def: $vgpr2
; %bb.84:                               ;   in Loop: Header=BB151_44 Depth=1
	s_andn2_saveexec_b64 s[10:11], s[0:1]
; %bb.85:                               ;   in Loop: Header=BB151_44 Depth=1
	v_or_b32_e32 v9, 0x10000, v2
	v_cmp_eq_u32_sdwa s[0:1], v2, v13 src0_sel:WORD_0 src1_sel:DWORD
	v_cndmask_b32_e64 v9, v9, v2, s[0:1]
; %bb.86:                               ;   in Loop: Header=BB151_44 Depth=1
	s_or_b64 exec, exec, s[10:11]
	v_and_b32_e32 v36, 0xffff0000, v21
	v_lshlrev_b32_e32 v2, 16, v3
	v_mul_f32_e32 v2, v36, v2
	v_and_b32_e32 v3, 0x7f800000, v2
	v_cmp_ne_u32_e64 s[0:1], s12, v3
                                        ; implicit-def: $vgpr21
	s_and_saveexec_b64 s[10:11], s[0:1]
	s_xor_b64 s[0:1], exec, s[10:11]
; %bb.87:                               ;   in Loop: Header=BB151_44 Depth=1
	v_bfe_u32 v3, v2, 16, 1
	v_add3_u32 v21, v2, v3, s13
                                        ; implicit-def: $vgpr2
; %bb.88:                               ;   in Loop: Header=BB151_44 Depth=1
	s_andn2_saveexec_b64 s[10:11], s[0:1]
; %bb.89:                               ;   in Loop: Header=BB151_44 Depth=1
	v_or_b32_e32 v3, 0x10000, v2
	v_cmp_eq_u32_sdwa s[0:1], v2, v13 src0_sel:WORD_0 src1_sel:DWORD
	v_cndmask_b32_e64 v21, v3, v2, s[0:1]
; %bb.90:                               ;   in Loop: Header=BB151_44 Depth=1
	s_or_b64 exec, exec, s[10:11]
	v_and_b32_e32 v37, 0xffff0000, v22
	v_lshlrev_b32_e32 v2, 16, v38
	v_mul_f32_e32 v2, v37, v2
	v_and_b32_e32 v3, 0x7f800000, v2
	v_cmp_ne_u32_e64 s[0:1], s12, v3
                                        ; implicit-def: $vgpr22
	s_and_saveexec_b64 s[10:11], s[0:1]
	s_xor_b64 s[0:1], exec, s[10:11]
; %bb.91:                               ;   in Loop: Header=BB151_44 Depth=1
	v_bfe_u32 v3, v2, 16, 1
	v_add3_u32 v22, v2, v3, s13
                                        ; implicit-def: $vgpr2
; %bb.92:                               ;   in Loop: Header=BB151_44 Depth=1
	s_andn2_saveexec_b64 s[10:11], s[0:1]
; %bb.93:                               ;   in Loop: Header=BB151_44 Depth=1
	v_or_b32_e32 v3, 0x10000, v2
	v_cmp_eq_u32_sdwa s[0:1], v2, v13 src0_sel:WORD_0 src1_sel:DWORD
	v_cndmask_b32_e64 v22, v3, v2, s[0:1]
; %bb.94:                               ;   in Loop: Header=BB151_44 Depth=1
	s_or_b64 exec, exec, s[10:11]
	v_and_b32_e32 v38, 0xffff0000, v23
	v_lshlrev_b32_e32 v2, 16, v4
	v_mul_f32_e32 v2, v38, v2
	v_and_b32_e32 v3, 0x7f800000, v2
	v_cmp_ne_u32_e64 s[0:1], s12, v3
                                        ; implicit-def: $vgpr23
	s_and_saveexec_b64 s[10:11], s[0:1]
	s_xor_b64 s[0:1], exec, s[10:11]
; %bb.95:                               ;   in Loop: Header=BB151_44 Depth=1
	v_bfe_u32 v3, v2, 16, 1
	v_add3_u32 v23, v2, v3, s13
                                        ; implicit-def: $vgpr2
; %bb.96:                               ;   in Loop: Header=BB151_44 Depth=1
	s_andn2_saveexec_b64 s[10:11], s[0:1]
; %bb.97:                               ;   in Loop: Header=BB151_44 Depth=1
	v_or_b32_e32 v3, 0x10000, v2
	v_cmp_eq_u32_sdwa s[0:1], v2, v13 src0_sel:WORD_0 src1_sel:DWORD
	v_cndmask_b32_e64 v23, v3, v2, s[0:1]
; %bb.98:                               ;   in Loop: Header=BB151_44 Depth=1
	s_or_b64 exec, exec, s[10:11]
	v_and_b32_e32 v39, 0xffff0000, v24
	v_lshlrev_b32_e32 v2, 16, v40
	v_mul_f32_e32 v2, v39, v2
	v_and_b32_e32 v3, 0x7f800000, v2
	v_cmp_ne_u32_e64 s[0:1], s12, v3
                                        ; implicit-def: $vgpr24
	s_and_saveexec_b64 s[10:11], s[0:1]
	s_xor_b64 s[0:1], exec, s[10:11]
; %bb.99:                               ;   in Loop: Header=BB151_44 Depth=1
	v_bfe_u32 v3, v2, 16, 1
	v_add3_u32 v24, v2, v3, s13
                                        ; implicit-def: $vgpr2
; %bb.100:                              ;   in Loop: Header=BB151_44 Depth=1
	s_andn2_saveexec_b64 s[10:11], s[0:1]
; %bb.101:                              ;   in Loop: Header=BB151_44 Depth=1
	v_or_b32_e32 v3, 0x10000, v2
	v_cmp_eq_u32_sdwa s[0:1], v2, v13 src0_sel:WORD_0 src1_sel:DWORD
	v_cndmask_b32_e64 v24, v3, v2, s[0:1]
; %bb.102:                              ;   in Loop: Header=BB151_44 Depth=1
	s_or_b64 exec, exec, s[10:11]
	v_and_b32_e32 v40, 0xffff0000, v25
	v_lshlrev_b32_e32 v2, 16, v5
	v_mul_f32_e32 v2, v40, v2
	v_and_b32_e32 v3, 0x7f800000, v2
	v_cmp_ne_u32_e64 s[0:1], s12, v3
                                        ; implicit-def: $vgpr25
	s_and_saveexec_b64 s[10:11], s[0:1]
	s_xor_b64 s[0:1], exec, s[10:11]
; %bb.103:                              ;   in Loop: Header=BB151_44 Depth=1
	v_bfe_u32 v3, v2, 16, 1
	v_add3_u32 v25, v2, v3, s13
                                        ; implicit-def: $vgpr2
; %bb.104:                              ;   in Loop: Header=BB151_44 Depth=1
	s_andn2_saveexec_b64 s[10:11], s[0:1]
; %bb.105:                              ;   in Loop: Header=BB151_44 Depth=1
	v_or_b32_e32 v3, 0x10000, v2
	v_cmp_eq_u32_sdwa s[0:1], v2, v13 src0_sel:WORD_0 src1_sel:DWORD
	v_cndmask_b32_e64 v25, v3, v2, s[0:1]
; %bb.106:                              ;   in Loop: Header=BB151_44 Depth=1
	s_or_b64 exec, exec, s[10:11]
	v_and_b32_e32 v41, 0xffff0000, v33
	v_lshlrev_b32_e32 v2, 16, v42
	v_mul_f32_e32 v2, v41, v2
	v_and_b32_e32 v3, 0x7f800000, v2
	v_cmp_ne_u32_e64 s[0:1], s12, v3
                                        ; implicit-def: $vgpr33
	s_and_saveexec_b64 s[10:11], s[0:1]
	s_xor_b64 s[0:1], exec, s[10:11]
; %bb.107:                              ;   in Loop: Header=BB151_44 Depth=1
	v_bfe_u32 v3, v2, 16, 1
	v_add3_u32 v33, v2, v3, s13
                                        ; implicit-def: $vgpr2
; %bb.108:                              ;   in Loop: Header=BB151_44 Depth=1
	s_andn2_saveexec_b64 s[10:11], s[0:1]
; %bb.109:                              ;   in Loop: Header=BB151_44 Depth=1
	v_or_b32_e32 v3, 0x10000, v2
	v_cmp_eq_u32_sdwa s[0:1], v2, v13 src0_sel:WORD_0 src1_sel:DWORD
	v_cndmask_b32_e64 v33, v3, v2, s[0:1]
; %bb.110:                              ;   in Loop: Header=BB151_44 Depth=1
	s_or_b64 exec, exec, s[10:11]
	global_load_dwordx4 v[2:5], v[6:7], off offset:1024
	s_waitcnt vmcnt(0)
	v_lshrrev_b32_e32 v43, 16, v2
	v_lshrrev_b32_e32 v45, 16, v3
	v_lshrrev_b32_e32 v47, 16, v4
	v_lshrrev_b32_e32 v49, 16, v5
	s_and_saveexec_b64 s[10:11], vcc
	s_cbranch_execz .LBB151_112
; %bb.111:                              ;   in Loop: Header=BB151_44 Depth=1
	v_cmp_gt_i32_e64 s[0:1], s33, v26
	v_cndmask_b32_e64 v2, 0, v2, s[0:1]
	v_cmp_gt_i32_e64 s[0:1], s33, v32
	v_cndmask_b32_e64 v43, 0, v43, s[0:1]
	;; [unrolled: 2-line block ×8, first 2 shown]
.LBB151_112:                            ;   in Loop: Header=BB151_44 Depth=1
	s_or_b64 exec, exec, s[10:11]
	v_lshlrev_b32_e32 v2, 16, v2
	v_mul_f32_e32 v2, v34, v2
	v_and_b32_e32 v42, 0x7f800000, v2
	v_cmp_ne_u32_e64 s[0:1], s12, v42
                                        ; implicit-def: $vgpr42
	s_and_saveexec_b64 s[10:11], s[0:1]
	s_xor_b64 s[0:1], exec, s[10:11]
; %bb.113:                              ;   in Loop: Header=BB151_44 Depth=1
	v_bfe_u32 v42, v2, 16, 1
	v_add3_u32 v42, v2, v42, s13
                                        ; implicit-def: $vgpr2
; %bb.114:                              ;   in Loop: Header=BB151_44 Depth=1
	s_andn2_saveexec_b64 s[10:11], s[0:1]
; %bb.115:                              ;   in Loop: Header=BB151_44 Depth=1
	v_or_b32_e32 v42, 0x10000, v2
	v_cmp_eq_u32_sdwa s[0:1], v2, v13 src0_sel:WORD_0 src1_sel:DWORD
	v_cndmask_b32_e64 v42, v42, v2, s[0:1]
; %bb.116:                              ;   in Loop: Header=BB151_44 Depth=1
	s_or_b64 exec, exec, s[10:11]
	v_lshlrev_b32_e32 v2, 16, v43
	v_mul_f32_e32 v2, v35, v2
	v_and_b32_e32 v43, 0x7f800000, v2
	v_cmp_ne_u32_e64 s[0:1], s12, v43
                                        ; implicit-def: $vgpr43
	s_and_saveexec_b64 s[10:11], s[0:1]
	s_xor_b64 s[0:1], exec, s[10:11]
; %bb.117:                              ;   in Loop: Header=BB151_44 Depth=1
	v_bfe_u32 v43, v2, 16, 1
	v_add3_u32 v43, v2, v43, s13
                                        ; implicit-def: $vgpr2
; %bb.118:                              ;   in Loop: Header=BB151_44 Depth=1
	s_andn2_saveexec_b64 s[10:11], s[0:1]
; %bb.119:                              ;   in Loop: Header=BB151_44 Depth=1
	v_or_b32_e32 v43, 0x10000, v2
	v_cmp_eq_u32_sdwa s[0:1], v2, v13 src0_sel:WORD_0 src1_sel:DWORD
	v_cndmask_b32_e64 v43, v43, v2, s[0:1]
; %bb.120:                              ;   in Loop: Header=BB151_44 Depth=1
	s_or_b64 exec, exec, s[10:11]
	v_lshlrev_b32_e32 v2, 16, v3
	v_mul_f32_e32 v2, v36, v2
	v_and_b32_e32 v3, 0x7f800000, v2
	v_cmp_ne_u32_e64 s[0:1], s12, v3
                                        ; implicit-def: $vgpr44
	s_and_saveexec_b64 s[10:11], s[0:1]
	s_xor_b64 s[0:1], exec, s[10:11]
; %bb.121:                              ;   in Loop: Header=BB151_44 Depth=1
	v_bfe_u32 v3, v2, 16, 1
	v_add3_u32 v44, v2, v3, s13
                                        ; implicit-def: $vgpr2
; %bb.122:                              ;   in Loop: Header=BB151_44 Depth=1
	s_andn2_saveexec_b64 s[10:11], s[0:1]
; %bb.123:                              ;   in Loop: Header=BB151_44 Depth=1
	v_or_b32_e32 v3, 0x10000, v2
	v_cmp_eq_u32_sdwa s[0:1], v2, v13 src0_sel:WORD_0 src1_sel:DWORD
	v_cndmask_b32_e64 v44, v3, v2, s[0:1]
; %bb.124:                              ;   in Loop: Header=BB151_44 Depth=1
	s_or_b64 exec, exec, s[10:11]
	v_lshlrev_b32_e32 v2, 16, v45
	v_mul_f32_e32 v2, v37, v2
	v_and_b32_e32 v3, 0x7f800000, v2
	v_cmp_ne_u32_e64 s[0:1], s12, v3
                                        ; implicit-def: $vgpr45
	s_and_saveexec_b64 s[10:11], s[0:1]
	s_xor_b64 s[0:1], exec, s[10:11]
; %bb.125:                              ;   in Loop: Header=BB151_44 Depth=1
	v_bfe_u32 v3, v2, 16, 1
	v_add3_u32 v45, v2, v3, s13
                                        ; implicit-def: $vgpr2
; %bb.126:                              ;   in Loop: Header=BB151_44 Depth=1
	s_andn2_saveexec_b64 s[10:11], s[0:1]
; %bb.127:                              ;   in Loop: Header=BB151_44 Depth=1
	v_or_b32_e32 v3, 0x10000, v2
	v_cmp_eq_u32_sdwa s[0:1], v2, v13 src0_sel:WORD_0 src1_sel:DWORD
	v_cndmask_b32_e64 v45, v3, v2, s[0:1]
; %bb.128:                              ;   in Loop: Header=BB151_44 Depth=1
	s_or_b64 exec, exec, s[10:11]
	v_lshlrev_b32_e32 v2, 16, v4
	v_mul_f32_e32 v2, v38, v2
	v_and_b32_e32 v3, 0x7f800000, v2
	v_cmp_ne_u32_e64 s[0:1], s12, v3
                                        ; implicit-def: $vgpr46
	s_and_saveexec_b64 s[10:11], s[0:1]
	s_xor_b64 s[0:1], exec, s[10:11]
; %bb.129:                              ;   in Loop: Header=BB151_44 Depth=1
	v_bfe_u32 v3, v2, 16, 1
	v_add3_u32 v46, v2, v3, s13
                                        ; implicit-def: $vgpr2
; %bb.130:                              ;   in Loop: Header=BB151_44 Depth=1
	s_andn2_saveexec_b64 s[10:11], s[0:1]
; %bb.131:                              ;   in Loop: Header=BB151_44 Depth=1
	v_or_b32_e32 v3, 0x10000, v2
	v_cmp_eq_u32_sdwa s[0:1], v2, v13 src0_sel:WORD_0 src1_sel:DWORD
	v_cndmask_b32_e64 v46, v3, v2, s[0:1]
; %bb.132:                              ;   in Loop: Header=BB151_44 Depth=1
	s_or_b64 exec, exec, s[10:11]
	v_lshlrev_b32_e32 v2, 16, v47
	v_mul_f32_e32 v2, v39, v2
	v_and_b32_e32 v3, 0x7f800000, v2
	v_cmp_ne_u32_e64 s[0:1], s12, v3
                                        ; implicit-def: $vgpr47
	s_and_saveexec_b64 s[10:11], s[0:1]
	s_xor_b64 s[0:1], exec, s[10:11]
; %bb.133:                              ;   in Loop: Header=BB151_44 Depth=1
	v_bfe_u32 v3, v2, 16, 1
	v_add3_u32 v47, v2, v3, s13
                                        ; implicit-def: $vgpr2
; %bb.134:                              ;   in Loop: Header=BB151_44 Depth=1
	s_andn2_saveexec_b64 s[10:11], s[0:1]
; %bb.135:                              ;   in Loop: Header=BB151_44 Depth=1
	v_or_b32_e32 v3, 0x10000, v2
	v_cmp_eq_u32_sdwa s[0:1], v2, v13 src0_sel:WORD_0 src1_sel:DWORD
	v_cndmask_b32_e64 v47, v3, v2, s[0:1]
; %bb.136:                              ;   in Loop: Header=BB151_44 Depth=1
	s_or_b64 exec, exec, s[10:11]
	v_lshlrev_b32_e32 v2, 16, v5
	v_mul_f32_e32 v2, v40, v2
	v_and_b32_e32 v3, 0x7f800000, v2
	v_cmp_ne_u32_e64 s[0:1], s12, v3
                                        ; implicit-def: $vgpr48
	s_and_saveexec_b64 s[10:11], s[0:1]
	s_xor_b64 s[0:1], exec, s[10:11]
; %bb.137:                              ;   in Loop: Header=BB151_44 Depth=1
	v_bfe_u32 v3, v2, 16, 1
	v_add3_u32 v48, v2, v3, s13
                                        ; implicit-def: $vgpr2
; %bb.138:                              ;   in Loop: Header=BB151_44 Depth=1
	s_andn2_saveexec_b64 s[10:11], s[0:1]
; %bb.139:                              ;   in Loop: Header=BB151_44 Depth=1
	v_or_b32_e32 v3, 0x10000, v2
	v_cmp_eq_u32_sdwa s[0:1], v2, v13 src0_sel:WORD_0 src1_sel:DWORD
	v_cndmask_b32_e64 v48, v3, v2, s[0:1]
; %bb.140:                              ;   in Loop: Header=BB151_44 Depth=1
	s_or_b64 exec, exec, s[10:11]
	v_lshlrev_b32_e32 v2, 16, v49
	v_mul_f32_e32 v2, v41, v2
	v_and_b32_e32 v3, 0x7f800000, v2
	v_cmp_ne_u32_e64 s[0:1], s12, v3
                                        ; implicit-def: $vgpr49
	s_and_saveexec_b64 s[10:11], s[0:1]
	s_xor_b64 s[0:1], exec, s[10:11]
; %bb.141:                              ;   in Loop: Header=BB151_44 Depth=1
	v_bfe_u32 v3, v2, 16, 1
	v_add3_u32 v49, v2, v3, s13
                                        ; implicit-def: $vgpr2
; %bb.142:                              ;   in Loop: Header=BB151_44 Depth=1
	s_andn2_saveexec_b64 s[10:11], s[0:1]
; %bb.143:                              ;   in Loop: Header=BB151_44 Depth=1
	v_or_b32_e32 v3, 0x10000, v2
	v_cmp_eq_u32_sdwa s[0:1], v2, v13 src0_sel:WORD_0 src1_sel:DWORD
	v_cndmask_b32_e64 v49, v3, v2, s[0:1]
; %bb.144:                              ;   in Loop: Header=BB151_44 Depth=1
	s_or_b64 exec, exec, s[10:11]
	global_load_dwordx4 v[2:5], v[6:7], off offset:2048
	s_waitcnt vmcnt(0)
	v_lshrrev_b32_e32 v7, 16, v2
	v_lshrrev_b32_e32 v51, 16, v3
	;; [unrolled: 1-line block ×4, first 2 shown]
	s_and_saveexec_b64 s[0:1], vcc
	s_cbranch_execz .LBB151_146
; %bb.145:                              ;   in Loop: Header=BB151_44 Depth=1
	v_cmp_gt_i32_e32 vcc, s33, v26
	v_cndmask_b32_e32 v2, 0, v2, vcc
	v_cmp_gt_i32_e32 vcc, s33, v32
	v_cndmask_b32_e32 v7, 0, v7, vcc
	;; [unrolled: 2-line block ×8, first 2 shown]
.LBB151_146:                            ;   in Loop: Header=BB151_44 Depth=1
	s_or_b64 exec, exec, s[0:1]
	v_lshlrev_b32_e32 v2, 16, v2
	v_mul_f32_e32 v26, v34, v2
	v_and_b32_e32 v2, 0x7f800000, v26
	v_cmp_ne_u32_e32 vcc, s12, v2
                                        ; implicit-def: $vgpr2
	s_and_saveexec_b64 s[0:1], vcc
	s_xor_b64 s[0:1], exec, s[0:1]
; %bb.147:                              ;   in Loop: Header=BB151_44 Depth=1
	v_bfe_u32 v2, v26, 16, 1
	v_add3_u32 v2, v26, v2, s13
                                        ; implicit-def: $vgpr26
; %bb.148:                              ;   in Loop: Header=BB151_44 Depth=1
	s_andn2_saveexec_b64 s[0:1], s[0:1]
; %bb.149:                              ;   in Loop: Header=BB151_44 Depth=1
	v_or_b32_e32 v2, 0x10000, v26
	v_cmp_eq_u32_sdwa vcc, v26, v13 src0_sel:WORD_0 src1_sel:DWORD
	v_cndmask_b32_e32 v2, v2, v26, vcc
; %bb.150:                              ;   in Loop: Header=BB151_44 Depth=1
	s_or_b64 exec, exec, s[0:1]
	v_lshlrev_b32_e32 v7, 16, v7
	v_mul_f32_e32 v26, v35, v7
	v_and_b32_e32 v7, 0x7f800000, v26
	v_cmp_ne_u32_e32 vcc, s12, v7
                                        ; implicit-def: $vgpr7
	s_and_saveexec_b64 s[0:1], vcc
	s_xor_b64 s[0:1], exec, s[0:1]
; %bb.151:                              ;   in Loop: Header=BB151_44 Depth=1
	v_bfe_u32 v7, v26, 16, 1
	v_add3_u32 v7, v26, v7, s13
                                        ; implicit-def: $vgpr26
; %bb.152:                              ;   in Loop: Header=BB151_44 Depth=1
	s_andn2_saveexec_b64 s[0:1], s[0:1]
; %bb.153:                              ;   in Loop: Header=BB151_44 Depth=1
	v_or_b32_e32 v7, 0x10000, v26
	v_cmp_eq_u32_sdwa vcc, v26, v13 src0_sel:WORD_0 src1_sel:DWORD
	v_cndmask_b32_e32 v7, v7, v26, vcc
; %bb.154:                              ;   in Loop: Header=BB151_44 Depth=1
	s_or_b64 exec, exec, s[0:1]
	v_lshlrev_b32_e32 v3, 16, v3
	v_mul_f32_e32 v26, v36, v3
	v_and_b32_e32 v3, 0x7f800000, v26
	v_cmp_ne_u32_e32 vcc, s12, v3
                                        ; implicit-def: $vgpr3
	s_and_saveexec_b64 s[0:1], vcc
	s_xor_b64 s[0:1], exec, s[0:1]
; %bb.155:                              ;   in Loop: Header=BB151_44 Depth=1
	v_bfe_u32 v3, v26, 16, 1
	v_add3_u32 v3, v26, v3, s13
                                        ; implicit-def: $vgpr26
; %bb.156:                              ;   in Loop: Header=BB151_44 Depth=1
	s_andn2_saveexec_b64 s[0:1], s[0:1]
; %bb.157:                              ;   in Loop: Header=BB151_44 Depth=1
	v_or_b32_e32 v3, 0x10000, v26
	v_cmp_eq_u32_sdwa vcc, v26, v13 src0_sel:WORD_0 src1_sel:DWORD
	v_cndmask_b32_e32 v3, v3, v26, vcc
; %bb.158:                              ;   in Loop: Header=BB151_44 Depth=1
	s_or_b64 exec, exec, s[0:1]
	v_lshlrev_b32_e32 v26, 16, v51
	v_mul_f32_e32 v27, v37, v26
	v_and_b32_e32 v26, 0x7f800000, v27
	v_cmp_ne_u32_e32 vcc, s12, v26
                                        ; implicit-def: $vgpr26
	s_and_saveexec_b64 s[0:1], vcc
	s_xor_b64 s[0:1], exec, s[0:1]
; %bb.159:                              ;   in Loop: Header=BB151_44 Depth=1
	v_bfe_u32 v26, v27, 16, 1
	v_add3_u32 v26, v27, v26, s13
                                        ; implicit-def: $vgpr27
; %bb.160:                              ;   in Loop: Header=BB151_44 Depth=1
	s_andn2_saveexec_b64 s[0:1], s[0:1]
; %bb.161:                              ;   in Loop: Header=BB151_44 Depth=1
	v_or_b32_e32 v26, 0x10000, v27
	v_cmp_eq_u32_sdwa vcc, v27, v13 src0_sel:WORD_0 src1_sel:DWORD
	v_cndmask_b32_e32 v26, v26, v27, vcc
; %bb.162:                              ;   in Loop: Header=BB151_44 Depth=1
	s_or_b64 exec, exec, s[0:1]
	v_lshlrev_b32_e32 v4, 16, v4
	v_mul_f32_e32 v27, v38, v4
	v_and_b32_e32 v4, 0x7f800000, v27
	v_cmp_ne_u32_e32 vcc, s12, v4
                                        ; implicit-def: $vgpr4
	s_and_saveexec_b64 s[0:1], vcc
	s_xor_b64 s[0:1], exec, s[0:1]
; %bb.163:                              ;   in Loop: Header=BB151_44 Depth=1
	v_bfe_u32 v4, v27, 16, 1
	v_add3_u32 v4, v27, v4, s13
                                        ; implicit-def: $vgpr27
; %bb.164:                              ;   in Loop: Header=BB151_44 Depth=1
	s_andn2_saveexec_b64 s[0:1], s[0:1]
; %bb.165:                              ;   in Loop: Header=BB151_44 Depth=1
	v_or_b32_e32 v4, 0x10000, v27
	v_cmp_eq_u32_sdwa vcc, v27, v13 src0_sel:WORD_0 src1_sel:DWORD
	v_cndmask_b32_e32 v4, v4, v27, vcc
; %bb.166:                              ;   in Loop: Header=BB151_44 Depth=1
	s_or_b64 exec, exec, s[0:1]
	v_lshlrev_b32_e32 v27, 16, v50
	v_mul_f32_e32 v28, v39, v27
	v_and_b32_e32 v27, 0x7f800000, v28
	v_cmp_ne_u32_e32 vcc, s12, v27
                                        ; implicit-def: $vgpr27
	s_and_saveexec_b64 s[0:1], vcc
	s_xor_b64 s[0:1], exec, s[0:1]
; %bb.167:                              ;   in Loop: Header=BB151_44 Depth=1
	v_bfe_u32 v27, v28, 16, 1
	v_add3_u32 v27, v28, v27, s13
                                        ; implicit-def: $vgpr28
; %bb.168:                              ;   in Loop: Header=BB151_44 Depth=1
	s_andn2_saveexec_b64 s[0:1], s[0:1]
; %bb.169:                              ;   in Loop: Header=BB151_44 Depth=1
	v_or_b32_e32 v27, 0x10000, v28
	v_cmp_eq_u32_sdwa vcc, v28, v13 src0_sel:WORD_0 src1_sel:DWORD
	v_cndmask_b32_e32 v27, v27, v28, vcc
; %bb.170:                              ;   in Loop: Header=BB151_44 Depth=1
	s_or_b64 exec, exec, s[0:1]
	v_lshlrev_b32_e32 v5, 16, v5
	v_mul_f32_e32 v28, v40, v5
	v_and_b32_e32 v5, 0x7f800000, v28
	v_cmp_ne_u32_e32 vcc, s12, v5
                                        ; implicit-def: $vgpr5
	s_and_saveexec_b64 s[0:1], vcc
	s_xor_b64 s[0:1], exec, s[0:1]
; %bb.171:                              ;   in Loop: Header=BB151_44 Depth=1
	v_bfe_u32 v5, v28, 16, 1
	v_add3_u32 v5, v28, v5, s13
                                        ; implicit-def: $vgpr28
; %bb.172:                              ;   in Loop: Header=BB151_44 Depth=1
	s_andn2_saveexec_b64 s[0:1], s[0:1]
; %bb.173:                              ;   in Loop: Header=BB151_44 Depth=1
	v_or_b32_e32 v5, 0x10000, v28
	v_cmp_eq_u32_sdwa vcc, v28, v13 src0_sel:WORD_0 src1_sel:DWORD
	v_cndmask_b32_e32 v5, v5, v28, vcc
; %bb.174:                              ;   in Loop: Header=BB151_44 Depth=1
	s_or_b64 exec, exec, s[0:1]
	v_lshlrev_b32_e32 v6, 16, v6
	v_mul_f32_e32 v28, v41, v6
	v_and_b32_e32 v6, 0x7f800000, v28
	v_cmp_ne_u32_e32 vcc, s12, v6
                                        ; implicit-def: $vgpr6
	s_and_saveexec_b64 s[0:1], vcc
	s_xor_b64 s[0:1], exec, s[0:1]
; %bb.175:                              ;   in Loop: Header=BB151_44 Depth=1
	v_bfe_u32 v6, v28, 16, 1
	v_add3_u32 v6, v28, v6, s13
                                        ; implicit-def: $vgpr28
; %bb.176:                              ;   in Loop: Header=BB151_44 Depth=1
	s_andn2_saveexec_b64 s[0:1], s[0:1]
	s_cbranch_execz .LBB151_43
; %bb.177:                              ;   in Loop: Header=BB151_44 Depth=1
	v_or_b32_e32 v6, 0x10000, v28
	v_cmp_eq_u32_sdwa vcc, v28, v13 src0_sel:WORD_0 src1_sel:DWORD
	v_cndmask_b32_e32 v6, v6, v28, vcc
	s_branch .LBB151_43
.LBB151_178:
	s_or_b64 exec, exec, s[6:7]
.LBB151_179:
	s_or_b64 exec, exec, s[4:5]
	v_and_b32_e32 v2, 0x3c0, v0
	v_cmp_eq_u32_e32 vcc, 64, v2
	s_barrier
	s_and_saveexec_b64 s[0:1], vcc
	s_cbranch_execz .LBB151_181
; %bb.180:
	v_mov_b32_e32 v2, 0x190
	v_lshl_add_u32 v1, v1, 2, v2
	v_lshl_add_u32 v2, v0, 2, v2
	ds_write_b32 v1, v14
	ds_write_b32 v2, v15
	ds_write_b32 v1, v10 offset:512
.LBB151_181:
	s_or_b64 exec, exec, s[0:1]
	v_cmp_gt_u32_e32 vcc, 64, v0
	s_waitcnt lgkmcnt(0)
	s_barrier
	s_and_saveexec_b64 s[0:1], vcc
	s_cbranch_execz .LBB151_183
; %bb.182:
	v_mov_b32_e32 v1, 0x190
	v_lshl_add_u32 v1, v0, 2, v1
	ds_read2st64_b32 v[2:3], v1 offset1:1
	ds_read_b32 v1, v1 offset:512
	s_waitcnt lgkmcnt(1)
	v_pk_add_f32 v[14:15], v[14:15], v[2:3]
	s_waitcnt lgkmcnt(0)
	v_add_f32_e32 v10, v10, v1
.LBB151_183:
	s_or_b64 exec, exec, s[0:1]
	s_barrier
	s_and_saveexec_b64 s[0:1], vcc
	s_cbranch_execz .LBB151_197
; %bb.184:
	s_mov_b32 s0, 0x7f800000
	v_and_b32_e32 v1, 0x7f800000, v14
	v_cmp_ne_u32_e32 vcc, s0, v1
                                        ; implicit-def: $vgpr2
	s_and_saveexec_b64 s[0:1], vcc
	s_xor_b64 s[0:1], exec, s[0:1]
; %bb.185:
	v_bfe_u32 v1, v14, 16, 1
	s_movk_i32 s3, 0x7fff
	v_add3_u32 v2, v14, v1, s3
; %bb.186:
	s_andn2_saveexec_b64 s[0:1], s[0:1]
; %bb.187:
	v_mov_b32_e32 v1, 0
	v_or_b32_e32 v2, 0x10000, v14
	v_cmp_eq_u32_sdwa vcc, v14, v1 src0_sel:WORD_0 src1_sel:DWORD
	v_cndmask_b32_e32 v2, v2, v14, vcc
; %bb.188:
	s_or_b64 exec, exec, s[0:1]
	s_mul_i32 s0, s2, 0xc0
	s_ashr_i32 s1, s0, 31
	s_lshl_b64 s[0:1], s[0:1], 1
	s_add_u32 s2, s24, s0
	s_mul_i32 s0, s29, s26
	s_addc_u32 s3, s25, s1
	s_ashr_i32 s1, s0, 31
	s_lshl_b64 s[0:1], s[0:1], 1
	s_add_u32 s2, s2, s0
	s_mul_i32 s0, s8, 0xc0
	s_addc_u32 s3, s3, s1
	s_ashr_i32 s1, s0, 31
	s_lshl_b64 s[0:1], s[0:1], 1
	s_add_u32 s0, s2, s0
	s_addc_u32 s1, s3, s1
	v_lshlrev_b32_e32 v3, 1, v0
	v_mov_b32_e32 v1, s1
	v_add_co_u32_e32 v0, vcc, s0, v3
	v_addc_co_u32_e32 v1, vcc, 0, v1, vcc
	global_store_short_d16_hi v3, v2, s[0:1]
	s_mov_b32 s0, 0x7f800000
	v_and_b32_e32 v2, 0x7f800000, v15
	v_cmp_ne_u32_e32 vcc, s0, v2
                                        ; implicit-def: $vgpr2
	s_and_saveexec_b64 s[0:1], vcc
	s_xor_b64 s[0:1], exec, s[0:1]
; %bb.189:
	v_bfe_u32 v2, v15, 16, 1
	s_movk_i32 s2, 0x7fff
	v_add3_u32 v2, v15, v2, s2
; %bb.190:
	s_andn2_saveexec_b64 s[0:1], s[0:1]
; %bb.191:
	v_mov_b32_e32 v2, 0
	v_or_b32_e32 v3, 0x10000, v15
	v_cmp_eq_u32_sdwa vcc, v15, v2 src0_sel:WORD_0 src1_sel:DWORD
	v_cndmask_b32_e32 v2, v3, v15, vcc
; %bb.192:
	s_or_b64 exec, exec, s[0:1]
	global_store_short_d16_hi v[0:1], v2, off offset:128
	s_mov_b32 s0, 0x7f800000
	v_and_b32_e32 v2, 0x7f800000, v10
	v_cmp_ne_u32_e32 vcc, s0, v2
                                        ; implicit-def: $vgpr2
	s_and_saveexec_b64 s[0:1], vcc
	s_xor_b64 s[0:1], exec, s[0:1]
; %bb.193:
	v_bfe_u32 v2, v10, 16, 1
	s_movk_i32 s2, 0x7fff
	v_add3_u32 v2, v10, v2, s2
                                        ; implicit-def: $vgpr8_vgpr9_vgpr10
; %bb.194:
	s_andn2_saveexec_b64 s[0:1], s[0:1]
; %bb.195:
	v_mov_b32_e32 v2, 0
	v_or_b32_e32 v3, 0x10000, v10
	v_cmp_eq_u32_sdwa vcc, v10, v2 src0_sel:WORD_0 src1_sel:DWORD
	v_cndmask_b32_e32 v2, v3, v10, vcc
; %bb.196:
	s_or_b64 exec, exec, s[0:1]
	global_store_short_d16_hi v[0:1], v2, off offset:256
.LBB151_197:
	s_endpgm
	.section	.rodata,"a",@progbits
	.p2align	6, 0x0
	.amdhsa_kernel _ZN4vllm25paged_attention_v2_kernelI14__hip_bfloat16S1_Li192ELi8ELi128ELNS_18Fp8KVCacheDataTypeE0ELb0ELi512EEEvPfS3_PT_PKS4_PKT0_SA_ifPKiSC_iPKfiiiSE_SE_iiiii
		.amdhsa_group_segment_fixed_size 400
		.amdhsa_private_segment_fixed_size 0
		.amdhsa_kernarg_size 400
		.amdhsa_user_sgpr_count 6
		.amdhsa_user_sgpr_private_segment_buffer 1
		.amdhsa_user_sgpr_dispatch_ptr 0
		.amdhsa_user_sgpr_queue_ptr 0
		.amdhsa_user_sgpr_kernarg_segment_ptr 1
		.amdhsa_user_sgpr_dispatch_id 0
		.amdhsa_user_sgpr_flat_scratch_init 0
		.amdhsa_user_sgpr_kernarg_preload_length 0
		.amdhsa_user_sgpr_kernarg_preload_offset 0
		.amdhsa_user_sgpr_private_segment_size 0
		.amdhsa_uses_dynamic_stack 0
		.amdhsa_system_sgpr_private_segment_wavefront_offset 0
		.amdhsa_system_sgpr_workgroup_id_x 1
		.amdhsa_system_sgpr_workgroup_id_y 1
		.amdhsa_system_sgpr_workgroup_id_z 1
		.amdhsa_system_sgpr_workgroup_info 0
		.amdhsa_system_vgpr_workitem_id 0
		.amdhsa_next_free_vgpr 67
		.amdhsa_next_free_sgpr 44
		.amdhsa_accum_offset 68
		.amdhsa_reserve_vcc 1
		.amdhsa_reserve_flat_scratch 0
		.amdhsa_float_round_mode_32 0
		.amdhsa_float_round_mode_16_64 0
		.amdhsa_float_denorm_mode_32 3
		.amdhsa_float_denorm_mode_16_64 3
		.amdhsa_dx10_clamp 1
		.amdhsa_ieee_mode 1
		.amdhsa_fp16_overflow 0
		.amdhsa_tg_split 0
		.amdhsa_exception_fp_ieee_invalid_op 0
		.amdhsa_exception_fp_denorm_src 0
		.amdhsa_exception_fp_ieee_div_zero 0
		.amdhsa_exception_fp_ieee_overflow 0
		.amdhsa_exception_fp_ieee_underflow 0
		.amdhsa_exception_fp_ieee_inexact 0
		.amdhsa_exception_int_div_zero 0
	.end_amdhsa_kernel
	.section	.text._ZN4vllm25paged_attention_v2_kernelI14__hip_bfloat16S1_Li192ELi8ELi128ELNS_18Fp8KVCacheDataTypeE0ELb0ELi512EEEvPfS3_PT_PKS4_PKT0_SA_ifPKiSC_iPKfiiiSE_SE_iiiii,"axG",@progbits,_ZN4vllm25paged_attention_v2_kernelI14__hip_bfloat16S1_Li192ELi8ELi128ELNS_18Fp8KVCacheDataTypeE0ELb0ELi512EEEvPfS3_PT_PKS4_PKT0_SA_ifPKiSC_iPKfiiiSE_SE_iiiii,comdat
.Lfunc_end151:
	.size	_ZN4vllm25paged_attention_v2_kernelI14__hip_bfloat16S1_Li192ELi8ELi128ELNS_18Fp8KVCacheDataTypeE0ELb0ELi512EEEvPfS3_PT_PKS4_PKT0_SA_ifPKiSC_iPKfiiiSE_SE_iiiii, .Lfunc_end151-_ZN4vllm25paged_attention_v2_kernelI14__hip_bfloat16S1_Li192ELi8ELi128ELNS_18Fp8KVCacheDataTypeE0ELb0ELi512EEEvPfS3_PT_PKS4_PKT0_SA_ifPKiSC_iPKfiiiSE_SE_iiiii
                                        ; -- End function
	.section	.AMDGPU.csdata,"",@progbits
; Kernel info:
; codeLenInByte = 7264
; NumSgprs: 48
; NumVgprs: 67
; NumAgprs: 0
; TotalNumVgprs: 67
; ScratchSize: 0
; MemoryBound: 0
; FloatMode: 240
; IeeeMode: 1
; LDSByteSize: 400 bytes/workgroup (compile time only)
; SGPRBlocks: 5
; VGPRBlocks: 8
; NumSGPRsForWavesPerEU: 48
; NumVGPRsForWavesPerEU: 67
; AccumOffset: 68
; Occupancy: 7
; WaveLimiterHint : 1
; COMPUTE_PGM_RSRC2:SCRATCH_EN: 0
; COMPUTE_PGM_RSRC2:USER_SGPR: 6
; COMPUTE_PGM_RSRC2:TRAP_HANDLER: 0
; COMPUTE_PGM_RSRC2:TGID_X_EN: 1
; COMPUTE_PGM_RSRC2:TGID_Y_EN: 1
; COMPUTE_PGM_RSRC2:TGID_Z_EN: 1
; COMPUTE_PGM_RSRC2:TIDIG_COMP_CNT: 0
; COMPUTE_PGM_RSRC3_GFX90A:ACCUM_OFFSET: 16
; COMPUTE_PGM_RSRC3_GFX90A:TG_SPLIT: 0
	.section	.text._ZN4vllm25paged_attention_v2_kernelI14__hip_bfloat16S1_Li256ELi8ELi128ELNS_18Fp8KVCacheDataTypeE0ELb0ELi512EEEvPfS3_PT_PKS4_PKT0_SA_ifPKiSC_iPKfiiiSE_SE_iiiii,"axG",@progbits,_ZN4vllm25paged_attention_v2_kernelI14__hip_bfloat16S1_Li256ELi8ELi128ELNS_18Fp8KVCacheDataTypeE0ELb0ELi512EEEvPfS3_PT_PKS4_PKT0_SA_ifPKiSC_iPKfiiiSE_SE_iiiii,comdat
	.protected	_ZN4vllm25paged_attention_v2_kernelI14__hip_bfloat16S1_Li256ELi8ELi128ELNS_18Fp8KVCacheDataTypeE0ELb0ELi512EEEvPfS3_PT_PKS4_PKT0_SA_ifPKiSC_iPKfiiiSE_SE_iiiii ; -- Begin function _ZN4vllm25paged_attention_v2_kernelI14__hip_bfloat16S1_Li256ELi8ELi128ELNS_18Fp8KVCacheDataTypeE0ELb0ELi512EEEvPfS3_PT_PKS4_PKT0_SA_ifPKiSC_iPKfiiiSE_SE_iiiii
	.globl	_ZN4vllm25paged_attention_v2_kernelI14__hip_bfloat16S1_Li256ELi8ELi128ELNS_18Fp8KVCacheDataTypeE0ELb0ELi512EEEvPfS3_PT_PKS4_PKT0_SA_ifPKiSC_iPKfiiiSE_SE_iiiii
	.p2align	8
	.type	_ZN4vllm25paged_attention_v2_kernelI14__hip_bfloat16S1_Li256ELi8ELi128ELNS_18Fp8KVCacheDataTypeE0ELb0ELi512EEEvPfS3_PT_PKS4_PKT0_SA_ifPKiSC_iPKfiiiSE_SE_iiiii,@function
_ZN4vllm25paged_attention_v2_kernelI14__hip_bfloat16S1_Li256ELi8ELi128ELNS_18Fp8KVCacheDataTypeE0ELb0ELi512EEEvPfS3_PT_PKS4_PKT0_SA_ifPKiSC_iPKfiiiSE_SE_iiiii: ; @_ZN4vllm25paged_attention_v2_kernelI14__hip_bfloat16S1_Li256ELi8ELi128ELNS_18Fp8KVCacheDataTypeE0ELb0ELi512EEEvPfS3_PT_PKS4_PKT0_SA_ifPKiSC_iPKfiiiSE_SE_iiiii
; %bb.0:
	s_load_dwordx2 s[0:1], s[4:5], 0x40
	s_mov_b32 s28, s7
	s_ashr_i32 s29, s7, 31
	s_lshl_b64 s[2:3], s[28:29], 2
	s_waitcnt lgkmcnt(0)
	s_add_u32 s0, s0, s2
	s_addc_u32 s1, s1, s3
	s_load_dword s33, s[0:1], 0x0
	s_lshl_b32 s40, s8, 9
	s_waitcnt lgkmcnt(0)
	s_cmp_ge_i32 s40, s33
	s_cbranch_scc1 .LBB152_235
; %bb.1:
	s_load_dword s9, s[4:5], 0x90
	s_load_dwordx2 s[10:11], s[4:5], 0x30
	s_waitcnt lgkmcnt(0)
	s_abs_i32 s2, s9
	s_abs_i32 s0, s10
	v_cvt_f32_u32_e32 v1, s0
	s_sub_i32 s3, 0, s0
	s_xor_b32 s1, s9, s10
	s_ashr_i32 s1, s1, 31
	v_rcp_iflag_f32_e32 v1, v1
	v_mul_f32_e32 v1, 0x4f7ffffe, v1
	v_cvt_u32_f32_e32 v1, v1
	v_readfirstlane_b32 s7, v1
	s_mul_i32 s3, s3, s7
	s_mul_hi_u32 s3, s7, s3
	s_add_i32 s7, s7, s3
	s_mul_hi_u32 s3, s2, s7
	s_mul_i32 s7, s3, s0
	s_sub_i32 s2, s2, s7
	s_add_i32 s10, s3, 1
	s_sub_i32 s7, s2, s0
	s_cmp_ge_u32 s2, s0
	s_cselect_b32 s3, s10, s3
	s_cselect_b32 s2, s7, s2
	s_add_i32 s7, s3, 1
	s_cmp_ge_u32 s2, s0
	s_cselect_b32 s0, s7, s3
	s_xor_b32 s0, s0, s1
	s_sub_i32 s10, s0, s1
	s_abs_i32 s36, s10
	v_cvt_f32_u32_e32 v1, s36
	s_load_dwordx2 s[0:1], s[4:5], 0x50
	s_sub_i32 s2, 0, s36
	s_abs_i32 s37, s6
	v_rcp_iflag_f32_e32 v1, v1
	s_mov_b32 s7, 0
	v_mul_f32_e32 v1, 0x4f7ffffe, v1
	v_cvt_u32_f32_e32 v1, v1
	v_readfirstlane_b32 s3, v1
	s_mul_i32 s2, s2, s3
	s_mul_hi_u32 s2, s3, s2
	s_add_i32 s2, s3, s2
	s_waitcnt lgkmcnt(0)
	s_cmp_eq_u64 s[0:1], 0
	s_cbranch_scc1 .LBB152_3
; %bb.2:
	s_ashr_i32 s7, s6, 31
	s_lshl_b64 s[12:13], s[6:7], 2
	s_add_u32 s0, s0, s12
	s_addc_u32 s1, s1, s13
	s_load_dword s7, s[0:1], 0x0
.LBB152_3:
	s_load_dwordx4 s[20:23], s[4:5], 0x0
	s_load_dwordx2 s[24:25], s[4:5], 0x10
	s_load_dwordx4 s[12:15], s[4:5], 0x20
	s_load_dwordx2 s[30:31], s[4:5], 0x38
	s_load_dword s29, s[4:5], 0x98
	s_load_dwordx4 s[16:19], s[4:5], 0x58
	v_and_b32_e32 v47, 7, v0
	s_lshl_b32 s26, s6, 8
	s_movk_i32 s0, 0x100
	s_mul_hi_u32 s38, s37, s2
	s_ashr_i32 s27, s26, 31
	v_cmp_gt_u32_e32 vcc, s0, v0
	v_lshlrev_b32_e32 v1, 1, v47
	s_and_saveexec_b64 s[2:3], vcc
	s_cbranch_execz .LBB152_6
; %bb.4:
	s_load_dwordx2 s[0:1], s[4:5], 0x18
	s_waitcnt lgkmcnt(0)
	s_mul_i32 s34, s28, s16
	s_ashr_i32 s35, s34, 31
	s_lshl_b64 s[34:35], s[34:35], 1
	s_lshl_b64 s[42:43], s[26:27], 1
	s_add_u32 s16, s34, s42
	s_addc_u32 s19, s35, s43
	v_lshrrev_b32_e32 v2, 3, v0
	s_add_u32 s0, s0, s16
	v_add_u32_e32 v4, -16, v2
	v_lshlrev_b32_e32 v3, 1, v2
	v_lshl_or_b32 v2, v2, 4, v1
	s_addc_u32 s1, s1, s19
	v_lshl_add_u32 v5, v47, 6, v3
	v_mov_b32_e32 v3, s1
	v_add_co_u32_e32 v2, vcc, s0, v2
	v_addc_co_u32_e32 v3, vcc, 0, v3, vcc
	s_mov_b64 s[34:35], 0
.LBB152_5:                              ; =>This Inner Loop Header: Depth=1
	global_load_ushort v6, v[2:3], off
	v_add_co_u32_e64 v4, s[0:1], 16, v4
	s_xor_b64 s[0:1], s[0:1], -1
	v_add_co_u32_e32 v2, vcc, 0x100, v2
	s_and_b64 s[0:1], exec, s[0:1]
	v_addc_co_u32_e32 v3, vcc, 0, v3, vcc
	s_or_b64 s[34:35], s[0:1], s[34:35]
	s_waitcnt vmcnt(0)
	ds_write_b16 v5, v6
	v_add_u32_e32 v5, 32, v5
	s_andn2_b64 exec, exec, s[34:35]
	s_cbranch_execnz .LBB152_5
.LBB152_6:
	s_or_b64 exec, exec, s[2:3]
	s_add_i32 s2, s33, 7
	s_ashr_i32 s3, s2, 31
	s_ashr_i32 s0, s6, 31
	;; [unrolled: 1-line block ×3, first 2 shown]
	s_lshr_b32 s3, s3, 29
	s_add_i32 s2, s2, s3
	s_lshl_b32 s10, s8, 6
	s_xor_b32 s0, s0, s1
	s_mul_i32 s1, s38, s36
	s_ashr_i32 s27, s2, 3
	s_add_i32 s2, s10, 64
	s_sub_i32 s1, s37, s1
	s_waitcnt lgkmcnt(0)
	s_min_i32 s16, s2, s27
	s_add_i32 s2, s38, 1
	s_sub_i32 s3, s1, s36
	s_cmp_ge_u32 s1, s36
	s_cselect_b32 s2, s2, s38
	s_cselect_b32 s1, s3, s1
	s_add_i32 s3, s2, 1
	s_cmp_ge_u32 s1, s36
	s_cselect_b32 s1, s3, s2
	s_load_dword s2, s[4:5], 0x48
	v_lshrrev_b32_e32 v6, 6, v0
	s_xor_b32 s1, s1, s0
	v_or_b32_e32 v14, s10, v6
	s_sub_i32 s4, s1, s0
	s_waitcnt lgkmcnt(0)
	s_mul_i32 s34, s28, s2
	s_ashr_i32 s35, s34, 31
	v_cmp_gt_i32_e64 s[0:1], s16, v14
	v_cmp_le_i32_e32 vcc, s16, v14
	v_mbcnt_lo_u32_b32 v2, -1, 0
	s_barrier
	s_waitcnt lgkmcnt(0)
                                        ; implicit-def: $sgpr5
                                        ; implicit-def: $vgpr4
                                        ; implicit-def: $vgpr5
	s_and_saveexec_b64 s[2:3], vcc
	s_xor_b64 s[2:3], exec, s[2:3]
; %bb.7:
	v_mbcnt_hi_u32_b32 v4, -1, v2
	v_and_b32_e32 v1, 64, v4
	v_add_u32_e32 v5, 64, v1
	s_mov_b32 s5, 0xff7fffff
                                        ; implicit-def: $vgpr1
                                        ; implicit-def: $vgpr47
                                        ; implicit-def: $vgpr2
; %bb.8:
	s_or_saveexec_b64 s[36:37], s[2:3]
	v_mov_b32_e32 v43, s5
	s_mul_i32 s18, s4, s18
	v_ashrrev_i32_e32 v15, 31, v14
	v_lshlrev_b32_e32 v7, 3, v6
	s_xor_b64 exec, exec, s[36:37]
	s_cbranch_execz .LBB152_14
; %bb.9:
	s_ashr_i32 s19, s18, 31
	s_lshl_b64 s[2:3], s[18:19], 1
	v_bfe_u32 v3, v0, 3, 3
	s_add_u32 s2, s12, s2
	s_addc_u32 s3, s13, s3
	v_lshlrev_b32_e32 v4, 4, v3
	v_mov_b32_e32 v5, s3
	v_add_co_u32_e32 v4, vcc, s2, v4
	v_addc_co_u32_e32 v5, vcc, 0, v5, vcc
	v_add_co_u32_e32 v1, vcc, v4, v1
	v_mbcnt_hi_u32_b32 v4, -1, v2
	v_and_b32_e32 v2, 64, v4
	v_addc_co_u32_e32 v8, vcc, 0, v5, vcc
	v_add_u32_e32 v5, 64, v2
	v_xor_b32_e32 v2, 4, v4
	v_cmp_lt_i32_e32 vcc, v2, v5
	v_cndmask_b32_e32 v2, v4, v2, vcc
	v_lshlrev_b32_e32 v44, 2, v2
	v_xor_b32_e32 v2, 2, v4
	v_cmp_lt_i32_e32 vcc, v2, v5
	v_cndmask_b32_e32 v2, v4, v2, vcc
	v_lshlrev_b32_e32 v9, 6, v47
	v_lshlrev_b32_e32 v45, 2, v2
	v_xor_b32_e32 v2, 1, v4
	ds_read_b128 v[16:19], v9
	ds_read_b128 v[24:27], v9 offset:16
	ds_read_b128 v[32:35], v9 offset:32
	;; [unrolled: 1-line block ×3, first 2 shown]
	v_cmp_lt_i32_e32 vcc, v2, v5
	v_cndmask_b32_e32 v2, v4, v2, vcc
	v_lshlrev_b32_e32 v46, 2, v2
	s_sub_i32 s19, 1, s33
	v_lshlrev_b32_e32 v2, 2, v3
	s_lshl_b64 s[4:5], s[34:35], 2
	v_lshl_or_b32 v2, v6, 5, v2
	s_add_u32 s4, s30, s4
	v_cmp_eq_u32_e32 vcc, 0, v47
	v_add3_u32 v47, s40, v7, v3
	v_add_u32_e32 v48, 0x210, v2
	v_lshlrev_b64 v[2:3], 2, v[14:15]
	s_addc_u32 s5, s31, s5
	s_waitcnt lgkmcnt(3)
	v_lshlrev_b32_e32 v9, 16, v16
	v_and_b32_e32 v10, 0xffff0000, v16
	v_lshlrev_b32_e32 v11, 16, v17
	v_and_b32_e32 v12, 0xffff0000, v17
	v_lshlrev_b32_e32 v13, 16, v18
	v_and_b32_e32 v16, 0xffff0000, v18
	v_lshlrev_b32_e32 v17, 16, v19
	v_and_b32_e32 v18, 0xffff0000, v19
	s_waitcnt lgkmcnt(2)
	v_lshlrev_b32_e32 v19, 16, v24
	v_and_b32_e32 v20, 0xffff0000, v24
	v_lshlrev_b32_e32 v21, 16, v25
	v_and_b32_e32 v22, 0xffff0000, v25
	v_lshlrev_b32_e32 v23, 16, v26
	v_and_b32_e32 v24, 0xffff0000, v26
	v_lshlrev_b32_e32 v25, 16, v27
	v_and_b32_e32 v26, 0xffff0000, v27
	;; [unrolled: 9-line block ×4, first 2 shown]
	v_mov_b32_e32 v43, s5
	v_add_co_u32_e64 v2, s[4:5], s4, v2
	s_mov_b32 s41, s17
	v_cmp_neq_f32_e64 s[2:3], s7, 0
	v_addc_co_u32_e64 v3, s[4:5], v43, v3, s[4:5]
	s_mov_b64 s[12:13], 0
	v_mov_b32_e32 v43, 0xff7fffff
	v_mov_b32_e32 v49, v14
	s_branch .LBB152_11
.LBB152_10:                             ;   in Loop: Header=BB152_11 Depth=1
	s_or_b64 exec, exec, s[38:39]
	v_add_u32_e32 v49, 2, v49
	v_cmp_le_i32_e64 s[4:5], s16, v49
	s_or_b64 s[12:13], s[4:5], s[12:13]
	v_add_co_u32_e64 v2, s[4:5], 8, v2
	v_add_u32_e32 v47, 16, v47
	v_add_u32_e32 v48, 64, v48
	v_addc_co_u32_e64 v3, s[4:5], 0, v3, s[4:5]
	s_andn2_b64 exec, exec, s[12:13]
	s_cbranch_execz .LBB152_13
.LBB152_11:                             ; =>This Inner Loop Header: Depth=1
	global_load_dword v50, v[2:3], off
	s_waitcnt vmcnt(0) lgkmcnt(0)
	v_mad_i64_i32 v[50:51], s[4:5], v50, s41, 0
	v_lshlrev_b64 v[50:51], 1, v[50:51]
	v_add_co_u32_e64 v50, s[4:5], v1, v50
	v_addc_co_u32_e64 v51, s[4:5], v8, v51, s[4:5]
	global_load_ushort v52, v[50:51], off
	global_load_ushort v53, v[50:51], off offset:128
	global_load_ushort v54, v[50:51], off offset:256
	;; [unrolled: 1-line block ×30, first 2 shown]
	s_nop 0
	global_load_ushort v50, v[50:51], off offset:3968
	s_waitcnt vmcnt(31)
	v_lshlrev_b32_e32 v51, 16, v52
	s_waitcnt vmcnt(30)
	v_lshlrev_b32_e32 v52, 16, v53
	v_mul_f32_e32 v52, v10, v52
	s_waitcnt vmcnt(29)
	v_lshlrev_b32_e32 v53, 16, v54
	v_fmac_f32_e32 v52, v9, v51
	s_waitcnt vmcnt(28)
	v_lshlrev_b32_e32 v54, 16, v55
	v_fmac_f32_e32 v52, v11, v53
	;; [unrolled: 3-line block ×29, first 2 shown]
	v_fmac_f32_e32 v52, v41, v81
	s_waitcnt vmcnt(0)
	v_lshlrev_b32_e32 v50, 16, v50
	v_fmac_f32_e32 v52, v42, v50
	ds_bpermute_b32 v50, v44, v52
	s_waitcnt lgkmcnt(0)
	v_add_f32_e32 v50, v52, v50
	ds_bpermute_b32 v51, v45, v50
	s_waitcnt lgkmcnt(0)
	v_add_f32_e32 v50, v50, v51
	ds_bpermute_b32 v51, v46, v50
	s_and_saveexec_b64 s[38:39], vcc
	s_cbranch_execz .LBB152_10
; %bb.12:                               ;   in Loop: Header=BB152_11 Depth=1
	v_add_u32_e32 v52, s19, v47
	v_cvt_f32_i32_e32 v52, v52
	s_waitcnt lgkmcnt(0)
	v_add_f32_e32 v50, v50, v51
	v_cmp_gt_i32_e64 s[4:5], s33, v47
	v_max_f32_e32 v51, v43, v43
	v_mul_f32_e32 v52, s7, v52
	v_cndmask_b32_e64 v52, 0, v52, s[2:3]
	v_fmac_f32_e32 v52, s11, v50
	v_cndmask_b32_e64 v50, 0, v52, s[4:5]
	ds_write_b32 v48, v50
	v_max_f32_e32 v50, v51, v52
	v_cndmask_b32_e64 v43, v43, v50, s[4:5]
	s_branch .LBB152_10
.LBB152_13:
	s_or_b64 exec, exec, s[12:13]
.LBB152_14:
	s_or_b64 exec, exec, s[36:37]
	v_xor_b32_e32 v1, 32, v4
	v_cmp_lt_i32_e32 vcc, v1, v5
	v_cndmask_b32_e32 v1, v4, v1, vcc
	v_lshlrev_b32_e32 v3, 2, v1
	ds_bpermute_b32 v1, v3, v43
	v_xor_b32_e32 v8, 16, v4
	v_max_f32_e32 v2, v43, v43
	v_cmp_lt_i32_e32 vcc, v8, v5
	v_xor_b32_e32 v9, 8, v4
	s_waitcnt lgkmcnt(0)
	v_max_f32_e32 v1, v1, v1
	v_max_f32_e32 v1, v2, v1
	v_cndmask_b32_e32 v2, v4, v8, vcc
	v_lshlrev_b32_e32 v10, 2, v2
	ds_bpermute_b32 v2, v10, v1
	v_cmp_lt_i32_e32 vcc, v9, v5
	s_waitcnt lgkmcnt(0)
	v_max_f32_e32 v2, v2, v2
	v_max_f32_e32 v8, v1, v2
	v_cndmask_b32_e32 v1, v4, v9, vcc
	v_lshlrev_b32_e32 v11, 2, v1
	ds_bpermute_b32 v9, v11, v8
	v_and_b32_e32 v1, 63, v0
	v_cmp_eq_u32_e32 vcc, 0, v1
	v_lshlrev_b32_e32 v2, 2, v6
	s_and_saveexec_b64 s[2:3], vcc
	s_cbranch_execz .LBB152_16
; %bb.15:
	s_waitcnt lgkmcnt(0)
	v_max_f32_e32 v9, v9, v9
	v_max_f32_e32 v8, v8, v8
	;; [unrolled: 1-line block ×3, first 2 shown]
	ds_write_b32 v2, v8 offset:512
.LBB152_16:
	s_or_b64 exec, exec, s[2:3]
	v_cmp_gt_u32_e64 s[2:3], 2, v1
	v_mov_b32_e32 v8, 0xff7fffff
	s_waitcnt lgkmcnt(0)
	v_lshlrev_b32_e32 v9, 2, v1
	s_barrier
	s_and_saveexec_b64 s[4:5], s[2:3]
	s_cbranch_execz .LBB152_18
; %bb.17:
	ds_read_b32 v8, v9 offset:512
.LBB152_18:
	s_or_b64 exec, exec, s[4:5]
	v_xor_b32_e32 v12, 1, v4
	v_cmp_lt_i32_e64 s[4:5], v12, v5
	v_cndmask_b32_e64 v12, v4, v12, s[4:5]
	v_lshlrev_b32_e32 v12, 2, v12
	s_waitcnt lgkmcnt(0)
	ds_bpermute_b32 v13, v12, v8
	v_max_f32_e32 v8, v8, v8
	s_sub_i32 s4, s16, s10
	s_lshl_b32 s4, s4, 3
	s_add_i32 s4, s4, s40
	s_waitcnt lgkmcnt(0)
	v_max_f32_e32 v13, v13, v13
	v_max_f32_e32 v8, v8, v13
	v_lshlrev_b32_e32 v13, 2, v4
	v_and_b32_e32 v13, 0xffffff00, v13
	ds_bpermute_b32 v8, v13, v8
	s_min_i32 s19, s4, s33
	s_sub_i32 s7, s19, s40
	v_cmp_gt_i32_e64 s[4:5], s7, v0
	v_mov_b32_e32 v16, 0
	s_and_saveexec_b64 s[12:13], s[4:5]
	s_cbranch_execz .LBB152_22
; %bb.19:
	v_mov_b32_e32 v16, 0x210
	v_lshl_add_u32 v17, v0, 2, v16
	s_mov_b64 s[36:37], 0
	v_mov_b32_e32 v16, 0
	v_mov_b32_e32 v18, v0
.LBB152_20:                             ; =>This Inner Loop Header: Depth=1
	ds_read_b32 v19, v17
	v_add_u32_e32 v18, 0x80, v18
	v_cmp_le_i32_e64 s[10:11], s7, v18
	s_or_b64 s[36:37], s[10:11], s[36:37]
	s_waitcnt lgkmcnt(0)
	v_sub_f32_e32 v19, v19, v8
	v_mul_f32_e32 v19, 0x3fb8aa3b, v19
	v_exp_f32_e32 v19, v19
	ds_write_b32 v17, v19
	v_add_f32_e32 v16, v16, v19
	v_add_u32_e32 v17, 0x200, v17
	s_andn2_b64 exec, exec, s[36:37]
	s_cbranch_execnz .LBB152_20
; %bb.21:
	s_or_b64 exec, exec, s[36:37]
.LBB152_22:
	s_or_b64 exec, exec, s[12:13]
	ds_bpermute_b32 v3, v3, v16
	s_waitcnt lgkmcnt(0)
	v_add_f32_e32 v3, v16, v3
	ds_bpermute_b32 v10, v10, v3
	s_waitcnt lgkmcnt(0)
	v_add_f32_e32 v3, v3, v10
	ds_bpermute_b32 v10, v11, v3
	v_xor_b32_e32 v11, 4, v4
	v_cmp_lt_i32_e64 s[10:11], v11, v5
	v_cndmask_b32_e64 v11, v4, v11, s[10:11]
	v_lshlrev_b32_e32 v11, 2, v11
	s_waitcnt lgkmcnt(0)
	v_add_f32_e32 v3, v3, v10
	ds_bpermute_b32 v10, v11, v3
	v_xor_b32_e32 v11, 2, v4
	v_cmp_lt_i32_e64 s[10:11], v11, v5
	v_cndmask_b32_e64 v4, v4, v11, s[10:11]
	v_lshlrev_b32_e32 v4, 2, v4
	s_waitcnt lgkmcnt(0)
	v_add_f32_e32 v3, v3, v10
	ds_bpermute_b32 v4, v4, v3
	s_waitcnt lgkmcnt(0)
	v_add_f32_e32 v3, v3, v4
	ds_bpermute_b32 v4, v12, v3
	s_waitcnt lgkmcnt(0)
	v_add_f32_e32 v3, v3, v4
	s_and_saveexec_b64 s[10:11], vcc
	s_cbranch_execz .LBB152_24
; %bb.23:
	ds_write_b32 v2, v3 offset:520
.LBB152_24:
	s_or_b64 exec, exec, s[10:11]
	s_waitcnt lgkmcnt(0)
	s_barrier
	s_and_saveexec_b64 s[10:11], s[2:3]
	s_cbranch_execz .LBB152_26
; %bb.25:
	ds_read_b32 v3, v9 offset:520
.LBB152_26:
	s_or_b64 exec, exec, s[10:11]
	s_waitcnt lgkmcnt(0)
	ds_bpermute_b32 v2, v12, v3
	s_waitcnt lgkmcnt(0)
	v_add_f32_e32 v2, v3, v2
	ds_bpermute_b32 v4, v13, v2
	s_and_saveexec_b64 s[2:3], s[4:5]
	s_cbranch_execz .LBB152_39
; %bb.27:
	s_waitcnt lgkmcnt(0)
	v_add_f32_e32 v2, 0x358637bd, v4
	v_div_scale_f32 v3, s[4:5], v2, v2, 1.0
	v_rcp_f32_e32 v5, v3
	v_div_scale_f32 v9, vcc, 1.0, v2, 1.0
	s_movk_i32 s4, 0x7f
	v_fma_f32 v10, -v3, v5, 1.0
	v_fmac_f32_e32 v5, v10, v5
	v_mul_f32_e32 v10, v9, v5
	v_fma_f32 v11, -v3, v10, v9
	v_fmac_f32_e32 v10, v11, v5
	v_fma_f32 v3, -v3, v10, v9
	v_div_fmas_f32 v3, v3, v5, v10
	v_div_fixup_f32 v2, v3, v2, 1.0
	v_xad_u32 v3, v0, -1, s19
	v_subrev_u32_e32 v5, s40, v3
	v_cmp_lt_u32_e32 vcc, s4, v5
	s_mov_b64 s[10:11], -1
	v_mov_b32_e32 v3, v0
	s_and_saveexec_b64 s[4:5], vcc
	s_cbranch_execz .LBB152_36
; %bb.28:
	v_lshrrev_b32_e32 v5, 7, v5
	v_add_u32_e32 v10, -1, v5
	v_lshrrev_b32_e32 v9, 1, v10
	v_mov_b32_e32 v3, v2
	v_add_u32_e32 v9, 1, v9
	v_cmp_lt_u32_e32 vcc, 13, v10
	v_mov_b32_e32 v12, 0
	s_and_saveexec_b64 s[10:11], vcc
	s_cbranch_execz .LBB152_32
; %bb.29:
	v_mov_b32_e32 v11, 0x210
	v_and_b32_e32 v10, -8, v9
	v_lshl_add_u32 v11, v0, 2, v11
	s_mov_b32 s19, 0
	s_mov_b64 s[12:13], 0
.LBB152_30:                             ; =>This Inner Loop Header: Depth=1
	ds_read2st64_b32 v[12:13], v11 offset1:2
	ds_read2st64_b32 v[16:17], v11 offset0:4 offset1:6
	ds_read2st64_b32 v[18:19], v11 offset0:8 offset1:10
	;; [unrolled: 1-line block ×3, first 2 shown]
	v_add_u32_e32 v10, -8, v10
	s_waitcnt lgkmcnt(3)
	v_pk_mul_f32 v[12:13], v[2:3], v[12:13]
	s_waitcnt lgkmcnt(2)
	v_pk_mul_f32 v[16:17], v[2:3], v[16:17]
	ds_write2st64_b32 v11, v12, v13 offset1:2
	ds_write2st64_b32 v11, v16, v17 offset0:4 offset1:6
	ds_read2st64_b32 v[16:17], v11 offset0:16 offset1:18
	s_waitcnt lgkmcnt(4)
	v_pk_mul_f32 v[12:13], v[2:3], v[18:19]
	ds_write2st64_b32 v11, v12, v13 offset0:8 offset1:10
	s_waitcnt lgkmcnt(4)
	v_pk_mul_f32 v[12:13], v[2:3], v[20:21]
	ds_write2st64_b32 v11, v12, v13 offset0:12 offset1:14
	ds_read2st64_b32 v[12:13], v11 offset0:20 offset1:22
	s_waitcnt lgkmcnt(3)
	v_pk_mul_f32 v[16:17], v[2:3], v[16:17]
	ds_read2st64_b32 v[18:19], v11 offset0:24 offset1:26
	ds_write2st64_b32 v11, v16, v17 offset0:16 offset1:18
	ds_read2st64_b32 v[16:17], v11 offset0:28 offset1:30
	s_waitcnt lgkmcnt(3)
	v_pk_mul_f32 v[12:13], v[2:3], v[12:13]
	ds_write2st64_b32 v11, v12, v13 offset0:20 offset1:22
	s_waitcnt lgkmcnt(3)
	v_pk_mul_f32 v[12:13], v[2:3], v[18:19]
	ds_write2st64_b32 v11, v12, v13 offset0:24 offset1:26
	s_waitcnt lgkmcnt(2)
	v_pk_mul_f32 v[12:13], v[2:3], v[16:17]
	s_add_i32 s19, s19, 16
	v_cmp_eq_u32_e32 vcc, 0, v10
	ds_write2st64_b32 v11, v12, v13 offset0:28 offset1:30
	v_add_u32_e32 v11, 0x2000, v11
	s_or_b64 s[12:13], vcc, s[12:13]
	v_mov_b32_e32 v12, s19
	s_andn2_b64 exec, exec, s[12:13]
	s_cbranch_execnz .LBB152_30
; %bb.31:
	s_or_b64 exec, exec, s[12:13]
.LBB152_32:
	s_or_b64 exec, exec, s[10:11]
	v_and_b32_e32 v9, 7, v9
	v_cmp_ne_u32_e32 vcc, 0, v9
	s_and_saveexec_b64 s[10:11], vcc
	s_cbranch_execz .LBB152_35
; %bb.33:
	v_lshlrev_b32_e32 v10, 9, v12
	v_lshlrev_b32_e32 v11, 2, v0
	s_movk_i32 s12, 0x210
	v_add3_u32 v10, v10, v11, s12
	s_mov_b64 s[12:13], 0
.LBB152_34:                             ; =>This Inner Loop Header: Depth=1
	ds_read2st64_b32 v[12:13], v10 offset1:2
	v_add_u32_e32 v9, -1, v9
	v_cmp_eq_u32_e32 vcc, 0, v9
	s_or_b64 s[12:13], vcc, s[12:13]
	s_waitcnt lgkmcnt(0)
	v_pk_mul_f32 v[12:13], v[2:3], v[12:13]
	ds_write2st64_b32 v10, v12, v13 offset1:2
	v_add_u32_e32 v10, 0x400, v10
	s_andn2_b64 exec, exec, s[12:13]
	s_cbranch_execnz .LBB152_34
.LBB152_35:
	s_or_b64 exec, exec, s[10:11]
	v_add_u32_e32 v5, 1, v5
	v_and_b32_e32 v9, 0x3fffffe, v5
	v_cmp_ne_u32_e32 vcc, v5, v9
	v_lshl_add_u32 v3, v9, 7, v0
	s_orn2_b64 s[10:11], vcc, exec
.LBB152_36:
	s_or_b64 exec, exec, s[4:5]
	s_and_b64 exec, exec, s[10:11]
	s_cbranch_execz .LBB152_39
; %bb.37:
	v_mov_b32_e32 v5, 0x210
	v_lshl_add_u32 v5, v3, 2, v5
	s_mov_b64 s[4:5], 0
.LBB152_38:                             ; =>This Inner Loop Header: Depth=1
	ds_read_b32 v9, v5
	v_add_u32_e32 v3, 0x80, v3
	v_cmp_le_i32_e32 vcc, s7, v3
	s_or_b64 s[4:5], vcc, s[4:5]
	s_waitcnt lgkmcnt(0)
	v_mul_f32_e32 v9, v2, v9
	ds_write_b32 v5, v9
	v_add_u32_e32 v5, 0x200, v5
	s_andn2_b64 exec, exec, s[4:5]
	s_cbranch_execnz .LBB152_38
.LBB152_39:
	s_or_b64 exec, exec, s[2:3]
	s_mul_i32 s2, s29, s28
	s_mov_b32 s4, 0
	v_cmp_eq_u32_e32 vcc, 0, v0
	s_mul_i32 s2, s2, s9
	s_waitcnt lgkmcnt(0)
	s_barrier
	s_and_saveexec_b64 s[10:11], vcc
	s_cbranch_execz .LBB152_41
; %bb.40:
	s_ashr_i32 s3, s2, 31
	s_lshl_b64 s[12:13], s[2:3], 2
	s_add_u32 s3, s22, s12
	s_mul_i32 s6, s29, s6
	s_addc_u32 s5, s23, s13
	s_ashr_i32 s7, s6, 31
	s_lshl_b64 s[6:7], s[6:7], 2
	s_add_u32 s3, s3, s6
	s_addc_u32 s5, s5, s7
	s_ashr_i32 s9, s8, 31
	s_lshl_b64 s[22:23], s[8:9], 2
	s_add_u32 s36, s3, s22
	s_addc_u32 s37, s5, s23
	s_add_u32 s3, s20, s12
	s_addc_u32 s5, s21, s13
	;; [unrolled: 2-line block ×3, first 2 shown]
	s_add_u32 s6, s3, s22
	v_mov_b32_e32 v2, 0
	s_addc_u32 s7, s5, s23
	global_store_dword v2, v8, s[36:37]
	global_store_dword v2, v4, s[6:7]
.LBB152_41:
	s_or_b64 exec, exec, s[10:11]
	s_mov_b32 s5, s4
	s_mov_b32 s6, s4
	;; [unrolled: 1-line block ×3, first 2 shown]
	v_pk_mov_b32 v[2:3], s[4:5], s[4:5] op_sel:[0,1]
	v_pk_mov_b32 v[4:5], s[6:7], s[6:7] op_sel:[0,1]
	s_and_saveexec_b64 s[4:5], s[0:1]
	s_cbranch_execz .LBB152_213
; %bb.42:
	s_ashr_i32 s19, s18, 31
	s_lshl_b64 s[0:1], s[18:19], 1
	s_add_u32 s0, s14, s0
	s_addc_u32 s1, s15, s1
	v_lshlrev_b32_e32 v2, 4, v1
	s_add_i32 s9, s27, -1
	v_mov_b32_e32 v3, s1
	v_add_co_u32_e32 v18, vcc, s0, v2
	s_lshl_b64 s[0:1], s[34:35], 2
	v_mov_b32_e32 v2, 0x210
	s_add_u32 s0, s30, s0
	v_addc_co_u32_e32 v19, vcc, 0, v3, vcc
	v_lshl_add_u32 v21, v6, 5, v2
	v_lshlrev_b64 v[2:3], 2, v[14:15]
	s_addc_u32 s1, s31, s1
	v_mov_b32_e32 v4, s1
	v_add_co_u32_e32 v16, vcc, s0, v2
	s_mov_b32 s3, s17
	v_add3_u32 v20, s40, v7, 7
	v_addc_co_u32_e32 v17, vcc, v4, v3, vcc
	s_mov_b64 s[6:7], 0
	v_mov_b32_e32 v15, 0
	s_mov_b32 s12, 0x7f800000
	s_movk_i32 s13, 0x7fff
	v_mov_b32_e32 v2, 0
	v_mov_b32_e32 v3, 0
	;; [unrolled: 1-line block ×4, first 2 shown]
	s_branch .LBB152_44
.LBB152_43:                             ;   in Loop: Header=BB152_44 Depth=1
	s_or_b64 exec, exec, s[0:1]
	v_and_b32_e32 v33, 0xffff0000, v23
	v_and_b32_e32 v32, 0xffff0000, v13
	;; [unrolled: 1-line block ×8, first 2 shown]
	v_pk_add_f32 v[12:13], v[12:13], v[32:33]
	v_pk_add_f32 v[22:23], v[24:25], v[30:31]
	v_add_f32_e32 v12, v12, v13
	v_add_f32_e32 v12, v12, v22
	;; [unrolled: 1-line block ×3, first 2 shown]
	v_and_b32_e32 v25, 0xffff0000, v46
	v_and_b32_e32 v24, 0xffff0000, v44
	;; [unrolled: 1-line block ×4, first 2 shown]
	v_add_f32_e32 v2, v2, v12
	v_and_b32_e32 v13, 0xffff0000, v50
	v_and_b32_e32 v12, 0xffff0000, v48
	;; [unrolled: 1-line block ×4, first 2 shown]
	v_pk_add_f32 v[24:25], v[30:31], v[24:25]
	v_pk_add_f32 v[12:13], v[22:23], v[12:13]
	v_add_f32_e32 v22, v24, v25
	v_add_f32_e32 v12, v22, v12
	;; [unrolled: 1-line block ×3, first 2 shown]
	v_and_b32_e32 v25, 0xffff0000, v54
	v_and_b32_e32 v24, 0xffff0000, v52
	;; [unrolled: 1-line block ×4, first 2 shown]
	v_add_f32_e32 v3, v3, v12
	v_and_b32_e32 v13, 0xffff0000, v58
	v_and_b32_e32 v12, 0xffff0000, v56
	;; [unrolled: 1-line block ×4, first 2 shown]
	v_pk_add_f32 v[24:25], v[30:31], v[24:25]
	v_pk_add_f32 v[12:13], v[22:23], v[12:13]
	v_add_f32_e32 v22, v24, v25
	v_add_f32_e32 v12, v22, v12
	;; [unrolled: 1-line block ×3, first 2 shown]
	v_and_b32_e32 v13, 0xffff0000, v11
	v_and_b32_e32 v11, 0xffff0000, v27
	;; [unrolled: 1-line block ×5, first 2 shown]
	v_add_f32_e32 v4, v4, v12
	v_and_b32_e32 v12, 0xffff0000, v28
	v_and_b32_e32 v9, 0xffff0000, v9
	;; [unrolled: 1-line block ×3, first 2 shown]
	v_pk_add_f32 v[6:7], v[6:7], v[10:11]
	v_pk_add_f32 v[8:9], v[8:9], v[12:13]
	v_add_f32_e32 v6, v6, v7
	v_add_u32_e32 v14, 2, v14
	v_add_f32_e32 v6, v6, v8
	v_cmp_le_i32_e32 vcc, s16, v14
	v_add_f32_e32 v6, v6, v9
	s_or_b64 s[6:7], vcc, s[6:7]
	v_add_co_u32_e32 v16, vcc, 8, v16
	v_add_f32_e32 v5, v5, v6
	v_add_u32_e32 v20, 16, v20
	v_add_u32_e32 v21, 64, v21
	v_addc_co_u32_e32 v17, vcc, 0, v17, vcc
	s_andn2_b64 exec, exec, s[6:7]
	s_cbranch_execz .LBB152_212
.LBB152_44:                             ; =>This Inner Loop Header: Depth=1
	global_load_dword v27, v[16:17], off
	ds_read2_b64 v[10:13], v21 offset1:1
	ds_read2_b64 v[6:9], v21 offset0:2 offset1:3
                                        ; implicit-def: $vgpr35
	s_waitcnt lgkmcnt(1)
	v_and_b32_e32 v22, 0x7f800000, v10
	v_cmp_ne_u32_e32 vcc, s12, v22
	s_and_saveexec_b64 s[0:1], vcc
	s_xor_b64 s[0:1], exec, s[0:1]
; %bb.45:                               ;   in Loop: Header=BB152_44 Depth=1
	v_bfe_u32 v22, v10, 16, 1
	v_add3_u32 v35, v10, v22, s13
; %bb.46:                               ;   in Loop: Header=BB152_44 Depth=1
	s_andn2_saveexec_b64 s[0:1], s[0:1]
; %bb.47:                               ;   in Loop: Header=BB152_44 Depth=1
	v_or_b32_e32 v22, 0x10000, v10
	v_cmp_eq_u32_sdwa vcc, v10, v15 src0_sel:WORD_0 src1_sel:DWORD
	v_cndmask_b32_e32 v35, v22, v10, vcc
; %bb.48:                               ;   in Loop: Header=BB152_44 Depth=1
	s_or_b64 exec, exec, s[0:1]
	v_and_b32_e32 v10, 0x7f800000, v11
	v_cmp_ne_u32_e32 vcc, s12, v10
                                        ; implicit-def: $vgpr36
	s_and_saveexec_b64 s[0:1], vcc
	s_xor_b64 s[0:1], exec, s[0:1]
; %bb.49:                               ;   in Loop: Header=BB152_44 Depth=1
	v_bfe_u32 v10, v11, 16, 1
	v_add3_u32 v36, v11, v10, s13
; %bb.50:                               ;   in Loop: Header=BB152_44 Depth=1
	s_andn2_saveexec_b64 s[0:1], s[0:1]
; %bb.51:                               ;   in Loop: Header=BB152_44 Depth=1
	v_or_b32_e32 v10, 0x10000, v11
	v_cmp_eq_u32_sdwa vcc, v11, v15 src0_sel:WORD_0 src1_sel:DWORD
	v_cndmask_b32_e32 v36, v10, v11, vcc
; %bb.52:                               ;   in Loop: Header=BB152_44 Depth=1
	s_or_b64 exec, exec, s[0:1]
	v_and_b32_e32 v10, 0x7f800000, v12
	v_cmp_ne_u32_e32 vcc, s12, v10
                                        ; implicit-def: $vgpr22
	s_and_saveexec_b64 s[0:1], vcc
	s_xor_b64 s[0:1], exec, s[0:1]
; %bb.53:                               ;   in Loop: Header=BB152_44 Depth=1
	v_bfe_u32 v10, v12, 16, 1
	v_add3_u32 v22, v12, v10, s13
; %bb.54:                               ;   in Loop: Header=BB152_44 Depth=1
	s_andn2_saveexec_b64 s[0:1], s[0:1]
; %bb.55:                               ;   in Loop: Header=BB152_44 Depth=1
	v_or_b32_e32 v10, 0x10000, v12
	v_cmp_eq_u32_sdwa vcc, v12, v15 src0_sel:WORD_0 src1_sel:DWORD
	v_cndmask_b32_e32 v22, v10, v12, vcc
; %bb.56:                               ;   in Loop: Header=BB152_44 Depth=1
	s_or_b64 exec, exec, s[0:1]
	v_and_b32_e32 v10, 0x7f800000, v13
	v_cmp_ne_u32_e32 vcc, s12, v10
                                        ; implicit-def: $vgpr23
	s_and_saveexec_b64 s[0:1], vcc
	s_xor_b64 s[0:1], exec, s[0:1]
; %bb.57:                               ;   in Loop: Header=BB152_44 Depth=1
	v_bfe_u32 v10, v13, 16, 1
	v_add3_u32 v23, v13, v10, s13
                                        ; implicit-def: $vgpr10_vgpr11_vgpr12_vgpr13
; %bb.58:                               ;   in Loop: Header=BB152_44 Depth=1
	s_andn2_saveexec_b64 s[0:1], s[0:1]
; %bb.59:                               ;   in Loop: Header=BB152_44 Depth=1
	v_or_b32_e32 v10, 0x10000, v13
	v_cmp_eq_u32_sdwa vcc, v13, v15 src0_sel:WORD_0 src1_sel:DWORD
	v_cndmask_b32_e32 v23, v10, v13, vcc
; %bb.60:                               ;   in Loop: Header=BB152_44 Depth=1
	s_or_b64 exec, exec, s[0:1]
	s_waitcnt lgkmcnt(0)
	v_and_b32_e32 v10, 0x7f800000, v6
	v_cmp_ne_u32_e32 vcc, s12, v10
                                        ; implicit-def: $vgpr24
	s_and_saveexec_b64 s[0:1], vcc
	s_xor_b64 s[0:1], exec, s[0:1]
; %bb.61:                               ;   in Loop: Header=BB152_44 Depth=1
	v_bfe_u32 v10, v6, 16, 1
	v_add3_u32 v24, v6, v10, s13
; %bb.62:                               ;   in Loop: Header=BB152_44 Depth=1
	s_andn2_saveexec_b64 s[0:1], s[0:1]
; %bb.63:                               ;   in Loop: Header=BB152_44 Depth=1
	v_or_b32_e32 v10, 0x10000, v6
	v_cmp_eq_u32_sdwa vcc, v6, v15 src0_sel:WORD_0 src1_sel:DWORD
	v_cndmask_b32_e32 v24, v10, v6, vcc
; %bb.64:                               ;   in Loop: Header=BB152_44 Depth=1
	s_or_b64 exec, exec, s[0:1]
	v_and_b32_e32 v6, 0x7f800000, v7
	v_cmp_ne_u32_e32 vcc, s12, v6
                                        ; implicit-def: $vgpr25
	s_and_saveexec_b64 s[0:1], vcc
	s_xor_b64 s[0:1], exec, s[0:1]
; %bb.65:                               ;   in Loop: Header=BB152_44 Depth=1
	v_bfe_u32 v6, v7, 16, 1
	v_add3_u32 v25, v7, v6, s13
; %bb.66:                               ;   in Loop: Header=BB152_44 Depth=1
	s_andn2_saveexec_b64 s[0:1], s[0:1]
; %bb.67:                               ;   in Loop: Header=BB152_44 Depth=1
	v_or_b32_e32 v6, 0x10000, v7
	v_cmp_eq_u32_sdwa vcc, v7, v15 src0_sel:WORD_0 src1_sel:DWORD
	v_cndmask_b32_e32 v25, v6, v7, vcc
; %bb.68:                               ;   in Loop: Header=BB152_44 Depth=1
	s_or_b64 exec, exec, s[0:1]
	v_and_b32_e32 v6, 0x7f800000, v8
	v_cmp_ne_u32_e32 vcc, s12, v6
                                        ; implicit-def: $vgpr26
	s_and_saveexec_b64 s[0:1], vcc
	s_xor_b64 s[0:1], exec, s[0:1]
; %bb.69:                               ;   in Loop: Header=BB152_44 Depth=1
	v_bfe_u32 v6, v8, 16, 1
	v_add3_u32 v26, v8, v6, s13
; %bb.70:                               ;   in Loop: Header=BB152_44 Depth=1
	s_andn2_saveexec_b64 s[0:1], s[0:1]
; %bb.71:                               ;   in Loop: Header=BB152_44 Depth=1
	v_or_b32_e32 v6, 0x10000, v8
	v_cmp_eq_u32_sdwa vcc, v8, v15 src0_sel:WORD_0 src1_sel:DWORD
	v_cndmask_b32_e32 v26, v6, v8, vcc
; %bb.72:                               ;   in Loop: Header=BB152_44 Depth=1
	s_or_b64 exec, exec, s[0:1]
	v_and_b32_e32 v6, 0x7f800000, v9
	v_cmp_ne_u32_e32 vcc, s12, v6
                                        ; implicit-def: $vgpr34
	s_and_saveexec_b64 s[0:1], vcc
	s_xor_b64 s[0:1], exec, s[0:1]
; %bb.73:                               ;   in Loop: Header=BB152_44 Depth=1
	v_bfe_u32 v6, v9, 16, 1
	v_add3_u32 v34, v9, v6, s13
                                        ; implicit-def: $vgpr6_vgpr7_vgpr8_vgpr9
; %bb.74:                               ;   in Loop: Header=BB152_44 Depth=1
	s_andn2_saveexec_b64 s[0:1], s[0:1]
; %bb.75:                               ;   in Loop: Header=BB152_44 Depth=1
	v_or_b32_e32 v6, 0x10000, v9
	v_cmp_eq_u32_sdwa vcc, v9, v15 src0_sel:WORD_0 src1_sel:DWORD
	v_cndmask_b32_e32 v34, v6, v9, vcc
; %bb.76:                               ;   in Loop: Header=BB152_44 Depth=1
	s_or_b64 exec, exec, s[0:1]
	s_waitcnt vmcnt(0)
	v_mad_i64_i32 v[6:7], s[0:1], v27, s3, 0
	v_lshlrev_b64 v[6:7], 1, v[6:7]
	v_add_co_u32_e32 v10, vcc, v18, v6
	v_addc_co_u32_e32 v11, vcc, v19, v7, vcc
	global_load_dwordx4 v[6:9], v[10:11], off
	v_add_u32_e32 v27, -7, v20
	v_cmp_eq_u32_e32 vcc, s9, v14
	v_add_u32_e32 v33, -6, v20
	v_add_u32_e32 v31, -5, v20
	;; [unrolled: 1-line block ×6, first 2 shown]
	s_waitcnt vmcnt(0)
	v_lshrrev_b32_e32 v13, 16, v6
	v_lshrrev_b32_e32 v39, 16, v7
	;; [unrolled: 1-line block ×4, first 2 shown]
	s_and_saveexec_b64 s[10:11], vcc
	s_cbranch_execz .LBB152_78
; %bb.77:                               ;   in Loop: Header=BB152_44 Depth=1
	v_cmp_gt_i32_e64 s[0:1], s33, v27
	v_cndmask_b32_e64 v6, 0, v6, s[0:1]
	v_cmp_gt_i32_e64 s[0:1], s33, v33
	v_cndmask_b32_e64 v13, 0, v13, s[0:1]
	;; [unrolled: 2-line block ×8, first 2 shown]
.LBB152_78:                             ;   in Loop: Header=BB152_44 Depth=1
	s_or_b64 exec, exec, s[10:11]
	v_and_b32_e32 v35, 0xffff0000, v35
	v_lshlrev_b32_e32 v6, 16, v6
	v_mul_f32_e32 v6, v35, v6
	v_and_b32_e32 v12, 0x7f800000, v6
	v_cmp_ne_u32_e64 s[0:1], s12, v12
                                        ; implicit-def: $vgpr12
	s_and_saveexec_b64 s[10:11], s[0:1]
	s_xor_b64 s[0:1], exec, s[10:11]
; %bb.79:                               ;   in Loop: Header=BB152_44 Depth=1
	v_bfe_u32 v12, v6, 16, 1
	v_add3_u32 v12, v6, v12, s13
                                        ; implicit-def: $vgpr6
; %bb.80:                               ;   in Loop: Header=BB152_44 Depth=1
	s_andn2_saveexec_b64 s[10:11], s[0:1]
; %bb.81:                               ;   in Loop: Header=BB152_44 Depth=1
	v_or_b32_e32 v12, 0x10000, v6
	v_cmp_eq_u32_sdwa s[0:1], v6, v15 src0_sel:WORD_0 src1_sel:DWORD
	v_cndmask_b32_e64 v12, v12, v6, s[0:1]
; %bb.82:                               ;   in Loop: Header=BB152_44 Depth=1
	s_or_b64 exec, exec, s[10:11]
	v_and_b32_e32 v36, 0xffff0000, v36
	v_lshlrev_b32_e32 v6, 16, v13
	v_mul_f32_e32 v6, v36, v6
	v_and_b32_e32 v13, 0x7f800000, v6
	v_cmp_ne_u32_e64 s[0:1], s12, v13
                                        ; implicit-def: $vgpr13
	s_and_saveexec_b64 s[10:11], s[0:1]
	s_xor_b64 s[0:1], exec, s[10:11]
; %bb.83:                               ;   in Loop: Header=BB152_44 Depth=1
	v_bfe_u32 v13, v6, 16, 1
	v_add3_u32 v13, v6, v13, s13
                                        ; implicit-def: $vgpr6
; %bb.84:                               ;   in Loop: Header=BB152_44 Depth=1
	s_andn2_saveexec_b64 s[10:11], s[0:1]
; %bb.85:                               ;   in Loop: Header=BB152_44 Depth=1
	v_or_b32_e32 v13, 0x10000, v6
	v_cmp_eq_u32_sdwa s[0:1], v6, v15 src0_sel:WORD_0 src1_sel:DWORD
	v_cndmask_b32_e64 v13, v13, v6, s[0:1]
; %bb.86:                               ;   in Loop: Header=BB152_44 Depth=1
	s_or_b64 exec, exec, s[10:11]
	v_and_b32_e32 v37, 0xffff0000, v22
	v_lshlrev_b32_e32 v6, 16, v7
	v_mul_f32_e32 v6, v37, v6
	v_and_b32_e32 v7, 0x7f800000, v6
	v_cmp_ne_u32_e64 s[0:1], s12, v7
                                        ; implicit-def: $vgpr22
	s_and_saveexec_b64 s[10:11], s[0:1]
	s_xor_b64 s[0:1], exec, s[10:11]
; %bb.87:                               ;   in Loop: Header=BB152_44 Depth=1
	v_bfe_u32 v7, v6, 16, 1
	v_add3_u32 v22, v6, v7, s13
                                        ; implicit-def: $vgpr6
; %bb.88:                               ;   in Loop: Header=BB152_44 Depth=1
	s_andn2_saveexec_b64 s[10:11], s[0:1]
; %bb.89:                               ;   in Loop: Header=BB152_44 Depth=1
	v_or_b32_e32 v7, 0x10000, v6
	v_cmp_eq_u32_sdwa s[0:1], v6, v15 src0_sel:WORD_0 src1_sel:DWORD
	v_cndmask_b32_e64 v22, v7, v6, s[0:1]
; %bb.90:                               ;   in Loop: Header=BB152_44 Depth=1
	s_or_b64 exec, exec, s[10:11]
	v_and_b32_e32 v38, 0xffff0000, v23
	v_lshlrev_b32_e32 v6, 16, v39
	v_mul_f32_e32 v6, v38, v6
	v_and_b32_e32 v7, 0x7f800000, v6
	v_cmp_ne_u32_e64 s[0:1], s12, v7
                                        ; implicit-def: $vgpr23
	s_and_saveexec_b64 s[10:11], s[0:1]
	s_xor_b64 s[0:1], exec, s[10:11]
; %bb.91:                               ;   in Loop: Header=BB152_44 Depth=1
	v_bfe_u32 v7, v6, 16, 1
	v_add3_u32 v23, v6, v7, s13
                                        ; implicit-def: $vgpr6
; %bb.92:                               ;   in Loop: Header=BB152_44 Depth=1
	s_andn2_saveexec_b64 s[10:11], s[0:1]
; %bb.93:                               ;   in Loop: Header=BB152_44 Depth=1
	v_or_b32_e32 v7, 0x10000, v6
	v_cmp_eq_u32_sdwa s[0:1], v6, v15 src0_sel:WORD_0 src1_sel:DWORD
	v_cndmask_b32_e64 v23, v7, v6, s[0:1]
; %bb.94:                               ;   in Loop: Header=BB152_44 Depth=1
	s_or_b64 exec, exec, s[10:11]
	v_and_b32_e32 v39, 0xffff0000, v24
	v_lshlrev_b32_e32 v6, 16, v8
	v_mul_f32_e32 v6, v39, v6
	v_and_b32_e32 v7, 0x7f800000, v6
	v_cmp_ne_u32_e64 s[0:1], s12, v7
                                        ; implicit-def: $vgpr24
	s_and_saveexec_b64 s[10:11], s[0:1]
	s_xor_b64 s[0:1], exec, s[10:11]
; %bb.95:                               ;   in Loop: Header=BB152_44 Depth=1
	v_bfe_u32 v7, v6, 16, 1
	v_add3_u32 v24, v6, v7, s13
                                        ; implicit-def: $vgpr6
; %bb.96:                               ;   in Loop: Header=BB152_44 Depth=1
	s_andn2_saveexec_b64 s[10:11], s[0:1]
; %bb.97:                               ;   in Loop: Header=BB152_44 Depth=1
	v_or_b32_e32 v7, 0x10000, v6
	v_cmp_eq_u32_sdwa s[0:1], v6, v15 src0_sel:WORD_0 src1_sel:DWORD
	v_cndmask_b32_e64 v24, v7, v6, s[0:1]
; %bb.98:                               ;   in Loop: Header=BB152_44 Depth=1
	s_or_b64 exec, exec, s[10:11]
	v_and_b32_e32 v40, 0xffff0000, v25
	v_lshlrev_b32_e32 v6, 16, v41
	v_mul_f32_e32 v6, v40, v6
	v_and_b32_e32 v7, 0x7f800000, v6
	v_cmp_ne_u32_e64 s[0:1], s12, v7
                                        ; implicit-def: $vgpr25
	s_and_saveexec_b64 s[10:11], s[0:1]
	s_xor_b64 s[0:1], exec, s[10:11]
; %bb.99:                               ;   in Loop: Header=BB152_44 Depth=1
	v_bfe_u32 v7, v6, 16, 1
	v_add3_u32 v25, v6, v7, s13
                                        ; implicit-def: $vgpr6
; %bb.100:                              ;   in Loop: Header=BB152_44 Depth=1
	s_andn2_saveexec_b64 s[10:11], s[0:1]
; %bb.101:                              ;   in Loop: Header=BB152_44 Depth=1
	v_or_b32_e32 v7, 0x10000, v6
	v_cmp_eq_u32_sdwa s[0:1], v6, v15 src0_sel:WORD_0 src1_sel:DWORD
	v_cndmask_b32_e64 v25, v7, v6, s[0:1]
; %bb.102:                              ;   in Loop: Header=BB152_44 Depth=1
	s_or_b64 exec, exec, s[10:11]
	v_and_b32_e32 v41, 0xffff0000, v26
	v_lshlrev_b32_e32 v6, 16, v9
	v_mul_f32_e32 v6, v41, v6
	v_and_b32_e32 v7, 0x7f800000, v6
	v_cmp_ne_u32_e64 s[0:1], s12, v7
                                        ; implicit-def: $vgpr26
	s_and_saveexec_b64 s[10:11], s[0:1]
	s_xor_b64 s[0:1], exec, s[10:11]
; %bb.103:                              ;   in Loop: Header=BB152_44 Depth=1
	v_bfe_u32 v7, v6, 16, 1
	v_add3_u32 v26, v6, v7, s13
                                        ; implicit-def: $vgpr6
; %bb.104:                              ;   in Loop: Header=BB152_44 Depth=1
	s_andn2_saveexec_b64 s[10:11], s[0:1]
; %bb.105:                              ;   in Loop: Header=BB152_44 Depth=1
	v_or_b32_e32 v7, 0x10000, v6
	v_cmp_eq_u32_sdwa s[0:1], v6, v15 src0_sel:WORD_0 src1_sel:DWORD
	v_cndmask_b32_e64 v26, v7, v6, s[0:1]
; %bb.106:                              ;   in Loop: Header=BB152_44 Depth=1
	s_or_b64 exec, exec, s[10:11]
	v_and_b32_e32 v42, 0xffff0000, v34
	v_lshlrev_b32_e32 v6, 16, v43
	v_mul_f32_e32 v6, v42, v6
	v_and_b32_e32 v7, 0x7f800000, v6
	v_cmp_ne_u32_e64 s[0:1], s12, v7
                                        ; implicit-def: $vgpr34
	s_and_saveexec_b64 s[10:11], s[0:1]
	s_xor_b64 s[0:1], exec, s[10:11]
; %bb.107:                              ;   in Loop: Header=BB152_44 Depth=1
	v_bfe_u32 v7, v6, 16, 1
	v_add3_u32 v34, v6, v7, s13
                                        ; implicit-def: $vgpr6
; %bb.108:                              ;   in Loop: Header=BB152_44 Depth=1
	s_andn2_saveexec_b64 s[10:11], s[0:1]
; %bb.109:                              ;   in Loop: Header=BB152_44 Depth=1
	v_or_b32_e32 v7, 0x10000, v6
	v_cmp_eq_u32_sdwa s[0:1], v6, v15 src0_sel:WORD_0 src1_sel:DWORD
	v_cndmask_b32_e64 v34, v7, v6, s[0:1]
; %bb.110:                              ;   in Loop: Header=BB152_44 Depth=1
	s_or_b64 exec, exec, s[10:11]
	global_load_dwordx4 v[6:9], v[10:11], off offset:1024
	s_waitcnt vmcnt(0)
	v_lshrrev_b32_e32 v44, 16, v6
	v_lshrrev_b32_e32 v46, 16, v7
	;; [unrolled: 1-line block ×4, first 2 shown]
	s_and_saveexec_b64 s[10:11], vcc
	s_cbranch_execz .LBB152_112
; %bb.111:                              ;   in Loop: Header=BB152_44 Depth=1
	v_cmp_gt_i32_e64 s[0:1], s33, v27
	v_cndmask_b32_e64 v6, 0, v6, s[0:1]
	v_cmp_gt_i32_e64 s[0:1], s33, v33
	v_cndmask_b32_e64 v44, 0, v44, s[0:1]
	;; [unrolled: 2-line block ×8, first 2 shown]
.LBB152_112:                            ;   in Loop: Header=BB152_44 Depth=1
	s_or_b64 exec, exec, s[10:11]
	v_lshlrev_b32_e32 v6, 16, v6
	v_mul_f32_e32 v6, v35, v6
	v_and_b32_e32 v43, 0x7f800000, v6
	v_cmp_ne_u32_e64 s[0:1], s12, v43
                                        ; implicit-def: $vgpr43
	s_and_saveexec_b64 s[10:11], s[0:1]
	s_xor_b64 s[0:1], exec, s[10:11]
; %bb.113:                              ;   in Loop: Header=BB152_44 Depth=1
	v_bfe_u32 v43, v6, 16, 1
	v_add3_u32 v43, v6, v43, s13
                                        ; implicit-def: $vgpr6
; %bb.114:                              ;   in Loop: Header=BB152_44 Depth=1
	s_andn2_saveexec_b64 s[10:11], s[0:1]
; %bb.115:                              ;   in Loop: Header=BB152_44 Depth=1
	v_or_b32_e32 v43, 0x10000, v6
	v_cmp_eq_u32_sdwa s[0:1], v6, v15 src0_sel:WORD_0 src1_sel:DWORD
	v_cndmask_b32_e64 v43, v43, v6, s[0:1]
; %bb.116:                              ;   in Loop: Header=BB152_44 Depth=1
	s_or_b64 exec, exec, s[10:11]
	v_lshlrev_b32_e32 v6, 16, v44
	v_mul_f32_e32 v6, v36, v6
	v_and_b32_e32 v44, 0x7f800000, v6
	v_cmp_ne_u32_e64 s[0:1], s12, v44
                                        ; implicit-def: $vgpr44
	s_and_saveexec_b64 s[10:11], s[0:1]
	s_xor_b64 s[0:1], exec, s[10:11]
; %bb.117:                              ;   in Loop: Header=BB152_44 Depth=1
	v_bfe_u32 v44, v6, 16, 1
	v_add3_u32 v44, v6, v44, s13
                                        ; implicit-def: $vgpr6
; %bb.118:                              ;   in Loop: Header=BB152_44 Depth=1
	s_andn2_saveexec_b64 s[10:11], s[0:1]
; %bb.119:                              ;   in Loop: Header=BB152_44 Depth=1
	v_or_b32_e32 v44, 0x10000, v6
	v_cmp_eq_u32_sdwa s[0:1], v6, v15 src0_sel:WORD_0 src1_sel:DWORD
	v_cndmask_b32_e64 v44, v44, v6, s[0:1]
; %bb.120:                              ;   in Loop: Header=BB152_44 Depth=1
	s_or_b64 exec, exec, s[10:11]
	v_lshlrev_b32_e32 v6, 16, v7
	v_mul_f32_e32 v6, v37, v6
	v_and_b32_e32 v7, 0x7f800000, v6
	v_cmp_ne_u32_e64 s[0:1], s12, v7
                                        ; implicit-def: $vgpr45
	s_and_saveexec_b64 s[10:11], s[0:1]
	s_xor_b64 s[0:1], exec, s[10:11]
; %bb.121:                              ;   in Loop: Header=BB152_44 Depth=1
	v_bfe_u32 v7, v6, 16, 1
	v_add3_u32 v45, v6, v7, s13
                                        ; implicit-def: $vgpr6
; %bb.122:                              ;   in Loop: Header=BB152_44 Depth=1
	s_andn2_saveexec_b64 s[10:11], s[0:1]
; %bb.123:                              ;   in Loop: Header=BB152_44 Depth=1
	v_or_b32_e32 v7, 0x10000, v6
	v_cmp_eq_u32_sdwa s[0:1], v6, v15 src0_sel:WORD_0 src1_sel:DWORD
	v_cndmask_b32_e64 v45, v7, v6, s[0:1]
; %bb.124:                              ;   in Loop: Header=BB152_44 Depth=1
	s_or_b64 exec, exec, s[10:11]
	v_lshlrev_b32_e32 v6, 16, v46
	v_mul_f32_e32 v6, v38, v6
	v_and_b32_e32 v7, 0x7f800000, v6
	v_cmp_ne_u32_e64 s[0:1], s12, v7
                                        ; implicit-def: $vgpr46
	s_and_saveexec_b64 s[10:11], s[0:1]
	s_xor_b64 s[0:1], exec, s[10:11]
; %bb.125:                              ;   in Loop: Header=BB152_44 Depth=1
	v_bfe_u32 v7, v6, 16, 1
	v_add3_u32 v46, v6, v7, s13
                                        ; implicit-def: $vgpr6
; %bb.126:                              ;   in Loop: Header=BB152_44 Depth=1
	s_andn2_saveexec_b64 s[10:11], s[0:1]
; %bb.127:                              ;   in Loop: Header=BB152_44 Depth=1
	v_or_b32_e32 v7, 0x10000, v6
	v_cmp_eq_u32_sdwa s[0:1], v6, v15 src0_sel:WORD_0 src1_sel:DWORD
	v_cndmask_b32_e64 v46, v7, v6, s[0:1]
; %bb.128:                              ;   in Loop: Header=BB152_44 Depth=1
	s_or_b64 exec, exec, s[10:11]
	v_lshlrev_b32_e32 v6, 16, v8
	v_mul_f32_e32 v6, v39, v6
	v_and_b32_e32 v7, 0x7f800000, v6
	v_cmp_ne_u32_e64 s[0:1], s12, v7
                                        ; implicit-def: $vgpr47
	s_and_saveexec_b64 s[10:11], s[0:1]
	s_xor_b64 s[0:1], exec, s[10:11]
; %bb.129:                              ;   in Loop: Header=BB152_44 Depth=1
	v_bfe_u32 v7, v6, 16, 1
	v_add3_u32 v47, v6, v7, s13
                                        ; implicit-def: $vgpr6
; %bb.130:                              ;   in Loop: Header=BB152_44 Depth=1
	s_andn2_saveexec_b64 s[10:11], s[0:1]
; %bb.131:                              ;   in Loop: Header=BB152_44 Depth=1
	v_or_b32_e32 v7, 0x10000, v6
	v_cmp_eq_u32_sdwa s[0:1], v6, v15 src0_sel:WORD_0 src1_sel:DWORD
	v_cndmask_b32_e64 v47, v7, v6, s[0:1]
; %bb.132:                              ;   in Loop: Header=BB152_44 Depth=1
	s_or_b64 exec, exec, s[10:11]
	v_lshlrev_b32_e32 v6, 16, v48
	v_mul_f32_e32 v6, v40, v6
	v_and_b32_e32 v7, 0x7f800000, v6
	v_cmp_ne_u32_e64 s[0:1], s12, v7
                                        ; implicit-def: $vgpr48
	s_and_saveexec_b64 s[10:11], s[0:1]
	s_xor_b64 s[0:1], exec, s[10:11]
; %bb.133:                              ;   in Loop: Header=BB152_44 Depth=1
	v_bfe_u32 v7, v6, 16, 1
	v_add3_u32 v48, v6, v7, s13
                                        ; implicit-def: $vgpr6
; %bb.134:                              ;   in Loop: Header=BB152_44 Depth=1
	s_andn2_saveexec_b64 s[10:11], s[0:1]
; %bb.135:                              ;   in Loop: Header=BB152_44 Depth=1
	v_or_b32_e32 v7, 0x10000, v6
	v_cmp_eq_u32_sdwa s[0:1], v6, v15 src0_sel:WORD_0 src1_sel:DWORD
	v_cndmask_b32_e64 v48, v7, v6, s[0:1]
; %bb.136:                              ;   in Loop: Header=BB152_44 Depth=1
	s_or_b64 exec, exec, s[10:11]
	v_lshlrev_b32_e32 v6, 16, v9
	v_mul_f32_e32 v6, v41, v6
	v_and_b32_e32 v7, 0x7f800000, v6
	v_cmp_ne_u32_e64 s[0:1], s12, v7
                                        ; implicit-def: $vgpr49
	s_and_saveexec_b64 s[10:11], s[0:1]
	s_xor_b64 s[0:1], exec, s[10:11]
; %bb.137:                              ;   in Loop: Header=BB152_44 Depth=1
	v_bfe_u32 v7, v6, 16, 1
	v_add3_u32 v49, v6, v7, s13
                                        ; implicit-def: $vgpr6
; %bb.138:                              ;   in Loop: Header=BB152_44 Depth=1
	s_andn2_saveexec_b64 s[10:11], s[0:1]
; %bb.139:                              ;   in Loop: Header=BB152_44 Depth=1
	v_or_b32_e32 v7, 0x10000, v6
	v_cmp_eq_u32_sdwa s[0:1], v6, v15 src0_sel:WORD_0 src1_sel:DWORD
	v_cndmask_b32_e64 v49, v7, v6, s[0:1]
; %bb.140:                              ;   in Loop: Header=BB152_44 Depth=1
	s_or_b64 exec, exec, s[10:11]
	v_lshlrev_b32_e32 v6, 16, v50
	v_mul_f32_e32 v6, v42, v6
	v_and_b32_e32 v7, 0x7f800000, v6
	v_cmp_ne_u32_e64 s[0:1], s12, v7
                                        ; implicit-def: $vgpr50
	s_and_saveexec_b64 s[10:11], s[0:1]
	s_xor_b64 s[0:1], exec, s[10:11]
; %bb.141:                              ;   in Loop: Header=BB152_44 Depth=1
	v_bfe_u32 v7, v6, 16, 1
	v_add3_u32 v50, v6, v7, s13
                                        ; implicit-def: $vgpr6
; %bb.142:                              ;   in Loop: Header=BB152_44 Depth=1
	s_andn2_saveexec_b64 s[10:11], s[0:1]
; %bb.143:                              ;   in Loop: Header=BB152_44 Depth=1
	v_or_b32_e32 v7, 0x10000, v6
	v_cmp_eq_u32_sdwa s[0:1], v6, v15 src0_sel:WORD_0 src1_sel:DWORD
	v_cndmask_b32_e64 v50, v7, v6, s[0:1]
; %bb.144:                              ;   in Loop: Header=BB152_44 Depth=1
	s_or_b64 exec, exec, s[10:11]
	global_load_dwordx4 v[6:9], v[10:11], off offset:2048
	s_waitcnt vmcnt(0)
	v_lshrrev_b32_e32 v52, 16, v6
	v_lshrrev_b32_e32 v54, 16, v7
	;; [unrolled: 1-line block ×4, first 2 shown]
	s_and_saveexec_b64 s[10:11], vcc
	s_cbranch_execz .LBB152_146
; %bb.145:                              ;   in Loop: Header=BB152_44 Depth=1
	v_cmp_gt_i32_e64 s[0:1], s33, v27
	v_cndmask_b32_e64 v6, 0, v6, s[0:1]
	v_cmp_gt_i32_e64 s[0:1], s33, v33
	v_cndmask_b32_e64 v52, 0, v52, s[0:1]
	;; [unrolled: 2-line block ×8, first 2 shown]
.LBB152_146:                            ;   in Loop: Header=BB152_44 Depth=1
	s_or_b64 exec, exec, s[10:11]
	v_lshlrev_b32_e32 v6, 16, v6
	v_mul_f32_e32 v6, v35, v6
	v_and_b32_e32 v51, 0x7f800000, v6
	v_cmp_ne_u32_e64 s[0:1], s12, v51
                                        ; implicit-def: $vgpr51
	s_and_saveexec_b64 s[10:11], s[0:1]
	s_xor_b64 s[0:1], exec, s[10:11]
; %bb.147:                              ;   in Loop: Header=BB152_44 Depth=1
	v_bfe_u32 v51, v6, 16, 1
	v_add3_u32 v51, v6, v51, s13
                                        ; implicit-def: $vgpr6
; %bb.148:                              ;   in Loop: Header=BB152_44 Depth=1
	s_andn2_saveexec_b64 s[10:11], s[0:1]
; %bb.149:                              ;   in Loop: Header=BB152_44 Depth=1
	v_or_b32_e32 v51, 0x10000, v6
	v_cmp_eq_u32_sdwa s[0:1], v6, v15 src0_sel:WORD_0 src1_sel:DWORD
	v_cndmask_b32_e64 v51, v51, v6, s[0:1]
; %bb.150:                              ;   in Loop: Header=BB152_44 Depth=1
	s_or_b64 exec, exec, s[10:11]
	v_lshlrev_b32_e32 v6, 16, v52
	v_mul_f32_e32 v6, v36, v6
	v_and_b32_e32 v52, 0x7f800000, v6
	v_cmp_ne_u32_e64 s[0:1], s12, v52
                                        ; implicit-def: $vgpr52
	s_and_saveexec_b64 s[10:11], s[0:1]
	s_xor_b64 s[0:1], exec, s[10:11]
; %bb.151:                              ;   in Loop: Header=BB152_44 Depth=1
	v_bfe_u32 v52, v6, 16, 1
	v_add3_u32 v52, v6, v52, s13
                                        ; implicit-def: $vgpr6
; %bb.152:                              ;   in Loop: Header=BB152_44 Depth=1
	s_andn2_saveexec_b64 s[10:11], s[0:1]
; %bb.153:                              ;   in Loop: Header=BB152_44 Depth=1
	v_or_b32_e32 v52, 0x10000, v6
	v_cmp_eq_u32_sdwa s[0:1], v6, v15 src0_sel:WORD_0 src1_sel:DWORD
	v_cndmask_b32_e64 v52, v52, v6, s[0:1]
; %bb.154:                              ;   in Loop: Header=BB152_44 Depth=1
	s_or_b64 exec, exec, s[10:11]
	v_lshlrev_b32_e32 v6, 16, v7
	v_mul_f32_e32 v6, v37, v6
	v_and_b32_e32 v7, 0x7f800000, v6
	v_cmp_ne_u32_e64 s[0:1], s12, v7
                                        ; implicit-def: $vgpr53
	s_and_saveexec_b64 s[10:11], s[0:1]
	s_xor_b64 s[0:1], exec, s[10:11]
; %bb.155:                              ;   in Loop: Header=BB152_44 Depth=1
	v_bfe_u32 v7, v6, 16, 1
	v_add3_u32 v53, v6, v7, s13
                                        ; implicit-def: $vgpr6
; %bb.156:                              ;   in Loop: Header=BB152_44 Depth=1
	s_andn2_saveexec_b64 s[10:11], s[0:1]
; %bb.157:                              ;   in Loop: Header=BB152_44 Depth=1
	v_or_b32_e32 v7, 0x10000, v6
	v_cmp_eq_u32_sdwa s[0:1], v6, v15 src0_sel:WORD_0 src1_sel:DWORD
	v_cndmask_b32_e64 v53, v7, v6, s[0:1]
; %bb.158:                              ;   in Loop: Header=BB152_44 Depth=1
	s_or_b64 exec, exec, s[10:11]
	v_lshlrev_b32_e32 v6, 16, v54
	v_mul_f32_e32 v6, v38, v6
	v_and_b32_e32 v7, 0x7f800000, v6
	v_cmp_ne_u32_e64 s[0:1], s12, v7
                                        ; implicit-def: $vgpr54
	s_and_saveexec_b64 s[10:11], s[0:1]
	s_xor_b64 s[0:1], exec, s[10:11]
; %bb.159:                              ;   in Loop: Header=BB152_44 Depth=1
	v_bfe_u32 v7, v6, 16, 1
	v_add3_u32 v54, v6, v7, s13
                                        ; implicit-def: $vgpr6
; %bb.160:                              ;   in Loop: Header=BB152_44 Depth=1
	s_andn2_saveexec_b64 s[10:11], s[0:1]
; %bb.161:                              ;   in Loop: Header=BB152_44 Depth=1
	v_or_b32_e32 v7, 0x10000, v6
	v_cmp_eq_u32_sdwa s[0:1], v6, v15 src0_sel:WORD_0 src1_sel:DWORD
	v_cndmask_b32_e64 v54, v7, v6, s[0:1]
; %bb.162:                              ;   in Loop: Header=BB152_44 Depth=1
	s_or_b64 exec, exec, s[10:11]
	v_lshlrev_b32_e32 v6, 16, v8
	v_mul_f32_e32 v6, v39, v6
	v_and_b32_e32 v7, 0x7f800000, v6
	v_cmp_ne_u32_e64 s[0:1], s12, v7
                                        ; implicit-def: $vgpr55
	s_and_saveexec_b64 s[10:11], s[0:1]
	s_xor_b64 s[0:1], exec, s[10:11]
; %bb.163:                              ;   in Loop: Header=BB152_44 Depth=1
	v_bfe_u32 v7, v6, 16, 1
	v_add3_u32 v55, v6, v7, s13
                                        ; implicit-def: $vgpr6
; %bb.164:                              ;   in Loop: Header=BB152_44 Depth=1
	s_andn2_saveexec_b64 s[10:11], s[0:1]
; %bb.165:                              ;   in Loop: Header=BB152_44 Depth=1
	v_or_b32_e32 v7, 0x10000, v6
	v_cmp_eq_u32_sdwa s[0:1], v6, v15 src0_sel:WORD_0 src1_sel:DWORD
	v_cndmask_b32_e64 v55, v7, v6, s[0:1]
; %bb.166:                              ;   in Loop: Header=BB152_44 Depth=1
	s_or_b64 exec, exec, s[10:11]
	v_lshlrev_b32_e32 v6, 16, v56
	v_mul_f32_e32 v6, v40, v6
	v_and_b32_e32 v7, 0x7f800000, v6
	v_cmp_ne_u32_e64 s[0:1], s12, v7
                                        ; implicit-def: $vgpr56
	s_and_saveexec_b64 s[10:11], s[0:1]
	s_xor_b64 s[0:1], exec, s[10:11]
; %bb.167:                              ;   in Loop: Header=BB152_44 Depth=1
	v_bfe_u32 v7, v6, 16, 1
	v_add3_u32 v56, v6, v7, s13
                                        ; implicit-def: $vgpr6
; %bb.168:                              ;   in Loop: Header=BB152_44 Depth=1
	s_andn2_saveexec_b64 s[10:11], s[0:1]
; %bb.169:                              ;   in Loop: Header=BB152_44 Depth=1
	v_or_b32_e32 v7, 0x10000, v6
	v_cmp_eq_u32_sdwa s[0:1], v6, v15 src0_sel:WORD_0 src1_sel:DWORD
	v_cndmask_b32_e64 v56, v7, v6, s[0:1]
; %bb.170:                              ;   in Loop: Header=BB152_44 Depth=1
	s_or_b64 exec, exec, s[10:11]
	v_lshlrev_b32_e32 v6, 16, v9
	v_mul_f32_e32 v6, v41, v6
	v_and_b32_e32 v7, 0x7f800000, v6
	v_cmp_ne_u32_e64 s[0:1], s12, v7
                                        ; implicit-def: $vgpr57
	s_and_saveexec_b64 s[10:11], s[0:1]
	s_xor_b64 s[0:1], exec, s[10:11]
; %bb.171:                              ;   in Loop: Header=BB152_44 Depth=1
	v_bfe_u32 v7, v6, 16, 1
	v_add3_u32 v57, v6, v7, s13
                                        ; implicit-def: $vgpr6
; %bb.172:                              ;   in Loop: Header=BB152_44 Depth=1
	s_andn2_saveexec_b64 s[10:11], s[0:1]
; %bb.173:                              ;   in Loop: Header=BB152_44 Depth=1
	v_or_b32_e32 v7, 0x10000, v6
	v_cmp_eq_u32_sdwa s[0:1], v6, v15 src0_sel:WORD_0 src1_sel:DWORD
	v_cndmask_b32_e64 v57, v7, v6, s[0:1]
; %bb.174:                              ;   in Loop: Header=BB152_44 Depth=1
	s_or_b64 exec, exec, s[10:11]
	v_lshlrev_b32_e32 v6, 16, v58
	v_mul_f32_e32 v6, v42, v6
	v_and_b32_e32 v7, 0x7f800000, v6
	v_cmp_ne_u32_e64 s[0:1], s12, v7
                                        ; implicit-def: $vgpr58
	s_and_saveexec_b64 s[10:11], s[0:1]
	s_xor_b64 s[0:1], exec, s[10:11]
; %bb.175:                              ;   in Loop: Header=BB152_44 Depth=1
	v_bfe_u32 v7, v6, 16, 1
	v_add3_u32 v58, v6, v7, s13
                                        ; implicit-def: $vgpr6
; %bb.176:                              ;   in Loop: Header=BB152_44 Depth=1
	s_andn2_saveexec_b64 s[10:11], s[0:1]
; %bb.177:                              ;   in Loop: Header=BB152_44 Depth=1
	v_or_b32_e32 v7, 0x10000, v6
	v_cmp_eq_u32_sdwa s[0:1], v6, v15 src0_sel:WORD_0 src1_sel:DWORD
	v_cndmask_b32_e64 v58, v7, v6, s[0:1]
; %bb.178:                              ;   in Loop: Header=BB152_44 Depth=1
	s_or_b64 exec, exec, s[10:11]
	global_load_dwordx4 v[6:9], v[10:11], off offset:3072
	s_waitcnt vmcnt(0)
	v_lshrrev_b32_e32 v10, 16, v6
	v_lshrrev_b32_e32 v60, 16, v7
	;; [unrolled: 1-line block ×4, first 2 shown]
	s_and_saveexec_b64 s[0:1], vcc
	s_cbranch_execz .LBB152_180
; %bb.179:                              ;   in Loop: Header=BB152_44 Depth=1
	v_cmp_gt_i32_e32 vcc, s33, v27
	v_cndmask_b32_e32 v6, 0, v6, vcc
	v_cmp_gt_i32_e32 vcc, s33, v33
	v_cndmask_b32_e32 v10, 0, v10, vcc
	;; [unrolled: 2-line block ×8, first 2 shown]
.LBB152_180:                            ;   in Loop: Header=BB152_44 Depth=1
	s_or_b64 exec, exec, s[0:1]
	v_lshlrev_b32_e32 v6, 16, v6
	v_mul_f32_e32 v27, v35, v6
	v_and_b32_e32 v6, 0x7f800000, v27
	v_cmp_ne_u32_e32 vcc, s12, v6
                                        ; implicit-def: $vgpr6
	s_and_saveexec_b64 s[0:1], vcc
	s_xor_b64 s[0:1], exec, s[0:1]
; %bb.181:                              ;   in Loop: Header=BB152_44 Depth=1
	v_bfe_u32 v6, v27, 16, 1
	v_add3_u32 v6, v27, v6, s13
                                        ; implicit-def: $vgpr27
; %bb.182:                              ;   in Loop: Header=BB152_44 Depth=1
	s_andn2_saveexec_b64 s[0:1], s[0:1]
; %bb.183:                              ;   in Loop: Header=BB152_44 Depth=1
	v_or_b32_e32 v6, 0x10000, v27
	v_cmp_eq_u32_sdwa vcc, v27, v15 src0_sel:WORD_0 src1_sel:DWORD
	v_cndmask_b32_e32 v6, v6, v27, vcc
; %bb.184:                              ;   in Loop: Header=BB152_44 Depth=1
	s_or_b64 exec, exec, s[0:1]
	v_lshlrev_b32_e32 v10, 16, v10
	v_mul_f32_e32 v27, v36, v10
	v_and_b32_e32 v10, 0x7f800000, v27
	v_cmp_ne_u32_e32 vcc, s12, v10
                                        ; implicit-def: $vgpr10
	s_and_saveexec_b64 s[0:1], vcc
	s_xor_b64 s[0:1], exec, s[0:1]
; %bb.185:                              ;   in Loop: Header=BB152_44 Depth=1
	v_bfe_u32 v10, v27, 16, 1
	v_add3_u32 v10, v27, v10, s13
                                        ; implicit-def: $vgpr27
; %bb.186:                              ;   in Loop: Header=BB152_44 Depth=1
	s_andn2_saveexec_b64 s[0:1], s[0:1]
; %bb.187:                              ;   in Loop: Header=BB152_44 Depth=1
	v_or_b32_e32 v10, 0x10000, v27
	v_cmp_eq_u32_sdwa vcc, v27, v15 src0_sel:WORD_0 src1_sel:DWORD
	v_cndmask_b32_e32 v10, v10, v27, vcc
; %bb.188:                              ;   in Loop: Header=BB152_44 Depth=1
	s_or_b64 exec, exec, s[0:1]
	v_lshlrev_b32_e32 v7, 16, v7
	v_mul_f32_e32 v27, v37, v7
	v_and_b32_e32 v7, 0x7f800000, v27
	v_cmp_ne_u32_e32 vcc, s12, v7
                                        ; implicit-def: $vgpr7
	s_and_saveexec_b64 s[0:1], vcc
	s_xor_b64 s[0:1], exec, s[0:1]
; %bb.189:                              ;   in Loop: Header=BB152_44 Depth=1
	v_bfe_u32 v7, v27, 16, 1
	v_add3_u32 v7, v27, v7, s13
                                        ; implicit-def: $vgpr27
; %bb.190:                              ;   in Loop: Header=BB152_44 Depth=1
	s_andn2_saveexec_b64 s[0:1], s[0:1]
; %bb.191:                              ;   in Loop: Header=BB152_44 Depth=1
	v_or_b32_e32 v7, 0x10000, v27
	v_cmp_eq_u32_sdwa vcc, v27, v15 src0_sel:WORD_0 src1_sel:DWORD
	v_cndmask_b32_e32 v7, v7, v27, vcc
; %bb.192:                              ;   in Loop: Header=BB152_44 Depth=1
	s_or_b64 exec, exec, s[0:1]
	v_lshlrev_b32_e32 v27, 16, v60
	v_mul_f32_e32 v28, v38, v27
	v_and_b32_e32 v27, 0x7f800000, v28
	v_cmp_ne_u32_e32 vcc, s12, v27
                                        ; implicit-def: $vgpr27
	s_and_saveexec_b64 s[0:1], vcc
	s_xor_b64 s[0:1], exec, s[0:1]
; %bb.193:                              ;   in Loop: Header=BB152_44 Depth=1
	v_bfe_u32 v27, v28, 16, 1
	v_add3_u32 v27, v28, v27, s13
                                        ; implicit-def: $vgpr28
; %bb.194:                              ;   in Loop: Header=BB152_44 Depth=1
	s_andn2_saveexec_b64 s[0:1], s[0:1]
; %bb.195:                              ;   in Loop: Header=BB152_44 Depth=1
	v_or_b32_e32 v27, 0x10000, v28
	v_cmp_eq_u32_sdwa vcc, v28, v15 src0_sel:WORD_0 src1_sel:DWORD
	v_cndmask_b32_e32 v27, v27, v28, vcc
; %bb.196:                              ;   in Loop: Header=BB152_44 Depth=1
	s_or_b64 exec, exec, s[0:1]
	v_lshlrev_b32_e32 v8, 16, v8
	v_mul_f32_e32 v28, v39, v8
	v_and_b32_e32 v8, 0x7f800000, v28
	v_cmp_ne_u32_e32 vcc, s12, v8
                                        ; implicit-def: $vgpr8
	s_and_saveexec_b64 s[0:1], vcc
	s_xor_b64 s[0:1], exec, s[0:1]
; %bb.197:                              ;   in Loop: Header=BB152_44 Depth=1
	v_bfe_u32 v8, v28, 16, 1
	v_add3_u32 v8, v28, v8, s13
                                        ; implicit-def: $vgpr28
; %bb.198:                              ;   in Loop: Header=BB152_44 Depth=1
	s_andn2_saveexec_b64 s[0:1], s[0:1]
; %bb.199:                              ;   in Loop: Header=BB152_44 Depth=1
	v_or_b32_e32 v8, 0x10000, v28
	v_cmp_eq_u32_sdwa vcc, v28, v15 src0_sel:WORD_0 src1_sel:DWORD
	v_cndmask_b32_e32 v8, v8, v28, vcc
; %bb.200:                              ;   in Loop: Header=BB152_44 Depth=1
	s_or_b64 exec, exec, s[0:1]
	v_lshlrev_b32_e32 v28, 16, v59
	v_mul_f32_e32 v29, v40, v28
	v_and_b32_e32 v28, 0x7f800000, v29
	v_cmp_ne_u32_e32 vcc, s12, v28
                                        ; implicit-def: $vgpr28
	s_and_saveexec_b64 s[0:1], vcc
	s_xor_b64 s[0:1], exec, s[0:1]
; %bb.201:                              ;   in Loop: Header=BB152_44 Depth=1
	v_bfe_u32 v28, v29, 16, 1
	v_add3_u32 v28, v29, v28, s13
                                        ; implicit-def: $vgpr29
; %bb.202:                              ;   in Loop: Header=BB152_44 Depth=1
	s_andn2_saveexec_b64 s[0:1], s[0:1]
; %bb.203:                              ;   in Loop: Header=BB152_44 Depth=1
	v_or_b32_e32 v28, 0x10000, v29
	v_cmp_eq_u32_sdwa vcc, v29, v15 src0_sel:WORD_0 src1_sel:DWORD
	v_cndmask_b32_e32 v28, v28, v29, vcc
; %bb.204:                              ;   in Loop: Header=BB152_44 Depth=1
	s_or_b64 exec, exec, s[0:1]
	v_lshlrev_b32_e32 v9, 16, v9
	v_mul_f32_e32 v29, v41, v9
	v_and_b32_e32 v9, 0x7f800000, v29
	v_cmp_ne_u32_e32 vcc, s12, v9
                                        ; implicit-def: $vgpr9
	s_and_saveexec_b64 s[0:1], vcc
	s_xor_b64 s[0:1], exec, s[0:1]
; %bb.205:                              ;   in Loop: Header=BB152_44 Depth=1
	v_bfe_u32 v9, v29, 16, 1
	v_add3_u32 v9, v29, v9, s13
                                        ; implicit-def: $vgpr29
; %bb.206:                              ;   in Loop: Header=BB152_44 Depth=1
	s_andn2_saveexec_b64 s[0:1], s[0:1]
; %bb.207:                              ;   in Loop: Header=BB152_44 Depth=1
	v_or_b32_e32 v9, 0x10000, v29
	v_cmp_eq_u32_sdwa vcc, v29, v15 src0_sel:WORD_0 src1_sel:DWORD
	v_cndmask_b32_e32 v9, v9, v29, vcc
; %bb.208:                              ;   in Loop: Header=BB152_44 Depth=1
	s_or_b64 exec, exec, s[0:1]
	v_lshlrev_b32_e32 v11, 16, v11
	v_mul_f32_e32 v29, v42, v11
	v_and_b32_e32 v11, 0x7f800000, v29
	v_cmp_ne_u32_e32 vcc, s12, v11
                                        ; implicit-def: $vgpr11
	s_and_saveexec_b64 s[0:1], vcc
	s_xor_b64 s[0:1], exec, s[0:1]
; %bb.209:                              ;   in Loop: Header=BB152_44 Depth=1
	v_bfe_u32 v11, v29, 16, 1
	v_add3_u32 v11, v29, v11, s13
                                        ; implicit-def: $vgpr29
; %bb.210:                              ;   in Loop: Header=BB152_44 Depth=1
	s_andn2_saveexec_b64 s[0:1], s[0:1]
	s_cbranch_execz .LBB152_43
; %bb.211:                              ;   in Loop: Header=BB152_44 Depth=1
	v_or_b32_e32 v11, 0x10000, v29
	v_cmp_eq_u32_sdwa vcc, v29, v15 src0_sel:WORD_0 src1_sel:DWORD
	v_cndmask_b32_e32 v11, v11, v29, vcc
	s_branch .LBB152_43
.LBB152_212:
	s_or_b64 exec, exec, s[6:7]
.LBB152_213:
	s_or_b64 exec, exec, s[4:5]
	v_and_b32_e32 v6, 0x3c0, v0
	v_cmp_eq_u32_e32 vcc, 64, v6
	s_barrier
	s_and_saveexec_b64 s[0:1], vcc
	s_cbranch_execz .LBB152_215
; %bb.214:
	v_lshlrev_b32_e32 v6, 2, v0
	v_mov_b32_e32 v8, 0x210
	v_or_b32_e32 v7, 0x300, v6
	v_lshl_add_u32 v1, v1, 2, v8
	v_add_u32_e32 v7, 0x210, v7
	v_add_u32_e32 v6, 0x210, v6
	ds_write_b32 v1, v2
	ds_write_b32 v6, v3
	ds_write_b32 v1, v4 offset:512
	ds_write_b32 v7, v5
.LBB152_215:
	s_or_b64 exec, exec, s[0:1]
	v_cmp_gt_u32_e32 vcc, 64, v0
	s_waitcnt lgkmcnt(0)
	s_barrier
	s_and_saveexec_b64 s[0:1], vcc
	s_cbranch_execz .LBB152_217
; %bb.216:
	v_mov_b32_e32 v1, 0x210
	v_lshl_add_u32 v1, v0, 2, v1
	ds_read2st64_b32 v[6:7], v1 offset0:2 offset1:3
	ds_read2st64_b32 v[8:9], v1 offset1:1
	s_waitcnt lgkmcnt(1)
	v_pk_add_f32 v[4:5], v[4:5], v[6:7]
	s_waitcnt lgkmcnt(0)
	v_pk_add_f32 v[2:3], v[2:3], v[8:9]
.LBB152_217:
	s_or_b64 exec, exec, s[0:1]
	s_barrier
	s_and_saveexec_b64 s[0:1], vcc
	s_cbranch_execz .LBB152_235
; %bb.218:
	s_mov_b32 s0, 0x7f800000
	v_and_b32_e32 v1, 0x7f800000, v2
	v_cmp_ne_u32_e32 vcc, s0, v1
                                        ; implicit-def: $vgpr6
	s_and_saveexec_b64 s[0:1], vcc
	s_xor_b64 s[0:1], exec, s[0:1]
; %bb.219:
	v_bfe_u32 v1, v2, 16, 1
	s_movk_i32 s3, 0x7fff
	v_add3_u32 v6, v2, v1, s3
; %bb.220:
	s_andn2_saveexec_b64 s[0:1], s[0:1]
; %bb.221:
	v_mov_b32_e32 v1, 0
	v_or_b32_e32 v6, 0x10000, v2
	v_cmp_eq_u32_sdwa vcc, v2, v1 src0_sel:WORD_0 src1_sel:DWORD
	v_cndmask_b32_e32 v6, v6, v2, vcc
; %bb.222:
	s_or_b64 exec, exec, s[0:1]
	s_lshl_b32 s0, s2, 8
	s_ashr_i32 s1, s0, 31
	s_lshl_b64 s[0:1], s[0:1], 1
	s_add_u32 s2, s24, s0
	s_mul_i32 s0, s29, s26
	s_addc_u32 s3, s25, s1
	s_ashr_i32 s1, s0, 31
	s_lshl_b64 s[0:1], s[0:1], 1
	s_add_u32 s2, s2, s0
	s_addc_u32 s3, s3, s1
	s_lshl_b32 s0, s8, 8
	s_ashr_i32 s1, s0, 31
	s_lshl_b64 s[0:1], s[0:1], 1
	s_add_u32 s0, s2, s0
	s_addc_u32 s1, s3, s1
	v_lshlrev_b32_e32 v2, 1, v0
	v_mov_b32_e32 v1, s1
	v_add_co_u32_e32 v0, vcc, s0, v2
	v_addc_co_u32_e32 v1, vcc, 0, v1, vcc
	global_store_short_d16_hi v2, v6, s[0:1]
	s_mov_b32 s0, 0x7f800000
	v_and_b32_e32 v2, 0x7f800000, v3
	v_cmp_ne_u32_e32 vcc, s0, v2
                                        ; implicit-def: $vgpr2
	s_and_saveexec_b64 s[0:1], vcc
	s_xor_b64 s[0:1], exec, s[0:1]
; %bb.223:
	v_bfe_u32 v2, v3, 16, 1
	s_movk_i32 s2, 0x7fff
	v_add3_u32 v2, v3, v2, s2
; %bb.224:
	s_andn2_saveexec_b64 s[0:1], s[0:1]
; %bb.225:
	v_mov_b32_e32 v2, 0
	v_or_b32_e32 v6, 0x10000, v3
	v_cmp_eq_u32_sdwa vcc, v3, v2 src0_sel:WORD_0 src1_sel:DWORD
	v_cndmask_b32_e32 v2, v6, v3, vcc
; %bb.226:
	s_or_b64 exec, exec, s[0:1]
	global_store_short_d16_hi v[0:1], v2, off offset:128
	s_mov_b32 s0, 0x7f800000
	v_and_b32_e32 v2, 0x7f800000, v4
	v_cmp_ne_u32_e32 vcc, s0, v2
                                        ; implicit-def: $vgpr2
	s_and_saveexec_b64 s[0:1], vcc
	s_xor_b64 s[0:1], exec, s[0:1]
; %bb.227:
	v_bfe_u32 v2, v4, 16, 1
	s_movk_i32 s2, 0x7fff
	v_add3_u32 v2, v4, v2, s2
; %bb.228:
	s_andn2_saveexec_b64 s[0:1], s[0:1]
; %bb.229:
	v_mov_b32_e32 v2, 0
	v_or_b32_e32 v3, 0x10000, v4
	v_cmp_eq_u32_sdwa vcc, v4, v2 src0_sel:WORD_0 src1_sel:DWORD
	v_cndmask_b32_e32 v2, v3, v4, vcc
; %bb.230:
	s_or_b64 exec, exec, s[0:1]
	global_store_short_d16_hi v[0:1], v2, off offset:256
	s_mov_b32 s0, 0x7f800000
	v_and_b32_e32 v2, 0x7f800000, v5
	v_cmp_ne_u32_e32 vcc, s0, v2
                                        ; implicit-def: $vgpr6
	s_and_saveexec_b64 s[0:1], vcc
	s_xor_b64 s[0:1], exec, s[0:1]
; %bb.231:
	v_bfe_u32 v2, v5, 16, 1
	s_movk_i32 s2, 0x7fff
	v_add3_u32 v6, v5, v2, s2
                                        ; implicit-def: $vgpr2_vgpr3_vgpr4_vgpr5
; %bb.232:
	s_andn2_saveexec_b64 s[0:1], s[0:1]
; %bb.233:
	v_mov_b32_e32 v2, 0
	v_or_b32_e32 v3, 0x10000, v5
	v_cmp_eq_u32_sdwa vcc, v5, v2 src0_sel:WORD_0 src1_sel:DWORD
	v_cndmask_b32_e32 v6, v3, v5, vcc
; %bb.234:
	s_or_b64 exec, exec, s[0:1]
	global_store_short_d16_hi v[0:1], v6, off offset:384
.LBB152_235:
	s_endpgm
	.section	.rodata,"a",@progbits
	.p2align	6, 0x0
	.amdhsa_kernel _ZN4vllm25paged_attention_v2_kernelI14__hip_bfloat16S1_Li256ELi8ELi128ELNS_18Fp8KVCacheDataTypeE0ELb0ELi512EEEvPfS3_PT_PKS4_PKT0_SA_ifPKiSC_iPKfiiiSE_SE_iiiii
		.amdhsa_group_segment_fixed_size 528
		.amdhsa_private_segment_fixed_size 0
		.amdhsa_kernarg_size 400
		.amdhsa_user_sgpr_count 6
		.amdhsa_user_sgpr_private_segment_buffer 1
		.amdhsa_user_sgpr_dispatch_ptr 0
		.amdhsa_user_sgpr_queue_ptr 0
		.amdhsa_user_sgpr_kernarg_segment_ptr 1
		.amdhsa_user_sgpr_dispatch_id 0
		.amdhsa_user_sgpr_flat_scratch_init 0
		.amdhsa_user_sgpr_kernarg_preload_length 0
		.amdhsa_user_sgpr_kernarg_preload_offset 0
		.amdhsa_user_sgpr_private_segment_size 0
		.amdhsa_uses_dynamic_stack 0
		.amdhsa_system_sgpr_private_segment_wavefront_offset 0
		.amdhsa_system_sgpr_workgroup_id_x 1
		.amdhsa_system_sgpr_workgroup_id_y 1
		.amdhsa_system_sgpr_workgroup_id_z 1
		.amdhsa_system_sgpr_workgroup_info 0
		.amdhsa_system_vgpr_workitem_id 0
		.amdhsa_next_free_vgpr 83
		.amdhsa_next_free_sgpr 44
		.amdhsa_accum_offset 84
		.amdhsa_reserve_vcc 1
		.amdhsa_reserve_flat_scratch 0
		.amdhsa_float_round_mode_32 0
		.amdhsa_float_round_mode_16_64 0
		.amdhsa_float_denorm_mode_32 3
		.amdhsa_float_denorm_mode_16_64 3
		.amdhsa_dx10_clamp 1
		.amdhsa_ieee_mode 1
		.amdhsa_fp16_overflow 0
		.amdhsa_tg_split 0
		.amdhsa_exception_fp_ieee_invalid_op 0
		.amdhsa_exception_fp_denorm_src 0
		.amdhsa_exception_fp_ieee_div_zero 0
		.amdhsa_exception_fp_ieee_overflow 0
		.amdhsa_exception_fp_ieee_underflow 0
		.amdhsa_exception_fp_ieee_inexact 0
		.amdhsa_exception_int_div_zero 0
	.end_amdhsa_kernel
	.section	.text._ZN4vllm25paged_attention_v2_kernelI14__hip_bfloat16S1_Li256ELi8ELi128ELNS_18Fp8KVCacheDataTypeE0ELb0ELi512EEEvPfS3_PT_PKS4_PKT0_SA_ifPKiSC_iPKfiiiSE_SE_iiiii,"axG",@progbits,_ZN4vllm25paged_attention_v2_kernelI14__hip_bfloat16S1_Li256ELi8ELi128ELNS_18Fp8KVCacheDataTypeE0ELb0ELi512EEEvPfS3_PT_PKS4_PKT0_SA_ifPKiSC_iPKfiiiSE_SE_iiiii,comdat
.Lfunc_end152:
	.size	_ZN4vllm25paged_attention_v2_kernelI14__hip_bfloat16S1_Li256ELi8ELi128ELNS_18Fp8KVCacheDataTypeE0ELb0ELi512EEEvPfS3_PT_PKS4_PKT0_SA_ifPKiSC_iPKfiiiSE_SE_iiiii, .Lfunc_end152-_ZN4vllm25paged_attention_v2_kernelI14__hip_bfloat16S1_Li256ELi8ELi128ELNS_18Fp8KVCacheDataTypeE0ELb0ELi512EEEvPfS3_PT_PKS4_PKT0_SA_ifPKiSC_iPKfiiiSE_SE_iiiii
                                        ; -- End function
	.section	.AMDGPU.csdata,"",@progbits
; Kernel info:
; codeLenInByte = 8528
; NumSgprs: 48
; NumVgprs: 83
; NumAgprs: 0
; TotalNumVgprs: 83
; ScratchSize: 0
; MemoryBound: 0
; FloatMode: 240
; IeeeMode: 1
; LDSByteSize: 528 bytes/workgroup (compile time only)
; SGPRBlocks: 5
; VGPRBlocks: 10
; NumSGPRsForWavesPerEU: 48
; NumVGPRsForWavesPerEU: 83
; AccumOffset: 84
; Occupancy: 5
; WaveLimiterHint : 1
; COMPUTE_PGM_RSRC2:SCRATCH_EN: 0
; COMPUTE_PGM_RSRC2:USER_SGPR: 6
; COMPUTE_PGM_RSRC2:TRAP_HANDLER: 0
; COMPUTE_PGM_RSRC2:TGID_X_EN: 1
; COMPUTE_PGM_RSRC2:TGID_Y_EN: 1
; COMPUTE_PGM_RSRC2:TGID_Z_EN: 1
; COMPUTE_PGM_RSRC2:TIDIG_COMP_CNT: 0
; COMPUTE_PGM_RSRC3_GFX90A:ACCUM_OFFSET: 20
; COMPUTE_PGM_RSRC3_GFX90A:TG_SPLIT: 0
	.section	.text._ZN4vllm25paged_attention_v2_kernelI14__hip_bfloat16S1_Li32ELi16ELi128ELNS_18Fp8KVCacheDataTypeE0ELb1ELi512EEEvPfS3_PT_PKS4_PKT0_SA_ifPKiSC_iPKfiiiSE_SE_iiiii,"axG",@progbits,_ZN4vllm25paged_attention_v2_kernelI14__hip_bfloat16S1_Li32ELi16ELi128ELNS_18Fp8KVCacheDataTypeE0ELb1ELi512EEEvPfS3_PT_PKS4_PKT0_SA_ifPKiSC_iPKfiiiSE_SE_iiiii,comdat
	.protected	_ZN4vllm25paged_attention_v2_kernelI14__hip_bfloat16S1_Li32ELi16ELi128ELNS_18Fp8KVCacheDataTypeE0ELb1ELi512EEEvPfS3_PT_PKS4_PKT0_SA_ifPKiSC_iPKfiiiSE_SE_iiiii ; -- Begin function _ZN4vllm25paged_attention_v2_kernelI14__hip_bfloat16S1_Li32ELi16ELi128ELNS_18Fp8KVCacheDataTypeE0ELb1ELi512EEEvPfS3_PT_PKS4_PKT0_SA_ifPKiSC_iPKfiiiSE_SE_iiiii
	.globl	_ZN4vllm25paged_attention_v2_kernelI14__hip_bfloat16S1_Li32ELi16ELi128ELNS_18Fp8KVCacheDataTypeE0ELb1ELi512EEEvPfS3_PT_PKS4_PKT0_SA_ifPKiSC_iPKfiiiSE_SE_iiiii
	.p2align	8
	.type	_ZN4vllm25paged_attention_v2_kernelI14__hip_bfloat16S1_Li32ELi16ELi128ELNS_18Fp8KVCacheDataTypeE0ELb1ELi512EEEvPfS3_PT_PKS4_PKT0_SA_ifPKiSC_iPKfiiiSE_SE_iiiii,@function
_ZN4vllm25paged_attention_v2_kernelI14__hip_bfloat16S1_Li32ELi16ELi128ELNS_18Fp8KVCacheDataTypeE0ELb1ELi512EEEvPfS3_PT_PKS4_PKT0_SA_ifPKiSC_iPKfiiiSE_SE_iiiii: ; @_ZN4vllm25paged_attention_v2_kernelI14__hip_bfloat16S1_Li32ELi16ELi128ELNS_18Fp8KVCacheDataTypeE0ELb1ELi512EEEvPfS3_PT_PKS4_PKT0_SA_ifPKiSC_iPKfiiiSE_SE_iiiii
; %bb.0:
	s_load_dwordx2 s[0:1], s[4:5], 0x40
	s_mov_b32 s28, s7
	s_ashr_i32 s29, s7, 31
	s_lshl_b64 s[2:3], s[28:29], 2
	s_waitcnt lgkmcnt(0)
	s_add_u32 s0, s0, s2
	s_addc_u32 s1, s1, s3
	s_load_dword s29, s[0:1], 0x0
	s_lshl_b32 s49, s8, 9
	s_waitcnt lgkmcnt(0)
	s_cmp_ge_i32 s49, s29
	s_cbranch_scc1 .LBB153_129
; %bb.1:
	s_load_dword s9, s[4:5], 0x90
	s_load_dwordx2 s[38:39], s[4:5], 0x30
	s_mov_b32 s50, 0
	s_waitcnt lgkmcnt(0)
	s_abs_i32 s2, s9
	s_abs_i32 s0, s38
	v_cvt_f32_u32_e32 v1, s0
	s_sub_i32 s3, 0, s0
	s_xor_b32 s1, s9, s38
	s_ashr_i32 s1, s1, 31
	v_rcp_iflag_f32_e32 v1, v1
	v_mul_f32_e32 v1, 0x4f7ffffe, v1
	v_cvt_u32_f32_e32 v1, v1
	v_readfirstlane_b32 s7, v1
	s_mul_i32 s3, s3, s7
	s_mul_hi_u32 s3, s7, s3
	s_add_i32 s7, s7, s3
	s_mul_hi_u32 s3, s2, s7
	s_mul_i32 s7, s3, s0
	s_sub_i32 s2, s2, s7
	s_add_i32 s10, s3, 1
	s_sub_i32 s7, s2, s0
	s_cmp_ge_u32 s2, s0
	s_cselect_b32 s3, s10, s3
	s_cselect_b32 s2, s7, s2
	s_add_i32 s7, s3, 1
	s_cmp_ge_u32 s2, s0
	s_cselect_b32 s0, s7, s3
	s_xor_b32 s0, s0, s1
	s_sub_i32 s11, s0, s1
	s_abs_i32 s2, s11
	v_cvt_f32_u32_e32 v1, s2
	s_load_dwordx2 s[0:1], s[4:5], 0x50
	s_sub_i32 s7, 0, s2
	s_abs_i32 s3, s6
	v_rcp_iflag_f32_e32 v1, v1
	v_mul_f32_e32 v1, 0x4f7ffffe, v1
	v_cvt_u32_f32_e32 v1, v1
	v_readfirstlane_b32 s10, v1
	s_mul_i32 s7, s7, s10
	s_mul_hi_u32 s7, s10, s7
	s_add_i32 s10, s10, s7
	s_waitcnt lgkmcnt(0)
	s_cmp_eq_u64 s[0:1], 0
	s_mul_hi_u32 s10, s3, s10
	s_cbranch_scc1 .LBB153_3
; %bb.2:
	s_ashr_i32 s7, s6, 31
	s_lshl_b64 s[12:13], s[6:7], 2
	s_add_u32 s0, s0, s12
	s_addc_u32 s1, s1, s13
	s_load_dword s50, s[0:1], 0x0
.LBB153_3:
	s_load_dwordx4 s[12:15], s[4:5], 0x58
	s_ashr_i32 s7, s6, 31
	s_ashr_i32 s11, s11, 31
	v_and_b32_e32 v2, 3, v0
	s_lshl_b32 s24, s6, 5
	v_cmp_gt_u32_e32 vcc, 16, v0
	s_and_saveexec_b64 s[0:1], vcc
	s_cbranch_execz .LBB153_5
; %bb.4:
	s_load_dwordx2 s[16:17], s[4:5], 0x18
	s_waitcnt lgkmcnt(0)
	s_mul_i32 s18, s28, s12
	s_ashr_i32 s19, s18, 31
	s_lshl_b64 s[18:19], s[18:19], 1
	v_lshlrev_b32_e32 v1, 2, v0
	s_add_u32 s12, s16, s18
	s_addc_u32 s15, s17, s19
	s_ashr_i32 s25, s24, 31
	s_lshl_b64 s[16:17], s[24:25], 1
	s_add_u32 s16, s12, s16
	s_addc_u32 s17, s15, s17
	global_load_dword v1, v1, s[16:17]
	v_and_b32_e32 v3, 0x3fc, v0
	v_lshl_add_u32 v3, v2, 4, v3
	s_waitcnt vmcnt(0)
	ds_write_b32 v3, v1
.LBB153_5:
	s_or_b64 exec, exec, s[0:1]
	s_mul_i32 s1, s10, s2
	s_sub_i32 s1, s3, s1
	s_xor_b32 s0, s7, s11
	s_add_i32 s3, s10, 1
	s_sub_i32 s7, s1, s2
	s_load_dwordx4 s[16:19], s[4:5], 0x78
	s_cmp_ge_u32 s1, s2
	s_cselect_b32 s3, s3, s10
	s_load_dword s10, s[4:5], 0x88
	s_cselect_b32 s1, s7, s1
	s_add_i32 s7, s3, 1
	s_cmp_ge_u32 s1, s2
	s_cselect_b32 s1, s7, s3
	s_waitcnt lgkmcnt(0)
	s_abs_i32 s25, s19
	v_cvt_f32_u32_e32 v1, s25
	s_xor_b32 s1, s1, s0
	s_sub_i32 s2, s1, s0
	s_sub_i32 s0, 0, s25
	v_rcp_iflag_f32_e32 v1, v1
	s_add_i32 s11, s29, -1
	s_abs_i32 s3, s11
	v_mul_f32_e32 v1, 0x4f7ffffe, v1
	v_cvt_u32_f32_e32 v1, v1
	s_barrier
	v_readfirstlane_b32 s33, v1
	s_mul_i32 s0, s0, s33
	s_mul_hi_u32 s0, s33, s0
	s_add_i32 s33, s33, s0
	s_cmp_lt_i32 s10, 0
	s_mul_hi_u32 s7, s3, s33
	s_cbranch_scc0 .LBB153_7
; %bb.6:
	s_mul_i32 s0, s16, s38
	s_add_i32 s0, s2, s0
	s_mul_i32 s0, s0, s10
	s_sub_i32 s46, 1, s0
	s_mov_b64 s[0:1], 0
	s_branch .LBB153_8
.LBB153_7:
	s_mov_b64 s[0:1], -1
                                        ; implicit-def: $sgpr46
.LBB153_8:
	s_load_dwordx2 s[30:31], s[4:5], 0x38
	s_ashr_i32 s11, s11, 31
	s_andn2_b64 vcc, exec, s[0:1]
	s_ashr_i32 s19, s19, 31
	s_cbranch_vccnz .LBB153_10
; %bb.9:
	s_mul_i32 s0, s9, s16
	s_add_i32 s0, s0, s6
	s_mul_i32 s0, s0, s10
	s_add_i32 s46, s0, 1
.LBB153_10:
	s_load_dword s0, s[4:5], 0x48
	s_load_dwordx2 s[36:37], s[4:5], 0x28
	s_load_dword s16, s[4:5], 0x98
	s_load_dwordx4 s[20:23], s[4:5], 0x0
	s_load_dwordx2 s[26:27], s[4:5], 0x10
	s_mul_i32 s1, s7, s25
	s_waitcnt lgkmcnt(0)
	s_mul_i32 s34, s28, s0
	s_sub_i32 s1, s3, s1
	s_ashr_i32 s35, s34, 31
	s_xor_b32 s0, s11, s19
	s_add_i32 s3, s7, 1
	s_sub_i32 s10, s1, s25
	s_cmp_ge_u32 s1, s25
	s_cselect_b32 s3, s3, s7
	s_cselect_b32 s1, s10, s1
	s_add_i32 s7, s3, 1
	s_cmp_ge_u32 s1, s25
	s_cselect_b32 s1, s7, s3
	s_xor_b32 s1, s1, s0
	s_sub_i32 s48, s1, s0
	s_add_i32 s0, s29, 15
	s_ashr_i32 s1, s0, 31
	s_lshr_b32 s1, s1, 28
	s_add_i32 s0, s0, s1
	s_lshl_b32 s12, s8, 5
	s_ashr_i32 s7, s0, 4
	s_add_i32 s0, s12, 32
	v_lshrrev_b32_e32 v4, 6, v0
	s_min_i32 s47, s0, s7
	v_or_b32_e32 v10, s12, v4
	v_cmp_gt_i32_e64 s[0:1], s47, v10
	v_mov_b32_e32 v12, 0xff7fffff
	s_mul_i32 s14, s2, s14
	v_ashrrev_i32_e32 v11, 31, v10
	v_lshl_add_u32 v1, v4, 4, s49
	v_mbcnt_lo_u32_b32 v5, -1, 0
	s_and_saveexec_b64 s[40:41], s[0:1]
	s_cbranch_execz .LBB153_20
; %bb.11:
	s_load_dwordx2 s[2:3], s[4:5], 0x20
	s_ashr_i32 s15, s14, 31
	s_sub_i32 s38, s48, s17
	s_lshl_b64 s[4:5], s[14:15], 1
	v_bfe_u32 v6, v0, 2, 4
	s_waitcnt lgkmcnt(0)
	s_add_u32 s2, s2, s4
	s_addc_u32 s3, s3, s5
	s_abs_i32 s15, s18
	v_cvt_f32_u32_e32 v8, s15
	v_lshlrev_b32_e32 v3, 4, v6
	v_mov_b32_e32 v7, s3
	v_add_co_u32_e64 v3, s[2:3], s2, v3
	v_rcp_iflag_f32_e32 v12, v8
	v_addc_co_u32_e64 v9, s[2:3], 0, v7, s[2:3]
	v_lshlrev_b32_e32 v7, 2, v0
	v_and_b32_e32 v7, 12, v7
	v_add_co_u32_e64 v7, s[2:3], v3, v7
	v_mul_f32_e32 v3, 0x4f7ffffe, v12
	v_cvt_u32_f32_e32 v3, v3
	s_sub_i32 s4, 0, s15
	v_cmp_eq_u32_e32 vcc, 0, v2
	v_addc_co_u32_e64 v8, s[2:3], 0, v9, s[2:3]
	v_lshlrev_b32_e32 v9, 4, v2
	v_mul_lo_u32 v2, s4, v3
	s_lshl_b64 s[4:5], s[34:35], 2
	v_mul_hi_u32 v2, v3, v2
	s_add_u32 s4, s30, s4
	v_add_u32_e32 v13, v3, v2
	v_lshlrev_b64 v[2:3], 2, v[10:11]
	s_addc_u32 s5, s31, s5
	v_mov_b32_e32 v12, s5
	v_add_co_u32_e64 v2, s[4:5], s4, v2
	v_addc_co_u32_e64 v3, s[4:5], v12, v3, s[4:5]
	v_lshlrev_b32_e32 v12, 2, v6
	v_lshl_or_b32 v12, v4, 6, v12
	v_add_u32_e32 v15, 0x50, v12
	v_subrev_u32_e32 v12, s29, v6
	v_mbcnt_hi_u32_b32 v18, -1, v5
	v_add_u32_e32 v16, 1, v12
	v_and_b32_e32 v12, 64, v18
	s_mov_b32 s51, s13
	v_cmp_neq_f32_e64 s[2:3], s50, 0
	v_lshl_add_u32 v14, v4, 4, s49
	s_mov_b64 s[42:43], 0
	v_mov_b32_e32 v17, 0xff7fffff
	v_add_u32_e32 v19, 64, v12
	v_xor_b32_e32 v20, 2, v18
	v_xor_b32_e32 v21, 1, v18
	v_mov_b32_e32 v12, 0xff7fffff
	v_mov_b32_e32 v22, v10
	s_branch .LBB153_14
.LBB153_12:                             ;   in Loop: Header=BB153_14 Depth=1
	s_or_b64 exec, exec, s[44:45]
.LBB153_13:                             ;   in Loop: Header=BB153_14 Depth=1
	s_or_b64 exec, exec, s[10:11]
	v_add_co_u32_e64 v2, s[4:5], 8, v2
	v_add_u32_e32 v22, 2, v22
	v_addc_co_u32_e64 v3, s[4:5], 0, v3, s[4:5]
	v_cmp_le_i32_e64 s[4:5], s47, v22
	v_add_u32_e32 v14, 32, v14
	s_or_b64 s[42:43], s[4:5], s[42:43]
	v_add_u32_e32 v15, 0x80, v15
	s_andn2_b64 exec, exec, s[42:43]
	s_cbranch_execz .LBB153_19
.LBB153_14:                             ; =>This Inner Loop Header: Depth=1
	s_waitcnt lgkmcnt(0)
	v_sub_u32_e32 v24, 0, v14
	v_max_i32_e32 v24, v14, v24
	v_mul_hi_u32 v25, v24, s33
	v_mul_lo_u32 v26, v25, s25
	v_sub_u32_e32 v24, v24, v26
	v_add_u32_e32 v26, 1, v25
	v_cmp_le_u32_e64 s[4:5], s25, v24
	v_cndmask_b32_e64 v25, v25, v26, s[4:5]
	v_subrev_u32_e32 v26, s25, v24
	v_cndmask_b32_e64 v24, v24, v26, s[4:5]
	v_ashrrev_i32_e32 v23, 31, v14
	v_add_u32_e32 v26, 1, v25
	v_cmp_le_u32_e64 s[4:5], s25, v24
	v_xor_b32_e32 v23, s19, v23
	v_cndmask_b32_e64 v24, v25, v26, s[4:5]
	v_xor_b32_e32 v24, v24, v23
	v_sub_u32_e32 v23, v24, v23
	v_add_u32_e32 v24, s46, v23
	v_sub_u32_e32 v26, 0, v24
	v_ashrrev_i32_e32 v25, 31, v24
	v_max_i32_e32 v24, v24, v26
	v_mul_hi_u32 v26, v24, v13
	v_mul_lo_u32 v26, v26, s15
	v_sub_u32_e32 v24, v24, v26
	v_subrev_u32_e32 v26, s15, v24
	v_cmp_le_u32_e64 s[4:5], s15, v24
	v_cndmask_b32_e64 v24, v24, v26, s[4:5]
	v_subrev_u32_e32 v26, s15, v24
	v_cmp_le_u32_e64 s[4:5], s15, v24
	v_cndmask_b32_e64 v24, v24, v26, s[4:5]
	v_xor_b32_e32 v24, v24, v25
	v_sub_u32_e32 v24, v24, v25
	v_cmp_ne_u32_e64 s[4:5], 0, v24
	v_cmp_ge_i32_e64 s[10:11], s38, v23
	s_and_b64 s[4:5], s[4:5], s[10:11]
	s_and_b64 s[44:45], vcc, s[4:5]
	s_and_saveexec_b64 s[10:11], s[44:45]
	s_cbranch_execz .LBB153_16
; %bb.15:                               ;   in Loop: Header=BB153_14 Depth=1
	ds_write_b32 v15, v17
.LBB153_16:                             ;   in Loop: Header=BB153_14 Depth=1
	s_or_b64 exec, exec, s[10:11]
	s_xor_b64 s[4:5], s[4:5], -1
	s_and_saveexec_b64 s[10:11], s[4:5]
	s_cbranch_execz .LBB153_13
; %bb.17:                               ;   in Loop: Header=BB153_14 Depth=1
	global_load_dword v23, v[2:3], off
	s_waitcnt vmcnt(0)
	v_mad_i64_i32 v[24:25], s[4:5], v23, s51, 0
	v_lshlrev_b64 v[24:25], 1, v[24:25]
	v_add_co_u32_e64 v24, s[4:5], v7, v24
	v_addc_co_u32_e64 v25, s[4:5], v8, v25, s[4:5]
	global_load_dword v23, v[24:25], off
	global_load_dword v28, v[24:25], off offset:256
	global_load_dword v29, v[24:25], off offset:512
	global_load_dword v30, v[24:25], off offset:768
	ds_read_b128 v[24:27], v9
	v_cmp_lt_i32_e64 s[4:5], v20, v19
	v_cndmask_b32_e64 v31, v18, v20, s[4:5]
	v_lshlrev_b32_e32 v31, 2, v31
	v_cmp_lt_i32_e64 s[4:5], v21, v19
	s_waitcnt lgkmcnt(0)
	v_lshlrev_b32_e32 v33, 16, v25
	v_and_b32_e32 v25, 0xffff0000, v25
	v_lshlrev_b32_e32 v32, 16, v24
	v_and_b32_e32 v24, 0xffff0000, v24
	;; [unrolled: 2-line block ×4, first 2 shown]
	s_waitcnt vmcnt(3)
	v_lshlrev_b32_e32 v36, 16, v23
	s_waitcnt vmcnt(2)
	v_lshlrev_b32_e32 v37, 16, v28
	v_and_b32_e32 v28, 0xffff0000, v28
	v_and_b32_e32 v23, 0xffff0000, v23
	v_mul_f32_e32 v33, v33, v37
	v_mul_f32_e32 v25, v25, v28
	s_waitcnt vmcnt(1)
	v_lshlrev_b32_e32 v38, 16, v29
	v_and_b32_e32 v29, 0xffff0000, v29
	v_fmac_f32_e32 v33, v32, v36
	v_fmac_f32_e32 v25, v24, v23
	s_waitcnt vmcnt(0)
	v_lshlrev_b32_e32 v39, 16, v30
	v_and_b32_e32 v30, 0xffff0000, v30
	v_fmac_f32_e32 v33, v34, v38
	v_fmac_f32_e32 v25, v26, v29
	;; [unrolled: 1-line block ×4, first 2 shown]
	v_add_f32_e32 v23, v33, v25
	ds_bpermute_b32 v24, v31, v23
	v_cndmask_b32_e64 v25, v18, v21, s[4:5]
	v_lshlrev_b32_e32 v25, 2, v25
	s_waitcnt lgkmcnt(0)
	v_add_f32_e32 v23, v23, v24
	ds_bpermute_b32 v24, v25, v23
	s_and_saveexec_b64 s[44:45], vcc
	s_cbranch_execz .LBB153_12
; %bb.18:                               ;   in Loop: Header=BB153_14 Depth=1
	v_add_u32_e32 v25, v16, v14
	v_cvt_f32_i32_e32 v25, v25
	s_waitcnt lgkmcnt(0)
	v_add_f32_e32 v23, v23, v24
	v_add_u32_e32 v26, v6, v14
	v_cmp_gt_i32_e64 s[4:5], s29, v26
	v_mul_f32_e32 v24, s50, v25
	v_cndmask_b32_e64 v24, 0, v24, s[2:3]
	v_fmac_f32_e32 v24, s39, v23
	v_cndmask_b32_e64 v23, 0, v24, s[4:5]
	ds_write_b32 v15, v23
	v_max_f32_e32 v23, v12, v12
	v_max_f32_e32 v23, v23, v24
	v_cndmask_b32_e64 v12, v12, v23, s[4:5]
	s_branch .LBB153_12
.LBB153_19:
	s_or_b64 exec, exec, s[42:43]
.LBB153_20:
	s_or_b64 exec, exec, s[40:41]
	v_mbcnt_hi_u32_b32 v2, -1, v5
	v_and_b32_e32 v3, 64, v2
	v_add_u32_e32 v3, 64, v3
	v_xor_b32_e32 v5, 32, v2
	v_cmp_lt_i32_e32 vcc, v5, v3
	v_cndmask_b32_e32 v5, v2, v5, vcc
	v_lshlrev_b32_e32 v6, 2, v5
	ds_bpermute_b32 v5, v6, v12
	v_xor_b32_e32 v8, 16, v2
	v_max_f32_e32 v7, v12, v12
	v_cmp_lt_i32_e32 vcc, v8, v3
	v_xor_b32_e32 v9, 8, v2
	s_waitcnt lgkmcnt(0)
	v_max_f32_e32 v5, v5, v5
	v_max_f32_e32 v5, v7, v5
	v_cndmask_b32_e32 v7, v2, v8, vcc
	v_lshlrev_b32_e32 v7, 2, v7
	ds_bpermute_b32 v8, v7, v5
	v_cmp_lt_i32_e32 vcc, v9, v3
	v_and_b32_e32 v14, 63, v0
	s_waitcnt lgkmcnt(0)
	v_max_f32_e32 v8, v8, v8
	v_max_f32_e32 v5, v5, v8
	v_cndmask_b32_e32 v8, v2, v9, vcc
	v_lshlrev_b32_e32 v12, 2, v8
	ds_bpermute_b32 v8, v12, v5
	v_xor_b32_e32 v9, 4, v2
	v_cmp_lt_i32_e32 vcc, v9, v3
	s_waitcnt lgkmcnt(0)
	v_max_f32_e32 v8, v8, v8
	v_max_f32_e32 v5, v5, v8
	v_cndmask_b32_e32 v8, v2, v9, vcc
	v_lshlrev_b32_e32 v13, 2, v8
	ds_bpermute_b32 v9, v13, v5
	v_cmp_eq_u32_e32 vcc, 0, v14
	v_lshlrev_b32_e32 v8, 2, v4
	s_and_saveexec_b64 s[2:3], vcc
	s_cbranch_execz .LBB153_22
; %bb.21:
	s_waitcnt lgkmcnt(0)
	v_max_f32_e32 v9, v9, v9
	v_max_f32_e32 v5, v5, v5
	;; [unrolled: 1-line block ×3, first 2 shown]
	ds_write_b32 v8, v5 offset:64
.LBB153_22:
	s_or_b64 exec, exec, s[2:3]
	v_cmp_gt_u32_e64 s[2:3], 2, v14
	v_mov_b32_e32 v5, 0xff7fffff
	s_waitcnt lgkmcnt(0)
	v_lshlrev_b32_e32 v9, 2, v14
	s_barrier
	s_and_saveexec_b64 s[4:5], s[2:3]
	s_cbranch_execz .LBB153_24
; %bb.23:
	ds_read_b32 v5, v9 offset:64
.LBB153_24:
	s_or_b64 exec, exec, s[4:5]
	v_xor_b32_e32 v15, 1, v2
	v_cmp_lt_i32_e64 s[4:5], v15, v3
	v_cndmask_b32_e64 v15, v2, v15, s[4:5]
	v_lshlrev_b32_e32 v15, 2, v15
	s_waitcnt lgkmcnt(0)
	ds_bpermute_b32 v16, v15, v5
	v_max_f32_e32 v5, v5, v5
	s_sub_i32 s4, s47, s12
	s_lshl_b32 s4, s4, 4
	s_add_i32 s4, s4, s49
	s_waitcnt lgkmcnt(0)
	v_max_f32_e32 v16, v16, v16
	v_max_f32_e32 v5, v5, v16
	v_lshlrev_b32_e32 v16, 2, v2
	v_and_b32_e32 v16, 0x100, v16
	ds_bpermute_b32 v5, v16, v5
	s_min_i32 s42, s4, s29
	s_sub_i32 s15, s42, s49
	v_cmp_gt_i32_e64 s[4:5], s15, v0
	v_mov_b32_e32 v17, 0
	s_and_saveexec_b64 s[38:39], s[4:5]
	s_cbranch_execz .LBB153_28
; %bb.25:
	v_mov_b32_e32 v17, 0x50
	v_lshl_add_u32 v18, v0, 2, v17
	s_mov_b64 s[40:41], 0
	v_mov_b32_e32 v17, 0
	v_mov_b32_e32 v19, v0
.LBB153_26:                             ; =>This Inner Loop Header: Depth=1
	ds_read_b32 v20, v18
	v_add_u32_e32 v19, 0x80, v19
	v_cmp_le_i32_e64 s[10:11], s15, v19
	s_or_b64 s[40:41], s[10:11], s[40:41]
	s_waitcnt lgkmcnt(0)
	v_sub_f32_e32 v20, v20, v5
	v_mul_f32_e32 v20, 0x3fb8aa3b, v20
	v_exp_f32_e32 v20, v20
	ds_write_b32 v18, v20
	v_add_f32_e32 v17, v17, v20
	v_add_u32_e32 v18, 0x200, v18
	s_andn2_b64 exec, exec, s[40:41]
	s_cbranch_execnz .LBB153_26
; %bb.27:
	s_or_b64 exec, exec, s[40:41]
.LBB153_28:
	s_or_b64 exec, exec, s[38:39]
	ds_bpermute_b32 v6, v6, v17
	s_waitcnt lgkmcnt(0)
	v_add_f32_e32 v6, v17, v6
	ds_bpermute_b32 v7, v7, v6
	s_waitcnt lgkmcnt(0)
	v_add_f32_e32 v6, v6, v7
	ds_bpermute_b32 v7, v12, v6
	v_xor_b32_e32 v12, 2, v2
	v_cmp_lt_i32_e64 s[10:11], v12, v3
	v_cndmask_b32_e64 v2, v2, v12, s[10:11]
	v_lshlrev_b32_e32 v2, 2, v2
	s_waitcnt lgkmcnt(0)
	v_add_f32_e32 v6, v6, v7
	ds_bpermute_b32 v7, v13, v6
	s_waitcnt lgkmcnt(0)
	v_add_f32_e32 v3, v6, v7
	ds_bpermute_b32 v2, v2, v3
	s_waitcnt lgkmcnt(0)
	v_add_f32_e32 v2, v3, v2
	ds_bpermute_b32 v3, v15, v2
	s_waitcnt lgkmcnt(0)
	v_add_f32_e32 v2, v2, v3
	s_and_saveexec_b64 s[10:11], vcc
	s_cbranch_execz .LBB153_30
; %bb.29:
	ds_write_b32 v8, v2 offset:72
.LBB153_30:
	s_or_b64 exec, exec, s[10:11]
	s_waitcnt lgkmcnt(0)
	s_barrier
	s_and_saveexec_b64 s[10:11], s[2:3]
	s_cbranch_execz .LBB153_32
; %bb.31:
	ds_read_b32 v2, v9 offset:72
.LBB153_32:
	s_or_b64 exec, exec, s[10:11]
	s_waitcnt lgkmcnt(0)
	ds_bpermute_b32 v3, v15, v2
	s_waitcnt lgkmcnt(0)
	v_add_f32_e32 v2, v2, v3
	ds_bpermute_b32 v6, v16, v2
	s_and_saveexec_b64 s[2:3], s[4:5]
	s_cbranch_execz .LBB153_45
; %bb.33:
	s_waitcnt lgkmcnt(0)
	v_add_f32_e32 v2, 0x358637bd, v6
	v_div_scale_f32 v3, s[4:5], v2, v2, 1.0
	v_rcp_f32_e32 v7, v3
	v_div_scale_f32 v8, vcc, 1.0, v2, 1.0
	s_movk_i32 s4, 0x7f
	v_fma_f32 v9, -v3, v7, 1.0
	v_fmac_f32_e32 v7, v9, v7
	v_mul_f32_e32 v9, v8, v7
	v_fma_f32 v12, -v3, v9, v8
	v_fmac_f32_e32 v9, v12, v7
	v_fma_f32 v3, -v3, v9, v8
	v_div_fmas_f32 v3, v3, v7, v9
	v_div_fixup_f32 v2, v3, v2, 1.0
	v_xad_u32 v3, v0, -1, s42
	v_subrev_u32_e32 v7, s49, v3
	v_cmp_lt_u32_e32 vcc, s4, v7
	s_mov_b64 s[10:11], -1
	v_mov_b32_e32 v3, v0
	s_and_saveexec_b64 s[4:5], vcc
	s_cbranch_execz .LBB153_42
; %bb.34:
	v_lshrrev_b32_e32 v7, 7, v7
	v_add_u32_e32 v9, -1, v7
	v_lshrrev_b32_e32 v8, 1, v9
	v_mov_b32_e32 v3, v2
	v_add_u32_e32 v8, 1, v8
	v_cmp_lt_u32_e32 vcc, 13, v9
	v_mov_b32_e32 v13, 0
	s_and_saveexec_b64 s[10:11], vcc
	s_cbranch_execz .LBB153_38
; %bb.35:
	v_mov_b32_e32 v12, 0x50
	v_and_b32_e32 v9, -8, v8
	v_lshl_add_u32 v12, v0, 2, v12
	s_mov_b32 s40, 0
	s_mov_b64 s[38:39], 0
.LBB153_36:                             ; =>This Inner Loop Header: Depth=1
	ds_read2st64_b32 v[16:17], v12 offset1:2
	ds_read2st64_b32 v[18:19], v12 offset0:4 offset1:6
	ds_read2st64_b32 v[20:21], v12 offset0:8 offset1:10
	;; [unrolled: 1-line block ×3, first 2 shown]
	v_add_u32_e32 v9, -8, v9
	s_waitcnt lgkmcnt(3)
	v_pk_mul_f32 v[16:17], v[2:3], v[16:17]
	s_waitcnt lgkmcnt(2)
	v_pk_mul_f32 v[18:19], v[2:3], v[18:19]
	ds_write2st64_b32 v12, v16, v17 offset1:2
	ds_write2st64_b32 v12, v18, v19 offset0:4 offset1:6
	ds_read2st64_b32 v[18:19], v12 offset0:16 offset1:18
	s_waitcnt lgkmcnt(4)
	v_pk_mul_f32 v[16:17], v[2:3], v[20:21]
	ds_write2st64_b32 v12, v16, v17 offset0:8 offset1:10
	s_waitcnt lgkmcnt(4)
	v_pk_mul_f32 v[16:17], v[2:3], v[22:23]
	ds_write2st64_b32 v12, v16, v17 offset0:12 offset1:14
	ds_read2st64_b32 v[16:17], v12 offset0:20 offset1:22
	s_waitcnt lgkmcnt(3)
	v_pk_mul_f32 v[18:19], v[2:3], v[18:19]
	ds_read2st64_b32 v[20:21], v12 offset0:24 offset1:26
	ds_write2st64_b32 v12, v18, v19 offset0:16 offset1:18
	ds_read2st64_b32 v[18:19], v12 offset0:28 offset1:30
	s_waitcnt lgkmcnt(3)
	v_pk_mul_f32 v[16:17], v[2:3], v[16:17]
	ds_write2st64_b32 v12, v16, v17 offset0:20 offset1:22
	s_waitcnt lgkmcnt(3)
	v_pk_mul_f32 v[16:17], v[2:3], v[20:21]
	ds_write2st64_b32 v12, v16, v17 offset0:24 offset1:26
	s_waitcnt lgkmcnt(2)
	v_pk_mul_f32 v[16:17], v[2:3], v[18:19]
	s_add_i32 s40, s40, 16
	v_cmp_eq_u32_e32 vcc, 0, v9
	ds_write2st64_b32 v12, v16, v17 offset0:28 offset1:30
	v_add_u32_e32 v12, 0x2000, v12
	s_or_b64 s[38:39], vcc, s[38:39]
	v_mov_b32_e32 v13, s40
	s_andn2_b64 exec, exec, s[38:39]
	s_cbranch_execnz .LBB153_36
; %bb.37:
	s_or_b64 exec, exec, s[38:39]
.LBB153_38:
	s_or_b64 exec, exec, s[10:11]
	v_and_b32_e32 v8, 7, v8
	v_cmp_ne_u32_e32 vcc, 0, v8
	s_and_saveexec_b64 s[10:11], vcc
	s_cbranch_execz .LBB153_41
; %bb.39:
	v_lshlrev_b32_e32 v9, 9, v13
	v_lshlrev_b32_e32 v12, 2, v0
	s_movk_i32 s38, 0x50
	v_add3_u32 v9, v9, v12, s38
	s_mov_b64 s[38:39], 0
.LBB153_40:                             ; =>This Inner Loop Header: Depth=1
	ds_read2st64_b32 v[12:13], v9 offset1:2
	v_add_u32_e32 v8, -1, v8
	v_cmp_eq_u32_e32 vcc, 0, v8
	s_or_b64 s[38:39], vcc, s[38:39]
	s_waitcnt lgkmcnt(0)
	v_pk_mul_f32 v[12:13], v[2:3], v[12:13]
	ds_write2st64_b32 v9, v12, v13 offset1:2
	v_add_u32_e32 v9, 0x400, v9
	s_andn2_b64 exec, exec, s[38:39]
	s_cbranch_execnz .LBB153_40
.LBB153_41:
	s_or_b64 exec, exec, s[10:11]
	v_add_u32_e32 v7, 1, v7
	v_and_b32_e32 v8, 0x3fffffe, v7
	v_cmp_ne_u32_e32 vcc, v7, v8
	v_lshl_add_u32 v3, v8, 7, v0
	s_orn2_b64 s[10:11], vcc, exec
.LBB153_42:
	s_or_b64 exec, exec, s[4:5]
	s_and_b64 exec, exec, s[10:11]
	s_cbranch_execz .LBB153_45
; %bb.43:
	v_mov_b32_e32 v7, 0x50
	v_lshl_add_u32 v7, v3, 2, v7
	s_mov_b64 s[4:5], 0
.LBB153_44:                             ; =>This Inner Loop Header: Depth=1
	ds_read_b32 v8, v7
	v_add_u32_e32 v3, 0x80, v3
	v_cmp_le_i32_e32 vcc, s15, v3
	s_or_b64 s[4:5], vcc, s[4:5]
	s_waitcnt lgkmcnt(0)
	v_mul_f32_e32 v8, v2, v8
	ds_write_b32 v7, v8
	v_add_u32_e32 v7, 0x200, v7
	s_andn2_b64 exec, exec, s[4:5]
	s_cbranch_execnz .LBB153_44
.LBB153_45:
	s_or_b64 exec, exec, s[2:3]
	s_mul_i32 s2, s16, s28
	v_cmp_eq_u32_e32 vcc, 0, v0
	s_mul_i32 s2, s2, s9
	s_waitcnt lgkmcnt(0)
	s_barrier
	s_and_saveexec_b64 s[4:5], vcc
	s_cbranch_execz .LBB153_47
; %bb.46:
	s_ashr_i32 s3, s2, 31
	s_lshl_b64 s[10:11], s[2:3], 2
	s_add_u32 s3, s22, s10
	s_mul_i32 s22, s16, s6
	s_addc_u32 s9, s23, s11
	s_ashr_i32 s23, s22, 31
	s_lshl_b64 s[22:23], s[22:23], 2
	s_add_u32 s3, s3, s22
	s_addc_u32 s6, s9, s23
	s_ashr_i32 s9, s8, 31
	s_lshl_b64 s[8:9], s[8:9], 2
	s_add_u32 s38, s3, s8
	s_addc_u32 s39, s6, s9
	s_add_u32 s3, s20, s10
	s_addc_u32 s6, s21, s11
	;; [unrolled: 2-line block ×3, first 2 shown]
	s_add_u32 s8, s3, s8
	v_mov_b32_e32 v2, 0
	s_addc_u32 s9, s6, s9
	global_store_dword v2, v5, s[38:39]
	global_store_dword v2, v6, s[8:9]
.LBB153_47:
	s_or_b64 exec, exec, s[4:5]
	v_mov_b32_e32 v20, 0
	s_and_saveexec_b64 s[4:5], s[0:1]
	s_cbranch_execz .LBB153_119
; %bb.48:
	s_ashr_i32 s15, s14, 31
	s_sub_i32 s3, s48, s17
	s_lshl_b64 s[0:1], s[14:15], 1
	s_add_u32 s0, s36, s0
	s_addc_u32 s1, s37, s1
	s_abs_i32 s10, s18
	v_cvt_f32_u32_e32 v2, s10
	v_lshlrev_b32_e32 v3, 3, v0
	v_and_b32_e32 v16, 8, v3
	v_lshlrev_b32_e32 v3, 4, v0
	v_rcp_iflag_f32_e32 v2, v2
	v_and_b32_e32 v3, 0x3f0, v3
	v_add_co_u32_e32 v17, vcc, s0, v3
	v_mul_f32_e32 v2, 0x4f7ffffe, v2
	v_cvt_u32_f32_e32 v2, v2
	s_sub_i32 s0, 0, s10
	s_mov_b32 s11, s13
	v_mov_b32_e32 v5, s1
	v_mul_lo_u32 v3, s0, v2
	s_add_i32 s13, s7, -1
	v_mul_hi_u32 v3, v2, v3
	s_lshl_b64 s[0:1], s[34:35], 2
	v_addc_co_u32_e32 v18, vcc, 0, v5, vcc
	v_add_u32_e32 v19, v2, v3
	v_lshlrev_b64 v[2:3], 2, v[10:11]
	s_add_u32 s0, s30, s0
	v_add_co_u32_e32 v12, vcc, s0, v2
	v_and_b32_e32 v2, 1, v0
	s_addc_u32 s1, s31, s1
	v_lshlrev_b32_e32 v2, 5, v2
	v_mov_b32_e32 v5, s1
	v_lshl_or_b32 v2, v4, 6, v2
	v_addc_co_u32_e32 v13, vcc, v5, v3, vcc
	v_add_u32_e32 v11, 0x50, v2
	s_mov_b64 s[6:7], 0
	v_mov_b32_e32 v21, 0
	s_mov_b32 s14, 0x7f800000
	s_movk_i32 s15, 0x7fff
	v_mov_b32_e32 v20, 0
	s_branch .LBB153_51
.LBB153_49:                             ;   in Loop: Header=BB153_51 Depth=1
	s_or_b64 exec, exec, s[8:9]
	v_and_b32_e32 v6, 0xffff0000, v8
	v_and_b32_e32 v9, 0xffff0000, v22
	;; [unrolled: 1-line block ×8, first 2 shown]
	v_pk_add_f32 v[2:3], v[2:3], v[8:9]
	v_pk_add_f32 v[4:5], v[4:5], v[6:7]
	v_add_f32_e32 v2, v2, v3
	v_add_f32_e32 v2, v2, v4
	;; [unrolled: 1-line block ×4, first 2 shown]
.LBB153_50:                             ;   in Loop: Header=BB153_51 Depth=1
	s_or_b64 exec, exec, s[0:1]
	v_add_co_u32_e32 v12, vcc, 8, v12
	v_add_u32_e32 v10, 2, v10
	v_addc_co_u32_e32 v13, vcc, 0, v13, vcc
	v_cmp_le_i32_e32 vcc, s47, v10
	v_add_u32_e32 v1, 32, v1
	s_or_b64 s[6:7], vcc, s[6:7]
	v_add_u32_e32 v11, 0x80, v11
	s_andn2_b64 exec, exec, s[6:7]
	s_cbranch_execz .LBB153_118
.LBB153_51:                             ; =>This Inner Loop Header: Depth=1
	v_sub_u32_e32 v3, 0, v1
	v_max_i32_e32 v3, v1, v3
	v_mul_hi_u32 v4, v3, s33
	v_mul_lo_u32 v5, v4, s25
	v_sub_u32_e32 v3, v3, v5
	v_add_u32_e32 v5, 1, v4
	v_cmp_le_u32_e32 vcc, s25, v3
	v_cndmask_b32_e32 v4, v4, v5, vcc
	v_subrev_u32_e32 v5, s25, v3
	v_cndmask_b32_e32 v3, v3, v5, vcc
	v_ashrrev_i32_e32 v2, 31, v1
	v_add_u32_e32 v5, 1, v4
	v_cmp_le_u32_e32 vcc, s25, v3
	v_xor_b32_e32 v2, s19, v2
	v_cndmask_b32_e32 v3, v4, v5, vcc
	v_xor_b32_e32 v3, v3, v2
	v_sub_u32_e32 v2, v3, v2
	v_add_u32_e32 v3, s46, v2
	v_sub_u32_e32 v5, 0, v3
	v_ashrrev_i32_e32 v4, 31, v3
	v_max_i32_e32 v3, v3, v5
	v_mul_hi_u32 v5, v3, v19
	v_mul_lo_u32 v5, v5, s10
	v_sub_u32_e32 v3, v3, v5
	v_subrev_u32_e32 v5, s10, v3
	v_cmp_le_u32_e32 vcc, s10, v3
	v_cndmask_b32_e32 v3, v3, v5, vcc
	v_subrev_u32_e32 v5, s10, v3
	v_cmp_le_u32_e32 vcc, s10, v3
	v_cndmask_b32_e32 v3, v3, v5, vcc
	v_xor_b32_e32 v3, v3, v4
	v_sub_u32_e32 v3, v3, v4
	v_cmp_eq_u32_e32 vcc, 0, v3
	v_cmp_lt_i32_e64 s[0:1], s3, v2
	s_or_b64 s[8:9], vcc, s[0:1]
	s_and_saveexec_b64 s[0:1], s[8:9]
	s_cbranch_execz .LBB153_50
; %bb.52:                               ;   in Loop: Header=BB153_51 Depth=1
	global_load_dword v26, v[12:13], off
	ds_read2_b64 v[6:9], v11 offset1:1
	ds_read2_b64 v[2:5], v11 offset0:2 offset1:3
                                        ; implicit-def: $vgpr25
	s_waitcnt lgkmcnt(1)
	v_and_b32_e32 v22, 0x7f800000, v6
	v_cmp_ne_u32_e32 vcc, s14, v22
	s_and_saveexec_b64 s[8:9], vcc
	s_xor_b64 s[8:9], exec, s[8:9]
; %bb.53:                               ;   in Loop: Header=BB153_51 Depth=1
	v_bfe_u32 v22, v6, 16, 1
	v_add3_u32 v25, v6, v22, s15
; %bb.54:                               ;   in Loop: Header=BB153_51 Depth=1
	s_andn2_saveexec_b64 s[8:9], s[8:9]
; %bb.55:                               ;   in Loop: Header=BB153_51 Depth=1
	v_or_b32_e32 v22, 0x10000, v6
	v_cmp_eq_u32_sdwa vcc, v6, v21 src0_sel:WORD_0 src1_sel:DWORD
	v_cndmask_b32_e32 v25, v22, v6, vcc
; %bb.56:                               ;   in Loop: Header=BB153_51 Depth=1
	s_or_b64 exec, exec, s[8:9]
	v_and_b32_e32 v6, 0x7f800000, v7
	v_cmp_ne_u32_e32 vcc, s14, v6
                                        ; implicit-def: $vgpr24
	s_and_saveexec_b64 s[8:9], vcc
	s_xor_b64 s[8:9], exec, s[8:9]
; %bb.57:                               ;   in Loop: Header=BB153_51 Depth=1
	v_bfe_u32 v6, v7, 16, 1
	v_add3_u32 v24, v7, v6, s15
; %bb.58:                               ;   in Loop: Header=BB153_51 Depth=1
	s_andn2_saveexec_b64 s[8:9], s[8:9]
; %bb.59:                               ;   in Loop: Header=BB153_51 Depth=1
	v_or_b32_e32 v6, 0x10000, v7
	v_cmp_eq_u32_sdwa vcc, v7, v21 src0_sel:WORD_0 src1_sel:DWORD
	v_cndmask_b32_e32 v24, v6, v7, vcc
; %bb.60:                               ;   in Loop: Header=BB153_51 Depth=1
	s_or_b64 exec, exec, s[8:9]
	v_and_b32_e32 v6, 0x7f800000, v8
	v_cmp_ne_u32_e32 vcc, s14, v6
                                        ; implicit-def: $vgpr23
	s_and_saveexec_b64 s[8:9], vcc
	s_xor_b64 s[8:9], exec, s[8:9]
; %bb.61:                               ;   in Loop: Header=BB153_51 Depth=1
	v_bfe_u32 v6, v8, 16, 1
	v_add3_u32 v23, v8, v6, s15
; %bb.62:                               ;   in Loop: Header=BB153_51 Depth=1
	s_andn2_saveexec_b64 s[8:9], s[8:9]
; %bb.63:                               ;   in Loop: Header=BB153_51 Depth=1
	v_or_b32_e32 v6, 0x10000, v8
	v_cmp_eq_u32_sdwa vcc, v8, v21 src0_sel:WORD_0 src1_sel:DWORD
	v_cndmask_b32_e32 v23, v6, v8, vcc
; %bb.64:                               ;   in Loop: Header=BB153_51 Depth=1
	s_or_b64 exec, exec, s[8:9]
	v_and_b32_e32 v6, 0x7f800000, v9
	v_cmp_ne_u32_e32 vcc, s14, v6
                                        ; implicit-def: $vgpr22
	s_and_saveexec_b64 s[8:9], vcc
	s_xor_b64 s[8:9], exec, s[8:9]
; %bb.65:                               ;   in Loop: Header=BB153_51 Depth=1
	v_bfe_u32 v6, v9, 16, 1
	v_add3_u32 v22, v9, v6, s15
                                        ; implicit-def: $vgpr6_vgpr7_vgpr8_vgpr9
; %bb.66:                               ;   in Loop: Header=BB153_51 Depth=1
	s_andn2_saveexec_b64 s[8:9], s[8:9]
; %bb.67:                               ;   in Loop: Header=BB153_51 Depth=1
	v_or_b32_e32 v6, 0x10000, v9
	v_cmp_eq_u32_sdwa vcc, v9, v21 src0_sel:WORD_0 src1_sel:DWORD
	v_cndmask_b32_e32 v22, v6, v9, vcc
; %bb.68:                               ;   in Loop: Header=BB153_51 Depth=1
	s_or_b64 exec, exec, s[8:9]
	s_waitcnt lgkmcnt(0)
	v_and_b32_e32 v6, 0x7f800000, v2
	v_cmp_ne_u32_e32 vcc, s14, v6
                                        ; implicit-def: $vgpr9
	s_and_saveexec_b64 s[8:9], vcc
	s_xor_b64 s[8:9], exec, s[8:9]
; %bb.69:                               ;   in Loop: Header=BB153_51 Depth=1
	v_bfe_u32 v6, v2, 16, 1
	v_add3_u32 v9, v2, v6, s15
; %bb.70:                               ;   in Loop: Header=BB153_51 Depth=1
	s_andn2_saveexec_b64 s[8:9], s[8:9]
; %bb.71:                               ;   in Loop: Header=BB153_51 Depth=1
	v_or_b32_e32 v6, 0x10000, v2
	v_cmp_eq_u32_sdwa vcc, v2, v21 src0_sel:WORD_0 src1_sel:DWORD
	v_cndmask_b32_e32 v9, v6, v2, vcc
; %bb.72:                               ;   in Loop: Header=BB153_51 Depth=1
	s_or_b64 exec, exec, s[8:9]
	v_and_b32_e32 v2, 0x7f800000, v3
	v_cmp_ne_u32_e32 vcc, s14, v2
                                        ; implicit-def: $vgpr8
	s_and_saveexec_b64 s[8:9], vcc
	s_xor_b64 s[8:9], exec, s[8:9]
; %bb.73:                               ;   in Loop: Header=BB153_51 Depth=1
	v_bfe_u32 v2, v3, 16, 1
	v_add3_u32 v8, v3, v2, s15
; %bb.74:                               ;   in Loop: Header=BB153_51 Depth=1
	s_andn2_saveexec_b64 s[8:9], s[8:9]
; %bb.75:                               ;   in Loop: Header=BB153_51 Depth=1
	v_or_b32_e32 v2, 0x10000, v3
	v_cmp_eq_u32_sdwa vcc, v3, v21 src0_sel:WORD_0 src1_sel:DWORD
	v_cndmask_b32_e32 v8, v2, v3, vcc
; %bb.76:                               ;   in Loop: Header=BB153_51 Depth=1
	s_or_b64 exec, exec, s[8:9]
	v_and_b32_e32 v2, 0x7f800000, v4
	v_cmp_ne_u32_e32 vcc, s14, v2
                                        ; implicit-def: $vgpr7
	s_and_saveexec_b64 s[8:9], vcc
	s_xor_b64 s[8:9], exec, s[8:9]
; %bb.77:                               ;   in Loop: Header=BB153_51 Depth=1
	v_bfe_u32 v2, v4, 16, 1
	v_add3_u32 v7, v4, v2, s15
; %bb.78:                               ;   in Loop: Header=BB153_51 Depth=1
	s_andn2_saveexec_b64 s[8:9], s[8:9]
; %bb.79:                               ;   in Loop: Header=BB153_51 Depth=1
	v_or_b32_e32 v2, 0x10000, v4
	v_cmp_eq_u32_sdwa vcc, v4, v21 src0_sel:WORD_0 src1_sel:DWORD
	v_cndmask_b32_e32 v7, v2, v4, vcc
; %bb.80:                               ;   in Loop: Header=BB153_51 Depth=1
	s_or_b64 exec, exec, s[8:9]
	v_and_b32_e32 v2, 0x7f800000, v5
	v_cmp_ne_u32_e32 vcc, s14, v2
                                        ; implicit-def: $vgpr6
	s_and_saveexec_b64 s[8:9], vcc
	s_xor_b64 s[8:9], exec, s[8:9]
; %bb.81:                               ;   in Loop: Header=BB153_51 Depth=1
	v_bfe_u32 v2, v5, 16, 1
	v_add3_u32 v6, v5, v2, s15
                                        ; implicit-def: $vgpr2_vgpr3_vgpr4_vgpr5
; %bb.82:                               ;   in Loop: Header=BB153_51 Depth=1
	s_andn2_saveexec_b64 s[8:9], s[8:9]
; %bb.83:                               ;   in Loop: Header=BB153_51 Depth=1
	v_or_b32_e32 v2, 0x10000, v5
	v_cmp_eq_u32_sdwa vcc, v5, v21 src0_sel:WORD_0 src1_sel:DWORD
	v_cndmask_b32_e32 v6, v2, v5, vcc
; %bb.84:                               ;   in Loop: Header=BB153_51 Depth=1
	s_or_b64 exec, exec, s[8:9]
	s_waitcnt vmcnt(0)
	v_mad_i64_i32 v[2:3], s[8:9], v26, s11, 0
	v_lshlrev_b64 v[2:3], 1, v[2:3]
	v_add_co_u32_e32 v2, vcc, v17, v2
	v_addc_co_u32_e32 v3, vcc, v18, v3, vcc
	global_load_dwordx4 v[2:5], v[2:3], off
	v_cmp_eq_u32_e32 vcc, s13, v10
	s_waitcnt vmcnt(0)
	v_lshrrev_b32_e32 v29, 16, v2
	v_lshrrev_b32_e32 v28, 16, v3
	;; [unrolled: 1-line block ×4, first 2 shown]
	s_and_saveexec_b64 s[8:9], vcc
	s_cbranch_execz .LBB153_86
; %bb.85:                               ;   in Loop: Header=BB153_51 Depth=1
	v_add_u32_e32 v30, v16, v1
	v_cmp_gt_i32_e32 vcc, s29, v30
	v_add_u32_e32 v31, 1, v30
	v_cndmask_b32_e32 v2, 0, v2, vcc
	v_cmp_gt_i32_e32 vcc, s29, v31
	v_add_u32_e32 v31, 2, v30
	v_cndmask_b32_e32 v29, 0, v29, vcc
	;; [unrolled: 3-line block ×7, first 2 shown]
	v_cmp_gt_i32_e32 vcc, s29, v30
	v_cndmask_b32_e32 v26, 0, v26, vcc
.LBB153_86:                             ;   in Loop: Header=BB153_51 Depth=1
	s_or_b64 exec, exec, s[8:9]
	v_and_b32_e32 v25, 0xffff0000, v25
	v_lshlrev_b32_e32 v2, 16, v2
	v_mul_f32_e32 v25, v25, v2
	v_and_b32_e32 v2, 0x7f800000, v25
	v_cmp_ne_u32_e32 vcc, s14, v2
                                        ; implicit-def: $vgpr2
	s_and_saveexec_b64 s[8:9], vcc
	s_xor_b64 s[8:9], exec, s[8:9]
; %bb.87:                               ;   in Loop: Header=BB153_51 Depth=1
	v_bfe_u32 v2, v25, 16, 1
	v_add3_u32 v2, v25, v2, s15
                                        ; implicit-def: $vgpr25
; %bb.88:                               ;   in Loop: Header=BB153_51 Depth=1
	s_andn2_saveexec_b64 s[8:9], s[8:9]
; %bb.89:                               ;   in Loop: Header=BB153_51 Depth=1
	v_or_b32_e32 v2, 0x10000, v25
	v_cmp_eq_u32_sdwa vcc, v25, v21 src0_sel:WORD_0 src1_sel:DWORD
	v_cndmask_b32_e32 v2, v2, v25, vcc
; %bb.90:                               ;   in Loop: Header=BB153_51 Depth=1
	s_or_b64 exec, exec, s[8:9]
	v_and_b32_e32 v24, 0xffff0000, v24
	v_lshlrev_b32_e32 v25, 16, v29
	v_mul_f32_e32 v25, v24, v25
	v_and_b32_e32 v24, 0x7f800000, v25
	v_cmp_ne_u32_e32 vcc, s14, v24
                                        ; implicit-def: $vgpr24
	s_and_saveexec_b64 s[8:9], vcc
	s_xor_b64 s[8:9], exec, s[8:9]
; %bb.91:                               ;   in Loop: Header=BB153_51 Depth=1
	v_bfe_u32 v24, v25, 16, 1
	v_add3_u32 v24, v25, v24, s15
                                        ; implicit-def: $vgpr25
; %bb.92:                               ;   in Loop: Header=BB153_51 Depth=1
	s_andn2_saveexec_b64 s[8:9], s[8:9]
; %bb.93:                               ;   in Loop: Header=BB153_51 Depth=1
	v_or_b32_e32 v24, 0x10000, v25
	v_cmp_eq_u32_sdwa vcc, v25, v21 src0_sel:WORD_0 src1_sel:DWORD
	v_cndmask_b32_e32 v24, v24, v25, vcc
; %bb.94:                               ;   in Loop: Header=BB153_51 Depth=1
	s_or_b64 exec, exec, s[8:9]
	v_and_b32_e32 v23, 0xffff0000, v23
	v_lshlrev_b32_e32 v3, 16, v3
	v_mul_f32_e32 v23, v23, v3
	v_and_b32_e32 v3, 0x7f800000, v23
	v_cmp_ne_u32_e32 vcc, s14, v3
                                        ; implicit-def: $vgpr3
	s_and_saveexec_b64 s[8:9], vcc
	s_xor_b64 s[8:9], exec, s[8:9]
; %bb.95:                               ;   in Loop: Header=BB153_51 Depth=1
	v_bfe_u32 v3, v23, 16, 1
	v_add3_u32 v3, v23, v3, s15
                                        ; implicit-def: $vgpr23
; %bb.96:                               ;   in Loop: Header=BB153_51 Depth=1
	s_andn2_saveexec_b64 s[8:9], s[8:9]
; %bb.97:                               ;   in Loop: Header=BB153_51 Depth=1
	v_or_b32_e32 v3, 0x10000, v23
	v_cmp_eq_u32_sdwa vcc, v23, v21 src0_sel:WORD_0 src1_sel:DWORD
	v_cndmask_b32_e32 v3, v3, v23, vcc
; %bb.98:                               ;   in Loop: Header=BB153_51 Depth=1
	s_or_b64 exec, exec, s[8:9]
	v_and_b32_e32 v22, 0xffff0000, v22
	v_lshlrev_b32_e32 v23, 16, v28
	v_mul_f32_e32 v23, v22, v23
	v_and_b32_e32 v22, 0x7f800000, v23
	v_cmp_ne_u32_e32 vcc, s14, v22
                                        ; implicit-def: $vgpr22
	s_and_saveexec_b64 s[8:9], vcc
	s_xor_b64 s[8:9], exec, s[8:9]
; %bb.99:                               ;   in Loop: Header=BB153_51 Depth=1
	v_bfe_u32 v22, v23, 16, 1
	v_add3_u32 v22, v23, v22, s15
                                        ; implicit-def: $vgpr23
; %bb.100:                              ;   in Loop: Header=BB153_51 Depth=1
	s_andn2_saveexec_b64 s[8:9], s[8:9]
; %bb.101:                              ;   in Loop: Header=BB153_51 Depth=1
	v_or_b32_e32 v22, 0x10000, v23
	v_cmp_eq_u32_sdwa vcc, v23, v21 src0_sel:WORD_0 src1_sel:DWORD
	v_cndmask_b32_e32 v22, v22, v23, vcc
; %bb.102:                              ;   in Loop: Header=BB153_51 Depth=1
	s_or_b64 exec, exec, s[8:9]
	v_and_b32_e32 v9, 0xffff0000, v9
	v_lshlrev_b32_e32 v4, 16, v4
	v_mul_f32_e32 v9, v9, v4
	v_and_b32_e32 v4, 0x7f800000, v9
	v_cmp_ne_u32_e32 vcc, s14, v4
                                        ; implicit-def: $vgpr4
	s_and_saveexec_b64 s[8:9], vcc
	s_xor_b64 s[8:9], exec, s[8:9]
; %bb.103:                              ;   in Loop: Header=BB153_51 Depth=1
	v_bfe_u32 v4, v9, 16, 1
	v_add3_u32 v4, v9, v4, s15
                                        ; implicit-def: $vgpr9
; %bb.104:                              ;   in Loop: Header=BB153_51 Depth=1
	s_andn2_saveexec_b64 s[8:9], s[8:9]
; %bb.105:                              ;   in Loop: Header=BB153_51 Depth=1
	v_or_b32_e32 v4, 0x10000, v9
	v_cmp_eq_u32_sdwa vcc, v9, v21 src0_sel:WORD_0 src1_sel:DWORD
	v_cndmask_b32_e32 v4, v4, v9, vcc
; %bb.106:                              ;   in Loop: Header=BB153_51 Depth=1
	s_or_b64 exec, exec, s[8:9]
	v_and_b32_e32 v8, 0xffff0000, v8
	v_lshlrev_b32_e32 v9, 16, v27
	v_mul_f32_e32 v9, v8, v9
	v_and_b32_e32 v8, 0x7f800000, v9
	v_cmp_ne_u32_e32 vcc, s14, v8
                                        ; implicit-def: $vgpr8
	s_and_saveexec_b64 s[8:9], vcc
	s_xor_b64 s[8:9], exec, s[8:9]
; %bb.107:                              ;   in Loop: Header=BB153_51 Depth=1
	v_bfe_u32 v8, v9, 16, 1
	v_add3_u32 v8, v9, v8, s15
                                        ; implicit-def: $vgpr9
; %bb.108:                              ;   in Loop: Header=BB153_51 Depth=1
	s_andn2_saveexec_b64 s[8:9], s[8:9]
; %bb.109:                              ;   in Loop: Header=BB153_51 Depth=1
	v_or_b32_e32 v8, 0x10000, v9
	v_cmp_eq_u32_sdwa vcc, v9, v21 src0_sel:WORD_0 src1_sel:DWORD
	v_cndmask_b32_e32 v8, v8, v9, vcc
; %bb.110:                              ;   in Loop: Header=BB153_51 Depth=1
	s_or_b64 exec, exec, s[8:9]
	v_and_b32_e32 v7, 0xffff0000, v7
	v_lshlrev_b32_e32 v5, 16, v5
	v_mul_f32_e32 v7, v7, v5
	v_and_b32_e32 v5, 0x7f800000, v7
	v_cmp_ne_u32_e32 vcc, s14, v5
                                        ; implicit-def: $vgpr5
	s_and_saveexec_b64 s[8:9], vcc
	s_xor_b64 s[8:9], exec, s[8:9]
; %bb.111:                              ;   in Loop: Header=BB153_51 Depth=1
	v_bfe_u32 v5, v7, 16, 1
	v_add3_u32 v5, v7, v5, s15
                                        ; implicit-def: $vgpr7
; %bb.112:                              ;   in Loop: Header=BB153_51 Depth=1
	s_andn2_saveexec_b64 s[8:9], s[8:9]
; %bb.113:                              ;   in Loop: Header=BB153_51 Depth=1
	v_or_b32_e32 v5, 0x10000, v7
	v_cmp_eq_u32_sdwa vcc, v7, v21 src0_sel:WORD_0 src1_sel:DWORD
	v_cndmask_b32_e32 v5, v5, v7, vcc
; %bb.114:                              ;   in Loop: Header=BB153_51 Depth=1
	s_or_b64 exec, exec, s[8:9]
	v_and_b32_e32 v6, 0xffff0000, v6
	v_lshlrev_b32_e32 v7, 16, v26
	v_mul_f32_e32 v6, v6, v7
	v_and_b32_e32 v7, 0x7f800000, v6
	v_cmp_ne_u32_e32 vcc, s14, v7
                                        ; implicit-def: $vgpr7
	s_and_saveexec_b64 s[8:9], vcc
	s_xor_b64 s[8:9], exec, s[8:9]
; %bb.115:                              ;   in Loop: Header=BB153_51 Depth=1
	v_bfe_u32 v7, v6, 16, 1
	v_add3_u32 v7, v6, v7, s15
                                        ; implicit-def: $vgpr6
; %bb.116:                              ;   in Loop: Header=BB153_51 Depth=1
	s_andn2_saveexec_b64 s[8:9], s[8:9]
	s_cbranch_execz .LBB153_49
; %bb.117:                              ;   in Loop: Header=BB153_51 Depth=1
	v_or_b32_e32 v7, 0x10000, v6
	v_cmp_eq_u32_sdwa vcc, v6, v21 src0_sel:WORD_0 src1_sel:DWORD
	v_cndmask_b32_e32 v7, v7, v6, vcc
	s_branch .LBB153_49
.LBB153_118:
	s_or_b64 exec, exec, s[6:7]
.LBB153_119:
	s_or_b64 exec, exec, s[4:5]
	ds_bpermute_b32 v1, v15, v20
	v_and_b32_e32 v2, 0x3c1, v0
	v_cmp_eq_u32_e32 vcc, 64, v2
	s_waitcnt lgkmcnt(0)
	s_barrier
	v_add_f32_e32 v1, v20, v1
	s_and_saveexec_b64 s[0:1], vcc
	s_cbranch_execz .LBB153_121
; %bb.120:
	v_mov_b32_e32 v3, 0x50
	v_lshl_add_u32 v3, v14, 1, v3
	ds_write_b32 v3, v1
.LBB153_121:
	s_or_b64 exec, exec, s[0:1]
	v_cmp_eq_u32_e32 vcc, 0, v2
	s_waitcnt lgkmcnt(0)
	s_barrier
	s_and_saveexec_b64 s[0:1], vcc
	s_cbranch_execz .LBB153_123
; %bb.122:
	v_mov_b32_e32 v2, 0x50
	v_lshl_add_u32 v2, v0, 1, v2
	ds_read_b32 v2, v2
	s_waitcnt lgkmcnt(0)
	v_add_f32_e32 v1, v1, v2
.LBB153_123:
	s_or_b64 exec, exec, s[0:1]
	s_barrier
	s_and_saveexec_b64 s[0:1], vcc
	s_cbranch_execz .LBB153_129
; %bb.124:
	s_mov_b32 s0, 0x7f800000
	v_and_b32_e32 v2, 0x7f800000, v1
	v_cmp_ne_u32_e32 vcc, s0, v2
                                        ; implicit-def: $vgpr2
	s_and_saveexec_b64 s[0:1], vcc
	s_xor_b64 s[0:1], exec, s[0:1]
; %bb.125:
	v_bfe_u32 v2, v1, 16, 1
	s_movk_i32 s3, 0x7fff
	v_add3_u32 v2, v1, v2, s3
                                        ; implicit-def: $vgpr1
; %bb.126:
	s_andn2_saveexec_b64 s[0:1], s[0:1]
; %bb.127:
	v_mov_b32_e32 v2, 0
	v_or_b32_e32 v3, 0x10000, v1
	v_cmp_eq_u32_sdwa vcc, v1, v2 src0_sel:WORD_0 src1_sel:DWORD
	v_cndmask_b32_e32 v2, v3, v1, vcc
; %bb.128:
	s_or_b64 exec, exec, s[0:1]
	s_lshl_b32 s0, s2, 5
	s_ashr_i32 s1, s0, 31
	s_lshl_b64 s[0:1], s[0:1], 1
	s_add_u32 s2, s26, s0
	s_mul_i32 s0, s16, s24
	s_addc_u32 s3, s27, s1
	s_ashr_i32 s1, s0, 31
	s_lshl_b64 s[0:1], s[0:1], 1
	s_add_u32 s2, s2, s0
	s_addc_u32 s3, s3, s1
	s_ashr_i32 s13, s12, 31
	s_lshl_b64 s[0:1], s[12:13], 1
	s_add_u32 s0, s2, s0
	s_addc_u32 s1, s3, s1
	global_store_short_d16_hi v0, v2, s[0:1]
.LBB153_129:
	s_endpgm
	.section	.rodata,"a",@progbits
	.p2align	6, 0x0
	.amdhsa_kernel _ZN4vllm25paged_attention_v2_kernelI14__hip_bfloat16S1_Li32ELi16ELi128ELNS_18Fp8KVCacheDataTypeE0ELb1ELi512EEEvPfS3_PT_PKS4_PKT0_SA_ifPKiSC_iPKfiiiSE_SE_iiiii
		.amdhsa_group_segment_fixed_size 80
		.amdhsa_private_segment_fixed_size 0
		.amdhsa_kernarg_size 400
		.amdhsa_user_sgpr_count 6
		.amdhsa_user_sgpr_private_segment_buffer 1
		.amdhsa_user_sgpr_dispatch_ptr 0
		.amdhsa_user_sgpr_queue_ptr 0
		.amdhsa_user_sgpr_kernarg_segment_ptr 1
		.amdhsa_user_sgpr_dispatch_id 0
		.amdhsa_user_sgpr_flat_scratch_init 0
		.amdhsa_user_sgpr_kernarg_preload_length 0
		.amdhsa_user_sgpr_kernarg_preload_offset 0
		.amdhsa_user_sgpr_private_segment_size 0
		.amdhsa_uses_dynamic_stack 0
		.amdhsa_system_sgpr_private_segment_wavefront_offset 0
		.amdhsa_system_sgpr_workgroup_id_x 1
		.amdhsa_system_sgpr_workgroup_id_y 1
		.amdhsa_system_sgpr_workgroup_id_z 1
		.amdhsa_system_sgpr_workgroup_info 0
		.amdhsa_system_vgpr_workitem_id 0
		.amdhsa_next_free_vgpr 40
		.amdhsa_next_free_sgpr 52
		.amdhsa_accum_offset 40
		.amdhsa_reserve_vcc 1
		.amdhsa_reserve_flat_scratch 0
		.amdhsa_float_round_mode_32 0
		.amdhsa_float_round_mode_16_64 0
		.amdhsa_float_denorm_mode_32 3
		.amdhsa_float_denorm_mode_16_64 3
		.amdhsa_dx10_clamp 1
		.amdhsa_ieee_mode 1
		.amdhsa_fp16_overflow 0
		.amdhsa_tg_split 0
		.amdhsa_exception_fp_ieee_invalid_op 0
		.amdhsa_exception_fp_denorm_src 0
		.amdhsa_exception_fp_ieee_div_zero 0
		.amdhsa_exception_fp_ieee_overflow 0
		.amdhsa_exception_fp_ieee_underflow 0
		.amdhsa_exception_fp_ieee_inexact 0
		.amdhsa_exception_int_div_zero 0
	.end_amdhsa_kernel
	.section	.text._ZN4vllm25paged_attention_v2_kernelI14__hip_bfloat16S1_Li32ELi16ELi128ELNS_18Fp8KVCacheDataTypeE0ELb1ELi512EEEvPfS3_PT_PKS4_PKT0_SA_ifPKiSC_iPKfiiiSE_SE_iiiii,"axG",@progbits,_ZN4vllm25paged_attention_v2_kernelI14__hip_bfloat16S1_Li32ELi16ELi128ELNS_18Fp8KVCacheDataTypeE0ELb1ELi512EEEvPfS3_PT_PKS4_PKT0_SA_ifPKiSC_iPKfiiiSE_SE_iiiii,comdat
.Lfunc_end153:
	.size	_ZN4vllm25paged_attention_v2_kernelI14__hip_bfloat16S1_Li32ELi16ELi128ELNS_18Fp8KVCacheDataTypeE0ELb1ELi512EEEvPfS3_PT_PKS4_PKT0_SA_ifPKiSC_iPKfiiiSE_SE_iiiii, .Lfunc_end153-_ZN4vllm25paged_attention_v2_kernelI14__hip_bfloat16S1_Li32ELi16ELi128ELNS_18Fp8KVCacheDataTypeE0ELb1ELi512EEEvPfS3_PT_PKS4_PKT0_SA_ifPKiSC_iPKfiiiSE_SE_iiiii
                                        ; -- End function
	.section	.AMDGPU.csdata,"",@progbits
; Kernel info:
; codeLenInByte = 5432
; NumSgprs: 56
; NumVgprs: 40
; NumAgprs: 0
; TotalNumVgprs: 40
; ScratchSize: 0
; MemoryBound: 0
; FloatMode: 240
; IeeeMode: 1
; LDSByteSize: 80 bytes/workgroup (compile time only)
; SGPRBlocks: 6
; VGPRBlocks: 4
; NumSGPRsForWavesPerEU: 56
; NumVGPRsForWavesPerEU: 40
; AccumOffset: 40
; Occupancy: 8
; WaveLimiterHint : 1
; COMPUTE_PGM_RSRC2:SCRATCH_EN: 0
; COMPUTE_PGM_RSRC2:USER_SGPR: 6
; COMPUTE_PGM_RSRC2:TRAP_HANDLER: 0
; COMPUTE_PGM_RSRC2:TGID_X_EN: 1
; COMPUTE_PGM_RSRC2:TGID_Y_EN: 1
; COMPUTE_PGM_RSRC2:TGID_Z_EN: 1
; COMPUTE_PGM_RSRC2:TIDIG_COMP_CNT: 0
; COMPUTE_PGM_RSRC3_GFX90A:ACCUM_OFFSET: 9
; COMPUTE_PGM_RSRC3_GFX90A:TG_SPLIT: 0
	.section	.text._ZN4vllm25paged_attention_v2_kernelI14__hip_bfloat16S1_Li64ELi16ELi128ELNS_18Fp8KVCacheDataTypeE0ELb1ELi512EEEvPfS3_PT_PKS4_PKT0_SA_ifPKiSC_iPKfiiiSE_SE_iiiii,"axG",@progbits,_ZN4vllm25paged_attention_v2_kernelI14__hip_bfloat16S1_Li64ELi16ELi128ELNS_18Fp8KVCacheDataTypeE0ELb1ELi512EEEvPfS3_PT_PKS4_PKT0_SA_ifPKiSC_iPKfiiiSE_SE_iiiii,comdat
	.protected	_ZN4vllm25paged_attention_v2_kernelI14__hip_bfloat16S1_Li64ELi16ELi128ELNS_18Fp8KVCacheDataTypeE0ELb1ELi512EEEvPfS3_PT_PKS4_PKT0_SA_ifPKiSC_iPKfiiiSE_SE_iiiii ; -- Begin function _ZN4vllm25paged_attention_v2_kernelI14__hip_bfloat16S1_Li64ELi16ELi128ELNS_18Fp8KVCacheDataTypeE0ELb1ELi512EEEvPfS3_PT_PKS4_PKT0_SA_ifPKiSC_iPKfiiiSE_SE_iiiii
	.globl	_ZN4vllm25paged_attention_v2_kernelI14__hip_bfloat16S1_Li64ELi16ELi128ELNS_18Fp8KVCacheDataTypeE0ELb1ELi512EEEvPfS3_PT_PKS4_PKT0_SA_ifPKiSC_iPKfiiiSE_SE_iiiii
	.p2align	8
	.type	_ZN4vllm25paged_attention_v2_kernelI14__hip_bfloat16S1_Li64ELi16ELi128ELNS_18Fp8KVCacheDataTypeE0ELb1ELi512EEEvPfS3_PT_PKS4_PKT0_SA_ifPKiSC_iPKfiiiSE_SE_iiiii,@function
_ZN4vllm25paged_attention_v2_kernelI14__hip_bfloat16S1_Li64ELi16ELi128ELNS_18Fp8KVCacheDataTypeE0ELb1ELi512EEEvPfS3_PT_PKS4_PKT0_SA_ifPKiSC_iPKfiiiSE_SE_iiiii: ; @_ZN4vllm25paged_attention_v2_kernelI14__hip_bfloat16S1_Li64ELi16ELi128ELNS_18Fp8KVCacheDataTypeE0ELb1ELi512EEEvPfS3_PT_PKS4_PKT0_SA_ifPKiSC_iPKfiiiSE_SE_iiiii
; %bb.0:
	s_load_dwordx2 s[0:1], s[4:5], 0x40
	s_mov_b32 s24, s7
	s_ashr_i32 s25, s7, 31
	s_lshl_b64 s[2:3], s[24:25], 2
	s_waitcnt lgkmcnt(0)
	s_add_u32 s0, s0, s2
	s_addc_u32 s1, s1, s3
	s_load_dword s33, s[0:1], 0x0
	s_lshl_b32 s9, s8, 9
	s_waitcnt lgkmcnt(0)
	s_cmp_ge_i32 s9, s33
	s_cbranch_scc1 .LBB154_172
; %bb.1:
	s_load_dword s25, s[4:5], 0x90
	s_load_dwordx2 s[38:39], s[4:5], 0x30
	s_mov_b32 s49, 0
	s_waitcnt lgkmcnt(0)
	s_abs_i32 s2, s25
	s_abs_i32 s0, s38
	v_cvt_f32_u32_e32 v1, s0
	s_sub_i32 s3, 0, s0
	s_xor_b32 s1, s25, s38
	s_ashr_i32 s1, s1, 31
	v_rcp_iflag_f32_e32 v1, v1
	v_mul_f32_e32 v1, 0x4f7ffffe, v1
	v_cvt_u32_f32_e32 v1, v1
	v_readfirstlane_b32 s7, v1
	s_mul_i32 s3, s3, s7
	s_mul_hi_u32 s3, s7, s3
	s_add_i32 s7, s7, s3
	s_mul_hi_u32 s3, s2, s7
	s_mul_i32 s7, s3, s0
	s_sub_i32 s2, s2, s7
	s_add_i32 s10, s3, 1
	s_sub_i32 s7, s2, s0
	s_cmp_ge_u32 s2, s0
	s_cselect_b32 s3, s10, s3
	s_cselect_b32 s2, s7, s2
	s_add_i32 s7, s3, 1
	s_cmp_ge_u32 s2, s0
	s_cselect_b32 s0, s7, s3
	s_xor_b32 s0, s0, s1
	s_sub_i32 s11, s0, s1
	s_abs_i32 s2, s11
	v_cvt_f32_u32_e32 v1, s2
	s_load_dwordx2 s[0:1], s[4:5], 0x50
	s_sub_i32 s7, 0, s2
	s_abs_i32 s3, s6
	v_rcp_iflag_f32_e32 v1, v1
	v_mul_f32_e32 v1, 0x4f7ffffe, v1
	v_cvt_u32_f32_e32 v1, v1
	v_readfirstlane_b32 s10, v1
	s_mul_i32 s7, s7, s10
	s_mul_hi_u32 s7, s10, s7
	s_add_i32 s10, s10, s7
	s_waitcnt lgkmcnt(0)
	s_cmp_eq_u64 s[0:1], 0
	s_mul_hi_u32 s10, s3, s10
	s_cbranch_scc1 .LBB154_3
; %bb.2:
	s_ashr_i32 s7, s6, 31
	s_lshl_b64 s[12:13], s[6:7], 2
	s_add_u32 s0, s0, s12
	s_addc_u32 s1, s1, s13
	s_load_dword s49, s[0:1], 0x0
.LBB154_3:
	s_load_dwordx4 s[12:15], s[4:5], 0x58
	s_ashr_i32 s7, s6, 31
	s_ashr_i32 s11, s11, 31
	v_and_b32_e32 v2, 3, v0
	s_lshl_b32 s26, s6, 6
	v_cmp_gt_u32_e32 vcc, 32, v0
	s_and_saveexec_b64 s[0:1], vcc
	s_cbranch_execz .LBB154_5
; %bb.4:
	s_load_dwordx2 s[16:17], s[4:5], 0x18
	s_waitcnt lgkmcnt(0)
	s_mul_i32 s18, s24, s12
	s_ashr_i32 s19, s18, 31
	s_lshl_b64 s[18:19], s[18:19], 1
	v_lshlrev_b32_e32 v1, 2, v0
	s_add_u32 s12, s16, s18
	s_addc_u32 s15, s17, s19
	s_ashr_i32 s27, s26, 31
	s_lshl_b64 s[16:17], s[26:27], 1
	s_add_u32 s16, s12, s16
	s_addc_u32 s17, s15, s17
	global_load_dword v1, v1, s[16:17]
	v_and_b32_e32 v3, 0x3fc, v0
	v_lshl_add_u32 v3, v2, 5, v3
	s_waitcnt vmcnt(0)
	ds_write_b32 v3, v1
.LBB154_5:
	s_or_b64 exec, exec, s[0:1]
	s_mul_i32 s1, s10, s2
	s_sub_i32 s1, s3, s1
	s_xor_b32 s0, s7, s11
	s_add_i32 s3, s10, 1
	s_sub_i32 s7, s1, s2
	s_load_dwordx4 s[16:19], s[4:5], 0x78
	s_cmp_ge_u32 s1, s2
	s_cselect_b32 s3, s3, s10
	s_load_dword s10, s[4:5], 0x88
	s_cselect_b32 s1, s7, s1
	s_add_i32 s7, s3, 1
	s_cmp_ge_u32 s1, s2
	s_cselect_b32 s1, s7, s3
	s_waitcnt lgkmcnt(0)
	s_abs_i32 s27, s19
	v_cvt_f32_u32_e32 v1, s27
	s_xor_b32 s1, s1, s0
	s_sub_i32 s2, s1, s0
	s_sub_i32 s0, 0, s27
	v_rcp_iflag_f32_e32 v1, v1
	s_add_i32 s11, s33, -1
	s_abs_i32 s3, s11
	v_mul_f32_e32 v1, 0x4f7ffffe, v1
	v_cvt_u32_f32_e32 v1, v1
	s_barrier
	v_readfirstlane_b32 s46, v1
	s_mul_i32 s0, s0, s46
	s_mul_hi_u32 s0, s46, s0
	s_add_i32 s46, s46, s0
	s_cmp_lt_i32 s10, 0
	s_mul_hi_u32 s7, s3, s46
	s_cbranch_scc0 .LBB154_7
; %bb.6:
	s_mul_i32 s0, s16, s38
	s_add_i32 s0, s2, s0
	s_mul_i32 s0, s0, s10
	s_sub_i32 s47, 1, s0
	s_mov_b64 s[0:1], 0
	s_branch .LBB154_8
.LBB154_7:
	s_mov_b64 s[0:1], -1
                                        ; implicit-def: $sgpr47
.LBB154_8:
	s_load_dwordx2 s[30:31], s[4:5], 0x38
	s_ashr_i32 s11, s11, 31
	s_andn2_b64 vcc, exec, s[0:1]
	s_ashr_i32 s19, s19, 31
	s_cbranch_vccnz .LBB154_10
; %bb.9:
	s_mul_i32 s0, s25, s16
	s_add_i32 s0, s0, s6
	s_mul_i32 s0, s0, s10
	s_add_i32 s47, s0, 1
.LBB154_10:
	s_load_dword s0, s[4:5], 0x48
	s_load_dwordx2 s[36:37], s[4:5], 0x28
	s_load_dword s12, s[4:5], 0x98
	s_load_dwordx4 s[20:23], s[4:5], 0x0
	s_load_dwordx2 s[28:29], s[4:5], 0x10
	s_mul_i32 s1, s7, s27
	s_waitcnt lgkmcnt(0)
	s_mul_i32 s34, s24, s0
	s_sub_i32 s1, s3, s1
	s_ashr_i32 s35, s34, 31
	s_xor_b32 s0, s11, s19
	s_add_i32 s3, s7, 1
	s_sub_i32 s10, s1, s27
	s_cmp_ge_u32 s1, s27
	s_cselect_b32 s3, s3, s7
	s_cselect_b32 s1, s10, s1
	s_add_i32 s7, s3, 1
	s_cmp_ge_u32 s1, s27
	s_cselect_b32 s1, s7, s3
	s_xor_b32 s1, s1, s0
	s_sub_i32 s48, s1, s0
	s_add_i32 s0, s33, 15
	s_ashr_i32 s1, s0, 31
	s_lshr_b32 s1, s1, 28
	s_add_i32 s0, s0, s1
	s_lshl_b32 s38, s8, 5
	s_ashr_i32 s7, s0, 4
	s_add_i32 s0, s38, 32
	v_lshrrev_b32_e32 v4, 6, v0
	s_min_i32 s16, s0, s7
	v_or_b32_e32 v10, s38, v4
	v_cmp_gt_i32_e64 s[0:1], s16, v10
	v_mov_b32_e32 v12, 0xff7fffff
	s_mul_i32 s14, s2, s14
	v_ashrrev_i32_e32 v11, 31, v10
	v_lshl_add_u32 v1, v4, 4, s9
	v_mbcnt_lo_u32_b32 v5, -1, 0
	s_and_saveexec_b64 s[40:41], s[0:1]
	s_cbranch_execz .LBB154_20
; %bb.11:
	s_load_dwordx2 s[2:3], s[4:5], 0x20
	s_ashr_i32 s15, s14, 31
	s_sub_i32 s50, s48, s17
	s_lshl_b64 s[4:5], s[14:15], 1
	v_bfe_u32 v6, v0, 2, 4
	s_waitcnt lgkmcnt(0)
	s_add_u32 s2, s2, s4
	s_addc_u32 s3, s3, s5
	s_abs_i32 s15, s18
	v_cvt_f32_u32_e32 v8, s15
	v_lshlrev_b32_e32 v3, 4, v6
	v_mov_b32_e32 v7, s3
	v_add_co_u32_e64 v3, s[2:3], s2, v3
	v_rcp_iflag_f32_e32 v12, v8
	v_addc_co_u32_e64 v9, s[2:3], 0, v7, s[2:3]
	v_lshlrev_b32_e32 v7, 2, v0
	v_and_b32_e32 v7, 12, v7
	v_add_co_u32_e64 v7, s[2:3], v3, v7
	v_mul_f32_e32 v3, 0x4f7ffffe, v12
	v_cvt_u32_f32_e32 v3, v3
	s_sub_i32 s4, 0, s15
	v_cmp_eq_u32_e32 vcc, 0, v2
	v_addc_co_u32_e64 v8, s[2:3], 0, v9, s[2:3]
	v_lshlrev_b32_e32 v9, 5, v2
	v_mul_lo_u32 v2, s4, v3
	s_lshl_b64 s[4:5], s[34:35], 2
	v_mul_hi_u32 v2, v3, v2
	s_add_u32 s4, s30, s4
	v_add_u32_e32 v13, v3, v2
	v_lshlrev_b64 v[2:3], 2, v[10:11]
	s_addc_u32 s5, s31, s5
	v_mov_b32_e32 v12, s5
	v_add_co_u32_e64 v2, s[4:5], s4, v2
	v_addc_co_u32_e64 v3, s[4:5], v12, v3, s[4:5]
	v_lshlrev_b32_e32 v12, 2, v6
	v_lshl_or_b32 v12, v4, 6, v12
	v_add_u32_e32 v15, 0x90, v12
	v_subrev_u32_e32 v12, s33, v6
	v_mbcnt_hi_u32_b32 v18, -1, v5
	v_add_u32_e32 v16, 1, v12
	v_and_b32_e32 v12, 64, v18
	s_mov_b32 s51, s13
	v_cmp_neq_f32_e64 s[2:3], s49, 0
	v_lshl_add_u32 v14, v4, 4, s9
	s_mov_b64 s[42:43], 0
	v_mov_b32_e32 v17, 0xff7fffff
	v_add_u32_e32 v19, 64, v12
	v_xor_b32_e32 v20, 2, v18
	v_xor_b32_e32 v21, 1, v18
	v_mov_b32_e32 v12, 0xff7fffff
	v_mov_b32_e32 v22, v10
	s_branch .LBB154_14
.LBB154_12:                             ;   in Loop: Header=BB154_14 Depth=1
	s_or_b64 exec, exec, s[44:45]
.LBB154_13:                             ;   in Loop: Header=BB154_14 Depth=1
	s_or_b64 exec, exec, s[10:11]
	v_add_co_u32_e64 v2, s[4:5], 8, v2
	v_add_u32_e32 v22, 2, v22
	v_addc_co_u32_e64 v3, s[4:5], 0, v3, s[4:5]
	v_cmp_le_i32_e64 s[4:5], s16, v22
	v_add_u32_e32 v14, 32, v14
	s_or_b64 s[42:43], s[4:5], s[42:43]
	v_add_u32_e32 v15, 0x80, v15
	s_andn2_b64 exec, exec, s[42:43]
	s_cbranch_execz .LBB154_19
.LBB154_14:                             ; =>This Inner Loop Header: Depth=1
	s_waitcnt lgkmcnt(0)
	v_sub_u32_e32 v24, 0, v14
	v_max_i32_e32 v24, v14, v24
	v_mul_hi_u32 v25, v24, s46
	v_mul_lo_u32 v26, v25, s27
	v_sub_u32_e32 v24, v24, v26
	v_add_u32_e32 v26, 1, v25
	v_cmp_le_u32_e64 s[4:5], s27, v24
	v_cndmask_b32_e64 v25, v25, v26, s[4:5]
	v_subrev_u32_e32 v26, s27, v24
	v_cndmask_b32_e64 v24, v24, v26, s[4:5]
	v_ashrrev_i32_e32 v23, 31, v14
	v_add_u32_e32 v26, 1, v25
	v_cmp_le_u32_e64 s[4:5], s27, v24
	v_xor_b32_e32 v23, s19, v23
	v_cndmask_b32_e64 v24, v25, v26, s[4:5]
	v_xor_b32_e32 v24, v24, v23
	v_sub_u32_e32 v23, v24, v23
	v_add_u32_e32 v24, s47, v23
	v_sub_u32_e32 v26, 0, v24
	v_ashrrev_i32_e32 v25, 31, v24
	v_max_i32_e32 v24, v24, v26
	v_mul_hi_u32 v26, v24, v13
	v_mul_lo_u32 v26, v26, s15
	v_sub_u32_e32 v24, v24, v26
	v_subrev_u32_e32 v26, s15, v24
	v_cmp_le_u32_e64 s[4:5], s15, v24
	v_cndmask_b32_e64 v24, v24, v26, s[4:5]
	v_subrev_u32_e32 v26, s15, v24
	v_cmp_le_u32_e64 s[4:5], s15, v24
	v_cndmask_b32_e64 v24, v24, v26, s[4:5]
	v_xor_b32_e32 v24, v24, v25
	v_sub_u32_e32 v24, v24, v25
	v_cmp_ne_u32_e64 s[4:5], 0, v24
	v_cmp_ge_i32_e64 s[10:11], s50, v23
	s_and_b64 s[4:5], s[4:5], s[10:11]
	s_and_b64 s[44:45], vcc, s[4:5]
	s_and_saveexec_b64 s[10:11], s[44:45]
	s_cbranch_execz .LBB154_16
; %bb.15:                               ;   in Loop: Header=BB154_14 Depth=1
	ds_write_b32 v15, v17
.LBB154_16:                             ;   in Loop: Header=BB154_14 Depth=1
	s_or_b64 exec, exec, s[10:11]
	s_xor_b64 s[4:5], s[4:5], -1
	s_and_saveexec_b64 s[10:11], s[4:5]
	s_cbranch_execz .LBB154_13
; %bb.17:                               ;   in Loop: Header=BB154_14 Depth=1
	global_load_dword v23, v[2:3], off
	s_waitcnt vmcnt(0)
	v_mad_i64_i32 v[24:25], s[4:5], v23, s51, 0
	v_lshlrev_b64 v[24:25], 1, v[24:25]
	v_add_co_u32_e64 v24, s[4:5], v7, v24
	v_addc_co_u32_e64 v25, s[4:5], v8, v25, s[4:5]
	global_load_dword v23, v[24:25], off
	global_load_dword v32, v[24:25], off offset:256
	global_load_dword v33, v[24:25], off offset:512
	;; [unrolled: 1-line block ×7, first 2 shown]
	ds_read_b128 v[24:27], v9
	ds_read_b128 v[28:31], v9 offset:16
	v_cmp_lt_i32_e64 s[4:5], v20, v19
	v_cndmask_b32_e64 v39, v18, v20, s[4:5]
	v_lshlrev_b32_e32 v39, 2, v39
	s_waitcnt lgkmcnt(1)
	v_lshlrev_b32_e32 v41, 16, v25
	v_and_b32_e32 v25, 0xffff0000, v25
	v_lshlrev_b32_e32 v40, 16, v24
	v_and_b32_e32 v24, 0xffff0000, v24
	;; [unrolled: 2-line block ×4, first 2 shown]
	s_waitcnt lgkmcnt(0)
	v_lshlrev_b32_e32 v44, 16, v28
	v_and_b32_e32 v28, 0xffff0000, v28
	v_lshlrev_b32_e32 v45, 16, v29
	v_and_b32_e32 v29, 0xffff0000, v29
	;; [unrolled: 2-line block ×4, first 2 shown]
	v_cmp_lt_i32_e64 s[4:5], v21, v19
	s_waitcnt vmcnt(7)
	v_lshlrev_b32_e32 v48, 16, v23
	s_waitcnt vmcnt(6)
	v_lshlrev_b32_e32 v49, 16, v32
	v_and_b32_e32 v32, 0xffff0000, v32
	v_and_b32_e32 v23, 0xffff0000, v23
	v_mul_f32_e32 v41, v41, v49
	v_mul_f32_e32 v25, v25, v32
	s_waitcnt vmcnt(5)
	v_lshlrev_b32_e32 v50, 16, v33
	v_and_b32_e32 v33, 0xffff0000, v33
	v_fmac_f32_e32 v41, v40, v48
	v_fmac_f32_e32 v25, v24, v23
	s_waitcnt vmcnt(4)
	v_lshlrev_b32_e32 v51, 16, v34
	v_and_b32_e32 v34, 0xffff0000, v34
	v_fmac_f32_e32 v41, v42, v50
	v_fmac_f32_e32 v25, v26, v33
	;; [unrolled: 5-line block ×6, first 2 shown]
	v_fmac_f32_e32 v41, v47, v55
	v_fmac_f32_e32 v25, v31, v38
	v_add_f32_e32 v23, v41, v25
	ds_bpermute_b32 v24, v39, v23
	v_cndmask_b32_e64 v25, v18, v21, s[4:5]
	v_lshlrev_b32_e32 v25, 2, v25
	s_waitcnt lgkmcnt(0)
	v_add_f32_e32 v23, v23, v24
	ds_bpermute_b32 v24, v25, v23
	s_and_saveexec_b64 s[44:45], vcc
	s_cbranch_execz .LBB154_12
; %bb.18:                               ;   in Loop: Header=BB154_14 Depth=1
	v_add_u32_e32 v25, v16, v14
	v_cvt_f32_i32_e32 v25, v25
	s_waitcnt lgkmcnt(0)
	v_add_f32_e32 v23, v23, v24
	v_add_u32_e32 v26, v6, v14
	v_cmp_gt_i32_e64 s[4:5], s33, v26
	v_mul_f32_e32 v24, s49, v25
	v_cndmask_b32_e64 v24, 0, v24, s[2:3]
	v_fmac_f32_e32 v24, s39, v23
	v_cndmask_b32_e64 v23, 0, v24, s[4:5]
	ds_write_b32 v15, v23
	v_max_f32_e32 v23, v12, v12
	v_max_f32_e32 v23, v23, v24
	v_cndmask_b32_e64 v12, v12, v23, s[4:5]
	s_branch .LBB154_12
.LBB154_19:
	s_or_b64 exec, exec, s[42:43]
.LBB154_20:
	s_or_b64 exec, exec, s[40:41]
	v_mbcnt_hi_u32_b32 v2, -1, v5
	v_and_b32_e32 v3, 64, v2
	v_add_u32_e32 v3, 64, v3
	v_xor_b32_e32 v5, 32, v2
	v_cmp_lt_i32_e32 vcc, v5, v3
	v_cndmask_b32_e32 v5, v2, v5, vcc
	v_lshlrev_b32_e32 v6, 2, v5
	ds_bpermute_b32 v5, v6, v12
	v_xor_b32_e32 v8, 16, v2
	v_max_f32_e32 v7, v12, v12
	v_cmp_lt_i32_e32 vcc, v8, v3
	v_xor_b32_e32 v9, 8, v2
	s_waitcnt lgkmcnt(0)
	v_max_f32_e32 v5, v5, v5
	v_max_f32_e32 v5, v7, v5
	v_cndmask_b32_e32 v7, v2, v8, vcc
	v_lshlrev_b32_e32 v7, 2, v7
	ds_bpermute_b32 v8, v7, v5
	v_cmp_lt_i32_e32 vcc, v9, v3
	v_and_b32_e32 v16, 63, v0
	s_waitcnt lgkmcnt(0)
	v_max_f32_e32 v8, v8, v8
	v_max_f32_e32 v5, v5, v8
	v_cndmask_b32_e32 v8, v2, v9, vcc
	v_lshlrev_b32_e32 v12, 2, v8
	ds_bpermute_b32 v8, v12, v5
	v_xor_b32_e32 v9, 4, v2
	v_cmp_lt_i32_e32 vcc, v9, v3
	s_waitcnt lgkmcnt(0)
	v_max_f32_e32 v8, v8, v8
	v_max_f32_e32 v5, v5, v8
	v_cndmask_b32_e32 v8, v2, v9, vcc
	v_lshlrev_b32_e32 v13, 2, v8
	ds_bpermute_b32 v9, v13, v5
	v_cmp_eq_u32_e32 vcc, 0, v16
	v_lshlrev_b32_e32 v8, 2, v4
	s_and_saveexec_b64 s[2:3], vcc
	s_cbranch_execz .LBB154_22
; %bb.21:
	s_waitcnt lgkmcnt(0)
	v_max_f32_e32 v9, v9, v9
	v_max_f32_e32 v5, v5, v5
	;; [unrolled: 1-line block ×3, first 2 shown]
	ds_write_b32 v8, v5 offset:128
.LBB154_22:
	s_or_b64 exec, exec, s[2:3]
	v_cmp_gt_u32_e64 s[2:3], 2, v16
	v_mov_b32_e32 v5, 0xff7fffff
	s_waitcnt lgkmcnt(0)
	v_lshlrev_b32_e32 v9, 2, v16
	s_barrier
	s_and_saveexec_b64 s[4:5], s[2:3]
	s_cbranch_execz .LBB154_24
; %bb.23:
	ds_read_b32 v5, v9 offset:128
.LBB154_24:
	s_or_b64 exec, exec, s[4:5]
	v_xor_b32_e32 v14, 1, v2
	v_cmp_lt_i32_e64 s[4:5], v14, v3
	v_cndmask_b32_e64 v14, v2, v14, s[4:5]
	v_lshlrev_b32_e32 v17, 2, v14
	s_waitcnt lgkmcnt(0)
	ds_bpermute_b32 v14, v17, v5
	v_max_f32_e32 v5, v5, v5
	s_sub_i32 s4, s16, s38
	s_lshl_b32 s4, s4, 4
	s_add_i32 s4, s4, s9
	s_waitcnt lgkmcnt(0)
	v_max_f32_e32 v14, v14, v14
	v_max_f32_e32 v5, v5, v14
	v_lshlrev_b32_e32 v14, 2, v2
	v_and_b32_e32 v14, 0x100, v14
	ds_bpermute_b32 v5, v14, v5
	s_min_i32 s42, s4, s33
	s_sub_i32 s15, s42, s9
	v_cmp_gt_i32_e64 s[4:5], s15, v0
	v_mov_b32_e32 v15, 0
	s_and_saveexec_b64 s[38:39], s[4:5]
	s_cbranch_execz .LBB154_28
; %bb.25:
	v_mov_b32_e32 v15, 0x90
	v_lshl_add_u32 v18, v0, 2, v15
	s_mov_b64 s[40:41], 0
	v_mov_b32_e32 v15, 0
	v_mov_b32_e32 v19, v0
.LBB154_26:                             ; =>This Inner Loop Header: Depth=1
	ds_read_b32 v20, v18
	v_add_u32_e32 v19, 0x80, v19
	v_cmp_le_i32_e64 s[10:11], s15, v19
	s_or_b64 s[40:41], s[10:11], s[40:41]
	s_waitcnt lgkmcnt(0)
	v_sub_f32_e32 v20, v20, v5
	v_mul_f32_e32 v20, 0x3fb8aa3b, v20
	v_exp_f32_e32 v20, v20
	ds_write_b32 v18, v20
	v_add_f32_e32 v15, v15, v20
	v_add_u32_e32 v18, 0x200, v18
	s_andn2_b64 exec, exec, s[40:41]
	s_cbranch_execnz .LBB154_26
; %bb.27:
	s_or_b64 exec, exec, s[40:41]
.LBB154_28:
	s_or_b64 exec, exec, s[38:39]
	ds_bpermute_b32 v6, v6, v15
	s_waitcnt lgkmcnt(0)
	v_add_f32_e32 v6, v15, v6
	ds_bpermute_b32 v7, v7, v6
	s_waitcnt lgkmcnt(0)
	v_add_f32_e32 v6, v6, v7
	ds_bpermute_b32 v7, v12, v6
	v_xor_b32_e32 v12, 2, v2
	v_cmp_lt_i32_e64 s[10:11], v12, v3
	v_cndmask_b32_e64 v2, v2, v12, s[10:11]
	v_lshlrev_b32_e32 v2, 2, v2
	s_waitcnt lgkmcnt(0)
	v_add_f32_e32 v6, v6, v7
	ds_bpermute_b32 v7, v13, v6
	s_waitcnt lgkmcnt(0)
	v_add_f32_e32 v3, v6, v7
	ds_bpermute_b32 v2, v2, v3
	;; [unrolled: 3-line block ×3, first 2 shown]
	s_waitcnt lgkmcnt(0)
	v_add_f32_e32 v2, v2, v3
	s_and_saveexec_b64 s[10:11], vcc
	s_cbranch_execz .LBB154_30
; %bb.29:
	ds_write_b32 v8, v2 offset:136
.LBB154_30:
	s_or_b64 exec, exec, s[10:11]
	s_waitcnt lgkmcnt(0)
	s_barrier
	s_and_saveexec_b64 s[10:11], s[2:3]
	s_cbranch_execz .LBB154_32
; %bb.31:
	ds_read_b32 v2, v9 offset:136
.LBB154_32:
	s_or_b64 exec, exec, s[10:11]
	s_waitcnt lgkmcnt(0)
	ds_bpermute_b32 v3, v17, v2
	s_waitcnt lgkmcnt(0)
	v_add_f32_e32 v2, v2, v3
	ds_bpermute_b32 v6, v14, v2
	s_and_saveexec_b64 s[2:3], s[4:5]
	s_cbranch_execz .LBB154_45
; %bb.33:
	s_waitcnt lgkmcnt(0)
	v_add_f32_e32 v2, 0x358637bd, v6
	v_div_scale_f32 v3, s[4:5], v2, v2, 1.0
	v_rcp_f32_e32 v7, v3
	v_div_scale_f32 v8, vcc, 1.0, v2, 1.0
	s_movk_i32 s4, 0x7f
	v_fma_f32 v9, -v3, v7, 1.0
	v_fmac_f32_e32 v7, v9, v7
	v_mul_f32_e32 v9, v8, v7
	v_fma_f32 v12, -v3, v9, v8
	v_fmac_f32_e32 v9, v12, v7
	v_fma_f32 v3, -v3, v9, v8
	v_div_fmas_f32 v3, v3, v7, v9
	v_div_fixup_f32 v2, v3, v2, 1.0
	v_xad_u32 v3, v0, -1, s42
	v_subrev_u32_e32 v7, s9, v3
	v_cmp_lt_u32_e32 vcc, s4, v7
	s_mov_b64 s[10:11], -1
	v_mov_b32_e32 v3, v0
	s_and_saveexec_b64 s[4:5], vcc
	s_cbranch_execz .LBB154_42
; %bb.34:
	v_lshrrev_b32_e32 v7, 7, v7
	v_add_u32_e32 v9, -1, v7
	v_lshrrev_b32_e32 v8, 1, v9
	v_mov_b32_e32 v3, v2
	v_add_u32_e32 v8, 1, v8
	v_cmp_lt_u32_e32 vcc, 13, v9
	v_mov_b32_e32 v13, 0
	s_and_saveexec_b64 s[10:11], vcc
	s_cbranch_execz .LBB154_38
; %bb.35:
	v_mov_b32_e32 v12, 0x90
	v_and_b32_e32 v9, -8, v8
	v_lshl_add_u32 v12, v0, 2, v12
	s_mov_b32 s9, 0
	s_mov_b64 s[38:39], 0
.LBB154_36:                             ; =>This Inner Loop Header: Depth=1
	ds_read2st64_b32 v[14:15], v12 offset1:2
	ds_read2st64_b32 v[18:19], v12 offset0:4 offset1:6
	ds_read2st64_b32 v[20:21], v12 offset0:8 offset1:10
	;; [unrolled: 1-line block ×3, first 2 shown]
	v_add_u32_e32 v9, -8, v9
	s_waitcnt lgkmcnt(3)
	v_pk_mul_f32 v[14:15], v[2:3], v[14:15]
	s_waitcnt lgkmcnt(2)
	v_pk_mul_f32 v[18:19], v[2:3], v[18:19]
	ds_write2st64_b32 v12, v14, v15 offset1:2
	ds_write2st64_b32 v12, v18, v19 offset0:4 offset1:6
	ds_read2st64_b32 v[18:19], v12 offset0:16 offset1:18
	s_waitcnt lgkmcnt(4)
	v_pk_mul_f32 v[14:15], v[2:3], v[20:21]
	ds_write2st64_b32 v12, v14, v15 offset0:8 offset1:10
	s_waitcnt lgkmcnt(4)
	v_pk_mul_f32 v[14:15], v[2:3], v[22:23]
	ds_write2st64_b32 v12, v14, v15 offset0:12 offset1:14
	ds_read2st64_b32 v[14:15], v12 offset0:20 offset1:22
	s_waitcnt lgkmcnt(3)
	v_pk_mul_f32 v[18:19], v[2:3], v[18:19]
	ds_read2st64_b32 v[20:21], v12 offset0:24 offset1:26
	ds_write2st64_b32 v12, v18, v19 offset0:16 offset1:18
	ds_read2st64_b32 v[18:19], v12 offset0:28 offset1:30
	s_waitcnt lgkmcnt(3)
	v_pk_mul_f32 v[14:15], v[2:3], v[14:15]
	ds_write2st64_b32 v12, v14, v15 offset0:20 offset1:22
	s_waitcnt lgkmcnt(3)
	v_pk_mul_f32 v[14:15], v[2:3], v[20:21]
	ds_write2st64_b32 v12, v14, v15 offset0:24 offset1:26
	s_waitcnt lgkmcnt(2)
	v_pk_mul_f32 v[14:15], v[2:3], v[18:19]
	s_add_i32 s9, s9, 16
	v_cmp_eq_u32_e32 vcc, 0, v9
	ds_write2st64_b32 v12, v14, v15 offset0:28 offset1:30
	v_add_u32_e32 v12, 0x2000, v12
	s_or_b64 s[38:39], vcc, s[38:39]
	v_mov_b32_e32 v13, s9
	s_andn2_b64 exec, exec, s[38:39]
	s_cbranch_execnz .LBB154_36
; %bb.37:
	s_or_b64 exec, exec, s[38:39]
.LBB154_38:
	s_or_b64 exec, exec, s[10:11]
	v_and_b32_e32 v8, 7, v8
	v_cmp_ne_u32_e32 vcc, 0, v8
	s_and_saveexec_b64 s[10:11], vcc
	s_cbranch_execz .LBB154_41
; %bb.39:
	v_lshlrev_b32_e32 v9, 9, v13
	v_lshlrev_b32_e32 v12, 2, v0
	s_movk_i32 s9, 0x90
	v_add3_u32 v9, v9, v12, s9
	s_mov_b64 s[38:39], 0
.LBB154_40:                             ; =>This Inner Loop Header: Depth=1
	ds_read2st64_b32 v[12:13], v9 offset1:2
	v_add_u32_e32 v8, -1, v8
	v_cmp_eq_u32_e32 vcc, 0, v8
	s_or_b64 s[38:39], vcc, s[38:39]
	s_waitcnt lgkmcnt(0)
	v_pk_mul_f32 v[12:13], v[2:3], v[12:13]
	ds_write2st64_b32 v9, v12, v13 offset1:2
	v_add_u32_e32 v9, 0x400, v9
	s_andn2_b64 exec, exec, s[38:39]
	s_cbranch_execnz .LBB154_40
.LBB154_41:
	s_or_b64 exec, exec, s[10:11]
	v_add_u32_e32 v7, 1, v7
	v_and_b32_e32 v8, 0x3fffffe, v7
	v_cmp_ne_u32_e32 vcc, v7, v8
	v_lshl_add_u32 v3, v8, 7, v0
	s_orn2_b64 s[10:11], vcc, exec
.LBB154_42:
	s_or_b64 exec, exec, s[4:5]
	s_and_b64 exec, exec, s[10:11]
	s_cbranch_execz .LBB154_45
; %bb.43:
	v_mov_b32_e32 v7, 0x90
	v_lshl_add_u32 v7, v3, 2, v7
	s_mov_b64 s[4:5], 0
.LBB154_44:                             ; =>This Inner Loop Header: Depth=1
	ds_read_b32 v8, v7
	v_add_u32_e32 v3, 0x80, v3
	v_cmp_le_i32_e32 vcc, s15, v3
	s_or_b64 s[4:5], vcc, s[4:5]
	s_waitcnt lgkmcnt(0)
	v_mul_f32_e32 v8, v2, v8
	ds_write_b32 v7, v8
	v_add_u32_e32 v7, 0x200, v7
	s_andn2_b64 exec, exec, s[4:5]
	s_cbranch_execnz .LBB154_44
.LBB154_45:
	s_or_b64 exec, exec, s[2:3]
	v_cmp_eq_u32_e32 vcc, 0, v0
	s_waitcnt lgkmcnt(0)
	s_barrier
	s_and_saveexec_b64 s[2:3], vcc
	s_cbranch_execz .LBB154_47
; %bb.46:
	s_mul_i32 s4, s12, s24
	s_mul_i32 s4, s4, s25
	s_ashr_i32 s5, s4, 31
	s_lshl_b64 s[4:5], s[4:5], 2
	s_add_u32 s9, s22, s4
	s_mul_i32 s10, s12, s6
	s_addc_u32 s15, s23, s5
	s_ashr_i32 s11, s10, 31
	s_lshl_b64 s[10:11], s[10:11], 2
	s_add_u32 s6, s9, s10
	s_addc_u32 s15, s15, s11
	s_ashr_i32 s9, s8, 31
	s_lshl_b64 s[22:23], s[8:9], 2
	s_add_u32 s38, s6, s22
	s_addc_u32 s39, s15, s23
	s_add_u32 s4, s20, s4
	s_addc_u32 s5, s21, s5
	;; [unrolled: 2-line block ×3, first 2 shown]
	s_add_u32 s4, s4, s22
	v_mov_b32_e32 v2, 0
	s_addc_u32 s5, s5, s23
	global_store_dword v2, v5, s[38:39]
	global_store_dword v2, v6, s[4:5]
.LBB154_47:
	s_or_b64 exec, exec, s[2:3]
	v_mov_b32_e32 v13, 0
	v_and_b32_e32 v18, 1, v0
	v_mov_b32_e32 v12, v13
	s_and_saveexec_b64 s[2:3], s[0:1]
	s_cbranch_execz .LBB154_153
; %bb.48:
	s_ashr_i32 s15, s14, 31
	s_sub_i32 s9, s48, s17
	s_lshl_b64 s[0:1], s[14:15], 1
	s_add_u32 s0, s36, s0
	s_addc_u32 s1, s37, s1
	s_abs_i32 s14, s18
	v_cvt_f32_u32_e32 v2, s14
	v_lshlrev_b32_e32 v3, 3, v0
	v_lshlrev_b32_e32 v5, 4, v0
	s_sub_i32 s4, 0, s14
	v_rcp_iflag_f32_e32 v2, v2
	v_and_b32_e32 v19, 8, v3
	v_and_b32_e32 v3, 0x3f0, v5
	s_add_i32 s15, s7, -1
	v_mul_f32_e32 v2, 0x4f7ffffe, v2
	v_cvt_u32_f32_e32 v2, v2
	v_add_co_u32_e32 v21, vcc, s0, v3
	v_mov_b32_e32 v23, 0
	v_mul_lo_u32 v5, s4, v2
	v_mul_hi_u32 v5, v2, v5
	v_add_u32_e32 v20, v2, v5
	v_mov_b32_e32 v2, s1
	s_lshl_b64 s[0:1], s[34:35], 2
	v_addc_co_u32_e32 v22, vcc, 0, v2, vcc
	v_lshlrev_b64 v[2:3], 2, v[10:11]
	s_add_u32 s0, s30, s0
	s_addc_u32 s1, s31, s1
	v_add_co_u32_e32 v14, vcc, s0, v2
	v_lshlrev_b32_e32 v2, 5, v18
	v_mov_b32_e32 v5, s1
	v_lshl_or_b32 v2, v4, 6, v2
	v_addc_co_u32_e32 v15, vcc, v5, v3, vcc
	v_add_u32_e32 v11, 0x90, v2
	s_mov_b64 s[4:5], 0
	s_mov_b32 s17, 0x7f800000
	s_movk_i32 s18, 0x7fff
	v_mov_b32_e32 v12, 0
	v_mov_b32_e32 v13, v23
	s_branch .LBB154_51
.LBB154_49:                             ;   in Loop: Header=BB154_51 Depth=1
	s_or_b64 exec, exec, s[0:1]
	v_and_b32_e32 v35, 0xffff0000, v25
	v_and_b32_e32 v34, 0xffff0000, v9
	;; [unrolled: 1-line block ×4, first 2 shown]
	v_pk_add_f32 v[8:9], v[8:9], v[34:35]
	v_and_b32_e32 v33, 0xffff0000, v37
	v_and_b32_e32 v32, 0xffff0000, v27
	;; [unrolled: 1-line block ×4, first 2 shown]
	v_mov_b32_e32 v24, v9
	v_pk_add_f32 v[8:9], v[8:9], v[24:25]
	v_pk_add_f32 v[24:25], v[26:27], v[32:33]
	v_and_b32_e32 v27, 0xffff0000, v29
	v_and_b32_e32 v26, 0xffff0000, v7
	;; [unrolled: 1-line block ×4, first 2 shown]
	v_pk_add_f32 v[8:9], v[8:9], v[24:25]
	v_mov_b32_e32 v24, v25
	v_pk_add_f32 v[2:3], v[2:3], v[26:27]
	v_pk_add_f32 v[8:9], v[8:9], v[24:25]
	v_and_b32_e32 v25, 0xffff0000, v6
	v_and_b32_e32 v24, 0xffff0000, v30
	v_and_b32_e32 v5, 0xffff0000, v5
	v_and_b32_e32 v4, 0xffff0000, v4
	v_mov_b32_e32 v6, v3
	v_pk_add_f32 v[2:3], v[2:3], v[6:7]
	v_pk_add_f32 v[4:5], v[4:5], v[24:25]
	;; [unrolled: 1-line block ×3, first 2 shown]
	v_mov_b32_e32 v4, v5
	v_pk_add_f32 v[2:3], v[2:3], v[4:5]
	v_mov_b32_e32 v3, v2
	v_pk_add_f32 v[8:9], v[12:13], v[8:9]
	v_pk_add_f32 v[2:3], v[12:13], v[2:3]
	v_mov_b32_e32 v9, v3
	v_pk_mov_b32 v[12:13], v[8:9], v[8:9] op_sel:[0,1]
.LBB154_50:                             ;   in Loop: Header=BB154_51 Depth=1
	s_or_b64 exec, exec, s[6:7]
	v_add_co_u32_e32 v14, vcc, 8, v14
	v_add_u32_e32 v10, 2, v10
	v_addc_co_u32_e32 v15, vcc, 0, v15, vcc
	v_cmp_le_i32_e32 vcc, s16, v10
	v_add_u32_e32 v1, 32, v1
	s_or_b64 s[4:5], vcc, s[4:5]
	v_add_u32_e32 v11, 0x80, v11
	s_andn2_b64 exec, exec, s[4:5]
	s_cbranch_execz .LBB154_152
.LBB154_51:                             ; =>This Inner Loop Header: Depth=1
	v_sub_u32_e32 v3, 0, v1
	v_max_i32_e32 v3, v1, v3
	v_mul_hi_u32 v4, v3, s46
	v_mul_lo_u32 v5, v4, s27
	v_sub_u32_e32 v3, v3, v5
	v_add_u32_e32 v5, 1, v4
	v_cmp_le_u32_e32 vcc, s27, v3
	v_cndmask_b32_e32 v4, v4, v5, vcc
	v_subrev_u32_e32 v5, s27, v3
	v_cndmask_b32_e32 v3, v3, v5, vcc
	v_ashrrev_i32_e32 v2, 31, v1
	v_add_u32_e32 v5, 1, v4
	v_cmp_le_u32_e32 vcc, s27, v3
	v_xor_b32_e32 v2, s19, v2
	v_cndmask_b32_e32 v3, v4, v5, vcc
	v_xor_b32_e32 v3, v3, v2
	v_sub_u32_e32 v2, v3, v2
	v_add_u32_e32 v3, s47, v2
	v_sub_u32_e32 v5, 0, v3
	v_ashrrev_i32_e32 v4, 31, v3
	v_max_i32_e32 v3, v3, v5
	v_mul_hi_u32 v5, v3, v20
	v_mul_lo_u32 v5, v5, s14
	v_sub_u32_e32 v3, v3, v5
	v_subrev_u32_e32 v5, s14, v3
	v_cmp_le_u32_e32 vcc, s14, v3
	v_cndmask_b32_e32 v3, v3, v5, vcc
	v_subrev_u32_e32 v5, s14, v3
	v_cmp_le_u32_e32 vcc, s14, v3
	v_cndmask_b32_e32 v3, v3, v5, vcc
	v_xor_b32_e32 v3, v3, v4
	v_sub_u32_e32 v3, v3, v4
	v_cmp_eq_u32_e32 vcc, 0, v3
	v_cmp_lt_i32_e64 s[0:1], s9, v2
	s_or_b64 s[0:1], vcc, s[0:1]
	s_and_saveexec_b64 s[6:7], s[0:1]
	s_cbranch_execz .LBB154_50
; %bb.52:                               ;   in Loop: Header=BB154_51 Depth=1
	global_load_dword v29, v[14:15], off
	ds_read2_b64 v[6:9], v11 offset1:1
	ds_read2_b64 v[2:5], v11 offset0:2 offset1:3
                                        ; implicit-def: $vgpr38
	s_waitcnt lgkmcnt(1)
	v_and_b32_e32 v24, 0x7f800000, v6
	v_cmp_ne_u32_e32 vcc, s17, v24
	s_and_saveexec_b64 s[0:1], vcc
	s_xor_b64 s[0:1], exec, s[0:1]
; %bb.53:                               ;   in Loop: Header=BB154_51 Depth=1
	v_bfe_u32 v24, v6, 16, 1
	v_add3_u32 v38, v6, v24, s18
; %bb.54:                               ;   in Loop: Header=BB154_51 Depth=1
	s_andn2_saveexec_b64 s[0:1], s[0:1]
; %bb.55:                               ;   in Loop: Header=BB154_51 Depth=1
	v_or_b32_e32 v24, 0x10000, v6
	v_cmp_eq_u32_sdwa vcc, v6, v23 src0_sel:WORD_0 src1_sel:DWORD
	v_cndmask_b32_e32 v38, v24, v6, vcc
; %bb.56:                               ;   in Loop: Header=BB154_51 Depth=1
	s_or_b64 exec, exec, s[0:1]
	v_and_b32_e32 v6, 0x7f800000, v7
	v_cmp_ne_u32_e32 vcc, s17, v6
                                        ; implicit-def: $vgpr39
	s_and_saveexec_b64 s[0:1], vcc
	s_xor_b64 s[0:1], exec, s[0:1]
; %bb.57:                               ;   in Loop: Header=BB154_51 Depth=1
	v_bfe_u32 v6, v7, 16, 1
	v_add3_u32 v39, v7, v6, s18
; %bb.58:                               ;   in Loop: Header=BB154_51 Depth=1
	s_andn2_saveexec_b64 s[0:1], s[0:1]
; %bb.59:                               ;   in Loop: Header=BB154_51 Depth=1
	v_or_b32_e32 v6, 0x10000, v7
	v_cmp_eq_u32_sdwa vcc, v7, v23 src0_sel:WORD_0 src1_sel:DWORD
	v_cndmask_b32_e32 v39, v6, v7, vcc
; %bb.60:                               ;   in Loop: Header=BB154_51 Depth=1
	s_or_b64 exec, exec, s[0:1]
	v_and_b32_e32 v6, 0x7f800000, v8
	v_cmp_ne_u32_e32 vcc, s17, v6
                                        ; implicit-def: $vgpr24
	s_and_saveexec_b64 s[0:1], vcc
	s_xor_b64 s[0:1], exec, s[0:1]
; %bb.61:                               ;   in Loop: Header=BB154_51 Depth=1
	v_bfe_u32 v6, v8, 16, 1
	v_add3_u32 v24, v8, v6, s18
; %bb.62:                               ;   in Loop: Header=BB154_51 Depth=1
	s_andn2_saveexec_b64 s[0:1], s[0:1]
; %bb.63:                               ;   in Loop: Header=BB154_51 Depth=1
	v_or_b32_e32 v6, 0x10000, v8
	v_cmp_eq_u32_sdwa vcc, v8, v23 src0_sel:WORD_0 src1_sel:DWORD
	v_cndmask_b32_e32 v24, v6, v8, vcc
; %bb.64:                               ;   in Loop: Header=BB154_51 Depth=1
	s_or_b64 exec, exec, s[0:1]
	v_and_b32_e32 v6, 0x7f800000, v9
	v_cmp_ne_u32_e32 vcc, s17, v6
                                        ; implicit-def: $vgpr25
	s_and_saveexec_b64 s[0:1], vcc
	s_xor_b64 s[0:1], exec, s[0:1]
; %bb.65:                               ;   in Loop: Header=BB154_51 Depth=1
	v_bfe_u32 v6, v9, 16, 1
	v_add3_u32 v25, v9, v6, s18
                                        ; implicit-def: $vgpr6_vgpr7_vgpr8_vgpr9
; %bb.66:                               ;   in Loop: Header=BB154_51 Depth=1
	s_andn2_saveexec_b64 s[0:1], s[0:1]
; %bb.67:                               ;   in Loop: Header=BB154_51 Depth=1
	v_or_b32_e32 v6, 0x10000, v9
	v_cmp_eq_u32_sdwa vcc, v9, v23 src0_sel:WORD_0 src1_sel:DWORD
	v_cndmask_b32_e32 v25, v6, v9, vcc
; %bb.68:                               ;   in Loop: Header=BB154_51 Depth=1
	s_or_b64 exec, exec, s[0:1]
	s_waitcnt lgkmcnt(0)
	v_and_b32_e32 v6, 0x7f800000, v2
	v_cmp_ne_u32_e32 vcc, s17, v6
                                        ; implicit-def: $vgpr26
	s_and_saveexec_b64 s[0:1], vcc
	s_xor_b64 s[0:1], exec, s[0:1]
; %bb.69:                               ;   in Loop: Header=BB154_51 Depth=1
	v_bfe_u32 v6, v2, 16, 1
	v_add3_u32 v26, v2, v6, s18
; %bb.70:                               ;   in Loop: Header=BB154_51 Depth=1
	s_andn2_saveexec_b64 s[0:1], s[0:1]
; %bb.71:                               ;   in Loop: Header=BB154_51 Depth=1
	v_or_b32_e32 v6, 0x10000, v2
	v_cmp_eq_u32_sdwa vcc, v2, v23 src0_sel:WORD_0 src1_sel:DWORD
	v_cndmask_b32_e32 v26, v6, v2, vcc
; %bb.72:                               ;   in Loop: Header=BB154_51 Depth=1
	s_or_b64 exec, exec, s[0:1]
	v_and_b32_e32 v2, 0x7f800000, v3
	v_cmp_ne_u32_e32 vcc, s17, v2
                                        ; implicit-def: $vgpr27
	s_and_saveexec_b64 s[0:1], vcc
	s_xor_b64 s[0:1], exec, s[0:1]
; %bb.73:                               ;   in Loop: Header=BB154_51 Depth=1
	v_bfe_u32 v2, v3, 16, 1
	v_add3_u32 v27, v3, v2, s18
; %bb.74:                               ;   in Loop: Header=BB154_51 Depth=1
	s_andn2_saveexec_b64 s[0:1], s[0:1]
; %bb.75:                               ;   in Loop: Header=BB154_51 Depth=1
	v_or_b32_e32 v2, 0x10000, v3
	v_cmp_eq_u32_sdwa vcc, v3, v23 src0_sel:WORD_0 src1_sel:DWORD
	v_cndmask_b32_e32 v27, v2, v3, vcc
; %bb.76:                               ;   in Loop: Header=BB154_51 Depth=1
	s_or_b64 exec, exec, s[0:1]
	v_and_b32_e32 v2, 0x7f800000, v4
	v_cmp_ne_u32_e32 vcc, s17, v2
                                        ; implicit-def: $vgpr28
	s_and_saveexec_b64 s[0:1], vcc
	s_xor_b64 s[0:1], exec, s[0:1]
; %bb.77:                               ;   in Loop: Header=BB154_51 Depth=1
	v_bfe_u32 v2, v4, 16, 1
	v_add3_u32 v28, v4, v2, s18
; %bb.78:                               ;   in Loop: Header=BB154_51 Depth=1
	s_andn2_saveexec_b64 s[0:1], s[0:1]
; %bb.79:                               ;   in Loop: Header=BB154_51 Depth=1
	v_or_b32_e32 v2, 0x10000, v4
	v_cmp_eq_u32_sdwa vcc, v4, v23 src0_sel:WORD_0 src1_sel:DWORD
	v_cndmask_b32_e32 v28, v2, v4, vcc
; %bb.80:                               ;   in Loop: Header=BB154_51 Depth=1
	s_or_b64 exec, exec, s[0:1]
	v_and_b32_e32 v2, 0x7f800000, v5
	v_cmp_ne_u32_e32 vcc, s17, v2
                                        ; implicit-def: $vgpr37
	s_and_saveexec_b64 s[0:1], vcc
	s_xor_b64 s[0:1], exec, s[0:1]
; %bb.81:                               ;   in Loop: Header=BB154_51 Depth=1
	v_bfe_u32 v2, v5, 16, 1
	v_add3_u32 v37, v5, v2, s18
                                        ; implicit-def: $vgpr2_vgpr3_vgpr4_vgpr5
; %bb.82:                               ;   in Loop: Header=BB154_51 Depth=1
	s_andn2_saveexec_b64 s[0:1], s[0:1]
; %bb.83:                               ;   in Loop: Header=BB154_51 Depth=1
	v_or_b32_e32 v2, 0x10000, v5
	v_cmp_eq_u32_sdwa vcc, v5, v23 src0_sel:WORD_0 src1_sel:DWORD
	v_cndmask_b32_e32 v37, v2, v5, vcc
; %bb.84:                               ;   in Loop: Header=BB154_51 Depth=1
	s_or_b64 exec, exec, s[0:1]
	s_waitcnt vmcnt(0)
	v_mad_i64_i32 v[2:3], s[0:1], v29, s13, 0
	v_lshlrev_b64 v[2:3], 1, v[2:3]
	v_add_co_u32_e32 v6, vcc, v21, v2
	v_addc_co_u32_e32 v7, vcc, v22, v3, vcc
	global_load_dwordx4 v[2:5], v[6:7], off
	v_add_u32_e32 v29, v19, v1
	v_cmp_eq_u32_e32 vcc, s15, v10
	v_add_u32_e32 v36, 1, v29
	v_add_u32_e32 v35, 2, v29
	;; [unrolled: 1-line block ×7, first 2 shown]
	s_waitcnt vmcnt(0)
	v_lshrrev_b32_e32 v9, 16, v2
	v_lshrrev_b32_e32 v42, 16, v3
	;; [unrolled: 1-line block ×4, first 2 shown]
	s_and_saveexec_b64 s[10:11], vcc
	s_cbranch_execz .LBB154_86
; %bb.85:                               ;   in Loop: Header=BB154_51 Depth=1
	v_cmp_gt_i32_e64 s[0:1], s33, v29
	v_cndmask_b32_e64 v2, 0, v2, s[0:1]
	v_cmp_gt_i32_e64 s[0:1], s33, v36
	v_cndmask_b32_e64 v9, 0, v9, s[0:1]
	;; [unrolled: 2-line block ×8, first 2 shown]
.LBB154_86:                             ;   in Loop: Header=BB154_51 Depth=1
	s_or_b64 exec, exec, s[10:11]
	v_and_b32_e32 v38, 0xffff0000, v38
	v_lshlrev_b32_e32 v2, 16, v2
	v_mul_f32_e32 v2, v38, v2
	v_and_b32_e32 v8, 0x7f800000, v2
	v_cmp_ne_u32_e64 s[0:1], s17, v8
                                        ; implicit-def: $vgpr8
	s_and_saveexec_b64 s[10:11], s[0:1]
	s_xor_b64 s[0:1], exec, s[10:11]
; %bb.87:                               ;   in Loop: Header=BB154_51 Depth=1
	v_bfe_u32 v8, v2, 16, 1
	v_add3_u32 v8, v2, v8, s18
                                        ; implicit-def: $vgpr2
; %bb.88:                               ;   in Loop: Header=BB154_51 Depth=1
	s_andn2_saveexec_b64 s[10:11], s[0:1]
; %bb.89:                               ;   in Loop: Header=BB154_51 Depth=1
	v_or_b32_e32 v8, 0x10000, v2
	v_cmp_eq_u32_sdwa s[0:1], v2, v23 src0_sel:WORD_0 src1_sel:DWORD
	v_cndmask_b32_e64 v8, v8, v2, s[0:1]
; %bb.90:                               ;   in Loop: Header=BB154_51 Depth=1
	s_or_b64 exec, exec, s[10:11]
	v_and_b32_e32 v39, 0xffff0000, v39
	v_lshlrev_b32_e32 v2, 16, v9
	v_mul_f32_e32 v2, v39, v2
	v_and_b32_e32 v9, 0x7f800000, v2
	v_cmp_ne_u32_e64 s[0:1], s17, v9
                                        ; implicit-def: $vgpr9
	s_and_saveexec_b64 s[10:11], s[0:1]
	s_xor_b64 s[0:1], exec, s[10:11]
; %bb.91:                               ;   in Loop: Header=BB154_51 Depth=1
	v_bfe_u32 v9, v2, 16, 1
	v_add3_u32 v9, v2, v9, s18
                                        ; implicit-def: $vgpr2
; %bb.92:                               ;   in Loop: Header=BB154_51 Depth=1
	s_andn2_saveexec_b64 s[10:11], s[0:1]
; %bb.93:                               ;   in Loop: Header=BB154_51 Depth=1
	v_or_b32_e32 v9, 0x10000, v2
	v_cmp_eq_u32_sdwa s[0:1], v2, v23 src0_sel:WORD_0 src1_sel:DWORD
	v_cndmask_b32_e64 v9, v9, v2, s[0:1]
; %bb.94:                               ;   in Loop: Header=BB154_51 Depth=1
	s_or_b64 exec, exec, s[10:11]
	v_and_b32_e32 v40, 0xffff0000, v24
	v_lshlrev_b32_e32 v2, 16, v3
	v_mul_f32_e32 v2, v40, v2
	v_and_b32_e32 v3, 0x7f800000, v2
	v_cmp_ne_u32_e64 s[0:1], s17, v3
                                        ; implicit-def: $vgpr24
	s_and_saveexec_b64 s[10:11], s[0:1]
	s_xor_b64 s[0:1], exec, s[10:11]
; %bb.95:                               ;   in Loop: Header=BB154_51 Depth=1
	v_bfe_u32 v3, v2, 16, 1
	v_add3_u32 v24, v2, v3, s18
                                        ; implicit-def: $vgpr2
; %bb.96:                               ;   in Loop: Header=BB154_51 Depth=1
	s_andn2_saveexec_b64 s[10:11], s[0:1]
; %bb.97:                               ;   in Loop: Header=BB154_51 Depth=1
	v_or_b32_e32 v3, 0x10000, v2
	v_cmp_eq_u32_sdwa s[0:1], v2, v23 src0_sel:WORD_0 src1_sel:DWORD
	v_cndmask_b32_e64 v24, v3, v2, s[0:1]
; %bb.98:                               ;   in Loop: Header=BB154_51 Depth=1
	s_or_b64 exec, exec, s[10:11]
	v_and_b32_e32 v41, 0xffff0000, v25
	v_lshlrev_b32_e32 v2, 16, v42
	v_mul_f32_e32 v2, v41, v2
	v_and_b32_e32 v3, 0x7f800000, v2
	v_cmp_ne_u32_e64 s[0:1], s17, v3
                                        ; implicit-def: $vgpr25
	s_and_saveexec_b64 s[10:11], s[0:1]
	s_xor_b64 s[0:1], exec, s[10:11]
; %bb.99:                               ;   in Loop: Header=BB154_51 Depth=1
	v_bfe_u32 v3, v2, 16, 1
	v_add3_u32 v25, v2, v3, s18
                                        ; implicit-def: $vgpr2
; %bb.100:                              ;   in Loop: Header=BB154_51 Depth=1
	s_andn2_saveexec_b64 s[10:11], s[0:1]
; %bb.101:                              ;   in Loop: Header=BB154_51 Depth=1
	v_or_b32_e32 v3, 0x10000, v2
	v_cmp_eq_u32_sdwa s[0:1], v2, v23 src0_sel:WORD_0 src1_sel:DWORD
	v_cndmask_b32_e64 v25, v3, v2, s[0:1]
; %bb.102:                              ;   in Loop: Header=BB154_51 Depth=1
	s_or_b64 exec, exec, s[10:11]
	v_and_b32_e32 v42, 0xffff0000, v26
	v_lshlrev_b32_e32 v2, 16, v4
	v_mul_f32_e32 v2, v42, v2
	v_and_b32_e32 v3, 0x7f800000, v2
	v_cmp_ne_u32_e64 s[0:1], s17, v3
                                        ; implicit-def: $vgpr26
	s_and_saveexec_b64 s[10:11], s[0:1]
	s_xor_b64 s[0:1], exec, s[10:11]
; %bb.103:                              ;   in Loop: Header=BB154_51 Depth=1
	v_bfe_u32 v3, v2, 16, 1
	v_add3_u32 v26, v2, v3, s18
                                        ; implicit-def: $vgpr2
; %bb.104:                              ;   in Loop: Header=BB154_51 Depth=1
	s_andn2_saveexec_b64 s[10:11], s[0:1]
; %bb.105:                              ;   in Loop: Header=BB154_51 Depth=1
	v_or_b32_e32 v3, 0x10000, v2
	v_cmp_eq_u32_sdwa s[0:1], v2, v23 src0_sel:WORD_0 src1_sel:DWORD
	v_cndmask_b32_e64 v26, v3, v2, s[0:1]
; %bb.106:                              ;   in Loop: Header=BB154_51 Depth=1
	s_or_b64 exec, exec, s[10:11]
	v_and_b32_e32 v43, 0xffff0000, v27
	v_lshlrev_b32_e32 v2, 16, v44
	v_mul_f32_e32 v2, v43, v2
	v_and_b32_e32 v3, 0x7f800000, v2
	v_cmp_ne_u32_e64 s[0:1], s17, v3
                                        ; implicit-def: $vgpr27
	s_and_saveexec_b64 s[10:11], s[0:1]
	s_xor_b64 s[0:1], exec, s[10:11]
; %bb.107:                              ;   in Loop: Header=BB154_51 Depth=1
	v_bfe_u32 v3, v2, 16, 1
	v_add3_u32 v27, v2, v3, s18
                                        ; implicit-def: $vgpr2
; %bb.108:                              ;   in Loop: Header=BB154_51 Depth=1
	s_andn2_saveexec_b64 s[10:11], s[0:1]
; %bb.109:                              ;   in Loop: Header=BB154_51 Depth=1
	v_or_b32_e32 v3, 0x10000, v2
	v_cmp_eq_u32_sdwa s[0:1], v2, v23 src0_sel:WORD_0 src1_sel:DWORD
	v_cndmask_b32_e64 v27, v3, v2, s[0:1]
; %bb.110:                              ;   in Loop: Header=BB154_51 Depth=1
	s_or_b64 exec, exec, s[10:11]
	v_and_b32_e32 v44, 0xffff0000, v28
	v_lshlrev_b32_e32 v2, 16, v5
	v_mul_f32_e32 v2, v44, v2
	v_and_b32_e32 v3, 0x7f800000, v2
	v_cmp_ne_u32_e64 s[0:1], s17, v3
                                        ; implicit-def: $vgpr28
	s_and_saveexec_b64 s[10:11], s[0:1]
	s_xor_b64 s[0:1], exec, s[10:11]
; %bb.111:                              ;   in Loop: Header=BB154_51 Depth=1
	v_bfe_u32 v3, v2, 16, 1
	v_add3_u32 v28, v2, v3, s18
                                        ; implicit-def: $vgpr2
; %bb.112:                              ;   in Loop: Header=BB154_51 Depth=1
	s_andn2_saveexec_b64 s[10:11], s[0:1]
; %bb.113:                              ;   in Loop: Header=BB154_51 Depth=1
	v_or_b32_e32 v3, 0x10000, v2
	v_cmp_eq_u32_sdwa s[0:1], v2, v23 src0_sel:WORD_0 src1_sel:DWORD
	v_cndmask_b32_e64 v28, v3, v2, s[0:1]
; %bb.114:                              ;   in Loop: Header=BB154_51 Depth=1
	s_or_b64 exec, exec, s[10:11]
	v_and_b32_e32 v45, 0xffff0000, v37
	v_lshlrev_b32_e32 v2, 16, v46
	v_mul_f32_e32 v2, v45, v2
	v_and_b32_e32 v3, 0x7f800000, v2
	v_cmp_ne_u32_e64 s[0:1], s17, v3
                                        ; implicit-def: $vgpr37
	s_and_saveexec_b64 s[10:11], s[0:1]
	s_xor_b64 s[0:1], exec, s[10:11]
; %bb.115:                              ;   in Loop: Header=BB154_51 Depth=1
	v_bfe_u32 v3, v2, 16, 1
	v_add3_u32 v37, v2, v3, s18
                                        ; implicit-def: $vgpr2
; %bb.116:                              ;   in Loop: Header=BB154_51 Depth=1
	s_andn2_saveexec_b64 s[10:11], s[0:1]
; %bb.117:                              ;   in Loop: Header=BB154_51 Depth=1
	v_or_b32_e32 v3, 0x10000, v2
	v_cmp_eq_u32_sdwa s[0:1], v2, v23 src0_sel:WORD_0 src1_sel:DWORD
	v_cndmask_b32_e64 v37, v3, v2, s[0:1]
; %bb.118:                              ;   in Loop: Header=BB154_51 Depth=1
	s_or_b64 exec, exec, s[10:11]
	global_load_dwordx4 v[2:5], v[6:7], off offset:1024
	s_waitcnt vmcnt(0)
	v_lshrrev_b32_e32 v7, 16, v2
	v_lshrrev_b32_e32 v47, 16, v3
	;; [unrolled: 1-line block ×4, first 2 shown]
	s_and_saveexec_b64 s[0:1], vcc
	s_cbranch_execz .LBB154_120
; %bb.119:                              ;   in Loop: Header=BB154_51 Depth=1
	v_cmp_gt_i32_e32 vcc, s33, v29
	v_cndmask_b32_e32 v2, 0, v2, vcc
	v_cmp_gt_i32_e32 vcc, s33, v36
	v_cndmask_b32_e32 v7, 0, v7, vcc
	;; [unrolled: 2-line block ×8, first 2 shown]
.LBB154_120:                            ;   in Loop: Header=BB154_51 Depth=1
	s_or_b64 exec, exec, s[0:1]
	v_lshlrev_b32_e32 v2, 16, v2
	v_mul_f32_e32 v29, v38, v2
	v_and_b32_e32 v2, 0x7f800000, v29
	v_cmp_ne_u32_e32 vcc, s17, v2
                                        ; implicit-def: $vgpr2
	s_and_saveexec_b64 s[0:1], vcc
	s_xor_b64 s[0:1], exec, s[0:1]
; %bb.121:                              ;   in Loop: Header=BB154_51 Depth=1
	v_bfe_u32 v2, v29, 16, 1
	v_add3_u32 v2, v29, v2, s18
                                        ; implicit-def: $vgpr29
; %bb.122:                              ;   in Loop: Header=BB154_51 Depth=1
	s_andn2_saveexec_b64 s[0:1], s[0:1]
; %bb.123:                              ;   in Loop: Header=BB154_51 Depth=1
	v_or_b32_e32 v2, 0x10000, v29
	v_cmp_eq_u32_sdwa vcc, v29, v23 src0_sel:WORD_0 src1_sel:DWORD
	v_cndmask_b32_e32 v2, v2, v29, vcc
; %bb.124:                              ;   in Loop: Header=BB154_51 Depth=1
	s_or_b64 exec, exec, s[0:1]
	v_lshlrev_b32_e32 v7, 16, v7
	v_mul_f32_e32 v29, v39, v7
	v_and_b32_e32 v7, 0x7f800000, v29
	v_cmp_ne_u32_e32 vcc, s17, v7
                                        ; implicit-def: $vgpr7
	s_and_saveexec_b64 s[0:1], vcc
	s_xor_b64 s[0:1], exec, s[0:1]
; %bb.125:                              ;   in Loop: Header=BB154_51 Depth=1
	v_bfe_u32 v7, v29, 16, 1
	v_add3_u32 v7, v29, v7, s18
                                        ; implicit-def: $vgpr29
; %bb.126:                              ;   in Loop: Header=BB154_51 Depth=1
	s_andn2_saveexec_b64 s[0:1], s[0:1]
; %bb.127:                              ;   in Loop: Header=BB154_51 Depth=1
	v_or_b32_e32 v7, 0x10000, v29
	v_cmp_eq_u32_sdwa vcc, v29, v23 src0_sel:WORD_0 src1_sel:DWORD
	v_cndmask_b32_e32 v7, v7, v29, vcc
; %bb.128:                              ;   in Loop: Header=BB154_51 Depth=1
	s_or_b64 exec, exec, s[0:1]
	v_lshlrev_b32_e32 v3, 16, v3
	v_mul_f32_e32 v29, v40, v3
	v_and_b32_e32 v3, 0x7f800000, v29
	v_cmp_ne_u32_e32 vcc, s17, v3
                                        ; implicit-def: $vgpr3
	s_and_saveexec_b64 s[0:1], vcc
	s_xor_b64 s[0:1], exec, s[0:1]
; %bb.129:                              ;   in Loop: Header=BB154_51 Depth=1
	v_bfe_u32 v3, v29, 16, 1
	v_add3_u32 v3, v29, v3, s18
                                        ; implicit-def: $vgpr29
; %bb.130:                              ;   in Loop: Header=BB154_51 Depth=1
	s_andn2_saveexec_b64 s[0:1], s[0:1]
; %bb.131:                              ;   in Loop: Header=BB154_51 Depth=1
	v_or_b32_e32 v3, 0x10000, v29
	v_cmp_eq_u32_sdwa vcc, v29, v23 src0_sel:WORD_0 src1_sel:DWORD
	v_cndmask_b32_e32 v3, v3, v29, vcc
; %bb.132:                              ;   in Loop: Header=BB154_51 Depth=1
	s_or_b64 exec, exec, s[0:1]
	v_lshlrev_b32_e32 v29, 16, v47
	v_mul_f32_e32 v30, v41, v29
	v_and_b32_e32 v29, 0x7f800000, v30
	v_cmp_ne_u32_e32 vcc, s17, v29
                                        ; implicit-def: $vgpr29
	s_and_saveexec_b64 s[0:1], vcc
	s_xor_b64 s[0:1], exec, s[0:1]
; %bb.133:                              ;   in Loop: Header=BB154_51 Depth=1
	v_bfe_u32 v29, v30, 16, 1
	v_add3_u32 v29, v30, v29, s18
                                        ; implicit-def: $vgpr30
; %bb.134:                              ;   in Loop: Header=BB154_51 Depth=1
	s_andn2_saveexec_b64 s[0:1], s[0:1]
; %bb.135:                              ;   in Loop: Header=BB154_51 Depth=1
	v_or_b32_e32 v29, 0x10000, v30
	v_cmp_eq_u32_sdwa vcc, v30, v23 src0_sel:WORD_0 src1_sel:DWORD
	v_cndmask_b32_e32 v29, v29, v30, vcc
; %bb.136:                              ;   in Loop: Header=BB154_51 Depth=1
	s_or_b64 exec, exec, s[0:1]
	v_lshlrev_b32_e32 v4, 16, v4
	v_mul_f32_e32 v30, v42, v4
	v_and_b32_e32 v4, 0x7f800000, v30
	v_cmp_ne_u32_e32 vcc, s17, v4
                                        ; implicit-def: $vgpr4
	s_and_saveexec_b64 s[0:1], vcc
	s_xor_b64 s[0:1], exec, s[0:1]
; %bb.137:                              ;   in Loop: Header=BB154_51 Depth=1
	v_bfe_u32 v4, v30, 16, 1
	v_add3_u32 v4, v30, v4, s18
                                        ; implicit-def: $vgpr30
; %bb.138:                              ;   in Loop: Header=BB154_51 Depth=1
	s_andn2_saveexec_b64 s[0:1], s[0:1]
; %bb.139:                              ;   in Loop: Header=BB154_51 Depth=1
	v_or_b32_e32 v4, 0x10000, v30
	v_cmp_eq_u32_sdwa vcc, v30, v23 src0_sel:WORD_0 src1_sel:DWORD
	v_cndmask_b32_e32 v4, v4, v30, vcc
; %bb.140:                              ;   in Loop: Header=BB154_51 Depth=1
	s_or_b64 exec, exec, s[0:1]
	v_lshlrev_b32_e32 v30, 16, v46
	v_mul_f32_e32 v31, v43, v30
	v_and_b32_e32 v30, 0x7f800000, v31
	v_cmp_ne_u32_e32 vcc, s17, v30
                                        ; implicit-def: $vgpr30
	s_and_saveexec_b64 s[0:1], vcc
	s_xor_b64 s[0:1], exec, s[0:1]
; %bb.141:                              ;   in Loop: Header=BB154_51 Depth=1
	v_bfe_u32 v30, v31, 16, 1
	v_add3_u32 v30, v31, v30, s18
                                        ; implicit-def: $vgpr31
; %bb.142:                              ;   in Loop: Header=BB154_51 Depth=1
	s_andn2_saveexec_b64 s[0:1], s[0:1]
; %bb.143:                              ;   in Loop: Header=BB154_51 Depth=1
	v_or_b32_e32 v30, 0x10000, v31
	v_cmp_eq_u32_sdwa vcc, v31, v23 src0_sel:WORD_0 src1_sel:DWORD
	v_cndmask_b32_e32 v30, v30, v31, vcc
; %bb.144:                              ;   in Loop: Header=BB154_51 Depth=1
	s_or_b64 exec, exec, s[0:1]
	v_lshlrev_b32_e32 v5, 16, v5
	v_mul_f32_e32 v31, v44, v5
	v_and_b32_e32 v5, 0x7f800000, v31
	v_cmp_ne_u32_e32 vcc, s17, v5
                                        ; implicit-def: $vgpr5
	s_and_saveexec_b64 s[0:1], vcc
	s_xor_b64 s[0:1], exec, s[0:1]
; %bb.145:                              ;   in Loop: Header=BB154_51 Depth=1
	v_bfe_u32 v5, v31, 16, 1
	v_add3_u32 v5, v31, v5, s18
                                        ; implicit-def: $vgpr31
; %bb.146:                              ;   in Loop: Header=BB154_51 Depth=1
	s_andn2_saveexec_b64 s[0:1], s[0:1]
; %bb.147:                              ;   in Loop: Header=BB154_51 Depth=1
	v_or_b32_e32 v5, 0x10000, v31
	v_cmp_eq_u32_sdwa vcc, v31, v23 src0_sel:WORD_0 src1_sel:DWORD
	v_cndmask_b32_e32 v5, v5, v31, vcc
; %bb.148:                              ;   in Loop: Header=BB154_51 Depth=1
	s_or_b64 exec, exec, s[0:1]
	v_lshlrev_b32_e32 v6, 16, v6
	v_mul_f32_e32 v31, v45, v6
	v_and_b32_e32 v6, 0x7f800000, v31
	v_cmp_ne_u32_e32 vcc, s17, v6
                                        ; implicit-def: $vgpr6
	s_and_saveexec_b64 s[0:1], vcc
	s_xor_b64 s[0:1], exec, s[0:1]
; %bb.149:                              ;   in Loop: Header=BB154_51 Depth=1
	v_bfe_u32 v6, v31, 16, 1
	v_add3_u32 v6, v31, v6, s18
                                        ; implicit-def: $vgpr31
; %bb.150:                              ;   in Loop: Header=BB154_51 Depth=1
	s_andn2_saveexec_b64 s[0:1], s[0:1]
	s_cbranch_execz .LBB154_49
; %bb.151:                              ;   in Loop: Header=BB154_51 Depth=1
	v_or_b32_e32 v6, 0x10000, v31
	v_cmp_eq_u32_sdwa vcc, v31, v23 src0_sel:WORD_0 src1_sel:DWORD
	v_cndmask_b32_e32 v6, v6, v31, vcc
	s_branch .LBB154_49
.LBB154_152:
	s_or_b64 exec, exec, s[4:5]
.LBB154_153:
	s_or_b64 exec, exec, s[2:3]
	ds_bpermute_b32 v2, v17, v12
	ds_bpermute_b32 v3, v17, v13
	v_and_b32_e32 v1, 0x3c1, v0
	v_cmp_eq_u32_e32 vcc, 64, v1
	s_waitcnt lgkmcnt(0)
	s_barrier
	v_pk_add_f32 v[2:3], v[12:13], v[2:3]
	s_and_saveexec_b64 s[0:1], vcc
	s_cbranch_execz .LBB154_155
; %bb.154:
	v_mov_b32_e32 v1, 0x90
	v_lshl_add_u32 v1, v16, 1, v1
	ds_write2_b32 v1, v2, v3 offset1:32
.LBB154_155:
	s_or_b64 exec, exec, s[0:1]
	v_cmp_gt_u32_e32 vcc, 64, v0
	s_waitcnt lgkmcnt(0)
	s_barrier
	s_and_saveexec_b64 s[2:3], vcc
	s_cbranch_execz .LBB154_161
; %bb.156:
	v_cmp_eq_u32_e64 s[0:1], 0, v18
	v_lshrrev_b32_e32 v1, 1, v0
	s_and_saveexec_b64 s[4:5], s[0:1]
	s_cbranch_execz .LBB154_158
; %bb.157:
	v_mov_b32_e32 v4, 0x90
	v_lshl_add_u32 v4, v1, 2, v4
	ds_read_b32 v4, v4
	s_waitcnt lgkmcnt(0)
	v_add_f32_e32 v2, v2, v4
.LBB154_158:
	s_or_b64 exec, exec, s[4:5]
	s_and_saveexec_b64 s[4:5], s[0:1]
	s_cbranch_execz .LBB154_160
; %bb.159:
	v_mov_b32_e32 v4, 0x90
	v_lshl_add_u32 v1, v1, 2, v4
	ds_read_b32 v1, v1 offset:128
	s_waitcnt lgkmcnt(0)
	v_add_f32_e32 v3, v3, v1
.LBB154_160:
	s_or_b64 exec, exec, s[4:5]
.LBB154_161:
	s_or_b64 exec, exec, s[2:3]
	s_barrier
	s_and_saveexec_b64 s[0:1], vcc
	s_cbranch_execz .LBB154_172
; %bb.162:
	v_cmp_eq_u32_e32 vcc, 0, v18
	s_and_b64 exec, exec, vcc
	s_cbranch_execz .LBB154_172
; %bb.163:
	s_mov_b32 s0, 0x7f800000
	v_and_b32_e32 v1, 0x7f800000, v2
	v_cmp_ne_u32_e32 vcc, s0, v1
                                        ; implicit-def: $vgpr4
	s_and_saveexec_b64 s[0:1], vcc
	s_xor_b64 s[0:1], exec, s[0:1]
; %bb.164:
	v_bfe_u32 v1, v2, 16, 1
	s_movk_i32 s2, 0x7fff
	v_add3_u32 v4, v2, v1, s2
; %bb.165:
	s_andn2_saveexec_b64 s[0:1], s[0:1]
; %bb.166:
	v_mov_b32_e32 v1, 0
	v_or_b32_e32 v4, 0x10000, v2
	v_cmp_eq_u32_sdwa vcc, v2, v1 src0_sel:WORD_0 src1_sel:DWORD
	v_cndmask_b32_e32 v4, v4, v2, vcc
; %bb.167:
	s_or_b64 exec, exec, s[0:1]
	s_mul_i32 s0, s12, s24
	s_mul_i32 s0, s0, s25
	s_lshl_b32 s0, s0, 6
	s_ashr_i32 s1, s0, 31
	s_lshl_b64 s[0:1], s[0:1], 1
	s_add_u32 s2, s28, s0
	s_mul_i32 s0, s12, s26
	s_addc_u32 s3, s29, s1
	s_ashr_i32 s1, s0, 31
	s_lshl_b64 s[0:1], s[0:1], 1
	s_add_u32 s2, s2, s0
	s_addc_u32 s3, s3, s1
	s_lshl_b32 s0, s8, 6
	s_ashr_i32 s1, s0, 31
	s_lshl_b64 s[0:1], s[0:1], 1
	s_add_u32 s0, s2, s0
	s_addc_u32 s1, s3, s1
	v_and_b32_e32 v2, 0x3fe, v0
	v_mov_b32_e32 v1, s1
	v_add_co_u32_e32 v0, vcc, s0, v2
	v_addc_co_u32_e32 v1, vcc, 0, v1, vcc
	global_store_short_d16_hi v2, v4, s[0:1]
	s_mov_b32 s0, 0x7f800000
	v_and_b32_e32 v2, 0x7f800000, v3
	v_cmp_ne_u32_e32 vcc, s0, v2
                                        ; implicit-def: $vgpr4
	s_and_saveexec_b64 s[0:1], vcc
	s_xor_b64 s[0:1], exec, s[0:1]
; %bb.168:
	v_bfe_u32 v2, v3, 16, 1
	s_movk_i32 s2, 0x7fff
	v_add3_u32 v4, v3, v2, s2
                                        ; implicit-def: $vgpr2_vgpr3
; %bb.169:
	s_andn2_saveexec_b64 s[0:1], s[0:1]
; %bb.170:
	v_mov_b32_e32 v2, 0
	v_or_b32_e32 v4, 0x10000, v3
	v_cmp_eq_u32_sdwa vcc, v3, v2 src0_sel:WORD_0 src1_sel:DWORD
	v_cndmask_b32_e32 v4, v4, v3, vcc
; %bb.171:
	s_or_b64 exec, exec, s[0:1]
	global_store_short_d16_hi v[0:1], v4, off offset:64
.LBB154_172:
	s_endpgm
	.section	.rodata,"a",@progbits
	.p2align	6, 0x0
	.amdhsa_kernel _ZN4vllm25paged_attention_v2_kernelI14__hip_bfloat16S1_Li64ELi16ELi128ELNS_18Fp8KVCacheDataTypeE0ELb1ELi512EEEvPfS3_PT_PKS4_PKT0_SA_ifPKiSC_iPKfiiiSE_SE_iiiii
		.amdhsa_group_segment_fixed_size 144
		.amdhsa_private_segment_fixed_size 0
		.amdhsa_kernarg_size 400
		.amdhsa_user_sgpr_count 6
		.amdhsa_user_sgpr_private_segment_buffer 1
		.amdhsa_user_sgpr_dispatch_ptr 0
		.amdhsa_user_sgpr_queue_ptr 0
		.amdhsa_user_sgpr_kernarg_segment_ptr 1
		.amdhsa_user_sgpr_dispatch_id 0
		.amdhsa_user_sgpr_flat_scratch_init 0
		.amdhsa_user_sgpr_kernarg_preload_length 0
		.amdhsa_user_sgpr_kernarg_preload_offset 0
		.amdhsa_user_sgpr_private_segment_size 0
		.amdhsa_uses_dynamic_stack 0
		.amdhsa_system_sgpr_private_segment_wavefront_offset 0
		.amdhsa_system_sgpr_workgroup_id_x 1
		.amdhsa_system_sgpr_workgroup_id_y 1
		.amdhsa_system_sgpr_workgroup_id_z 1
		.amdhsa_system_sgpr_workgroup_info 0
		.amdhsa_system_vgpr_workitem_id 0
		.amdhsa_next_free_vgpr 56
		.amdhsa_next_free_sgpr 52
		.amdhsa_accum_offset 56
		.amdhsa_reserve_vcc 1
		.amdhsa_reserve_flat_scratch 0
		.amdhsa_float_round_mode_32 0
		.amdhsa_float_round_mode_16_64 0
		.amdhsa_float_denorm_mode_32 3
		.amdhsa_float_denorm_mode_16_64 3
		.amdhsa_dx10_clamp 1
		.amdhsa_ieee_mode 1
		.amdhsa_fp16_overflow 0
		.amdhsa_tg_split 0
		.amdhsa_exception_fp_ieee_invalid_op 0
		.amdhsa_exception_fp_denorm_src 0
		.amdhsa_exception_fp_ieee_div_zero 0
		.amdhsa_exception_fp_ieee_overflow 0
		.amdhsa_exception_fp_ieee_underflow 0
		.amdhsa_exception_fp_ieee_inexact 0
		.amdhsa_exception_int_div_zero 0
	.end_amdhsa_kernel
	.section	.text._ZN4vllm25paged_attention_v2_kernelI14__hip_bfloat16S1_Li64ELi16ELi128ELNS_18Fp8KVCacheDataTypeE0ELb1ELi512EEEvPfS3_PT_PKS4_PKT0_SA_ifPKiSC_iPKfiiiSE_SE_iiiii,"axG",@progbits,_ZN4vllm25paged_attention_v2_kernelI14__hip_bfloat16S1_Li64ELi16ELi128ELNS_18Fp8KVCacheDataTypeE0ELb1ELi512EEEvPfS3_PT_PKS4_PKT0_SA_ifPKiSC_iPKfiiiSE_SE_iiiii,comdat
.Lfunc_end154:
	.size	_ZN4vllm25paged_attention_v2_kernelI14__hip_bfloat16S1_Li64ELi16ELi128ELNS_18Fp8KVCacheDataTypeE0ELb1ELi512EEEvPfS3_PT_PKS4_PKT0_SA_ifPKiSC_iPKfiiiSE_SE_iiiii, .Lfunc_end154-_ZN4vllm25paged_attention_v2_kernelI14__hip_bfloat16S1_Li64ELi16ELi128ELNS_18Fp8KVCacheDataTypeE0ELb1ELi512EEEvPfS3_PT_PKS4_PKT0_SA_ifPKiSC_iPKfiiiSE_SE_iiiii
                                        ; -- End function
	.section	.AMDGPU.csdata,"",@progbits
; Kernel info:
; codeLenInByte = 6804
; NumSgprs: 56
; NumVgprs: 56
; NumAgprs: 0
; TotalNumVgprs: 56
; ScratchSize: 0
; MemoryBound: 0
; FloatMode: 240
; IeeeMode: 1
; LDSByteSize: 144 bytes/workgroup (compile time only)
; SGPRBlocks: 6
; VGPRBlocks: 6
; NumSGPRsForWavesPerEU: 56
; NumVGPRsForWavesPerEU: 56
; AccumOffset: 56
; Occupancy: 8
; WaveLimiterHint : 1
; COMPUTE_PGM_RSRC2:SCRATCH_EN: 0
; COMPUTE_PGM_RSRC2:USER_SGPR: 6
; COMPUTE_PGM_RSRC2:TRAP_HANDLER: 0
; COMPUTE_PGM_RSRC2:TGID_X_EN: 1
; COMPUTE_PGM_RSRC2:TGID_Y_EN: 1
; COMPUTE_PGM_RSRC2:TGID_Z_EN: 1
; COMPUTE_PGM_RSRC2:TIDIG_COMP_CNT: 0
; COMPUTE_PGM_RSRC3_GFX90A:ACCUM_OFFSET: 13
; COMPUTE_PGM_RSRC3_GFX90A:TG_SPLIT: 0
	.section	.text._ZN4vllm25paged_attention_v2_kernelI14__hip_bfloat16S1_Li80ELi16ELi128ELNS_18Fp8KVCacheDataTypeE0ELb1ELi512EEEvPfS3_PT_PKS4_PKT0_SA_ifPKiSC_iPKfiiiSE_SE_iiiii,"axG",@progbits,_ZN4vllm25paged_attention_v2_kernelI14__hip_bfloat16S1_Li80ELi16ELi128ELNS_18Fp8KVCacheDataTypeE0ELb1ELi512EEEvPfS3_PT_PKS4_PKT0_SA_ifPKiSC_iPKfiiiSE_SE_iiiii,comdat
	.protected	_ZN4vllm25paged_attention_v2_kernelI14__hip_bfloat16S1_Li80ELi16ELi128ELNS_18Fp8KVCacheDataTypeE0ELb1ELi512EEEvPfS3_PT_PKS4_PKT0_SA_ifPKiSC_iPKfiiiSE_SE_iiiii ; -- Begin function _ZN4vllm25paged_attention_v2_kernelI14__hip_bfloat16S1_Li80ELi16ELi128ELNS_18Fp8KVCacheDataTypeE0ELb1ELi512EEEvPfS3_PT_PKS4_PKT0_SA_ifPKiSC_iPKfiiiSE_SE_iiiii
	.globl	_ZN4vllm25paged_attention_v2_kernelI14__hip_bfloat16S1_Li80ELi16ELi128ELNS_18Fp8KVCacheDataTypeE0ELb1ELi512EEEvPfS3_PT_PKS4_PKT0_SA_ifPKiSC_iPKfiiiSE_SE_iiiii
	.p2align	8
	.type	_ZN4vllm25paged_attention_v2_kernelI14__hip_bfloat16S1_Li80ELi16ELi128ELNS_18Fp8KVCacheDataTypeE0ELb1ELi512EEEvPfS3_PT_PKS4_PKT0_SA_ifPKiSC_iPKfiiiSE_SE_iiiii,@function
_ZN4vllm25paged_attention_v2_kernelI14__hip_bfloat16S1_Li80ELi16ELi128ELNS_18Fp8KVCacheDataTypeE0ELb1ELi512EEEvPfS3_PT_PKS4_PKT0_SA_ifPKiSC_iPKfiiiSE_SE_iiiii: ; @_ZN4vllm25paged_attention_v2_kernelI14__hip_bfloat16S1_Li80ELi16ELi128ELNS_18Fp8KVCacheDataTypeE0ELb1ELi512EEEvPfS3_PT_PKS4_PKT0_SA_ifPKiSC_iPKfiiiSE_SE_iiiii
; %bb.0:
	s_load_dwordx2 s[0:1], s[4:5], 0x40
	s_mov_b32 s28, s7
	s_ashr_i32 s29, s7, 31
	s_lshl_b64 s[2:3], s[28:29], 2
	s_waitcnt lgkmcnt(0)
	s_add_u32 s0, s0, s2
	s_addc_u32 s1, s1, s3
	s_load_dword s29, s[0:1], 0x0
	s_lshl_b32 s48, s8, 9
	s_waitcnt lgkmcnt(0)
	s_cmp_ge_i32 s48, s29
	s_cbranch_scc1 .LBB155_219
; %bb.1:
	s_load_dword s9, s[4:5], 0x90
	s_load_dwordx2 s[40:41], s[4:5], 0x30
	s_mov_b32 s49, 0
	s_waitcnt lgkmcnt(0)
	s_abs_i32 s2, s9
	s_abs_i32 s0, s40
	v_cvt_f32_u32_e32 v1, s0
	s_sub_i32 s3, 0, s0
	s_xor_b32 s1, s9, s40
	s_ashr_i32 s1, s1, 31
	v_rcp_iflag_f32_e32 v1, v1
	v_mul_f32_e32 v1, 0x4f7ffffe, v1
	v_cvt_u32_f32_e32 v1, v1
	v_readfirstlane_b32 s7, v1
	s_mul_i32 s3, s3, s7
	s_mul_hi_u32 s3, s7, s3
	s_add_i32 s7, s7, s3
	s_mul_hi_u32 s3, s2, s7
	s_mul_i32 s7, s3, s0
	s_sub_i32 s2, s2, s7
	s_add_i32 s10, s3, 1
	s_sub_i32 s7, s2, s0
	s_cmp_ge_u32 s2, s0
	s_cselect_b32 s3, s10, s3
	s_cselect_b32 s2, s7, s2
	s_add_i32 s7, s3, 1
	s_cmp_ge_u32 s2, s0
	s_cselect_b32 s0, s7, s3
	s_xor_b32 s0, s0, s1
	s_sub_i32 s11, s0, s1
	s_abs_i32 s2, s11
	v_cvt_f32_u32_e32 v1, s2
	s_load_dwordx2 s[0:1], s[4:5], 0x50
	s_sub_i32 s7, 0, s2
	s_abs_i32 s3, s6
	v_rcp_iflag_f32_e32 v1, v1
	v_mul_f32_e32 v1, 0x4f7ffffe, v1
	v_cvt_u32_f32_e32 v1, v1
	v_readfirstlane_b32 s10, v1
	s_mul_i32 s7, s7, s10
	s_mul_hi_u32 s7, s10, s7
	s_add_i32 s10, s10, s7
	s_waitcnt lgkmcnt(0)
	s_cmp_eq_u64 s[0:1], 0
	s_mul_hi_u32 s10, s3, s10
	s_cbranch_scc1 .LBB155_3
; %bb.2:
	s_ashr_i32 s7, s6, 31
	s_lshl_b64 s[12:13], s[6:7], 2
	s_add_u32 s0, s0, s12
	s_addc_u32 s1, s1, s13
	s_load_dword s49, s[0:1], 0x0
.LBB155_3:
	s_load_dwordx4 s[12:15], s[4:5], 0x58
	s_ashr_i32 s7, s6, 31
	s_ashr_i32 s11, s11, 31
	v_and_b32_e32 v2, 3, v0
	s_mul_i32 s24, s6, 0x50
	v_cmp_gt_u32_e32 vcc, 40, v0
	s_and_saveexec_b64 s[0:1], vcc
	s_cbranch_execz .LBB155_5
; %bb.4:
	s_load_dwordx2 s[16:17], s[4:5], 0x18
	s_waitcnt lgkmcnt(0)
	s_mul_i32 s18, s28, s12
	s_ashr_i32 s19, s18, 31
	s_lshl_b64 s[18:19], s[18:19], 1
	v_lshlrev_b32_e32 v1, 2, v0
	s_add_u32 s12, s16, s18
	s_addc_u32 s15, s17, s19
	s_ashr_i32 s25, s24, 31
	s_lshl_b64 s[16:17], s[24:25], 1
	s_add_u32 s16, s12, s16
	s_addc_u32 s17, s15, s17
	global_load_dword v1, v1, s[16:17]
	v_and_b32_e32 v3, 0x3fc, v0
	v_mad_u32_u24 v3, v2, 40, v3
	s_waitcnt vmcnt(0)
	ds_write_b32 v3, v1
.LBB155_5:
	s_or_b64 exec, exec, s[0:1]
	s_mul_i32 s1, s10, s2
	s_sub_i32 s1, s3, s1
	s_xor_b32 s0, s7, s11
	s_add_i32 s3, s10, 1
	s_sub_i32 s7, s1, s2
	s_load_dwordx4 s[16:19], s[4:5], 0x78
	s_cmp_ge_u32 s1, s2
	s_cselect_b32 s3, s3, s10
	s_load_dword s10, s[4:5], 0x88
	s_cselect_b32 s1, s7, s1
	s_add_i32 s7, s3, 1
	s_cmp_ge_u32 s1, s2
	s_cselect_b32 s1, s7, s3
	s_waitcnt lgkmcnt(0)
	s_abs_i32 s25, s19
	v_cvt_f32_u32_e32 v1, s25
	s_xor_b32 s1, s1, s0
	s_sub_i32 s2, s1, s0
	s_sub_i32 s0, 0, s25
	v_rcp_iflag_f32_e32 v1, v1
	s_add_i32 s11, s29, -1
	s_abs_i32 s3, s11
	v_mul_f32_e32 v1, 0x4f7ffffe, v1
	v_cvt_u32_f32_e32 v1, v1
	s_barrier
	v_readfirstlane_b32 s33, v1
	s_mul_i32 s0, s0, s33
	s_mul_hi_u32 s0, s33, s0
	s_add_i32 s33, s33, s0
	s_cmp_lt_i32 s10, 0
	s_mul_hi_u32 s7, s3, s33
	s_cbranch_scc0 .LBB155_7
; %bb.6:
	s_mul_i32 s0, s16, s40
	s_add_i32 s0, s2, s0
	s_mul_i32 s0, s0, s10
	s_sub_i32 s46, 1, s0
	s_mov_b64 s[0:1], 0
	s_branch .LBB155_8
.LBB155_7:
	s_mov_b64 s[0:1], -1
                                        ; implicit-def: $sgpr46
.LBB155_8:
	s_load_dwordx2 s[30:31], s[4:5], 0x38
	s_ashr_i32 s11, s11, 31
	s_andn2_b64 vcc, exec, s[0:1]
	s_ashr_i32 s19, s19, 31
	s_cbranch_vccnz .LBB155_10
; %bb.9:
	s_mul_i32 s0, s9, s16
	s_add_i32 s0, s0, s6
	s_mul_i32 s0, s0, s10
	s_add_i32 s46, s0, 1
.LBB155_10:
	s_load_dword s0, s[4:5], 0x48
	s_load_dwordx2 s[36:37], s[4:5], 0x28
	s_load_dword s16, s[4:5], 0x98
	s_load_dwordx4 s[20:23], s[4:5], 0x0
	s_load_dwordx2 s[26:27], s[4:5], 0x10
	s_mul_i32 s1, s7, s25
	s_waitcnt lgkmcnt(0)
	s_mul_i32 s34, s28, s0
	s_sub_i32 s1, s3, s1
	s_ashr_i32 s35, s34, 31
	s_xor_b32 s0, s11, s19
	s_add_i32 s3, s7, 1
	s_sub_i32 s10, s1, s25
	s_cmp_ge_u32 s1, s25
	s_cselect_b32 s3, s3, s7
	s_cselect_b32 s1, s10, s1
	s_add_i32 s7, s3, 1
	s_cmp_ge_u32 s1, s25
	s_cselect_b32 s1, s7, s3
	s_xor_b32 s1, s1, s0
	s_sub_i32 s12, s1, s0
	s_add_i32 s0, s29, 15
	s_ashr_i32 s1, s0, 31
	s_lshr_b32 s1, s1, 28
	s_add_i32 s0, s0, s1
	s_lshl_b32 s40, s8, 5
	s_ashr_i32 s7, s0, 4
	s_add_i32 s0, s40, 32
	v_lshrrev_b32_e32 v4, 6, v0
	s_min_i32 s47, s0, s7
	v_or_b32_e32 v14, s40, v4
	v_cmp_gt_i32_e64 s[0:1], s47, v14
	v_mov_b32_e32 v10, 0xff7fffff
	s_mul_i32 s38, s2, s14
	v_ashrrev_i32_e32 v15, 31, v14
	v_lshl_add_u32 v1, v4, 4, s48
	v_mbcnt_lo_u32_b32 v5, -1, 0
	s_and_saveexec_b64 s[14:15], s[0:1]
	s_cbranch_execz .LBB155_20
; %bb.11:
	s_load_dwordx2 s[2:3], s[4:5], 0x20
	s_ashr_i32 s39, s38, 31
	s_sub_i32 s50, s12, s17
	s_lshl_b64 s[4:5], s[38:39], 1
	v_bfe_u32 v6, v0, 2, 4
	s_waitcnt lgkmcnt(0)
	s_add_u32 s2, s2, s4
	s_addc_u32 s3, s3, s5
	s_abs_i32 s39, s18
	v_cvt_f32_u32_e32 v8, s39
	v_lshlrev_b32_e32 v3, 4, v6
	v_mov_b32_e32 v7, s3
	v_add_co_u32_e64 v3, s[2:3], s2, v3
	v_rcp_iflag_f32_e32 v10, v8
	v_addc_co_u32_e64 v9, s[2:3], 0, v7, s[2:3]
	v_lshlrev_b32_e32 v7, 2, v0
	v_and_b32_e32 v7, 12, v7
	v_add_co_u32_e64 v7, s[2:3], v3, v7
	v_mul_f32_e32 v3, 0x4f7ffffe, v10
	v_cvt_u32_f32_e32 v3, v3
	s_sub_i32 s4, 0, s39
	v_cmp_eq_u32_e32 vcc, 0, v2
	v_addc_co_u32_e64 v8, s[2:3], 0, v9, s[2:3]
	v_mul_u32_u24_e32 v9, 40, v2
	v_mul_lo_u32 v2, s4, v3
	s_lshl_b64 s[4:5], s[34:35], 2
	v_mul_hi_u32 v2, v3, v2
	s_add_u32 s4, s30, s4
	v_add_u32_e32 v11, v3, v2
	v_lshlrev_b64 v[2:3], 2, v[14:15]
	s_addc_u32 s5, s31, s5
	v_mov_b32_e32 v10, s5
	v_add_co_u32_e64 v2, s[4:5], s4, v2
	v_addc_co_u32_e64 v3, s[4:5], v10, v3, s[4:5]
	v_lshlrev_b32_e32 v10, 2, v6
	v_lshl_or_b32 v10, v4, 6, v10
	v_add_u32_e32 v13, 0xb0, v10
	v_subrev_u32_e32 v10, s29, v6
	v_mbcnt_hi_u32_b32 v17, -1, v5
	v_add_u32_e32 v16, 1, v10
	v_and_b32_e32 v10, 64, v17
	s_mov_b32 s51, s13
	v_cmp_neq_f32_e64 s[2:3], s49, 0
	v_lshl_add_u32 v12, v4, 4, s48
	s_mov_b64 s[42:43], 0
	v_add_u32_e32 v18, 64, v10
	v_xor_b32_e32 v19, 2, v17
	v_xor_b32_e32 v20, 1, v17
	v_mov_b32_e32 v10, 0xff7fffff
	v_mov_b32_e32 v21, v14
	s_branch .LBB155_14
.LBB155_12:                             ;   in Loop: Header=BB155_14 Depth=1
	s_or_b64 exec, exec, s[44:45]
.LBB155_13:                             ;   in Loop: Header=BB155_14 Depth=1
	s_or_b64 exec, exec, s[10:11]
	v_add_co_u32_e64 v2, s[4:5], 8, v2
	v_add_u32_e32 v21, 2, v21
	v_addc_co_u32_e64 v3, s[4:5], 0, v3, s[4:5]
	v_cmp_le_i32_e64 s[4:5], s47, v21
	v_add_u32_e32 v12, 32, v12
	s_or_b64 s[42:43], s[4:5], s[42:43]
	v_add_u32_e32 v13, 0x80, v13
	s_andn2_b64 exec, exec, s[42:43]
	s_cbranch_execz .LBB155_19
.LBB155_14:                             ; =>This Inner Loop Header: Depth=1
	s_waitcnt lgkmcnt(0)
	v_sub_u32_e32 v23, 0, v12
	v_max_i32_e32 v23, v12, v23
	v_mul_hi_u32 v24, v23, s33
	v_mul_lo_u32 v25, v24, s25
	v_sub_u32_e32 v23, v23, v25
	v_add_u32_e32 v25, 1, v24
	v_cmp_le_u32_e64 s[4:5], s25, v23
	v_cndmask_b32_e64 v24, v24, v25, s[4:5]
	v_subrev_u32_e32 v25, s25, v23
	v_cndmask_b32_e64 v23, v23, v25, s[4:5]
	v_ashrrev_i32_e32 v22, 31, v12
	v_add_u32_e32 v25, 1, v24
	v_cmp_le_u32_e64 s[4:5], s25, v23
	v_xor_b32_e32 v22, s19, v22
	v_cndmask_b32_e64 v23, v24, v25, s[4:5]
	v_xor_b32_e32 v23, v23, v22
	v_sub_u32_e32 v22, v23, v22
	v_add_u32_e32 v23, s46, v22
	v_sub_u32_e32 v25, 0, v23
	v_ashrrev_i32_e32 v24, 31, v23
	v_max_i32_e32 v23, v23, v25
	v_mul_hi_u32 v25, v23, v11
	v_mul_lo_u32 v25, v25, s39
	v_sub_u32_e32 v23, v23, v25
	v_subrev_u32_e32 v25, s39, v23
	v_cmp_le_u32_e64 s[4:5], s39, v23
	v_cndmask_b32_e64 v23, v23, v25, s[4:5]
	v_subrev_u32_e32 v25, s39, v23
	v_cmp_le_u32_e64 s[4:5], s39, v23
	v_cndmask_b32_e64 v23, v23, v25, s[4:5]
	v_xor_b32_e32 v23, v23, v24
	v_sub_u32_e32 v23, v23, v24
	v_cmp_ne_u32_e64 s[4:5], 0, v23
	v_cmp_ge_i32_e64 s[10:11], s50, v22
	s_and_b64 s[4:5], s[4:5], s[10:11]
	s_and_b64 s[44:45], vcc, s[4:5]
	s_and_saveexec_b64 s[10:11], s[44:45]
	s_cbranch_execz .LBB155_16
; %bb.15:                               ;   in Loop: Header=BB155_14 Depth=1
	v_mov_b32_e32 v22, 0xff7fffff
	ds_write_b32 v13, v22
.LBB155_16:                             ;   in Loop: Header=BB155_14 Depth=1
	s_or_b64 exec, exec, s[10:11]
	s_xor_b64 s[4:5], s[4:5], -1
	s_and_saveexec_b64 s[10:11], s[4:5]
	s_cbranch_execz .LBB155_13
; %bb.17:                               ;   in Loop: Header=BB155_14 Depth=1
	global_load_dword v22, v[2:3], off
	s_waitcnt vmcnt(0)
	v_mad_i64_i32 v[22:23], s[4:5], v22, s51, 0
	v_lshlrev_b64 v[22:23], 1, v[22:23]
	v_add_co_u32_e64 v22, s[4:5], v7, v22
	v_addc_co_u32_e64 v23, s[4:5], v8, v23, s[4:5]
	global_load_dword v32, v[22:23], off
	global_load_dword v33, v[22:23], off offset:256
	global_load_dword v34, v[22:23], off offset:512
	;; [unrolled: 1-line block ×9, first 2 shown]
	ds_read2_b64 v[22:25], v9 offset1:1
	ds_read2_b64 v[26:29], v9 offset0:2 offset1:3
	ds_read_b64 v[30:31], v9 offset:32
	v_cmp_lt_i32_e64 s[4:5], v19, v18
	v_cndmask_b32_e64 v42, v17, v19, s[4:5]
	s_waitcnt lgkmcnt(2)
	v_lshlrev_b32_e32 v44, 16, v23
	v_and_b32_e32 v23, 0xffff0000, v23
	v_lshlrev_b32_e32 v43, 16, v22
	v_and_b32_e32 v22, 0xffff0000, v22
	;; [unrolled: 2-line block ×4, first 2 shown]
	s_waitcnt lgkmcnt(1)
	v_lshlrev_b32_e32 v47, 16, v26
	v_and_b32_e32 v26, 0xffff0000, v26
	v_lshlrev_b32_e32 v48, 16, v27
	v_and_b32_e32 v27, 0xffff0000, v27
	;; [unrolled: 2-line block ×4, first 2 shown]
	s_waitcnt lgkmcnt(0)
	v_lshlrev_b32_e32 v51, 16, v30
	v_and_b32_e32 v30, 0xffff0000, v30
	v_lshlrev_b32_e32 v52, 16, v31
	v_and_b32_e32 v31, 0xffff0000, v31
	v_lshlrev_b32_e32 v42, 2, v42
	v_cmp_lt_i32_e64 s[4:5], v20, v18
	s_waitcnt vmcnt(9)
	v_lshlrev_b32_e32 v53, 16, v32
	s_waitcnt vmcnt(8)
	v_lshlrev_b32_e32 v54, 16, v33
	v_and_b32_e32 v33, 0xffff0000, v33
	v_and_b32_e32 v32, 0xffff0000, v32
	v_mul_f32_e32 v44, v44, v54
	v_mul_f32_e32 v23, v23, v33
	s_waitcnt vmcnt(7)
	v_lshlrev_b32_e32 v55, 16, v34
	v_and_b32_e32 v34, 0xffff0000, v34
	v_fmac_f32_e32 v44, v43, v53
	v_fmac_f32_e32 v23, v22, v32
	s_waitcnt vmcnt(6)
	v_lshlrev_b32_e32 v56, 16, v35
	v_and_b32_e32 v35, 0xffff0000, v35
	v_fmac_f32_e32 v44, v45, v55
	v_fmac_f32_e32 v23, v24, v34
	;; [unrolled: 5-line block ×8, first 2 shown]
	v_fmac_f32_e32 v44, v52, v62
	v_fmac_f32_e32 v23, v31, v41
	v_add_f32_e32 v22, v44, v23
	ds_bpermute_b32 v23, v42, v22
	v_cndmask_b32_e64 v24, v17, v20, s[4:5]
	v_lshlrev_b32_e32 v24, 2, v24
	s_waitcnt lgkmcnt(0)
	v_add_f32_e32 v22, v22, v23
	ds_bpermute_b32 v23, v24, v22
	s_and_saveexec_b64 s[44:45], vcc
	s_cbranch_execz .LBB155_12
; %bb.18:                               ;   in Loop: Header=BB155_14 Depth=1
	v_add_u32_e32 v24, v16, v12
	v_cvt_f32_i32_e32 v24, v24
	s_waitcnt lgkmcnt(0)
	v_add_f32_e32 v22, v22, v23
	v_add_u32_e32 v25, v6, v12
	v_cmp_gt_i32_e64 s[4:5], s29, v25
	v_mul_f32_e32 v23, s49, v24
	v_cndmask_b32_e64 v23, 0, v23, s[2:3]
	v_fmac_f32_e32 v23, s41, v22
	v_cndmask_b32_e64 v22, 0, v23, s[4:5]
	ds_write_b32 v13, v22
	v_max_f32_e32 v22, v10, v10
	v_max_f32_e32 v22, v22, v23
	v_cndmask_b32_e64 v10, v10, v22, s[4:5]
	s_branch .LBB155_12
.LBB155_19:
	s_or_b64 exec, exec, s[42:43]
.LBB155_20:
	s_or_b64 exec, exec, s[14:15]
	v_mbcnt_hi_u32_b32 v2, -1, v5
	v_and_b32_e32 v3, 64, v2
	v_add_u32_e32 v3, 64, v3
	v_xor_b32_e32 v5, 32, v2
	v_cmp_lt_i32_e32 vcc, v5, v3
	v_cndmask_b32_e32 v5, v2, v5, vcc
	v_lshlrev_b32_e32 v7, 2, v5
	ds_bpermute_b32 v5, v7, v10
	v_xor_b32_e32 v8, 16, v2
	v_max_f32_e32 v6, v10, v10
	v_cmp_lt_i32_e32 vcc, v8, v3
	v_xor_b32_e32 v9, 8, v2
	s_waitcnt lgkmcnt(0)
	v_max_f32_e32 v5, v5, v5
	v_max_f32_e32 v5, v6, v5
	v_cndmask_b32_e32 v6, v2, v8, vcc
	v_lshlrev_b32_e32 v8, 2, v6
	ds_bpermute_b32 v6, v8, v5
	v_cmp_lt_i32_e32 vcc, v9, v3
	s_waitcnt lgkmcnt(0)
	v_max_f32_e32 v6, v6, v6
	v_max_f32_e32 v5, v5, v6
	v_cndmask_b32_e32 v6, v2, v9, vcc
	v_lshlrev_b32_e32 v11, 2, v6
	ds_bpermute_b32 v6, v11, v5
	v_xor_b32_e32 v9, 4, v2
	v_cmp_lt_i32_e32 vcc, v9, v3
	s_waitcnt lgkmcnt(0)
	v_max_f32_e32 v6, v6, v6
	v_max_f32_e32 v6, v5, v6
	v_cndmask_b32_e32 v5, v2, v9, vcc
	v_lshlrev_b32_e32 v12, 2, v5
	ds_bpermute_b32 v10, v12, v6
	v_and_b32_e32 v5, 63, v0
	v_cmp_eq_u32_e32 vcc, 0, v5
	v_lshlrev_b32_e32 v9, 2, v4
	s_and_saveexec_b64 s[2:3], vcc
	s_cbranch_execz .LBB155_22
; %bb.21:
	s_waitcnt lgkmcnt(0)
	v_max_f32_e32 v10, v10, v10
	v_max_f32_e32 v6, v6, v6
	;; [unrolled: 1-line block ×3, first 2 shown]
	ds_write_b32 v9, v6 offset:160
.LBB155_22:
	s_or_b64 exec, exec, s[2:3]
	v_cmp_gt_u32_e64 s[2:3], 2, v5
	v_mov_b32_e32 v6, 0xff7fffff
	s_waitcnt lgkmcnt(0)
	v_lshlrev_b32_e32 v10, 2, v5
	s_barrier
	s_and_saveexec_b64 s[4:5], s[2:3]
	s_cbranch_execz .LBB155_24
; %bb.23:
	ds_read_b32 v6, v10 offset:160
.LBB155_24:
	s_or_b64 exec, exec, s[4:5]
	v_xor_b32_e32 v13, 1, v2
	v_cmp_lt_i32_e64 s[4:5], v13, v3
	v_cndmask_b32_e64 v13, v2, v13, s[4:5]
	v_lshlrev_b32_e32 v13, 2, v13
	s_waitcnt lgkmcnt(0)
	ds_bpermute_b32 v16, v13, v6
	v_max_f32_e32 v6, v6, v6
	s_sub_i32 s4, s47, s40
	s_lshl_b32 s4, s4, 4
	s_add_i32 s4, s4, s48
	s_waitcnt lgkmcnt(0)
	v_max_f32_e32 v16, v16, v16
	v_max_f32_e32 v6, v6, v16
	v_lshlrev_b32_e32 v16, 2, v2
	v_and_b32_e32 v16, 0x100, v16
	ds_bpermute_b32 v6, v16, v6
	s_min_i32 s42, s4, s29
	s_sub_i32 s39, s42, s48
	v_cmp_gt_i32_e64 s[4:5], s39, v0
	v_mov_b32_e32 v17, 0
	s_and_saveexec_b64 s[14:15], s[4:5]
	s_cbranch_execz .LBB155_28
; %bb.25:
	v_mov_b32_e32 v17, 0xb0
	v_lshl_add_u32 v18, v0, 2, v17
	s_mov_b64 s[40:41], 0
	v_mov_b32_e32 v17, 0
	v_mov_b32_e32 v19, v0
.LBB155_26:                             ; =>This Inner Loop Header: Depth=1
	ds_read_b32 v20, v18
	v_add_u32_e32 v19, 0x80, v19
	v_cmp_le_i32_e64 s[10:11], s39, v19
	s_or_b64 s[40:41], s[10:11], s[40:41]
	s_waitcnt lgkmcnt(0)
	v_sub_f32_e32 v20, v20, v6
	v_mul_f32_e32 v20, 0x3fb8aa3b, v20
	v_exp_f32_e32 v20, v20
	ds_write_b32 v18, v20
	v_add_f32_e32 v17, v17, v20
	v_add_u32_e32 v18, 0x200, v18
	s_andn2_b64 exec, exec, s[40:41]
	s_cbranch_execnz .LBB155_26
; %bb.27:
	s_or_b64 exec, exec, s[40:41]
.LBB155_28:
	s_or_b64 exec, exec, s[14:15]
	ds_bpermute_b32 v7, v7, v17
	s_waitcnt lgkmcnt(0)
	v_add_f32_e32 v7, v17, v7
	ds_bpermute_b32 v8, v8, v7
	s_waitcnt lgkmcnt(0)
	v_add_f32_e32 v7, v7, v8
	ds_bpermute_b32 v8, v11, v7
	v_xor_b32_e32 v11, 2, v2
	v_cmp_lt_i32_e64 s[10:11], v11, v3
	v_cndmask_b32_e64 v2, v2, v11, s[10:11]
	v_lshlrev_b32_e32 v2, 2, v2
	s_waitcnt lgkmcnt(0)
	v_add_f32_e32 v7, v7, v8
	ds_bpermute_b32 v8, v12, v7
	s_waitcnt lgkmcnt(0)
	v_add_f32_e32 v3, v7, v8
	ds_bpermute_b32 v2, v2, v3
	;; [unrolled: 3-line block ×3, first 2 shown]
	s_waitcnt lgkmcnt(0)
	v_add_f32_e32 v2, v2, v3
	s_and_saveexec_b64 s[10:11], vcc
	s_cbranch_execz .LBB155_30
; %bb.29:
	ds_write_b32 v9, v2 offset:168
.LBB155_30:
	s_or_b64 exec, exec, s[10:11]
	s_waitcnt lgkmcnt(0)
	s_barrier
	s_and_saveexec_b64 s[10:11], s[2:3]
	s_cbranch_execz .LBB155_32
; %bb.31:
	ds_read_b32 v2, v10 offset:168
.LBB155_32:
	s_or_b64 exec, exec, s[10:11]
	s_waitcnt lgkmcnt(0)
	ds_bpermute_b32 v3, v13, v2
	s_waitcnt lgkmcnt(0)
	v_add_f32_e32 v2, v2, v3
	ds_bpermute_b32 v7, v16, v2
	s_and_saveexec_b64 s[2:3], s[4:5]
	s_cbranch_execz .LBB155_45
; %bb.33:
	s_waitcnt lgkmcnt(0)
	v_add_f32_e32 v2, 0x358637bd, v7
	v_div_scale_f32 v3, s[4:5], v2, v2, 1.0
	v_rcp_f32_e32 v8, v3
	v_div_scale_f32 v9, vcc, 1.0, v2, 1.0
	s_movk_i32 s4, 0x7f
	v_fma_f32 v10, -v3, v8, 1.0
	v_fmac_f32_e32 v8, v10, v8
	v_mul_f32_e32 v10, v9, v8
	v_fma_f32 v11, -v3, v10, v9
	v_fmac_f32_e32 v10, v11, v8
	v_fma_f32 v3, -v3, v10, v9
	v_div_fmas_f32 v3, v3, v8, v10
	v_div_fixup_f32 v2, v3, v2, 1.0
	v_xad_u32 v3, v0, -1, s42
	v_subrev_u32_e32 v8, s48, v3
	v_cmp_lt_u32_e32 vcc, s4, v8
	s_mov_b64 s[10:11], -1
	v_mov_b32_e32 v3, v0
	s_and_saveexec_b64 s[4:5], vcc
	s_cbranch_execz .LBB155_42
; %bb.34:
	v_lshrrev_b32_e32 v8, 7, v8
	v_add_u32_e32 v10, -1, v8
	v_lshrrev_b32_e32 v9, 1, v10
	v_mov_b32_e32 v3, v2
	v_add_u32_e32 v9, 1, v9
	v_cmp_lt_u32_e32 vcc, 13, v10
	v_mov_b32_e32 v12, 0
	s_and_saveexec_b64 s[10:11], vcc
	s_cbranch_execz .LBB155_38
; %bb.35:
	v_mov_b32_e32 v11, 0xb0
	v_and_b32_e32 v10, -8, v9
	v_lshl_add_u32 v11, v0, 2, v11
	s_mov_b32 s40, 0
	s_mov_b64 s[14:15], 0
.LBB155_36:                             ; =>This Inner Loop Header: Depth=1
	ds_read2st64_b32 v[16:17], v11 offset1:2
	ds_read2st64_b32 v[18:19], v11 offset0:4 offset1:6
	ds_read2st64_b32 v[20:21], v11 offset0:8 offset1:10
	ds_read2st64_b32 v[22:23], v11 offset0:12 offset1:14
	v_add_u32_e32 v10, -8, v10
	s_waitcnt lgkmcnt(3)
	v_pk_mul_f32 v[16:17], v[2:3], v[16:17]
	s_waitcnt lgkmcnt(2)
	v_pk_mul_f32 v[18:19], v[2:3], v[18:19]
	ds_write2st64_b32 v11, v16, v17 offset1:2
	ds_write2st64_b32 v11, v18, v19 offset0:4 offset1:6
	ds_read2st64_b32 v[18:19], v11 offset0:16 offset1:18
	s_waitcnt lgkmcnt(4)
	v_pk_mul_f32 v[16:17], v[2:3], v[20:21]
	ds_write2st64_b32 v11, v16, v17 offset0:8 offset1:10
	s_waitcnt lgkmcnt(4)
	v_pk_mul_f32 v[16:17], v[2:3], v[22:23]
	ds_write2st64_b32 v11, v16, v17 offset0:12 offset1:14
	ds_read2st64_b32 v[16:17], v11 offset0:20 offset1:22
	s_waitcnt lgkmcnt(3)
	v_pk_mul_f32 v[18:19], v[2:3], v[18:19]
	ds_read2st64_b32 v[20:21], v11 offset0:24 offset1:26
	ds_write2st64_b32 v11, v18, v19 offset0:16 offset1:18
	ds_read2st64_b32 v[18:19], v11 offset0:28 offset1:30
	s_waitcnt lgkmcnt(3)
	v_pk_mul_f32 v[16:17], v[2:3], v[16:17]
	ds_write2st64_b32 v11, v16, v17 offset0:20 offset1:22
	s_waitcnt lgkmcnt(3)
	v_pk_mul_f32 v[16:17], v[2:3], v[20:21]
	ds_write2st64_b32 v11, v16, v17 offset0:24 offset1:26
	s_waitcnt lgkmcnt(2)
	v_pk_mul_f32 v[16:17], v[2:3], v[18:19]
	s_add_i32 s40, s40, 16
	v_cmp_eq_u32_e32 vcc, 0, v10
	ds_write2st64_b32 v11, v16, v17 offset0:28 offset1:30
	v_add_u32_e32 v11, 0x2000, v11
	s_or_b64 s[14:15], vcc, s[14:15]
	v_mov_b32_e32 v12, s40
	s_andn2_b64 exec, exec, s[14:15]
	s_cbranch_execnz .LBB155_36
; %bb.37:
	s_or_b64 exec, exec, s[14:15]
.LBB155_38:
	s_or_b64 exec, exec, s[10:11]
	v_and_b32_e32 v9, 7, v9
	v_cmp_ne_u32_e32 vcc, 0, v9
	s_and_saveexec_b64 s[10:11], vcc
	s_cbranch_execz .LBB155_41
; %bb.39:
	v_lshlrev_b32_e32 v10, 9, v12
	v_lshlrev_b32_e32 v11, 2, v0
	s_movk_i32 s14, 0xb0
	v_add3_u32 v10, v10, v11, s14
	s_mov_b64 s[14:15], 0
.LBB155_40:                             ; =>This Inner Loop Header: Depth=1
	ds_read2st64_b32 v[16:17], v10 offset1:2
	v_add_u32_e32 v9, -1, v9
	v_cmp_eq_u32_e32 vcc, 0, v9
	s_or_b64 s[14:15], vcc, s[14:15]
	s_waitcnt lgkmcnt(0)
	v_pk_mul_f32 v[16:17], v[2:3], v[16:17]
	ds_write2st64_b32 v10, v16, v17 offset1:2
	v_add_u32_e32 v10, 0x400, v10
	s_andn2_b64 exec, exec, s[14:15]
	s_cbranch_execnz .LBB155_40
.LBB155_41:
	s_or_b64 exec, exec, s[10:11]
	v_add_u32_e32 v8, 1, v8
	v_and_b32_e32 v9, 0x3fffffe, v8
	v_cmp_ne_u32_e32 vcc, v8, v9
	v_lshl_add_u32 v3, v9, 7, v0
	s_orn2_b64 s[10:11], vcc, exec
.LBB155_42:
	s_or_b64 exec, exec, s[4:5]
	s_and_b64 exec, exec, s[10:11]
	s_cbranch_execz .LBB155_45
; %bb.43:
	v_mov_b32_e32 v8, 0xb0
	v_lshl_add_u32 v8, v3, 2, v8
	s_mov_b64 s[4:5], 0
.LBB155_44:                             ; =>This Inner Loop Header: Depth=1
	ds_read_b32 v9, v8
	v_add_u32_e32 v3, 0x80, v3
	v_cmp_le_i32_e32 vcc, s39, v3
	s_or_b64 s[4:5], vcc, s[4:5]
	s_waitcnt lgkmcnt(0)
	v_mul_f32_e32 v9, v2, v9
	ds_write_b32 v8, v9
	v_add_u32_e32 v8, 0x200, v8
	s_andn2_b64 exec, exec, s[4:5]
	s_cbranch_execnz .LBB155_44
.LBB155_45:
	s_or_b64 exec, exec, s[2:3]
	s_mul_i32 s2, s16, s28
	v_cmp_eq_u32_e32 vcc, 0, v0
	s_mul_i32 s10, s2, s9
	s_waitcnt lgkmcnt(0)
	s_barrier
	s_and_saveexec_b64 s[2:3], vcc
	s_cbranch_execz .LBB155_47
; %bb.46:
	s_ashr_i32 s11, s10, 31
	s_lshl_b64 s[4:5], s[10:11], 2
	s_add_u32 s9, s22, s4
	s_mul_i32 s14, s16, s6
	s_addc_u32 s11, s23, s5
	s_ashr_i32 s15, s14, 31
	s_lshl_b64 s[14:15], s[14:15], 2
	s_add_u32 s6, s9, s14
	s_addc_u32 s11, s11, s15
	s_ashr_i32 s9, s8, 31
	s_lshl_b64 s[22:23], s[8:9], 2
	s_add_u32 s40, s6, s22
	s_addc_u32 s41, s11, s23
	s_add_u32 s4, s20, s4
	s_addc_u32 s5, s21, s5
	s_add_u32 s4, s4, s14
	s_addc_u32 s5, s5, s15
	s_add_u32 s4, s4, s22
	v_mov_b32_e32 v2, 0
	s_addc_u32 s5, s5, s23
	global_store_dword v2, v6, s[40:41]
	global_store_dword v2, v7, s[4:5]
.LBB155_47:
	s_or_b64 exec, exec, s[2:3]
	s_mov_b32 s4, 0
	v_mov_b32_e32 v12, 0
	v_lshrrev_b32_e32 v19, 1, v5
	v_and_b32_e32 v18, 1, v0
	v_mov_b32_e32 v11, 0
	v_mov_b32_e32 v10, 0
	s_and_saveexec_b64 s[14:15], s[0:1]
	s_cbranch_execz .LBB155_189
; %bb.48:
	s_ashr_i32 s39, s38, 31
	s_sub_i32 s9, s12, s17
	s_lshl_b64 s[0:1], s[38:39], 1
	s_add_u32 s11, s36, s0
	s_addc_u32 s17, s37, s1
	s_abs_i32 s18, s18
	v_cvt_f32_u32_e32 v3, s18
	v_lshlrev_b32_e32 v2, 3, v0
	v_or_b32_e32 v5, 64, v19
	s_movk_i32 s0, 0x50
	v_rcp_iflag_f32_e32 v3, v3
	v_and_b32_e32 v20, 8, v2
	v_cmp_gt_u32_e32 vcc, s0, v5
	s_sub_i32 s0, 0, s18
	v_mul_f32_e32 v3, 0x4f7ffffe, v3
	v_cvt_u32_f32_e32 v3, v3
	s_add_i32 s21, s7, -1
	v_lshl_or_b32 v6, v5, 4, v20
	v_lshlrev_b64 v[8:9], 2, v[14:15]
	v_mul_lo_u32 v5, s0, v3
	s_lshl_b64 s[0:1], s[34:35], 2
	s_add_u32 s0, s30, s0
	v_mul_hi_u32 v5, v3, v5
	s_addc_u32 s1, s31, s1
	v_add_u32_e32 v22, v3, v5
	v_mov_b32_e32 v3, s1
	v_add_co_u32_e64 v16, s[0:1], s0, v8
	v_addc_co_u32_e64 v17, s[0:1], v3, v9, s[0:1]
	v_lshlrev_b32_e32 v3, 5, v18
	s_mov_b32 s6, s4
	v_lshl_or_b32 v2, v19, 4, v20
	v_lshl_or_b32 v3, v4, 6, v3
	s_mov_b32 s5, s4
	v_mov_b32_e32 v12, s6
	s_mov_b32 s20, s13
	v_mov_b32_e32 v21, 0
	v_add_u32_e32 v15, 0xb0, v3
	s_mov_b64 s[12:13], 0
	v_mov_b32_e32 v11, s5
	v_mov_b32_e32 v10, s4
	s_mov_b32 s22, 0x7f800000
	s_movk_i32 s23, 0x7fff
	v_lshlrev_b32_e32 v23, 1, v2
	v_lshlrev_b32_e32 v24, 1, v6
	s_branch .LBB155_52
.LBB155_49:                             ;   in Loop: Header=BB155_52 Depth=1
	s_or_b64 exec, exec, s[2:3]
	v_and_b32_e32 v26, 0xffff0000, v9
	v_and_b32_e32 v9, 0xffff0000, v8
	;; [unrolled: 1-line block ×8, first 2 shown]
	v_pk_add_f32 v[2:3], v[2:3], v[8:9]
	v_pk_add_f32 v[4:5], v[4:5], v[26:27]
	v_add_f32_e32 v2, v2, v3
	v_add_f32_e32 v2, v2, v4
	;; [unrolled: 1-line block ×4, first 2 shown]
.LBB155_50:                             ;   in Loop: Header=BB155_52 Depth=1
	s_or_b64 exec, exec, s[6:7]
.LBB155_51:                             ;   in Loop: Header=BB155_52 Depth=1
	s_or_b64 exec, exec, s[4:5]
	v_add_co_u32_e64 v16, s[0:1], 8, v16
	v_add_u32_e32 v14, 2, v14
	v_addc_co_u32_e64 v17, s[0:1], 0, v17, s[0:1]
	v_cmp_le_i32_e64 s[0:1], s47, v14
	v_add_u32_e32 v1, 32, v1
	s_or_b64 s[12:13], s[0:1], s[12:13]
	v_add_u32_e32 v15, 0x80, v15
	s_andn2_b64 exec, exec, s[12:13]
	s_cbranch_execz .LBB155_188
.LBB155_52:                             ; =>This Inner Loop Header: Depth=1
	v_sub_u32_e32 v3, 0, v1
	v_max_i32_e32 v3, v1, v3
	v_mul_hi_u32 v4, v3, s33
	v_mul_lo_u32 v5, v4, s25
	v_sub_u32_e32 v3, v3, v5
	v_add_u32_e32 v5, 1, v4
	v_cmp_le_u32_e64 s[0:1], s25, v3
	v_cndmask_b32_e64 v4, v4, v5, s[0:1]
	v_subrev_u32_e32 v5, s25, v3
	v_cndmask_b32_e64 v3, v3, v5, s[0:1]
	v_ashrrev_i32_e32 v2, 31, v1
	v_add_u32_e32 v5, 1, v4
	v_cmp_le_u32_e64 s[0:1], s25, v3
	v_xor_b32_e32 v2, s19, v2
	v_cndmask_b32_e64 v3, v4, v5, s[0:1]
	v_xor_b32_e32 v3, v3, v2
	v_sub_u32_e32 v2, v3, v2
	v_add_u32_e32 v3, s46, v2
	v_sub_u32_e32 v5, 0, v3
	v_ashrrev_i32_e32 v4, 31, v3
	v_max_i32_e32 v3, v3, v5
	v_mul_hi_u32 v5, v3, v22
	v_mul_lo_u32 v5, v5, s18
	v_sub_u32_e32 v3, v3, v5
	v_subrev_u32_e32 v5, s18, v3
	v_cmp_le_u32_e64 s[0:1], s18, v3
	v_cndmask_b32_e64 v3, v3, v5, s[0:1]
	v_subrev_u32_e32 v5, s18, v3
	v_cmp_le_u32_e64 s[0:1], s18, v3
	v_cndmask_b32_e64 v3, v3, v5, s[0:1]
	v_xor_b32_e32 v3, v3, v4
	v_sub_u32_e32 v3, v3, v4
	v_cmp_eq_u32_e64 s[0:1], 0, v3
	v_cmp_lt_i32_e64 s[2:3], s9, v2
	s_or_b64 s[0:1], s[0:1], s[2:3]
	s_and_saveexec_b64 s[4:5], s[0:1]
	s_cbranch_execz .LBB155_51
; %bb.53:                               ;   in Loop: Header=BB155_52 Depth=1
	global_load_dword v25, v[16:17], off
	ds_read2_b64 v[6:9], v15 offset1:1
	ds_read2_b64 v[2:5], v15 offset0:2 offset1:3
	s_waitcnt lgkmcnt(1)
	v_and_b32_e32 v26, 0x7f800000, v6
	v_cmp_ne_u32_e64 s[0:1], s22, v26
                                        ; implicit-def: $vgpr26
	s_and_saveexec_b64 s[2:3], s[0:1]
	s_xor_b64 s[0:1], exec, s[2:3]
; %bb.54:                               ;   in Loop: Header=BB155_52 Depth=1
	v_bfe_u32 v26, v6, 16, 1
	v_add3_u32 v26, v6, v26, s23
; %bb.55:                               ;   in Loop: Header=BB155_52 Depth=1
	s_andn2_saveexec_b64 s[2:3], s[0:1]
; %bb.56:                               ;   in Loop: Header=BB155_52 Depth=1
	v_or_b32_e32 v26, 0x10000, v6
	v_cmp_eq_u32_sdwa s[0:1], v6, v21 src0_sel:WORD_0 src1_sel:DWORD
	v_cndmask_b32_e64 v26, v26, v6, s[0:1]
; %bb.57:                               ;   in Loop: Header=BB155_52 Depth=1
	s_or_b64 exec, exec, s[2:3]
	v_and_b32_e32 v6, 0x7f800000, v7
	v_cmp_ne_u32_e64 s[0:1], s22, v6
                                        ; implicit-def: $vgpr27
	s_and_saveexec_b64 s[2:3], s[0:1]
	s_xor_b64 s[0:1], exec, s[2:3]
; %bb.58:                               ;   in Loop: Header=BB155_52 Depth=1
	v_bfe_u32 v6, v7, 16, 1
	v_add3_u32 v27, v7, v6, s23
; %bb.59:                               ;   in Loop: Header=BB155_52 Depth=1
	s_andn2_saveexec_b64 s[2:3], s[0:1]
; %bb.60:                               ;   in Loop: Header=BB155_52 Depth=1
	v_or_b32_e32 v6, 0x10000, v7
	v_cmp_eq_u32_sdwa s[0:1], v7, v21 src0_sel:WORD_0 src1_sel:DWORD
	v_cndmask_b32_e64 v27, v6, v7, s[0:1]
; %bb.61:                               ;   in Loop: Header=BB155_52 Depth=1
	s_or_b64 exec, exec, s[2:3]
	v_and_b32_e32 v6, 0x7f800000, v8
	v_cmp_ne_u32_e64 s[0:1], s22, v6
                                        ; implicit-def: $vgpr28
	s_and_saveexec_b64 s[2:3], s[0:1]
	s_xor_b64 s[0:1], exec, s[2:3]
; %bb.62:                               ;   in Loop: Header=BB155_52 Depth=1
	v_bfe_u32 v6, v8, 16, 1
	v_add3_u32 v28, v8, v6, s23
; %bb.63:                               ;   in Loop: Header=BB155_52 Depth=1
	s_andn2_saveexec_b64 s[2:3], s[0:1]
; %bb.64:                               ;   in Loop: Header=BB155_52 Depth=1
	v_or_b32_e32 v6, 0x10000, v8
	v_cmp_eq_u32_sdwa s[0:1], v8, v21 src0_sel:WORD_0 src1_sel:DWORD
	v_cndmask_b32_e64 v28, v6, v8, s[0:1]
; %bb.65:                               ;   in Loop: Header=BB155_52 Depth=1
	s_or_b64 exec, exec, s[2:3]
	v_and_b32_e32 v6, 0x7f800000, v9
	v_cmp_ne_u32_e64 s[0:1], s22, v6
                                        ; implicit-def: $vgpr29
	s_and_saveexec_b64 s[2:3], s[0:1]
	s_xor_b64 s[0:1], exec, s[2:3]
; %bb.66:                               ;   in Loop: Header=BB155_52 Depth=1
	v_bfe_u32 v6, v9, 16, 1
	v_add3_u32 v29, v9, v6, s23
                                        ; implicit-def: $vgpr6_vgpr7_vgpr8_vgpr9
; %bb.67:                               ;   in Loop: Header=BB155_52 Depth=1
	s_andn2_saveexec_b64 s[2:3], s[0:1]
; %bb.68:                               ;   in Loop: Header=BB155_52 Depth=1
	v_or_b32_e32 v6, 0x10000, v9
	v_cmp_eq_u32_sdwa s[0:1], v9, v21 src0_sel:WORD_0 src1_sel:DWORD
	v_cndmask_b32_e64 v29, v6, v9, s[0:1]
; %bb.69:                               ;   in Loop: Header=BB155_52 Depth=1
	s_or_b64 exec, exec, s[2:3]
	s_waitcnt lgkmcnt(0)
	v_and_b32_e32 v6, 0x7f800000, v2
	v_cmp_ne_u32_e64 s[0:1], s22, v6
                                        ; implicit-def: $vgpr30
	s_and_saveexec_b64 s[2:3], s[0:1]
	s_xor_b64 s[0:1], exec, s[2:3]
; %bb.70:                               ;   in Loop: Header=BB155_52 Depth=1
	v_bfe_u32 v6, v2, 16, 1
	v_add3_u32 v30, v2, v6, s23
; %bb.71:                               ;   in Loop: Header=BB155_52 Depth=1
	s_andn2_saveexec_b64 s[2:3], s[0:1]
; %bb.72:                               ;   in Loop: Header=BB155_52 Depth=1
	v_or_b32_e32 v6, 0x10000, v2
	v_cmp_eq_u32_sdwa s[0:1], v2, v21 src0_sel:WORD_0 src1_sel:DWORD
	v_cndmask_b32_e64 v30, v6, v2, s[0:1]
; %bb.73:                               ;   in Loop: Header=BB155_52 Depth=1
	s_or_b64 exec, exec, s[2:3]
	v_and_b32_e32 v2, 0x7f800000, v3
	v_cmp_ne_u32_e64 s[0:1], s22, v2
                                        ; implicit-def: $vgpr31
	s_and_saveexec_b64 s[2:3], s[0:1]
	s_xor_b64 s[0:1], exec, s[2:3]
; %bb.74:                               ;   in Loop: Header=BB155_52 Depth=1
	v_bfe_u32 v2, v3, 16, 1
	v_add3_u32 v31, v3, v2, s23
; %bb.75:                               ;   in Loop: Header=BB155_52 Depth=1
	s_andn2_saveexec_b64 s[2:3], s[0:1]
; %bb.76:                               ;   in Loop: Header=BB155_52 Depth=1
	v_or_b32_e32 v2, 0x10000, v3
	v_cmp_eq_u32_sdwa s[0:1], v3, v21 src0_sel:WORD_0 src1_sel:DWORD
	v_cndmask_b32_e64 v31, v2, v3, s[0:1]
; %bb.77:                               ;   in Loop: Header=BB155_52 Depth=1
	s_or_b64 exec, exec, s[2:3]
	v_and_b32_e32 v2, 0x7f800000, v4
	v_cmp_ne_u32_e64 s[0:1], s22, v2
                                        ; implicit-def: $vgpr32
	s_and_saveexec_b64 s[2:3], s[0:1]
	s_xor_b64 s[0:1], exec, s[2:3]
; %bb.78:                               ;   in Loop: Header=BB155_52 Depth=1
	v_bfe_u32 v2, v4, 16, 1
	v_add3_u32 v32, v4, v2, s23
; %bb.79:                               ;   in Loop: Header=BB155_52 Depth=1
	s_andn2_saveexec_b64 s[2:3], s[0:1]
; %bb.80:                               ;   in Loop: Header=BB155_52 Depth=1
	v_or_b32_e32 v2, 0x10000, v4
	v_cmp_eq_u32_sdwa s[0:1], v4, v21 src0_sel:WORD_0 src1_sel:DWORD
	v_cndmask_b32_e64 v32, v2, v4, s[0:1]
; %bb.81:                               ;   in Loop: Header=BB155_52 Depth=1
	s_or_b64 exec, exec, s[2:3]
	v_and_b32_e32 v2, 0x7f800000, v5
	v_cmp_ne_u32_e64 s[0:1], s22, v2
                                        ; implicit-def: $vgpr33
	s_and_saveexec_b64 s[2:3], s[0:1]
	s_xor_b64 s[0:1], exec, s[2:3]
; %bb.82:                               ;   in Loop: Header=BB155_52 Depth=1
	v_bfe_u32 v2, v5, 16, 1
	v_add3_u32 v33, v5, v2, s23
                                        ; implicit-def: $vgpr2_vgpr3_vgpr4_vgpr5
; %bb.83:                               ;   in Loop: Header=BB155_52 Depth=1
	s_andn2_saveexec_b64 s[2:3], s[0:1]
; %bb.84:                               ;   in Loop: Header=BB155_52 Depth=1
	v_or_b32_e32 v2, 0x10000, v5
	v_cmp_eq_u32_sdwa s[0:1], v5, v21 src0_sel:WORD_0 src1_sel:DWORD
	v_cndmask_b32_e64 v33, v2, v5, s[0:1]
; %bb.85:                               ;   in Loop: Header=BB155_52 Depth=1
	s_or_b64 exec, exec, s[2:3]
	s_waitcnt vmcnt(0)
	v_mad_i64_i32 v[2:3], s[0:1], v25, s20, 0
	v_lshlrev_b64 v[2:3], 1, v[2:3]
	v_mov_b32_e32 v4, s17
	v_add_co_u32_e64 v9, s[0:1], s11, v2
	v_addc_co_u32_e64 v25, s[0:1], v4, v3, s[0:1]
	v_add_co_u32_e64 v6, s[0:1], v9, v23
	v_addc_co_u32_e64 v7, s[0:1], 0, v25, s[0:1]
	global_load_dwordx4 v[2:5], v[6:7], off
	v_add_u32_e32 v8, v20, v1
	v_cmp_eq_u32_e64 s[0:1], s21, v14
	s_waitcnt vmcnt(0)
	v_lshrrev_b32_e32 v35, 16, v2
	v_lshrrev_b32_e32 v37, 16, v3
	;; [unrolled: 1-line block ×4, first 2 shown]
	s_and_saveexec_b64 s[6:7], s[0:1]
	s_cbranch_execz .LBB155_87
; %bb.86:                               ;   in Loop: Header=BB155_52 Depth=1
	v_cmp_gt_i32_e64 s[2:3], s29, v8
	v_add_u32_e32 v34, 1, v8
	v_cndmask_b32_e64 v2, 0, v2, s[2:3]
	v_cmp_gt_i32_e64 s[2:3], s29, v34
	v_add_u32_e32 v34, 2, v8
	v_cndmask_b32_e64 v35, 0, v35, s[2:3]
	;; [unrolled: 3-line block ×7, first 2 shown]
	v_cmp_gt_i32_e64 s[2:3], s29, v34
	v_cndmask_b32_e64 v41, 0, v41, s[2:3]
.LBB155_87:                             ;   in Loop: Header=BB155_52 Depth=1
	s_or_b64 exec, exec, s[6:7]
	v_and_b32_e32 v26, 0xffff0000, v26
	v_lshlrev_b32_e32 v2, 16, v2
	v_mul_f32_e32 v2, v26, v2
	v_and_b32_e32 v34, 0x7f800000, v2
	v_cmp_ne_u32_e64 s[2:3], s22, v34
                                        ; implicit-def: $vgpr34
	s_and_saveexec_b64 s[6:7], s[2:3]
	s_xor_b64 s[2:3], exec, s[6:7]
; %bb.88:                               ;   in Loop: Header=BB155_52 Depth=1
	v_bfe_u32 v34, v2, 16, 1
	v_add3_u32 v34, v2, v34, s23
                                        ; implicit-def: $vgpr2
; %bb.89:                               ;   in Loop: Header=BB155_52 Depth=1
	s_andn2_saveexec_b64 s[6:7], s[2:3]
; %bb.90:                               ;   in Loop: Header=BB155_52 Depth=1
	v_or_b32_e32 v34, 0x10000, v2
	v_cmp_eq_u32_sdwa s[2:3], v2, v21 src0_sel:WORD_0 src1_sel:DWORD
	v_cndmask_b32_e64 v34, v34, v2, s[2:3]
; %bb.91:                               ;   in Loop: Header=BB155_52 Depth=1
	s_or_b64 exec, exec, s[6:7]
	v_and_b32_e32 v27, 0xffff0000, v27
	v_lshlrev_b32_e32 v2, 16, v35
	v_mul_f32_e32 v2, v27, v2
	v_and_b32_e32 v35, 0x7f800000, v2
	v_cmp_ne_u32_e64 s[2:3], s22, v35
                                        ; implicit-def: $vgpr35
	s_and_saveexec_b64 s[6:7], s[2:3]
	s_xor_b64 s[2:3], exec, s[6:7]
; %bb.92:                               ;   in Loop: Header=BB155_52 Depth=1
	v_bfe_u32 v35, v2, 16, 1
	v_add3_u32 v35, v2, v35, s23
                                        ; implicit-def: $vgpr2
; %bb.93:                               ;   in Loop: Header=BB155_52 Depth=1
	s_andn2_saveexec_b64 s[6:7], s[2:3]
; %bb.94:                               ;   in Loop: Header=BB155_52 Depth=1
	v_or_b32_e32 v35, 0x10000, v2
	v_cmp_eq_u32_sdwa s[2:3], v2, v21 src0_sel:WORD_0 src1_sel:DWORD
	v_cndmask_b32_e64 v35, v35, v2, s[2:3]
; %bb.95:                               ;   in Loop: Header=BB155_52 Depth=1
	s_or_b64 exec, exec, s[6:7]
	v_and_b32_e32 v28, 0xffff0000, v28
	v_lshlrev_b32_e32 v2, 16, v3
	v_mul_f32_e32 v2, v28, v2
	v_and_b32_e32 v3, 0x7f800000, v2
	v_cmp_ne_u32_e64 s[2:3], s22, v3
                                        ; implicit-def: $vgpr36
	s_and_saveexec_b64 s[6:7], s[2:3]
	s_xor_b64 s[2:3], exec, s[6:7]
; %bb.96:                               ;   in Loop: Header=BB155_52 Depth=1
	v_bfe_u32 v3, v2, 16, 1
	v_add3_u32 v36, v2, v3, s23
                                        ; implicit-def: $vgpr2
; %bb.97:                               ;   in Loop: Header=BB155_52 Depth=1
	s_andn2_saveexec_b64 s[6:7], s[2:3]
; %bb.98:                               ;   in Loop: Header=BB155_52 Depth=1
	v_or_b32_e32 v3, 0x10000, v2
	v_cmp_eq_u32_sdwa s[2:3], v2, v21 src0_sel:WORD_0 src1_sel:DWORD
	v_cndmask_b32_e64 v36, v3, v2, s[2:3]
; %bb.99:                               ;   in Loop: Header=BB155_52 Depth=1
	s_or_b64 exec, exec, s[6:7]
	v_and_b32_e32 v29, 0xffff0000, v29
	v_lshlrev_b32_e32 v2, 16, v37
	v_mul_f32_e32 v2, v29, v2
	v_and_b32_e32 v3, 0x7f800000, v2
	v_cmp_ne_u32_e64 s[2:3], s22, v3
                                        ; implicit-def: $vgpr37
	s_and_saveexec_b64 s[6:7], s[2:3]
	s_xor_b64 s[2:3], exec, s[6:7]
; %bb.100:                              ;   in Loop: Header=BB155_52 Depth=1
	v_bfe_u32 v3, v2, 16, 1
	v_add3_u32 v37, v2, v3, s23
                                        ; implicit-def: $vgpr2
; %bb.101:                              ;   in Loop: Header=BB155_52 Depth=1
	s_andn2_saveexec_b64 s[6:7], s[2:3]
; %bb.102:                              ;   in Loop: Header=BB155_52 Depth=1
	v_or_b32_e32 v3, 0x10000, v2
	v_cmp_eq_u32_sdwa s[2:3], v2, v21 src0_sel:WORD_0 src1_sel:DWORD
	v_cndmask_b32_e64 v37, v3, v2, s[2:3]
; %bb.103:                              ;   in Loop: Header=BB155_52 Depth=1
	s_or_b64 exec, exec, s[6:7]
	v_and_b32_e32 v30, 0xffff0000, v30
	v_lshlrev_b32_e32 v2, 16, v4
	v_mul_f32_e32 v2, v30, v2
	v_and_b32_e32 v3, 0x7f800000, v2
	v_cmp_ne_u32_e64 s[2:3], s22, v3
                                        ; implicit-def: $vgpr38
	s_and_saveexec_b64 s[6:7], s[2:3]
	s_xor_b64 s[2:3], exec, s[6:7]
; %bb.104:                              ;   in Loop: Header=BB155_52 Depth=1
	v_bfe_u32 v3, v2, 16, 1
	v_add3_u32 v38, v2, v3, s23
                                        ; implicit-def: $vgpr2
; %bb.105:                              ;   in Loop: Header=BB155_52 Depth=1
	s_andn2_saveexec_b64 s[6:7], s[2:3]
; %bb.106:                              ;   in Loop: Header=BB155_52 Depth=1
	v_or_b32_e32 v3, 0x10000, v2
	v_cmp_eq_u32_sdwa s[2:3], v2, v21 src0_sel:WORD_0 src1_sel:DWORD
	v_cndmask_b32_e64 v38, v3, v2, s[2:3]
; %bb.107:                              ;   in Loop: Header=BB155_52 Depth=1
	s_or_b64 exec, exec, s[6:7]
	v_and_b32_e32 v31, 0xffff0000, v31
	v_lshlrev_b32_e32 v2, 16, v39
	v_mul_f32_e32 v2, v31, v2
	v_and_b32_e32 v3, 0x7f800000, v2
	v_cmp_ne_u32_e64 s[2:3], s22, v3
                                        ; implicit-def: $vgpr39
	s_and_saveexec_b64 s[6:7], s[2:3]
	s_xor_b64 s[2:3], exec, s[6:7]
; %bb.108:                              ;   in Loop: Header=BB155_52 Depth=1
	v_bfe_u32 v3, v2, 16, 1
	v_add3_u32 v39, v2, v3, s23
                                        ; implicit-def: $vgpr2
; %bb.109:                              ;   in Loop: Header=BB155_52 Depth=1
	s_andn2_saveexec_b64 s[6:7], s[2:3]
; %bb.110:                              ;   in Loop: Header=BB155_52 Depth=1
	v_or_b32_e32 v3, 0x10000, v2
	v_cmp_eq_u32_sdwa s[2:3], v2, v21 src0_sel:WORD_0 src1_sel:DWORD
	v_cndmask_b32_e64 v39, v3, v2, s[2:3]
; %bb.111:                              ;   in Loop: Header=BB155_52 Depth=1
	s_or_b64 exec, exec, s[6:7]
	v_and_b32_e32 v32, 0xffff0000, v32
	v_lshlrev_b32_e32 v2, 16, v5
	v_mul_f32_e32 v2, v32, v2
	v_and_b32_e32 v3, 0x7f800000, v2
	v_cmp_ne_u32_e64 s[2:3], s22, v3
                                        ; implicit-def: $vgpr40
	s_and_saveexec_b64 s[6:7], s[2:3]
	s_xor_b64 s[2:3], exec, s[6:7]
; %bb.112:                              ;   in Loop: Header=BB155_52 Depth=1
	v_bfe_u32 v3, v2, 16, 1
	v_add3_u32 v40, v2, v3, s23
                                        ; implicit-def: $vgpr2
; %bb.113:                              ;   in Loop: Header=BB155_52 Depth=1
	s_andn2_saveexec_b64 s[6:7], s[2:3]
; %bb.114:                              ;   in Loop: Header=BB155_52 Depth=1
	v_or_b32_e32 v3, 0x10000, v2
	v_cmp_eq_u32_sdwa s[2:3], v2, v21 src0_sel:WORD_0 src1_sel:DWORD
	v_cndmask_b32_e64 v40, v3, v2, s[2:3]
; %bb.115:                              ;   in Loop: Header=BB155_52 Depth=1
	s_or_b64 exec, exec, s[6:7]
	v_and_b32_e32 v33, 0xffff0000, v33
	v_lshlrev_b32_e32 v2, 16, v41
	v_mul_f32_e32 v2, v33, v2
	v_and_b32_e32 v3, 0x7f800000, v2
	v_cmp_ne_u32_e64 s[2:3], s22, v3
                                        ; implicit-def: $vgpr41
	s_and_saveexec_b64 s[6:7], s[2:3]
	s_xor_b64 s[2:3], exec, s[6:7]
; %bb.116:                              ;   in Loop: Header=BB155_52 Depth=1
	v_bfe_u32 v3, v2, 16, 1
	v_add3_u32 v41, v2, v3, s23
                                        ; implicit-def: $vgpr2
; %bb.117:                              ;   in Loop: Header=BB155_52 Depth=1
	s_andn2_saveexec_b64 s[6:7], s[2:3]
; %bb.118:                              ;   in Loop: Header=BB155_52 Depth=1
	v_or_b32_e32 v3, 0x10000, v2
	v_cmp_eq_u32_sdwa s[2:3], v2, v21 src0_sel:WORD_0 src1_sel:DWORD
	v_cndmask_b32_e64 v41, v3, v2, s[2:3]
; %bb.119:                              ;   in Loop: Header=BB155_52 Depth=1
	s_or_b64 exec, exec, s[6:7]
	global_load_dwordx4 v[2:5], v[6:7], off offset:1024
	s_waitcnt vmcnt(0)
	v_lshrrev_b32_e32 v7, 16, v2
	v_lshrrev_b32_e32 v43, 16, v3
	;; [unrolled: 1-line block ×4, first 2 shown]
	s_and_saveexec_b64 s[6:7], s[0:1]
	s_cbranch_execz .LBB155_121
; %bb.120:                              ;   in Loop: Header=BB155_52 Depth=1
	v_cmp_gt_i32_e64 s[2:3], s29, v8
	v_add_u32_e32 v44, 1, v8
	v_cndmask_b32_e64 v2, 0, v2, s[2:3]
	v_cmp_gt_i32_e64 s[2:3], s29, v44
	v_add_u32_e32 v44, 2, v8
	v_cndmask_b32_e64 v7, 0, v7, s[2:3]
	;; [unrolled: 3-line block ×7, first 2 shown]
	v_cmp_gt_i32_e64 s[2:3], s29, v44
	v_cndmask_b32_e64 v6, 0, v6, s[2:3]
.LBB155_121:                            ;   in Loop: Header=BB155_52 Depth=1
	s_or_b64 exec, exec, s[6:7]
	v_lshlrev_b32_e32 v2, 16, v2
	v_mul_f32_e32 v44, v26, v2
	v_and_b32_e32 v2, 0x7f800000, v44
	v_cmp_ne_u32_e64 s[2:3], s22, v2
                                        ; implicit-def: $vgpr2
	s_and_saveexec_b64 s[6:7], s[2:3]
	s_xor_b64 s[2:3], exec, s[6:7]
; %bb.122:                              ;   in Loop: Header=BB155_52 Depth=1
	v_bfe_u32 v2, v44, 16, 1
	v_add3_u32 v2, v44, v2, s23
                                        ; implicit-def: $vgpr44
; %bb.123:                              ;   in Loop: Header=BB155_52 Depth=1
	s_andn2_saveexec_b64 s[6:7], s[2:3]
; %bb.124:                              ;   in Loop: Header=BB155_52 Depth=1
	v_or_b32_e32 v2, 0x10000, v44
	v_cmp_eq_u32_sdwa s[2:3], v44, v21 src0_sel:WORD_0 src1_sel:DWORD
	v_cndmask_b32_e64 v2, v2, v44, s[2:3]
; %bb.125:                              ;   in Loop: Header=BB155_52 Depth=1
	s_or_b64 exec, exec, s[6:7]
	v_lshlrev_b32_e32 v7, 16, v7
	v_mul_f32_e32 v44, v27, v7
	v_and_b32_e32 v7, 0x7f800000, v44
	v_cmp_ne_u32_e64 s[2:3], s22, v7
                                        ; implicit-def: $vgpr7
	s_and_saveexec_b64 s[6:7], s[2:3]
	s_xor_b64 s[2:3], exec, s[6:7]
; %bb.126:                              ;   in Loop: Header=BB155_52 Depth=1
	v_bfe_u32 v7, v44, 16, 1
	v_add3_u32 v7, v44, v7, s23
                                        ; implicit-def: $vgpr44
; %bb.127:                              ;   in Loop: Header=BB155_52 Depth=1
	s_andn2_saveexec_b64 s[6:7], s[2:3]
; %bb.128:                              ;   in Loop: Header=BB155_52 Depth=1
	v_or_b32_e32 v7, 0x10000, v44
	v_cmp_eq_u32_sdwa s[2:3], v44, v21 src0_sel:WORD_0 src1_sel:DWORD
	v_cndmask_b32_e64 v7, v7, v44, s[2:3]
; %bb.129:                              ;   in Loop: Header=BB155_52 Depth=1
	s_or_b64 exec, exec, s[6:7]
	v_lshlrev_b32_e32 v3, 16, v3
	v_mul_f32_e32 v44, v28, v3
	v_and_b32_e32 v3, 0x7f800000, v44
	v_cmp_ne_u32_e64 s[2:3], s22, v3
                                        ; implicit-def: $vgpr3
	s_and_saveexec_b64 s[6:7], s[2:3]
	s_xor_b64 s[2:3], exec, s[6:7]
; %bb.130:                              ;   in Loop: Header=BB155_52 Depth=1
	v_bfe_u32 v3, v44, 16, 1
	v_add3_u32 v3, v44, v3, s23
                                        ; implicit-def: $vgpr44
; %bb.131:                              ;   in Loop: Header=BB155_52 Depth=1
	s_andn2_saveexec_b64 s[6:7], s[2:3]
; %bb.132:                              ;   in Loop: Header=BB155_52 Depth=1
	v_or_b32_e32 v3, 0x10000, v44
	v_cmp_eq_u32_sdwa s[2:3], v44, v21 src0_sel:WORD_0 src1_sel:DWORD
	v_cndmask_b32_e64 v3, v3, v44, s[2:3]
; %bb.133:                              ;   in Loop: Header=BB155_52 Depth=1
	s_or_b64 exec, exec, s[6:7]
	v_lshlrev_b32_e32 v43, 16, v43
	v_mul_f32_e32 v44, v29, v43
	v_and_b32_e32 v43, 0x7f800000, v44
	v_cmp_ne_u32_e64 s[2:3], s22, v43
                                        ; implicit-def: $vgpr43
	s_and_saveexec_b64 s[6:7], s[2:3]
	s_xor_b64 s[2:3], exec, s[6:7]
; %bb.134:                              ;   in Loop: Header=BB155_52 Depth=1
	v_bfe_u32 v43, v44, 16, 1
	v_add3_u32 v43, v44, v43, s23
                                        ; implicit-def: $vgpr44
; %bb.135:                              ;   in Loop: Header=BB155_52 Depth=1
	s_andn2_saveexec_b64 s[6:7], s[2:3]
; %bb.136:                              ;   in Loop: Header=BB155_52 Depth=1
	v_or_b32_e32 v43, 0x10000, v44
	v_cmp_eq_u32_sdwa s[2:3], v44, v21 src0_sel:WORD_0 src1_sel:DWORD
	v_cndmask_b32_e64 v43, v43, v44, s[2:3]
; %bb.137:                              ;   in Loop: Header=BB155_52 Depth=1
	s_or_b64 exec, exec, s[6:7]
	v_lshlrev_b32_e32 v4, 16, v4
	v_mul_f32_e32 v44, v30, v4
	v_and_b32_e32 v4, 0x7f800000, v44
	v_cmp_ne_u32_e64 s[2:3], s22, v4
                                        ; implicit-def: $vgpr4
	s_and_saveexec_b64 s[6:7], s[2:3]
	s_xor_b64 s[2:3], exec, s[6:7]
; %bb.138:                              ;   in Loop: Header=BB155_52 Depth=1
	v_bfe_u32 v4, v44, 16, 1
	v_add3_u32 v4, v44, v4, s23
                                        ; implicit-def: $vgpr44
; %bb.139:                              ;   in Loop: Header=BB155_52 Depth=1
	s_andn2_saveexec_b64 s[6:7], s[2:3]
; %bb.140:                              ;   in Loop: Header=BB155_52 Depth=1
	v_or_b32_e32 v4, 0x10000, v44
	v_cmp_eq_u32_sdwa s[2:3], v44, v21 src0_sel:WORD_0 src1_sel:DWORD
	v_cndmask_b32_e64 v4, v4, v44, s[2:3]
; %bb.141:                              ;   in Loop: Header=BB155_52 Depth=1
	s_or_b64 exec, exec, s[6:7]
	v_lshlrev_b32_e32 v42, 16, v42
	v_mul_f32_e32 v44, v31, v42
	v_and_b32_e32 v42, 0x7f800000, v44
	v_cmp_ne_u32_e64 s[2:3], s22, v42
                                        ; implicit-def: $vgpr42
	s_and_saveexec_b64 s[6:7], s[2:3]
	s_xor_b64 s[2:3], exec, s[6:7]
; %bb.142:                              ;   in Loop: Header=BB155_52 Depth=1
	v_bfe_u32 v42, v44, 16, 1
	v_add3_u32 v42, v44, v42, s23
                                        ; implicit-def: $vgpr44
; %bb.143:                              ;   in Loop: Header=BB155_52 Depth=1
	s_andn2_saveexec_b64 s[6:7], s[2:3]
; %bb.144:                              ;   in Loop: Header=BB155_52 Depth=1
	v_or_b32_e32 v42, 0x10000, v44
	v_cmp_eq_u32_sdwa s[2:3], v44, v21 src0_sel:WORD_0 src1_sel:DWORD
	v_cndmask_b32_e64 v42, v42, v44, s[2:3]
; %bb.145:                              ;   in Loop: Header=BB155_52 Depth=1
	s_or_b64 exec, exec, s[6:7]
	v_lshlrev_b32_e32 v5, 16, v5
	v_mul_f32_e32 v44, v32, v5
	v_and_b32_e32 v5, 0x7f800000, v44
	v_cmp_ne_u32_e64 s[2:3], s22, v5
                                        ; implicit-def: $vgpr5
	s_and_saveexec_b64 s[6:7], s[2:3]
	s_xor_b64 s[2:3], exec, s[6:7]
; %bb.146:                              ;   in Loop: Header=BB155_52 Depth=1
	v_bfe_u32 v5, v44, 16, 1
	v_add3_u32 v5, v44, v5, s23
                                        ; implicit-def: $vgpr44
; %bb.147:                              ;   in Loop: Header=BB155_52 Depth=1
	s_andn2_saveexec_b64 s[6:7], s[2:3]
; %bb.148:                              ;   in Loop: Header=BB155_52 Depth=1
	v_or_b32_e32 v5, 0x10000, v44
	v_cmp_eq_u32_sdwa s[2:3], v44, v21 src0_sel:WORD_0 src1_sel:DWORD
	v_cndmask_b32_e64 v5, v5, v44, s[2:3]
; %bb.149:                              ;   in Loop: Header=BB155_52 Depth=1
	s_or_b64 exec, exec, s[6:7]
	v_lshlrev_b32_e32 v6, 16, v6
	v_mul_f32_e32 v44, v33, v6
	v_and_b32_e32 v6, 0x7f800000, v44
	v_cmp_ne_u32_e64 s[2:3], s22, v6
                                        ; implicit-def: $vgpr6
	s_and_saveexec_b64 s[6:7], s[2:3]
	s_xor_b64 s[2:3], exec, s[6:7]
; %bb.150:                              ;   in Loop: Header=BB155_52 Depth=1
	v_bfe_u32 v6, v44, 16, 1
	v_add3_u32 v6, v44, v6, s23
                                        ; implicit-def: $vgpr44
; %bb.151:                              ;   in Loop: Header=BB155_52 Depth=1
	s_andn2_saveexec_b64 s[6:7], s[2:3]
; %bb.152:                              ;   in Loop: Header=BB155_52 Depth=1
	v_or_b32_e32 v6, 0x10000, v44
	v_cmp_eq_u32_sdwa s[2:3], v44, v21 src0_sel:WORD_0 src1_sel:DWORD
	v_cndmask_b32_e64 v6, v6, v44, s[2:3]
; %bb.153:                              ;   in Loop: Header=BB155_52 Depth=1
	s_or_b64 exec, exec, s[6:7]
	v_and_b32_e32 v45, 0xffff0000, v41
	v_and_b32_e32 v44, 0xffff0000, v39
	;; [unrolled: 1-line block ×8, first 2 shown]
	v_pk_add_f32 v[34:35], v[34:35], v[40:41]
	v_pk_add_f32 v[36:37], v[38:39], v[44:45]
	v_add_f32_e32 v34, v34, v35
	v_add_f32_e32 v34, v34, v36
	;; [unrolled: 1-line block ×3, first 2 shown]
	v_and_b32_e32 v37, 0xffff0000, v43
	v_and_b32_e32 v36, 0xffff0000, v7
	;; [unrolled: 1-line block ×4, first 2 shown]
	v_add_f32_e32 v10, v10, v34
	v_and_b32_e32 v35, 0xffff0000, v6
	v_and_b32_e32 v34, 0xffff0000, v42
	;; [unrolled: 1-line block ×4, first 2 shown]
	v_pk_add_f32 v[2:3], v[2:3], v[36:37]
	v_pk_add_f32 v[4:5], v[4:5], v[34:35]
	v_add_f32_e32 v2, v2, v3
	v_add_f32_e32 v2, v2, v4
	;; [unrolled: 1-line block ×4, first 2 shown]
	s_and_saveexec_b64 s[6:7], vcc
	s_cbranch_execz .LBB155_50
; %bb.154:                              ;   in Loop: Header=BB155_52 Depth=1
	v_add_co_u32_e64 v2, s[2:3], v9, v24
	v_addc_co_u32_e64 v3, s[2:3], 0, v25, s[2:3]
	global_load_dwordx4 v[2:5], v[2:3], off
	s_waitcnt vmcnt(0)
	v_lshrrev_b32_e32 v7, 16, v2
	v_lshrrev_b32_e32 v25, 16, v3
	v_lshrrev_b32_e32 v9, 16, v4
	v_lshrrev_b32_e32 v6, 16, v5
	s_and_saveexec_b64 s[2:3], s[0:1]
	s_cbranch_execz .LBB155_156
; %bb.155:                              ;   in Loop: Header=BB155_52 Depth=1
	v_cmp_gt_i32_e64 s[0:1], s29, v8
	v_add_u32_e32 v34, 1, v8
	v_cndmask_b32_e64 v2, 0, v2, s[0:1]
	v_cmp_gt_i32_e64 s[0:1], s29, v34
	v_add_u32_e32 v34, 2, v8
	v_cndmask_b32_e64 v7, 0, v7, s[0:1]
	;; [unrolled: 3-line block ×7, first 2 shown]
	v_cmp_gt_i32_e64 s[0:1], s29, v8
	v_cndmask_b32_e64 v6, 0, v6, s[0:1]
.LBB155_156:                            ;   in Loop: Header=BB155_52 Depth=1
	s_or_b64 exec, exec, s[2:3]
	v_lshlrev_b32_e32 v2, 16, v2
	v_mul_f32_e32 v8, v26, v2
	v_and_b32_e32 v2, 0x7f800000, v8
	v_cmp_ne_u32_e64 s[0:1], s22, v2
                                        ; implicit-def: $vgpr2
	s_and_saveexec_b64 s[2:3], s[0:1]
	s_xor_b64 s[0:1], exec, s[2:3]
; %bb.157:                              ;   in Loop: Header=BB155_52 Depth=1
	v_bfe_u32 v2, v8, 16, 1
	v_add3_u32 v2, v8, v2, s23
                                        ; implicit-def: $vgpr8
; %bb.158:                              ;   in Loop: Header=BB155_52 Depth=1
	s_andn2_saveexec_b64 s[2:3], s[0:1]
; %bb.159:                              ;   in Loop: Header=BB155_52 Depth=1
	v_or_b32_e32 v2, 0x10000, v8
	v_cmp_eq_u32_sdwa s[0:1], v8, v21 src0_sel:WORD_0 src1_sel:DWORD
	v_cndmask_b32_e64 v2, v2, v8, s[0:1]
; %bb.160:                              ;   in Loop: Header=BB155_52 Depth=1
	s_or_b64 exec, exec, s[2:3]
	v_lshlrev_b32_e32 v7, 16, v7
	v_mul_f32_e32 v8, v27, v7
	v_and_b32_e32 v7, 0x7f800000, v8
	v_cmp_ne_u32_e64 s[0:1], s22, v7
                                        ; implicit-def: $vgpr7
	s_and_saveexec_b64 s[2:3], s[0:1]
	s_xor_b64 s[0:1], exec, s[2:3]
; %bb.161:                              ;   in Loop: Header=BB155_52 Depth=1
	v_bfe_u32 v7, v8, 16, 1
	v_add3_u32 v7, v8, v7, s23
                                        ; implicit-def: $vgpr8
; %bb.162:                              ;   in Loop: Header=BB155_52 Depth=1
	s_andn2_saveexec_b64 s[2:3], s[0:1]
; %bb.163:                              ;   in Loop: Header=BB155_52 Depth=1
	v_or_b32_e32 v7, 0x10000, v8
	v_cmp_eq_u32_sdwa s[0:1], v8, v21 src0_sel:WORD_0 src1_sel:DWORD
	v_cndmask_b32_e64 v7, v7, v8, s[0:1]
; %bb.164:                              ;   in Loop: Header=BB155_52 Depth=1
	s_or_b64 exec, exec, s[2:3]
	v_lshlrev_b32_e32 v3, 16, v3
	v_mul_f32_e32 v8, v28, v3
	v_and_b32_e32 v3, 0x7f800000, v8
	v_cmp_ne_u32_e64 s[0:1], s22, v3
                                        ; implicit-def: $vgpr3
	s_and_saveexec_b64 s[2:3], s[0:1]
	s_xor_b64 s[0:1], exec, s[2:3]
; %bb.165:                              ;   in Loop: Header=BB155_52 Depth=1
	v_bfe_u32 v3, v8, 16, 1
	v_add3_u32 v3, v8, v3, s23
                                        ; implicit-def: $vgpr8
; %bb.166:                              ;   in Loop: Header=BB155_52 Depth=1
	s_andn2_saveexec_b64 s[2:3], s[0:1]
; %bb.167:                              ;   in Loop: Header=BB155_52 Depth=1
	v_or_b32_e32 v3, 0x10000, v8
	v_cmp_eq_u32_sdwa s[0:1], v8, v21 src0_sel:WORD_0 src1_sel:DWORD
	v_cndmask_b32_e64 v3, v3, v8, s[0:1]
; %bb.168:                              ;   in Loop: Header=BB155_52 Depth=1
	s_or_b64 exec, exec, s[2:3]
	v_lshlrev_b32_e32 v8, 16, v25
	v_mul_f32_e32 v25, v29, v8
	v_and_b32_e32 v8, 0x7f800000, v25
	v_cmp_ne_u32_e64 s[0:1], s22, v8
                                        ; implicit-def: $vgpr8
	s_and_saveexec_b64 s[2:3], s[0:1]
	s_xor_b64 s[0:1], exec, s[2:3]
; %bb.169:                              ;   in Loop: Header=BB155_52 Depth=1
	v_bfe_u32 v8, v25, 16, 1
	v_add3_u32 v8, v25, v8, s23
                                        ; implicit-def: $vgpr25
; %bb.170:                              ;   in Loop: Header=BB155_52 Depth=1
	s_andn2_saveexec_b64 s[2:3], s[0:1]
; %bb.171:                              ;   in Loop: Header=BB155_52 Depth=1
	v_or_b32_e32 v8, 0x10000, v25
	v_cmp_eq_u32_sdwa s[0:1], v25, v21 src0_sel:WORD_0 src1_sel:DWORD
	v_cndmask_b32_e64 v8, v8, v25, s[0:1]
; %bb.172:                              ;   in Loop: Header=BB155_52 Depth=1
	s_or_b64 exec, exec, s[2:3]
	v_lshlrev_b32_e32 v4, 16, v4
	v_mul_f32_e32 v25, v30, v4
	v_and_b32_e32 v4, 0x7f800000, v25
	v_cmp_ne_u32_e64 s[0:1], s22, v4
                                        ; implicit-def: $vgpr4
	s_and_saveexec_b64 s[2:3], s[0:1]
	s_xor_b64 s[0:1], exec, s[2:3]
; %bb.173:                              ;   in Loop: Header=BB155_52 Depth=1
	v_bfe_u32 v4, v25, 16, 1
	v_add3_u32 v4, v25, v4, s23
                                        ; implicit-def: $vgpr25
; %bb.174:                              ;   in Loop: Header=BB155_52 Depth=1
	s_andn2_saveexec_b64 s[2:3], s[0:1]
; %bb.175:                              ;   in Loop: Header=BB155_52 Depth=1
	v_or_b32_e32 v4, 0x10000, v25
	v_cmp_eq_u32_sdwa s[0:1], v25, v21 src0_sel:WORD_0 src1_sel:DWORD
	v_cndmask_b32_e64 v4, v4, v25, s[0:1]
; %bb.176:                              ;   in Loop: Header=BB155_52 Depth=1
	s_or_b64 exec, exec, s[2:3]
	v_lshlrev_b32_e32 v9, 16, v9
	v_mul_f32_e32 v25, v31, v9
	v_and_b32_e32 v9, 0x7f800000, v25
	v_cmp_ne_u32_e64 s[0:1], s22, v9
                                        ; implicit-def: $vgpr9
	s_and_saveexec_b64 s[2:3], s[0:1]
	s_xor_b64 s[0:1], exec, s[2:3]
; %bb.177:                              ;   in Loop: Header=BB155_52 Depth=1
	v_bfe_u32 v9, v25, 16, 1
	v_add3_u32 v9, v25, v9, s23
                                        ; implicit-def: $vgpr25
; %bb.178:                              ;   in Loop: Header=BB155_52 Depth=1
	s_andn2_saveexec_b64 s[2:3], s[0:1]
; %bb.179:                              ;   in Loop: Header=BB155_52 Depth=1
	v_or_b32_e32 v9, 0x10000, v25
	v_cmp_eq_u32_sdwa s[0:1], v25, v21 src0_sel:WORD_0 src1_sel:DWORD
	v_cndmask_b32_e64 v9, v9, v25, s[0:1]
; %bb.180:                              ;   in Loop: Header=BB155_52 Depth=1
	s_or_b64 exec, exec, s[2:3]
	v_lshlrev_b32_e32 v5, 16, v5
	v_mul_f32_e32 v25, v32, v5
	v_and_b32_e32 v5, 0x7f800000, v25
	v_cmp_ne_u32_e64 s[0:1], s22, v5
                                        ; implicit-def: $vgpr5
	s_and_saveexec_b64 s[2:3], s[0:1]
	s_xor_b64 s[0:1], exec, s[2:3]
; %bb.181:                              ;   in Loop: Header=BB155_52 Depth=1
	v_bfe_u32 v5, v25, 16, 1
	v_add3_u32 v5, v25, v5, s23
                                        ; implicit-def: $vgpr25
; %bb.182:                              ;   in Loop: Header=BB155_52 Depth=1
	s_andn2_saveexec_b64 s[2:3], s[0:1]
; %bb.183:                              ;   in Loop: Header=BB155_52 Depth=1
	v_or_b32_e32 v5, 0x10000, v25
	v_cmp_eq_u32_sdwa s[0:1], v25, v21 src0_sel:WORD_0 src1_sel:DWORD
	v_cndmask_b32_e64 v5, v5, v25, s[0:1]
; %bb.184:                              ;   in Loop: Header=BB155_52 Depth=1
	s_or_b64 exec, exec, s[2:3]
	v_lshlrev_b32_e32 v6, 16, v6
	v_mul_f32_e32 v6, v33, v6
	v_and_b32_e32 v25, 0x7f800000, v6
	v_cmp_ne_u32_e64 s[0:1], s22, v25
                                        ; implicit-def: $vgpr25
	s_and_saveexec_b64 s[2:3], s[0:1]
	s_xor_b64 s[0:1], exec, s[2:3]
; %bb.185:                              ;   in Loop: Header=BB155_52 Depth=1
	v_bfe_u32 v25, v6, 16, 1
	v_add3_u32 v25, v6, v25, s23
                                        ; implicit-def: $vgpr6
; %bb.186:                              ;   in Loop: Header=BB155_52 Depth=1
	s_andn2_saveexec_b64 s[2:3], s[0:1]
	s_cbranch_execz .LBB155_49
; %bb.187:                              ;   in Loop: Header=BB155_52 Depth=1
	v_or_b32_e32 v25, 0x10000, v6
	v_cmp_eq_u32_sdwa s[0:1], v6, v21 src0_sel:WORD_0 src1_sel:DWORD
	v_cndmask_b32_e64 v25, v25, v6, s[0:1]
	s_branch .LBB155_49
.LBB155_188:
	s_or_b64 exec, exec, s[12:13]
.LBB155_189:
	s_or_b64 exec, exec, s[14:15]
	ds_bpermute_b32 v2, v13, v10
	ds_bpermute_b32 v3, v13, v11
	;; [unrolled: 1-line block ×3, first 2 shown]
	s_waitcnt lgkmcnt(0)
	s_barrier
	v_pk_add_f32 v[4:5], v[10:11], v[2:3]
	v_add_f32_e32 v2, v12, v1
	v_and_b32_e32 v1, 0x3c0, v0
	v_cmp_eq_u32_e32 vcc, 64, v1
	s_and_saveexec_b64 s[2:3], vcc
	s_cbranch_execz .LBB155_194
; %bb.190:
	v_cmp_eq_u32_e32 vcc, 0, v18
	s_and_saveexec_b64 s[0:1], vcc
	s_cbranch_execz .LBB155_192
; %bb.191:
	v_mov_b32_e32 v1, 0xb0
	v_lshl_add_u32 v1, v19, 2, v1
	ds_write2_b32 v1, v4, v5 offset1:32
.LBB155_192:
	s_or_b64 exec, exec, s[0:1]
	v_or_b32_e32 v1, 64, v19
	s_movk_i32 s0, 0x50
	v_cmp_gt_u32_e64 s[0:1], s0, v1
	s_and_b64 s[0:1], vcc, s[0:1]
	s_and_b64 exec, exec, s[0:1]
	s_cbranch_execz .LBB155_194
; %bb.193:
	v_mov_b32_e32 v1, 0xb0
	v_lshl_add_u32 v1, v19, 2, v1
	ds_write_b32 v1, v2 offset:256
.LBB155_194:
	s_or_b64 exec, exec, s[2:3]
	v_cmp_gt_u32_e32 vcc, 64, v0
	v_cmp_lt_u32_e64 s[0:1], 63, v0
	s_waitcnt lgkmcnt(0)
	s_barrier
	s_and_saveexec_b64 s[2:3], s[0:1]
	s_xor_b64 s[0:1], exec, s[2:3]
	s_or_saveexec_b64 s[4:5], s[0:1]
	v_lshrrev_b32_e32 v3, 1, v0
	s_xor_b64 exec, exec, s[4:5]
	s_cbranch_execz .LBB155_202
; %bb.195:
	v_cmp_eq_u32_e64 s[0:1], 0, v18
	s_and_saveexec_b64 s[2:3], s[0:1]
	s_cbranch_execz .LBB155_197
; %bb.196:
	v_mov_b32_e32 v0, 0xb0
	v_lshl_add_u32 v0, v3, 2, v0
	ds_read_b32 v0, v0
	s_waitcnt lgkmcnt(0)
	v_add_f32_e32 v4, v4, v0
.LBB155_197:
	s_or_b64 exec, exec, s[2:3]
	s_and_saveexec_b64 s[2:3], s[0:1]
	s_cbranch_execz .LBB155_199
; %bb.198:
	v_mov_b32_e32 v0, 0xb0
	v_lshl_add_u32 v0, v3, 2, v0
	ds_read_b32 v0, v0 offset:128
	s_waitcnt lgkmcnt(0)
	v_add_f32_e32 v5, v5, v0
.LBB155_199:
	s_or_b64 exec, exec, s[2:3]
	v_or_b32_e32 v0, 64, v3
	s_movk_i32 s2, 0x50
	v_cmp_gt_u32_e64 s[2:3], s2, v0
	s_and_b64 s[2:3], s[0:1], s[2:3]
	s_and_saveexec_b64 s[0:1], s[2:3]
	s_cbranch_execz .LBB155_201
; %bb.200:
	v_mov_b32_e32 v0, 0xb0
	v_lshl_add_u32 v0, v3, 2, v0
	ds_read_b32 v0, v0 offset:256
	s_waitcnt lgkmcnt(0)
	v_add_f32_e32 v2, v2, v0
.LBB155_201:
	s_or_b64 exec, exec, s[0:1]
.LBB155_202:
	s_or_b64 exec, exec, s[4:5]
	s_barrier
	s_and_saveexec_b64 s[0:1], vcc
	s_cbranch_execz .LBB155_219
; %bb.203:
	s_mul_i32 s0, s10, 0x50
	s_ashr_i32 s1, s0, 31
	s_lshl_b64 s[0:1], s[0:1], 1
	s_add_u32 s2, s26, s0
	s_mul_i32 s0, s16, s24
	s_addc_u32 s3, s27, s1
	s_ashr_i32 s1, s0, 31
	s_lshl_b64 s[0:1], s[0:1], 1
	s_add_u32 s2, s2, s0
	s_mul_i32 s0, s8, 0x50
	s_addc_u32 s3, s3, s1
	s_ashr_i32 s1, s0, 31
	s_lshl_b64 s[0:1], s[0:1], 1
	s_add_u32 s2, s2, s0
	s_addc_u32 s3, s3, s1
	v_cmp_eq_u32_e32 vcc, 0, v18
	s_and_saveexec_b64 s[4:5], vcc
	s_cbranch_execz .LBB155_213
; %bb.204:
	s_mov_b32 s0, 0x7f800000
	v_and_b32_e32 v0, 0x7f800000, v4
	v_cmp_ne_u32_e64 s[0:1], s0, v0
                                        ; implicit-def: $vgpr6
	s_and_saveexec_b64 s[6:7], s[0:1]
	s_xor_b64 s[0:1], exec, s[6:7]
; %bb.205:
	v_bfe_u32 v0, v4, 16, 1
	s_movk_i32 s6, 0x7fff
	v_add3_u32 v6, v4, v0, s6
; %bb.206:
	s_andn2_saveexec_b64 s[6:7], s[0:1]
; %bb.207:
	v_mov_b32_e32 v0, 0
	v_or_b32_e32 v1, 0x10000, v4
	v_cmp_eq_u32_sdwa s[0:1], v4, v0 src0_sel:WORD_0 src1_sel:DWORD
	v_cndmask_b32_e64 v6, v1, v4, s[0:1]
; %bb.208:
	s_or_b64 exec, exec, s[6:7]
	v_lshlrev_b32_e32 v4, 1, v3
	v_mov_b32_e32 v1, s3
	v_add_co_u32_e64 v0, s[0:1], s2, v4
	v_addc_co_u32_e64 v1, s[0:1], 0, v1, s[0:1]
	global_store_short_d16_hi v4, v6, s[2:3]
	s_mov_b32 s0, 0x7f800000
	v_and_b32_e32 v4, 0x7f800000, v5
	v_cmp_ne_u32_e64 s[0:1], s0, v4
                                        ; implicit-def: $vgpr7
	s_and_saveexec_b64 s[6:7], s[0:1]
	s_xor_b64 s[0:1], exec, s[6:7]
; %bb.209:
	v_bfe_u32 v4, v5, 16, 1
	s_movk_i32 s6, 0x7fff
	v_add3_u32 v7, v5, v4, s6
                                        ; implicit-def: $vgpr4_vgpr5_vgpr6
; %bb.210:
	s_andn2_saveexec_b64 s[6:7], s[0:1]
; %bb.211:
	v_mov_b32_e32 v4, 0
	v_or_b32_e32 v6, 0x10000, v5
	v_cmp_eq_u32_sdwa s[0:1], v5, v4 src0_sel:WORD_0 src1_sel:DWORD
	v_cndmask_b32_e64 v7, v6, v5, s[0:1]
; %bb.212:
	s_or_b64 exec, exec, s[6:7]
	global_store_short_d16_hi v[0:1], v7, off offset:64
.LBB155_213:
	s_or_b64 exec, exec, s[4:5]
	v_or_b32_e32 v0, 64, v3
	s_movk_i32 s0, 0x50
	v_cmp_gt_u32_e64 s[0:1], s0, v0
	s_and_b64 s[0:1], vcc, s[0:1]
	s_and_b64 exec, exec, s[0:1]
	s_cbranch_execz .LBB155_219
; %bb.214:
	s_mov_b32 s0, 0x7f800000
	v_and_b32_e32 v0, 0x7f800000, v2
	v_cmp_ne_u32_e32 vcc, s0, v0
                                        ; implicit-def: $vgpr0
	s_and_saveexec_b64 s[0:1], vcc
	s_xor_b64 s[0:1], exec, s[0:1]
; %bb.215:
	v_bfe_u32 v0, v2, 16, 1
	s_movk_i32 s4, 0x7fff
	v_add3_u32 v0, v2, v0, s4
                                        ; implicit-def: $vgpr2
; %bb.216:
	s_andn2_saveexec_b64 s[0:1], s[0:1]
; %bb.217:
	v_mov_b32_e32 v0, 0
	v_or_b32_e32 v1, 0x10000, v2
	v_cmp_eq_u32_sdwa vcc, v2, v0 src0_sel:WORD_0 src1_sel:DWORD
	v_cndmask_b32_e32 v0, v1, v2, vcc
; %bb.218:
	s_or_b64 exec, exec, s[0:1]
	v_lshlrev_b32_e32 v1, 1, v3
	global_store_short_d16_hi v1, v0, s[2:3] offset:128
.LBB155_219:
	s_endpgm
	.section	.rodata,"a",@progbits
	.p2align	6, 0x0
	.amdhsa_kernel _ZN4vllm25paged_attention_v2_kernelI14__hip_bfloat16S1_Li80ELi16ELi128ELNS_18Fp8KVCacheDataTypeE0ELb1ELi512EEEvPfS3_PT_PKS4_PKT0_SA_ifPKiSC_iPKfiiiSE_SE_iiiii
		.amdhsa_group_segment_fixed_size 176
		.amdhsa_private_segment_fixed_size 0
		.amdhsa_kernarg_size 400
		.amdhsa_user_sgpr_count 6
		.amdhsa_user_sgpr_private_segment_buffer 1
		.amdhsa_user_sgpr_dispatch_ptr 0
		.amdhsa_user_sgpr_queue_ptr 0
		.amdhsa_user_sgpr_kernarg_segment_ptr 1
		.amdhsa_user_sgpr_dispatch_id 0
		.amdhsa_user_sgpr_flat_scratch_init 0
		.amdhsa_user_sgpr_kernarg_preload_length 0
		.amdhsa_user_sgpr_kernarg_preload_offset 0
		.amdhsa_user_sgpr_private_segment_size 0
		.amdhsa_uses_dynamic_stack 0
		.amdhsa_system_sgpr_private_segment_wavefront_offset 0
		.amdhsa_system_sgpr_workgroup_id_x 1
		.amdhsa_system_sgpr_workgroup_id_y 1
		.amdhsa_system_sgpr_workgroup_id_z 1
		.amdhsa_system_sgpr_workgroup_info 0
		.amdhsa_system_vgpr_workitem_id 0
		.amdhsa_next_free_vgpr 63
		.amdhsa_next_free_sgpr 52
		.amdhsa_accum_offset 64
		.amdhsa_reserve_vcc 1
		.amdhsa_reserve_flat_scratch 0
		.amdhsa_float_round_mode_32 0
		.amdhsa_float_round_mode_16_64 0
		.amdhsa_float_denorm_mode_32 3
		.amdhsa_float_denorm_mode_16_64 3
		.amdhsa_dx10_clamp 1
		.amdhsa_ieee_mode 1
		.amdhsa_fp16_overflow 0
		.amdhsa_tg_split 0
		.amdhsa_exception_fp_ieee_invalid_op 0
		.amdhsa_exception_fp_denorm_src 0
		.amdhsa_exception_fp_ieee_div_zero 0
		.amdhsa_exception_fp_ieee_overflow 0
		.amdhsa_exception_fp_ieee_underflow 0
		.amdhsa_exception_fp_ieee_inexact 0
		.amdhsa_exception_int_div_zero 0
	.end_amdhsa_kernel
	.section	.text._ZN4vllm25paged_attention_v2_kernelI14__hip_bfloat16S1_Li80ELi16ELi128ELNS_18Fp8KVCacheDataTypeE0ELb1ELi512EEEvPfS3_PT_PKS4_PKT0_SA_ifPKiSC_iPKfiiiSE_SE_iiiii,"axG",@progbits,_ZN4vllm25paged_attention_v2_kernelI14__hip_bfloat16S1_Li80ELi16ELi128ELNS_18Fp8KVCacheDataTypeE0ELb1ELi512EEEvPfS3_PT_PKS4_PKT0_SA_ifPKiSC_iPKfiiiSE_SE_iiiii,comdat
.Lfunc_end155:
	.size	_ZN4vllm25paged_attention_v2_kernelI14__hip_bfloat16S1_Li80ELi16ELi128ELNS_18Fp8KVCacheDataTypeE0ELb1ELi512EEEvPfS3_PT_PKS4_PKT0_SA_ifPKiSC_iPKfiiiSE_SE_iiiii, .Lfunc_end155-_ZN4vllm25paged_attention_v2_kernelI14__hip_bfloat16S1_Li80ELi16ELi128ELNS_18Fp8KVCacheDataTypeE0ELb1ELi512EEEvPfS3_PT_PKS4_PKT0_SA_ifPKiSC_iPKfiiiSE_SE_iiiii
                                        ; -- End function
	.section	.AMDGPU.csdata,"",@progbits
; Kernel info:
; codeLenInByte = 8464
; NumSgprs: 56
; NumVgprs: 63
; NumAgprs: 0
; TotalNumVgprs: 63
; ScratchSize: 0
; MemoryBound: 0
; FloatMode: 240
; IeeeMode: 1
; LDSByteSize: 176 bytes/workgroup (compile time only)
; SGPRBlocks: 6
; VGPRBlocks: 7
; NumSGPRsForWavesPerEU: 56
; NumVGPRsForWavesPerEU: 63
; AccumOffset: 64
; Occupancy: 8
; WaveLimiterHint : 1
; COMPUTE_PGM_RSRC2:SCRATCH_EN: 0
; COMPUTE_PGM_RSRC2:USER_SGPR: 6
; COMPUTE_PGM_RSRC2:TRAP_HANDLER: 0
; COMPUTE_PGM_RSRC2:TGID_X_EN: 1
; COMPUTE_PGM_RSRC2:TGID_Y_EN: 1
; COMPUTE_PGM_RSRC2:TGID_Z_EN: 1
; COMPUTE_PGM_RSRC2:TIDIG_COMP_CNT: 0
; COMPUTE_PGM_RSRC3_GFX90A:ACCUM_OFFSET: 15
; COMPUTE_PGM_RSRC3_GFX90A:TG_SPLIT: 0
	.section	.text._ZN4vllm25paged_attention_v2_kernelI14__hip_bfloat16S1_Li96ELi16ELi128ELNS_18Fp8KVCacheDataTypeE0ELb1ELi512EEEvPfS3_PT_PKS4_PKT0_SA_ifPKiSC_iPKfiiiSE_SE_iiiii,"axG",@progbits,_ZN4vllm25paged_attention_v2_kernelI14__hip_bfloat16S1_Li96ELi16ELi128ELNS_18Fp8KVCacheDataTypeE0ELb1ELi512EEEvPfS3_PT_PKS4_PKT0_SA_ifPKiSC_iPKfiiiSE_SE_iiiii,comdat
	.protected	_ZN4vllm25paged_attention_v2_kernelI14__hip_bfloat16S1_Li96ELi16ELi128ELNS_18Fp8KVCacheDataTypeE0ELb1ELi512EEEvPfS3_PT_PKS4_PKT0_SA_ifPKiSC_iPKfiiiSE_SE_iiiii ; -- Begin function _ZN4vllm25paged_attention_v2_kernelI14__hip_bfloat16S1_Li96ELi16ELi128ELNS_18Fp8KVCacheDataTypeE0ELb1ELi512EEEvPfS3_PT_PKS4_PKT0_SA_ifPKiSC_iPKfiiiSE_SE_iiiii
	.globl	_ZN4vllm25paged_attention_v2_kernelI14__hip_bfloat16S1_Li96ELi16ELi128ELNS_18Fp8KVCacheDataTypeE0ELb1ELi512EEEvPfS3_PT_PKS4_PKT0_SA_ifPKiSC_iPKfiiiSE_SE_iiiii
	.p2align	8
	.type	_ZN4vllm25paged_attention_v2_kernelI14__hip_bfloat16S1_Li96ELi16ELi128ELNS_18Fp8KVCacheDataTypeE0ELb1ELi512EEEvPfS3_PT_PKS4_PKT0_SA_ifPKiSC_iPKfiiiSE_SE_iiiii,@function
_ZN4vllm25paged_attention_v2_kernelI14__hip_bfloat16S1_Li96ELi16ELi128ELNS_18Fp8KVCacheDataTypeE0ELb1ELi512EEEvPfS3_PT_PKS4_PKT0_SA_ifPKiSC_iPKfiiiSE_SE_iiiii: ; @_ZN4vllm25paged_attention_v2_kernelI14__hip_bfloat16S1_Li96ELi16ELi128ELNS_18Fp8KVCacheDataTypeE0ELb1ELi512EEEvPfS3_PT_PKS4_PKT0_SA_ifPKiSC_iPKfiiiSE_SE_iiiii
; %bb.0:
	s_load_dwordx2 s[0:1], s[4:5], 0x40
	s_mov_b32 s24, s7
	s_ashr_i32 s25, s7, 31
	s_lshl_b64 s[2:3], s[24:25], 2
	s_waitcnt lgkmcnt(0)
	s_add_u32 s0, s0, s2
	s_addc_u32 s1, s1, s3
	s_load_dword s33, s[0:1], 0x0
	s_lshl_b32 s9, s8, 9
	s_waitcnt lgkmcnt(0)
	s_cmp_ge_i32 s9, s33
	s_cbranch_scc1 .LBB156_210
; %bb.1:
	s_load_dword s25, s[4:5], 0x90
	s_load_dwordx2 s[38:39], s[4:5], 0x30
	s_mov_b32 s49, 0
	s_waitcnt lgkmcnt(0)
	s_abs_i32 s2, s25
	s_abs_i32 s0, s38
	v_cvt_f32_u32_e32 v1, s0
	s_sub_i32 s3, 0, s0
	s_xor_b32 s1, s25, s38
	s_ashr_i32 s1, s1, 31
	v_rcp_iflag_f32_e32 v1, v1
	v_mul_f32_e32 v1, 0x4f7ffffe, v1
	v_cvt_u32_f32_e32 v1, v1
	v_readfirstlane_b32 s7, v1
	s_mul_i32 s3, s3, s7
	s_mul_hi_u32 s3, s7, s3
	s_add_i32 s7, s7, s3
	s_mul_hi_u32 s3, s2, s7
	s_mul_i32 s7, s3, s0
	s_sub_i32 s2, s2, s7
	s_add_i32 s10, s3, 1
	s_sub_i32 s7, s2, s0
	s_cmp_ge_u32 s2, s0
	s_cselect_b32 s3, s10, s3
	s_cselect_b32 s2, s7, s2
	s_add_i32 s7, s3, 1
	s_cmp_ge_u32 s2, s0
	s_cselect_b32 s0, s7, s3
	s_xor_b32 s0, s0, s1
	s_sub_i32 s11, s0, s1
	s_abs_i32 s2, s11
	v_cvt_f32_u32_e32 v1, s2
	s_load_dwordx2 s[0:1], s[4:5], 0x50
	s_sub_i32 s7, 0, s2
	s_abs_i32 s3, s6
	v_rcp_iflag_f32_e32 v1, v1
	v_mul_f32_e32 v1, 0x4f7ffffe, v1
	v_cvt_u32_f32_e32 v1, v1
	v_readfirstlane_b32 s10, v1
	s_mul_i32 s7, s7, s10
	s_mul_hi_u32 s7, s10, s7
	s_add_i32 s10, s10, s7
	s_waitcnt lgkmcnt(0)
	s_cmp_eq_u64 s[0:1], 0
	s_mul_hi_u32 s10, s3, s10
	s_cbranch_scc1 .LBB156_3
; %bb.2:
	s_ashr_i32 s7, s6, 31
	s_lshl_b64 s[12:13], s[6:7], 2
	s_add_u32 s0, s0, s12
	s_addc_u32 s1, s1, s13
	s_load_dword s49, s[0:1], 0x0
.LBB156_3:
	s_load_dwordx4 s[12:15], s[4:5], 0x58
	s_ashr_i32 s7, s6, 31
	s_ashr_i32 s11, s11, 31
	v_and_b32_e32 v2, 3, v0
	s_mul_i32 s26, s6, 0x60
	v_cmp_gt_u32_e32 vcc, 48, v0
	s_and_saveexec_b64 s[0:1], vcc
	s_cbranch_execz .LBB156_5
; %bb.4:
	s_load_dwordx2 s[16:17], s[4:5], 0x18
	s_waitcnt lgkmcnt(0)
	s_mul_i32 s18, s24, s12
	s_ashr_i32 s19, s18, 31
	s_lshl_b64 s[18:19], s[18:19], 1
	v_lshlrev_b32_e32 v1, 2, v0
	s_add_u32 s12, s16, s18
	s_addc_u32 s15, s17, s19
	s_ashr_i32 s27, s26, 31
	s_lshl_b64 s[16:17], s[26:27], 1
	s_add_u32 s16, s12, s16
	s_addc_u32 s17, s15, s17
	global_load_dword v1, v1, s[16:17]
	v_and_b32_e32 v3, 0x3fc, v0
	v_mad_u32_u24 v3, v2, 48, v3
	s_waitcnt vmcnt(0)
	ds_write_b32 v3, v1
.LBB156_5:
	s_or_b64 exec, exec, s[0:1]
	s_mul_i32 s1, s10, s2
	s_sub_i32 s1, s3, s1
	s_xor_b32 s0, s7, s11
	s_add_i32 s3, s10, 1
	s_sub_i32 s7, s1, s2
	s_load_dwordx4 s[16:19], s[4:5], 0x78
	s_cmp_ge_u32 s1, s2
	s_cselect_b32 s3, s3, s10
	s_load_dword s10, s[4:5], 0x88
	s_cselect_b32 s1, s7, s1
	s_add_i32 s7, s3, 1
	s_cmp_ge_u32 s1, s2
	s_cselect_b32 s1, s7, s3
	s_waitcnt lgkmcnt(0)
	s_abs_i32 s27, s19
	v_cvt_f32_u32_e32 v1, s27
	s_xor_b32 s1, s1, s0
	s_sub_i32 s2, s1, s0
	s_sub_i32 s0, 0, s27
	v_rcp_iflag_f32_e32 v1, v1
	s_add_i32 s11, s33, -1
	s_abs_i32 s3, s11
	v_mul_f32_e32 v1, 0x4f7ffffe, v1
	v_cvt_u32_f32_e32 v1, v1
	s_barrier
	v_readfirstlane_b32 s46, v1
	s_mul_i32 s0, s0, s46
	s_mul_hi_u32 s0, s46, s0
	s_add_i32 s46, s46, s0
	s_cmp_lt_i32 s10, 0
	s_mul_hi_u32 s7, s3, s46
	s_cbranch_scc0 .LBB156_7
; %bb.6:
	s_mul_i32 s0, s16, s38
	s_add_i32 s0, s2, s0
	s_mul_i32 s0, s0, s10
	s_sub_i32 s47, 1, s0
	s_mov_b64 s[0:1], 0
	s_branch .LBB156_8
.LBB156_7:
	s_mov_b64 s[0:1], -1
                                        ; implicit-def: $sgpr47
.LBB156_8:
	s_load_dwordx2 s[30:31], s[4:5], 0x38
	s_ashr_i32 s11, s11, 31
	s_andn2_b64 vcc, exec, s[0:1]
	s_ashr_i32 s19, s19, 31
	s_cbranch_vccnz .LBB156_10
; %bb.9:
	s_mul_i32 s0, s25, s16
	s_add_i32 s0, s0, s6
	s_mul_i32 s0, s0, s10
	s_add_i32 s47, s0, 1
.LBB156_10:
	s_load_dword s0, s[4:5], 0x48
	s_load_dwordx2 s[36:37], s[4:5], 0x28
	s_load_dword s12, s[4:5], 0x98
	s_load_dwordx4 s[20:23], s[4:5], 0x0
	s_load_dwordx2 s[28:29], s[4:5], 0x10
	s_mul_i32 s1, s7, s27
	s_waitcnt lgkmcnt(0)
	s_mul_i32 s34, s24, s0
	s_sub_i32 s1, s3, s1
	s_ashr_i32 s35, s34, 31
	s_xor_b32 s0, s11, s19
	s_add_i32 s3, s7, 1
	s_sub_i32 s10, s1, s27
	s_cmp_ge_u32 s1, s27
	s_cselect_b32 s3, s3, s7
	s_cselect_b32 s1, s10, s1
	s_add_i32 s7, s3, 1
	s_cmp_ge_u32 s1, s27
	s_cselect_b32 s1, s7, s3
	s_xor_b32 s1, s1, s0
	s_sub_i32 s48, s1, s0
	s_add_i32 s0, s33, 15
	s_ashr_i32 s1, s0, 31
	s_lshr_b32 s1, s1, 28
	s_add_i32 s0, s0, s1
	s_lshl_b32 s38, s8, 5
	s_ashr_i32 s7, s0, 4
	s_add_i32 s0, s38, 32
	v_lshrrev_b32_e32 v4, 6, v0
	s_min_i32 s16, s0, s7
	v_or_b32_e32 v14, s38, v4
	v_cmp_gt_i32_e64 s[0:1], s16, v14
	v_mov_b32_e32 v10, 0xff7fffff
	s_mul_i32 s14, s2, s14
	v_ashrrev_i32_e32 v15, 31, v14
	v_lshl_add_u32 v1, v4, 4, s9
	v_mbcnt_lo_u32_b32 v5, -1, 0
	s_and_saveexec_b64 s[40:41], s[0:1]
	s_cbranch_execz .LBB156_20
; %bb.11:
	s_load_dwordx2 s[2:3], s[4:5], 0x20
	s_ashr_i32 s15, s14, 31
	s_sub_i32 s50, s48, s17
	s_lshl_b64 s[4:5], s[14:15], 1
	v_bfe_u32 v6, v0, 2, 4
	s_waitcnt lgkmcnt(0)
	s_add_u32 s2, s2, s4
	s_addc_u32 s3, s3, s5
	s_abs_i32 s15, s18
	v_cvt_f32_u32_e32 v8, s15
	v_lshlrev_b32_e32 v3, 4, v6
	v_mov_b32_e32 v7, s3
	v_add_co_u32_e64 v3, s[2:3], s2, v3
	v_rcp_iflag_f32_e32 v10, v8
	v_addc_co_u32_e64 v9, s[2:3], 0, v7, s[2:3]
	v_lshlrev_b32_e32 v7, 2, v0
	v_and_b32_e32 v7, 12, v7
	v_add_co_u32_e64 v7, s[2:3], v3, v7
	v_mul_f32_e32 v3, 0x4f7ffffe, v10
	v_cvt_u32_f32_e32 v3, v3
	s_sub_i32 s4, 0, s15
	v_cmp_eq_u32_e32 vcc, 0, v2
	v_addc_co_u32_e64 v8, s[2:3], 0, v9, s[2:3]
	v_mul_u32_u24_e32 v9, 48, v2
	v_mul_lo_u32 v2, s4, v3
	s_lshl_b64 s[4:5], s[34:35], 2
	v_mul_hi_u32 v2, v3, v2
	s_add_u32 s4, s30, s4
	v_add_u32_e32 v11, v3, v2
	v_lshlrev_b64 v[2:3], 2, v[14:15]
	s_addc_u32 s5, s31, s5
	v_mov_b32_e32 v10, s5
	v_add_co_u32_e64 v2, s[4:5], s4, v2
	v_addc_co_u32_e64 v3, s[4:5], v10, v3, s[4:5]
	v_lshlrev_b32_e32 v10, 2, v6
	v_lshl_or_b32 v10, v4, 6, v10
	v_add_u32_e32 v13, 0xd0, v10
	v_subrev_u32_e32 v10, s33, v6
	v_mbcnt_hi_u32_b32 v17, -1, v5
	v_add_u32_e32 v16, 1, v10
	v_and_b32_e32 v10, 64, v17
	s_mov_b32 s51, s13
	v_cmp_neq_f32_e64 s[2:3], s49, 0
	v_lshl_add_u32 v12, v4, 4, s9
	s_mov_b64 s[42:43], 0
	v_add_u32_e32 v18, 64, v10
	v_xor_b32_e32 v19, 2, v17
	v_xor_b32_e32 v20, 1, v17
	v_mov_b32_e32 v10, 0xff7fffff
	v_mov_b32_e32 v21, v14
	s_branch .LBB156_14
.LBB156_12:                             ;   in Loop: Header=BB156_14 Depth=1
	s_or_b64 exec, exec, s[44:45]
.LBB156_13:                             ;   in Loop: Header=BB156_14 Depth=1
	s_or_b64 exec, exec, s[10:11]
	v_add_co_u32_e64 v2, s[4:5], 8, v2
	v_add_u32_e32 v21, 2, v21
	v_addc_co_u32_e64 v3, s[4:5], 0, v3, s[4:5]
	v_cmp_le_i32_e64 s[4:5], s16, v21
	v_add_u32_e32 v12, 32, v12
	s_or_b64 s[42:43], s[4:5], s[42:43]
	v_add_u32_e32 v13, 0x80, v13
	s_andn2_b64 exec, exec, s[42:43]
	s_cbranch_execz .LBB156_19
.LBB156_14:                             ; =>This Inner Loop Header: Depth=1
	s_waitcnt lgkmcnt(0)
	v_sub_u32_e32 v23, 0, v12
	v_max_i32_e32 v23, v12, v23
	v_mul_hi_u32 v24, v23, s46
	v_mul_lo_u32 v25, v24, s27
	v_sub_u32_e32 v23, v23, v25
	v_add_u32_e32 v25, 1, v24
	v_cmp_le_u32_e64 s[4:5], s27, v23
	v_cndmask_b32_e64 v24, v24, v25, s[4:5]
	v_subrev_u32_e32 v25, s27, v23
	v_cndmask_b32_e64 v23, v23, v25, s[4:5]
	v_ashrrev_i32_e32 v22, 31, v12
	v_add_u32_e32 v25, 1, v24
	v_cmp_le_u32_e64 s[4:5], s27, v23
	v_xor_b32_e32 v22, s19, v22
	v_cndmask_b32_e64 v23, v24, v25, s[4:5]
	v_xor_b32_e32 v23, v23, v22
	v_sub_u32_e32 v22, v23, v22
	v_add_u32_e32 v23, s47, v22
	v_sub_u32_e32 v25, 0, v23
	v_ashrrev_i32_e32 v24, 31, v23
	v_max_i32_e32 v23, v23, v25
	v_mul_hi_u32 v25, v23, v11
	v_mul_lo_u32 v25, v25, s15
	v_sub_u32_e32 v23, v23, v25
	v_subrev_u32_e32 v25, s15, v23
	v_cmp_le_u32_e64 s[4:5], s15, v23
	v_cndmask_b32_e64 v23, v23, v25, s[4:5]
	v_subrev_u32_e32 v25, s15, v23
	v_cmp_le_u32_e64 s[4:5], s15, v23
	v_cndmask_b32_e64 v23, v23, v25, s[4:5]
	v_xor_b32_e32 v23, v23, v24
	v_sub_u32_e32 v23, v23, v24
	v_cmp_ne_u32_e64 s[4:5], 0, v23
	v_cmp_ge_i32_e64 s[10:11], s50, v22
	s_and_b64 s[4:5], s[4:5], s[10:11]
	s_and_b64 s[44:45], vcc, s[4:5]
	s_and_saveexec_b64 s[10:11], s[44:45]
	s_cbranch_execz .LBB156_16
; %bb.15:                               ;   in Loop: Header=BB156_14 Depth=1
	v_mov_b32_e32 v22, 0xff7fffff
	ds_write_b32 v13, v22
.LBB156_16:                             ;   in Loop: Header=BB156_14 Depth=1
	s_or_b64 exec, exec, s[10:11]
	s_xor_b64 s[4:5], s[4:5], -1
	s_and_saveexec_b64 s[10:11], s[4:5]
	s_cbranch_execz .LBB156_13
; %bb.17:                               ;   in Loop: Header=BB156_14 Depth=1
	global_load_dword v22, v[2:3], off
	s_waitcnt vmcnt(0)
	v_mad_i64_i32 v[22:23], s[4:5], v22, s51, 0
	v_lshlrev_b64 v[22:23], 1, v[22:23]
	v_add_co_u32_e64 v22, s[4:5], v7, v22
	v_addc_co_u32_e64 v23, s[4:5], v8, v23, s[4:5]
	global_load_dword v34, v[22:23], off
	global_load_dword v35, v[22:23], off offset:256
	global_load_dword v36, v[22:23], off offset:512
	;; [unrolled: 1-line block ×11, first 2 shown]
	ds_read_b128 v[22:25], v9
	ds_read_b128 v[26:29], v9 offset:16
	ds_read_b128 v[30:33], v9 offset:32
	v_cmp_lt_i32_e64 s[4:5], v19, v18
	v_cndmask_b32_e64 v46, v17, v19, s[4:5]
	s_waitcnt lgkmcnt(2)
	v_lshlrev_b32_e32 v48, 16, v23
	v_and_b32_e32 v23, 0xffff0000, v23
	v_lshlrev_b32_e32 v47, 16, v22
	v_and_b32_e32 v22, 0xffff0000, v22
	v_lshlrev_b32_e32 v49, 16, v24
	v_and_b32_e32 v24, 0xffff0000, v24
	v_lshlrev_b32_e32 v50, 16, v25
	v_and_b32_e32 v25, 0xffff0000, v25
	s_waitcnt lgkmcnt(1)
	v_lshlrev_b32_e32 v51, 16, v26
	v_and_b32_e32 v26, 0xffff0000, v26
	v_lshlrev_b32_e32 v52, 16, v27
	v_and_b32_e32 v27, 0xffff0000, v27
	v_lshlrev_b32_e32 v53, 16, v28
	v_and_b32_e32 v28, 0xffff0000, v28
	v_lshlrev_b32_e32 v54, 16, v29
	v_and_b32_e32 v29, 0xffff0000, v29
	;; [unrolled: 9-line block ×3, first 2 shown]
	v_lshlrev_b32_e32 v46, 2, v46
	v_cmp_lt_i32_e64 s[4:5], v20, v18
	s_waitcnt vmcnt(11)
	v_lshlrev_b32_e32 v59, 16, v34
	s_waitcnt vmcnt(10)
	v_lshlrev_b32_e32 v60, 16, v35
	v_and_b32_e32 v35, 0xffff0000, v35
	v_and_b32_e32 v34, 0xffff0000, v34
	v_mul_f32_e32 v48, v48, v60
	v_mul_f32_e32 v23, v23, v35
	s_waitcnt vmcnt(9)
	v_lshlrev_b32_e32 v61, 16, v36
	v_and_b32_e32 v36, 0xffff0000, v36
	v_fmac_f32_e32 v48, v47, v59
	v_fmac_f32_e32 v23, v22, v34
	s_waitcnt vmcnt(8)
	v_lshlrev_b32_e32 v62, 16, v37
	v_and_b32_e32 v37, 0xffff0000, v37
	v_fmac_f32_e32 v48, v49, v61
	v_fmac_f32_e32 v23, v24, v36
	;; [unrolled: 5-line block ×10, first 2 shown]
	v_fmac_f32_e32 v48, v58, v70
	v_fmac_f32_e32 v23, v33, v45
	v_add_f32_e32 v22, v48, v23
	ds_bpermute_b32 v23, v46, v22
	v_cndmask_b32_e64 v24, v17, v20, s[4:5]
	v_lshlrev_b32_e32 v24, 2, v24
	s_waitcnt lgkmcnt(0)
	v_add_f32_e32 v22, v22, v23
	ds_bpermute_b32 v23, v24, v22
	s_and_saveexec_b64 s[44:45], vcc
	s_cbranch_execz .LBB156_12
; %bb.18:                               ;   in Loop: Header=BB156_14 Depth=1
	v_add_u32_e32 v24, v16, v12
	v_cvt_f32_i32_e32 v24, v24
	s_waitcnt lgkmcnt(0)
	v_add_f32_e32 v22, v22, v23
	v_add_u32_e32 v25, v6, v12
	v_cmp_gt_i32_e64 s[4:5], s33, v25
	v_mul_f32_e32 v23, s49, v24
	v_cndmask_b32_e64 v23, 0, v23, s[2:3]
	v_fmac_f32_e32 v23, s39, v22
	v_cndmask_b32_e64 v22, 0, v23, s[4:5]
	ds_write_b32 v13, v22
	v_max_f32_e32 v22, v10, v10
	v_max_f32_e32 v22, v22, v23
	v_cndmask_b32_e64 v10, v10, v22, s[4:5]
	s_branch .LBB156_12
.LBB156_19:
	s_or_b64 exec, exec, s[42:43]
.LBB156_20:
	s_or_b64 exec, exec, s[40:41]
	v_mbcnt_hi_u32_b32 v2, -1, v5
	v_and_b32_e32 v3, 64, v2
	v_add_u32_e32 v3, 64, v3
	v_xor_b32_e32 v5, 32, v2
	v_cmp_lt_i32_e32 vcc, v5, v3
	v_cndmask_b32_e32 v5, v2, v5, vcc
	v_lshlrev_b32_e32 v6, 2, v5
	ds_bpermute_b32 v5, v6, v10
	v_xor_b32_e32 v8, 16, v2
	v_max_f32_e32 v7, v10, v10
	v_cmp_lt_i32_e32 vcc, v8, v3
	v_xor_b32_e32 v9, 8, v2
	s_waitcnt lgkmcnt(0)
	v_max_f32_e32 v5, v5, v5
	v_max_f32_e32 v5, v7, v5
	v_cndmask_b32_e32 v7, v2, v8, vcc
	v_lshlrev_b32_e32 v7, 2, v7
	ds_bpermute_b32 v8, v7, v5
	v_cmp_lt_i32_e32 vcc, v9, v3
	v_and_b32_e32 v13, 63, v0
	s_waitcnt lgkmcnt(0)
	v_max_f32_e32 v8, v8, v8
	v_max_f32_e32 v5, v5, v8
	v_cndmask_b32_e32 v8, v2, v9, vcc
	v_lshlrev_b32_e32 v10, 2, v8
	ds_bpermute_b32 v8, v10, v5
	v_xor_b32_e32 v9, 4, v2
	v_cmp_lt_i32_e32 vcc, v9, v3
	s_waitcnt lgkmcnt(0)
	v_max_f32_e32 v8, v8, v8
	v_max_f32_e32 v5, v5, v8
	v_cndmask_b32_e32 v8, v2, v9, vcc
	v_lshlrev_b32_e32 v11, 2, v8
	ds_bpermute_b32 v9, v11, v5
	v_cmp_eq_u32_e32 vcc, 0, v13
	v_lshlrev_b32_e32 v8, 2, v4
	s_and_saveexec_b64 s[2:3], vcc
	s_cbranch_execz .LBB156_22
; %bb.21:
	s_waitcnt lgkmcnt(0)
	v_max_f32_e32 v9, v9, v9
	v_max_f32_e32 v5, v5, v5
	;; [unrolled: 1-line block ×3, first 2 shown]
	ds_write_b32 v8, v5 offset:192
.LBB156_22:
	s_or_b64 exec, exec, s[2:3]
	v_cmp_gt_u32_e64 s[2:3], 2, v13
	v_mov_b32_e32 v5, 0xff7fffff
	s_waitcnt lgkmcnt(0)
	v_lshlrev_b32_e32 v9, 2, v13
	s_barrier
	s_and_saveexec_b64 s[4:5], s[2:3]
	s_cbranch_execz .LBB156_24
; %bb.23:
	ds_read_b32 v5, v9 offset:192
.LBB156_24:
	s_or_b64 exec, exec, s[4:5]
	v_xor_b32_e32 v12, 1, v2
	v_cmp_lt_i32_e64 s[4:5], v12, v3
	v_cndmask_b32_e64 v12, v2, v12, s[4:5]
	v_lshlrev_b32_e32 v18, 2, v12
	s_waitcnt lgkmcnt(0)
	ds_bpermute_b32 v12, v18, v5
	v_max_f32_e32 v5, v5, v5
	s_sub_i32 s4, s16, s38
	s_lshl_b32 s4, s4, 4
	s_add_i32 s4, s4, s9
	s_waitcnt lgkmcnt(0)
	v_max_f32_e32 v12, v12, v12
	v_max_f32_e32 v5, v5, v12
	v_lshlrev_b32_e32 v12, 2, v2
	v_and_b32_e32 v12, 0x100, v12
	ds_bpermute_b32 v5, v12, v5
	s_min_i32 s42, s4, s33
	s_sub_i32 s15, s42, s9
	v_cmp_gt_i32_e64 s[4:5], s15, v0
	v_mov_b32_e32 v16, 0
	s_and_saveexec_b64 s[38:39], s[4:5]
	s_cbranch_execz .LBB156_28
; %bb.25:
	v_mov_b32_e32 v16, 0xd0
	v_lshl_add_u32 v17, v0, 2, v16
	s_mov_b64 s[40:41], 0
	v_mov_b32_e32 v16, 0
	v_mov_b32_e32 v19, v0
.LBB156_26:                             ; =>This Inner Loop Header: Depth=1
	ds_read_b32 v20, v17
	v_add_u32_e32 v19, 0x80, v19
	v_cmp_le_i32_e64 s[10:11], s15, v19
	s_or_b64 s[40:41], s[10:11], s[40:41]
	s_waitcnt lgkmcnt(0)
	v_sub_f32_e32 v20, v20, v5
	v_mul_f32_e32 v20, 0x3fb8aa3b, v20
	v_exp_f32_e32 v20, v20
	ds_write_b32 v17, v20
	v_add_f32_e32 v16, v16, v20
	v_add_u32_e32 v17, 0x200, v17
	s_andn2_b64 exec, exec, s[40:41]
	s_cbranch_execnz .LBB156_26
; %bb.27:
	s_or_b64 exec, exec, s[40:41]
.LBB156_28:
	s_or_b64 exec, exec, s[38:39]
	ds_bpermute_b32 v6, v6, v16
	s_waitcnt lgkmcnt(0)
	v_add_f32_e32 v6, v16, v6
	ds_bpermute_b32 v7, v7, v6
	s_waitcnt lgkmcnt(0)
	v_add_f32_e32 v6, v6, v7
	ds_bpermute_b32 v7, v10, v6
	v_xor_b32_e32 v10, 2, v2
	v_cmp_lt_i32_e64 s[10:11], v10, v3
	v_cndmask_b32_e64 v2, v2, v10, s[10:11]
	v_lshlrev_b32_e32 v2, 2, v2
	s_waitcnt lgkmcnt(0)
	v_add_f32_e32 v6, v6, v7
	ds_bpermute_b32 v7, v11, v6
	s_waitcnt lgkmcnt(0)
	v_add_f32_e32 v3, v6, v7
	ds_bpermute_b32 v2, v2, v3
	;; [unrolled: 3-line block ×3, first 2 shown]
	s_waitcnt lgkmcnt(0)
	v_add_f32_e32 v2, v2, v3
	s_and_saveexec_b64 s[10:11], vcc
	s_cbranch_execz .LBB156_30
; %bb.29:
	ds_write_b32 v8, v2 offset:200
.LBB156_30:
	s_or_b64 exec, exec, s[10:11]
	s_waitcnt lgkmcnt(0)
	s_barrier
	s_and_saveexec_b64 s[10:11], s[2:3]
	s_cbranch_execz .LBB156_32
; %bb.31:
	ds_read_b32 v2, v9 offset:200
.LBB156_32:
	s_or_b64 exec, exec, s[10:11]
	s_waitcnt lgkmcnt(0)
	ds_bpermute_b32 v3, v18, v2
	s_waitcnt lgkmcnt(0)
	v_add_f32_e32 v2, v2, v3
	ds_bpermute_b32 v6, v12, v2
	s_and_saveexec_b64 s[2:3], s[4:5]
	s_cbranch_execz .LBB156_45
; %bb.33:
	s_waitcnt lgkmcnt(0)
	v_add_f32_e32 v2, 0x358637bd, v6
	v_div_scale_f32 v3, s[4:5], v2, v2, 1.0
	v_rcp_f32_e32 v7, v3
	v_div_scale_f32 v8, vcc, 1.0, v2, 1.0
	s_movk_i32 s4, 0x7f
	v_fma_f32 v9, -v3, v7, 1.0
	v_fmac_f32_e32 v7, v9, v7
	v_mul_f32_e32 v9, v8, v7
	v_fma_f32 v10, -v3, v9, v8
	v_fmac_f32_e32 v9, v10, v7
	v_fma_f32 v3, -v3, v9, v8
	v_div_fmas_f32 v3, v3, v7, v9
	v_div_fixup_f32 v2, v3, v2, 1.0
	v_xad_u32 v3, v0, -1, s42
	v_subrev_u32_e32 v7, s9, v3
	v_cmp_lt_u32_e32 vcc, s4, v7
	s_mov_b64 s[10:11], -1
	v_mov_b32_e32 v3, v0
	s_and_saveexec_b64 s[4:5], vcc
	s_cbranch_execz .LBB156_42
; %bb.34:
	v_lshrrev_b32_e32 v7, 7, v7
	v_add_u32_e32 v9, -1, v7
	v_lshrrev_b32_e32 v8, 1, v9
	v_mov_b32_e32 v3, v2
	v_add_u32_e32 v8, 1, v8
	v_cmp_lt_u32_e32 vcc, 13, v9
	v_mov_b32_e32 v11, 0
	s_and_saveexec_b64 s[10:11], vcc
	s_cbranch_execz .LBB156_38
; %bb.35:
	v_mov_b32_e32 v10, 0xd0
	v_and_b32_e32 v9, -8, v8
	v_lshl_add_u32 v10, v0, 2, v10
	s_mov_b32 s9, 0
	s_mov_b64 s[38:39], 0
.LBB156_36:                             ; =>This Inner Loop Header: Depth=1
	ds_read2st64_b32 v[16:17], v10 offset1:2
	ds_read2st64_b32 v[20:21], v10 offset0:4 offset1:6
	ds_read2st64_b32 v[22:23], v10 offset0:8 offset1:10
	;; [unrolled: 1-line block ×3, first 2 shown]
	v_add_u32_e32 v9, -8, v9
	s_waitcnt lgkmcnt(3)
	v_pk_mul_f32 v[16:17], v[2:3], v[16:17]
	s_waitcnt lgkmcnt(2)
	v_pk_mul_f32 v[20:21], v[2:3], v[20:21]
	ds_write2st64_b32 v10, v16, v17 offset1:2
	ds_write2st64_b32 v10, v20, v21 offset0:4 offset1:6
	ds_read2st64_b32 v[20:21], v10 offset0:16 offset1:18
	s_waitcnt lgkmcnt(4)
	v_pk_mul_f32 v[16:17], v[2:3], v[22:23]
	ds_write2st64_b32 v10, v16, v17 offset0:8 offset1:10
	s_waitcnt lgkmcnt(4)
	v_pk_mul_f32 v[16:17], v[2:3], v[24:25]
	ds_write2st64_b32 v10, v16, v17 offset0:12 offset1:14
	ds_read2st64_b32 v[16:17], v10 offset0:20 offset1:22
	s_waitcnt lgkmcnt(3)
	v_pk_mul_f32 v[20:21], v[2:3], v[20:21]
	ds_read2st64_b32 v[22:23], v10 offset0:24 offset1:26
	ds_write2st64_b32 v10, v20, v21 offset0:16 offset1:18
	ds_read2st64_b32 v[20:21], v10 offset0:28 offset1:30
	s_waitcnt lgkmcnt(3)
	v_pk_mul_f32 v[16:17], v[2:3], v[16:17]
	ds_write2st64_b32 v10, v16, v17 offset0:20 offset1:22
	s_waitcnt lgkmcnt(3)
	v_pk_mul_f32 v[16:17], v[2:3], v[22:23]
	ds_write2st64_b32 v10, v16, v17 offset0:24 offset1:26
	s_waitcnt lgkmcnt(2)
	v_pk_mul_f32 v[16:17], v[2:3], v[20:21]
	s_add_i32 s9, s9, 16
	v_cmp_eq_u32_e32 vcc, 0, v9
	ds_write2st64_b32 v10, v16, v17 offset0:28 offset1:30
	v_add_u32_e32 v10, 0x2000, v10
	s_or_b64 s[38:39], vcc, s[38:39]
	v_mov_b32_e32 v11, s9
	s_andn2_b64 exec, exec, s[38:39]
	s_cbranch_execnz .LBB156_36
; %bb.37:
	s_or_b64 exec, exec, s[38:39]
.LBB156_38:
	s_or_b64 exec, exec, s[10:11]
	v_and_b32_e32 v8, 7, v8
	v_cmp_ne_u32_e32 vcc, 0, v8
	s_and_saveexec_b64 s[10:11], vcc
	s_cbranch_execz .LBB156_41
; %bb.39:
	v_lshlrev_b32_e32 v9, 9, v11
	v_lshlrev_b32_e32 v10, 2, v0
	s_movk_i32 s9, 0xd0
	v_add3_u32 v9, v9, v10, s9
	s_mov_b64 s[38:39], 0
.LBB156_40:                             ; =>This Inner Loop Header: Depth=1
	ds_read2st64_b32 v[10:11], v9 offset1:2
	v_add_u32_e32 v8, -1, v8
	v_cmp_eq_u32_e32 vcc, 0, v8
	s_or_b64 s[38:39], vcc, s[38:39]
	s_waitcnt lgkmcnt(0)
	v_pk_mul_f32 v[10:11], v[2:3], v[10:11]
	ds_write2st64_b32 v9, v10, v11 offset1:2
	v_add_u32_e32 v9, 0x400, v9
	s_andn2_b64 exec, exec, s[38:39]
	s_cbranch_execnz .LBB156_40
.LBB156_41:
	s_or_b64 exec, exec, s[10:11]
	v_add_u32_e32 v7, 1, v7
	v_and_b32_e32 v8, 0x3fffffe, v7
	v_cmp_ne_u32_e32 vcc, v7, v8
	v_lshl_add_u32 v3, v8, 7, v0
	s_orn2_b64 s[10:11], vcc, exec
.LBB156_42:
	s_or_b64 exec, exec, s[4:5]
	s_and_b64 exec, exec, s[10:11]
	s_cbranch_execz .LBB156_45
; %bb.43:
	v_mov_b32_e32 v7, 0xd0
	v_lshl_add_u32 v7, v3, 2, v7
	s_mov_b64 s[4:5], 0
.LBB156_44:                             ; =>This Inner Loop Header: Depth=1
	ds_read_b32 v8, v7
	v_add_u32_e32 v3, 0x80, v3
	v_cmp_le_i32_e32 vcc, s15, v3
	s_or_b64 s[4:5], vcc, s[4:5]
	s_waitcnt lgkmcnt(0)
	v_mul_f32_e32 v8, v2, v8
	ds_write_b32 v7, v8
	v_add_u32_e32 v7, 0x200, v7
	s_andn2_b64 exec, exec, s[4:5]
	s_cbranch_execnz .LBB156_44
.LBB156_45:
	s_or_b64 exec, exec, s[2:3]
	v_cmp_eq_u32_e32 vcc, 0, v0
	s_waitcnt lgkmcnt(0)
	s_barrier
	s_and_saveexec_b64 s[2:3], vcc
	s_cbranch_execz .LBB156_47
; %bb.46:
	s_mul_i32 s4, s12, s24
	s_mul_i32 s4, s4, s25
	s_ashr_i32 s5, s4, 31
	s_lshl_b64 s[4:5], s[4:5], 2
	s_add_u32 s9, s22, s4
	s_mul_i32 s10, s12, s6
	s_addc_u32 s15, s23, s5
	s_ashr_i32 s11, s10, 31
	s_lshl_b64 s[10:11], s[10:11], 2
	s_add_u32 s6, s9, s10
	s_addc_u32 s15, s15, s11
	s_ashr_i32 s9, s8, 31
	s_lshl_b64 s[22:23], s[8:9], 2
	s_add_u32 s38, s6, s22
	s_addc_u32 s39, s15, s23
	s_add_u32 s4, s20, s4
	s_addc_u32 s5, s21, s5
	s_add_u32 s4, s4, s10
	s_addc_u32 s5, s5, s11
	s_add_u32 s4, s4, s22
	v_mov_b32_e32 v2, 0
	s_addc_u32 s5, s5, s23
	global_store_dword v2, v5, s[38:39]
	global_store_dword v2, v6, s[4:5]
.LBB156_47:
	s_or_b64 exec, exec, s[2:3]
	v_mov_b32_e32 v12, 0
	v_and_b32_e32 v19, 1, v0
	v_mov_b32_e32 v11, 0
	v_mov_b32_e32 v10, 0
	s_and_saveexec_b64 s[2:3], s[0:1]
	s_cbranch_execz .LBB156_187
; %bb.48:
	s_ashr_i32 s15, s14, 31
	s_sub_i32 s9, s48, s17
	s_lshl_b64 s[0:1], s[14:15], 1
	s_add_u32 s0, s36, s0
	s_addc_u32 s1, s37, s1
	s_abs_i32 s14, s18
	v_cvt_f32_u32_e32 v2, s14
	v_lshlrev_b32_e32 v3, 3, v0
	s_sub_i32 s4, 0, s14
	v_and_b32_e32 v20, 8, v3
	v_rcp_iflag_f32_e32 v2, v2
	v_lshlrev_b32_e32 v5, 4, v0
	s_add_i32 s15, s7, -1
	s_mov_b32 s20, 0
	v_mul_f32_e32 v2, 0x4f7ffffe, v2
	v_cvt_u32_f32_e32 v2, v2
	s_mov_b32 s21, s20
	s_mov_b32 s22, s20
	v_mov_b32_e32 v10, s20
	v_mul_lo_u32 v3, s4, v2
	v_mul_hi_u32 v3, v2, v3
	v_add_u32_e32 v21, v2, v3
	v_and_b32_e32 v2, 0x3f0, v5
	v_mov_b32_e32 v3, s1
	v_add_co_u32_e32 v22, vcc, s0, v2
	s_lshl_b64 s[0:1], s[34:35], 2
	v_addc_co_u32_e32 v23, vcc, 0, v3, vcc
	v_lshlrev_b64 v[2:3], 2, v[14:15]
	s_add_u32 s0, s30, s0
	s_addc_u32 s1, s31, s1
	v_add_co_u32_e32 v16, vcc, s0, v2
	v_lshlrev_b32_e32 v2, 5, v19
	v_mov_b32_e32 v5, s1
	v_lshl_or_b32 v2, v4, 6, v2
	v_addc_co_u32_e32 v17, vcc, v5, v3, vcc
	v_add_u32_e32 v15, 0xd0, v2
	s_mov_b64 s[4:5], 0
	v_mov_b32_e32 v11, s21
	v_mov_b32_e32 v12, s22
	s_mov_b32 s17, 0x7f800000
	s_movk_i32 s18, 0x7fff
	v_mov_b32_e32 v24, 0
	s_branch .LBB156_51
.LBB156_49:                             ;   in Loop: Header=BB156_51 Depth=1
	s_or_b64 exec, exec, s[0:1]
	v_and_b32_e32 v32, 0xffff0000, v28
	v_and_b32_e32 v28, 0xffff0000, v27
	;; [unrolled: 1-line block ×8, first 2 shown]
	v_pk_add_f32 v[8:9], v[8:9], v[26:27]
	v_pk_add_f32 v[26:27], v[28:29], v[32:33]
	v_add_f32_e32 v8, v8, v9
	v_add_f32_e32 v8, v8, v26
	;; [unrolled: 1-line block ×3, first 2 shown]
	v_and_b32_e32 v29, 0xffff0000, v50
	v_and_b32_e32 v28, 0xffff0000, v48
	;; [unrolled: 1-line block ×4, first 2 shown]
	v_add_f32_e32 v10, v10, v8
	v_and_b32_e32 v9, 0xffff0000, v54
	v_and_b32_e32 v8, 0xffff0000, v52
	;; [unrolled: 1-line block ×4, first 2 shown]
	v_pk_add_f32 v[28:29], v[32:33], v[28:29]
	v_pk_add_f32 v[8:9], v[26:27], v[8:9]
	v_add_f32_e32 v25, v28, v29
	v_add_f32_e32 v8, v25, v8
	;; [unrolled: 1-line block ×3, first 2 shown]
	v_and_b32_e32 v27, 0xffff0000, v30
	v_and_b32_e32 v26, 0xffff0000, v7
	;; [unrolled: 1-line block ×4, first 2 shown]
	v_add_f32_e32 v11, v11, v8
	v_and_b32_e32 v9, 0xffff0000, v6
	v_and_b32_e32 v8, 0xffff0000, v31
	;; [unrolled: 1-line block ×4, first 2 shown]
	v_pk_add_f32 v[2:3], v[2:3], v[26:27]
	v_pk_add_f32 v[4:5], v[4:5], v[8:9]
	v_add_f32_e32 v2, v2, v3
	v_add_f32_e32 v2, v2, v4
	;; [unrolled: 1-line block ×4, first 2 shown]
.LBB156_50:                             ;   in Loop: Header=BB156_51 Depth=1
	s_or_b64 exec, exec, s[6:7]
	v_add_co_u32_e32 v16, vcc, 8, v16
	v_add_u32_e32 v14, 2, v14
	v_addc_co_u32_e32 v17, vcc, 0, v17, vcc
	v_cmp_le_i32_e32 vcc, s16, v14
	v_add_u32_e32 v1, 32, v1
	s_or_b64 s[4:5], vcc, s[4:5]
	v_add_u32_e32 v15, 0x80, v15
	s_andn2_b64 exec, exec, s[4:5]
	s_cbranch_execz .LBB156_186
.LBB156_51:                             ; =>This Inner Loop Header: Depth=1
	v_sub_u32_e32 v3, 0, v1
	v_max_i32_e32 v3, v1, v3
	v_mul_hi_u32 v4, v3, s46
	v_mul_lo_u32 v5, v4, s27
	v_sub_u32_e32 v3, v3, v5
	v_add_u32_e32 v5, 1, v4
	v_cmp_le_u32_e32 vcc, s27, v3
	v_cndmask_b32_e32 v4, v4, v5, vcc
	v_subrev_u32_e32 v5, s27, v3
	v_cndmask_b32_e32 v3, v3, v5, vcc
	v_ashrrev_i32_e32 v2, 31, v1
	v_add_u32_e32 v5, 1, v4
	v_cmp_le_u32_e32 vcc, s27, v3
	v_xor_b32_e32 v2, s19, v2
	v_cndmask_b32_e32 v3, v4, v5, vcc
	v_xor_b32_e32 v3, v3, v2
	v_sub_u32_e32 v2, v3, v2
	v_add_u32_e32 v3, s47, v2
	v_sub_u32_e32 v5, 0, v3
	v_ashrrev_i32_e32 v4, 31, v3
	v_max_i32_e32 v3, v3, v5
	v_mul_hi_u32 v5, v3, v21
	v_mul_lo_u32 v5, v5, s14
	v_sub_u32_e32 v3, v3, v5
	v_subrev_u32_e32 v5, s14, v3
	v_cmp_le_u32_e32 vcc, s14, v3
	v_cndmask_b32_e32 v3, v3, v5, vcc
	v_subrev_u32_e32 v5, s14, v3
	v_cmp_le_u32_e32 vcc, s14, v3
	v_cndmask_b32_e32 v3, v3, v5, vcc
	v_xor_b32_e32 v3, v3, v4
	v_sub_u32_e32 v3, v3, v4
	v_cmp_eq_u32_e32 vcc, 0, v3
	v_cmp_lt_i32_e64 s[0:1], s9, v2
	s_or_b64 s[0:1], vcc, s[0:1]
	s_and_saveexec_b64 s[6:7], s[0:1]
	s_cbranch_execz .LBB156_50
; %bb.52:                               ;   in Loop: Header=BB156_51 Depth=1
	global_load_dword v30, v[16:17], off
	ds_read2_b64 v[6:9], v15 offset1:1
	ds_read2_b64 v[2:5], v15 offset0:2 offset1:3
                                        ; implicit-def: $vgpr39
	s_waitcnt lgkmcnt(1)
	v_and_b32_e32 v25, 0x7f800000, v6
	v_cmp_ne_u32_e32 vcc, s17, v25
	s_and_saveexec_b64 s[0:1], vcc
	s_xor_b64 s[0:1], exec, s[0:1]
; %bb.53:                               ;   in Loop: Header=BB156_51 Depth=1
	v_bfe_u32 v25, v6, 16, 1
	v_add3_u32 v39, v6, v25, s18
; %bb.54:                               ;   in Loop: Header=BB156_51 Depth=1
	s_andn2_saveexec_b64 s[0:1], s[0:1]
; %bb.55:                               ;   in Loop: Header=BB156_51 Depth=1
	v_or_b32_e32 v25, 0x10000, v6
	v_cmp_eq_u32_sdwa vcc, v6, v24 src0_sel:WORD_0 src1_sel:DWORD
	v_cndmask_b32_e32 v39, v25, v6, vcc
; %bb.56:                               ;   in Loop: Header=BB156_51 Depth=1
	s_or_b64 exec, exec, s[0:1]
	v_and_b32_e32 v6, 0x7f800000, v7
	v_cmp_ne_u32_e32 vcc, s17, v6
                                        ; implicit-def: $vgpr40
	s_and_saveexec_b64 s[0:1], vcc
	s_xor_b64 s[0:1], exec, s[0:1]
; %bb.57:                               ;   in Loop: Header=BB156_51 Depth=1
	v_bfe_u32 v6, v7, 16, 1
	v_add3_u32 v40, v7, v6, s18
; %bb.58:                               ;   in Loop: Header=BB156_51 Depth=1
	s_andn2_saveexec_b64 s[0:1], s[0:1]
; %bb.59:                               ;   in Loop: Header=BB156_51 Depth=1
	v_or_b32_e32 v6, 0x10000, v7
	v_cmp_eq_u32_sdwa vcc, v7, v24 src0_sel:WORD_0 src1_sel:DWORD
	v_cndmask_b32_e32 v40, v6, v7, vcc
; %bb.60:                               ;   in Loop: Header=BB156_51 Depth=1
	s_or_b64 exec, exec, s[0:1]
	v_and_b32_e32 v6, 0x7f800000, v8
	v_cmp_ne_u32_e32 vcc, s17, v6
                                        ; implicit-def: $vgpr25
	s_and_saveexec_b64 s[0:1], vcc
	s_xor_b64 s[0:1], exec, s[0:1]
; %bb.61:                               ;   in Loop: Header=BB156_51 Depth=1
	v_bfe_u32 v6, v8, 16, 1
	v_add3_u32 v25, v8, v6, s18
; %bb.62:                               ;   in Loop: Header=BB156_51 Depth=1
	s_andn2_saveexec_b64 s[0:1], s[0:1]
; %bb.63:                               ;   in Loop: Header=BB156_51 Depth=1
	v_or_b32_e32 v6, 0x10000, v8
	v_cmp_eq_u32_sdwa vcc, v8, v24 src0_sel:WORD_0 src1_sel:DWORD
	v_cndmask_b32_e32 v25, v6, v8, vcc
; %bb.64:                               ;   in Loop: Header=BB156_51 Depth=1
	s_or_b64 exec, exec, s[0:1]
	v_and_b32_e32 v6, 0x7f800000, v9
	v_cmp_ne_u32_e32 vcc, s17, v6
                                        ; implicit-def: $vgpr26
	s_and_saveexec_b64 s[0:1], vcc
	s_xor_b64 s[0:1], exec, s[0:1]
; %bb.65:                               ;   in Loop: Header=BB156_51 Depth=1
	v_bfe_u32 v6, v9, 16, 1
	v_add3_u32 v26, v9, v6, s18
                                        ; implicit-def: $vgpr6_vgpr7_vgpr8_vgpr9
; %bb.66:                               ;   in Loop: Header=BB156_51 Depth=1
	s_andn2_saveexec_b64 s[0:1], s[0:1]
; %bb.67:                               ;   in Loop: Header=BB156_51 Depth=1
	v_or_b32_e32 v6, 0x10000, v9
	v_cmp_eq_u32_sdwa vcc, v9, v24 src0_sel:WORD_0 src1_sel:DWORD
	v_cndmask_b32_e32 v26, v6, v9, vcc
; %bb.68:                               ;   in Loop: Header=BB156_51 Depth=1
	s_or_b64 exec, exec, s[0:1]
	s_waitcnt lgkmcnt(0)
	v_and_b32_e32 v6, 0x7f800000, v2
	v_cmp_ne_u32_e32 vcc, s17, v6
                                        ; implicit-def: $vgpr27
	s_and_saveexec_b64 s[0:1], vcc
	s_xor_b64 s[0:1], exec, s[0:1]
; %bb.69:                               ;   in Loop: Header=BB156_51 Depth=1
	v_bfe_u32 v6, v2, 16, 1
	v_add3_u32 v27, v2, v6, s18
; %bb.70:                               ;   in Loop: Header=BB156_51 Depth=1
	s_andn2_saveexec_b64 s[0:1], s[0:1]
; %bb.71:                               ;   in Loop: Header=BB156_51 Depth=1
	v_or_b32_e32 v6, 0x10000, v2
	v_cmp_eq_u32_sdwa vcc, v2, v24 src0_sel:WORD_0 src1_sel:DWORD
	v_cndmask_b32_e32 v27, v6, v2, vcc
; %bb.72:                               ;   in Loop: Header=BB156_51 Depth=1
	s_or_b64 exec, exec, s[0:1]
	v_and_b32_e32 v2, 0x7f800000, v3
	v_cmp_ne_u32_e32 vcc, s17, v2
                                        ; implicit-def: $vgpr28
	s_and_saveexec_b64 s[0:1], vcc
	s_xor_b64 s[0:1], exec, s[0:1]
; %bb.73:                               ;   in Loop: Header=BB156_51 Depth=1
	v_bfe_u32 v2, v3, 16, 1
	v_add3_u32 v28, v3, v2, s18
; %bb.74:                               ;   in Loop: Header=BB156_51 Depth=1
	s_andn2_saveexec_b64 s[0:1], s[0:1]
; %bb.75:                               ;   in Loop: Header=BB156_51 Depth=1
	v_or_b32_e32 v2, 0x10000, v3
	v_cmp_eq_u32_sdwa vcc, v3, v24 src0_sel:WORD_0 src1_sel:DWORD
	v_cndmask_b32_e32 v28, v2, v3, vcc
; %bb.76:                               ;   in Loop: Header=BB156_51 Depth=1
	s_or_b64 exec, exec, s[0:1]
	v_and_b32_e32 v2, 0x7f800000, v4
	v_cmp_ne_u32_e32 vcc, s17, v2
                                        ; implicit-def: $vgpr29
	s_and_saveexec_b64 s[0:1], vcc
	s_xor_b64 s[0:1], exec, s[0:1]
; %bb.77:                               ;   in Loop: Header=BB156_51 Depth=1
	v_bfe_u32 v2, v4, 16, 1
	v_add3_u32 v29, v4, v2, s18
; %bb.78:                               ;   in Loop: Header=BB156_51 Depth=1
	s_andn2_saveexec_b64 s[0:1], s[0:1]
; %bb.79:                               ;   in Loop: Header=BB156_51 Depth=1
	v_or_b32_e32 v2, 0x10000, v4
	v_cmp_eq_u32_sdwa vcc, v4, v24 src0_sel:WORD_0 src1_sel:DWORD
	v_cndmask_b32_e32 v29, v2, v4, vcc
; %bb.80:                               ;   in Loop: Header=BB156_51 Depth=1
	s_or_b64 exec, exec, s[0:1]
	v_and_b32_e32 v2, 0x7f800000, v5
	v_cmp_ne_u32_e32 vcc, s17, v2
                                        ; implicit-def: $vgpr38
	s_and_saveexec_b64 s[0:1], vcc
	s_xor_b64 s[0:1], exec, s[0:1]
; %bb.81:                               ;   in Loop: Header=BB156_51 Depth=1
	v_bfe_u32 v2, v5, 16, 1
	v_add3_u32 v38, v5, v2, s18
                                        ; implicit-def: $vgpr2_vgpr3_vgpr4_vgpr5
; %bb.82:                               ;   in Loop: Header=BB156_51 Depth=1
	s_andn2_saveexec_b64 s[0:1], s[0:1]
; %bb.83:                               ;   in Loop: Header=BB156_51 Depth=1
	v_or_b32_e32 v2, 0x10000, v5
	v_cmp_eq_u32_sdwa vcc, v5, v24 src0_sel:WORD_0 src1_sel:DWORD
	v_cndmask_b32_e32 v38, v2, v5, vcc
; %bb.84:                               ;   in Loop: Header=BB156_51 Depth=1
	s_or_b64 exec, exec, s[0:1]
	s_waitcnt vmcnt(0)
	v_mad_i64_i32 v[2:3], s[0:1], v30, s13, 0
	v_lshlrev_b64 v[2:3], 1, v[2:3]
	v_add_co_u32_e32 v6, vcc, v22, v2
	v_addc_co_u32_e32 v7, vcc, v23, v3, vcc
	global_load_dwordx4 v[2:5], v[6:7], off
	v_add_u32_e32 v30, v20, v1
	v_cmp_eq_u32_e32 vcc, s15, v14
	v_add_u32_e32 v37, 1, v30
	v_add_u32_e32 v36, 2, v30
	;; [unrolled: 1-line block ×7, first 2 shown]
	s_waitcnt vmcnt(0)
	v_lshrrev_b32_e32 v9, 16, v2
	v_lshrrev_b32_e32 v43, 16, v3
	;; [unrolled: 1-line block ×4, first 2 shown]
	s_and_saveexec_b64 s[10:11], vcc
	s_cbranch_execz .LBB156_86
; %bb.85:                               ;   in Loop: Header=BB156_51 Depth=1
	v_cmp_gt_i32_e64 s[0:1], s33, v30
	v_cndmask_b32_e64 v2, 0, v2, s[0:1]
	v_cmp_gt_i32_e64 s[0:1], s33, v37
	v_cndmask_b32_e64 v9, 0, v9, s[0:1]
	v_cmp_gt_i32_e64 s[0:1], s33, v36
	v_cndmask_b32_e64 v3, 0, v3, s[0:1]
	v_cmp_gt_i32_e64 s[0:1], s33, v34
	v_cndmask_b32_e64 v43, 0, v43, s[0:1]
	v_cmp_gt_i32_e64 s[0:1], s33, v33
	v_cndmask_b32_e64 v4, 0, v4, s[0:1]
	v_cmp_gt_i32_e64 s[0:1], s33, v32
	v_cndmask_b32_e64 v45, 0, v45, s[0:1]
	v_cmp_gt_i32_e64 s[0:1], s33, v31
	v_cndmask_b32_e64 v5, 0, v5, s[0:1]
	v_cmp_gt_i32_e64 s[0:1], s33, v35
	v_cndmask_b32_e64 v47, 0, v47, s[0:1]
.LBB156_86:                             ;   in Loop: Header=BB156_51 Depth=1
	s_or_b64 exec, exec, s[10:11]
	v_and_b32_e32 v39, 0xffff0000, v39
	v_lshlrev_b32_e32 v2, 16, v2
	v_mul_f32_e32 v2, v39, v2
	v_and_b32_e32 v8, 0x7f800000, v2
	v_cmp_ne_u32_e64 s[0:1], s17, v8
                                        ; implicit-def: $vgpr8
	s_and_saveexec_b64 s[10:11], s[0:1]
	s_xor_b64 s[0:1], exec, s[10:11]
; %bb.87:                               ;   in Loop: Header=BB156_51 Depth=1
	v_bfe_u32 v8, v2, 16, 1
	v_add3_u32 v8, v2, v8, s18
                                        ; implicit-def: $vgpr2
; %bb.88:                               ;   in Loop: Header=BB156_51 Depth=1
	s_andn2_saveexec_b64 s[10:11], s[0:1]
; %bb.89:                               ;   in Loop: Header=BB156_51 Depth=1
	v_or_b32_e32 v8, 0x10000, v2
	v_cmp_eq_u32_sdwa s[0:1], v2, v24 src0_sel:WORD_0 src1_sel:DWORD
	v_cndmask_b32_e64 v8, v8, v2, s[0:1]
; %bb.90:                               ;   in Loop: Header=BB156_51 Depth=1
	s_or_b64 exec, exec, s[10:11]
	v_and_b32_e32 v40, 0xffff0000, v40
	v_lshlrev_b32_e32 v2, 16, v9
	v_mul_f32_e32 v2, v40, v2
	v_and_b32_e32 v9, 0x7f800000, v2
	v_cmp_ne_u32_e64 s[0:1], s17, v9
                                        ; implicit-def: $vgpr9
	s_and_saveexec_b64 s[10:11], s[0:1]
	s_xor_b64 s[0:1], exec, s[10:11]
; %bb.91:                               ;   in Loop: Header=BB156_51 Depth=1
	v_bfe_u32 v9, v2, 16, 1
	v_add3_u32 v9, v2, v9, s18
                                        ; implicit-def: $vgpr2
; %bb.92:                               ;   in Loop: Header=BB156_51 Depth=1
	s_andn2_saveexec_b64 s[10:11], s[0:1]
; %bb.93:                               ;   in Loop: Header=BB156_51 Depth=1
	v_or_b32_e32 v9, 0x10000, v2
	v_cmp_eq_u32_sdwa s[0:1], v2, v24 src0_sel:WORD_0 src1_sel:DWORD
	v_cndmask_b32_e64 v9, v9, v2, s[0:1]
; %bb.94:                               ;   in Loop: Header=BB156_51 Depth=1
	s_or_b64 exec, exec, s[10:11]
	v_and_b32_e32 v41, 0xffff0000, v25
	v_lshlrev_b32_e32 v2, 16, v3
	v_mul_f32_e32 v2, v41, v2
	v_and_b32_e32 v3, 0x7f800000, v2
	v_cmp_ne_u32_e64 s[0:1], s17, v3
                                        ; implicit-def: $vgpr25
	s_and_saveexec_b64 s[10:11], s[0:1]
	s_xor_b64 s[0:1], exec, s[10:11]
; %bb.95:                               ;   in Loop: Header=BB156_51 Depth=1
	v_bfe_u32 v3, v2, 16, 1
	v_add3_u32 v25, v2, v3, s18
                                        ; implicit-def: $vgpr2
; %bb.96:                               ;   in Loop: Header=BB156_51 Depth=1
	s_andn2_saveexec_b64 s[10:11], s[0:1]
; %bb.97:                               ;   in Loop: Header=BB156_51 Depth=1
	v_or_b32_e32 v3, 0x10000, v2
	v_cmp_eq_u32_sdwa s[0:1], v2, v24 src0_sel:WORD_0 src1_sel:DWORD
	v_cndmask_b32_e64 v25, v3, v2, s[0:1]
; %bb.98:                               ;   in Loop: Header=BB156_51 Depth=1
	s_or_b64 exec, exec, s[10:11]
	v_and_b32_e32 v42, 0xffff0000, v26
	v_lshlrev_b32_e32 v2, 16, v43
	v_mul_f32_e32 v2, v42, v2
	v_and_b32_e32 v3, 0x7f800000, v2
	v_cmp_ne_u32_e64 s[0:1], s17, v3
                                        ; implicit-def: $vgpr26
	s_and_saveexec_b64 s[10:11], s[0:1]
	s_xor_b64 s[0:1], exec, s[10:11]
; %bb.99:                               ;   in Loop: Header=BB156_51 Depth=1
	v_bfe_u32 v3, v2, 16, 1
	v_add3_u32 v26, v2, v3, s18
                                        ; implicit-def: $vgpr2
; %bb.100:                              ;   in Loop: Header=BB156_51 Depth=1
	s_andn2_saveexec_b64 s[10:11], s[0:1]
; %bb.101:                              ;   in Loop: Header=BB156_51 Depth=1
	v_or_b32_e32 v3, 0x10000, v2
	v_cmp_eq_u32_sdwa s[0:1], v2, v24 src0_sel:WORD_0 src1_sel:DWORD
	v_cndmask_b32_e64 v26, v3, v2, s[0:1]
; %bb.102:                              ;   in Loop: Header=BB156_51 Depth=1
	s_or_b64 exec, exec, s[10:11]
	v_and_b32_e32 v43, 0xffff0000, v27
	v_lshlrev_b32_e32 v2, 16, v4
	v_mul_f32_e32 v2, v43, v2
	v_and_b32_e32 v3, 0x7f800000, v2
	v_cmp_ne_u32_e64 s[0:1], s17, v3
                                        ; implicit-def: $vgpr27
	s_and_saveexec_b64 s[10:11], s[0:1]
	s_xor_b64 s[0:1], exec, s[10:11]
; %bb.103:                              ;   in Loop: Header=BB156_51 Depth=1
	v_bfe_u32 v3, v2, 16, 1
	v_add3_u32 v27, v2, v3, s18
                                        ; implicit-def: $vgpr2
; %bb.104:                              ;   in Loop: Header=BB156_51 Depth=1
	s_andn2_saveexec_b64 s[10:11], s[0:1]
; %bb.105:                              ;   in Loop: Header=BB156_51 Depth=1
	v_or_b32_e32 v3, 0x10000, v2
	v_cmp_eq_u32_sdwa s[0:1], v2, v24 src0_sel:WORD_0 src1_sel:DWORD
	v_cndmask_b32_e64 v27, v3, v2, s[0:1]
; %bb.106:                              ;   in Loop: Header=BB156_51 Depth=1
	s_or_b64 exec, exec, s[10:11]
	v_and_b32_e32 v44, 0xffff0000, v28
	v_lshlrev_b32_e32 v2, 16, v45
	v_mul_f32_e32 v2, v44, v2
	v_and_b32_e32 v3, 0x7f800000, v2
	v_cmp_ne_u32_e64 s[0:1], s17, v3
                                        ; implicit-def: $vgpr28
	s_and_saveexec_b64 s[10:11], s[0:1]
	s_xor_b64 s[0:1], exec, s[10:11]
; %bb.107:                              ;   in Loop: Header=BB156_51 Depth=1
	v_bfe_u32 v3, v2, 16, 1
	v_add3_u32 v28, v2, v3, s18
                                        ; implicit-def: $vgpr2
; %bb.108:                              ;   in Loop: Header=BB156_51 Depth=1
	s_andn2_saveexec_b64 s[10:11], s[0:1]
; %bb.109:                              ;   in Loop: Header=BB156_51 Depth=1
	v_or_b32_e32 v3, 0x10000, v2
	v_cmp_eq_u32_sdwa s[0:1], v2, v24 src0_sel:WORD_0 src1_sel:DWORD
	v_cndmask_b32_e64 v28, v3, v2, s[0:1]
; %bb.110:                              ;   in Loop: Header=BB156_51 Depth=1
	s_or_b64 exec, exec, s[10:11]
	v_and_b32_e32 v45, 0xffff0000, v29
	v_lshlrev_b32_e32 v2, 16, v5
	v_mul_f32_e32 v2, v45, v2
	v_and_b32_e32 v3, 0x7f800000, v2
	v_cmp_ne_u32_e64 s[0:1], s17, v3
                                        ; implicit-def: $vgpr29
	s_and_saveexec_b64 s[10:11], s[0:1]
	s_xor_b64 s[0:1], exec, s[10:11]
; %bb.111:                              ;   in Loop: Header=BB156_51 Depth=1
	v_bfe_u32 v3, v2, 16, 1
	v_add3_u32 v29, v2, v3, s18
                                        ; implicit-def: $vgpr2
; %bb.112:                              ;   in Loop: Header=BB156_51 Depth=1
	s_andn2_saveexec_b64 s[10:11], s[0:1]
; %bb.113:                              ;   in Loop: Header=BB156_51 Depth=1
	v_or_b32_e32 v3, 0x10000, v2
	v_cmp_eq_u32_sdwa s[0:1], v2, v24 src0_sel:WORD_0 src1_sel:DWORD
	v_cndmask_b32_e64 v29, v3, v2, s[0:1]
; %bb.114:                              ;   in Loop: Header=BB156_51 Depth=1
	s_or_b64 exec, exec, s[10:11]
	v_and_b32_e32 v46, 0xffff0000, v38
	v_lshlrev_b32_e32 v2, 16, v47
	v_mul_f32_e32 v2, v46, v2
	v_and_b32_e32 v3, 0x7f800000, v2
	v_cmp_ne_u32_e64 s[0:1], s17, v3
                                        ; implicit-def: $vgpr38
	s_and_saveexec_b64 s[10:11], s[0:1]
	s_xor_b64 s[0:1], exec, s[10:11]
; %bb.115:                              ;   in Loop: Header=BB156_51 Depth=1
	v_bfe_u32 v3, v2, 16, 1
	v_add3_u32 v38, v2, v3, s18
                                        ; implicit-def: $vgpr2
; %bb.116:                              ;   in Loop: Header=BB156_51 Depth=1
	s_andn2_saveexec_b64 s[10:11], s[0:1]
; %bb.117:                              ;   in Loop: Header=BB156_51 Depth=1
	v_or_b32_e32 v3, 0x10000, v2
	v_cmp_eq_u32_sdwa s[0:1], v2, v24 src0_sel:WORD_0 src1_sel:DWORD
	v_cndmask_b32_e64 v38, v3, v2, s[0:1]
; %bb.118:                              ;   in Loop: Header=BB156_51 Depth=1
	s_or_b64 exec, exec, s[10:11]
	global_load_dwordx4 v[2:5], v[6:7], off offset:1024
	s_waitcnt vmcnt(0)
	v_lshrrev_b32_e32 v48, 16, v2
	v_lshrrev_b32_e32 v50, 16, v3
	;; [unrolled: 1-line block ×4, first 2 shown]
	s_and_saveexec_b64 s[10:11], vcc
	s_cbranch_execz .LBB156_120
; %bb.119:                              ;   in Loop: Header=BB156_51 Depth=1
	v_cmp_gt_i32_e64 s[0:1], s33, v30
	v_cndmask_b32_e64 v2, 0, v2, s[0:1]
	v_cmp_gt_i32_e64 s[0:1], s33, v37
	v_cndmask_b32_e64 v48, 0, v48, s[0:1]
	;; [unrolled: 2-line block ×8, first 2 shown]
.LBB156_120:                            ;   in Loop: Header=BB156_51 Depth=1
	s_or_b64 exec, exec, s[10:11]
	v_lshlrev_b32_e32 v2, 16, v2
	v_mul_f32_e32 v2, v39, v2
	v_and_b32_e32 v47, 0x7f800000, v2
	v_cmp_ne_u32_e64 s[0:1], s17, v47
                                        ; implicit-def: $vgpr47
	s_and_saveexec_b64 s[10:11], s[0:1]
	s_xor_b64 s[0:1], exec, s[10:11]
; %bb.121:                              ;   in Loop: Header=BB156_51 Depth=1
	v_bfe_u32 v47, v2, 16, 1
	v_add3_u32 v47, v2, v47, s18
                                        ; implicit-def: $vgpr2
; %bb.122:                              ;   in Loop: Header=BB156_51 Depth=1
	s_andn2_saveexec_b64 s[10:11], s[0:1]
; %bb.123:                              ;   in Loop: Header=BB156_51 Depth=1
	v_or_b32_e32 v47, 0x10000, v2
	v_cmp_eq_u32_sdwa s[0:1], v2, v24 src0_sel:WORD_0 src1_sel:DWORD
	v_cndmask_b32_e64 v47, v47, v2, s[0:1]
; %bb.124:                              ;   in Loop: Header=BB156_51 Depth=1
	s_or_b64 exec, exec, s[10:11]
	v_lshlrev_b32_e32 v2, 16, v48
	v_mul_f32_e32 v2, v40, v2
	v_and_b32_e32 v48, 0x7f800000, v2
	v_cmp_ne_u32_e64 s[0:1], s17, v48
                                        ; implicit-def: $vgpr48
	s_and_saveexec_b64 s[10:11], s[0:1]
	s_xor_b64 s[0:1], exec, s[10:11]
; %bb.125:                              ;   in Loop: Header=BB156_51 Depth=1
	v_bfe_u32 v48, v2, 16, 1
	v_add3_u32 v48, v2, v48, s18
                                        ; implicit-def: $vgpr2
; %bb.126:                              ;   in Loop: Header=BB156_51 Depth=1
	s_andn2_saveexec_b64 s[10:11], s[0:1]
; %bb.127:                              ;   in Loop: Header=BB156_51 Depth=1
	v_or_b32_e32 v48, 0x10000, v2
	v_cmp_eq_u32_sdwa s[0:1], v2, v24 src0_sel:WORD_0 src1_sel:DWORD
	v_cndmask_b32_e64 v48, v48, v2, s[0:1]
; %bb.128:                              ;   in Loop: Header=BB156_51 Depth=1
	s_or_b64 exec, exec, s[10:11]
	v_lshlrev_b32_e32 v2, 16, v3
	v_mul_f32_e32 v2, v41, v2
	v_and_b32_e32 v3, 0x7f800000, v2
	v_cmp_ne_u32_e64 s[0:1], s17, v3
                                        ; implicit-def: $vgpr49
	s_and_saveexec_b64 s[10:11], s[0:1]
	s_xor_b64 s[0:1], exec, s[10:11]
; %bb.129:                              ;   in Loop: Header=BB156_51 Depth=1
	v_bfe_u32 v3, v2, 16, 1
	v_add3_u32 v49, v2, v3, s18
                                        ; implicit-def: $vgpr2
; %bb.130:                              ;   in Loop: Header=BB156_51 Depth=1
	s_andn2_saveexec_b64 s[10:11], s[0:1]
; %bb.131:                              ;   in Loop: Header=BB156_51 Depth=1
	v_or_b32_e32 v3, 0x10000, v2
	v_cmp_eq_u32_sdwa s[0:1], v2, v24 src0_sel:WORD_0 src1_sel:DWORD
	v_cndmask_b32_e64 v49, v3, v2, s[0:1]
; %bb.132:                              ;   in Loop: Header=BB156_51 Depth=1
	s_or_b64 exec, exec, s[10:11]
	v_lshlrev_b32_e32 v2, 16, v50
	v_mul_f32_e32 v2, v42, v2
	v_and_b32_e32 v3, 0x7f800000, v2
	v_cmp_ne_u32_e64 s[0:1], s17, v3
                                        ; implicit-def: $vgpr50
	s_and_saveexec_b64 s[10:11], s[0:1]
	s_xor_b64 s[0:1], exec, s[10:11]
; %bb.133:                              ;   in Loop: Header=BB156_51 Depth=1
	v_bfe_u32 v3, v2, 16, 1
	v_add3_u32 v50, v2, v3, s18
                                        ; implicit-def: $vgpr2
; %bb.134:                              ;   in Loop: Header=BB156_51 Depth=1
	s_andn2_saveexec_b64 s[10:11], s[0:1]
; %bb.135:                              ;   in Loop: Header=BB156_51 Depth=1
	v_or_b32_e32 v3, 0x10000, v2
	v_cmp_eq_u32_sdwa s[0:1], v2, v24 src0_sel:WORD_0 src1_sel:DWORD
	v_cndmask_b32_e64 v50, v3, v2, s[0:1]
; %bb.136:                              ;   in Loop: Header=BB156_51 Depth=1
	s_or_b64 exec, exec, s[10:11]
	v_lshlrev_b32_e32 v2, 16, v4
	v_mul_f32_e32 v2, v43, v2
	v_and_b32_e32 v3, 0x7f800000, v2
	v_cmp_ne_u32_e64 s[0:1], s17, v3
                                        ; implicit-def: $vgpr51
	s_and_saveexec_b64 s[10:11], s[0:1]
	s_xor_b64 s[0:1], exec, s[10:11]
; %bb.137:                              ;   in Loop: Header=BB156_51 Depth=1
	v_bfe_u32 v3, v2, 16, 1
	v_add3_u32 v51, v2, v3, s18
                                        ; implicit-def: $vgpr2
; %bb.138:                              ;   in Loop: Header=BB156_51 Depth=1
	s_andn2_saveexec_b64 s[10:11], s[0:1]
; %bb.139:                              ;   in Loop: Header=BB156_51 Depth=1
	v_or_b32_e32 v3, 0x10000, v2
	v_cmp_eq_u32_sdwa s[0:1], v2, v24 src0_sel:WORD_0 src1_sel:DWORD
	v_cndmask_b32_e64 v51, v3, v2, s[0:1]
; %bb.140:                              ;   in Loop: Header=BB156_51 Depth=1
	s_or_b64 exec, exec, s[10:11]
	v_lshlrev_b32_e32 v2, 16, v52
	v_mul_f32_e32 v2, v44, v2
	v_and_b32_e32 v3, 0x7f800000, v2
	v_cmp_ne_u32_e64 s[0:1], s17, v3
                                        ; implicit-def: $vgpr52
	s_and_saveexec_b64 s[10:11], s[0:1]
	s_xor_b64 s[0:1], exec, s[10:11]
; %bb.141:                              ;   in Loop: Header=BB156_51 Depth=1
	v_bfe_u32 v3, v2, 16, 1
	v_add3_u32 v52, v2, v3, s18
                                        ; implicit-def: $vgpr2
; %bb.142:                              ;   in Loop: Header=BB156_51 Depth=1
	s_andn2_saveexec_b64 s[10:11], s[0:1]
; %bb.143:                              ;   in Loop: Header=BB156_51 Depth=1
	v_or_b32_e32 v3, 0x10000, v2
	v_cmp_eq_u32_sdwa s[0:1], v2, v24 src0_sel:WORD_0 src1_sel:DWORD
	v_cndmask_b32_e64 v52, v3, v2, s[0:1]
; %bb.144:                              ;   in Loop: Header=BB156_51 Depth=1
	s_or_b64 exec, exec, s[10:11]
	v_lshlrev_b32_e32 v2, 16, v5
	v_mul_f32_e32 v2, v45, v2
	v_and_b32_e32 v3, 0x7f800000, v2
	v_cmp_ne_u32_e64 s[0:1], s17, v3
                                        ; implicit-def: $vgpr53
	s_and_saveexec_b64 s[10:11], s[0:1]
	s_xor_b64 s[0:1], exec, s[10:11]
; %bb.145:                              ;   in Loop: Header=BB156_51 Depth=1
	v_bfe_u32 v3, v2, 16, 1
	v_add3_u32 v53, v2, v3, s18
                                        ; implicit-def: $vgpr2
; %bb.146:                              ;   in Loop: Header=BB156_51 Depth=1
	s_andn2_saveexec_b64 s[10:11], s[0:1]
; %bb.147:                              ;   in Loop: Header=BB156_51 Depth=1
	v_or_b32_e32 v3, 0x10000, v2
	v_cmp_eq_u32_sdwa s[0:1], v2, v24 src0_sel:WORD_0 src1_sel:DWORD
	v_cndmask_b32_e64 v53, v3, v2, s[0:1]
; %bb.148:                              ;   in Loop: Header=BB156_51 Depth=1
	s_or_b64 exec, exec, s[10:11]
	v_lshlrev_b32_e32 v2, 16, v54
	v_mul_f32_e32 v2, v46, v2
	v_and_b32_e32 v3, 0x7f800000, v2
	v_cmp_ne_u32_e64 s[0:1], s17, v3
                                        ; implicit-def: $vgpr54
	s_and_saveexec_b64 s[10:11], s[0:1]
	s_xor_b64 s[0:1], exec, s[10:11]
; %bb.149:                              ;   in Loop: Header=BB156_51 Depth=1
	v_bfe_u32 v3, v2, 16, 1
	v_add3_u32 v54, v2, v3, s18
                                        ; implicit-def: $vgpr2
; %bb.150:                              ;   in Loop: Header=BB156_51 Depth=1
	s_andn2_saveexec_b64 s[10:11], s[0:1]
; %bb.151:                              ;   in Loop: Header=BB156_51 Depth=1
	v_or_b32_e32 v3, 0x10000, v2
	v_cmp_eq_u32_sdwa s[0:1], v2, v24 src0_sel:WORD_0 src1_sel:DWORD
	v_cndmask_b32_e64 v54, v3, v2, s[0:1]
; %bb.152:                              ;   in Loop: Header=BB156_51 Depth=1
	s_or_b64 exec, exec, s[10:11]
	global_load_dwordx4 v[2:5], v[6:7], off offset:2048
	s_waitcnt vmcnt(0)
	v_lshrrev_b32_e32 v7, 16, v2
	v_lshrrev_b32_e32 v56, 16, v3
	;; [unrolled: 1-line block ×4, first 2 shown]
	s_and_saveexec_b64 s[0:1], vcc
	s_cbranch_execz .LBB156_154
; %bb.153:                              ;   in Loop: Header=BB156_51 Depth=1
	v_cmp_gt_i32_e32 vcc, s33, v30
	v_cndmask_b32_e32 v2, 0, v2, vcc
	v_cmp_gt_i32_e32 vcc, s33, v37
	v_cndmask_b32_e32 v7, 0, v7, vcc
	;; [unrolled: 2-line block ×8, first 2 shown]
.LBB156_154:                            ;   in Loop: Header=BB156_51 Depth=1
	s_or_b64 exec, exec, s[0:1]
	v_lshlrev_b32_e32 v2, 16, v2
	v_mul_f32_e32 v30, v39, v2
	v_and_b32_e32 v2, 0x7f800000, v30
	v_cmp_ne_u32_e32 vcc, s17, v2
                                        ; implicit-def: $vgpr2
	s_and_saveexec_b64 s[0:1], vcc
	s_xor_b64 s[0:1], exec, s[0:1]
; %bb.155:                              ;   in Loop: Header=BB156_51 Depth=1
	v_bfe_u32 v2, v30, 16, 1
	v_add3_u32 v2, v30, v2, s18
                                        ; implicit-def: $vgpr30
; %bb.156:                              ;   in Loop: Header=BB156_51 Depth=1
	s_andn2_saveexec_b64 s[0:1], s[0:1]
; %bb.157:                              ;   in Loop: Header=BB156_51 Depth=1
	v_or_b32_e32 v2, 0x10000, v30
	v_cmp_eq_u32_sdwa vcc, v30, v24 src0_sel:WORD_0 src1_sel:DWORD
	v_cndmask_b32_e32 v2, v2, v30, vcc
; %bb.158:                              ;   in Loop: Header=BB156_51 Depth=1
	s_or_b64 exec, exec, s[0:1]
	v_lshlrev_b32_e32 v7, 16, v7
	v_mul_f32_e32 v30, v40, v7
	v_and_b32_e32 v7, 0x7f800000, v30
	v_cmp_ne_u32_e32 vcc, s17, v7
                                        ; implicit-def: $vgpr7
	s_and_saveexec_b64 s[0:1], vcc
	s_xor_b64 s[0:1], exec, s[0:1]
; %bb.159:                              ;   in Loop: Header=BB156_51 Depth=1
	v_bfe_u32 v7, v30, 16, 1
	v_add3_u32 v7, v30, v7, s18
                                        ; implicit-def: $vgpr30
; %bb.160:                              ;   in Loop: Header=BB156_51 Depth=1
	s_andn2_saveexec_b64 s[0:1], s[0:1]
; %bb.161:                              ;   in Loop: Header=BB156_51 Depth=1
	v_or_b32_e32 v7, 0x10000, v30
	v_cmp_eq_u32_sdwa vcc, v30, v24 src0_sel:WORD_0 src1_sel:DWORD
	v_cndmask_b32_e32 v7, v7, v30, vcc
; %bb.162:                              ;   in Loop: Header=BB156_51 Depth=1
	s_or_b64 exec, exec, s[0:1]
	v_lshlrev_b32_e32 v3, 16, v3
	v_mul_f32_e32 v30, v41, v3
	v_and_b32_e32 v3, 0x7f800000, v30
	v_cmp_ne_u32_e32 vcc, s17, v3
                                        ; implicit-def: $vgpr3
	s_and_saveexec_b64 s[0:1], vcc
	s_xor_b64 s[0:1], exec, s[0:1]
; %bb.163:                              ;   in Loop: Header=BB156_51 Depth=1
	v_bfe_u32 v3, v30, 16, 1
	v_add3_u32 v3, v30, v3, s18
                                        ; implicit-def: $vgpr30
; %bb.164:                              ;   in Loop: Header=BB156_51 Depth=1
	s_andn2_saveexec_b64 s[0:1], s[0:1]
; %bb.165:                              ;   in Loop: Header=BB156_51 Depth=1
	v_or_b32_e32 v3, 0x10000, v30
	v_cmp_eq_u32_sdwa vcc, v30, v24 src0_sel:WORD_0 src1_sel:DWORD
	v_cndmask_b32_e32 v3, v3, v30, vcc
; %bb.166:                              ;   in Loop: Header=BB156_51 Depth=1
	s_or_b64 exec, exec, s[0:1]
	v_lshlrev_b32_e32 v30, 16, v56
	v_mul_f32_e32 v31, v42, v30
	v_and_b32_e32 v30, 0x7f800000, v31
	v_cmp_ne_u32_e32 vcc, s17, v30
                                        ; implicit-def: $vgpr30
	s_and_saveexec_b64 s[0:1], vcc
	s_xor_b64 s[0:1], exec, s[0:1]
; %bb.167:                              ;   in Loop: Header=BB156_51 Depth=1
	v_bfe_u32 v30, v31, 16, 1
	v_add3_u32 v30, v31, v30, s18
                                        ; implicit-def: $vgpr31
; %bb.168:                              ;   in Loop: Header=BB156_51 Depth=1
	s_andn2_saveexec_b64 s[0:1], s[0:1]
; %bb.169:                              ;   in Loop: Header=BB156_51 Depth=1
	v_or_b32_e32 v30, 0x10000, v31
	v_cmp_eq_u32_sdwa vcc, v31, v24 src0_sel:WORD_0 src1_sel:DWORD
	v_cndmask_b32_e32 v30, v30, v31, vcc
; %bb.170:                              ;   in Loop: Header=BB156_51 Depth=1
	s_or_b64 exec, exec, s[0:1]
	v_lshlrev_b32_e32 v4, 16, v4
	v_mul_f32_e32 v31, v43, v4
	v_and_b32_e32 v4, 0x7f800000, v31
	v_cmp_ne_u32_e32 vcc, s17, v4
                                        ; implicit-def: $vgpr4
	s_and_saveexec_b64 s[0:1], vcc
	s_xor_b64 s[0:1], exec, s[0:1]
; %bb.171:                              ;   in Loop: Header=BB156_51 Depth=1
	v_bfe_u32 v4, v31, 16, 1
	v_add3_u32 v4, v31, v4, s18
                                        ; implicit-def: $vgpr31
; %bb.172:                              ;   in Loop: Header=BB156_51 Depth=1
	s_andn2_saveexec_b64 s[0:1], s[0:1]
; %bb.173:                              ;   in Loop: Header=BB156_51 Depth=1
	v_or_b32_e32 v4, 0x10000, v31
	v_cmp_eq_u32_sdwa vcc, v31, v24 src0_sel:WORD_0 src1_sel:DWORD
	v_cndmask_b32_e32 v4, v4, v31, vcc
; %bb.174:                              ;   in Loop: Header=BB156_51 Depth=1
	s_or_b64 exec, exec, s[0:1]
	v_lshlrev_b32_e32 v31, 16, v55
	v_mul_f32_e32 v32, v44, v31
	v_and_b32_e32 v31, 0x7f800000, v32
	v_cmp_ne_u32_e32 vcc, s17, v31
                                        ; implicit-def: $vgpr31
	s_and_saveexec_b64 s[0:1], vcc
	s_xor_b64 s[0:1], exec, s[0:1]
; %bb.175:                              ;   in Loop: Header=BB156_51 Depth=1
	v_bfe_u32 v31, v32, 16, 1
	v_add3_u32 v31, v32, v31, s18
                                        ; implicit-def: $vgpr32
; %bb.176:                              ;   in Loop: Header=BB156_51 Depth=1
	s_andn2_saveexec_b64 s[0:1], s[0:1]
; %bb.177:                              ;   in Loop: Header=BB156_51 Depth=1
	v_or_b32_e32 v31, 0x10000, v32
	v_cmp_eq_u32_sdwa vcc, v32, v24 src0_sel:WORD_0 src1_sel:DWORD
	v_cndmask_b32_e32 v31, v31, v32, vcc
; %bb.178:                              ;   in Loop: Header=BB156_51 Depth=1
	s_or_b64 exec, exec, s[0:1]
	v_lshlrev_b32_e32 v5, 16, v5
	v_mul_f32_e32 v32, v45, v5
	v_and_b32_e32 v5, 0x7f800000, v32
	v_cmp_ne_u32_e32 vcc, s17, v5
                                        ; implicit-def: $vgpr5
	s_and_saveexec_b64 s[0:1], vcc
	s_xor_b64 s[0:1], exec, s[0:1]
; %bb.179:                              ;   in Loop: Header=BB156_51 Depth=1
	v_bfe_u32 v5, v32, 16, 1
	v_add3_u32 v5, v32, v5, s18
                                        ; implicit-def: $vgpr32
; %bb.180:                              ;   in Loop: Header=BB156_51 Depth=1
	s_andn2_saveexec_b64 s[0:1], s[0:1]
; %bb.181:                              ;   in Loop: Header=BB156_51 Depth=1
	v_or_b32_e32 v5, 0x10000, v32
	v_cmp_eq_u32_sdwa vcc, v32, v24 src0_sel:WORD_0 src1_sel:DWORD
	v_cndmask_b32_e32 v5, v5, v32, vcc
; %bb.182:                              ;   in Loop: Header=BB156_51 Depth=1
	s_or_b64 exec, exec, s[0:1]
	v_lshlrev_b32_e32 v6, 16, v6
	v_mul_f32_e32 v32, v46, v6
	v_and_b32_e32 v6, 0x7f800000, v32
	v_cmp_ne_u32_e32 vcc, s17, v6
                                        ; implicit-def: $vgpr6
	s_and_saveexec_b64 s[0:1], vcc
	s_xor_b64 s[0:1], exec, s[0:1]
; %bb.183:                              ;   in Loop: Header=BB156_51 Depth=1
	v_bfe_u32 v6, v32, 16, 1
	v_add3_u32 v6, v32, v6, s18
                                        ; implicit-def: $vgpr32
; %bb.184:                              ;   in Loop: Header=BB156_51 Depth=1
	s_andn2_saveexec_b64 s[0:1], s[0:1]
	s_cbranch_execz .LBB156_49
; %bb.185:                              ;   in Loop: Header=BB156_51 Depth=1
	v_or_b32_e32 v6, 0x10000, v32
	v_cmp_eq_u32_sdwa vcc, v32, v24 src0_sel:WORD_0 src1_sel:DWORD
	v_cndmask_b32_e32 v6, v6, v32, vcc
	s_branch .LBB156_49
.LBB156_186:
	s_or_b64 exec, exec, s[4:5]
.LBB156_187:
	s_or_b64 exec, exec, s[2:3]
	ds_bpermute_b32 v2, v18, v10
	ds_bpermute_b32 v3, v18, v11
	;; [unrolled: 1-line block ×3, first 2 shown]
	s_waitcnt lgkmcnt(0)
	s_barrier
	v_pk_add_f32 v[4:5], v[10:11], v[2:3]
	v_add_f32_e32 v2, v12, v1
	v_and_b32_e32 v1, 0x3c1, v0
	v_cmp_eq_u32_e32 vcc, 64, v1
	s_and_saveexec_b64 s[0:1], vcc
	s_cbranch_execz .LBB156_189
; %bb.188:
	v_mov_b32_e32 v1, 0xd0
	v_lshl_add_u32 v1, v13, 1, v1
	ds_write2_b32 v1, v4, v5 offset1:32
	ds_write_b32 v1, v2 offset:256
.LBB156_189:
	s_or_b64 exec, exec, s[0:1]
	v_cmp_gt_u32_e32 vcc, 64, v0
	v_cmp_lt_u32_e64 s[0:1], 63, v0
	s_waitcnt lgkmcnt(0)
	s_barrier
	s_and_saveexec_b64 s[2:3], s[0:1]
	s_xor_b64 s[0:1], exec, s[2:3]
	s_andn2_saveexec_b64 s[2:3], s[0:1]
	s_cbranch_execz .LBB156_195
; %bb.190:
	v_cmp_eq_u32_e64 s[0:1], 0, v19
	v_lshrrev_b32_e32 v1, 1, v0
	s_and_saveexec_b64 s[4:5], s[0:1]
	s_cbranch_execnz .LBB156_211
; %bb.191:
	s_or_b64 exec, exec, s[4:5]
	s_and_saveexec_b64 s[4:5], s[0:1]
	s_cbranch_execnz .LBB156_212
.LBB156_192:
	s_or_b64 exec, exec, s[4:5]
	s_and_saveexec_b64 s[4:5], s[0:1]
	s_cbranch_execz .LBB156_194
.LBB156_193:
	v_mov_b32_e32 v3, 0xd0
	v_lshl_add_u32 v1, v1, 2, v3
	ds_read_b32 v1, v1 offset:256
	s_waitcnt lgkmcnt(0)
	v_add_f32_e32 v2, v2, v1
.LBB156_194:
	s_or_b64 exec, exec, s[4:5]
.LBB156_195:
	s_or_b64 exec, exec, s[2:3]
	s_barrier
	s_and_saveexec_b64 s[0:1], vcc
	s_cbranch_execz .LBB156_210
; %bb.196:
	v_cmp_eq_u32_e32 vcc, 0, v19
	s_and_b64 exec, exec, vcc
	s_cbranch_execz .LBB156_210
; %bb.197:
	s_mov_b32 s0, 0x7f800000
	v_and_b32_e32 v1, 0x7f800000, v4
	v_cmp_ne_u32_e32 vcc, s0, v1
                                        ; implicit-def: $vgpr3
	s_and_saveexec_b64 s[0:1], vcc
	s_xor_b64 s[0:1], exec, s[0:1]
; %bb.198:
	v_bfe_u32 v1, v4, 16, 1
	s_movk_i32 s2, 0x7fff
	v_add3_u32 v3, v4, v1, s2
; %bb.199:
	s_andn2_saveexec_b64 s[0:1], s[0:1]
; %bb.200:
	v_mov_b32_e32 v1, 0
	v_or_b32_e32 v3, 0x10000, v4
	v_cmp_eq_u32_sdwa vcc, v4, v1 src0_sel:WORD_0 src1_sel:DWORD
	v_cndmask_b32_e32 v3, v3, v4, vcc
; %bb.201:
	s_or_b64 exec, exec, s[0:1]
	s_mul_i32 s0, s12, s24
	s_mul_i32 s0, s0, s25
	s_mulk_i32 s0, 0x60
	s_ashr_i32 s1, s0, 31
	s_lshl_b64 s[0:1], s[0:1], 1
	s_add_u32 s2, s28, s0
	s_mul_i32 s0, s12, s26
	s_addc_u32 s3, s29, s1
	s_ashr_i32 s1, s0, 31
	s_lshl_b64 s[0:1], s[0:1], 1
	s_add_u32 s2, s2, s0
	s_mul_i32 s0, s8, 0x60
	s_addc_u32 s3, s3, s1
	s_ashr_i32 s1, s0, 31
	s_lshl_b64 s[0:1], s[0:1], 1
	s_add_u32 s0, s2, s0
	s_addc_u32 s1, s3, s1
	v_and_b32_e32 v4, 0x3fe, v0
	v_mov_b32_e32 v1, s1
	v_add_co_u32_e32 v0, vcc, s0, v4
	v_addc_co_u32_e32 v1, vcc, 0, v1, vcc
	global_store_short_d16_hi v4, v3, s[0:1]
	s_mov_b32 s0, 0x7f800000
	v_and_b32_e32 v3, 0x7f800000, v5
	v_cmp_ne_u32_e32 vcc, s0, v3
                                        ; implicit-def: $vgpr3
	s_and_saveexec_b64 s[0:1], vcc
	s_xor_b64 s[0:1], exec, s[0:1]
; %bb.202:
	v_bfe_u32 v3, v5, 16, 1
	s_movk_i32 s2, 0x7fff
	v_add3_u32 v3, v5, v3, s2
                                        ; implicit-def: $vgpr4_vgpr5_vgpr6
; %bb.203:
	s_andn2_saveexec_b64 s[0:1], s[0:1]
; %bb.204:
	v_mov_b32_e32 v3, 0
	v_or_b32_e32 v4, 0x10000, v5
	v_cmp_eq_u32_sdwa vcc, v5, v3 src0_sel:WORD_0 src1_sel:DWORD
	v_cndmask_b32_e32 v3, v4, v5, vcc
; %bb.205:
	s_or_b64 exec, exec, s[0:1]
	global_store_short_d16_hi v[0:1], v3, off offset:64
	s_mov_b32 s0, 0x7f800000
	v_and_b32_e32 v3, 0x7f800000, v2
	v_cmp_ne_u32_e32 vcc, s0, v3
                                        ; implicit-def: $vgpr3
	s_and_saveexec_b64 s[0:1], vcc
	s_xor_b64 s[0:1], exec, s[0:1]
; %bb.206:
	v_bfe_u32 v3, v2, 16, 1
	s_movk_i32 s2, 0x7fff
	v_add3_u32 v3, v2, v3, s2
                                        ; implicit-def: $vgpr2
; %bb.207:
	s_andn2_saveexec_b64 s[0:1], s[0:1]
; %bb.208:
	v_mov_b32_e32 v3, 0
	v_or_b32_e32 v4, 0x10000, v2
	v_cmp_eq_u32_sdwa vcc, v2, v3 src0_sel:WORD_0 src1_sel:DWORD
	v_cndmask_b32_e32 v3, v4, v2, vcc
; %bb.209:
	s_or_b64 exec, exec, s[0:1]
	global_store_short_d16_hi v[0:1], v3, off offset:128
.LBB156_210:
	s_endpgm
.LBB156_211:
	v_mov_b32_e32 v3, 0xd0
	v_lshl_add_u32 v3, v1, 2, v3
	ds_read_b32 v3, v3
	s_waitcnt lgkmcnt(0)
	v_add_f32_e32 v4, v4, v3
	s_or_b64 exec, exec, s[4:5]
	s_and_saveexec_b64 s[4:5], s[0:1]
	s_cbranch_execz .LBB156_192
.LBB156_212:
	v_mov_b32_e32 v3, 0xd0
	v_lshl_add_u32 v3, v1, 2, v3
	ds_read_b32 v3, v3 offset:128
	s_waitcnt lgkmcnt(0)
	v_add_f32_e32 v5, v5, v3
	s_or_b64 exec, exec, s[4:5]
	s_and_saveexec_b64 s[4:5], s[0:1]
	s_cbranch_execnz .LBB156_193
	s_branch .LBB156_194
	.section	.rodata,"a",@progbits
	.p2align	6, 0x0
	.amdhsa_kernel _ZN4vllm25paged_attention_v2_kernelI14__hip_bfloat16S1_Li96ELi16ELi128ELNS_18Fp8KVCacheDataTypeE0ELb1ELi512EEEvPfS3_PT_PKS4_PKT0_SA_ifPKiSC_iPKfiiiSE_SE_iiiii
		.amdhsa_group_segment_fixed_size 208
		.amdhsa_private_segment_fixed_size 0
		.amdhsa_kernarg_size 400
		.amdhsa_user_sgpr_count 6
		.amdhsa_user_sgpr_private_segment_buffer 1
		.amdhsa_user_sgpr_dispatch_ptr 0
		.amdhsa_user_sgpr_queue_ptr 0
		.amdhsa_user_sgpr_kernarg_segment_ptr 1
		.amdhsa_user_sgpr_dispatch_id 0
		.amdhsa_user_sgpr_flat_scratch_init 0
		.amdhsa_user_sgpr_kernarg_preload_length 0
		.amdhsa_user_sgpr_kernarg_preload_offset 0
		.amdhsa_user_sgpr_private_segment_size 0
		.amdhsa_uses_dynamic_stack 0
		.amdhsa_system_sgpr_private_segment_wavefront_offset 0
		.amdhsa_system_sgpr_workgroup_id_x 1
		.amdhsa_system_sgpr_workgroup_id_y 1
		.amdhsa_system_sgpr_workgroup_id_z 1
		.amdhsa_system_sgpr_workgroup_info 0
		.amdhsa_system_vgpr_workitem_id 0
		.amdhsa_next_free_vgpr 71
		.amdhsa_next_free_sgpr 52
		.amdhsa_accum_offset 72
		.amdhsa_reserve_vcc 1
		.amdhsa_reserve_flat_scratch 0
		.amdhsa_float_round_mode_32 0
		.amdhsa_float_round_mode_16_64 0
		.amdhsa_float_denorm_mode_32 3
		.amdhsa_float_denorm_mode_16_64 3
		.amdhsa_dx10_clamp 1
		.amdhsa_ieee_mode 1
		.amdhsa_fp16_overflow 0
		.amdhsa_tg_split 0
		.amdhsa_exception_fp_ieee_invalid_op 0
		.amdhsa_exception_fp_denorm_src 0
		.amdhsa_exception_fp_ieee_div_zero 0
		.amdhsa_exception_fp_ieee_overflow 0
		.amdhsa_exception_fp_ieee_underflow 0
		.amdhsa_exception_fp_ieee_inexact 0
		.amdhsa_exception_int_div_zero 0
	.end_amdhsa_kernel
	.section	.text._ZN4vllm25paged_attention_v2_kernelI14__hip_bfloat16S1_Li96ELi16ELi128ELNS_18Fp8KVCacheDataTypeE0ELb1ELi512EEEvPfS3_PT_PKS4_PKT0_SA_ifPKiSC_iPKfiiiSE_SE_iiiii,"axG",@progbits,_ZN4vllm25paged_attention_v2_kernelI14__hip_bfloat16S1_Li96ELi16ELi128ELNS_18Fp8KVCacheDataTypeE0ELb1ELi512EEEvPfS3_PT_PKS4_PKT0_SA_ifPKiSC_iPKfiiiSE_SE_iiiii,comdat
.Lfunc_end156:
	.size	_ZN4vllm25paged_attention_v2_kernelI14__hip_bfloat16S1_Li96ELi16ELi128ELNS_18Fp8KVCacheDataTypeE0ELb1ELi512EEEvPfS3_PT_PKS4_PKT0_SA_ifPKiSC_iPKfiiiSE_SE_iiiii, .Lfunc_end156-_ZN4vllm25paged_attention_v2_kernelI14__hip_bfloat16S1_Li96ELi16ELi128ELNS_18Fp8KVCacheDataTypeE0ELb1ELi512EEEvPfS3_PT_PKS4_PKT0_SA_ifPKiSC_iPKfiiiSE_SE_iiiii
                                        ; -- End function
	.section	.AMDGPU.csdata,"",@progbits
; Kernel info:
; codeLenInByte = 8056
; NumSgprs: 56
; NumVgprs: 71
; NumAgprs: 0
; TotalNumVgprs: 71
; ScratchSize: 0
; MemoryBound: 0
; FloatMode: 240
; IeeeMode: 1
; LDSByteSize: 208 bytes/workgroup (compile time only)
; SGPRBlocks: 6
; VGPRBlocks: 8
; NumSGPRsForWavesPerEU: 56
; NumVGPRsForWavesPerEU: 71
; AccumOffset: 72
; Occupancy: 7
; WaveLimiterHint : 1
; COMPUTE_PGM_RSRC2:SCRATCH_EN: 0
; COMPUTE_PGM_RSRC2:USER_SGPR: 6
; COMPUTE_PGM_RSRC2:TRAP_HANDLER: 0
; COMPUTE_PGM_RSRC2:TGID_X_EN: 1
; COMPUTE_PGM_RSRC2:TGID_Y_EN: 1
; COMPUTE_PGM_RSRC2:TGID_Z_EN: 1
; COMPUTE_PGM_RSRC2:TIDIG_COMP_CNT: 0
; COMPUTE_PGM_RSRC3_GFX90A:ACCUM_OFFSET: 17
; COMPUTE_PGM_RSRC3_GFX90A:TG_SPLIT: 0
	.section	.text._ZN4vllm25paged_attention_v2_kernelI14__hip_bfloat16S1_Li112ELi16ELi128ELNS_18Fp8KVCacheDataTypeE0ELb1ELi512EEEvPfS3_PT_PKS4_PKT0_SA_ifPKiSC_iPKfiiiSE_SE_iiiii,"axG",@progbits,_ZN4vllm25paged_attention_v2_kernelI14__hip_bfloat16S1_Li112ELi16ELi128ELNS_18Fp8KVCacheDataTypeE0ELb1ELi512EEEvPfS3_PT_PKS4_PKT0_SA_ifPKiSC_iPKfiiiSE_SE_iiiii,comdat
	.protected	_ZN4vllm25paged_attention_v2_kernelI14__hip_bfloat16S1_Li112ELi16ELi128ELNS_18Fp8KVCacheDataTypeE0ELb1ELi512EEEvPfS3_PT_PKS4_PKT0_SA_ifPKiSC_iPKfiiiSE_SE_iiiii ; -- Begin function _ZN4vllm25paged_attention_v2_kernelI14__hip_bfloat16S1_Li112ELi16ELi128ELNS_18Fp8KVCacheDataTypeE0ELb1ELi512EEEvPfS3_PT_PKS4_PKT0_SA_ifPKiSC_iPKfiiiSE_SE_iiiii
	.globl	_ZN4vllm25paged_attention_v2_kernelI14__hip_bfloat16S1_Li112ELi16ELi128ELNS_18Fp8KVCacheDataTypeE0ELb1ELi512EEEvPfS3_PT_PKS4_PKT0_SA_ifPKiSC_iPKfiiiSE_SE_iiiii
	.p2align	8
	.type	_ZN4vllm25paged_attention_v2_kernelI14__hip_bfloat16S1_Li112ELi16ELi128ELNS_18Fp8KVCacheDataTypeE0ELb1ELi512EEEvPfS3_PT_PKS4_PKT0_SA_ifPKiSC_iPKfiiiSE_SE_iiiii,@function
_ZN4vllm25paged_attention_v2_kernelI14__hip_bfloat16S1_Li112ELi16ELi128ELNS_18Fp8KVCacheDataTypeE0ELb1ELi512EEEvPfS3_PT_PKS4_PKT0_SA_ifPKiSC_iPKfiiiSE_SE_iiiii: ; @_ZN4vllm25paged_attention_v2_kernelI14__hip_bfloat16S1_Li112ELi16ELi128ELNS_18Fp8KVCacheDataTypeE0ELb1ELi512EEEvPfS3_PT_PKS4_PKT0_SA_ifPKiSC_iPKfiiiSE_SE_iiiii
; %bb.0:
	s_load_dwordx2 s[0:1], s[4:5], 0x40
	s_mov_b32 s28, s7
	s_ashr_i32 s29, s7, 31
	s_lshl_b64 s[2:3], s[28:29], 2
	s_waitcnt lgkmcnt(0)
	s_add_u32 s0, s0, s2
	s_addc_u32 s1, s1, s3
	s_load_dword s29, s[0:1], 0x0
	s_lshl_b32 s49, s8, 9
	s_waitcnt lgkmcnt(0)
	s_cmp_ge_i32 s49, s29
	s_cbranch_scc1 .LBB157_257
; %bb.1:
	s_load_dword s9, s[4:5], 0x90
	s_load_dwordx2 s[38:39], s[4:5], 0x30
	s_waitcnt lgkmcnt(0)
	s_abs_i32 s2, s9
	s_abs_i32 s0, s38
	v_cvt_f32_u32_e32 v1, s0
	s_sub_i32 s3, 0, s0
	s_xor_b32 s1, s9, s38
	s_ashr_i32 s1, s1, 31
	v_rcp_iflag_f32_e32 v1, v1
	v_mul_f32_e32 v1, 0x4f7ffffe, v1
	v_cvt_u32_f32_e32 v1, v1
	v_readfirstlane_b32 s7, v1
	s_mul_i32 s3, s3, s7
	s_mul_hi_u32 s3, s7, s3
	s_add_i32 s7, s7, s3
	s_mul_hi_u32 s3, s2, s7
	s_mul_i32 s7, s3, s0
	s_sub_i32 s2, s2, s7
	s_add_i32 s10, s3, 1
	s_sub_i32 s7, s2, s0
	s_cmp_ge_u32 s2, s0
	s_cselect_b32 s3, s10, s3
	s_cselect_b32 s2, s7, s2
	s_add_i32 s7, s3, 1
	s_cmp_ge_u32 s2, s0
	s_cselect_b32 s0, s7, s3
	s_xor_b32 s0, s0, s1
	s_sub_i32 s11, s0, s1
	s_abs_i32 s2, s11
	v_cvt_f32_u32_e32 v1, s2
	s_load_dwordx2 s[0:1], s[4:5], 0x50
	s_sub_i32 s10, 0, s2
	s_abs_i32 s3, s6
	v_rcp_iflag_f32_e32 v1, v1
	s_mov_b32 s7, 0
	v_mul_f32_e32 v1, 0x4f7ffffe, v1
	v_cvt_u32_f32_e32 v1, v1
	v_readfirstlane_b32 s12, v1
	s_mul_i32 s10, s10, s12
	s_mul_hi_u32 s10, s12, s10
	s_add_i32 s12, s12, s10
	s_waitcnt lgkmcnt(0)
	s_cmp_eq_u64 s[0:1], 0
	s_mul_hi_u32 s10, s3, s12
	s_cbranch_scc1 .LBB157_3
; %bb.2:
	s_ashr_i32 s7, s6, 31
	s_lshl_b64 s[12:13], s[6:7], 2
	s_add_u32 s0, s0, s12
	s_addc_u32 s1, s1, s13
	s_load_dword s7, s[0:1], 0x0
.LBB157_3:
	s_load_dwordx4 s[12:15], s[4:5], 0x58
	s_ashr_i32 s16, s6, 31
	s_ashr_i32 s11, s11, 31
	v_and_b32_e32 v2, 3, v0
	s_mul_i32 s24, s6, 0x70
	v_cmp_gt_u32_e32 vcc, 56, v0
	s_and_saveexec_b64 s[0:1], vcc
	s_cbranch_execz .LBB157_5
; %bb.4:
	s_load_dwordx2 s[18:19], s[4:5], 0x18
	s_waitcnt lgkmcnt(0)
	s_mul_i32 s20, s28, s12
	s_ashr_i32 s21, s20, 31
	s_lshl_b64 s[20:21], s[20:21], 1
	v_lshlrev_b32_e32 v1, 2, v0
	s_add_u32 s12, s18, s20
	s_addc_u32 s15, s19, s21
	s_ashr_i32 s25, s24, 31
	s_lshl_b64 s[18:19], s[24:25], 1
	s_add_u32 s18, s12, s18
	s_addc_u32 s19, s15, s19
	global_load_dword v1, v1, s[18:19]
	v_and_b32_e32 v3, 0x3fc, v0
	v_mad_u32_u24 v3, v2, 56, v3
	s_waitcnt vmcnt(0)
	ds_write_b32 v3, v1
.LBB157_5:
	s_or_b64 exec, exec, s[0:1]
	s_mul_i32 s1, s10, s2
	s_sub_i32 s1, s3, s1
	s_xor_b32 s0, s16, s11
	s_add_i32 s3, s10, 1
	s_sub_i32 s11, s1, s2
	s_load_dwordx4 s[16:19], s[4:5], 0x78
	s_cmp_ge_u32 s1, s2
	s_cselect_b32 s3, s3, s10
	s_cselect_b32 s1, s11, s1
	s_load_dword s11, s[4:5], 0x88
	s_add_i32 s10, s3, 1
	s_cmp_ge_u32 s1, s2
	s_cselect_b32 s1, s10, s3
	s_waitcnt lgkmcnt(0)
	s_abs_i32 s25, s19
	v_cvt_f32_u32_e32 v1, s25
	s_xor_b32 s1, s1, s0
	s_sub_i32 s2, s1, s0
	s_sub_i32 s0, 0, s25
	v_rcp_iflag_f32_e32 v1, v1
	s_add_i32 s12, s29, -1
	s_abs_i32 s3, s12
	v_mul_f32_e32 v1, 0x4f7ffffe, v1
	v_cvt_u32_f32_e32 v1, v1
	s_barrier
	v_readfirstlane_b32 s33, v1
	s_mul_i32 s0, s0, s33
	s_mul_hi_u32 s0, s33, s0
	s_add_i32 s33, s33, s0
	s_cmp_lt_i32 s11, 0
	s_mul_hi_u32 s10, s3, s33
	s_cbranch_scc0 .LBB157_7
; %bb.6:
	s_mul_i32 s0, s16, s38
	s_add_i32 s0, s2, s0
	s_mul_i32 s0, s0, s11
	s_sub_i32 s46, 1, s0
	s_mov_b64 s[0:1], 0
	s_branch .LBB157_8
.LBB157_7:
	s_mov_b64 s[0:1], -1
                                        ; implicit-def: $sgpr46
.LBB157_8:
	s_load_dwordx2 s[30:31], s[4:5], 0x38
	s_ashr_i32 s12, s12, 31
	s_andn2_b64 vcc, exec, s[0:1]
	s_ashr_i32 s19, s19, 31
	s_cbranch_vccnz .LBB157_10
; %bb.9:
	s_mul_i32 s0, s9, s16
	s_add_i32 s0, s0, s6
	s_mul_i32 s0, s0, s11
	s_add_i32 s46, s0, 1
.LBB157_10:
	s_load_dword s0, s[4:5], 0x48
	s_load_dwordx2 s[36:37], s[4:5], 0x28
	s_load_dword s16, s[4:5], 0x98
	s_load_dwordx4 s[20:23], s[4:5], 0x0
	s_load_dwordx2 s[26:27], s[4:5], 0x10
	s_mul_i32 s1, s10, s25
	s_waitcnt lgkmcnt(0)
	s_mul_i32 s34, s28, s0
	s_sub_i32 s1, s3, s1
	s_ashr_i32 s35, s34, 31
	s_xor_b32 s0, s12, s19
	s_add_i32 s3, s10, 1
	s_sub_i32 s11, s1, s25
	s_cmp_ge_u32 s1, s25
	s_cselect_b32 s3, s3, s10
	s_cselect_b32 s1, s11, s1
	s_add_i32 s10, s3, 1
	s_cmp_ge_u32 s1, s25
	s_cselect_b32 s1, s10, s3
	s_xor_b32 s1, s1, s0
	s_sub_i32 s48, s1, s0
	s_add_i32 s0, s29, 15
	s_ashr_i32 s1, s0, 31
	s_lshr_b32 s1, s1, 28
	s_add_i32 s0, s0, s1
	s_lshl_b32 s38, s8, 5
	s_ashr_i32 s12, s0, 4
	s_add_i32 s0, s38, 32
	v_lshrrev_b32_e32 v4, 6, v0
	s_min_i32 s47, s0, s12
	v_or_b32_e32 v10, s38, v4
	v_cmp_gt_i32_e64 s[0:1], s47, v10
	v_mov_b32_e32 v12, 0xff7fffff
	s_mul_i32 s14, s2, s14
	v_ashrrev_i32_e32 v11, 31, v10
	v_lshl_add_u32 v1, v4, 4, s49
	v_mbcnt_lo_u32_b32 v5, -1, 0
	s_and_saveexec_b64 s[40:41], s[0:1]
	s_cbranch_execz .LBB157_20
; %bb.11:
	s_load_dwordx2 s[2:3], s[4:5], 0x20
	s_ashr_i32 s15, s14, 31
	s_sub_i32 s50, s48, s17
	s_lshl_b64 s[4:5], s[14:15], 1
	v_bfe_u32 v6, v0, 2, 4
	s_waitcnt lgkmcnt(0)
	s_add_u32 s2, s2, s4
	s_addc_u32 s3, s3, s5
	s_abs_i32 s15, s18
	v_cvt_f32_u32_e32 v8, s15
	v_lshlrev_b32_e32 v3, 4, v6
	v_mov_b32_e32 v7, s3
	v_add_co_u32_e64 v3, s[2:3], s2, v3
	v_rcp_iflag_f32_e32 v12, v8
	v_addc_co_u32_e64 v9, s[2:3], 0, v7, s[2:3]
	v_lshlrev_b32_e32 v7, 2, v0
	v_and_b32_e32 v7, 12, v7
	v_add_co_u32_e64 v7, s[2:3], v3, v7
	v_mul_f32_e32 v3, 0x4f7ffffe, v12
	v_cvt_u32_f32_e32 v3, v3
	s_sub_i32 s4, 0, s15
	v_cmp_eq_u32_e32 vcc, 0, v2
	v_addc_co_u32_e64 v8, s[2:3], 0, v9, s[2:3]
	v_mul_u32_u24_e32 v9, 56, v2
	v_mul_lo_u32 v2, s4, v3
	s_lshl_b64 s[4:5], s[34:35], 2
	v_mul_hi_u32 v2, v3, v2
	s_add_u32 s4, s30, s4
	v_add_u32_e32 v13, v3, v2
	v_lshlrev_b64 v[2:3], 2, v[10:11]
	s_addc_u32 s5, s31, s5
	v_mov_b32_e32 v12, s5
	v_add_co_u32_e64 v2, s[4:5], s4, v2
	v_addc_co_u32_e64 v3, s[4:5], v12, v3, s[4:5]
	v_lshlrev_b32_e32 v12, 2, v6
	v_lshl_or_b32 v12, v4, 6, v12
	v_add_u32_e32 v15, 0xf0, v12
	v_subrev_u32_e32 v12, s29, v6
	v_mbcnt_hi_u32_b32 v17, -1, v5
	v_add_u32_e32 v16, 1, v12
	v_and_b32_e32 v12, 64, v17
	s_mov_b32 s51, s13
	v_cmp_neq_f32_e64 s[2:3], s7, 0
	v_lshl_add_u32 v14, v4, 4, s49
	s_mov_b64 s[42:43], 0
	v_add_u32_e32 v18, 64, v12
	v_xor_b32_e32 v19, 2, v17
	v_xor_b32_e32 v20, 1, v17
	v_mov_b32_e32 v12, 0xff7fffff
	v_mov_b32_e32 v21, v10
	s_branch .LBB157_14
.LBB157_12:                             ;   in Loop: Header=BB157_14 Depth=1
	s_or_b64 exec, exec, s[44:45]
.LBB157_13:                             ;   in Loop: Header=BB157_14 Depth=1
	s_or_b64 exec, exec, s[10:11]
	v_add_co_u32_e64 v2, s[4:5], 8, v2
	v_add_u32_e32 v21, 2, v21
	v_addc_co_u32_e64 v3, s[4:5], 0, v3, s[4:5]
	v_cmp_le_i32_e64 s[4:5], s47, v21
	v_add_u32_e32 v14, 32, v14
	s_or_b64 s[42:43], s[4:5], s[42:43]
	v_add_u32_e32 v15, 0x80, v15
	s_andn2_b64 exec, exec, s[42:43]
	s_cbranch_execz .LBB157_19
.LBB157_14:                             ; =>This Inner Loop Header: Depth=1
	s_waitcnt lgkmcnt(0)
	v_sub_u32_e32 v23, 0, v14
	v_max_i32_e32 v23, v14, v23
	v_mul_hi_u32 v24, v23, s33
	v_mul_lo_u32 v25, v24, s25
	v_sub_u32_e32 v23, v23, v25
	v_add_u32_e32 v25, 1, v24
	v_cmp_le_u32_e64 s[4:5], s25, v23
	v_cndmask_b32_e64 v24, v24, v25, s[4:5]
	v_subrev_u32_e32 v25, s25, v23
	v_cndmask_b32_e64 v23, v23, v25, s[4:5]
	v_ashrrev_i32_e32 v22, 31, v14
	v_add_u32_e32 v25, 1, v24
	v_cmp_le_u32_e64 s[4:5], s25, v23
	v_xor_b32_e32 v22, s19, v22
	v_cndmask_b32_e64 v23, v24, v25, s[4:5]
	v_xor_b32_e32 v23, v23, v22
	v_sub_u32_e32 v22, v23, v22
	v_add_u32_e32 v23, s46, v22
	v_sub_u32_e32 v25, 0, v23
	v_ashrrev_i32_e32 v24, 31, v23
	v_max_i32_e32 v23, v23, v25
	v_mul_hi_u32 v25, v23, v13
	v_mul_lo_u32 v25, v25, s15
	v_sub_u32_e32 v23, v23, v25
	v_subrev_u32_e32 v25, s15, v23
	v_cmp_le_u32_e64 s[4:5], s15, v23
	v_cndmask_b32_e64 v23, v23, v25, s[4:5]
	v_subrev_u32_e32 v25, s15, v23
	v_cmp_le_u32_e64 s[4:5], s15, v23
	v_cndmask_b32_e64 v23, v23, v25, s[4:5]
	v_xor_b32_e32 v23, v23, v24
	v_sub_u32_e32 v23, v23, v24
	v_cmp_ne_u32_e64 s[4:5], 0, v23
	v_cmp_ge_i32_e64 s[10:11], s50, v22
	s_and_b64 s[4:5], s[4:5], s[10:11]
	s_and_b64 s[44:45], vcc, s[4:5]
	s_and_saveexec_b64 s[10:11], s[44:45]
	s_cbranch_execz .LBB157_16
; %bb.15:                               ;   in Loop: Header=BB157_14 Depth=1
	v_mov_b32_e32 v22, 0xff7fffff
	ds_write_b32 v15, v22
.LBB157_16:                             ;   in Loop: Header=BB157_14 Depth=1
	s_or_b64 exec, exec, s[10:11]
	s_xor_b64 s[4:5], s[4:5], -1
	s_and_saveexec_b64 s[10:11], s[4:5]
	s_cbranch_execz .LBB157_13
; %bb.17:                               ;   in Loop: Header=BB157_14 Depth=1
	global_load_dword v22, v[2:3], off
	s_waitcnt vmcnt(0)
	v_mad_i64_i32 v[22:23], s[4:5], v22, s51, 0
	v_lshlrev_b64 v[22:23], 1, v[22:23]
	v_add_co_u32_e64 v22, s[4:5], v7, v22
	v_addc_co_u32_e64 v23, s[4:5], v8, v23, s[4:5]
	global_load_dword v36, v[22:23], off
	global_load_dword v37, v[22:23], off offset:256
	global_load_dword v38, v[22:23], off offset:512
	;; [unrolled: 1-line block ×13, first 2 shown]
	ds_read2_b64 v[22:25], v9 offset1:1
	ds_read2_b64 v[26:29], v9 offset0:2 offset1:3
	ds_read2_b64 v[30:33], v9 offset0:4 offset1:5
	ds_read_b64 v[34:35], v9 offset:48
	v_cmp_lt_i32_e64 s[4:5], v19, v18
	s_waitcnt lgkmcnt(3)
	v_lshlrev_b32_e32 v52, 16, v23
	v_and_b32_e32 v23, 0xffff0000, v23
	v_lshlrev_b32_e32 v51, 16, v22
	v_and_b32_e32 v22, 0xffff0000, v22
	v_lshlrev_b32_e32 v53, 16, v24
	v_and_b32_e32 v24, 0xffff0000, v24
	v_lshlrev_b32_e32 v54, 16, v25
	v_and_b32_e32 v25, 0xffff0000, v25
	s_waitcnt lgkmcnt(2)
	v_lshlrev_b32_e32 v55, 16, v26
	v_and_b32_e32 v26, 0xffff0000, v26
	v_lshlrev_b32_e32 v56, 16, v27
	v_and_b32_e32 v27, 0xffff0000, v27
	v_lshlrev_b32_e32 v57, 16, v28
	v_and_b32_e32 v28, 0xffff0000, v28
	v_lshlrev_b32_e32 v58, 16, v29
	v_and_b32_e32 v29, 0xffff0000, v29
	;; [unrolled: 9-line block ×3, first 2 shown]
	s_waitcnt lgkmcnt(0)
	v_lshlrev_b32_e32 v63, 16, v34
	v_and_b32_e32 v34, 0xffff0000, v34
	v_lshlrev_b32_e32 v64, 16, v35
	v_and_b32_e32 v35, 0xffff0000, v35
	v_cndmask_b32_e64 v50, v17, v19, s[4:5]
	v_lshlrev_b32_e32 v50, 2, v50
	v_cmp_lt_i32_e64 s[4:5], v20, v18
	s_waitcnt vmcnt(13)
	v_lshlrev_b32_e32 v65, 16, v36
	s_waitcnt vmcnt(12)
	v_lshlrev_b32_e32 v66, 16, v37
	v_and_b32_e32 v37, 0xffff0000, v37
	v_and_b32_e32 v36, 0xffff0000, v36
	v_mul_f32_e32 v52, v52, v66
	v_mul_f32_e32 v23, v23, v37
	s_waitcnt vmcnt(11)
	v_lshlrev_b32_e32 v67, 16, v38
	v_and_b32_e32 v38, 0xffff0000, v38
	v_fmac_f32_e32 v52, v51, v65
	v_fmac_f32_e32 v23, v22, v36
	s_waitcnt vmcnt(10)
	v_lshlrev_b32_e32 v68, 16, v39
	v_and_b32_e32 v39, 0xffff0000, v39
	v_fmac_f32_e32 v52, v53, v67
	v_fmac_f32_e32 v23, v24, v38
	;; [unrolled: 5-line block ×12, first 2 shown]
	v_fmac_f32_e32 v52, v64, v78
	v_fmac_f32_e32 v23, v35, v49
	v_add_f32_e32 v22, v52, v23
	ds_bpermute_b32 v23, v50, v22
	v_cndmask_b32_e64 v24, v17, v20, s[4:5]
	v_lshlrev_b32_e32 v24, 2, v24
	s_waitcnt lgkmcnt(0)
	v_add_f32_e32 v22, v22, v23
	ds_bpermute_b32 v23, v24, v22
	s_and_saveexec_b64 s[44:45], vcc
	s_cbranch_execz .LBB157_12
; %bb.18:                               ;   in Loop: Header=BB157_14 Depth=1
	v_add_u32_e32 v24, v16, v14
	v_cvt_f32_i32_e32 v24, v24
	s_waitcnt lgkmcnt(0)
	v_add_f32_e32 v22, v22, v23
	v_add_u32_e32 v25, v6, v14
	v_cmp_gt_i32_e64 s[4:5], s29, v25
	v_mul_f32_e32 v23, s7, v24
	v_cndmask_b32_e64 v23, 0, v23, s[2:3]
	v_fmac_f32_e32 v23, s39, v22
	v_cndmask_b32_e64 v22, 0, v23, s[4:5]
	ds_write_b32 v15, v22
	v_max_f32_e32 v22, v12, v12
	v_max_f32_e32 v22, v22, v23
	v_cndmask_b32_e64 v12, v12, v22, s[4:5]
	s_branch .LBB157_12
.LBB157_19:
	s_or_b64 exec, exec, s[42:43]
.LBB157_20:
	s_or_b64 exec, exec, s[40:41]
	v_mbcnt_hi_u32_b32 v2, -1, v5
	v_and_b32_e32 v3, 64, v2
	v_add_u32_e32 v3, 64, v3
	v_xor_b32_e32 v5, 32, v2
	v_cmp_lt_i32_e32 vcc, v5, v3
	v_cndmask_b32_e32 v5, v2, v5, vcc
	v_lshlrev_b32_e32 v7, 2, v5
	ds_bpermute_b32 v5, v7, v12
	v_xor_b32_e32 v8, 16, v2
	v_max_f32_e32 v6, v12, v12
	v_cmp_lt_i32_e32 vcc, v8, v3
	v_xor_b32_e32 v9, 8, v2
	s_waitcnt lgkmcnt(0)
	v_max_f32_e32 v5, v5, v5
	v_max_f32_e32 v5, v6, v5
	v_cndmask_b32_e32 v6, v2, v8, vcc
	v_lshlrev_b32_e32 v8, 2, v6
	ds_bpermute_b32 v6, v8, v5
	v_cmp_lt_i32_e32 vcc, v9, v3
	s_waitcnt lgkmcnt(0)
	v_max_f32_e32 v6, v6, v6
	v_max_f32_e32 v5, v5, v6
	v_cndmask_b32_e32 v6, v2, v9, vcc
	v_lshlrev_b32_e32 v13, 2, v6
	ds_bpermute_b32 v6, v13, v5
	v_xor_b32_e32 v9, 4, v2
	v_cmp_lt_i32_e32 vcc, v9, v3
	s_waitcnt lgkmcnt(0)
	v_max_f32_e32 v6, v6, v6
	v_max_f32_e32 v6, v5, v6
	v_cndmask_b32_e32 v5, v2, v9, vcc
	v_lshlrev_b32_e32 v14, 2, v5
	ds_bpermute_b32 v12, v14, v6
	v_and_b32_e32 v5, 63, v0
	v_cmp_eq_u32_e32 vcc, 0, v5
	v_lshlrev_b32_e32 v9, 2, v4
	s_and_saveexec_b64 s[2:3], vcc
	s_cbranch_execz .LBB157_22
; %bb.21:
	s_waitcnt lgkmcnt(0)
	v_max_f32_e32 v12, v12, v12
	v_max_f32_e32 v6, v6, v6
	v_max_f32_e32 v6, v6, v12
	ds_write_b32 v9, v6 offset:224
.LBB157_22:
	s_or_b64 exec, exec, s[2:3]
	v_cmp_gt_u32_e64 s[2:3], 2, v5
	v_mov_b32_e32 v6, 0xff7fffff
	s_waitcnt lgkmcnt(0)
	v_lshlrev_b32_e32 v12, 2, v5
	s_barrier
	s_and_saveexec_b64 s[4:5], s[2:3]
	s_cbranch_execz .LBB157_24
; %bb.23:
	ds_read_b32 v6, v12 offset:224
.LBB157_24:
	s_or_b64 exec, exec, s[4:5]
	v_xor_b32_e32 v15, 1, v2
	v_cmp_lt_i32_e64 s[4:5], v15, v3
	v_cndmask_b32_e64 v15, v2, v15, s[4:5]
	v_lshlrev_b32_e32 v18, 2, v15
	s_waitcnt lgkmcnt(0)
	ds_bpermute_b32 v15, v18, v6
	v_max_f32_e32 v6, v6, v6
	s_sub_i32 s4, s47, s38
	s_lshl_b32 s4, s4, 4
	s_add_i32 s4, s4, s49
	s_waitcnt lgkmcnt(0)
	v_max_f32_e32 v15, v15, v15
	v_max_f32_e32 v6, v6, v15
	v_lshlrev_b32_e32 v15, 2, v2
	v_and_b32_e32 v15, 0x100, v15
	ds_bpermute_b32 v6, v15, v6
	s_min_i32 s15, s4, s29
	s_sub_i32 s7, s15, s49
	v_cmp_gt_i32_e64 s[4:5], s7, v0
	v_mov_b32_e32 v16, 0
	s_and_saveexec_b64 s[38:39], s[4:5]
	s_cbranch_execz .LBB157_28
; %bb.25:
	v_mov_b32_e32 v16, 0xf0
	v_lshl_add_u32 v17, v0, 2, v16
	s_mov_b64 s[40:41], 0
	v_mov_b32_e32 v16, 0
	v_mov_b32_e32 v19, v0
.LBB157_26:                             ; =>This Inner Loop Header: Depth=1
	ds_read_b32 v20, v17
	v_add_u32_e32 v19, 0x80, v19
	v_cmp_le_i32_e64 s[10:11], s7, v19
	s_or_b64 s[40:41], s[10:11], s[40:41]
	s_waitcnt lgkmcnt(0)
	v_sub_f32_e32 v20, v20, v6
	v_mul_f32_e32 v20, 0x3fb8aa3b, v20
	v_exp_f32_e32 v20, v20
	ds_write_b32 v17, v20
	v_add_f32_e32 v16, v16, v20
	v_add_u32_e32 v17, 0x200, v17
	s_andn2_b64 exec, exec, s[40:41]
	s_cbranch_execnz .LBB157_26
; %bb.27:
	s_or_b64 exec, exec, s[40:41]
.LBB157_28:
	s_or_b64 exec, exec, s[38:39]
	ds_bpermute_b32 v7, v7, v16
	s_waitcnt lgkmcnt(0)
	v_add_f32_e32 v7, v16, v7
	ds_bpermute_b32 v8, v8, v7
	s_waitcnt lgkmcnt(0)
	v_add_f32_e32 v7, v7, v8
	ds_bpermute_b32 v8, v13, v7
	v_xor_b32_e32 v13, 2, v2
	v_cmp_lt_i32_e64 s[10:11], v13, v3
	v_cndmask_b32_e64 v2, v2, v13, s[10:11]
	v_lshlrev_b32_e32 v2, 2, v2
	s_waitcnt lgkmcnt(0)
	v_add_f32_e32 v7, v7, v8
	ds_bpermute_b32 v8, v14, v7
	s_waitcnt lgkmcnt(0)
	v_add_f32_e32 v3, v7, v8
	ds_bpermute_b32 v2, v2, v3
	;; [unrolled: 3-line block ×3, first 2 shown]
	s_waitcnt lgkmcnt(0)
	v_add_f32_e32 v2, v2, v3
	s_and_saveexec_b64 s[10:11], vcc
	s_cbranch_execz .LBB157_30
; %bb.29:
	ds_write_b32 v9, v2 offset:232
.LBB157_30:
	s_or_b64 exec, exec, s[10:11]
	s_waitcnt lgkmcnt(0)
	s_barrier
	s_and_saveexec_b64 s[10:11], s[2:3]
	s_cbranch_execz .LBB157_32
; %bb.31:
	ds_read_b32 v2, v12 offset:232
.LBB157_32:
	s_or_b64 exec, exec, s[10:11]
	s_waitcnt lgkmcnt(0)
	ds_bpermute_b32 v3, v18, v2
	s_waitcnt lgkmcnt(0)
	v_add_f32_e32 v2, v2, v3
	ds_bpermute_b32 v7, v15, v2
	s_and_saveexec_b64 s[2:3], s[4:5]
	s_cbranch_execz .LBB157_45
; %bb.33:
	s_waitcnt lgkmcnt(0)
	v_add_f32_e32 v2, 0x358637bd, v7
	v_div_scale_f32 v3, s[4:5], v2, v2, 1.0
	v_rcp_f32_e32 v8, v3
	v_div_scale_f32 v9, vcc, 1.0, v2, 1.0
	s_movk_i32 s4, 0x7f
	v_fma_f32 v12, -v3, v8, 1.0
	v_fmac_f32_e32 v8, v12, v8
	v_mul_f32_e32 v12, v9, v8
	v_fma_f32 v13, -v3, v12, v9
	v_fmac_f32_e32 v12, v13, v8
	v_fma_f32 v3, -v3, v12, v9
	v_div_fmas_f32 v3, v3, v8, v12
	v_div_fixup_f32 v2, v3, v2, 1.0
	v_xad_u32 v3, v0, -1, s15
	v_subrev_u32_e32 v8, s49, v3
	v_cmp_lt_u32_e32 vcc, s4, v8
	s_mov_b64 s[10:11], -1
	v_mov_b32_e32 v3, v0
	s_and_saveexec_b64 s[4:5], vcc
	s_cbranch_execz .LBB157_42
; %bb.34:
	v_lshrrev_b32_e32 v8, 7, v8
	v_add_u32_e32 v12, -1, v8
	v_lshrrev_b32_e32 v9, 1, v12
	v_mov_b32_e32 v3, v2
	v_add_u32_e32 v9, 1, v9
	v_cmp_lt_u32_e32 vcc, 13, v12
	v_mov_b32_e32 v14, 0
	s_and_saveexec_b64 s[10:11], vcc
	s_cbranch_execz .LBB157_38
; %bb.35:
	v_mov_b32_e32 v13, 0xf0
	v_and_b32_e32 v12, -8, v9
	v_lshl_add_u32 v13, v0, 2, v13
	s_mov_b32 s15, 0
	s_mov_b64 s[38:39], 0
.LBB157_36:                             ; =>This Inner Loop Header: Depth=1
	ds_read2st64_b32 v[14:15], v13 offset1:2
	ds_read2st64_b32 v[16:17], v13 offset0:4 offset1:6
	ds_read2st64_b32 v[20:21], v13 offset0:8 offset1:10
	;; [unrolled: 1-line block ×3, first 2 shown]
	v_add_u32_e32 v12, -8, v12
	s_waitcnt lgkmcnt(3)
	v_pk_mul_f32 v[14:15], v[2:3], v[14:15]
	s_waitcnt lgkmcnt(2)
	v_pk_mul_f32 v[16:17], v[2:3], v[16:17]
	ds_write2st64_b32 v13, v14, v15 offset1:2
	ds_write2st64_b32 v13, v16, v17 offset0:4 offset1:6
	ds_read2st64_b32 v[16:17], v13 offset0:16 offset1:18
	s_waitcnt lgkmcnt(4)
	v_pk_mul_f32 v[14:15], v[2:3], v[20:21]
	ds_write2st64_b32 v13, v14, v15 offset0:8 offset1:10
	s_waitcnt lgkmcnt(4)
	v_pk_mul_f32 v[14:15], v[2:3], v[22:23]
	ds_write2st64_b32 v13, v14, v15 offset0:12 offset1:14
	ds_read2st64_b32 v[14:15], v13 offset0:20 offset1:22
	s_waitcnt lgkmcnt(3)
	v_pk_mul_f32 v[16:17], v[2:3], v[16:17]
	ds_read2st64_b32 v[20:21], v13 offset0:24 offset1:26
	ds_write2st64_b32 v13, v16, v17 offset0:16 offset1:18
	ds_read2st64_b32 v[16:17], v13 offset0:28 offset1:30
	s_waitcnt lgkmcnt(3)
	v_pk_mul_f32 v[14:15], v[2:3], v[14:15]
	ds_write2st64_b32 v13, v14, v15 offset0:20 offset1:22
	s_waitcnt lgkmcnt(3)
	v_pk_mul_f32 v[14:15], v[2:3], v[20:21]
	ds_write2st64_b32 v13, v14, v15 offset0:24 offset1:26
	s_waitcnt lgkmcnt(2)
	v_pk_mul_f32 v[14:15], v[2:3], v[16:17]
	s_add_i32 s15, s15, 16
	v_cmp_eq_u32_e32 vcc, 0, v12
	ds_write2st64_b32 v13, v14, v15 offset0:28 offset1:30
	v_add_u32_e32 v13, 0x2000, v13
	s_or_b64 s[38:39], vcc, s[38:39]
	v_mov_b32_e32 v14, s15
	s_andn2_b64 exec, exec, s[38:39]
	s_cbranch_execnz .LBB157_36
; %bb.37:
	s_or_b64 exec, exec, s[38:39]
.LBB157_38:
	s_or_b64 exec, exec, s[10:11]
	v_and_b32_e32 v9, 7, v9
	v_cmp_ne_u32_e32 vcc, 0, v9
	s_and_saveexec_b64 s[10:11], vcc
	s_cbranch_execz .LBB157_41
; %bb.39:
	v_lshlrev_b32_e32 v12, 9, v14
	v_lshlrev_b32_e32 v13, 2, v0
	s_movk_i32 s15, 0xf0
	v_add3_u32 v12, v12, v13, s15
	s_mov_b64 s[38:39], 0
.LBB157_40:                             ; =>This Inner Loop Header: Depth=1
	ds_read2st64_b32 v[14:15], v12 offset1:2
	v_add_u32_e32 v9, -1, v9
	v_cmp_eq_u32_e32 vcc, 0, v9
	s_or_b64 s[38:39], vcc, s[38:39]
	s_waitcnt lgkmcnt(0)
	v_pk_mul_f32 v[14:15], v[2:3], v[14:15]
	ds_write2st64_b32 v12, v14, v15 offset1:2
	v_add_u32_e32 v12, 0x400, v12
	s_andn2_b64 exec, exec, s[38:39]
	s_cbranch_execnz .LBB157_40
.LBB157_41:
	s_or_b64 exec, exec, s[10:11]
	v_add_u32_e32 v8, 1, v8
	v_and_b32_e32 v9, 0x3fffffe, v8
	v_cmp_ne_u32_e32 vcc, v8, v9
	v_lshl_add_u32 v3, v9, 7, v0
	s_orn2_b64 s[10:11], vcc, exec
.LBB157_42:
	s_or_b64 exec, exec, s[4:5]
	s_and_b64 exec, exec, s[10:11]
	s_cbranch_execz .LBB157_45
; %bb.43:
	v_mov_b32_e32 v8, 0xf0
	v_lshl_add_u32 v8, v3, 2, v8
	s_mov_b64 s[4:5], 0
.LBB157_44:                             ; =>This Inner Loop Header: Depth=1
	ds_read_b32 v9, v8
	v_add_u32_e32 v3, 0x80, v3
	v_cmp_le_i32_e32 vcc, s7, v3
	s_or_b64 s[4:5], vcc, s[4:5]
	s_waitcnt lgkmcnt(0)
	v_mul_f32_e32 v9, v2, v9
	ds_write_b32 v8, v9
	v_add_u32_e32 v8, 0x200, v8
	s_andn2_b64 exec, exec, s[4:5]
	s_cbranch_execnz .LBB157_44
.LBB157_45:
	s_or_b64 exec, exec, s[2:3]
	s_mul_i32 s2, s16, s28
	v_cmp_eq_u32_e32 vcc, 0, v0
	s_mul_i32 s4, s2, s9
	s_waitcnt lgkmcnt(0)
	s_barrier
	s_and_saveexec_b64 s[2:3], vcc
	s_cbranch_execz .LBB157_47
; %bb.46:
	s_ashr_i32 s5, s4, 31
	s_lshl_b64 s[10:11], s[4:5], 2
	s_add_u32 s5, s22, s10
	s_mul_i32 s6, s16, s6
	s_addc_u32 s9, s23, s11
	s_ashr_i32 s7, s6, 31
	s_lshl_b64 s[6:7], s[6:7], 2
	s_add_u32 s5, s5, s6
	s_addc_u32 s15, s9, s7
	s_ashr_i32 s9, s8, 31
	s_lshl_b64 s[22:23], s[8:9], 2
	s_add_u32 s38, s5, s22
	s_addc_u32 s39, s15, s23
	s_add_u32 s5, s20, s10
	s_addc_u32 s9, s21, s11
	;; [unrolled: 2-line block ×3, first 2 shown]
	s_add_u32 s6, s5, s22
	v_mov_b32_e32 v2, 0
	s_addc_u32 s7, s7, s23
	global_store_dword v2, v6, s[38:39]
	global_store_dword v2, v7, s[6:7]
.LBB157_47:
	s_or_b64 exec, exec, s[2:3]
	v_mov_b32_e32 v13, 0
	v_lshrrev_b32_e32 v20, 1, v5
	v_and_b32_e32 v19, 1, v0
	v_mov_b32_e32 v12, 0
	v_mov_b32_e32 v15, 0
	;; [unrolled: 1-line block ×3, first 2 shown]
	s_and_saveexec_b64 s[6:7], s[0:1]
	s_cbranch_execz .LBB157_223
; %bb.48:
	s_ashr_i32 s15, s14, 31
	s_sub_i32 s5, s48, s17
	s_lshl_b64 s[0:1], s[14:15], 1
	s_add_u32 s9, s36, s0
	s_addc_u32 s17, s37, s1
	s_abs_i32 s18, s18
	v_cvt_f32_u32_e32 v3, s18
	v_lshlrev_b32_e32 v2, 3, v0
	v_or_b32_e32 v5, 0x60, v20
	s_movk_i32 s0, 0x70
	v_rcp_iflag_f32_e32 v3, v3
	v_and_b32_e32 v21, 8, v2
	v_cmp_gt_u32_e32 vcc, s0, v5
	s_sub_i32 s0, 0, s18
	v_mul_f32_e32 v3, 0x4f7ffffe, v3
	v_cvt_u32_f32_e32 v3, v3
	s_add_i32 s21, s12, -1
	v_lshl_or_b32 v6, v5, 4, v21
	v_lshlrev_b64 v[8:9], 2, v[10:11]
	v_mul_lo_u32 v5, s0, v3
	s_lshl_b64 s[0:1], s[34:35], 2
	s_add_u32 s0, s30, s0
	v_mul_hi_u32 v5, v3, v5
	s_addc_u32 s1, s31, s1
	v_add_u32_e32 v23, v3, v5
	v_mov_b32_e32 v3, s1
	v_add_co_u32_e64 v16, s[0:1], s0, v8
	v_addc_co_u32_e64 v17, s[0:1], v3, v9, s[0:1]
	v_lshlrev_b32_e32 v3, 5, v19
	v_lshl_or_b32 v2, v20, 4, v21
	v_lshl_or_b32 v3, v4, 6, v3
	s_mov_b32 s20, s13
	v_mov_b32_e32 v22, 0
	v_add_u32_e32 v11, 0xf0, v3
	s_mov_b64 s[10:11], 0
	s_mov_b32 s22, 0x7f800000
	s_movk_i32 s23, 0x7fff
	v_lshlrev_b32_e32 v24, 1, v2
	v_lshlrev_b32_e32 v25, 1, v6
	v_mov_b32_e32 v14, 0
	v_mov_b32_e32 v15, 0
	;; [unrolled: 1-line block ×4, first 2 shown]
	s_branch .LBB157_52
.LBB157_49:                             ;   in Loop: Header=BB157_52 Depth=1
	s_or_b64 exec, exec, s[2:3]
	v_and_b32_e32 v37, 0xffff0000, v36
	v_and_b32_e32 v36, 0xffff0000, v34
	;; [unrolled: 1-line block ×8, first 2 shown]
	v_pk_add_f32 v[2:3], v[2:3], v[34:35]
	v_pk_add_f32 v[4:5], v[4:5], v[36:37]
	v_add_f32_e32 v2, v2, v3
	v_add_f32_e32 v2, v2, v4
	;; [unrolled: 1-line block ×4, first 2 shown]
.LBB157_50:                             ;   in Loop: Header=BB157_52 Depth=1
	s_or_b64 exec, exec, s[14:15]
	v_and_b32_e32 v2, 0xffff0000, v29
	v_and_b32_e32 v4, 0xffff0000, v28
	;; [unrolled: 1-line block ×8, first 2 shown]
	v_pk_add_f32 v[8:9], v[8:9], v[28:29]
	v_pk_add_f32 v[2:3], v[4:5], v[2:3]
	v_add_f32_e32 v4, v8, v9
	v_add_f32_e32 v2, v4, v2
	;; [unrolled: 1-line block ×3, first 2 shown]
	v_and_b32_e32 v9, 0xffff0000, v46
	v_and_b32_e32 v8, 0xffff0000, v44
	;; [unrolled: 1-line block ×4, first 2 shown]
	v_add_f32_e32 v14, v14, v2
	v_and_b32_e32 v3, 0xffff0000, v50
	v_and_b32_e32 v2, 0xffff0000, v48
	;; [unrolled: 1-line block ×4, first 2 shown]
	v_pk_add_f32 v[8:9], v[26:27], v[8:9]
	v_pk_add_f32 v[2:3], v[4:5], v[2:3]
	v_add_f32_e32 v4, v8, v9
	v_add_f32_e32 v2, v4, v2
	;; [unrolled: 1-line block ×3, first 2 shown]
	v_and_b32_e32 v9, 0xffff0000, v52
	v_and_b32_e32 v8, 0xffff0000, v7
	;; [unrolled: 1-line block ×4, first 2 shown]
	v_add_f32_e32 v15, v15, v2
	v_and_b32_e32 v3, 0xffff0000, v56
	v_and_b32_e32 v2, 0xffff0000, v54
	v_and_b32_e32 v5, 0xffff0000, v55
	v_and_b32_e32 v4, 0xffff0000, v53
	v_pk_add_f32 v[6:7], v[6:7], v[8:9]
	v_pk_add_f32 v[2:3], v[4:5], v[2:3]
	v_add_f32_e32 v4, v6, v7
	v_add_f32_e32 v2, v4, v2
	;; [unrolled: 1-line block ×4, first 2 shown]
.LBB157_51:                             ;   in Loop: Header=BB157_52 Depth=1
	s_or_b64 exec, exec, s[12:13]
	v_add_co_u32_e64 v16, s[0:1], 8, v16
	v_add_u32_e32 v10, 2, v10
	v_addc_co_u32_e64 v17, s[0:1], 0, v17, s[0:1]
	v_cmp_le_i32_e64 s[0:1], s47, v10
	v_add_u32_e32 v1, 32, v1
	s_or_b64 s[10:11], s[0:1], s[10:11]
	v_add_u32_e32 v11, 0x80, v11
	s_andn2_b64 exec, exec, s[10:11]
	s_cbranch_execz .LBB157_222
.LBB157_52:                             ; =>This Inner Loop Header: Depth=1
	v_sub_u32_e32 v3, 0, v1
	v_max_i32_e32 v3, v1, v3
	v_mul_hi_u32 v4, v3, s33
	v_mul_lo_u32 v5, v4, s25
	v_sub_u32_e32 v3, v3, v5
	v_add_u32_e32 v5, 1, v4
	v_cmp_le_u32_e64 s[0:1], s25, v3
	v_cndmask_b32_e64 v4, v4, v5, s[0:1]
	v_subrev_u32_e32 v5, s25, v3
	v_cndmask_b32_e64 v3, v3, v5, s[0:1]
	v_ashrrev_i32_e32 v2, 31, v1
	v_add_u32_e32 v5, 1, v4
	v_cmp_le_u32_e64 s[0:1], s25, v3
	v_xor_b32_e32 v2, s19, v2
	v_cndmask_b32_e64 v3, v4, v5, s[0:1]
	v_xor_b32_e32 v3, v3, v2
	v_sub_u32_e32 v2, v3, v2
	v_add_u32_e32 v3, s46, v2
	v_sub_u32_e32 v5, 0, v3
	v_ashrrev_i32_e32 v4, 31, v3
	v_max_i32_e32 v3, v3, v5
	v_mul_hi_u32 v5, v3, v23
	v_mul_lo_u32 v5, v5, s18
	v_sub_u32_e32 v3, v3, v5
	v_subrev_u32_e32 v5, s18, v3
	v_cmp_le_u32_e64 s[0:1], s18, v3
	v_cndmask_b32_e64 v3, v3, v5, s[0:1]
	v_subrev_u32_e32 v5, s18, v3
	v_cmp_le_u32_e64 s[0:1], s18, v3
	v_cndmask_b32_e64 v3, v3, v5, s[0:1]
	v_xor_b32_e32 v3, v3, v4
	v_sub_u32_e32 v3, v3, v4
	v_cmp_eq_u32_e64 s[0:1], 0, v3
	v_cmp_lt_i32_e64 s[2:3], s5, v2
	s_or_b64 s[0:1], s[0:1], s[2:3]
	s_and_saveexec_b64 s[12:13], s[0:1]
	s_cbranch_execz .LBB157_51
; %bb.53:                               ;   in Loop: Header=BB157_52 Depth=1
	global_load_dword v31, v[16:17], off
	ds_read2_b64 v[6:9], v11 offset1:1
	ds_read2_b64 v[2:5], v11 offset0:2 offset1:3
                                        ; implicit-def: $vgpr35
	s_waitcnt lgkmcnt(1)
	v_and_b32_e32 v26, 0x7f800000, v6
	v_cmp_ne_u32_e64 s[0:1], s22, v26
	s_and_saveexec_b64 s[2:3], s[0:1]
	s_xor_b64 s[0:1], exec, s[2:3]
; %bb.54:                               ;   in Loop: Header=BB157_52 Depth=1
	v_bfe_u32 v26, v6, 16, 1
	v_add3_u32 v35, v6, v26, s23
; %bb.55:                               ;   in Loop: Header=BB157_52 Depth=1
	s_andn2_saveexec_b64 s[2:3], s[0:1]
; %bb.56:                               ;   in Loop: Header=BB157_52 Depth=1
	v_or_b32_e32 v26, 0x10000, v6
	v_cmp_eq_u32_sdwa s[0:1], v6, v22 src0_sel:WORD_0 src1_sel:DWORD
	v_cndmask_b32_e64 v35, v26, v6, s[0:1]
; %bb.57:                               ;   in Loop: Header=BB157_52 Depth=1
	s_or_b64 exec, exec, s[2:3]
	v_and_b32_e32 v6, 0x7f800000, v7
	v_cmp_ne_u32_e64 s[0:1], s22, v6
                                        ; implicit-def: $vgpr36
	s_and_saveexec_b64 s[2:3], s[0:1]
	s_xor_b64 s[0:1], exec, s[2:3]
; %bb.58:                               ;   in Loop: Header=BB157_52 Depth=1
	v_bfe_u32 v6, v7, 16, 1
	v_add3_u32 v36, v7, v6, s23
; %bb.59:                               ;   in Loop: Header=BB157_52 Depth=1
	s_andn2_saveexec_b64 s[2:3], s[0:1]
; %bb.60:                               ;   in Loop: Header=BB157_52 Depth=1
	v_or_b32_e32 v6, 0x10000, v7
	v_cmp_eq_u32_sdwa s[0:1], v7, v22 src0_sel:WORD_0 src1_sel:DWORD
	v_cndmask_b32_e64 v36, v6, v7, s[0:1]
; %bb.61:                               ;   in Loop: Header=BB157_52 Depth=1
	s_or_b64 exec, exec, s[2:3]
	v_and_b32_e32 v6, 0x7f800000, v8
	v_cmp_ne_u32_e64 s[0:1], s22, v6
                                        ; implicit-def: $vgpr26
	s_and_saveexec_b64 s[2:3], s[0:1]
	s_xor_b64 s[0:1], exec, s[2:3]
; %bb.62:                               ;   in Loop: Header=BB157_52 Depth=1
	v_bfe_u32 v6, v8, 16, 1
	v_add3_u32 v26, v8, v6, s23
; %bb.63:                               ;   in Loop: Header=BB157_52 Depth=1
	s_andn2_saveexec_b64 s[2:3], s[0:1]
; %bb.64:                               ;   in Loop: Header=BB157_52 Depth=1
	v_or_b32_e32 v6, 0x10000, v8
	v_cmp_eq_u32_sdwa s[0:1], v8, v22 src0_sel:WORD_0 src1_sel:DWORD
	v_cndmask_b32_e64 v26, v6, v8, s[0:1]
; %bb.65:                               ;   in Loop: Header=BB157_52 Depth=1
	s_or_b64 exec, exec, s[2:3]
	v_and_b32_e32 v6, 0x7f800000, v9
	v_cmp_ne_u32_e64 s[0:1], s22, v6
                                        ; implicit-def: $vgpr27
	s_and_saveexec_b64 s[2:3], s[0:1]
	s_xor_b64 s[0:1], exec, s[2:3]
; %bb.66:                               ;   in Loop: Header=BB157_52 Depth=1
	v_bfe_u32 v6, v9, 16, 1
	v_add3_u32 v27, v9, v6, s23
                                        ; implicit-def: $vgpr6_vgpr7_vgpr8_vgpr9
; %bb.67:                               ;   in Loop: Header=BB157_52 Depth=1
	s_andn2_saveexec_b64 s[2:3], s[0:1]
; %bb.68:                               ;   in Loop: Header=BB157_52 Depth=1
	v_or_b32_e32 v6, 0x10000, v9
	v_cmp_eq_u32_sdwa s[0:1], v9, v22 src0_sel:WORD_0 src1_sel:DWORD
	v_cndmask_b32_e64 v27, v6, v9, s[0:1]
; %bb.69:                               ;   in Loop: Header=BB157_52 Depth=1
	s_or_b64 exec, exec, s[2:3]
	s_waitcnt lgkmcnt(0)
	v_and_b32_e32 v6, 0x7f800000, v2
	v_cmp_ne_u32_e64 s[0:1], s22, v6
                                        ; implicit-def: $vgpr28
	s_and_saveexec_b64 s[2:3], s[0:1]
	s_xor_b64 s[0:1], exec, s[2:3]
; %bb.70:                               ;   in Loop: Header=BB157_52 Depth=1
	v_bfe_u32 v6, v2, 16, 1
	v_add3_u32 v28, v2, v6, s23
; %bb.71:                               ;   in Loop: Header=BB157_52 Depth=1
	s_andn2_saveexec_b64 s[2:3], s[0:1]
; %bb.72:                               ;   in Loop: Header=BB157_52 Depth=1
	v_or_b32_e32 v6, 0x10000, v2
	v_cmp_eq_u32_sdwa s[0:1], v2, v22 src0_sel:WORD_0 src1_sel:DWORD
	v_cndmask_b32_e64 v28, v6, v2, s[0:1]
; %bb.73:                               ;   in Loop: Header=BB157_52 Depth=1
	s_or_b64 exec, exec, s[2:3]
	v_and_b32_e32 v2, 0x7f800000, v3
	v_cmp_ne_u32_e64 s[0:1], s22, v2
                                        ; implicit-def: $vgpr29
	s_and_saveexec_b64 s[2:3], s[0:1]
	s_xor_b64 s[0:1], exec, s[2:3]
; %bb.74:                               ;   in Loop: Header=BB157_52 Depth=1
	v_bfe_u32 v2, v3, 16, 1
	v_add3_u32 v29, v3, v2, s23
; %bb.75:                               ;   in Loop: Header=BB157_52 Depth=1
	s_andn2_saveexec_b64 s[2:3], s[0:1]
; %bb.76:                               ;   in Loop: Header=BB157_52 Depth=1
	v_or_b32_e32 v2, 0x10000, v3
	v_cmp_eq_u32_sdwa s[0:1], v3, v22 src0_sel:WORD_0 src1_sel:DWORD
	v_cndmask_b32_e64 v29, v2, v3, s[0:1]
; %bb.77:                               ;   in Loop: Header=BB157_52 Depth=1
	s_or_b64 exec, exec, s[2:3]
	v_and_b32_e32 v2, 0x7f800000, v4
	v_cmp_ne_u32_e64 s[0:1], s22, v2
                                        ; implicit-def: $vgpr30
	s_and_saveexec_b64 s[2:3], s[0:1]
	s_xor_b64 s[0:1], exec, s[2:3]
; %bb.78:                               ;   in Loop: Header=BB157_52 Depth=1
	v_bfe_u32 v2, v4, 16, 1
	v_add3_u32 v30, v4, v2, s23
; %bb.79:                               ;   in Loop: Header=BB157_52 Depth=1
	s_andn2_saveexec_b64 s[2:3], s[0:1]
; %bb.80:                               ;   in Loop: Header=BB157_52 Depth=1
	v_or_b32_e32 v2, 0x10000, v4
	v_cmp_eq_u32_sdwa s[0:1], v4, v22 src0_sel:WORD_0 src1_sel:DWORD
	v_cndmask_b32_e64 v30, v2, v4, s[0:1]
; %bb.81:                               ;   in Loop: Header=BB157_52 Depth=1
	s_or_b64 exec, exec, s[2:3]
	v_and_b32_e32 v2, 0x7f800000, v5
	v_cmp_ne_u32_e64 s[0:1], s22, v2
                                        ; implicit-def: $vgpr32
	s_and_saveexec_b64 s[2:3], s[0:1]
	s_xor_b64 s[0:1], exec, s[2:3]
; %bb.82:                               ;   in Loop: Header=BB157_52 Depth=1
	v_bfe_u32 v2, v5, 16, 1
	v_add3_u32 v32, v5, v2, s23
                                        ; implicit-def: $vgpr2_vgpr3_vgpr4_vgpr5
; %bb.83:                               ;   in Loop: Header=BB157_52 Depth=1
	s_andn2_saveexec_b64 s[2:3], s[0:1]
; %bb.84:                               ;   in Loop: Header=BB157_52 Depth=1
	v_or_b32_e32 v2, 0x10000, v5
	v_cmp_eq_u32_sdwa s[0:1], v5, v22 src0_sel:WORD_0 src1_sel:DWORD
	v_cndmask_b32_e64 v32, v2, v5, s[0:1]
; %bb.85:                               ;   in Loop: Header=BB157_52 Depth=1
	s_or_b64 exec, exec, s[2:3]
	s_waitcnt vmcnt(0)
	v_mad_i64_i32 v[2:3], s[0:1], v31, s20, 0
	v_lshlrev_b64 v[2:3], 1, v[2:3]
	v_mov_b32_e32 v4, s17
	v_add_co_u32_e64 v33, s[0:1], s9, v2
	v_addc_co_u32_e64 v34, s[0:1], v4, v3, s[0:1]
	v_add_co_u32_e64 v6, s[0:1], v33, v24
	v_addc_co_u32_e64 v7, s[0:1], 0, v34, s[0:1]
	global_load_dwordx4 v[2:5], v[6:7], off
	v_add_u32_e32 v31, v21, v1
	v_cmp_eq_u32_e64 s[0:1], s21, v10
	s_waitcnt vmcnt(0)
	v_lshrrev_b32_e32 v9, 16, v2
	v_lshrrev_b32_e32 v39, 16, v3
	;; [unrolled: 1-line block ×4, first 2 shown]
	s_and_saveexec_b64 s[14:15], s[0:1]
	s_cbranch_execz .LBB157_87
; %bb.86:                               ;   in Loop: Header=BB157_52 Depth=1
	v_cmp_gt_i32_e64 s[2:3], s29, v31
	v_add_u32_e32 v8, 1, v31
	v_cndmask_b32_e64 v2, 0, v2, s[2:3]
	v_cmp_gt_i32_e64 s[2:3], s29, v8
	v_add_u32_e32 v8, 2, v31
	v_cndmask_b32_e64 v9, 0, v9, s[2:3]
	;; [unrolled: 3-line block ×7, first 2 shown]
	v_cmp_gt_i32_e64 s[2:3], s29, v8
	v_cndmask_b32_e64 v43, 0, v43, s[2:3]
.LBB157_87:                             ;   in Loop: Header=BB157_52 Depth=1
	s_or_b64 exec, exec, s[14:15]
	v_and_b32_e32 v35, 0xffff0000, v35
	v_lshlrev_b32_e32 v2, 16, v2
	v_mul_f32_e32 v2, v35, v2
	v_and_b32_e32 v8, 0x7f800000, v2
	v_cmp_ne_u32_e64 s[2:3], s22, v8
                                        ; implicit-def: $vgpr8
	s_and_saveexec_b64 s[14:15], s[2:3]
	s_xor_b64 s[2:3], exec, s[14:15]
; %bb.88:                               ;   in Loop: Header=BB157_52 Depth=1
	v_bfe_u32 v8, v2, 16, 1
	v_add3_u32 v8, v2, v8, s23
                                        ; implicit-def: $vgpr2
; %bb.89:                               ;   in Loop: Header=BB157_52 Depth=1
	s_andn2_saveexec_b64 s[14:15], s[2:3]
; %bb.90:                               ;   in Loop: Header=BB157_52 Depth=1
	v_or_b32_e32 v8, 0x10000, v2
	v_cmp_eq_u32_sdwa s[2:3], v2, v22 src0_sel:WORD_0 src1_sel:DWORD
	v_cndmask_b32_e64 v8, v8, v2, s[2:3]
; %bb.91:                               ;   in Loop: Header=BB157_52 Depth=1
	s_or_b64 exec, exec, s[14:15]
	v_and_b32_e32 v36, 0xffff0000, v36
	v_lshlrev_b32_e32 v2, 16, v9
	v_mul_f32_e32 v2, v36, v2
	v_and_b32_e32 v9, 0x7f800000, v2
	v_cmp_ne_u32_e64 s[2:3], s22, v9
                                        ; implicit-def: $vgpr9
	s_and_saveexec_b64 s[14:15], s[2:3]
	s_xor_b64 s[2:3], exec, s[14:15]
; %bb.92:                               ;   in Loop: Header=BB157_52 Depth=1
	v_bfe_u32 v9, v2, 16, 1
	v_add3_u32 v9, v2, v9, s23
                                        ; implicit-def: $vgpr2
; %bb.93:                               ;   in Loop: Header=BB157_52 Depth=1
	s_andn2_saveexec_b64 s[14:15], s[2:3]
; %bb.94:                               ;   in Loop: Header=BB157_52 Depth=1
	v_or_b32_e32 v9, 0x10000, v2
	v_cmp_eq_u32_sdwa s[2:3], v2, v22 src0_sel:WORD_0 src1_sel:DWORD
	v_cndmask_b32_e64 v9, v9, v2, s[2:3]
; %bb.95:                               ;   in Loop: Header=BB157_52 Depth=1
	s_or_b64 exec, exec, s[14:15]
	v_and_b32_e32 v37, 0xffff0000, v26
	v_lshlrev_b32_e32 v2, 16, v3
	v_mul_f32_e32 v2, v37, v2
	v_and_b32_e32 v3, 0x7f800000, v2
	v_cmp_ne_u32_e64 s[2:3], s22, v3
                                        ; implicit-def: $vgpr26
	s_and_saveexec_b64 s[14:15], s[2:3]
	s_xor_b64 s[2:3], exec, s[14:15]
; %bb.96:                               ;   in Loop: Header=BB157_52 Depth=1
	v_bfe_u32 v3, v2, 16, 1
	v_add3_u32 v26, v2, v3, s23
                                        ; implicit-def: $vgpr2
; %bb.97:                               ;   in Loop: Header=BB157_52 Depth=1
	s_andn2_saveexec_b64 s[14:15], s[2:3]
; %bb.98:                               ;   in Loop: Header=BB157_52 Depth=1
	v_or_b32_e32 v3, 0x10000, v2
	v_cmp_eq_u32_sdwa s[2:3], v2, v22 src0_sel:WORD_0 src1_sel:DWORD
	v_cndmask_b32_e64 v26, v3, v2, s[2:3]
; %bb.99:                               ;   in Loop: Header=BB157_52 Depth=1
	s_or_b64 exec, exec, s[14:15]
	v_and_b32_e32 v38, 0xffff0000, v27
	v_lshlrev_b32_e32 v2, 16, v39
	v_mul_f32_e32 v2, v38, v2
	v_and_b32_e32 v3, 0x7f800000, v2
	v_cmp_ne_u32_e64 s[2:3], s22, v3
                                        ; implicit-def: $vgpr27
	s_and_saveexec_b64 s[14:15], s[2:3]
	s_xor_b64 s[2:3], exec, s[14:15]
; %bb.100:                              ;   in Loop: Header=BB157_52 Depth=1
	v_bfe_u32 v3, v2, 16, 1
	v_add3_u32 v27, v2, v3, s23
                                        ; implicit-def: $vgpr2
; %bb.101:                              ;   in Loop: Header=BB157_52 Depth=1
	s_andn2_saveexec_b64 s[14:15], s[2:3]
; %bb.102:                              ;   in Loop: Header=BB157_52 Depth=1
	v_or_b32_e32 v3, 0x10000, v2
	v_cmp_eq_u32_sdwa s[2:3], v2, v22 src0_sel:WORD_0 src1_sel:DWORD
	v_cndmask_b32_e64 v27, v3, v2, s[2:3]
; %bb.103:                              ;   in Loop: Header=BB157_52 Depth=1
	s_or_b64 exec, exec, s[14:15]
	v_and_b32_e32 v39, 0xffff0000, v28
	v_lshlrev_b32_e32 v2, 16, v4
	v_mul_f32_e32 v2, v39, v2
	v_and_b32_e32 v3, 0x7f800000, v2
	v_cmp_ne_u32_e64 s[2:3], s22, v3
                                        ; implicit-def: $vgpr28
	s_and_saveexec_b64 s[14:15], s[2:3]
	s_xor_b64 s[2:3], exec, s[14:15]
; %bb.104:                              ;   in Loop: Header=BB157_52 Depth=1
	v_bfe_u32 v3, v2, 16, 1
	v_add3_u32 v28, v2, v3, s23
                                        ; implicit-def: $vgpr2
; %bb.105:                              ;   in Loop: Header=BB157_52 Depth=1
	s_andn2_saveexec_b64 s[14:15], s[2:3]
; %bb.106:                              ;   in Loop: Header=BB157_52 Depth=1
	v_or_b32_e32 v3, 0x10000, v2
	v_cmp_eq_u32_sdwa s[2:3], v2, v22 src0_sel:WORD_0 src1_sel:DWORD
	v_cndmask_b32_e64 v28, v3, v2, s[2:3]
; %bb.107:                              ;   in Loop: Header=BB157_52 Depth=1
	s_or_b64 exec, exec, s[14:15]
	v_and_b32_e32 v40, 0xffff0000, v29
	v_lshlrev_b32_e32 v2, 16, v41
	v_mul_f32_e32 v2, v40, v2
	v_and_b32_e32 v3, 0x7f800000, v2
	v_cmp_ne_u32_e64 s[2:3], s22, v3
                                        ; implicit-def: $vgpr29
	s_and_saveexec_b64 s[14:15], s[2:3]
	s_xor_b64 s[2:3], exec, s[14:15]
; %bb.108:                              ;   in Loop: Header=BB157_52 Depth=1
	v_bfe_u32 v3, v2, 16, 1
	v_add3_u32 v29, v2, v3, s23
                                        ; implicit-def: $vgpr2
; %bb.109:                              ;   in Loop: Header=BB157_52 Depth=1
	s_andn2_saveexec_b64 s[14:15], s[2:3]
; %bb.110:                              ;   in Loop: Header=BB157_52 Depth=1
	v_or_b32_e32 v3, 0x10000, v2
	v_cmp_eq_u32_sdwa s[2:3], v2, v22 src0_sel:WORD_0 src1_sel:DWORD
	v_cndmask_b32_e64 v29, v3, v2, s[2:3]
; %bb.111:                              ;   in Loop: Header=BB157_52 Depth=1
	s_or_b64 exec, exec, s[14:15]
	v_and_b32_e32 v41, 0xffff0000, v30
	v_lshlrev_b32_e32 v2, 16, v5
	v_mul_f32_e32 v2, v41, v2
	v_and_b32_e32 v3, 0x7f800000, v2
	v_cmp_ne_u32_e64 s[2:3], s22, v3
                                        ; implicit-def: $vgpr30
	s_and_saveexec_b64 s[14:15], s[2:3]
	s_xor_b64 s[2:3], exec, s[14:15]
; %bb.112:                              ;   in Loop: Header=BB157_52 Depth=1
	v_bfe_u32 v3, v2, 16, 1
	v_add3_u32 v30, v2, v3, s23
                                        ; implicit-def: $vgpr2
; %bb.113:                              ;   in Loop: Header=BB157_52 Depth=1
	s_andn2_saveexec_b64 s[14:15], s[2:3]
; %bb.114:                              ;   in Loop: Header=BB157_52 Depth=1
	v_or_b32_e32 v3, 0x10000, v2
	v_cmp_eq_u32_sdwa s[2:3], v2, v22 src0_sel:WORD_0 src1_sel:DWORD
	v_cndmask_b32_e64 v30, v3, v2, s[2:3]
; %bb.115:                              ;   in Loop: Header=BB157_52 Depth=1
	s_or_b64 exec, exec, s[14:15]
	v_and_b32_e32 v42, 0xffff0000, v32
	v_lshlrev_b32_e32 v2, 16, v43
	v_mul_f32_e32 v2, v42, v2
	v_and_b32_e32 v3, 0x7f800000, v2
	v_cmp_ne_u32_e64 s[2:3], s22, v3
                                        ; implicit-def: $vgpr32
	s_and_saveexec_b64 s[14:15], s[2:3]
	s_xor_b64 s[2:3], exec, s[14:15]
; %bb.116:                              ;   in Loop: Header=BB157_52 Depth=1
	v_bfe_u32 v3, v2, 16, 1
	v_add3_u32 v32, v2, v3, s23
                                        ; implicit-def: $vgpr2
; %bb.117:                              ;   in Loop: Header=BB157_52 Depth=1
	s_andn2_saveexec_b64 s[14:15], s[2:3]
; %bb.118:                              ;   in Loop: Header=BB157_52 Depth=1
	v_or_b32_e32 v3, 0x10000, v2
	v_cmp_eq_u32_sdwa s[2:3], v2, v22 src0_sel:WORD_0 src1_sel:DWORD
	v_cndmask_b32_e64 v32, v3, v2, s[2:3]
; %bb.119:                              ;   in Loop: Header=BB157_52 Depth=1
	s_or_b64 exec, exec, s[14:15]
	global_load_dwordx4 v[2:5], v[6:7], off offset:1024
	s_waitcnt vmcnt(0)
	v_lshrrev_b32_e32 v44, 16, v2
	v_lshrrev_b32_e32 v46, 16, v3
	;; [unrolled: 1-line block ×4, first 2 shown]
	s_and_saveexec_b64 s[14:15], s[0:1]
	s_cbranch_execz .LBB157_121
; %bb.120:                              ;   in Loop: Header=BB157_52 Depth=1
	v_cmp_gt_i32_e64 s[2:3], s29, v31
	v_add_u32_e32 v43, 1, v31
	v_cndmask_b32_e64 v2, 0, v2, s[2:3]
	v_cmp_gt_i32_e64 s[2:3], s29, v43
	v_add_u32_e32 v43, 2, v31
	v_cndmask_b32_e64 v44, 0, v44, s[2:3]
	;; [unrolled: 3-line block ×7, first 2 shown]
	v_cmp_gt_i32_e64 s[2:3], s29, v43
	v_cndmask_b32_e64 v50, 0, v50, s[2:3]
.LBB157_121:                            ;   in Loop: Header=BB157_52 Depth=1
	s_or_b64 exec, exec, s[14:15]
	v_lshlrev_b32_e32 v2, 16, v2
	v_mul_f32_e32 v2, v35, v2
	v_and_b32_e32 v43, 0x7f800000, v2
	v_cmp_ne_u32_e64 s[2:3], s22, v43
                                        ; implicit-def: $vgpr43
	s_and_saveexec_b64 s[14:15], s[2:3]
	s_xor_b64 s[2:3], exec, s[14:15]
; %bb.122:                              ;   in Loop: Header=BB157_52 Depth=1
	v_bfe_u32 v43, v2, 16, 1
	v_add3_u32 v43, v2, v43, s23
                                        ; implicit-def: $vgpr2
; %bb.123:                              ;   in Loop: Header=BB157_52 Depth=1
	s_andn2_saveexec_b64 s[14:15], s[2:3]
; %bb.124:                              ;   in Loop: Header=BB157_52 Depth=1
	v_or_b32_e32 v43, 0x10000, v2
	v_cmp_eq_u32_sdwa s[2:3], v2, v22 src0_sel:WORD_0 src1_sel:DWORD
	v_cndmask_b32_e64 v43, v43, v2, s[2:3]
; %bb.125:                              ;   in Loop: Header=BB157_52 Depth=1
	s_or_b64 exec, exec, s[14:15]
	v_lshlrev_b32_e32 v2, 16, v44
	v_mul_f32_e32 v2, v36, v2
	v_and_b32_e32 v44, 0x7f800000, v2
	v_cmp_ne_u32_e64 s[2:3], s22, v44
                                        ; implicit-def: $vgpr44
	s_and_saveexec_b64 s[14:15], s[2:3]
	s_xor_b64 s[2:3], exec, s[14:15]
; %bb.126:                              ;   in Loop: Header=BB157_52 Depth=1
	v_bfe_u32 v44, v2, 16, 1
	v_add3_u32 v44, v2, v44, s23
                                        ; implicit-def: $vgpr2
; %bb.127:                              ;   in Loop: Header=BB157_52 Depth=1
	s_andn2_saveexec_b64 s[14:15], s[2:3]
; %bb.128:                              ;   in Loop: Header=BB157_52 Depth=1
	v_or_b32_e32 v44, 0x10000, v2
	v_cmp_eq_u32_sdwa s[2:3], v2, v22 src0_sel:WORD_0 src1_sel:DWORD
	v_cndmask_b32_e64 v44, v44, v2, s[2:3]
; %bb.129:                              ;   in Loop: Header=BB157_52 Depth=1
	s_or_b64 exec, exec, s[14:15]
	v_lshlrev_b32_e32 v2, 16, v3
	v_mul_f32_e32 v2, v37, v2
	v_and_b32_e32 v3, 0x7f800000, v2
	v_cmp_ne_u32_e64 s[2:3], s22, v3
                                        ; implicit-def: $vgpr45
	s_and_saveexec_b64 s[14:15], s[2:3]
	s_xor_b64 s[2:3], exec, s[14:15]
; %bb.130:                              ;   in Loop: Header=BB157_52 Depth=1
	v_bfe_u32 v3, v2, 16, 1
	v_add3_u32 v45, v2, v3, s23
                                        ; implicit-def: $vgpr2
; %bb.131:                              ;   in Loop: Header=BB157_52 Depth=1
	s_andn2_saveexec_b64 s[14:15], s[2:3]
; %bb.132:                              ;   in Loop: Header=BB157_52 Depth=1
	v_or_b32_e32 v3, 0x10000, v2
	v_cmp_eq_u32_sdwa s[2:3], v2, v22 src0_sel:WORD_0 src1_sel:DWORD
	v_cndmask_b32_e64 v45, v3, v2, s[2:3]
; %bb.133:                              ;   in Loop: Header=BB157_52 Depth=1
	s_or_b64 exec, exec, s[14:15]
	v_lshlrev_b32_e32 v2, 16, v46
	v_mul_f32_e32 v2, v38, v2
	v_and_b32_e32 v3, 0x7f800000, v2
	v_cmp_ne_u32_e64 s[2:3], s22, v3
                                        ; implicit-def: $vgpr46
	s_and_saveexec_b64 s[14:15], s[2:3]
	s_xor_b64 s[2:3], exec, s[14:15]
; %bb.134:                              ;   in Loop: Header=BB157_52 Depth=1
	v_bfe_u32 v3, v2, 16, 1
	v_add3_u32 v46, v2, v3, s23
                                        ; implicit-def: $vgpr2
; %bb.135:                              ;   in Loop: Header=BB157_52 Depth=1
	s_andn2_saveexec_b64 s[14:15], s[2:3]
; %bb.136:                              ;   in Loop: Header=BB157_52 Depth=1
	v_or_b32_e32 v3, 0x10000, v2
	v_cmp_eq_u32_sdwa s[2:3], v2, v22 src0_sel:WORD_0 src1_sel:DWORD
	v_cndmask_b32_e64 v46, v3, v2, s[2:3]
; %bb.137:                              ;   in Loop: Header=BB157_52 Depth=1
	s_or_b64 exec, exec, s[14:15]
	v_lshlrev_b32_e32 v2, 16, v4
	v_mul_f32_e32 v2, v39, v2
	v_and_b32_e32 v3, 0x7f800000, v2
	v_cmp_ne_u32_e64 s[2:3], s22, v3
                                        ; implicit-def: $vgpr47
	s_and_saveexec_b64 s[14:15], s[2:3]
	s_xor_b64 s[2:3], exec, s[14:15]
; %bb.138:                              ;   in Loop: Header=BB157_52 Depth=1
	v_bfe_u32 v3, v2, 16, 1
	v_add3_u32 v47, v2, v3, s23
                                        ; implicit-def: $vgpr2
; %bb.139:                              ;   in Loop: Header=BB157_52 Depth=1
	s_andn2_saveexec_b64 s[14:15], s[2:3]
; %bb.140:                              ;   in Loop: Header=BB157_52 Depth=1
	v_or_b32_e32 v3, 0x10000, v2
	v_cmp_eq_u32_sdwa s[2:3], v2, v22 src0_sel:WORD_0 src1_sel:DWORD
	v_cndmask_b32_e64 v47, v3, v2, s[2:3]
; %bb.141:                              ;   in Loop: Header=BB157_52 Depth=1
	s_or_b64 exec, exec, s[14:15]
	v_lshlrev_b32_e32 v2, 16, v48
	v_mul_f32_e32 v2, v40, v2
	v_and_b32_e32 v3, 0x7f800000, v2
	v_cmp_ne_u32_e64 s[2:3], s22, v3
                                        ; implicit-def: $vgpr48
	s_and_saveexec_b64 s[14:15], s[2:3]
	s_xor_b64 s[2:3], exec, s[14:15]
; %bb.142:                              ;   in Loop: Header=BB157_52 Depth=1
	v_bfe_u32 v3, v2, 16, 1
	v_add3_u32 v48, v2, v3, s23
                                        ; implicit-def: $vgpr2
; %bb.143:                              ;   in Loop: Header=BB157_52 Depth=1
	s_andn2_saveexec_b64 s[14:15], s[2:3]
; %bb.144:                              ;   in Loop: Header=BB157_52 Depth=1
	v_or_b32_e32 v3, 0x10000, v2
	v_cmp_eq_u32_sdwa s[2:3], v2, v22 src0_sel:WORD_0 src1_sel:DWORD
	v_cndmask_b32_e64 v48, v3, v2, s[2:3]
; %bb.145:                              ;   in Loop: Header=BB157_52 Depth=1
	s_or_b64 exec, exec, s[14:15]
	v_lshlrev_b32_e32 v2, 16, v5
	v_mul_f32_e32 v2, v41, v2
	v_and_b32_e32 v3, 0x7f800000, v2
	v_cmp_ne_u32_e64 s[2:3], s22, v3
                                        ; implicit-def: $vgpr49
	s_and_saveexec_b64 s[14:15], s[2:3]
	s_xor_b64 s[2:3], exec, s[14:15]
; %bb.146:                              ;   in Loop: Header=BB157_52 Depth=1
	v_bfe_u32 v3, v2, 16, 1
	v_add3_u32 v49, v2, v3, s23
                                        ; implicit-def: $vgpr2
; %bb.147:                              ;   in Loop: Header=BB157_52 Depth=1
	s_andn2_saveexec_b64 s[14:15], s[2:3]
; %bb.148:                              ;   in Loop: Header=BB157_52 Depth=1
	v_or_b32_e32 v3, 0x10000, v2
	v_cmp_eq_u32_sdwa s[2:3], v2, v22 src0_sel:WORD_0 src1_sel:DWORD
	v_cndmask_b32_e64 v49, v3, v2, s[2:3]
; %bb.149:                              ;   in Loop: Header=BB157_52 Depth=1
	s_or_b64 exec, exec, s[14:15]
	v_lshlrev_b32_e32 v2, 16, v50
	v_mul_f32_e32 v2, v42, v2
	v_and_b32_e32 v3, 0x7f800000, v2
	v_cmp_ne_u32_e64 s[2:3], s22, v3
                                        ; implicit-def: $vgpr50
	s_and_saveexec_b64 s[14:15], s[2:3]
	s_xor_b64 s[2:3], exec, s[14:15]
; %bb.150:                              ;   in Loop: Header=BB157_52 Depth=1
	v_bfe_u32 v3, v2, 16, 1
	v_add3_u32 v50, v2, v3, s23
                                        ; implicit-def: $vgpr2
; %bb.151:                              ;   in Loop: Header=BB157_52 Depth=1
	s_andn2_saveexec_b64 s[14:15], s[2:3]
; %bb.152:                              ;   in Loop: Header=BB157_52 Depth=1
	v_or_b32_e32 v3, 0x10000, v2
	v_cmp_eq_u32_sdwa s[2:3], v2, v22 src0_sel:WORD_0 src1_sel:DWORD
	v_cndmask_b32_e64 v50, v3, v2, s[2:3]
; %bb.153:                              ;   in Loop: Header=BB157_52 Depth=1
	s_or_b64 exec, exec, s[14:15]
	global_load_dwordx4 v[2:5], v[6:7], off offset:2048
	s_waitcnt vmcnt(0)
	v_lshrrev_b32_e32 v7, 16, v2
	v_lshrrev_b32_e32 v52, 16, v3
	;; [unrolled: 1-line block ×4, first 2 shown]
	s_and_saveexec_b64 s[14:15], s[0:1]
	s_cbranch_execz .LBB157_155
; %bb.154:                              ;   in Loop: Header=BB157_52 Depth=1
	v_cmp_gt_i32_e64 s[2:3], s29, v31
	v_add_u32_e32 v6, 1, v31
	v_cndmask_b32_e64 v2, 0, v2, s[2:3]
	v_cmp_gt_i32_e64 s[2:3], s29, v6
	v_add_u32_e32 v6, 2, v31
	v_cndmask_b32_e64 v7, 0, v7, s[2:3]
	;; [unrolled: 3-line block ×7, first 2 shown]
	v_cmp_gt_i32_e64 s[2:3], s29, v6
	v_cndmask_b32_e64 v56, 0, v56, s[2:3]
.LBB157_155:                            ;   in Loop: Header=BB157_52 Depth=1
	s_or_b64 exec, exec, s[14:15]
	v_lshlrev_b32_e32 v2, 16, v2
	v_mul_f32_e32 v2, v35, v2
	v_and_b32_e32 v6, 0x7f800000, v2
	v_cmp_ne_u32_e64 s[2:3], s22, v6
                                        ; implicit-def: $vgpr6
	s_and_saveexec_b64 s[14:15], s[2:3]
	s_xor_b64 s[2:3], exec, s[14:15]
; %bb.156:                              ;   in Loop: Header=BB157_52 Depth=1
	v_bfe_u32 v6, v2, 16, 1
	v_add3_u32 v6, v2, v6, s23
                                        ; implicit-def: $vgpr2
; %bb.157:                              ;   in Loop: Header=BB157_52 Depth=1
	s_andn2_saveexec_b64 s[14:15], s[2:3]
; %bb.158:                              ;   in Loop: Header=BB157_52 Depth=1
	v_or_b32_e32 v6, 0x10000, v2
	v_cmp_eq_u32_sdwa s[2:3], v2, v22 src0_sel:WORD_0 src1_sel:DWORD
	v_cndmask_b32_e64 v6, v6, v2, s[2:3]
; %bb.159:                              ;   in Loop: Header=BB157_52 Depth=1
	s_or_b64 exec, exec, s[14:15]
	v_lshlrev_b32_e32 v2, 16, v7
	v_mul_f32_e32 v2, v36, v2
	v_and_b32_e32 v7, 0x7f800000, v2
	v_cmp_ne_u32_e64 s[2:3], s22, v7
                                        ; implicit-def: $vgpr7
	s_and_saveexec_b64 s[14:15], s[2:3]
	s_xor_b64 s[2:3], exec, s[14:15]
; %bb.160:                              ;   in Loop: Header=BB157_52 Depth=1
	v_bfe_u32 v7, v2, 16, 1
	v_add3_u32 v7, v2, v7, s23
                                        ; implicit-def: $vgpr2
; %bb.161:                              ;   in Loop: Header=BB157_52 Depth=1
	s_andn2_saveexec_b64 s[14:15], s[2:3]
; %bb.162:                              ;   in Loop: Header=BB157_52 Depth=1
	v_or_b32_e32 v7, 0x10000, v2
	v_cmp_eq_u32_sdwa s[2:3], v2, v22 src0_sel:WORD_0 src1_sel:DWORD
	v_cndmask_b32_e64 v7, v7, v2, s[2:3]
; %bb.163:                              ;   in Loop: Header=BB157_52 Depth=1
	s_or_b64 exec, exec, s[14:15]
	v_lshlrev_b32_e32 v2, 16, v3
	v_mul_f32_e32 v2, v37, v2
	v_and_b32_e32 v3, 0x7f800000, v2
	v_cmp_ne_u32_e64 s[2:3], s22, v3
                                        ; implicit-def: $vgpr51
	s_and_saveexec_b64 s[14:15], s[2:3]
	s_xor_b64 s[2:3], exec, s[14:15]
; %bb.164:                              ;   in Loop: Header=BB157_52 Depth=1
	v_bfe_u32 v3, v2, 16, 1
	v_add3_u32 v51, v2, v3, s23
                                        ; implicit-def: $vgpr2
; %bb.165:                              ;   in Loop: Header=BB157_52 Depth=1
	s_andn2_saveexec_b64 s[14:15], s[2:3]
; %bb.166:                              ;   in Loop: Header=BB157_52 Depth=1
	v_or_b32_e32 v3, 0x10000, v2
	v_cmp_eq_u32_sdwa s[2:3], v2, v22 src0_sel:WORD_0 src1_sel:DWORD
	v_cndmask_b32_e64 v51, v3, v2, s[2:3]
; %bb.167:                              ;   in Loop: Header=BB157_52 Depth=1
	s_or_b64 exec, exec, s[14:15]
	v_lshlrev_b32_e32 v2, 16, v52
	v_mul_f32_e32 v2, v38, v2
	v_and_b32_e32 v3, 0x7f800000, v2
	v_cmp_ne_u32_e64 s[2:3], s22, v3
                                        ; implicit-def: $vgpr52
	s_and_saveexec_b64 s[14:15], s[2:3]
	s_xor_b64 s[2:3], exec, s[14:15]
; %bb.168:                              ;   in Loop: Header=BB157_52 Depth=1
	v_bfe_u32 v3, v2, 16, 1
	v_add3_u32 v52, v2, v3, s23
                                        ; implicit-def: $vgpr2
; %bb.169:                              ;   in Loop: Header=BB157_52 Depth=1
	s_andn2_saveexec_b64 s[14:15], s[2:3]
; %bb.170:                              ;   in Loop: Header=BB157_52 Depth=1
	v_or_b32_e32 v3, 0x10000, v2
	v_cmp_eq_u32_sdwa s[2:3], v2, v22 src0_sel:WORD_0 src1_sel:DWORD
	v_cndmask_b32_e64 v52, v3, v2, s[2:3]
; %bb.171:                              ;   in Loop: Header=BB157_52 Depth=1
	s_or_b64 exec, exec, s[14:15]
	v_lshlrev_b32_e32 v2, 16, v4
	v_mul_f32_e32 v2, v39, v2
	v_and_b32_e32 v3, 0x7f800000, v2
	v_cmp_ne_u32_e64 s[2:3], s22, v3
                                        ; implicit-def: $vgpr53
	s_and_saveexec_b64 s[14:15], s[2:3]
	s_xor_b64 s[2:3], exec, s[14:15]
; %bb.172:                              ;   in Loop: Header=BB157_52 Depth=1
	v_bfe_u32 v3, v2, 16, 1
	v_add3_u32 v53, v2, v3, s23
                                        ; implicit-def: $vgpr2
; %bb.173:                              ;   in Loop: Header=BB157_52 Depth=1
	s_andn2_saveexec_b64 s[14:15], s[2:3]
; %bb.174:                              ;   in Loop: Header=BB157_52 Depth=1
	v_or_b32_e32 v3, 0x10000, v2
	v_cmp_eq_u32_sdwa s[2:3], v2, v22 src0_sel:WORD_0 src1_sel:DWORD
	v_cndmask_b32_e64 v53, v3, v2, s[2:3]
; %bb.175:                              ;   in Loop: Header=BB157_52 Depth=1
	s_or_b64 exec, exec, s[14:15]
	v_lshlrev_b32_e32 v2, 16, v54
	v_mul_f32_e32 v2, v40, v2
	v_and_b32_e32 v3, 0x7f800000, v2
	v_cmp_ne_u32_e64 s[2:3], s22, v3
                                        ; implicit-def: $vgpr54
	s_and_saveexec_b64 s[14:15], s[2:3]
	s_xor_b64 s[2:3], exec, s[14:15]
; %bb.176:                              ;   in Loop: Header=BB157_52 Depth=1
	v_bfe_u32 v3, v2, 16, 1
	v_add3_u32 v54, v2, v3, s23
                                        ; implicit-def: $vgpr2
; %bb.177:                              ;   in Loop: Header=BB157_52 Depth=1
	s_andn2_saveexec_b64 s[14:15], s[2:3]
; %bb.178:                              ;   in Loop: Header=BB157_52 Depth=1
	v_or_b32_e32 v3, 0x10000, v2
	v_cmp_eq_u32_sdwa s[2:3], v2, v22 src0_sel:WORD_0 src1_sel:DWORD
	v_cndmask_b32_e64 v54, v3, v2, s[2:3]
; %bb.179:                              ;   in Loop: Header=BB157_52 Depth=1
	s_or_b64 exec, exec, s[14:15]
	v_lshlrev_b32_e32 v2, 16, v5
	v_mul_f32_e32 v2, v41, v2
	v_and_b32_e32 v3, 0x7f800000, v2
	v_cmp_ne_u32_e64 s[2:3], s22, v3
                                        ; implicit-def: $vgpr55
	s_and_saveexec_b64 s[14:15], s[2:3]
	s_xor_b64 s[2:3], exec, s[14:15]
; %bb.180:                              ;   in Loop: Header=BB157_52 Depth=1
	v_bfe_u32 v3, v2, 16, 1
	v_add3_u32 v55, v2, v3, s23
                                        ; implicit-def: $vgpr2
; %bb.181:                              ;   in Loop: Header=BB157_52 Depth=1
	s_andn2_saveexec_b64 s[14:15], s[2:3]
; %bb.182:                              ;   in Loop: Header=BB157_52 Depth=1
	v_or_b32_e32 v3, 0x10000, v2
	v_cmp_eq_u32_sdwa s[2:3], v2, v22 src0_sel:WORD_0 src1_sel:DWORD
	v_cndmask_b32_e64 v55, v3, v2, s[2:3]
; %bb.183:                              ;   in Loop: Header=BB157_52 Depth=1
	s_or_b64 exec, exec, s[14:15]
	v_lshlrev_b32_e32 v2, 16, v56
	v_mul_f32_e32 v2, v42, v2
	v_and_b32_e32 v3, 0x7f800000, v2
	v_cmp_ne_u32_e64 s[2:3], s22, v3
                                        ; implicit-def: $vgpr56
	s_and_saveexec_b64 s[14:15], s[2:3]
	s_xor_b64 s[2:3], exec, s[14:15]
	s_cbranch_execnz .LBB157_186
; %bb.184:                              ;   in Loop: Header=BB157_52 Depth=1
	s_andn2_saveexec_b64 s[14:15], s[2:3]
	s_cbranch_execnz .LBB157_187
.LBB157_185:                            ;   in Loop: Header=BB157_52 Depth=1
	s_or_b64 exec, exec, s[14:15]
	s_and_saveexec_b64 s[14:15], vcc
	s_cbranch_execz .LBB157_50
	s_branch .LBB157_188
.LBB157_186:                            ;   in Loop: Header=BB157_52 Depth=1
	v_bfe_u32 v3, v2, 16, 1
	v_add3_u32 v56, v2, v3, s23
                                        ; implicit-def: $vgpr2
	s_andn2_saveexec_b64 s[14:15], s[2:3]
	s_cbranch_execz .LBB157_185
.LBB157_187:                            ;   in Loop: Header=BB157_52 Depth=1
	v_or_b32_e32 v3, 0x10000, v2
	v_cmp_eq_u32_sdwa s[2:3], v2, v22 src0_sel:WORD_0 src1_sel:DWORD
	v_cndmask_b32_e64 v56, v3, v2, s[2:3]
	s_or_b64 exec, exec, s[14:15]
	s_and_saveexec_b64 s[14:15], vcc
	s_cbranch_execz .LBB157_50
.LBB157_188:                            ;   in Loop: Header=BB157_52 Depth=1
	v_add_co_u32_e64 v2, s[2:3], v33, v25
	v_addc_co_u32_e64 v3, s[2:3], 0, v34, s[2:3]
	global_load_dwordx4 v[2:5], v[2:3], off
	s_waitcnt vmcnt(0)
	v_lshrrev_b32_e32 v58, 16, v2
	v_lshrrev_b32_e32 v57, 16, v3
	;; [unrolled: 1-line block ×4, first 2 shown]
	s_and_saveexec_b64 s[2:3], s[0:1]
	s_cbranch_execz .LBB157_190
; %bb.189:                              ;   in Loop: Header=BB157_52 Depth=1
	v_cmp_gt_i32_e64 s[0:1], s29, v31
	v_add_u32_e32 v59, 1, v31
	v_cndmask_b32_e64 v2, 0, v2, s[0:1]
	v_cmp_gt_i32_e64 s[0:1], s29, v59
	v_add_u32_e32 v59, 2, v31
	v_cndmask_b32_e64 v58, 0, v58, s[0:1]
	;; [unrolled: 3-line block ×7, first 2 shown]
	v_cmp_gt_i32_e64 s[0:1], s29, v31
	v_cndmask_b32_e64 v33, 0, v33, s[0:1]
.LBB157_190:                            ;   in Loop: Header=BB157_52 Depth=1
	s_or_b64 exec, exec, s[2:3]
	v_lshlrev_b32_e32 v2, 16, v2
	v_mul_f32_e32 v31, v35, v2
	v_and_b32_e32 v2, 0x7f800000, v31
	v_cmp_ne_u32_e64 s[0:1], s22, v2
                                        ; implicit-def: $vgpr2
	s_and_saveexec_b64 s[2:3], s[0:1]
	s_xor_b64 s[0:1], exec, s[2:3]
; %bb.191:                              ;   in Loop: Header=BB157_52 Depth=1
	v_bfe_u32 v2, v31, 16, 1
	v_add3_u32 v2, v31, v2, s23
                                        ; implicit-def: $vgpr31
; %bb.192:                              ;   in Loop: Header=BB157_52 Depth=1
	s_andn2_saveexec_b64 s[2:3], s[0:1]
; %bb.193:                              ;   in Loop: Header=BB157_52 Depth=1
	v_or_b32_e32 v2, 0x10000, v31
	v_cmp_eq_u32_sdwa s[0:1], v31, v22 src0_sel:WORD_0 src1_sel:DWORD
	v_cndmask_b32_e64 v2, v2, v31, s[0:1]
; %bb.194:                              ;   in Loop: Header=BB157_52 Depth=1
	s_or_b64 exec, exec, s[2:3]
	v_lshlrev_b32_e32 v31, 16, v58
	v_mul_f32_e32 v35, v36, v31
	v_and_b32_e32 v31, 0x7f800000, v35
	v_cmp_ne_u32_e64 s[0:1], s22, v31
                                        ; implicit-def: $vgpr31
	s_and_saveexec_b64 s[2:3], s[0:1]
	s_xor_b64 s[0:1], exec, s[2:3]
; %bb.195:                              ;   in Loop: Header=BB157_52 Depth=1
	v_bfe_u32 v31, v35, 16, 1
	v_add3_u32 v31, v35, v31, s23
                                        ; implicit-def: $vgpr35
; %bb.196:                              ;   in Loop: Header=BB157_52 Depth=1
	s_andn2_saveexec_b64 s[2:3], s[0:1]
; %bb.197:                              ;   in Loop: Header=BB157_52 Depth=1
	v_or_b32_e32 v31, 0x10000, v35
	v_cmp_eq_u32_sdwa s[0:1], v35, v22 src0_sel:WORD_0 src1_sel:DWORD
	v_cndmask_b32_e64 v31, v31, v35, s[0:1]
; %bb.198:                              ;   in Loop: Header=BB157_52 Depth=1
	s_or_b64 exec, exec, s[2:3]
	v_lshlrev_b32_e32 v3, 16, v3
	v_mul_f32_e32 v35, v37, v3
	v_and_b32_e32 v3, 0x7f800000, v35
	v_cmp_ne_u32_e64 s[0:1], s22, v3
                                        ; implicit-def: $vgpr3
	s_and_saveexec_b64 s[2:3], s[0:1]
	s_xor_b64 s[0:1], exec, s[2:3]
; %bb.199:                              ;   in Loop: Header=BB157_52 Depth=1
	v_bfe_u32 v3, v35, 16, 1
	v_add3_u32 v3, v35, v3, s23
                                        ; implicit-def: $vgpr35
; %bb.200:                              ;   in Loop: Header=BB157_52 Depth=1
	s_andn2_saveexec_b64 s[2:3], s[0:1]
; %bb.201:                              ;   in Loop: Header=BB157_52 Depth=1
	v_or_b32_e32 v3, 0x10000, v35
	v_cmp_eq_u32_sdwa s[0:1], v35, v22 src0_sel:WORD_0 src1_sel:DWORD
	v_cndmask_b32_e64 v3, v3, v35, s[0:1]
; %bb.202:                              ;   in Loop: Header=BB157_52 Depth=1
	s_or_b64 exec, exec, s[2:3]
	v_lshlrev_b32_e32 v35, 16, v57
	v_mul_f32_e32 v36, v38, v35
	v_and_b32_e32 v35, 0x7f800000, v36
	v_cmp_ne_u32_e64 s[0:1], s22, v35
                                        ; implicit-def: $vgpr35
	s_and_saveexec_b64 s[2:3], s[0:1]
	s_xor_b64 s[0:1], exec, s[2:3]
; %bb.203:                              ;   in Loop: Header=BB157_52 Depth=1
	v_bfe_u32 v35, v36, 16, 1
	v_add3_u32 v35, v36, v35, s23
                                        ; implicit-def: $vgpr36
; %bb.204:                              ;   in Loop: Header=BB157_52 Depth=1
	s_andn2_saveexec_b64 s[2:3], s[0:1]
; %bb.205:                              ;   in Loop: Header=BB157_52 Depth=1
	v_or_b32_e32 v35, 0x10000, v36
	v_cmp_eq_u32_sdwa s[0:1], v36, v22 src0_sel:WORD_0 src1_sel:DWORD
	v_cndmask_b32_e64 v35, v35, v36, s[0:1]
; %bb.206:                              ;   in Loop: Header=BB157_52 Depth=1
	s_or_b64 exec, exec, s[2:3]
	v_lshlrev_b32_e32 v4, 16, v4
	v_mul_f32_e32 v36, v39, v4
	v_and_b32_e32 v4, 0x7f800000, v36
	v_cmp_ne_u32_e64 s[0:1], s22, v4
                                        ; implicit-def: $vgpr4
	s_and_saveexec_b64 s[2:3], s[0:1]
	s_xor_b64 s[0:1], exec, s[2:3]
; %bb.207:                              ;   in Loop: Header=BB157_52 Depth=1
	v_bfe_u32 v4, v36, 16, 1
	v_add3_u32 v4, v36, v4, s23
                                        ; implicit-def: $vgpr36
; %bb.208:                              ;   in Loop: Header=BB157_52 Depth=1
	s_andn2_saveexec_b64 s[2:3], s[0:1]
; %bb.209:                              ;   in Loop: Header=BB157_52 Depth=1
	v_or_b32_e32 v4, 0x10000, v36
	v_cmp_eq_u32_sdwa s[0:1], v36, v22 src0_sel:WORD_0 src1_sel:DWORD
	v_cndmask_b32_e64 v4, v4, v36, s[0:1]
; %bb.210:                              ;   in Loop: Header=BB157_52 Depth=1
	s_or_b64 exec, exec, s[2:3]
	v_lshlrev_b32_e32 v34, 16, v34
	v_mul_f32_e32 v36, v40, v34
	v_and_b32_e32 v34, 0x7f800000, v36
	v_cmp_ne_u32_e64 s[0:1], s22, v34
                                        ; implicit-def: $vgpr34
	s_and_saveexec_b64 s[2:3], s[0:1]
	s_xor_b64 s[0:1], exec, s[2:3]
; %bb.211:                              ;   in Loop: Header=BB157_52 Depth=1
	v_bfe_u32 v34, v36, 16, 1
	v_add3_u32 v34, v36, v34, s23
                                        ; implicit-def: $vgpr36
; %bb.212:                              ;   in Loop: Header=BB157_52 Depth=1
	s_andn2_saveexec_b64 s[2:3], s[0:1]
; %bb.213:                              ;   in Loop: Header=BB157_52 Depth=1
	v_or_b32_e32 v34, 0x10000, v36
	v_cmp_eq_u32_sdwa s[0:1], v36, v22 src0_sel:WORD_0 src1_sel:DWORD
	v_cndmask_b32_e64 v34, v34, v36, s[0:1]
; %bb.214:                              ;   in Loop: Header=BB157_52 Depth=1
	s_or_b64 exec, exec, s[2:3]
	v_lshlrev_b32_e32 v5, 16, v5
	v_mul_f32_e32 v36, v41, v5
	v_and_b32_e32 v5, 0x7f800000, v36
	v_cmp_ne_u32_e64 s[0:1], s22, v5
                                        ; implicit-def: $vgpr5
	s_and_saveexec_b64 s[2:3], s[0:1]
	s_xor_b64 s[0:1], exec, s[2:3]
; %bb.215:                              ;   in Loop: Header=BB157_52 Depth=1
	v_bfe_u32 v5, v36, 16, 1
	v_add3_u32 v5, v36, v5, s23
                                        ; implicit-def: $vgpr36
; %bb.216:                              ;   in Loop: Header=BB157_52 Depth=1
	s_andn2_saveexec_b64 s[2:3], s[0:1]
; %bb.217:                              ;   in Loop: Header=BB157_52 Depth=1
	v_or_b32_e32 v5, 0x10000, v36
	v_cmp_eq_u32_sdwa s[0:1], v36, v22 src0_sel:WORD_0 src1_sel:DWORD
	v_cndmask_b32_e64 v5, v5, v36, s[0:1]
; %bb.218:                              ;   in Loop: Header=BB157_52 Depth=1
	s_or_b64 exec, exec, s[2:3]
	v_lshlrev_b32_e32 v33, 16, v33
	v_mul_f32_e32 v33, v42, v33
	v_and_b32_e32 v36, 0x7f800000, v33
	v_cmp_ne_u32_e64 s[0:1], s22, v36
                                        ; implicit-def: $vgpr36
	s_and_saveexec_b64 s[2:3], s[0:1]
	s_xor_b64 s[0:1], exec, s[2:3]
; %bb.219:                              ;   in Loop: Header=BB157_52 Depth=1
	v_bfe_u32 v36, v33, 16, 1
	v_add3_u32 v36, v33, v36, s23
                                        ; implicit-def: $vgpr33
; %bb.220:                              ;   in Loop: Header=BB157_52 Depth=1
	s_andn2_saveexec_b64 s[2:3], s[0:1]
	s_cbranch_execz .LBB157_49
; %bb.221:                              ;   in Loop: Header=BB157_52 Depth=1
	v_or_b32_e32 v36, 0x10000, v33
	v_cmp_eq_u32_sdwa s[0:1], v33, v22 src0_sel:WORD_0 src1_sel:DWORD
	v_cndmask_b32_e64 v36, v36, v33, s[0:1]
	s_branch .LBB157_49
.LBB157_222:
	s_or_b64 exec, exec, s[10:11]
.LBB157_223:
	s_or_b64 exec, exec, s[6:7]
	ds_bpermute_b32 v2, v18, v14
	ds_bpermute_b32 v3, v18, v15
	;; [unrolled: 1-line block ×4, first 2 shown]
	v_and_b32_e32 v1, 0x3c0, v0
	v_cmp_eq_u32_e32 vcc, 64, v1
	s_waitcnt lgkmcnt(2)
	v_pk_add_f32 v[4:5], v[14:15], v[2:3]
	s_waitcnt lgkmcnt(0)
	v_pk_add_f32 v[2:3], v[12:13], v[6:7]
	s_barrier
	s_and_saveexec_b64 s[2:3], vcc
	s_cbranch_execz .LBB157_228
; %bb.224:
	v_cmp_eq_u32_e32 vcc, 0, v19
	s_and_saveexec_b64 s[0:1], vcc
	s_cbranch_execz .LBB157_226
; %bb.225:
	v_mov_b32_e32 v1, 0xf0
	v_lshl_add_u32 v1, v20, 2, v1
	ds_write2_b32 v1, v4, v5 offset1:32
	ds_write_b32 v1, v2 offset:256
.LBB157_226:
	s_or_b64 exec, exec, s[0:1]
	v_or_b32_e32 v1, 0x60, v20
	s_movk_i32 s0, 0x70
	v_cmp_gt_u32_e64 s[0:1], s0, v1
	s_and_b64 s[0:1], vcc, s[0:1]
	s_and_b64 exec, exec, s[0:1]
	s_cbranch_execz .LBB157_228
; %bb.227:
	v_mov_b32_e32 v1, 0xf0
	v_lshl_add_u32 v1, v20, 2, v1
	ds_write_b32 v1, v3 offset:384
.LBB157_228:
	s_or_b64 exec, exec, s[2:3]
	v_cmp_gt_u32_e32 vcc, 64, v0
	v_lshrrev_b32_e32 v6, 1, v0
	s_waitcnt lgkmcnt(0)
	s_barrier
	s_and_saveexec_b64 s[6:7], vcc
	s_cbranch_execz .LBB157_236
; %bb.229:
	v_cmp_eq_u32_e64 s[0:1], 0, v19
	s_and_saveexec_b64 s[2:3], s[0:1]
	s_cbranch_execnz .LBB157_258
; %bb.230:
	s_or_b64 exec, exec, s[2:3]
	s_and_saveexec_b64 s[2:3], s[0:1]
	s_cbranch_execnz .LBB157_259
.LBB157_231:
	s_or_b64 exec, exec, s[2:3]
	s_and_saveexec_b64 s[2:3], s[0:1]
	s_cbranch_execz .LBB157_233
.LBB157_232:
	v_mov_b32_e32 v0, 0xf0
	v_lshl_add_u32 v0, v6, 2, v0
	ds_read_b32 v0, v0 offset:256
	s_waitcnt lgkmcnt(0)
	v_add_f32_e32 v2, v2, v0
.LBB157_233:
	s_or_b64 exec, exec, s[2:3]
	v_or_b32_e32 v0, 0x60, v6
	s_movk_i32 s2, 0x70
	v_cmp_gt_u32_e64 s[2:3], s2, v0
	s_and_b64 s[2:3], s[0:1], s[2:3]
	s_and_saveexec_b64 s[0:1], s[2:3]
	s_cbranch_execz .LBB157_235
; %bb.234:
	v_mov_b32_e32 v0, 0xf0
	v_lshl_add_u32 v0, v6, 2, v0
	ds_read_b32 v0, v0 offset:384
	s_waitcnt lgkmcnt(0)
	v_add_f32_e32 v3, v3, v0
.LBB157_235:
	s_or_b64 exec, exec, s[0:1]
.LBB157_236:
	s_or_b64 exec, exec, s[6:7]
	s_barrier
	s_and_saveexec_b64 s[0:1], vcc
	s_cbranch_execz .LBB157_257
; %bb.237:
	s_mul_i32 s0, s4, 0x70
	s_ashr_i32 s1, s0, 31
	s_lshl_b64 s[0:1], s[0:1], 1
	s_add_u32 s2, s26, s0
	s_mul_i32 s0, s16, s24
	s_addc_u32 s3, s27, s1
	s_ashr_i32 s1, s0, 31
	s_lshl_b64 s[0:1], s[0:1], 1
	s_add_u32 s2, s2, s0
	s_mul_i32 s0, s8, 0x70
	s_addc_u32 s3, s3, s1
	s_ashr_i32 s1, s0, 31
	s_lshl_b64 s[0:1], s[0:1], 1
	s_add_u32 s2, s2, s0
	s_addc_u32 s3, s3, s1
	v_cmp_eq_u32_e32 vcc, 0, v19
	s_and_saveexec_b64 s[4:5], vcc
	s_cbranch_execz .LBB157_251
; %bb.238:
	s_mov_b32 s0, 0x7f800000
	v_and_b32_e32 v0, 0x7f800000, v4
	v_cmp_ne_u32_e64 s[0:1], s0, v0
                                        ; implicit-def: $vgpr7
	s_and_saveexec_b64 s[6:7], s[0:1]
	s_xor_b64 s[0:1], exec, s[6:7]
; %bb.239:
	v_bfe_u32 v0, v4, 16, 1
	s_movk_i32 s6, 0x7fff
	v_add3_u32 v7, v4, v0, s6
; %bb.240:
	s_andn2_saveexec_b64 s[6:7], s[0:1]
; %bb.241:
	v_mov_b32_e32 v0, 0
	v_or_b32_e32 v1, 0x10000, v4
	v_cmp_eq_u32_sdwa s[0:1], v4, v0 src0_sel:WORD_0 src1_sel:DWORD
	v_cndmask_b32_e64 v7, v1, v4, s[0:1]
; %bb.242:
	s_or_b64 exec, exec, s[6:7]
	v_lshlrev_b32_e32 v4, 1, v6
	v_mov_b32_e32 v1, s3
	v_add_co_u32_e64 v0, s[0:1], s2, v4
	v_addc_co_u32_e64 v1, s[0:1], 0, v1, s[0:1]
	global_store_short_d16_hi v4, v7, s[2:3]
	s_mov_b32 s0, 0x7f800000
	v_and_b32_e32 v4, 0x7f800000, v5
	v_cmp_ne_u32_e64 s[0:1], s0, v4
                                        ; implicit-def: $vgpr4
	s_and_saveexec_b64 s[6:7], s[0:1]
	s_xor_b64 s[0:1], exec, s[6:7]
; %bb.243:
	v_bfe_u32 v4, v5, 16, 1
	s_movk_i32 s6, 0x7fff
	v_add3_u32 v4, v5, v4, s6
; %bb.244:
	s_andn2_saveexec_b64 s[6:7], s[0:1]
; %bb.245:
	v_mov_b32_e32 v4, 0
	v_or_b32_e32 v7, 0x10000, v5
	v_cmp_eq_u32_sdwa s[0:1], v5, v4 src0_sel:WORD_0 src1_sel:DWORD
	v_cndmask_b32_e64 v4, v7, v5, s[0:1]
; %bb.246:
	s_or_b64 exec, exec, s[6:7]
	global_store_short_d16_hi v[0:1], v4, off offset:64
	s_mov_b32 s0, 0x7f800000
	v_and_b32_e32 v4, 0x7f800000, v2
	v_cmp_ne_u32_e64 s[0:1], s0, v4
                                        ; implicit-def: $vgpr4
	s_and_saveexec_b64 s[6:7], s[0:1]
	s_xor_b64 s[0:1], exec, s[6:7]
; %bb.247:
	v_bfe_u32 v4, v2, 16, 1
	s_movk_i32 s6, 0x7fff
	v_add3_u32 v4, v2, v4, s6
; %bb.248:
	s_andn2_saveexec_b64 s[6:7], s[0:1]
; %bb.249:
	v_mov_b32_e32 v4, 0
	v_or_b32_e32 v5, 0x10000, v2
	v_cmp_eq_u32_sdwa s[0:1], v2, v4 src0_sel:WORD_0 src1_sel:DWORD
	v_cndmask_b32_e64 v4, v5, v2, s[0:1]
; %bb.250:
	s_or_b64 exec, exec, s[6:7]
	global_store_short_d16_hi v[0:1], v4, off offset:128
.LBB157_251:
	s_or_b64 exec, exec, s[4:5]
	v_or_b32_e32 v0, 0x60, v6
	s_movk_i32 s0, 0x70
	v_cmp_gt_u32_e64 s[0:1], s0, v0
	s_and_b64 s[0:1], vcc, s[0:1]
	s_and_b64 exec, exec, s[0:1]
	s_cbranch_execz .LBB157_257
; %bb.252:
	s_mov_b32 s0, 0x7f800000
	v_and_b32_e32 v0, 0x7f800000, v3
	v_cmp_ne_u32_e32 vcc, s0, v0
                                        ; implicit-def: $vgpr4
	s_and_saveexec_b64 s[0:1], vcc
	s_xor_b64 s[0:1], exec, s[0:1]
; %bb.253:
	v_bfe_u32 v0, v3, 16, 1
	s_movk_i32 s4, 0x7fff
	v_add3_u32 v4, v3, v0, s4
                                        ; implicit-def: $vgpr0_vgpr1_vgpr2_vgpr3
; %bb.254:
	s_andn2_saveexec_b64 s[0:1], s[0:1]
; %bb.255:
	v_mov_b32_e32 v0, 0
	v_or_b32_e32 v1, 0x10000, v3
	v_cmp_eq_u32_sdwa vcc, v3, v0 src0_sel:WORD_0 src1_sel:DWORD
	v_cndmask_b32_e32 v4, v1, v3, vcc
; %bb.256:
	s_or_b64 exec, exec, s[0:1]
	v_lshlrev_b32_e32 v0, 1, v6
	global_store_short_d16_hi v0, v4, s[2:3] offset:192
.LBB157_257:
	s_endpgm
.LBB157_258:
	v_mov_b32_e32 v0, 0xf0
	v_lshl_add_u32 v0, v6, 2, v0
	ds_read_b32 v0, v0
	s_waitcnt lgkmcnt(0)
	v_add_f32_e32 v4, v4, v0
	s_or_b64 exec, exec, s[2:3]
	s_and_saveexec_b64 s[2:3], s[0:1]
	s_cbranch_execz .LBB157_231
.LBB157_259:
	v_mov_b32_e32 v0, 0xf0
	v_lshl_add_u32 v0, v6, 2, v0
	ds_read_b32 v0, v0 offset:128
	s_waitcnt lgkmcnt(0)
	v_add_f32_e32 v5, v5, v0
	s_or_b64 exec, exec, s[2:3]
	s_and_saveexec_b64 s[2:3], s[0:1]
	s_cbranch_execnz .LBB157_232
	s_branch .LBB157_233
	.section	.rodata,"a",@progbits
	.p2align	6, 0x0
	.amdhsa_kernel _ZN4vllm25paged_attention_v2_kernelI14__hip_bfloat16S1_Li112ELi16ELi128ELNS_18Fp8KVCacheDataTypeE0ELb1ELi512EEEvPfS3_PT_PKS4_PKT0_SA_ifPKiSC_iPKfiiiSE_SE_iiiii
		.amdhsa_group_segment_fixed_size 240
		.amdhsa_private_segment_fixed_size 0
		.amdhsa_kernarg_size 400
		.amdhsa_user_sgpr_count 6
		.amdhsa_user_sgpr_private_segment_buffer 1
		.amdhsa_user_sgpr_dispatch_ptr 0
		.amdhsa_user_sgpr_queue_ptr 0
		.amdhsa_user_sgpr_kernarg_segment_ptr 1
		.amdhsa_user_sgpr_dispatch_id 0
		.amdhsa_user_sgpr_flat_scratch_init 0
		.amdhsa_user_sgpr_kernarg_preload_length 0
		.amdhsa_user_sgpr_kernarg_preload_offset 0
		.amdhsa_user_sgpr_private_segment_size 0
		.amdhsa_uses_dynamic_stack 0
		.amdhsa_system_sgpr_private_segment_wavefront_offset 0
		.amdhsa_system_sgpr_workgroup_id_x 1
		.amdhsa_system_sgpr_workgroup_id_y 1
		.amdhsa_system_sgpr_workgroup_id_z 1
		.amdhsa_system_sgpr_workgroup_info 0
		.amdhsa_system_vgpr_workitem_id 0
		.amdhsa_next_free_vgpr 79
		.amdhsa_next_free_sgpr 52
		.amdhsa_accum_offset 80
		.amdhsa_reserve_vcc 1
		.amdhsa_reserve_flat_scratch 0
		.amdhsa_float_round_mode_32 0
		.amdhsa_float_round_mode_16_64 0
		.amdhsa_float_denorm_mode_32 3
		.amdhsa_float_denorm_mode_16_64 3
		.amdhsa_dx10_clamp 1
		.amdhsa_ieee_mode 1
		.amdhsa_fp16_overflow 0
		.amdhsa_tg_split 0
		.amdhsa_exception_fp_ieee_invalid_op 0
		.amdhsa_exception_fp_denorm_src 0
		.amdhsa_exception_fp_ieee_div_zero 0
		.amdhsa_exception_fp_ieee_overflow 0
		.amdhsa_exception_fp_ieee_underflow 0
		.amdhsa_exception_fp_ieee_inexact 0
		.amdhsa_exception_int_div_zero 0
	.end_amdhsa_kernel
	.section	.text._ZN4vllm25paged_attention_v2_kernelI14__hip_bfloat16S1_Li112ELi16ELi128ELNS_18Fp8KVCacheDataTypeE0ELb1ELi512EEEvPfS3_PT_PKS4_PKT0_SA_ifPKiSC_iPKfiiiSE_SE_iiiii,"axG",@progbits,_ZN4vllm25paged_attention_v2_kernelI14__hip_bfloat16S1_Li112ELi16ELi128ELNS_18Fp8KVCacheDataTypeE0ELb1ELi512EEEvPfS3_PT_PKS4_PKT0_SA_ifPKiSC_iPKfiiiSE_SE_iiiii,comdat
.Lfunc_end157:
	.size	_ZN4vllm25paged_attention_v2_kernelI14__hip_bfloat16S1_Li112ELi16ELi128ELNS_18Fp8KVCacheDataTypeE0ELb1ELi512EEEvPfS3_PT_PKS4_PKT0_SA_ifPKiSC_iPKfiiiSE_SE_iiiii, .Lfunc_end157-_ZN4vllm25paged_attention_v2_kernelI14__hip_bfloat16S1_Li112ELi16ELi128ELNS_18Fp8KVCacheDataTypeE0ELb1ELi512EEEvPfS3_PT_PKS4_PKT0_SA_ifPKiSC_iPKfiiiSE_SE_iiiii
                                        ; -- End function
	.section	.AMDGPU.csdata,"",@progbits
; Kernel info:
; codeLenInByte = 9800
; NumSgprs: 56
; NumVgprs: 79
; NumAgprs: 0
; TotalNumVgprs: 79
; ScratchSize: 0
; MemoryBound: 0
; FloatMode: 240
; IeeeMode: 1
; LDSByteSize: 240 bytes/workgroup (compile time only)
; SGPRBlocks: 6
; VGPRBlocks: 9
; NumSGPRsForWavesPerEU: 56
; NumVGPRsForWavesPerEU: 79
; AccumOffset: 80
; Occupancy: 6
; WaveLimiterHint : 1
; COMPUTE_PGM_RSRC2:SCRATCH_EN: 0
; COMPUTE_PGM_RSRC2:USER_SGPR: 6
; COMPUTE_PGM_RSRC2:TRAP_HANDLER: 0
; COMPUTE_PGM_RSRC2:TGID_X_EN: 1
; COMPUTE_PGM_RSRC2:TGID_Y_EN: 1
; COMPUTE_PGM_RSRC2:TGID_Z_EN: 1
; COMPUTE_PGM_RSRC2:TIDIG_COMP_CNT: 0
; COMPUTE_PGM_RSRC3_GFX90A:ACCUM_OFFSET: 19
; COMPUTE_PGM_RSRC3_GFX90A:TG_SPLIT: 0
	.section	.text._ZN4vllm25paged_attention_v2_kernelI14__hip_bfloat16S1_Li120ELi16ELi128ELNS_18Fp8KVCacheDataTypeE0ELb1ELi512EEEvPfS3_PT_PKS4_PKT0_SA_ifPKiSC_iPKfiiiSE_SE_iiiii,"axG",@progbits,_ZN4vllm25paged_attention_v2_kernelI14__hip_bfloat16S1_Li120ELi16ELi128ELNS_18Fp8KVCacheDataTypeE0ELb1ELi512EEEvPfS3_PT_PKS4_PKT0_SA_ifPKiSC_iPKfiiiSE_SE_iiiii,comdat
	.protected	_ZN4vllm25paged_attention_v2_kernelI14__hip_bfloat16S1_Li120ELi16ELi128ELNS_18Fp8KVCacheDataTypeE0ELb1ELi512EEEvPfS3_PT_PKS4_PKT0_SA_ifPKiSC_iPKfiiiSE_SE_iiiii ; -- Begin function _ZN4vllm25paged_attention_v2_kernelI14__hip_bfloat16S1_Li120ELi16ELi128ELNS_18Fp8KVCacheDataTypeE0ELb1ELi512EEEvPfS3_PT_PKS4_PKT0_SA_ifPKiSC_iPKfiiiSE_SE_iiiii
	.globl	_ZN4vllm25paged_attention_v2_kernelI14__hip_bfloat16S1_Li120ELi16ELi128ELNS_18Fp8KVCacheDataTypeE0ELb1ELi512EEEvPfS3_PT_PKS4_PKT0_SA_ifPKiSC_iPKfiiiSE_SE_iiiii
	.p2align	8
	.type	_ZN4vllm25paged_attention_v2_kernelI14__hip_bfloat16S1_Li120ELi16ELi128ELNS_18Fp8KVCacheDataTypeE0ELb1ELi512EEEvPfS3_PT_PKS4_PKT0_SA_ifPKiSC_iPKfiiiSE_SE_iiiii,@function
_ZN4vllm25paged_attention_v2_kernelI14__hip_bfloat16S1_Li120ELi16ELi128ELNS_18Fp8KVCacheDataTypeE0ELb1ELi512EEEvPfS3_PT_PKS4_PKT0_SA_ifPKiSC_iPKfiiiSE_SE_iiiii: ; @_ZN4vllm25paged_attention_v2_kernelI14__hip_bfloat16S1_Li120ELi16ELi128ELNS_18Fp8KVCacheDataTypeE0ELb1ELi512EEEvPfS3_PT_PKS4_PKT0_SA_ifPKiSC_iPKfiiiSE_SE_iiiii
; %bb.0:
	s_load_dwordx2 s[0:1], s[4:5], 0x40
	s_mov_b32 s28, s7
	s_ashr_i32 s29, s7, 31
	s_lshl_b64 s[2:3], s[28:29], 2
	s_waitcnt lgkmcnt(0)
	s_add_u32 s0, s0, s2
	s_addc_u32 s1, s1, s3
	s_load_dword s29, s[0:1], 0x0
	s_lshl_b32 s49, s8, 9
	s_waitcnt lgkmcnt(0)
	s_cmp_ge_i32 s49, s29
	s_cbranch_scc1 .LBB158_257
; %bb.1:
	s_load_dword s9, s[4:5], 0x90
	s_load_dwordx2 s[38:39], s[4:5], 0x30
	s_waitcnt lgkmcnt(0)
	s_abs_i32 s2, s9
	s_abs_i32 s0, s38
	v_cvt_f32_u32_e32 v1, s0
	s_sub_i32 s3, 0, s0
	s_xor_b32 s1, s9, s38
	s_ashr_i32 s1, s1, 31
	v_rcp_iflag_f32_e32 v1, v1
	v_mul_f32_e32 v1, 0x4f7ffffe, v1
	v_cvt_u32_f32_e32 v1, v1
	v_readfirstlane_b32 s7, v1
	s_mul_i32 s3, s3, s7
	s_mul_hi_u32 s3, s7, s3
	s_add_i32 s7, s7, s3
	s_mul_hi_u32 s3, s2, s7
	s_mul_i32 s7, s3, s0
	s_sub_i32 s2, s2, s7
	s_add_i32 s10, s3, 1
	s_sub_i32 s7, s2, s0
	s_cmp_ge_u32 s2, s0
	s_cselect_b32 s3, s10, s3
	s_cselect_b32 s2, s7, s2
	s_add_i32 s7, s3, 1
	s_cmp_ge_u32 s2, s0
	s_cselect_b32 s0, s7, s3
	s_xor_b32 s0, s0, s1
	s_sub_i32 s11, s0, s1
	s_abs_i32 s2, s11
	v_cvt_f32_u32_e32 v1, s2
	s_load_dwordx2 s[0:1], s[4:5], 0x50
	s_sub_i32 s10, 0, s2
	s_abs_i32 s3, s6
	v_rcp_iflag_f32_e32 v1, v1
	s_mov_b32 s7, 0
	v_mul_f32_e32 v1, 0x4f7ffffe, v1
	v_cvt_u32_f32_e32 v1, v1
	v_readfirstlane_b32 s12, v1
	s_mul_i32 s10, s10, s12
	s_mul_hi_u32 s10, s12, s10
	s_add_i32 s12, s12, s10
	s_waitcnt lgkmcnt(0)
	s_cmp_eq_u64 s[0:1], 0
	s_mul_hi_u32 s10, s3, s12
	s_cbranch_scc1 .LBB158_3
; %bb.2:
	s_ashr_i32 s7, s6, 31
	s_lshl_b64 s[12:13], s[6:7], 2
	s_add_u32 s0, s0, s12
	s_addc_u32 s1, s1, s13
	s_load_dword s7, s[0:1], 0x0
.LBB158_3:
	s_load_dwordx4 s[12:15], s[4:5], 0x58
	s_ashr_i32 s16, s6, 31
	s_ashr_i32 s11, s11, 31
	v_and_b32_e32 v2, 3, v0
	s_mul_i32 s24, s6, 0x78
	v_cmp_gt_u32_e32 vcc, 60, v0
	s_and_saveexec_b64 s[0:1], vcc
	s_cbranch_execz .LBB158_5
; %bb.4:
	s_load_dwordx2 s[18:19], s[4:5], 0x18
	s_waitcnt lgkmcnt(0)
	s_mul_i32 s20, s28, s12
	s_ashr_i32 s21, s20, 31
	s_lshl_b64 s[20:21], s[20:21], 1
	v_lshlrev_b32_e32 v1, 2, v0
	s_add_u32 s12, s18, s20
	s_addc_u32 s15, s19, s21
	s_ashr_i32 s25, s24, 31
	s_lshl_b64 s[18:19], s[24:25], 1
	s_add_u32 s18, s12, s18
	s_addc_u32 s19, s15, s19
	global_load_dword v1, v1, s[18:19]
	v_and_b32_e32 v3, 0x3fc, v0
	v_mad_u32_u24 v3, v2, 60, v3
	s_waitcnt vmcnt(0)
	ds_write_b32 v3, v1
.LBB158_5:
	s_or_b64 exec, exec, s[0:1]
	s_mul_i32 s1, s10, s2
	s_sub_i32 s1, s3, s1
	s_xor_b32 s0, s16, s11
	s_add_i32 s3, s10, 1
	s_sub_i32 s11, s1, s2
	s_load_dwordx4 s[16:19], s[4:5], 0x78
	s_cmp_ge_u32 s1, s2
	s_cselect_b32 s3, s3, s10
	s_cselect_b32 s1, s11, s1
	s_load_dword s11, s[4:5], 0x88
	s_add_i32 s10, s3, 1
	s_cmp_ge_u32 s1, s2
	s_cselect_b32 s1, s10, s3
	s_waitcnt lgkmcnt(0)
	s_abs_i32 s25, s19
	v_cvt_f32_u32_e32 v1, s25
	s_xor_b32 s1, s1, s0
	s_sub_i32 s2, s1, s0
	s_sub_i32 s0, 0, s25
	v_rcp_iflag_f32_e32 v1, v1
	s_add_i32 s12, s29, -1
	s_abs_i32 s3, s12
	v_mul_f32_e32 v1, 0x4f7ffffe, v1
	v_cvt_u32_f32_e32 v1, v1
	s_barrier
	v_readfirstlane_b32 s33, v1
	s_mul_i32 s0, s0, s33
	s_mul_hi_u32 s0, s33, s0
	s_add_i32 s33, s33, s0
	s_cmp_lt_i32 s11, 0
	s_mul_hi_u32 s10, s3, s33
	s_cbranch_scc0 .LBB158_7
; %bb.6:
	s_mul_i32 s0, s16, s38
	s_add_i32 s0, s2, s0
	s_mul_i32 s0, s0, s11
	s_sub_i32 s46, 1, s0
	s_mov_b64 s[0:1], 0
	s_branch .LBB158_8
.LBB158_7:
	s_mov_b64 s[0:1], -1
                                        ; implicit-def: $sgpr46
.LBB158_8:
	s_load_dwordx2 s[30:31], s[4:5], 0x38
	s_ashr_i32 s12, s12, 31
	s_andn2_b64 vcc, exec, s[0:1]
	s_ashr_i32 s19, s19, 31
	s_cbranch_vccnz .LBB158_10
; %bb.9:
	s_mul_i32 s0, s9, s16
	s_add_i32 s0, s0, s6
	s_mul_i32 s0, s0, s11
	s_add_i32 s46, s0, 1
.LBB158_10:
	s_load_dword s0, s[4:5], 0x48
	s_load_dwordx2 s[36:37], s[4:5], 0x28
	s_load_dword s16, s[4:5], 0x98
	s_load_dwordx4 s[20:23], s[4:5], 0x0
	s_load_dwordx2 s[26:27], s[4:5], 0x10
	s_mul_i32 s1, s10, s25
	s_waitcnt lgkmcnt(0)
	s_mul_i32 s34, s28, s0
	s_sub_i32 s1, s3, s1
	s_ashr_i32 s35, s34, 31
	s_xor_b32 s0, s12, s19
	s_add_i32 s3, s10, 1
	s_sub_i32 s11, s1, s25
	s_cmp_ge_u32 s1, s25
	s_cselect_b32 s3, s3, s10
	s_cselect_b32 s1, s11, s1
	s_add_i32 s10, s3, 1
	s_cmp_ge_u32 s1, s25
	s_cselect_b32 s1, s10, s3
	s_xor_b32 s1, s1, s0
	s_sub_i32 s48, s1, s0
	s_add_i32 s0, s29, 15
	s_ashr_i32 s1, s0, 31
	s_lshr_b32 s1, s1, 28
	s_add_i32 s0, s0, s1
	s_lshl_b32 s38, s8, 5
	s_ashr_i32 s12, s0, 4
	s_add_i32 s0, s38, 32
	v_lshrrev_b32_e32 v4, 6, v0
	s_min_i32 s47, s0, s12
	v_or_b32_e32 v10, s38, v4
	v_cmp_gt_i32_e64 s[0:1], s47, v10
	v_mov_b32_e32 v12, 0xff7fffff
	s_mul_i32 s14, s2, s14
	v_ashrrev_i32_e32 v11, 31, v10
	v_lshl_add_u32 v1, v4, 4, s49
	v_mbcnt_lo_u32_b32 v5, -1, 0
	s_and_saveexec_b64 s[40:41], s[0:1]
	s_cbranch_execz .LBB158_20
; %bb.11:
	s_load_dwordx2 s[2:3], s[4:5], 0x20
	s_ashr_i32 s15, s14, 31
	s_sub_i32 s50, s48, s17
	s_lshl_b64 s[4:5], s[14:15], 1
	v_bfe_u32 v6, v0, 2, 4
	s_waitcnt lgkmcnt(0)
	s_add_u32 s2, s2, s4
	s_addc_u32 s3, s3, s5
	s_abs_i32 s15, s18
	v_cvt_f32_u32_e32 v8, s15
	v_lshlrev_b32_e32 v3, 4, v6
	v_mov_b32_e32 v7, s3
	v_add_co_u32_e64 v3, s[2:3], s2, v3
	v_rcp_iflag_f32_e32 v12, v8
	v_addc_co_u32_e64 v9, s[2:3], 0, v7, s[2:3]
	v_lshlrev_b32_e32 v7, 2, v0
	v_and_b32_e32 v7, 12, v7
	v_add_co_u32_e64 v7, s[2:3], v3, v7
	v_mul_f32_e32 v3, 0x4f7ffffe, v12
	v_cvt_u32_f32_e32 v3, v3
	s_sub_i32 s4, 0, s15
	v_cmp_eq_u32_e32 vcc, 0, v2
	v_addc_co_u32_e64 v8, s[2:3], 0, v9, s[2:3]
	v_mul_u32_u24_e32 v9, 60, v2
	v_mul_lo_u32 v2, s4, v3
	s_lshl_b64 s[4:5], s[34:35], 2
	v_mul_hi_u32 v2, v3, v2
	s_add_u32 s4, s30, s4
	v_add_u32_e32 v13, v3, v2
	v_lshlrev_b64 v[2:3], 2, v[10:11]
	s_addc_u32 s5, s31, s5
	v_mov_b32_e32 v12, s5
	v_add_co_u32_e64 v2, s[4:5], s4, v2
	v_addc_co_u32_e64 v3, s[4:5], v12, v3, s[4:5]
	v_lshlrev_b32_e32 v12, 2, v6
	v_lshl_or_b32 v12, v4, 6, v12
	v_add_u32_e32 v15, 0x100, v12
	v_subrev_u32_e32 v12, s29, v6
	v_mbcnt_hi_u32_b32 v18, -1, v5
	v_add_u32_e32 v16, 1, v12
	v_and_b32_e32 v12, 64, v18
	s_mov_b32 s51, s13
	v_cmp_neq_f32_e64 s[2:3], s7, 0
	v_lshl_add_u32 v14, v4, 4, s49
	s_mov_b64 s[42:43], 0
	v_mov_b32_e32 v17, 0xff7fffff
	v_add_u32_e32 v19, 64, v12
	v_xor_b32_e32 v20, 2, v18
	v_xor_b32_e32 v21, 1, v18
	v_mov_b32_e32 v12, 0xff7fffff
	v_mov_b32_e32 v22, v10
	s_branch .LBB158_14
.LBB158_12:                             ;   in Loop: Header=BB158_14 Depth=1
	s_or_b64 exec, exec, s[44:45]
.LBB158_13:                             ;   in Loop: Header=BB158_14 Depth=1
	s_or_b64 exec, exec, s[10:11]
	v_add_co_u32_e64 v2, s[4:5], 8, v2
	v_add_u32_e32 v22, 2, v22
	v_addc_co_u32_e64 v3, s[4:5], 0, v3, s[4:5]
	v_cmp_le_i32_e64 s[4:5], s47, v22
	v_add_u32_e32 v14, 32, v14
	s_or_b64 s[42:43], s[4:5], s[42:43]
	v_add_u32_e32 v15, 0x80, v15
	s_andn2_b64 exec, exec, s[42:43]
	s_cbranch_execz .LBB158_19
.LBB158_14:                             ; =>This Inner Loop Header: Depth=1
	s_waitcnt lgkmcnt(0)
	v_sub_u32_e32 v24, 0, v14
	v_max_i32_e32 v24, v14, v24
	v_mul_hi_u32 v25, v24, s33
	v_mul_lo_u32 v26, v25, s25
	v_sub_u32_e32 v24, v24, v26
	v_add_u32_e32 v26, 1, v25
	v_cmp_le_u32_e64 s[4:5], s25, v24
	v_cndmask_b32_e64 v25, v25, v26, s[4:5]
	v_subrev_u32_e32 v26, s25, v24
	v_cndmask_b32_e64 v24, v24, v26, s[4:5]
	v_ashrrev_i32_e32 v23, 31, v14
	v_add_u32_e32 v26, 1, v25
	v_cmp_le_u32_e64 s[4:5], s25, v24
	v_xor_b32_e32 v23, s19, v23
	v_cndmask_b32_e64 v24, v25, v26, s[4:5]
	v_xor_b32_e32 v24, v24, v23
	v_sub_u32_e32 v23, v24, v23
	v_add_u32_e32 v24, s46, v23
	v_sub_u32_e32 v26, 0, v24
	v_ashrrev_i32_e32 v25, 31, v24
	v_max_i32_e32 v24, v24, v26
	v_mul_hi_u32 v26, v24, v13
	v_mul_lo_u32 v26, v26, s15
	v_sub_u32_e32 v24, v24, v26
	v_subrev_u32_e32 v26, s15, v24
	v_cmp_le_u32_e64 s[4:5], s15, v24
	v_cndmask_b32_e64 v24, v24, v26, s[4:5]
	v_subrev_u32_e32 v26, s15, v24
	v_cmp_le_u32_e64 s[4:5], s15, v24
	v_cndmask_b32_e64 v24, v24, v26, s[4:5]
	v_xor_b32_e32 v24, v24, v25
	v_sub_u32_e32 v24, v24, v25
	v_cmp_ne_u32_e64 s[4:5], 0, v24
	v_cmp_ge_i32_e64 s[10:11], s50, v23
	s_and_b64 s[4:5], s[4:5], s[10:11]
	s_and_b64 s[44:45], vcc, s[4:5]
	s_and_saveexec_b64 s[10:11], s[44:45]
	s_cbranch_execz .LBB158_16
; %bb.15:                               ;   in Loop: Header=BB158_14 Depth=1
	ds_write_b32 v15, v17
.LBB158_16:                             ;   in Loop: Header=BB158_14 Depth=1
	s_or_b64 exec, exec, s[10:11]
	s_xor_b64 s[4:5], s[4:5], -1
	s_and_saveexec_b64 s[10:11], s[4:5]
	s_cbranch_execz .LBB158_13
; %bb.17:                               ;   in Loop: Header=BB158_14 Depth=1
	global_load_dword v23, v[2:3], off
	s_waitcnt vmcnt(0)
	v_mad_i64_i32 v[24:25], s[4:5], v23, s51, 0
	v_lshlrev_b64 v[24:25], 1, v[24:25]
	v_add_co_u32_e64 v24, s[4:5], v7, v24
	v_addc_co_u32_e64 v25, s[4:5], v8, v25, s[4:5]
	global_load_dword v23, v[24:25], off
	global_load_dword v38, v[24:25], off offset:256
	global_load_dword v39, v[24:25], off offset:512
	;; [unrolled: 1-line block ×14, first 2 shown]
	ds_read2_b32 v[24:25], v9 offset1:1
	ds_read2_b32 v[26:27], v9 offset0:2 offset1:3
	ds_read2_b32 v[28:29], v9 offset0:4 offset1:5
	;; [unrolled: 1-line block ×6, first 2 shown]
	ds_read_b32 v52, v9 offset:56
	s_waitcnt lgkmcnt(7)
	v_lshlrev_b32_e32 v55, 16, v25
	v_and_b32_e32 v25, 0xffff0000, v25
	v_lshlrev_b32_e32 v54, 16, v24
	v_and_b32_e32 v24, 0xffff0000, v24
	s_waitcnt lgkmcnt(6)
	v_lshlrev_b32_e32 v56, 16, v26
	v_and_b32_e32 v26, 0xffff0000, v26
	v_lshlrev_b32_e32 v57, 16, v27
	v_and_b32_e32 v27, 0xffff0000, v27
	;; [unrolled: 5-line block ×7, first 2 shown]
	v_cmp_lt_i32_e64 s[4:5], v20, v19
	s_waitcnt lgkmcnt(0)
	v_lshlrev_b32_e32 v68, 16, v52
	v_and_b32_e32 v52, 0xffff0000, v52
	v_cndmask_b32_e64 v53, v18, v20, s[4:5]
	v_lshlrev_b32_e32 v53, 2, v53
	v_cmp_lt_i32_e64 s[4:5], v21, v19
	s_waitcnt vmcnt(14)
	v_lshlrev_b32_e32 v69, 16, v23
	s_waitcnt vmcnt(13)
	v_lshlrev_b32_e32 v70, 16, v38
	v_and_b32_e32 v38, 0xffff0000, v38
	v_and_b32_e32 v23, 0xffff0000, v23
	v_mul_f32_e32 v55, v55, v70
	v_mul_f32_e32 v25, v25, v38
	s_waitcnt vmcnt(12)
	v_lshlrev_b32_e32 v71, 16, v39
	v_and_b32_e32 v39, 0xffff0000, v39
	v_fmac_f32_e32 v55, v54, v69
	v_fmac_f32_e32 v25, v24, v23
	s_waitcnt vmcnt(11)
	v_lshlrev_b32_e32 v72, 16, v40
	v_and_b32_e32 v40, 0xffff0000, v40
	v_fmac_f32_e32 v55, v56, v71
	v_fmac_f32_e32 v25, v26, v39
	;; [unrolled: 5-line block ×13, first 2 shown]
	v_fmac_f32_e32 v55, v68, v83
	v_fmac_f32_e32 v25, v52, v51
	v_add_f32_e32 v23, v55, v25
	ds_bpermute_b32 v24, v53, v23
	v_cndmask_b32_e64 v25, v18, v21, s[4:5]
	v_lshlrev_b32_e32 v25, 2, v25
	s_waitcnt lgkmcnt(0)
	v_add_f32_e32 v23, v23, v24
	ds_bpermute_b32 v24, v25, v23
	s_and_saveexec_b64 s[44:45], vcc
	s_cbranch_execz .LBB158_12
; %bb.18:                               ;   in Loop: Header=BB158_14 Depth=1
	v_add_u32_e32 v25, v16, v14
	v_cvt_f32_i32_e32 v25, v25
	s_waitcnt lgkmcnt(0)
	v_add_f32_e32 v23, v23, v24
	v_add_u32_e32 v26, v6, v14
	v_cmp_gt_i32_e64 s[4:5], s29, v26
	v_mul_f32_e32 v24, s7, v25
	v_cndmask_b32_e64 v24, 0, v24, s[2:3]
	v_fmac_f32_e32 v24, s39, v23
	v_cndmask_b32_e64 v23, 0, v24, s[4:5]
	ds_write_b32 v15, v23
	v_max_f32_e32 v23, v12, v12
	v_max_f32_e32 v23, v23, v24
	v_cndmask_b32_e64 v12, v12, v23, s[4:5]
	s_branch .LBB158_12
.LBB158_19:
	s_or_b64 exec, exec, s[42:43]
.LBB158_20:
	s_or_b64 exec, exec, s[40:41]
	v_mbcnt_hi_u32_b32 v2, -1, v5
	v_and_b32_e32 v3, 64, v2
	v_add_u32_e32 v3, 64, v3
	v_xor_b32_e32 v5, 32, v2
	v_cmp_lt_i32_e32 vcc, v5, v3
	v_cndmask_b32_e32 v5, v2, v5, vcc
	v_lshlrev_b32_e32 v7, 2, v5
	ds_bpermute_b32 v5, v7, v12
	v_xor_b32_e32 v8, 16, v2
	v_max_f32_e32 v6, v12, v12
	v_cmp_lt_i32_e32 vcc, v8, v3
	v_xor_b32_e32 v9, 8, v2
	s_waitcnt lgkmcnt(0)
	v_max_f32_e32 v5, v5, v5
	v_max_f32_e32 v5, v6, v5
	v_cndmask_b32_e32 v6, v2, v8, vcc
	v_lshlrev_b32_e32 v8, 2, v6
	ds_bpermute_b32 v6, v8, v5
	v_cmp_lt_i32_e32 vcc, v9, v3
	s_waitcnt lgkmcnt(0)
	v_max_f32_e32 v6, v6, v6
	v_max_f32_e32 v5, v5, v6
	v_cndmask_b32_e32 v6, v2, v9, vcc
	v_lshlrev_b32_e32 v13, 2, v6
	ds_bpermute_b32 v6, v13, v5
	v_xor_b32_e32 v9, 4, v2
	v_cmp_lt_i32_e32 vcc, v9, v3
	s_waitcnt lgkmcnt(0)
	v_max_f32_e32 v6, v6, v6
	v_max_f32_e32 v6, v5, v6
	v_cndmask_b32_e32 v5, v2, v9, vcc
	v_lshlrev_b32_e32 v14, 2, v5
	ds_bpermute_b32 v12, v14, v6
	v_and_b32_e32 v5, 63, v0
	v_cmp_eq_u32_e32 vcc, 0, v5
	v_lshlrev_b32_e32 v9, 2, v4
	s_and_saveexec_b64 s[2:3], vcc
	s_cbranch_execz .LBB158_22
; %bb.21:
	s_waitcnt lgkmcnt(0)
	v_max_f32_e32 v12, v12, v12
	v_max_f32_e32 v6, v6, v6
	v_max_f32_e32 v6, v6, v12
	ds_write_b32 v9, v6 offset:240
.LBB158_22:
	s_or_b64 exec, exec, s[2:3]
	v_cmp_gt_u32_e64 s[2:3], 2, v5
	v_mov_b32_e32 v6, 0xff7fffff
	s_waitcnt lgkmcnt(0)
	v_lshlrev_b32_e32 v12, 2, v5
	s_barrier
	s_and_saveexec_b64 s[4:5], s[2:3]
	s_cbranch_execz .LBB158_24
; %bb.23:
	ds_read_b32 v6, v12 offset:240
.LBB158_24:
	s_or_b64 exec, exec, s[4:5]
	v_xor_b32_e32 v15, 1, v2
	v_cmp_lt_i32_e64 s[4:5], v15, v3
	v_cndmask_b32_e64 v15, v2, v15, s[4:5]
	v_lshlrev_b32_e32 v18, 2, v15
	s_waitcnt lgkmcnt(0)
	ds_bpermute_b32 v15, v18, v6
	v_max_f32_e32 v6, v6, v6
	s_sub_i32 s4, s47, s38
	s_lshl_b32 s4, s4, 4
	s_add_i32 s4, s4, s49
	s_waitcnt lgkmcnt(0)
	v_max_f32_e32 v15, v15, v15
	v_max_f32_e32 v6, v6, v15
	v_lshlrev_b32_e32 v15, 2, v2
	v_and_b32_e32 v15, 0x100, v15
	ds_bpermute_b32 v6, v15, v6
	s_min_i32 s15, s4, s29
	s_sub_i32 s7, s15, s49
	v_cmp_gt_i32_e64 s[4:5], s7, v0
	v_mov_b32_e32 v16, 0
	s_and_saveexec_b64 s[38:39], s[4:5]
	s_cbranch_execz .LBB158_28
; %bb.25:
	v_mov_b32_e32 v16, 0x100
	v_lshl_add_u32 v17, v0, 2, v16
	s_mov_b64 s[40:41], 0
	v_mov_b32_e32 v16, 0
	v_mov_b32_e32 v19, v0
.LBB158_26:                             ; =>This Inner Loop Header: Depth=1
	ds_read_b32 v20, v17
	v_add_u32_e32 v19, 0x80, v19
	v_cmp_le_i32_e64 s[10:11], s7, v19
	s_or_b64 s[40:41], s[10:11], s[40:41]
	s_waitcnt lgkmcnt(0)
	v_sub_f32_e32 v20, v20, v6
	v_mul_f32_e32 v20, 0x3fb8aa3b, v20
	v_exp_f32_e32 v20, v20
	ds_write_b32 v17, v20
	v_add_f32_e32 v16, v16, v20
	v_add_u32_e32 v17, 0x200, v17
	s_andn2_b64 exec, exec, s[40:41]
	s_cbranch_execnz .LBB158_26
; %bb.27:
	s_or_b64 exec, exec, s[40:41]
.LBB158_28:
	s_or_b64 exec, exec, s[38:39]
	ds_bpermute_b32 v7, v7, v16
	s_waitcnt lgkmcnt(0)
	v_add_f32_e32 v7, v16, v7
	ds_bpermute_b32 v8, v8, v7
	s_waitcnt lgkmcnt(0)
	v_add_f32_e32 v7, v7, v8
	ds_bpermute_b32 v8, v13, v7
	v_xor_b32_e32 v13, 2, v2
	v_cmp_lt_i32_e64 s[10:11], v13, v3
	v_cndmask_b32_e64 v2, v2, v13, s[10:11]
	v_lshlrev_b32_e32 v2, 2, v2
	s_waitcnt lgkmcnt(0)
	v_add_f32_e32 v7, v7, v8
	ds_bpermute_b32 v8, v14, v7
	s_waitcnt lgkmcnt(0)
	v_add_f32_e32 v3, v7, v8
	ds_bpermute_b32 v2, v2, v3
	;; [unrolled: 3-line block ×3, first 2 shown]
	s_waitcnt lgkmcnt(0)
	v_add_f32_e32 v2, v2, v3
	s_and_saveexec_b64 s[10:11], vcc
	s_cbranch_execz .LBB158_30
; %bb.29:
	ds_write_b32 v9, v2 offset:248
.LBB158_30:
	s_or_b64 exec, exec, s[10:11]
	s_waitcnt lgkmcnt(0)
	s_barrier
	s_and_saveexec_b64 s[10:11], s[2:3]
	s_cbranch_execz .LBB158_32
; %bb.31:
	ds_read_b32 v2, v12 offset:248
.LBB158_32:
	s_or_b64 exec, exec, s[10:11]
	s_waitcnt lgkmcnt(0)
	ds_bpermute_b32 v3, v18, v2
	s_waitcnt lgkmcnt(0)
	v_add_f32_e32 v2, v2, v3
	ds_bpermute_b32 v7, v15, v2
	s_and_saveexec_b64 s[2:3], s[4:5]
	s_cbranch_execz .LBB158_45
; %bb.33:
	s_waitcnt lgkmcnt(0)
	v_add_f32_e32 v2, 0x358637bd, v7
	v_div_scale_f32 v3, s[4:5], v2, v2, 1.0
	v_rcp_f32_e32 v8, v3
	v_div_scale_f32 v9, vcc, 1.0, v2, 1.0
	s_movk_i32 s4, 0x7f
	v_fma_f32 v12, -v3, v8, 1.0
	v_fmac_f32_e32 v8, v12, v8
	v_mul_f32_e32 v12, v9, v8
	v_fma_f32 v13, -v3, v12, v9
	v_fmac_f32_e32 v12, v13, v8
	v_fma_f32 v3, -v3, v12, v9
	v_div_fmas_f32 v3, v3, v8, v12
	v_div_fixup_f32 v2, v3, v2, 1.0
	v_xad_u32 v3, v0, -1, s15
	v_subrev_u32_e32 v8, s49, v3
	v_cmp_lt_u32_e32 vcc, s4, v8
	s_mov_b64 s[10:11], -1
	v_mov_b32_e32 v3, v0
	s_and_saveexec_b64 s[4:5], vcc
	s_cbranch_execz .LBB158_42
; %bb.34:
	v_lshrrev_b32_e32 v8, 7, v8
	v_add_u32_e32 v12, -1, v8
	v_lshrrev_b32_e32 v9, 1, v12
	v_mov_b32_e32 v3, v2
	v_add_u32_e32 v9, 1, v9
	v_cmp_lt_u32_e32 vcc, 13, v12
	v_mov_b32_e32 v14, 0
	s_and_saveexec_b64 s[10:11], vcc
	s_cbranch_execz .LBB158_38
; %bb.35:
	v_mov_b32_e32 v13, 0x100
	v_and_b32_e32 v12, -8, v9
	v_lshl_add_u32 v13, v0, 2, v13
	s_mov_b32 s15, 0
	s_mov_b64 s[38:39], 0
.LBB158_36:                             ; =>This Inner Loop Header: Depth=1
	ds_read2st64_b32 v[14:15], v13 offset1:2
	ds_read2st64_b32 v[16:17], v13 offset0:4 offset1:6
	ds_read2st64_b32 v[20:21], v13 offset0:8 offset1:10
	;; [unrolled: 1-line block ×3, first 2 shown]
	v_add_u32_e32 v12, -8, v12
	s_waitcnt lgkmcnt(3)
	v_pk_mul_f32 v[14:15], v[2:3], v[14:15]
	s_waitcnt lgkmcnt(2)
	v_pk_mul_f32 v[16:17], v[2:3], v[16:17]
	ds_write2st64_b32 v13, v14, v15 offset1:2
	ds_write2st64_b32 v13, v16, v17 offset0:4 offset1:6
	ds_read2st64_b32 v[16:17], v13 offset0:16 offset1:18
	s_waitcnt lgkmcnt(4)
	v_pk_mul_f32 v[14:15], v[2:3], v[20:21]
	ds_write2st64_b32 v13, v14, v15 offset0:8 offset1:10
	s_waitcnt lgkmcnt(4)
	v_pk_mul_f32 v[14:15], v[2:3], v[22:23]
	ds_write2st64_b32 v13, v14, v15 offset0:12 offset1:14
	ds_read2st64_b32 v[14:15], v13 offset0:20 offset1:22
	s_waitcnt lgkmcnt(3)
	v_pk_mul_f32 v[16:17], v[2:3], v[16:17]
	ds_read2st64_b32 v[20:21], v13 offset0:24 offset1:26
	ds_write2st64_b32 v13, v16, v17 offset0:16 offset1:18
	ds_read2st64_b32 v[16:17], v13 offset0:28 offset1:30
	s_waitcnt lgkmcnt(3)
	v_pk_mul_f32 v[14:15], v[2:3], v[14:15]
	ds_write2st64_b32 v13, v14, v15 offset0:20 offset1:22
	s_waitcnt lgkmcnt(3)
	v_pk_mul_f32 v[14:15], v[2:3], v[20:21]
	ds_write2st64_b32 v13, v14, v15 offset0:24 offset1:26
	s_waitcnt lgkmcnt(2)
	v_pk_mul_f32 v[14:15], v[2:3], v[16:17]
	s_add_i32 s15, s15, 16
	v_cmp_eq_u32_e32 vcc, 0, v12
	ds_write2st64_b32 v13, v14, v15 offset0:28 offset1:30
	v_add_u32_e32 v13, 0x2000, v13
	s_or_b64 s[38:39], vcc, s[38:39]
	v_mov_b32_e32 v14, s15
	s_andn2_b64 exec, exec, s[38:39]
	s_cbranch_execnz .LBB158_36
; %bb.37:
	s_or_b64 exec, exec, s[38:39]
.LBB158_38:
	s_or_b64 exec, exec, s[10:11]
	v_and_b32_e32 v9, 7, v9
	v_cmp_ne_u32_e32 vcc, 0, v9
	s_and_saveexec_b64 s[10:11], vcc
	s_cbranch_execz .LBB158_41
; %bb.39:
	v_lshlrev_b32_e32 v12, 9, v14
	v_lshlrev_b32_e32 v13, 2, v0
	s_movk_i32 s15, 0x100
	v_add3_u32 v12, v12, v13, s15
	s_mov_b64 s[38:39], 0
.LBB158_40:                             ; =>This Inner Loop Header: Depth=1
	ds_read2st64_b32 v[14:15], v12 offset1:2
	v_add_u32_e32 v9, -1, v9
	v_cmp_eq_u32_e32 vcc, 0, v9
	s_or_b64 s[38:39], vcc, s[38:39]
	s_waitcnt lgkmcnt(0)
	v_pk_mul_f32 v[14:15], v[2:3], v[14:15]
	ds_write2st64_b32 v12, v14, v15 offset1:2
	v_add_u32_e32 v12, 0x400, v12
	s_andn2_b64 exec, exec, s[38:39]
	s_cbranch_execnz .LBB158_40
.LBB158_41:
	s_or_b64 exec, exec, s[10:11]
	v_add_u32_e32 v8, 1, v8
	v_and_b32_e32 v9, 0x3fffffe, v8
	v_cmp_ne_u32_e32 vcc, v8, v9
	v_lshl_add_u32 v3, v9, 7, v0
	s_orn2_b64 s[10:11], vcc, exec
.LBB158_42:
	s_or_b64 exec, exec, s[4:5]
	s_and_b64 exec, exec, s[10:11]
	s_cbranch_execz .LBB158_45
; %bb.43:
	v_mov_b32_e32 v8, 0x100
	v_lshl_add_u32 v8, v3, 2, v8
	s_mov_b64 s[4:5], 0
.LBB158_44:                             ; =>This Inner Loop Header: Depth=1
	ds_read_b32 v9, v8
	v_add_u32_e32 v3, 0x80, v3
	v_cmp_le_i32_e32 vcc, s7, v3
	s_or_b64 s[4:5], vcc, s[4:5]
	s_waitcnt lgkmcnt(0)
	v_mul_f32_e32 v9, v2, v9
	ds_write_b32 v8, v9
	v_add_u32_e32 v8, 0x200, v8
	s_andn2_b64 exec, exec, s[4:5]
	s_cbranch_execnz .LBB158_44
.LBB158_45:
	s_or_b64 exec, exec, s[2:3]
	s_mul_i32 s2, s16, s28
	v_cmp_eq_u32_e32 vcc, 0, v0
	s_mul_i32 s4, s2, s9
	s_waitcnt lgkmcnt(0)
	s_barrier
	s_and_saveexec_b64 s[2:3], vcc
	s_cbranch_execz .LBB158_47
; %bb.46:
	s_ashr_i32 s5, s4, 31
	s_lshl_b64 s[10:11], s[4:5], 2
	s_add_u32 s5, s22, s10
	s_mul_i32 s6, s16, s6
	s_addc_u32 s9, s23, s11
	s_ashr_i32 s7, s6, 31
	s_lshl_b64 s[6:7], s[6:7], 2
	s_add_u32 s5, s5, s6
	s_addc_u32 s15, s9, s7
	s_ashr_i32 s9, s8, 31
	s_lshl_b64 s[22:23], s[8:9], 2
	s_add_u32 s38, s5, s22
	s_addc_u32 s39, s15, s23
	s_add_u32 s5, s20, s10
	s_addc_u32 s9, s21, s11
	s_add_u32 s5, s5, s6
	s_addc_u32 s7, s9, s7
	s_add_u32 s6, s5, s22
	v_mov_b32_e32 v2, 0
	s_addc_u32 s7, s7, s23
	global_store_dword v2, v6, s[38:39]
	global_store_dword v2, v7, s[6:7]
.LBB158_47:
	s_or_b64 exec, exec, s[2:3]
	v_mov_b32_e32 v13, 0
	v_lshrrev_b32_e32 v20, 1, v5
	v_and_b32_e32 v19, 1, v0
	v_mov_b32_e32 v12, 0
	v_mov_b32_e32 v15, 0
	;; [unrolled: 1-line block ×3, first 2 shown]
	s_and_saveexec_b64 s[6:7], s[0:1]
	s_cbranch_execz .LBB158_223
; %bb.48:
	s_ashr_i32 s15, s14, 31
	s_sub_i32 s5, s48, s17
	s_lshl_b64 s[0:1], s[14:15], 1
	s_add_u32 s9, s36, s0
	s_addc_u32 s17, s37, s1
	s_abs_i32 s18, s18
	v_cvt_f32_u32_e32 v3, s18
	v_lshlrev_b32_e32 v2, 3, v0
	v_or_b32_e32 v5, 0x60, v20
	s_movk_i32 s0, 0x78
	v_rcp_iflag_f32_e32 v3, v3
	v_and_b32_e32 v21, 8, v2
	v_cmp_gt_u32_e32 vcc, s0, v5
	s_sub_i32 s0, 0, s18
	v_mul_f32_e32 v3, 0x4f7ffffe, v3
	v_cvt_u32_f32_e32 v3, v3
	s_add_i32 s21, s12, -1
	v_lshl_or_b32 v6, v5, 4, v21
	v_lshlrev_b64 v[8:9], 2, v[10:11]
	v_mul_lo_u32 v5, s0, v3
	s_lshl_b64 s[0:1], s[34:35], 2
	s_add_u32 s0, s30, s0
	v_mul_hi_u32 v5, v3, v5
	s_addc_u32 s1, s31, s1
	v_add_u32_e32 v23, v3, v5
	v_mov_b32_e32 v3, s1
	v_add_co_u32_e64 v16, s[0:1], s0, v8
	v_addc_co_u32_e64 v17, s[0:1], v3, v9, s[0:1]
	v_lshlrev_b32_e32 v3, 5, v19
	v_lshl_or_b32 v2, v20, 4, v21
	v_lshl_or_b32 v3, v4, 6, v3
	s_mov_b32 s20, s13
	v_mov_b32_e32 v22, 0
	v_add_u32_e32 v11, 0x100, v3
	s_mov_b64 s[10:11], 0
	s_mov_b32 s22, 0x7f800000
	s_movk_i32 s23, 0x7fff
	v_lshlrev_b32_e32 v24, 1, v2
	v_lshlrev_b32_e32 v25, 1, v6
	v_mov_b32_e32 v14, 0
	v_mov_b32_e32 v15, 0
	;; [unrolled: 1-line block ×4, first 2 shown]
	s_branch .LBB158_52
.LBB158_49:                             ;   in Loop: Header=BB158_52 Depth=1
	s_or_b64 exec, exec, s[2:3]
	v_and_b32_e32 v37, 0xffff0000, v36
	v_and_b32_e32 v36, 0xffff0000, v34
	;; [unrolled: 1-line block ×8, first 2 shown]
	v_pk_add_f32 v[2:3], v[2:3], v[34:35]
	v_pk_add_f32 v[4:5], v[4:5], v[36:37]
	v_add_f32_e32 v2, v2, v3
	v_add_f32_e32 v2, v2, v4
	;; [unrolled: 1-line block ×4, first 2 shown]
.LBB158_50:                             ;   in Loop: Header=BB158_52 Depth=1
	s_or_b64 exec, exec, s[14:15]
	v_and_b32_e32 v2, 0xffff0000, v29
	v_and_b32_e32 v4, 0xffff0000, v28
	;; [unrolled: 1-line block ×8, first 2 shown]
	v_pk_add_f32 v[8:9], v[8:9], v[28:29]
	v_pk_add_f32 v[2:3], v[4:5], v[2:3]
	v_add_f32_e32 v4, v8, v9
	v_add_f32_e32 v2, v4, v2
	;; [unrolled: 1-line block ×3, first 2 shown]
	v_and_b32_e32 v9, 0xffff0000, v46
	v_and_b32_e32 v8, 0xffff0000, v44
	;; [unrolled: 1-line block ×4, first 2 shown]
	v_add_f32_e32 v14, v14, v2
	v_and_b32_e32 v3, 0xffff0000, v50
	v_and_b32_e32 v2, 0xffff0000, v48
	;; [unrolled: 1-line block ×4, first 2 shown]
	v_pk_add_f32 v[8:9], v[26:27], v[8:9]
	v_pk_add_f32 v[2:3], v[4:5], v[2:3]
	v_add_f32_e32 v4, v8, v9
	v_add_f32_e32 v2, v4, v2
	;; [unrolled: 1-line block ×3, first 2 shown]
	v_and_b32_e32 v9, 0xffff0000, v52
	v_and_b32_e32 v8, 0xffff0000, v7
	;; [unrolled: 1-line block ×4, first 2 shown]
	v_add_f32_e32 v15, v15, v2
	v_and_b32_e32 v3, 0xffff0000, v56
	v_and_b32_e32 v2, 0xffff0000, v54
	;; [unrolled: 1-line block ×4, first 2 shown]
	v_pk_add_f32 v[6:7], v[6:7], v[8:9]
	v_pk_add_f32 v[2:3], v[4:5], v[2:3]
	v_add_f32_e32 v4, v6, v7
	v_add_f32_e32 v2, v4, v2
	;; [unrolled: 1-line block ×4, first 2 shown]
.LBB158_51:                             ;   in Loop: Header=BB158_52 Depth=1
	s_or_b64 exec, exec, s[12:13]
	v_add_co_u32_e64 v16, s[0:1], 8, v16
	v_add_u32_e32 v10, 2, v10
	v_addc_co_u32_e64 v17, s[0:1], 0, v17, s[0:1]
	v_cmp_le_i32_e64 s[0:1], s47, v10
	v_add_u32_e32 v1, 32, v1
	s_or_b64 s[10:11], s[0:1], s[10:11]
	v_add_u32_e32 v11, 0x80, v11
	s_andn2_b64 exec, exec, s[10:11]
	s_cbranch_execz .LBB158_222
.LBB158_52:                             ; =>This Inner Loop Header: Depth=1
	v_sub_u32_e32 v3, 0, v1
	v_max_i32_e32 v3, v1, v3
	v_mul_hi_u32 v4, v3, s33
	v_mul_lo_u32 v5, v4, s25
	v_sub_u32_e32 v3, v3, v5
	v_add_u32_e32 v5, 1, v4
	v_cmp_le_u32_e64 s[0:1], s25, v3
	v_cndmask_b32_e64 v4, v4, v5, s[0:1]
	v_subrev_u32_e32 v5, s25, v3
	v_cndmask_b32_e64 v3, v3, v5, s[0:1]
	v_ashrrev_i32_e32 v2, 31, v1
	v_add_u32_e32 v5, 1, v4
	v_cmp_le_u32_e64 s[0:1], s25, v3
	v_xor_b32_e32 v2, s19, v2
	v_cndmask_b32_e64 v3, v4, v5, s[0:1]
	v_xor_b32_e32 v3, v3, v2
	v_sub_u32_e32 v2, v3, v2
	v_add_u32_e32 v3, s46, v2
	v_sub_u32_e32 v5, 0, v3
	v_ashrrev_i32_e32 v4, 31, v3
	v_max_i32_e32 v3, v3, v5
	v_mul_hi_u32 v5, v3, v23
	v_mul_lo_u32 v5, v5, s18
	v_sub_u32_e32 v3, v3, v5
	v_subrev_u32_e32 v5, s18, v3
	v_cmp_le_u32_e64 s[0:1], s18, v3
	v_cndmask_b32_e64 v3, v3, v5, s[0:1]
	v_subrev_u32_e32 v5, s18, v3
	v_cmp_le_u32_e64 s[0:1], s18, v3
	v_cndmask_b32_e64 v3, v3, v5, s[0:1]
	v_xor_b32_e32 v3, v3, v4
	v_sub_u32_e32 v3, v3, v4
	v_cmp_eq_u32_e64 s[0:1], 0, v3
	v_cmp_lt_i32_e64 s[2:3], s5, v2
	s_or_b64 s[0:1], s[0:1], s[2:3]
	s_and_saveexec_b64 s[12:13], s[0:1]
	s_cbranch_execz .LBB158_51
; %bb.53:                               ;   in Loop: Header=BB158_52 Depth=1
	global_load_dword v31, v[16:17], off
	ds_read2_b64 v[6:9], v11 offset1:1
	ds_read2_b64 v[2:5], v11 offset0:2 offset1:3
                                        ; implicit-def: $vgpr35
	s_waitcnt lgkmcnt(1)
	v_and_b32_e32 v26, 0x7f800000, v6
	v_cmp_ne_u32_e64 s[0:1], s22, v26
	s_and_saveexec_b64 s[2:3], s[0:1]
	s_xor_b64 s[0:1], exec, s[2:3]
; %bb.54:                               ;   in Loop: Header=BB158_52 Depth=1
	v_bfe_u32 v26, v6, 16, 1
	v_add3_u32 v35, v6, v26, s23
; %bb.55:                               ;   in Loop: Header=BB158_52 Depth=1
	s_andn2_saveexec_b64 s[2:3], s[0:1]
; %bb.56:                               ;   in Loop: Header=BB158_52 Depth=1
	v_or_b32_e32 v26, 0x10000, v6
	v_cmp_eq_u32_sdwa s[0:1], v6, v22 src0_sel:WORD_0 src1_sel:DWORD
	v_cndmask_b32_e64 v35, v26, v6, s[0:1]
; %bb.57:                               ;   in Loop: Header=BB158_52 Depth=1
	s_or_b64 exec, exec, s[2:3]
	v_and_b32_e32 v6, 0x7f800000, v7
	v_cmp_ne_u32_e64 s[0:1], s22, v6
                                        ; implicit-def: $vgpr36
	s_and_saveexec_b64 s[2:3], s[0:1]
	s_xor_b64 s[0:1], exec, s[2:3]
; %bb.58:                               ;   in Loop: Header=BB158_52 Depth=1
	v_bfe_u32 v6, v7, 16, 1
	v_add3_u32 v36, v7, v6, s23
; %bb.59:                               ;   in Loop: Header=BB158_52 Depth=1
	s_andn2_saveexec_b64 s[2:3], s[0:1]
; %bb.60:                               ;   in Loop: Header=BB158_52 Depth=1
	v_or_b32_e32 v6, 0x10000, v7
	v_cmp_eq_u32_sdwa s[0:1], v7, v22 src0_sel:WORD_0 src1_sel:DWORD
	v_cndmask_b32_e64 v36, v6, v7, s[0:1]
; %bb.61:                               ;   in Loop: Header=BB158_52 Depth=1
	s_or_b64 exec, exec, s[2:3]
	v_and_b32_e32 v6, 0x7f800000, v8
	v_cmp_ne_u32_e64 s[0:1], s22, v6
                                        ; implicit-def: $vgpr26
	s_and_saveexec_b64 s[2:3], s[0:1]
	s_xor_b64 s[0:1], exec, s[2:3]
; %bb.62:                               ;   in Loop: Header=BB158_52 Depth=1
	v_bfe_u32 v6, v8, 16, 1
	v_add3_u32 v26, v8, v6, s23
; %bb.63:                               ;   in Loop: Header=BB158_52 Depth=1
	s_andn2_saveexec_b64 s[2:3], s[0:1]
; %bb.64:                               ;   in Loop: Header=BB158_52 Depth=1
	v_or_b32_e32 v6, 0x10000, v8
	v_cmp_eq_u32_sdwa s[0:1], v8, v22 src0_sel:WORD_0 src1_sel:DWORD
	v_cndmask_b32_e64 v26, v6, v8, s[0:1]
; %bb.65:                               ;   in Loop: Header=BB158_52 Depth=1
	s_or_b64 exec, exec, s[2:3]
	v_and_b32_e32 v6, 0x7f800000, v9
	v_cmp_ne_u32_e64 s[0:1], s22, v6
                                        ; implicit-def: $vgpr27
	s_and_saveexec_b64 s[2:3], s[0:1]
	s_xor_b64 s[0:1], exec, s[2:3]
; %bb.66:                               ;   in Loop: Header=BB158_52 Depth=1
	v_bfe_u32 v6, v9, 16, 1
	v_add3_u32 v27, v9, v6, s23
                                        ; implicit-def: $vgpr6_vgpr7_vgpr8_vgpr9
; %bb.67:                               ;   in Loop: Header=BB158_52 Depth=1
	s_andn2_saveexec_b64 s[2:3], s[0:1]
; %bb.68:                               ;   in Loop: Header=BB158_52 Depth=1
	v_or_b32_e32 v6, 0x10000, v9
	v_cmp_eq_u32_sdwa s[0:1], v9, v22 src0_sel:WORD_0 src1_sel:DWORD
	v_cndmask_b32_e64 v27, v6, v9, s[0:1]
; %bb.69:                               ;   in Loop: Header=BB158_52 Depth=1
	s_or_b64 exec, exec, s[2:3]
	s_waitcnt lgkmcnt(0)
	v_and_b32_e32 v6, 0x7f800000, v2
	v_cmp_ne_u32_e64 s[0:1], s22, v6
                                        ; implicit-def: $vgpr28
	s_and_saveexec_b64 s[2:3], s[0:1]
	s_xor_b64 s[0:1], exec, s[2:3]
; %bb.70:                               ;   in Loop: Header=BB158_52 Depth=1
	v_bfe_u32 v6, v2, 16, 1
	v_add3_u32 v28, v2, v6, s23
; %bb.71:                               ;   in Loop: Header=BB158_52 Depth=1
	s_andn2_saveexec_b64 s[2:3], s[0:1]
; %bb.72:                               ;   in Loop: Header=BB158_52 Depth=1
	v_or_b32_e32 v6, 0x10000, v2
	v_cmp_eq_u32_sdwa s[0:1], v2, v22 src0_sel:WORD_0 src1_sel:DWORD
	v_cndmask_b32_e64 v28, v6, v2, s[0:1]
; %bb.73:                               ;   in Loop: Header=BB158_52 Depth=1
	s_or_b64 exec, exec, s[2:3]
	v_and_b32_e32 v2, 0x7f800000, v3
	v_cmp_ne_u32_e64 s[0:1], s22, v2
                                        ; implicit-def: $vgpr29
	s_and_saveexec_b64 s[2:3], s[0:1]
	s_xor_b64 s[0:1], exec, s[2:3]
; %bb.74:                               ;   in Loop: Header=BB158_52 Depth=1
	v_bfe_u32 v2, v3, 16, 1
	v_add3_u32 v29, v3, v2, s23
; %bb.75:                               ;   in Loop: Header=BB158_52 Depth=1
	s_andn2_saveexec_b64 s[2:3], s[0:1]
; %bb.76:                               ;   in Loop: Header=BB158_52 Depth=1
	v_or_b32_e32 v2, 0x10000, v3
	v_cmp_eq_u32_sdwa s[0:1], v3, v22 src0_sel:WORD_0 src1_sel:DWORD
	v_cndmask_b32_e64 v29, v2, v3, s[0:1]
; %bb.77:                               ;   in Loop: Header=BB158_52 Depth=1
	s_or_b64 exec, exec, s[2:3]
	v_and_b32_e32 v2, 0x7f800000, v4
	v_cmp_ne_u32_e64 s[0:1], s22, v2
                                        ; implicit-def: $vgpr30
	s_and_saveexec_b64 s[2:3], s[0:1]
	s_xor_b64 s[0:1], exec, s[2:3]
; %bb.78:                               ;   in Loop: Header=BB158_52 Depth=1
	v_bfe_u32 v2, v4, 16, 1
	v_add3_u32 v30, v4, v2, s23
; %bb.79:                               ;   in Loop: Header=BB158_52 Depth=1
	s_andn2_saveexec_b64 s[2:3], s[0:1]
; %bb.80:                               ;   in Loop: Header=BB158_52 Depth=1
	v_or_b32_e32 v2, 0x10000, v4
	v_cmp_eq_u32_sdwa s[0:1], v4, v22 src0_sel:WORD_0 src1_sel:DWORD
	v_cndmask_b32_e64 v30, v2, v4, s[0:1]
; %bb.81:                               ;   in Loop: Header=BB158_52 Depth=1
	s_or_b64 exec, exec, s[2:3]
	v_and_b32_e32 v2, 0x7f800000, v5
	v_cmp_ne_u32_e64 s[0:1], s22, v2
                                        ; implicit-def: $vgpr32
	s_and_saveexec_b64 s[2:3], s[0:1]
	s_xor_b64 s[0:1], exec, s[2:3]
; %bb.82:                               ;   in Loop: Header=BB158_52 Depth=1
	v_bfe_u32 v2, v5, 16, 1
	v_add3_u32 v32, v5, v2, s23
                                        ; implicit-def: $vgpr2_vgpr3_vgpr4_vgpr5
; %bb.83:                               ;   in Loop: Header=BB158_52 Depth=1
	s_andn2_saveexec_b64 s[2:3], s[0:1]
; %bb.84:                               ;   in Loop: Header=BB158_52 Depth=1
	v_or_b32_e32 v2, 0x10000, v5
	v_cmp_eq_u32_sdwa s[0:1], v5, v22 src0_sel:WORD_0 src1_sel:DWORD
	v_cndmask_b32_e64 v32, v2, v5, s[0:1]
; %bb.85:                               ;   in Loop: Header=BB158_52 Depth=1
	s_or_b64 exec, exec, s[2:3]
	s_waitcnt vmcnt(0)
	v_mad_i64_i32 v[2:3], s[0:1], v31, s20, 0
	v_lshlrev_b64 v[2:3], 1, v[2:3]
	v_mov_b32_e32 v4, s17
	v_add_co_u32_e64 v33, s[0:1], s9, v2
	v_addc_co_u32_e64 v34, s[0:1], v4, v3, s[0:1]
	v_add_co_u32_e64 v6, s[0:1], v33, v24
	v_addc_co_u32_e64 v7, s[0:1], 0, v34, s[0:1]
	global_load_dwordx4 v[2:5], v[6:7], off
	v_add_u32_e32 v31, v21, v1
	v_cmp_eq_u32_e64 s[0:1], s21, v10
	s_waitcnt vmcnt(0)
	v_lshrrev_b32_e32 v9, 16, v2
	v_lshrrev_b32_e32 v39, 16, v3
	v_lshrrev_b32_e32 v41, 16, v4
	v_lshrrev_b32_e32 v43, 16, v5
	s_and_saveexec_b64 s[14:15], s[0:1]
	s_cbranch_execz .LBB158_87
; %bb.86:                               ;   in Loop: Header=BB158_52 Depth=1
	v_cmp_gt_i32_e64 s[2:3], s29, v31
	v_add_u32_e32 v8, 1, v31
	v_cndmask_b32_e64 v2, 0, v2, s[2:3]
	v_cmp_gt_i32_e64 s[2:3], s29, v8
	v_add_u32_e32 v8, 2, v31
	v_cndmask_b32_e64 v9, 0, v9, s[2:3]
	;; [unrolled: 3-line block ×7, first 2 shown]
	v_cmp_gt_i32_e64 s[2:3], s29, v8
	v_cndmask_b32_e64 v43, 0, v43, s[2:3]
.LBB158_87:                             ;   in Loop: Header=BB158_52 Depth=1
	s_or_b64 exec, exec, s[14:15]
	v_and_b32_e32 v35, 0xffff0000, v35
	v_lshlrev_b32_e32 v2, 16, v2
	v_mul_f32_e32 v2, v35, v2
	v_and_b32_e32 v8, 0x7f800000, v2
	v_cmp_ne_u32_e64 s[2:3], s22, v8
                                        ; implicit-def: $vgpr8
	s_and_saveexec_b64 s[14:15], s[2:3]
	s_xor_b64 s[2:3], exec, s[14:15]
; %bb.88:                               ;   in Loop: Header=BB158_52 Depth=1
	v_bfe_u32 v8, v2, 16, 1
	v_add3_u32 v8, v2, v8, s23
                                        ; implicit-def: $vgpr2
; %bb.89:                               ;   in Loop: Header=BB158_52 Depth=1
	s_andn2_saveexec_b64 s[14:15], s[2:3]
; %bb.90:                               ;   in Loop: Header=BB158_52 Depth=1
	v_or_b32_e32 v8, 0x10000, v2
	v_cmp_eq_u32_sdwa s[2:3], v2, v22 src0_sel:WORD_0 src1_sel:DWORD
	v_cndmask_b32_e64 v8, v8, v2, s[2:3]
; %bb.91:                               ;   in Loop: Header=BB158_52 Depth=1
	s_or_b64 exec, exec, s[14:15]
	v_and_b32_e32 v36, 0xffff0000, v36
	v_lshlrev_b32_e32 v2, 16, v9
	v_mul_f32_e32 v2, v36, v2
	v_and_b32_e32 v9, 0x7f800000, v2
	v_cmp_ne_u32_e64 s[2:3], s22, v9
                                        ; implicit-def: $vgpr9
	s_and_saveexec_b64 s[14:15], s[2:3]
	s_xor_b64 s[2:3], exec, s[14:15]
; %bb.92:                               ;   in Loop: Header=BB158_52 Depth=1
	v_bfe_u32 v9, v2, 16, 1
	v_add3_u32 v9, v2, v9, s23
                                        ; implicit-def: $vgpr2
; %bb.93:                               ;   in Loop: Header=BB158_52 Depth=1
	s_andn2_saveexec_b64 s[14:15], s[2:3]
; %bb.94:                               ;   in Loop: Header=BB158_52 Depth=1
	v_or_b32_e32 v9, 0x10000, v2
	v_cmp_eq_u32_sdwa s[2:3], v2, v22 src0_sel:WORD_0 src1_sel:DWORD
	v_cndmask_b32_e64 v9, v9, v2, s[2:3]
; %bb.95:                               ;   in Loop: Header=BB158_52 Depth=1
	s_or_b64 exec, exec, s[14:15]
	v_and_b32_e32 v37, 0xffff0000, v26
	v_lshlrev_b32_e32 v2, 16, v3
	v_mul_f32_e32 v2, v37, v2
	v_and_b32_e32 v3, 0x7f800000, v2
	v_cmp_ne_u32_e64 s[2:3], s22, v3
                                        ; implicit-def: $vgpr26
	s_and_saveexec_b64 s[14:15], s[2:3]
	s_xor_b64 s[2:3], exec, s[14:15]
; %bb.96:                               ;   in Loop: Header=BB158_52 Depth=1
	v_bfe_u32 v3, v2, 16, 1
	v_add3_u32 v26, v2, v3, s23
                                        ; implicit-def: $vgpr2
; %bb.97:                               ;   in Loop: Header=BB158_52 Depth=1
	s_andn2_saveexec_b64 s[14:15], s[2:3]
; %bb.98:                               ;   in Loop: Header=BB158_52 Depth=1
	v_or_b32_e32 v3, 0x10000, v2
	v_cmp_eq_u32_sdwa s[2:3], v2, v22 src0_sel:WORD_0 src1_sel:DWORD
	v_cndmask_b32_e64 v26, v3, v2, s[2:3]
; %bb.99:                               ;   in Loop: Header=BB158_52 Depth=1
	s_or_b64 exec, exec, s[14:15]
	v_and_b32_e32 v38, 0xffff0000, v27
	v_lshlrev_b32_e32 v2, 16, v39
	v_mul_f32_e32 v2, v38, v2
	v_and_b32_e32 v3, 0x7f800000, v2
	v_cmp_ne_u32_e64 s[2:3], s22, v3
                                        ; implicit-def: $vgpr27
	s_and_saveexec_b64 s[14:15], s[2:3]
	s_xor_b64 s[2:3], exec, s[14:15]
; %bb.100:                              ;   in Loop: Header=BB158_52 Depth=1
	v_bfe_u32 v3, v2, 16, 1
	v_add3_u32 v27, v2, v3, s23
                                        ; implicit-def: $vgpr2
; %bb.101:                              ;   in Loop: Header=BB158_52 Depth=1
	s_andn2_saveexec_b64 s[14:15], s[2:3]
; %bb.102:                              ;   in Loop: Header=BB158_52 Depth=1
	v_or_b32_e32 v3, 0x10000, v2
	v_cmp_eq_u32_sdwa s[2:3], v2, v22 src0_sel:WORD_0 src1_sel:DWORD
	v_cndmask_b32_e64 v27, v3, v2, s[2:3]
; %bb.103:                              ;   in Loop: Header=BB158_52 Depth=1
	s_or_b64 exec, exec, s[14:15]
	v_and_b32_e32 v39, 0xffff0000, v28
	v_lshlrev_b32_e32 v2, 16, v4
	v_mul_f32_e32 v2, v39, v2
	v_and_b32_e32 v3, 0x7f800000, v2
	v_cmp_ne_u32_e64 s[2:3], s22, v3
                                        ; implicit-def: $vgpr28
	s_and_saveexec_b64 s[14:15], s[2:3]
	s_xor_b64 s[2:3], exec, s[14:15]
; %bb.104:                              ;   in Loop: Header=BB158_52 Depth=1
	v_bfe_u32 v3, v2, 16, 1
	v_add3_u32 v28, v2, v3, s23
                                        ; implicit-def: $vgpr2
; %bb.105:                              ;   in Loop: Header=BB158_52 Depth=1
	s_andn2_saveexec_b64 s[14:15], s[2:3]
; %bb.106:                              ;   in Loop: Header=BB158_52 Depth=1
	v_or_b32_e32 v3, 0x10000, v2
	v_cmp_eq_u32_sdwa s[2:3], v2, v22 src0_sel:WORD_0 src1_sel:DWORD
	v_cndmask_b32_e64 v28, v3, v2, s[2:3]
; %bb.107:                              ;   in Loop: Header=BB158_52 Depth=1
	s_or_b64 exec, exec, s[14:15]
	v_and_b32_e32 v40, 0xffff0000, v29
	v_lshlrev_b32_e32 v2, 16, v41
	v_mul_f32_e32 v2, v40, v2
	v_and_b32_e32 v3, 0x7f800000, v2
	v_cmp_ne_u32_e64 s[2:3], s22, v3
                                        ; implicit-def: $vgpr29
	s_and_saveexec_b64 s[14:15], s[2:3]
	s_xor_b64 s[2:3], exec, s[14:15]
; %bb.108:                              ;   in Loop: Header=BB158_52 Depth=1
	v_bfe_u32 v3, v2, 16, 1
	v_add3_u32 v29, v2, v3, s23
                                        ; implicit-def: $vgpr2
; %bb.109:                              ;   in Loop: Header=BB158_52 Depth=1
	s_andn2_saveexec_b64 s[14:15], s[2:3]
; %bb.110:                              ;   in Loop: Header=BB158_52 Depth=1
	v_or_b32_e32 v3, 0x10000, v2
	v_cmp_eq_u32_sdwa s[2:3], v2, v22 src0_sel:WORD_0 src1_sel:DWORD
	v_cndmask_b32_e64 v29, v3, v2, s[2:3]
; %bb.111:                              ;   in Loop: Header=BB158_52 Depth=1
	s_or_b64 exec, exec, s[14:15]
	v_and_b32_e32 v41, 0xffff0000, v30
	v_lshlrev_b32_e32 v2, 16, v5
	v_mul_f32_e32 v2, v41, v2
	v_and_b32_e32 v3, 0x7f800000, v2
	v_cmp_ne_u32_e64 s[2:3], s22, v3
                                        ; implicit-def: $vgpr30
	s_and_saveexec_b64 s[14:15], s[2:3]
	s_xor_b64 s[2:3], exec, s[14:15]
; %bb.112:                              ;   in Loop: Header=BB158_52 Depth=1
	v_bfe_u32 v3, v2, 16, 1
	v_add3_u32 v30, v2, v3, s23
                                        ; implicit-def: $vgpr2
; %bb.113:                              ;   in Loop: Header=BB158_52 Depth=1
	s_andn2_saveexec_b64 s[14:15], s[2:3]
; %bb.114:                              ;   in Loop: Header=BB158_52 Depth=1
	v_or_b32_e32 v3, 0x10000, v2
	v_cmp_eq_u32_sdwa s[2:3], v2, v22 src0_sel:WORD_0 src1_sel:DWORD
	v_cndmask_b32_e64 v30, v3, v2, s[2:3]
; %bb.115:                              ;   in Loop: Header=BB158_52 Depth=1
	s_or_b64 exec, exec, s[14:15]
	v_and_b32_e32 v42, 0xffff0000, v32
	v_lshlrev_b32_e32 v2, 16, v43
	v_mul_f32_e32 v2, v42, v2
	v_and_b32_e32 v3, 0x7f800000, v2
	v_cmp_ne_u32_e64 s[2:3], s22, v3
                                        ; implicit-def: $vgpr32
	s_and_saveexec_b64 s[14:15], s[2:3]
	s_xor_b64 s[2:3], exec, s[14:15]
; %bb.116:                              ;   in Loop: Header=BB158_52 Depth=1
	v_bfe_u32 v3, v2, 16, 1
	v_add3_u32 v32, v2, v3, s23
                                        ; implicit-def: $vgpr2
; %bb.117:                              ;   in Loop: Header=BB158_52 Depth=1
	s_andn2_saveexec_b64 s[14:15], s[2:3]
; %bb.118:                              ;   in Loop: Header=BB158_52 Depth=1
	v_or_b32_e32 v3, 0x10000, v2
	v_cmp_eq_u32_sdwa s[2:3], v2, v22 src0_sel:WORD_0 src1_sel:DWORD
	v_cndmask_b32_e64 v32, v3, v2, s[2:3]
; %bb.119:                              ;   in Loop: Header=BB158_52 Depth=1
	s_or_b64 exec, exec, s[14:15]
	global_load_dwordx4 v[2:5], v[6:7], off offset:1024
	s_waitcnt vmcnt(0)
	v_lshrrev_b32_e32 v44, 16, v2
	v_lshrrev_b32_e32 v46, 16, v3
	;; [unrolled: 1-line block ×4, first 2 shown]
	s_and_saveexec_b64 s[14:15], s[0:1]
	s_cbranch_execz .LBB158_121
; %bb.120:                              ;   in Loop: Header=BB158_52 Depth=1
	v_cmp_gt_i32_e64 s[2:3], s29, v31
	v_add_u32_e32 v43, 1, v31
	v_cndmask_b32_e64 v2, 0, v2, s[2:3]
	v_cmp_gt_i32_e64 s[2:3], s29, v43
	v_add_u32_e32 v43, 2, v31
	v_cndmask_b32_e64 v44, 0, v44, s[2:3]
	;; [unrolled: 3-line block ×7, first 2 shown]
	v_cmp_gt_i32_e64 s[2:3], s29, v43
	v_cndmask_b32_e64 v50, 0, v50, s[2:3]
.LBB158_121:                            ;   in Loop: Header=BB158_52 Depth=1
	s_or_b64 exec, exec, s[14:15]
	v_lshlrev_b32_e32 v2, 16, v2
	v_mul_f32_e32 v2, v35, v2
	v_and_b32_e32 v43, 0x7f800000, v2
	v_cmp_ne_u32_e64 s[2:3], s22, v43
                                        ; implicit-def: $vgpr43
	s_and_saveexec_b64 s[14:15], s[2:3]
	s_xor_b64 s[2:3], exec, s[14:15]
; %bb.122:                              ;   in Loop: Header=BB158_52 Depth=1
	v_bfe_u32 v43, v2, 16, 1
	v_add3_u32 v43, v2, v43, s23
                                        ; implicit-def: $vgpr2
; %bb.123:                              ;   in Loop: Header=BB158_52 Depth=1
	s_andn2_saveexec_b64 s[14:15], s[2:3]
; %bb.124:                              ;   in Loop: Header=BB158_52 Depth=1
	v_or_b32_e32 v43, 0x10000, v2
	v_cmp_eq_u32_sdwa s[2:3], v2, v22 src0_sel:WORD_0 src1_sel:DWORD
	v_cndmask_b32_e64 v43, v43, v2, s[2:3]
; %bb.125:                              ;   in Loop: Header=BB158_52 Depth=1
	s_or_b64 exec, exec, s[14:15]
	v_lshlrev_b32_e32 v2, 16, v44
	v_mul_f32_e32 v2, v36, v2
	v_and_b32_e32 v44, 0x7f800000, v2
	v_cmp_ne_u32_e64 s[2:3], s22, v44
                                        ; implicit-def: $vgpr44
	s_and_saveexec_b64 s[14:15], s[2:3]
	s_xor_b64 s[2:3], exec, s[14:15]
; %bb.126:                              ;   in Loop: Header=BB158_52 Depth=1
	v_bfe_u32 v44, v2, 16, 1
	v_add3_u32 v44, v2, v44, s23
                                        ; implicit-def: $vgpr2
; %bb.127:                              ;   in Loop: Header=BB158_52 Depth=1
	s_andn2_saveexec_b64 s[14:15], s[2:3]
; %bb.128:                              ;   in Loop: Header=BB158_52 Depth=1
	v_or_b32_e32 v44, 0x10000, v2
	v_cmp_eq_u32_sdwa s[2:3], v2, v22 src0_sel:WORD_0 src1_sel:DWORD
	v_cndmask_b32_e64 v44, v44, v2, s[2:3]
; %bb.129:                              ;   in Loop: Header=BB158_52 Depth=1
	s_or_b64 exec, exec, s[14:15]
	v_lshlrev_b32_e32 v2, 16, v3
	v_mul_f32_e32 v2, v37, v2
	v_and_b32_e32 v3, 0x7f800000, v2
	v_cmp_ne_u32_e64 s[2:3], s22, v3
                                        ; implicit-def: $vgpr45
	s_and_saveexec_b64 s[14:15], s[2:3]
	s_xor_b64 s[2:3], exec, s[14:15]
; %bb.130:                              ;   in Loop: Header=BB158_52 Depth=1
	v_bfe_u32 v3, v2, 16, 1
	v_add3_u32 v45, v2, v3, s23
                                        ; implicit-def: $vgpr2
; %bb.131:                              ;   in Loop: Header=BB158_52 Depth=1
	s_andn2_saveexec_b64 s[14:15], s[2:3]
; %bb.132:                              ;   in Loop: Header=BB158_52 Depth=1
	v_or_b32_e32 v3, 0x10000, v2
	v_cmp_eq_u32_sdwa s[2:3], v2, v22 src0_sel:WORD_0 src1_sel:DWORD
	v_cndmask_b32_e64 v45, v3, v2, s[2:3]
; %bb.133:                              ;   in Loop: Header=BB158_52 Depth=1
	s_or_b64 exec, exec, s[14:15]
	v_lshlrev_b32_e32 v2, 16, v46
	v_mul_f32_e32 v2, v38, v2
	v_and_b32_e32 v3, 0x7f800000, v2
	v_cmp_ne_u32_e64 s[2:3], s22, v3
                                        ; implicit-def: $vgpr46
	s_and_saveexec_b64 s[14:15], s[2:3]
	s_xor_b64 s[2:3], exec, s[14:15]
; %bb.134:                              ;   in Loop: Header=BB158_52 Depth=1
	v_bfe_u32 v3, v2, 16, 1
	v_add3_u32 v46, v2, v3, s23
                                        ; implicit-def: $vgpr2
; %bb.135:                              ;   in Loop: Header=BB158_52 Depth=1
	s_andn2_saveexec_b64 s[14:15], s[2:3]
; %bb.136:                              ;   in Loop: Header=BB158_52 Depth=1
	v_or_b32_e32 v3, 0x10000, v2
	v_cmp_eq_u32_sdwa s[2:3], v2, v22 src0_sel:WORD_0 src1_sel:DWORD
	v_cndmask_b32_e64 v46, v3, v2, s[2:3]
; %bb.137:                              ;   in Loop: Header=BB158_52 Depth=1
	s_or_b64 exec, exec, s[14:15]
	v_lshlrev_b32_e32 v2, 16, v4
	v_mul_f32_e32 v2, v39, v2
	v_and_b32_e32 v3, 0x7f800000, v2
	v_cmp_ne_u32_e64 s[2:3], s22, v3
                                        ; implicit-def: $vgpr47
	s_and_saveexec_b64 s[14:15], s[2:3]
	s_xor_b64 s[2:3], exec, s[14:15]
; %bb.138:                              ;   in Loop: Header=BB158_52 Depth=1
	v_bfe_u32 v3, v2, 16, 1
	v_add3_u32 v47, v2, v3, s23
                                        ; implicit-def: $vgpr2
; %bb.139:                              ;   in Loop: Header=BB158_52 Depth=1
	s_andn2_saveexec_b64 s[14:15], s[2:3]
; %bb.140:                              ;   in Loop: Header=BB158_52 Depth=1
	v_or_b32_e32 v3, 0x10000, v2
	v_cmp_eq_u32_sdwa s[2:3], v2, v22 src0_sel:WORD_0 src1_sel:DWORD
	v_cndmask_b32_e64 v47, v3, v2, s[2:3]
; %bb.141:                              ;   in Loop: Header=BB158_52 Depth=1
	s_or_b64 exec, exec, s[14:15]
	v_lshlrev_b32_e32 v2, 16, v48
	v_mul_f32_e32 v2, v40, v2
	v_and_b32_e32 v3, 0x7f800000, v2
	v_cmp_ne_u32_e64 s[2:3], s22, v3
                                        ; implicit-def: $vgpr48
	s_and_saveexec_b64 s[14:15], s[2:3]
	s_xor_b64 s[2:3], exec, s[14:15]
; %bb.142:                              ;   in Loop: Header=BB158_52 Depth=1
	v_bfe_u32 v3, v2, 16, 1
	v_add3_u32 v48, v2, v3, s23
                                        ; implicit-def: $vgpr2
; %bb.143:                              ;   in Loop: Header=BB158_52 Depth=1
	s_andn2_saveexec_b64 s[14:15], s[2:3]
; %bb.144:                              ;   in Loop: Header=BB158_52 Depth=1
	v_or_b32_e32 v3, 0x10000, v2
	v_cmp_eq_u32_sdwa s[2:3], v2, v22 src0_sel:WORD_0 src1_sel:DWORD
	v_cndmask_b32_e64 v48, v3, v2, s[2:3]
; %bb.145:                              ;   in Loop: Header=BB158_52 Depth=1
	s_or_b64 exec, exec, s[14:15]
	v_lshlrev_b32_e32 v2, 16, v5
	v_mul_f32_e32 v2, v41, v2
	v_and_b32_e32 v3, 0x7f800000, v2
	v_cmp_ne_u32_e64 s[2:3], s22, v3
                                        ; implicit-def: $vgpr49
	s_and_saveexec_b64 s[14:15], s[2:3]
	s_xor_b64 s[2:3], exec, s[14:15]
; %bb.146:                              ;   in Loop: Header=BB158_52 Depth=1
	v_bfe_u32 v3, v2, 16, 1
	v_add3_u32 v49, v2, v3, s23
                                        ; implicit-def: $vgpr2
; %bb.147:                              ;   in Loop: Header=BB158_52 Depth=1
	s_andn2_saveexec_b64 s[14:15], s[2:3]
; %bb.148:                              ;   in Loop: Header=BB158_52 Depth=1
	v_or_b32_e32 v3, 0x10000, v2
	v_cmp_eq_u32_sdwa s[2:3], v2, v22 src0_sel:WORD_0 src1_sel:DWORD
	v_cndmask_b32_e64 v49, v3, v2, s[2:3]
; %bb.149:                              ;   in Loop: Header=BB158_52 Depth=1
	s_or_b64 exec, exec, s[14:15]
	v_lshlrev_b32_e32 v2, 16, v50
	v_mul_f32_e32 v2, v42, v2
	v_and_b32_e32 v3, 0x7f800000, v2
	v_cmp_ne_u32_e64 s[2:3], s22, v3
                                        ; implicit-def: $vgpr50
	s_and_saveexec_b64 s[14:15], s[2:3]
	s_xor_b64 s[2:3], exec, s[14:15]
; %bb.150:                              ;   in Loop: Header=BB158_52 Depth=1
	v_bfe_u32 v3, v2, 16, 1
	v_add3_u32 v50, v2, v3, s23
                                        ; implicit-def: $vgpr2
; %bb.151:                              ;   in Loop: Header=BB158_52 Depth=1
	s_andn2_saveexec_b64 s[14:15], s[2:3]
; %bb.152:                              ;   in Loop: Header=BB158_52 Depth=1
	v_or_b32_e32 v3, 0x10000, v2
	v_cmp_eq_u32_sdwa s[2:3], v2, v22 src0_sel:WORD_0 src1_sel:DWORD
	v_cndmask_b32_e64 v50, v3, v2, s[2:3]
; %bb.153:                              ;   in Loop: Header=BB158_52 Depth=1
	s_or_b64 exec, exec, s[14:15]
	global_load_dwordx4 v[2:5], v[6:7], off offset:2048
	s_waitcnt vmcnt(0)
	v_lshrrev_b32_e32 v7, 16, v2
	v_lshrrev_b32_e32 v52, 16, v3
	;; [unrolled: 1-line block ×4, first 2 shown]
	s_and_saveexec_b64 s[14:15], s[0:1]
	s_cbranch_execz .LBB158_155
; %bb.154:                              ;   in Loop: Header=BB158_52 Depth=1
	v_cmp_gt_i32_e64 s[2:3], s29, v31
	v_add_u32_e32 v6, 1, v31
	v_cndmask_b32_e64 v2, 0, v2, s[2:3]
	v_cmp_gt_i32_e64 s[2:3], s29, v6
	v_add_u32_e32 v6, 2, v31
	v_cndmask_b32_e64 v7, 0, v7, s[2:3]
	;; [unrolled: 3-line block ×7, first 2 shown]
	v_cmp_gt_i32_e64 s[2:3], s29, v6
	v_cndmask_b32_e64 v56, 0, v56, s[2:3]
.LBB158_155:                            ;   in Loop: Header=BB158_52 Depth=1
	s_or_b64 exec, exec, s[14:15]
	v_lshlrev_b32_e32 v2, 16, v2
	v_mul_f32_e32 v2, v35, v2
	v_and_b32_e32 v6, 0x7f800000, v2
	v_cmp_ne_u32_e64 s[2:3], s22, v6
                                        ; implicit-def: $vgpr6
	s_and_saveexec_b64 s[14:15], s[2:3]
	s_xor_b64 s[2:3], exec, s[14:15]
; %bb.156:                              ;   in Loop: Header=BB158_52 Depth=1
	v_bfe_u32 v6, v2, 16, 1
	v_add3_u32 v6, v2, v6, s23
                                        ; implicit-def: $vgpr2
; %bb.157:                              ;   in Loop: Header=BB158_52 Depth=1
	s_andn2_saveexec_b64 s[14:15], s[2:3]
; %bb.158:                              ;   in Loop: Header=BB158_52 Depth=1
	v_or_b32_e32 v6, 0x10000, v2
	v_cmp_eq_u32_sdwa s[2:3], v2, v22 src0_sel:WORD_0 src1_sel:DWORD
	v_cndmask_b32_e64 v6, v6, v2, s[2:3]
; %bb.159:                              ;   in Loop: Header=BB158_52 Depth=1
	s_or_b64 exec, exec, s[14:15]
	v_lshlrev_b32_e32 v2, 16, v7
	v_mul_f32_e32 v2, v36, v2
	v_and_b32_e32 v7, 0x7f800000, v2
	v_cmp_ne_u32_e64 s[2:3], s22, v7
                                        ; implicit-def: $vgpr7
	s_and_saveexec_b64 s[14:15], s[2:3]
	s_xor_b64 s[2:3], exec, s[14:15]
; %bb.160:                              ;   in Loop: Header=BB158_52 Depth=1
	v_bfe_u32 v7, v2, 16, 1
	v_add3_u32 v7, v2, v7, s23
                                        ; implicit-def: $vgpr2
; %bb.161:                              ;   in Loop: Header=BB158_52 Depth=1
	s_andn2_saveexec_b64 s[14:15], s[2:3]
; %bb.162:                              ;   in Loop: Header=BB158_52 Depth=1
	v_or_b32_e32 v7, 0x10000, v2
	v_cmp_eq_u32_sdwa s[2:3], v2, v22 src0_sel:WORD_0 src1_sel:DWORD
	v_cndmask_b32_e64 v7, v7, v2, s[2:3]
; %bb.163:                              ;   in Loop: Header=BB158_52 Depth=1
	s_or_b64 exec, exec, s[14:15]
	v_lshlrev_b32_e32 v2, 16, v3
	v_mul_f32_e32 v2, v37, v2
	v_and_b32_e32 v3, 0x7f800000, v2
	v_cmp_ne_u32_e64 s[2:3], s22, v3
                                        ; implicit-def: $vgpr51
	s_and_saveexec_b64 s[14:15], s[2:3]
	s_xor_b64 s[2:3], exec, s[14:15]
; %bb.164:                              ;   in Loop: Header=BB158_52 Depth=1
	v_bfe_u32 v3, v2, 16, 1
	v_add3_u32 v51, v2, v3, s23
                                        ; implicit-def: $vgpr2
; %bb.165:                              ;   in Loop: Header=BB158_52 Depth=1
	s_andn2_saveexec_b64 s[14:15], s[2:3]
; %bb.166:                              ;   in Loop: Header=BB158_52 Depth=1
	v_or_b32_e32 v3, 0x10000, v2
	v_cmp_eq_u32_sdwa s[2:3], v2, v22 src0_sel:WORD_0 src1_sel:DWORD
	v_cndmask_b32_e64 v51, v3, v2, s[2:3]
; %bb.167:                              ;   in Loop: Header=BB158_52 Depth=1
	s_or_b64 exec, exec, s[14:15]
	v_lshlrev_b32_e32 v2, 16, v52
	v_mul_f32_e32 v2, v38, v2
	v_and_b32_e32 v3, 0x7f800000, v2
	v_cmp_ne_u32_e64 s[2:3], s22, v3
                                        ; implicit-def: $vgpr52
	s_and_saveexec_b64 s[14:15], s[2:3]
	s_xor_b64 s[2:3], exec, s[14:15]
; %bb.168:                              ;   in Loop: Header=BB158_52 Depth=1
	v_bfe_u32 v3, v2, 16, 1
	v_add3_u32 v52, v2, v3, s23
                                        ; implicit-def: $vgpr2
; %bb.169:                              ;   in Loop: Header=BB158_52 Depth=1
	s_andn2_saveexec_b64 s[14:15], s[2:3]
; %bb.170:                              ;   in Loop: Header=BB158_52 Depth=1
	v_or_b32_e32 v3, 0x10000, v2
	v_cmp_eq_u32_sdwa s[2:3], v2, v22 src0_sel:WORD_0 src1_sel:DWORD
	v_cndmask_b32_e64 v52, v3, v2, s[2:3]
; %bb.171:                              ;   in Loop: Header=BB158_52 Depth=1
	s_or_b64 exec, exec, s[14:15]
	v_lshlrev_b32_e32 v2, 16, v4
	v_mul_f32_e32 v2, v39, v2
	v_and_b32_e32 v3, 0x7f800000, v2
	v_cmp_ne_u32_e64 s[2:3], s22, v3
                                        ; implicit-def: $vgpr53
	s_and_saveexec_b64 s[14:15], s[2:3]
	s_xor_b64 s[2:3], exec, s[14:15]
; %bb.172:                              ;   in Loop: Header=BB158_52 Depth=1
	v_bfe_u32 v3, v2, 16, 1
	v_add3_u32 v53, v2, v3, s23
                                        ; implicit-def: $vgpr2
; %bb.173:                              ;   in Loop: Header=BB158_52 Depth=1
	s_andn2_saveexec_b64 s[14:15], s[2:3]
; %bb.174:                              ;   in Loop: Header=BB158_52 Depth=1
	v_or_b32_e32 v3, 0x10000, v2
	v_cmp_eq_u32_sdwa s[2:3], v2, v22 src0_sel:WORD_0 src1_sel:DWORD
	v_cndmask_b32_e64 v53, v3, v2, s[2:3]
; %bb.175:                              ;   in Loop: Header=BB158_52 Depth=1
	s_or_b64 exec, exec, s[14:15]
	v_lshlrev_b32_e32 v2, 16, v54
	v_mul_f32_e32 v2, v40, v2
	v_and_b32_e32 v3, 0x7f800000, v2
	v_cmp_ne_u32_e64 s[2:3], s22, v3
                                        ; implicit-def: $vgpr54
	s_and_saveexec_b64 s[14:15], s[2:3]
	s_xor_b64 s[2:3], exec, s[14:15]
; %bb.176:                              ;   in Loop: Header=BB158_52 Depth=1
	v_bfe_u32 v3, v2, 16, 1
	v_add3_u32 v54, v2, v3, s23
                                        ; implicit-def: $vgpr2
; %bb.177:                              ;   in Loop: Header=BB158_52 Depth=1
	s_andn2_saveexec_b64 s[14:15], s[2:3]
; %bb.178:                              ;   in Loop: Header=BB158_52 Depth=1
	v_or_b32_e32 v3, 0x10000, v2
	v_cmp_eq_u32_sdwa s[2:3], v2, v22 src0_sel:WORD_0 src1_sel:DWORD
	v_cndmask_b32_e64 v54, v3, v2, s[2:3]
; %bb.179:                              ;   in Loop: Header=BB158_52 Depth=1
	s_or_b64 exec, exec, s[14:15]
	v_lshlrev_b32_e32 v2, 16, v5
	v_mul_f32_e32 v2, v41, v2
	v_and_b32_e32 v3, 0x7f800000, v2
	v_cmp_ne_u32_e64 s[2:3], s22, v3
                                        ; implicit-def: $vgpr55
	s_and_saveexec_b64 s[14:15], s[2:3]
	s_xor_b64 s[2:3], exec, s[14:15]
; %bb.180:                              ;   in Loop: Header=BB158_52 Depth=1
	v_bfe_u32 v3, v2, 16, 1
	v_add3_u32 v55, v2, v3, s23
                                        ; implicit-def: $vgpr2
; %bb.181:                              ;   in Loop: Header=BB158_52 Depth=1
	s_andn2_saveexec_b64 s[14:15], s[2:3]
; %bb.182:                              ;   in Loop: Header=BB158_52 Depth=1
	v_or_b32_e32 v3, 0x10000, v2
	v_cmp_eq_u32_sdwa s[2:3], v2, v22 src0_sel:WORD_0 src1_sel:DWORD
	v_cndmask_b32_e64 v55, v3, v2, s[2:3]
; %bb.183:                              ;   in Loop: Header=BB158_52 Depth=1
	s_or_b64 exec, exec, s[14:15]
	v_lshlrev_b32_e32 v2, 16, v56
	v_mul_f32_e32 v2, v42, v2
	v_and_b32_e32 v3, 0x7f800000, v2
	v_cmp_ne_u32_e64 s[2:3], s22, v3
                                        ; implicit-def: $vgpr56
	s_and_saveexec_b64 s[14:15], s[2:3]
	s_xor_b64 s[2:3], exec, s[14:15]
	s_cbranch_execnz .LBB158_186
; %bb.184:                              ;   in Loop: Header=BB158_52 Depth=1
	s_andn2_saveexec_b64 s[14:15], s[2:3]
	s_cbranch_execnz .LBB158_187
.LBB158_185:                            ;   in Loop: Header=BB158_52 Depth=1
	s_or_b64 exec, exec, s[14:15]
	s_and_saveexec_b64 s[14:15], vcc
	s_cbranch_execz .LBB158_50
	s_branch .LBB158_188
.LBB158_186:                            ;   in Loop: Header=BB158_52 Depth=1
	v_bfe_u32 v3, v2, 16, 1
	v_add3_u32 v56, v2, v3, s23
                                        ; implicit-def: $vgpr2
	s_andn2_saveexec_b64 s[14:15], s[2:3]
	s_cbranch_execz .LBB158_185
.LBB158_187:                            ;   in Loop: Header=BB158_52 Depth=1
	v_or_b32_e32 v3, 0x10000, v2
	v_cmp_eq_u32_sdwa s[2:3], v2, v22 src0_sel:WORD_0 src1_sel:DWORD
	v_cndmask_b32_e64 v56, v3, v2, s[2:3]
	s_or_b64 exec, exec, s[14:15]
	s_and_saveexec_b64 s[14:15], vcc
	s_cbranch_execz .LBB158_50
.LBB158_188:                            ;   in Loop: Header=BB158_52 Depth=1
	v_add_co_u32_e64 v2, s[2:3], v33, v25
	v_addc_co_u32_e64 v3, s[2:3], 0, v34, s[2:3]
	global_load_dwordx4 v[2:5], v[2:3], off
	s_waitcnt vmcnt(0)
	v_lshrrev_b32_e32 v58, 16, v2
	v_lshrrev_b32_e32 v57, 16, v3
	;; [unrolled: 1-line block ×4, first 2 shown]
	s_and_saveexec_b64 s[2:3], s[0:1]
	s_cbranch_execz .LBB158_190
; %bb.189:                              ;   in Loop: Header=BB158_52 Depth=1
	v_cmp_gt_i32_e64 s[0:1], s29, v31
	v_add_u32_e32 v59, 1, v31
	v_cndmask_b32_e64 v2, 0, v2, s[0:1]
	v_cmp_gt_i32_e64 s[0:1], s29, v59
	v_add_u32_e32 v59, 2, v31
	v_cndmask_b32_e64 v58, 0, v58, s[0:1]
	;; [unrolled: 3-line block ×7, first 2 shown]
	v_cmp_gt_i32_e64 s[0:1], s29, v31
	v_cndmask_b32_e64 v33, 0, v33, s[0:1]
.LBB158_190:                            ;   in Loop: Header=BB158_52 Depth=1
	s_or_b64 exec, exec, s[2:3]
	v_lshlrev_b32_e32 v2, 16, v2
	v_mul_f32_e32 v31, v35, v2
	v_and_b32_e32 v2, 0x7f800000, v31
	v_cmp_ne_u32_e64 s[0:1], s22, v2
                                        ; implicit-def: $vgpr2
	s_and_saveexec_b64 s[2:3], s[0:1]
	s_xor_b64 s[0:1], exec, s[2:3]
; %bb.191:                              ;   in Loop: Header=BB158_52 Depth=1
	v_bfe_u32 v2, v31, 16, 1
	v_add3_u32 v2, v31, v2, s23
                                        ; implicit-def: $vgpr31
; %bb.192:                              ;   in Loop: Header=BB158_52 Depth=1
	s_andn2_saveexec_b64 s[2:3], s[0:1]
; %bb.193:                              ;   in Loop: Header=BB158_52 Depth=1
	v_or_b32_e32 v2, 0x10000, v31
	v_cmp_eq_u32_sdwa s[0:1], v31, v22 src0_sel:WORD_0 src1_sel:DWORD
	v_cndmask_b32_e64 v2, v2, v31, s[0:1]
; %bb.194:                              ;   in Loop: Header=BB158_52 Depth=1
	s_or_b64 exec, exec, s[2:3]
	v_lshlrev_b32_e32 v31, 16, v58
	v_mul_f32_e32 v35, v36, v31
	v_and_b32_e32 v31, 0x7f800000, v35
	v_cmp_ne_u32_e64 s[0:1], s22, v31
                                        ; implicit-def: $vgpr31
	s_and_saveexec_b64 s[2:3], s[0:1]
	s_xor_b64 s[0:1], exec, s[2:3]
; %bb.195:                              ;   in Loop: Header=BB158_52 Depth=1
	v_bfe_u32 v31, v35, 16, 1
	v_add3_u32 v31, v35, v31, s23
                                        ; implicit-def: $vgpr35
; %bb.196:                              ;   in Loop: Header=BB158_52 Depth=1
	s_andn2_saveexec_b64 s[2:3], s[0:1]
; %bb.197:                              ;   in Loop: Header=BB158_52 Depth=1
	v_or_b32_e32 v31, 0x10000, v35
	v_cmp_eq_u32_sdwa s[0:1], v35, v22 src0_sel:WORD_0 src1_sel:DWORD
	v_cndmask_b32_e64 v31, v31, v35, s[0:1]
; %bb.198:                              ;   in Loop: Header=BB158_52 Depth=1
	s_or_b64 exec, exec, s[2:3]
	v_lshlrev_b32_e32 v3, 16, v3
	v_mul_f32_e32 v35, v37, v3
	v_and_b32_e32 v3, 0x7f800000, v35
	v_cmp_ne_u32_e64 s[0:1], s22, v3
                                        ; implicit-def: $vgpr3
	s_and_saveexec_b64 s[2:3], s[0:1]
	s_xor_b64 s[0:1], exec, s[2:3]
; %bb.199:                              ;   in Loop: Header=BB158_52 Depth=1
	v_bfe_u32 v3, v35, 16, 1
	v_add3_u32 v3, v35, v3, s23
                                        ; implicit-def: $vgpr35
; %bb.200:                              ;   in Loop: Header=BB158_52 Depth=1
	s_andn2_saveexec_b64 s[2:3], s[0:1]
; %bb.201:                              ;   in Loop: Header=BB158_52 Depth=1
	v_or_b32_e32 v3, 0x10000, v35
	v_cmp_eq_u32_sdwa s[0:1], v35, v22 src0_sel:WORD_0 src1_sel:DWORD
	v_cndmask_b32_e64 v3, v3, v35, s[0:1]
; %bb.202:                              ;   in Loop: Header=BB158_52 Depth=1
	s_or_b64 exec, exec, s[2:3]
	v_lshlrev_b32_e32 v35, 16, v57
	v_mul_f32_e32 v36, v38, v35
	v_and_b32_e32 v35, 0x7f800000, v36
	v_cmp_ne_u32_e64 s[0:1], s22, v35
                                        ; implicit-def: $vgpr35
	s_and_saveexec_b64 s[2:3], s[0:1]
	s_xor_b64 s[0:1], exec, s[2:3]
; %bb.203:                              ;   in Loop: Header=BB158_52 Depth=1
	v_bfe_u32 v35, v36, 16, 1
	v_add3_u32 v35, v36, v35, s23
                                        ; implicit-def: $vgpr36
; %bb.204:                              ;   in Loop: Header=BB158_52 Depth=1
	s_andn2_saveexec_b64 s[2:3], s[0:1]
; %bb.205:                              ;   in Loop: Header=BB158_52 Depth=1
	v_or_b32_e32 v35, 0x10000, v36
	v_cmp_eq_u32_sdwa s[0:1], v36, v22 src0_sel:WORD_0 src1_sel:DWORD
	v_cndmask_b32_e64 v35, v35, v36, s[0:1]
; %bb.206:                              ;   in Loop: Header=BB158_52 Depth=1
	s_or_b64 exec, exec, s[2:3]
	v_lshlrev_b32_e32 v4, 16, v4
	v_mul_f32_e32 v36, v39, v4
	v_and_b32_e32 v4, 0x7f800000, v36
	v_cmp_ne_u32_e64 s[0:1], s22, v4
                                        ; implicit-def: $vgpr4
	s_and_saveexec_b64 s[2:3], s[0:1]
	s_xor_b64 s[0:1], exec, s[2:3]
; %bb.207:                              ;   in Loop: Header=BB158_52 Depth=1
	v_bfe_u32 v4, v36, 16, 1
	v_add3_u32 v4, v36, v4, s23
                                        ; implicit-def: $vgpr36
; %bb.208:                              ;   in Loop: Header=BB158_52 Depth=1
	s_andn2_saveexec_b64 s[2:3], s[0:1]
; %bb.209:                              ;   in Loop: Header=BB158_52 Depth=1
	v_or_b32_e32 v4, 0x10000, v36
	v_cmp_eq_u32_sdwa s[0:1], v36, v22 src0_sel:WORD_0 src1_sel:DWORD
	v_cndmask_b32_e64 v4, v4, v36, s[0:1]
; %bb.210:                              ;   in Loop: Header=BB158_52 Depth=1
	s_or_b64 exec, exec, s[2:3]
	v_lshlrev_b32_e32 v34, 16, v34
	v_mul_f32_e32 v36, v40, v34
	v_and_b32_e32 v34, 0x7f800000, v36
	v_cmp_ne_u32_e64 s[0:1], s22, v34
                                        ; implicit-def: $vgpr34
	s_and_saveexec_b64 s[2:3], s[0:1]
	s_xor_b64 s[0:1], exec, s[2:3]
; %bb.211:                              ;   in Loop: Header=BB158_52 Depth=1
	v_bfe_u32 v34, v36, 16, 1
	v_add3_u32 v34, v36, v34, s23
                                        ; implicit-def: $vgpr36
; %bb.212:                              ;   in Loop: Header=BB158_52 Depth=1
	s_andn2_saveexec_b64 s[2:3], s[0:1]
; %bb.213:                              ;   in Loop: Header=BB158_52 Depth=1
	v_or_b32_e32 v34, 0x10000, v36
	v_cmp_eq_u32_sdwa s[0:1], v36, v22 src0_sel:WORD_0 src1_sel:DWORD
	v_cndmask_b32_e64 v34, v34, v36, s[0:1]
; %bb.214:                              ;   in Loop: Header=BB158_52 Depth=1
	s_or_b64 exec, exec, s[2:3]
	v_lshlrev_b32_e32 v5, 16, v5
	v_mul_f32_e32 v36, v41, v5
	v_and_b32_e32 v5, 0x7f800000, v36
	v_cmp_ne_u32_e64 s[0:1], s22, v5
                                        ; implicit-def: $vgpr5
	s_and_saveexec_b64 s[2:3], s[0:1]
	s_xor_b64 s[0:1], exec, s[2:3]
; %bb.215:                              ;   in Loop: Header=BB158_52 Depth=1
	v_bfe_u32 v5, v36, 16, 1
	v_add3_u32 v5, v36, v5, s23
                                        ; implicit-def: $vgpr36
; %bb.216:                              ;   in Loop: Header=BB158_52 Depth=1
	s_andn2_saveexec_b64 s[2:3], s[0:1]
; %bb.217:                              ;   in Loop: Header=BB158_52 Depth=1
	v_or_b32_e32 v5, 0x10000, v36
	v_cmp_eq_u32_sdwa s[0:1], v36, v22 src0_sel:WORD_0 src1_sel:DWORD
	v_cndmask_b32_e64 v5, v5, v36, s[0:1]
; %bb.218:                              ;   in Loop: Header=BB158_52 Depth=1
	s_or_b64 exec, exec, s[2:3]
	v_lshlrev_b32_e32 v33, 16, v33
	v_mul_f32_e32 v33, v42, v33
	v_and_b32_e32 v36, 0x7f800000, v33
	v_cmp_ne_u32_e64 s[0:1], s22, v36
                                        ; implicit-def: $vgpr36
	s_and_saveexec_b64 s[2:3], s[0:1]
	s_xor_b64 s[0:1], exec, s[2:3]
; %bb.219:                              ;   in Loop: Header=BB158_52 Depth=1
	v_bfe_u32 v36, v33, 16, 1
	v_add3_u32 v36, v33, v36, s23
                                        ; implicit-def: $vgpr33
; %bb.220:                              ;   in Loop: Header=BB158_52 Depth=1
	s_andn2_saveexec_b64 s[2:3], s[0:1]
	s_cbranch_execz .LBB158_49
; %bb.221:                              ;   in Loop: Header=BB158_52 Depth=1
	v_or_b32_e32 v36, 0x10000, v33
	v_cmp_eq_u32_sdwa s[0:1], v33, v22 src0_sel:WORD_0 src1_sel:DWORD
	v_cndmask_b32_e64 v36, v36, v33, s[0:1]
	s_branch .LBB158_49
.LBB158_222:
	s_or_b64 exec, exec, s[10:11]
.LBB158_223:
	s_or_b64 exec, exec, s[6:7]
	ds_bpermute_b32 v2, v18, v14
	ds_bpermute_b32 v3, v18, v15
	;; [unrolled: 1-line block ×4, first 2 shown]
	v_and_b32_e32 v1, 0x3c0, v0
	v_cmp_eq_u32_e32 vcc, 64, v1
	s_waitcnt lgkmcnt(2)
	v_pk_add_f32 v[4:5], v[14:15], v[2:3]
	s_waitcnt lgkmcnt(0)
	v_pk_add_f32 v[2:3], v[12:13], v[6:7]
	s_barrier
	s_and_saveexec_b64 s[2:3], vcc
	s_cbranch_execz .LBB158_228
; %bb.224:
	v_cmp_eq_u32_e32 vcc, 0, v19
	s_and_saveexec_b64 s[0:1], vcc
	s_cbranch_execz .LBB158_226
; %bb.225:
	v_mov_b32_e32 v1, 0x100
	v_lshl_add_u32 v1, v20, 2, v1
	ds_write2_b32 v1, v4, v5 offset1:32
	ds_write_b32 v1, v2 offset:256
.LBB158_226:
	s_or_b64 exec, exec, s[0:1]
	v_or_b32_e32 v1, 0x60, v20
	s_movk_i32 s0, 0x78
	v_cmp_gt_u32_e64 s[0:1], s0, v1
	s_and_b64 s[0:1], vcc, s[0:1]
	s_and_b64 exec, exec, s[0:1]
	s_cbranch_execz .LBB158_228
; %bb.227:
	v_mov_b32_e32 v1, 0x100
	v_lshl_add_u32 v1, v20, 2, v1
	ds_write_b32 v1, v3 offset:384
.LBB158_228:
	s_or_b64 exec, exec, s[2:3]
	v_cmp_gt_u32_e32 vcc, 64, v0
	v_lshrrev_b32_e32 v6, 1, v0
	s_waitcnt lgkmcnt(0)
	s_barrier
	s_and_saveexec_b64 s[6:7], vcc
	s_cbranch_execz .LBB158_236
; %bb.229:
	v_cmp_eq_u32_e64 s[0:1], 0, v19
	s_and_saveexec_b64 s[2:3], s[0:1]
	s_cbranch_execnz .LBB158_258
; %bb.230:
	s_or_b64 exec, exec, s[2:3]
	s_and_saveexec_b64 s[2:3], s[0:1]
	s_cbranch_execnz .LBB158_259
.LBB158_231:
	s_or_b64 exec, exec, s[2:3]
	s_and_saveexec_b64 s[2:3], s[0:1]
	s_cbranch_execz .LBB158_233
.LBB158_232:
	v_mov_b32_e32 v0, 0x100
	v_lshl_add_u32 v0, v6, 2, v0
	ds_read_b32 v0, v0 offset:256
	s_waitcnt lgkmcnt(0)
	v_add_f32_e32 v2, v2, v0
.LBB158_233:
	s_or_b64 exec, exec, s[2:3]
	v_or_b32_e32 v0, 0x60, v6
	s_movk_i32 s2, 0x78
	v_cmp_gt_u32_e64 s[2:3], s2, v0
	s_and_b64 s[2:3], s[0:1], s[2:3]
	s_and_saveexec_b64 s[0:1], s[2:3]
	s_cbranch_execz .LBB158_235
; %bb.234:
	v_mov_b32_e32 v0, 0x100
	v_lshl_add_u32 v0, v6, 2, v0
	ds_read_b32 v0, v0 offset:384
	s_waitcnt lgkmcnt(0)
	v_add_f32_e32 v3, v3, v0
.LBB158_235:
	s_or_b64 exec, exec, s[0:1]
.LBB158_236:
	s_or_b64 exec, exec, s[6:7]
	s_barrier
	s_and_saveexec_b64 s[0:1], vcc
	s_cbranch_execz .LBB158_257
; %bb.237:
	s_mul_i32 s0, s4, 0x78
	s_ashr_i32 s1, s0, 31
	s_lshl_b64 s[0:1], s[0:1], 1
	s_add_u32 s2, s26, s0
	s_mul_i32 s0, s16, s24
	s_addc_u32 s3, s27, s1
	s_ashr_i32 s1, s0, 31
	s_lshl_b64 s[0:1], s[0:1], 1
	s_add_u32 s2, s2, s0
	s_mul_i32 s0, s8, 0x78
	s_addc_u32 s3, s3, s1
	s_ashr_i32 s1, s0, 31
	s_lshl_b64 s[0:1], s[0:1], 1
	s_add_u32 s2, s2, s0
	s_addc_u32 s3, s3, s1
	v_cmp_eq_u32_e32 vcc, 0, v19
	s_and_saveexec_b64 s[4:5], vcc
	s_cbranch_execz .LBB158_251
; %bb.238:
	s_mov_b32 s0, 0x7f800000
	v_and_b32_e32 v0, 0x7f800000, v4
	v_cmp_ne_u32_e64 s[0:1], s0, v0
                                        ; implicit-def: $vgpr7
	s_and_saveexec_b64 s[6:7], s[0:1]
	s_xor_b64 s[0:1], exec, s[6:7]
; %bb.239:
	v_bfe_u32 v0, v4, 16, 1
	s_movk_i32 s6, 0x7fff
	v_add3_u32 v7, v4, v0, s6
; %bb.240:
	s_andn2_saveexec_b64 s[6:7], s[0:1]
; %bb.241:
	v_mov_b32_e32 v0, 0
	v_or_b32_e32 v1, 0x10000, v4
	v_cmp_eq_u32_sdwa s[0:1], v4, v0 src0_sel:WORD_0 src1_sel:DWORD
	v_cndmask_b32_e64 v7, v1, v4, s[0:1]
; %bb.242:
	s_or_b64 exec, exec, s[6:7]
	v_lshlrev_b32_e32 v4, 1, v6
	v_mov_b32_e32 v1, s3
	v_add_co_u32_e64 v0, s[0:1], s2, v4
	v_addc_co_u32_e64 v1, s[0:1], 0, v1, s[0:1]
	global_store_short_d16_hi v4, v7, s[2:3]
	s_mov_b32 s0, 0x7f800000
	v_and_b32_e32 v4, 0x7f800000, v5
	v_cmp_ne_u32_e64 s[0:1], s0, v4
                                        ; implicit-def: $vgpr4
	s_and_saveexec_b64 s[6:7], s[0:1]
	s_xor_b64 s[0:1], exec, s[6:7]
; %bb.243:
	v_bfe_u32 v4, v5, 16, 1
	s_movk_i32 s6, 0x7fff
	v_add3_u32 v4, v5, v4, s6
; %bb.244:
	s_andn2_saveexec_b64 s[6:7], s[0:1]
; %bb.245:
	v_mov_b32_e32 v4, 0
	v_or_b32_e32 v7, 0x10000, v5
	v_cmp_eq_u32_sdwa s[0:1], v5, v4 src0_sel:WORD_0 src1_sel:DWORD
	v_cndmask_b32_e64 v4, v7, v5, s[0:1]
; %bb.246:
	s_or_b64 exec, exec, s[6:7]
	global_store_short_d16_hi v[0:1], v4, off offset:64
	s_mov_b32 s0, 0x7f800000
	v_and_b32_e32 v4, 0x7f800000, v2
	v_cmp_ne_u32_e64 s[0:1], s0, v4
                                        ; implicit-def: $vgpr4
	s_and_saveexec_b64 s[6:7], s[0:1]
	s_xor_b64 s[0:1], exec, s[6:7]
; %bb.247:
	v_bfe_u32 v4, v2, 16, 1
	s_movk_i32 s6, 0x7fff
	v_add3_u32 v4, v2, v4, s6
; %bb.248:
	s_andn2_saveexec_b64 s[6:7], s[0:1]
; %bb.249:
	v_mov_b32_e32 v4, 0
	v_or_b32_e32 v5, 0x10000, v2
	v_cmp_eq_u32_sdwa s[0:1], v2, v4 src0_sel:WORD_0 src1_sel:DWORD
	v_cndmask_b32_e64 v4, v5, v2, s[0:1]
; %bb.250:
	s_or_b64 exec, exec, s[6:7]
	global_store_short_d16_hi v[0:1], v4, off offset:128
.LBB158_251:
	s_or_b64 exec, exec, s[4:5]
	v_or_b32_e32 v0, 0x60, v6
	s_movk_i32 s0, 0x78
	v_cmp_gt_u32_e64 s[0:1], s0, v0
	s_and_b64 s[0:1], vcc, s[0:1]
	s_and_b64 exec, exec, s[0:1]
	s_cbranch_execz .LBB158_257
; %bb.252:
	s_mov_b32 s0, 0x7f800000
	v_and_b32_e32 v0, 0x7f800000, v3
	v_cmp_ne_u32_e32 vcc, s0, v0
                                        ; implicit-def: $vgpr4
	s_and_saveexec_b64 s[0:1], vcc
	s_xor_b64 s[0:1], exec, s[0:1]
; %bb.253:
	v_bfe_u32 v0, v3, 16, 1
	s_movk_i32 s4, 0x7fff
	v_add3_u32 v4, v3, v0, s4
                                        ; implicit-def: $vgpr0_vgpr1_vgpr2_vgpr3
; %bb.254:
	s_andn2_saveexec_b64 s[0:1], s[0:1]
; %bb.255:
	v_mov_b32_e32 v0, 0
	v_or_b32_e32 v1, 0x10000, v3
	v_cmp_eq_u32_sdwa vcc, v3, v0 src0_sel:WORD_0 src1_sel:DWORD
	v_cndmask_b32_e32 v4, v1, v3, vcc
; %bb.256:
	s_or_b64 exec, exec, s[0:1]
	v_lshlrev_b32_e32 v0, 1, v6
	global_store_short_d16_hi v0, v4, s[2:3] offset:192
.LBB158_257:
	s_endpgm
.LBB158_258:
	v_mov_b32_e32 v0, 0x100
	v_lshl_add_u32 v0, v6, 2, v0
	ds_read_b32 v0, v0
	s_waitcnt lgkmcnt(0)
	v_add_f32_e32 v4, v4, v0
	s_or_b64 exec, exec, s[2:3]
	s_and_saveexec_b64 s[2:3], s[0:1]
	s_cbranch_execz .LBB158_231
.LBB158_259:
	v_mov_b32_e32 v0, 0x100
	v_lshl_add_u32 v0, v6, 2, v0
	ds_read_b32 v0, v0 offset:128
	s_waitcnt lgkmcnt(0)
	v_add_f32_e32 v5, v5, v0
	s_or_b64 exec, exec, s[2:3]
	s_and_saveexec_b64 s[2:3], s[0:1]
	s_cbranch_execnz .LBB158_232
	s_branch .LBB158_233
	.section	.rodata,"a",@progbits
	.p2align	6, 0x0
	.amdhsa_kernel _ZN4vllm25paged_attention_v2_kernelI14__hip_bfloat16S1_Li120ELi16ELi128ELNS_18Fp8KVCacheDataTypeE0ELb1ELi512EEEvPfS3_PT_PKS4_PKT0_SA_ifPKiSC_iPKfiiiSE_SE_iiiii
		.amdhsa_group_segment_fixed_size 256
		.amdhsa_private_segment_fixed_size 0
		.amdhsa_kernarg_size 400
		.amdhsa_user_sgpr_count 6
		.amdhsa_user_sgpr_private_segment_buffer 1
		.amdhsa_user_sgpr_dispatch_ptr 0
		.amdhsa_user_sgpr_queue_ptr 0
		.amdhsa_user_sgpr_kernarg_segment_ptr 1
		.amdhsa_user_sgpr_dispatch_id 0
		.amdhsa_user_sgpr_flat_scratch_init 0
		.amdhsa_user_sgpr_kernarg_preload_length 0
		.amdhsa_user_sgpr_kernarg_preload_offset 0
		.amdhsa_user_sgpr_private_segment_size 0
		.amdhsa_uses_dynamic_stack 0
		.amdhsa_system_sgpr_private_segment_wavefront_offset 0
		.amdhsa_system_sgpr_workgroup_id_x 1
		.amdhsa_system_sgpr_workgroup_id_y 1
		.amdhsa_system_sgpr_workgroup_id_z 1
		.amdhsa_system_sgpr_workgroup_info 0
		.amdhsa_system_vgpr_workitem_id 0
		.amdhsa_next_free_vgpr 84
		.amdhsa_next_free_sgpr 52
		.amdhsa_accum_offset 84
		.amdhsa_reserve_vcc 1
		.amdhsa_reserve_flat_scratch 0
		.amdhsa_float_round_mode_32 0
		.amdhsa_float_round_mode_16_64 0
		.amdhsa_float_denorm_mode_32 3
		.amdhsa_float_denorm_mode_16_64 3
		.amdhsa_dx10_clamp 1
		.amdhsa_ieee_mode 1
		.amdhsa_fp16_overflow 0
		.amdhsa_tg_split 0
		.amdhsa_exception_fp_ieee_invalid_op 0
		.amdhsa_exception_fp_denorm_src 0
		.amdhsa_exception_fp_ieee_div_zero 0
		.amdhsa_exception_fp_ieee_overflow 0
		.amdhsa_exception_fp_ieee_underflow 0
		.amdhsa_exception_fp_ieee_inexact 0
		.amdhsa_exception_int_div_zero 0
	.end_amdhsa_kernel
	.section	.text._ZN4vllm25paged_attention_v2_kernelI14__hip_bfloat16S1_Li120ELi16ELi128ELNS_18Fp8KVCacheDataTypeE0ELb1ELi512EEEvPfS3_PT_PKS4_PKT0_SA_ifPKiSC_iPKfiiiSE_SE_iiiii,"axG",@progbits,_ZN4vllm25paged_attention_v2_kernelI14__hip_bfloat16S1_Li120ELi16ELi128ELNS_18Fp8KVCacheDataTypeE0ELb1ELi512EEEvPfS3_PT_PKS4_PKT0_SA_ifPKiSC_iPKfiiiSE_SE_iiiii,comdat
.Lfunc_end158:
	.size	_ZN4vllm25paged_attention_v2_kernelI14__hip_bfloat16S1_Li120ELi16ELi128ELNS_18Fp8KVCacheDataTypeE0ELb1ELi512EEEvPfS3_PT_PKS4_PKT0_SA_ifPKiSC_iPKfiiiSE_SE_iiiii, .Lfunc_end158-_ZN4vllm25paged_attention_v2_kernelI14__hip_bfloat16S1_Li120ELi16ELi128ELNS_18Fp8KVCacheDataTypeE0ELb1ELi512EEEvPfS3_PT_PKS4_PKT0_SA_ifPKiSC_iPKfiiiSE_SE_iiiii
                                        ; -- End function
	.section	.AMDGPU.csdata,"",@progbits
; Kernel info:
; codeLenInByte = 9892
; NumSgprs: 56
; NumVgprs: 84
; NumAgprs: 0
; TotalNumVgprs: 84
; ScratchSize: 0
; MemoryBound: 0
; FloatMode: 240
; IeeeMode: 1
; LDSByteSize: 256 bytes/workgroup (compile time only)
; SGPRBlocks: 6
; VGPRBlocks: 10
; NumSGPRsForWavesPerEU: 56
; NumVGPRsForWavesPerEU: 84
; AccumOffset: 84
; Occupancy: 5
; WaveLimiterHint : 1
; COMPUTE_PGM_RSRC2:SCRATCH_EN: 0
; COMPUTE_PGM_RSRC2:USER_SGPR: 6
; COMPUTE_PGM_RSRC2:TRAP_HANDLER: 0
; COMPUTE_PGM_RSRC2:TGID_X_EN: 1
; COMPUTE_PGM_RSRC2:TGID_Y_EN: 1
; COMPUTE_PGM_RSRC2:TGID_Z_EN: 1
; COMPUTE_PGM_RSRC2:TIDIG_COMP_CNT: 0
; COMPUTE_PGM_RSRC3_GFX90A:ACCUM_OFFSET: 20
; COMPUTE_PGM_RSRC3_GFX90A:TG_SPLIT: 0
	.section	.text._ZN4vllm25paged_attention_v2_kernelI14__hip_bfloat16S1_Li128ELi16ELi128ELNS_18Fp8KVCacheDataTypeE0ELb1ELi512EEEvPfS3_PT_PKS4_PKT0_SA_ifPKiSC_iPKfiiiSE_SE_iiiii,"axG",@progbits,_ZN4vllm25paged_attention_v2_kernelI14__hip_bfloat16S1_Li128ELi16ELi128ELNS_18Fp8KVCacheDataTypeE0ELb1ELi512EEEvPfS3_PT_PKS4_PKT0_SA_ifPKiSC_iPKfiiiSE_SE_iiiii,comdat
	.protected	_ZN4vllm25paged_attention_v2_kernelI14__hip_bfloat16S1_Li128ELi16ELi128ELNS_18Fp8KVCacheDataTypeE0ELb1ELi512EEEvPfS3_PT_PKS4_PKT0_SA_ifPKiSC_iPKfiiiSE_SE_iiiii ; -- Begin function _ZN4vllm25paged_attention_v2_kernelI14__hip_bfloat16S1_Li128ELi16ELi128ELNS_18Fp8KVCacheDataTypeE0ELb1ELi512EEEvPfS3_PT_PKS4_PKT0_SA_ifPKiSC_iPKfiiiSE_SE_iiiii
	.globl	_ZN4vllm25paged_attention_v2_kernelI14__hip_bfloat16S1_Li128ELi16ELi128ELNS_18Fp8KVCacheDataTypeE0ELb1ELi512EEEvPfS3_PT_PKS4_PKT0_SA_ifPKiSC_iPKfiiiSE_SE_iiiii
	.p2align	8
	.type	_ZN4vllm25paged_attention_v2_kernelI14__hip_bfloat16S1_Li128ELi16ELi128ELNS_18Fp8KVCacheDataTypeE0ELb1ELi512EEEvPfS3_PT_PKS4_PKT0_SA_ifPKiSC_iPKfiiiSE_SE_iiiii,@function
_ZN4vllm25paged_attention_v2_kernelI14__hip_bfloat16S1_Li128ELi16ELi128ELNS_18Fp8KVCacheDataTypeE0ELb1ELi512EEEvPfS3_PT_PKS4_PKT0_SA_ifPKiSC_iPKfiiiSE_SE_iiiii: ; @_ZN4vllm25paged_attention_v2_kernelI14__hip_bfloat16S1_Li128ELi16ELi128ELNS_18Fp8KVCacheDataTypeE0ELb1ELi512EEEvPfS3_PT_PKS4_PKT0_SA_ifPKiSC_iPKfiiiSE_SE_iiiii
; %bb.0:
	s_load_dwordx2 s[0:1], s[4:5], 0x40
	s_mov_b32 s14, s7
	s_ashr_i32 s15, s7, 31
	s_lshl_b64 s[2:3], s[14:15], 2
	s_waitcnt lgkmcnt(0)
	s_add_u32 s0, s0, s2
	s_addc_u32 s1, s1, s3
	s_load_dword s33, s[0:1], 0x0
	s_lshl_b32 s9, s8, 9
	s_waitcnt lgkmcnt(0)
	s_cmp_ge_i32 s9, s33
	s_cbranch_scc1 .LBB159_249
; %bb.1:
	s_load_dword s15, s[4:5], 0x90
	s_load_dwordx2 s[40:41], s[4:5], 0x30
	s_mov_b32 s51, 0
	s_waitcnt lgkmcnt(0)
	s_abs_i32 s2, s15
	s_abs_i32 s0, s40
	v_cvt_f32_u32_e32 v1, s0
	s_sub_i32 s3, 0, s0
	s_xor_b32 s1, s15, s40
	s_ashr_i32 s1, s1, 31
	v_rcp_iflag_f32_e32 v1, v1
	v_mul_f32_e32 v1, 0x4f7ffffe, v1
	v_cvt_u32_f32_e32 v1, v1
	v_readfirstlane_b32 s7, v1
	s_mul_i32 s3, s3, s7
	s_mul_hi_u32 s3, s7, s3
	s_add_i32 s7, s7, s3
	s_mul_hi_u32 s3, s2, s7
	s_mul_i32 s7, s3, s0
	s_sub_i32 s2, s2, s7
	s_add_i32 s10, s3, 1
	s_sub_i32 s7, s2, s0
	s_cmp_ge_u32 s2, s0
	s_cselect_b32 s3, s10, s3
	s_cselect_b32 s2, s7, s2
	s_add_i32 s7, s3, 1
	s_cmp_ge_u32 s2, s0
	s_cselect_b32 s0, s7, s3
	s_xor_b32 s0, s0, s1
	s_sub_i32 s2, s0, s1
	s_abs_i32 s10, s2
	v_cvt_f32_u32_e32 v1, s10
	s_load_dwordx2 s[0:1], s[4:5], 0x50
	s_sub_i32 s3, 0, s10
	s_abs_i32 s11, s6
	v_rcp_iflag_f32_e32 v1, v1
	v_mul_f32_e32 v1, 0x4f7ffffe, v1
	v_cvt_u32_f32_e32 v1, v1
	v_readfirstlane_b32 s7, v1
	s_mul_i32 s3, s3, s7
	s_mul_hi_u32 s3, s7, s3
	s_add_i32 s7, s7, s3
	s_waitcnt lgkmcnt(0)
	s_cmp_eq_u64 s[0:1], 0
	s_mul_hi_u32 s12, s11, s7
	s_cbranch_scc1 .LBB159_3
; %bb.2:
	s_ashr_i32 s7, s6, 31
	s_lshl_b64 s[16:17], s[6:7], 2
	s_add_u32 s0, s0, s16
	s_addc_u32 s1, s1, s17
	s_load_dword s51, s[0:1], 0x0
.LBB159_3:
	s_load_dwordx4 s[16:19], s[4:5], 0x58
	s_ashr_i32 s7, s6, 31
	s_ashr_i32 s13, s2, 31
	v_and_b32_e32 v2, 3, v0
	s_lshl_b32 s28, s6, 7
	v_cmp_gt_u32_e64 s[0:1], 64, v0
	s_and_saveexec_b64 s[2:3], s[0:1]
	s_cbranch_execz .LBB159_5
; %bb.4:
	s_load_dwordx2 s[20:21], s[4:5], 0x18
	s_waitcnt lgkmcnt(0)
	s_mul_i32 s22, s14, s16
	s_ashr_i32 s23, s22, 31
	s_lshl_b64 s[22:23], s[22:23], 1
	v_lshlrev_b32_e32 v1, 2, v0
	s_add_u32 s16, s20, s22
	s_addc_u32 s19, s21, s23
	s_ashr_i32 s29, s28, 31
	s_lshl_b64 s[20:21], s[28:29], 1
	s_add_u32 s20, s16, s20
	s_addc_u32 s21, s19, s21
	global_load_dword v1, v1, s[20:21]
	v_and_b32_e32 v3, 0x3fc, v0
	v_lshl_add_u32 v3, v2, 6, v3
	s_waitcnt vmcnt(0)
	ds_write_b32 v3, v1
.LBB159_5:
	s_or_b64 exec, exec, s[2:3]
	s_mul_i32 s3, s12, s10
	s_sub_i32 s3, s11, s3
	s_xor_b32 s2, s7, s13
	s_add_i32 s7, s12, 1
	s_sub_i32 s11, s3, s10
	s_load_dwordx4 s[20:23], s[4:5], 0x78
	s_cmp_ge_u32 s3, s10
	s_cselect_b32 s7, s7, s12
	s_load_dword s12, s[4:5], 0x88
	s_cselect_b32 s3, s11, s3
	s_add_i32 s11, s7, 1
	s_cmp_ge_u32 s3, s10
	s_cselect_b32 s3, s11, s7
	s_waitcnt lgkmcnt(0)
	s_abs_i32 s29, s23
	v_cvt_f32_u32_e32 v1, s29
	s_xor_b32 s3, s3, s2
	s_sub_i32 s10, s3, s2
	s_sub_i32 s2, 0, s29
	v_rcp_iflag_f32_e32 v1, v1
	s_add_i32 s13, s33, -1
	s_abs_i32 s7, s13
	v_mul_f32_e32 v1, 0x4f7ffffe, v1
	v_cvt_u32_f32_e32 v1, v1
	s_barrier
	v_readfirstlane_b32 s48, v1
	s_mul_i32 s2, s2, s48
	s_mul_hi_u32 s2, s48, s2
	s_add_i32 s48, s48, s2
	s_cmp_lt_i32 s12, 0
	s_mul_hi_u32 s11, s7, s48
	s_cbranch_scc0 .LBB159_7
; %bb.6:
	s_mul_i32 s2, s20, s40
	s_add_i32 s2, s10, s2
	s_mul_i32 s2, s2, s12
	s_sub_i32 s49, 1, s2
	s_mov_b64 s[2:3], 0
	s_branch .LBB159_8
.LBB159_7:
	s_mov_b64 s[2:3], -1
                                        ; implicit-def: $sgpr49
.LBB159_8:
	s_load_dwordx2 s[34:35], s[4:5], 0x38
	s_ashr_i32 s13, s13, 31
	s_andn2_b64 vcc, exec, s[2:3]
	s_ashr_i32 s23, s23, 31
	s_cbranch_vccnz .LBB159_10
; %bb.9:
	s_mul_i32 s2, s15, s20
	s_add_i32 s2, s2, s6
	s_mul_i32 s2, s2, s12
	s_add_i32 s49, s2, 1
.LBB159_10:
	s_load_dword s2, s[4:5], 0x48
	s_load_dwordx2 s[38:39], s[4:5], 0x28
	s_load_dword s16, s[4:5], 0x98
	s_load_dwordx4 s[24:27], s[4:5], 0x0
	s_load_dwordx2 s[30:31], s[4:5], 0x10
	s_mul_i32 s3, s11, s29
	s_waitcnt lgkmcnt(0)
	s_mul_i32 s36, s14, s2
	s_sub_i32 s3, s7, s3
	s_ashr_i32 s37, s36, 31
	s_xor_b32 s2, s13, s23
	s_add_i32 s7, s11, 1
	s_sub_i32 s12, s3, s29
	s_cmp_ge_u32 s3, s29
	s_cselect_b32 s7, s7, s11
	s_cselect_b32 s3, s12, s3
	s_add_i32 s11, s7, 1
	s_cmp_ge_u32 s3, s29
	s_cselect_b32 s3, s11, s7
	s_xor_b32 s3, s3, s2
	s_sub_i32 s50, s3, s2
	s_add_i32 s2, s33, 15
	s_ashr_i32 s3, s2, 31
	s_lshr_b32 s3, s3, 28
	s_add_i32 s2, s2, s3
	s_lshl_b32 s40, s8, 5
	s_ashr_i32 s7, s2, 4
	s_add_i32 s2, s40, 32
	v_lshrrev_b32_e32 v6, 6, v0
	s_min_i32 s20, s2, s7
	v_or_b32_e32 v14, s40, v6
	v_cmp_gt_i32_e64 s[2:3], s20, v14
	v_mov_b32_e32 v10, 0xff7fffff
	s_mul_i32 s18, s10, s18
	v_ashrrev_i32_e32 v15, 31, v14
	v_lshl_add_u32 v1, v6, 4, s9
	v_mbcnt_lo_u32_b32 v4, -1, 0
	s_and_saveexec_b64 s[42:43], s[2:3]
	s_cbranch_execz .LBB159_20
; %bb.11:
	s_load_dwordx2 s[4:5], s[4:5], 0x20
	s_ashr_i32 s19, s18, 31
	s_sub_i32 s52, s50, s21
	s_lshl_b64 s[10:11], s[18:19], 1
	v_bfe_u32 v5, v0, 2, 4
	s_waitcnt lgkmcnt(0)
	s_add_u32 s4, s4, s10
	s_addc_u32 s5, s5, s11
	s_abs_i32 s19, s22
	v_cvt_f32_u32_e32 v8, s19
	v_lshlrev_b32_e32 v3, 4, v5
	v_mov_b32_e32 v7, s5
	v_add_co_u32_e64 v3, s[4:5], s4, v3
	v_rcp_iflag_f32_e32 v10, v8
	v_addc_co_u32_e64 v9, s[4:5], 0, v7, s[4:5]
	v_lshlrev_b32_e32 v7, 2, v0
	v_and_b32_e32 v7, 12, v7
	v_add_co_u32_e64 v7, s[4:5], v3, v7
	v_mul_f32_e32 v3, 0x4f7ffffe, v10
	v_cvt_u32_f32_e32 v3, v3
	s_sub_i32 s10, 0, s19
	v_cmp_eq_u32_e32 vcc, 0, v2
	v_addc_co_u32_e64 v8, s[4:5], 0, v9, s[4:5]
	v_lshlrev_b32_e32 v9, 6, v2
	v_mul_lo_u32 v2, s10, v3
	s_lshl_b64 s[10:11], s[36:37], 2
	v_mul_hi_u32 v2, v3, v2
	s_add_u32 s10, s34, s10
	v_add_u32_e32 v11, v3, v2
	v_lshlrev_b64 v[2:3], 2, v[14:15]
	s_addc_u32 s11, s35, s11
	v_mov_b32_e32 v10, s11
	v_add_co_u32_e64 v2, s[10:11], s10, v2
	v_addc_co_u32_e64 v3, s[10:11], v10, v3, s[10:11]
	v_lshlrev_b32_e32 v10, 2, v5
	v_lshl_or_b32 v10, v6, 6, v10
	v_add_u32_e32 v13, 0x110, v10
	v_subrev_u32_e32 v10, s33, v5
	v_mbcnt_hi_u32_b32 v18, -1, v4
	v_add_u32_e32 v16, 1, v10
	v_and_b32_e32 v10, 64, v18
	s_mov_b32 s53, s17
	v_cmp_neq_f32_e64 s[4:5], s51, 0
	v_lshl_add_u32 v12, v6, 4, s9
	s_mov_b64 s[44:45], 0
	v_mov_b32_e32 v17, 0xff7fffff
	v_add_u32_e32 v19, 64, v10
	v_xor_b32_e32 v20, 2, v18
	v_xor_b32_e32 v21, 1, v18
	v_mov_b32_e32 v10, 0xff7fffff
	v_mov_b32_e32 v22, v14
	s_branch .LBB159_14
.LBB159_12:                             ;   in Loop: Header=BB159_14 Depth=1
	s_or_b64 exec, exec, s[46:47]
.LBB159_13:                             ;   in Loop: Header=BB159_14 Depth=1
	s_or_b64 exec, exec, s[12:13]
	v_add_co_u32_e64 v2, s[10:11], 8, v2
	v_add_u32_e32 v22, 2, v22
	v_addc_co_u32_e64 v3, s[10:11], 0, v3, s[10:11]
	v_cmp_le_i32_e64 s[10:11], s20, v22
	v_add_u32_e32 v12, 32, v12
	s_or_b64 s[44:45], s[10:11], s[44:45]
	v_add_u32_e32 v13, 0x80, v13
	s_andn2_b64 exec, exec, s[44:45]
	s_cbranch_execz .LBB159_19
.LBB159_14:                             ; =>This Inner Loop Header: Depth=1
	s_waitcnt lgkmcnt(0)
	v_sub_u32_e32 v24, 0, v12
	v_max_i32_e32 v24, v12, v24
	v_mul_hi_u32 v25, v24, s48
	v_mul_lo_u32 v26, v25, s29
	v_sub_u32_e32 v24, v24, v26
	v_add_u32_e32 v26, 1, v25
	v_cmp_le_u32_e64 s[10:11], s29, v24
	v_cndmask_b32_e64 v25, v25, v26, s[10:11]
	v_subrev_u32_e32 v26, s29, v24
	v_cndmask_b32_e64 v24, v24, v26, s[10:11]
	v_ashrrev_i32_e32 v23, 31, v12
	v_add_u32_e32 v26, 1, v25
	v_cmp_le_u32_e64 s[10:11], s29, v24
	v_xor_b32_e32 v23, s23, v23
	v_cndmask_b32_e64 v24, v25, v26, s[10:11]
	v_xor_b32_e32 v24, v24, v23
	v_sub_u32_e32 v23, v24, v23
	v_add_u32_e32 v24, s49, v23
	v_sub_u32_e32 v26, 0, v24
	v_ashrrev_i32_e32 v25, 31, v24
	v_max_i32_e32 v24, v24, v26
	v_mul_hi_u32 v26, v24, v11
	v_mul_lo_u32 v26, v26, s19
	v_sub_u32_e32 v24, v24, v26
	v_subrev_u32_e32 v26, s19, v24
	v_cmp_le_u32_e64 s[10:11], s19, v24
	v_cndmask_b32_e64 v24, v24, v26, s[10:11]
	v_subrev_u32_e32 v26, s19, v24
	v_cmp_le_u32_e64 s[10:11], s19, v24
	v_cndmask_b32_e64 v24, v24, v26, s[10:11]
	v_xor_b32_e32 v24, v24, v25
	v_sub_u32_e32 v24, v24, v25
	v_cmp_ne_u32_e64 s[10:11], 0, v24
	v_cmp_ge_i32_e64 s[12:13], s52, v23
	s_and_b64 s[10:11], s[10:11], s[12:13]
	s_and_b64 s[46:47], vcc, s[10:11]
	s_and_saveexec_b64 s[12:13], s[46:47]
	s_cbranch_execz .LBB159_16
; %bb.15:                               ;   in Loop: Header=BB159_14 Depth=1
	ds_write_b32 v13, v17
.LBB159_16:                             ;   in Loop: Header=BB159_14 Depth=1
	s_or_b64 exec, exec, s[12:13]
	s_xor_b64 s[10:11], s[10:11], -1
	s_and_saveexec_b64 s[12:13], s[10:11]
	s_cbranch_execz .LBB159_13
; %bb.17:                               ;   in Loop: Header=BB159_14 Depth=1
	global_load_dword v23, v[2:3], off
	s_waitcnt vmcnt(0)
	v_mad_i64_i32 v[24:25], s[10:11], v23, s53, 0
	v_lshlrev_b64 v[24:25], 1, v[24:25]
	v_add_co_u32_e64 v24, s[10:11], v7, v24
	v_addc_co_u32_e64 v25, s[10:11], v8, v25, s[10:11]
	global_load_dword v23, v[24:25], off
	global_load_dword v40, v[24:25], off offset:256
	global_load_dword v41, v[24:25], off offset:512
	;; [unrolled: 1-line block ×15, first 2 shown]
	ds_read_b128 v[24:27], v9
	ds_read_b128 v[28:31], v9 offset:16
	ds_read_b128 v[32:35], v9 offset:32
	;; [unrolled: 1-line block ×3, first 2 shown]
	v_cmp_lt_i32_e64 s[10:11], v20, v19
	s_waitcnt lgkmcnt(3)
	v_lshlrev_b32_e32 v57, 16, v25
	v_and_b32_e32 v25, 0xffff0000, v25
	v_lshlrev_b32_e32 v56, 16, v24
	v_and_b32_e32 v24, 0xffff0000, v24
	v_lshlrev_b32_e32 v58, 16, v26
	v_and_b32_e32 v26, 0xffff0000, v26
	v_lshlrev_b32_e32 v59, 16, v27
	v_and_b32_e32 v27, 0xffff0000, v27
	s_waitcnt lgkmcnt(2)
	v_lshlrev_b32_e32 v60, 16, v28
	v_and_b32_e32 v28, 0xffff0000, v28
	v_lshlrev_b32_e32 v61, 16, v29
	v_and_b32_e32 v29, 0xffff0000, v29
	v_lshlrev_b32_e32 v62, 16, v30
	v_and_b32_e32 v30, 0xffff0000, v30
	v_lshlrev_b32_e32 v63, 16, v31
	v_and_b32_e32 v31, 0xffff0000, v31
	;; [unrolled: 9-line block ×4, first 2 shown]
	v_cndmask_b32_e64 v55, v18, v20, s[10:11]
	v_lshlrev_b32_e32 v55, 2, v55
	v_cmp_lt_i32_e64 s[10:11], v21, v19
	s_waitcnt vmcnt(15)
	v_lshlrev_b32_e32 v72, 16, v23
	s_waitcnt vmcnt(14)
	v_lshlrev_b32_e32 v73, 16, v40
	v_and_b32_e32 v40, 0xffff0000, v40
	v_and_b32_e32 v23, 0xffff0000, v23
	v_mul_f32_e32 v57, v57, v73
	v_mul_f32_e32 v25, v25, v40
	s_waitcnt vmcnt(13)
	v_lshlrev_b32_e32 v74, 16, v41
	v_and_b32_e32 v41, 0xffff0000, v41
	v_fmac_f32_e32 v57, v56, v72
	v_fmac_f32_e32 v25, v24, v23
	s_waitcnt vmcnt(12)
	v_lshlrev_b32_e32 v75, 16, v42
	v_and_b32_e32 v42, 0xffff0000, v42
	v_fmac_f32_e32 v57, v58, v74
	v_fmac_f32_e32 v25, v26, v41
	;; [unrolled: 5-line block ×14, first 2 shown]
	v_fmac_f32_e32 v57, v71, v87
	v_fmac_f32_e32 v25, v39, v54
	v_add_f32_e32 v23, v57, v25
	ds_bpermute_b32 v24, v55, v23
	v_cndmask_b32_e64 v25, v18, v21, s[10:11]
	v_lshlrev_b32_e32 v25, 2, v25
	s_waitcnt lgkmcnt(0)
	v_add_f32_e32 v23, v23, v24
	ds_bpermute_b32 v24, v25, v23
	s_and_saveexec_b64 s[46:47], vcc
	s_cbranch_execz .LBB159_12
; %bb.18:                               ;   in Loop: Header=BB159_14 Depth=1
	v_add_u32_e32 v25, v16, v12
	v_cvt_f32_i32_e32 v25, v25
	s_waitcnt lgkmcnt(0)
	v_add_f32_e32 v23, v23, v24
	v_add_u32_e32 v26, v5, v12
	v_cmp_gt_i32_e64 s[10:11], s33, v26
	v_mul_f32_e32 v24, s51, v25
	v_cndmask_b32_e64 v24, 0, v24, s[4:5]
	v_fmac_f32_e32 v24, s41, v23
	v_cndmask_b32_e64 v23, 0, v24, s[10:11]
	ds_write_b32 v13, v23
	v_max_f32_e32 v23, v10, v10
	v_max_f32_e32 v23, v23, v24
	v_cndmask_b32_e64 v10, v10, v23, s[10:11]
	s_branch .LBB159_12
.LBB159_19:
	s_or_b64 exec, exec, s[44:45]
.LBB159_20:
	s_or_b64 exec, exec, s[42:43]
	v_mbcnt_hi_u32_b32 v2, -1, v4
	v_and_b32_e32 v3, 64, v2
	v_add_u32_e32 v3, 64, v3
	v_xor_b32_e32 v4, 32, v2
	v_cmp_lt_i32_e32 vcc, v4, v3
	v_cndmask_b32_e32 v4, v2, v4, vcc
	v_lshlrev_b32_e32 v5, 2, v4
	ds_bpermute_b32 v4, v5, v10
	v_xor_b32_e32 v8, 16, v2
	v_max_f32_e32 v7, v10, v10
	v_cmp_lt_i32_e32 vcc, v8, v3
	v_xor_b32_e32 v9, 8, v2
	s_waitcnt lgkmcnt(0)
	v_max_f32_e32 v4, v4, v4
	v_max_f32_e32 v4, v7, v4
	v_cndmask_b32_e32 v7, v2, v8, vcc
	v_lshlrev_b32_e32 v7, 2, v7
	ds_bpermute_b32 v8, v7, v4
	v_cmp_lt_i32_e32 vcc, v9, v3
	v_and_b32_e32 v18, 63, v0
	s_waitcnt lgkmcnt(0)
	v_max_f32_e32 v8, v8, v8
	v_max_f32_e32 v4, v4, v8
	v_cndmask_b32_e32 v8, v2, v9, vcc
	v_lshlrev_b32_e32 v10, 2, v8
	ds_bpermute_b32 v8, v10, v4
	v_xor_b32_e32 v9, 4, v2
	v_cmp_lt_i32_e32 vcc, v9, v3
	s_waitcnt lgkmcnt(0)
	v_max_f32_e32 v8, v8, v8
	v_max_f32_e32 v4, v4, v8
	v_cndmask_b32_e32 v8, v2, v9, vcc
	v_lshlrev_b32_e32 v11, 2, v8
	ds_bpermute_b32 v9, v11, v4
	v_cmp_eq_u32_e32 vcc, 0, v18
	v_lshlrev_b32_e32 v8, 2, v6
	s_and_saveexec_b64 s[4:5], vcc
	s_cbranch_execz .LBB159_22
; %bb.21:
	s_waitcnt lgkmcnt(0)
	v_max_f32_e32 v9, v9, v9
	v_max_f32_e32 v4, v4, v4
	;; [unrolled: 1-line block ×3, first 2 shown]
	ds_write_b32 v8, v4 offset:256
.LBB159_22:
	s_or_b64 exec, exec, s[4:5]
	v_cmp_gt_u32_e64 s[4:5], 2, v18
	v_mov_b32_e32 v4, 0xff7fffff
	s_waitcnt lgkmcnt(0)
	v_lshlrev_b32_e32 v9, 2, v18
	s_barrier
	s_and_saveexec_b64 s[10:11], s[4:5]
	s_cbranch_execz .LBB159_24
; %bb.23:
	ds_read_b32 v4, v9 offset:256
.LBB159_24:
	s_or_b64 exec, exec, s[10:11]
	v_xor_b32_e32 v12, 1, v2
	v_cmp_lt_i32_e64 s[10:11], v12, v3
	v_cndmask_b32_e64 v12, v2, v12, s[10:11]
	v_lshlrev_b32_e32 v19, 2, v12
	s_waitcnt lgkmcnt(0)
	ds_bpermute_b32 v12, v19, v4
	v_max_f32_e32 v4, v4, v4
	s_sub_i32 s10, s20, s40
	s_lshl_b32 s10, s10, 4
	s_add_i32 s10, s10, s9
	s_waitcnt lgkmcnt(0)
	v_max_f32_e32 v12, v12, v12
	v_max_f32_e32 v4, v4, v12
	v_lshlrev_b32_e32 v12, 2, v2
	v_and_b32_e32 v12, 0x100, v12
	ds_bpermute_b32 v4, v12, v4
	s_min_i32 s44, s10, s33
	s_sub_i32 s19, s44, s9
	v_cmp_gt_i32_e64 s[10:11], s19, v0
	v_mov_b32_e32 v13, 0
	s_and_saveexec_b64 s[40:41], s[10:11]
	s_cbranch_execz .LBB159_28
; %bb.25:
	v_mov_b32_e32 v13, 0x110
	v_lshl_add_u32 v16, v0, 2, v13
	s_mov_b64 s[42:43], 0
	v_mov_b32_e32 v13, 0
	v_mov_b32_e32 v17, v0
.LBB159_26:                             ; =>This Inner Loop Header: Depth=1
	ds_read_b32 v20, v16
	v_add_u32_e32 v17, 0x80, v17
	v_cmp_le_i32_e64 s[12:13], s19, v17
	s_or_b64 s[42:43], s[12:13], s[42:43]
	s_waitcnt lgkmcnt(0)
	v_sub_f32_e32 v20, v20, v4
	v_mul_f32_e32 v20, 0x3fb8aa3b, v20
	v_exp_f32_e32 v20, v20
	ds_write_b32 v16, v20
	v_add_f32_e32 v13, v13, v20
	v_add_u32_e32 v16, 0x200, v16
	s_andn2_b64 exec, exec, s[42:43]
	s_cbranch_execnz .LBB159_26
; %bb.27:
	s_or_b64 exec, exec, s[42:43]
.LBB159_28:
	s_or_b64 exec, exec, s[40:41]
	ds_bpermute_b32 v5, v5, v13
	s_waitcnt lgkmcnt(0)
	v_add_f32_e32 v5, v13, v5
	ds_bpermute_b32 v7, v7, v5
	s_waitcnt lgkmcnt(0)
	v_add_f32_e32 v5, v5, v7
	ds_bpermute_b32 v7, v10, v5
	v_xor_b32_e32 v10, 2, v2
	v_cmp_lt_i32_e64 s[12:13], v10, v3
	v_cndmask_b32_e64 v2, v2, v10, s[12:13]
	v_lshlrev_b32_e32 v2, 2, v2
	s_waitcnt lgkmcnt(0)
	v_add_f32_e32 v5, v5, v7
	ds_bpermute_b32 v7, v11, v5
	s_waitcnt lgkmcnt(0)
	v_add_f32_e32 v3, v5, v7
	ds_bpermute_b32 v2, v2, v3
	;; [unrolled: 3-line block ×3, first 2 shown]
	s_waitcnt lgkmcnt(0)
	v_add_f32_e32 v2, v2, v3
	s_and_saveexec_b64 s[12:13], vcc
	s_cbranch_execz .LBB159_30
; %bb.29:
	ds_write_b32 v8, v2 offset:264
.LBB159_30:
	s_or_b64 exec, exec, s[12:13]
	s_waitcnt lgkmcnt(0)
	s_barrier
	s_and_saveexec_b64 s[12:13], s[4:5]
	s_cbranch_execz .LBB159_32
; %bb.31:
	ds_read_b32 v2, v9 offset:264
.LBB159_32:
	s_or_b64 exec, exec, s[12:13]
	s_waitcnt lgkmcnt(0)
	ds_bpermute_b32 v3, v19, v2
	s_waitcnt lgkmcnt(0)
	v_add_f32_e32 v2, v2, v3
	ds_bpermute_b32 v5, v12, v2
	s_and_saveexec_b64 s[4:5], s[10:11]
	s_cbranch_execz .LBB159_45
; %bb.33:
	s_waitcnt lgkmcnt(0)
	v_add_f32_e32 v2, 0x358637bd, v5
	v_div_scale_f32 v3, s[10:11], v2, v2, 1.0
	v_rcp_f32_e32 v7, v3
	v_div_scale_f32 v8, vcc, 1.0, v2, 1.0
	s_mov_b64 s[12:13], -1
	v_fma_f32 v9, -v3, v7, 1.0
	v_fmac_f32_e32 v7, v9, v7
	v_mul_f32_e32 v9, v8, v7
	v_fma_f32 v10, -v3, v9, v8
	v_fmac_f32_e32 v9, v10, v7
	v_fma_f32 v3, -v3, v9, v8
	v_div_fmas_f32 v3, v3, v7, v9
	v_div_fixup_f32 v2, v3, v2, 1.0
	v_xad_u32 v3, v0, -1, s44
	v_subrev_u32_e32 v7, s9, v3
	s_movk_i32 s9, 0x7f
	v_cmp_lt_u32_e32 vcc, s9, v7
	v_mov_b32_e32 v3, v0
	s_and_saveexec_b64 s[10:11], vcc
	s_cbranch_execz .LBB159_42
; %bb.34:
	v_lshrrev_b32_e32 v7, 7, v7
	v_add_u32_e32 v9, -1, v7
	v_lshrrev_b32_e32 v8, 1, v9
	v_mov_b32_e32 v3, v2
	v_add_u32_e32 v8, 1, v8
	v_cmp_lt_u32_e32 vcc, 13, v9
	v_mov_b32_e32 v11, 0
	s_and_saveexec_b64 s[12:13], vcc
	s_cbranch_execz .LBB159_38
; %bb.35:
	v_mov_b32_e32 v10, 0x110
	v_and_b32_e32 v9, -8, v8
	v_lshl_add_u32 v10, v0, 2, v10
	s_mov_b32 s9, 0
	s_mov_b64 s[40:41], 0
.LBB159_36:                             ; =>This Inner Loop Header: Depth=1
	ds_read2st64_b32 v[12:13], v10 offset1:2
	ds_read2st64_b32 v[16:17], v10 offset0:4 offset1:6
	ds_read2st64_b32 v[20:21], v10 offset0:8 offset1:10
	;; [unrolled: 1-line block ×3, first 2 shown]
	v_add_u32_e32 v9, -8, v9
	s_waitcnt lgkmcnt(3)
	v_pk_mul_f32 v[12:13], v[2:3], v[12:13]
	s_waitcnt lgkmcnt(2)
	v_pk_mul_f32 v[16:17], v[2:3], v[16:17]
	ds_write2st64_b32 v10, v12, v13 offset1:2
	ds_write2st64_b32 v10, v16, v17 offset0:4 offset1:6
	ds_read2st64_b32 v[16:17], v10 offset0:16 offset1:18
	s_waitcnt lgkmcnt(4)
	v_pk_mul_f32 v[12:13], v[2:3], v[20:21]
	ds_write2st64_b32 v10, v12, v13 offset0:8 offset1:10
	s_waitcnt lgkmcnt(4)
	v_pk_mul_f32 v[12:13], v[2:3], v[22:23]
	ds_write2st64_b32 v10, v12, v13 offset0:12 offset1:14
	ds_read2st64_b32 v[12:13], v10 offset0:20 offset1:22
	s_waitcnt lgkmcnt(3)
	v_pk_mul_f32 v[16:17], v[2:3], v[16:17]
	ds_read2st64_b32 v[20:21], v10 offset0:24 offset1:26
	ds_write2st64_b32 v10, v16, v17 offset0:16 offset1:18
	ds_read2st64_b32 v[16:17], v10 offset0:28 offset1:30
	s_waitcnt lgkmcnt(3)
	v_pk_mul_f32 v[12:13], v[2:3], v[12:13]
	ds_write2st64_b32 v10, v12, v13 offset0:20 offset1:22
	s_waitcnt lgkmcnt(3)
	v_pk_mul_f32 v[12:13], v[2:3], v[20:21]
	ds_write2st64_b32 v10, v12, v13 offset0:24 offset1:26
	s_waitcnt lgkmcnt(2)
	v_pk_mul_f32 v[12:13], v[2:3], v[16:17]
	s_add_i32 s9, s9, 16
	v_cmp_eq_u32_e32 vcc, 0, v9
	ds_write2st64_b32 v10, v12, v13 offset0:28 offset1:30
	v_add_u32_e32 v10, 0x2000, v10
	s_or_b64 s[40:41], vcc, s[40:41]
	v_mov_b32_e32 v11, s9
	s_andn2_b64 exec, exec, s[40:41]
	s_cbranch_execnz .LBB159_36
; %bb.37:
	s_or_b64 exec, exec, s[40:41]
.LBB159_38:
	s_or_b64 exec, exec, s[12:13]
	v_and_b32_e32 v8, 7, v8
	v_cmp_ne_u32_e32 vcc, 0, v8
	s_and_saveexec_b64 s[12:13], vcc
	s_cbranch_execz .LBB159_41
; %bb.39:
	v_lshlrev_b32_e32 v9, 9, v11
	v_lshlrev_b32_e32 v10, 2, v0
	s_movk_i32 s9, 0x110
	v_add3_u32 v9, v9, v10, s9
	s_mov_b64 s[40:41], 0
.LBB159_40:                             ; =>This Inner Loop Header: Depth=1
	ds_read2st64_b32 v[10:11], v9 offset1:2
	v_add_u32_e32 v8, -1, v8
	v_cmp_eq_u32_e32 vcc, 0, v8
	s_or_b64 s[40:41], vcc, s[40:41]
	s_waitcnt lgkmcnt(0)
	v_pk_mul_f32 v[10:11], v[2:3], v[10:11]
	ds_write2st64_b32 v9, v10, v11 offset1:2
	v_add_u32_e32 v9, 0x400, v9
	s_andn2_b64 exec, exec, s[40:41]
	s_cbranch_execnz .LBB159_40
.LBB159_41:
	s_or_b64 exec, exec, s[12:13]
	v_add_u32_e32 v7, 1, v7
	v_and_b32_e32 v8, 0x3fffffe, v7
	v_cmp_ne_u32_e32 vcc, v7, v8
	v_lshl_add_u32 v3, v8, 7, v0
	s_orn2_b64 s[12:13], vcc, exec
.LBB159_42:
	s_or_b64 exec, exec, s[10:11]
	s_and_b64 exec, exec, s[12:13]
	s_cbranch_execz .LBB159_45
; %bb.43:
	v_mov_b32_e32 v7, 0x110
	v_lshl_add_u32 v7, v3, 2, v7
	s_mov_b64 s[10:11], 0
.LBB159_44:                             ; =>This Inner Loop Header: Depth=1
	ds_read_b32 v8, v7
	v_add_u32_e32 v3, 0x80, v3
	v_cmp_le_i32_e32 vcc, s19, v3
	s_or_b64 s[10:11], vcc, s[10:11]
	s_waitcnt lgkmcnt(0)
	v_mul_f32_e32 v8, v2, v8
	ds_write_b32 v7, v8
	v_add_u32_e32 v7, 0x200, v7
	s_andn2_b64 exec, exec, s[10:11]
	s_cbranch_execnz .LBB159_44
.LBB159_45:
	s_or_b64 exec, exec, s[4:5]
	v_cmp_eq_u32_e32 vcc, 0, v0
	s_waitcnt lgkmcnt(0)
	s_barrier
	s_and_saveexec_b64 s[4:5], vcc
	s_cbranch_execz .LBB159_47
; %bb.46:
	s_mul_i32 s9, s16, s14
	s_mul_i32 s10, s9, s15
	s_ashr_i32 s11, s10, 31
	s_lshl_b64 s[10:11], s[10:11], 2
	s_add_u32 s9, s26, s10
	s_mul_i32 s12, s16, s6
	s_addc_u32 s19, s27, s11
	s_ashr_i32 s13, s12, 31
	s_lshl_b64 s[12:13], s[12:13], 2
	s_add_u32 s6, s9, s12
	s_addc_u32 s19, s19, s13
	s_ashr_i32 s9, s8, 31
	s_lshl_b64 s[26:27], s[8:9], 2
	s_add_u32 s40, s6, s26
	s_addc_u32 s41, s19, s27
	s_add_u32 s6, s24, s10
	s_addc_u32 s9, s25, s11
	s_add_u32 s6, s6, s12
	s_addc_u32 s9, s9, s13
	s_add_u32 s10, s6, s26
	v_mov_b32_e32 v2, 0
	s_addc_u32 s11, s9, s27
	global_store_dword v2, v4, s[40:41]
	global_store_dword v2, v5, s[10:11]
.LBB159_47:
	s_or_b64 exec, exec, s[4:5]
	v_mov_b32_e32 v5, 0
	v_and_b32_e32 v20, 1, v0
	v_mov_b32_e32 v4, 0
	v_mov_b32_e32 v3, 0
	;; [unrolled: 1-line block ×3, first 2 shown]
	s_and_saveexec_b64 s[4:5], s[2:3]
	s_cbranch_execz .LBB159_221
; %bb.48:
	s_ashr_i32 s19, s18, 31
	s_sub_i32 s9, s50, s21
	s_lshl_b64 s[2:3], s[18:19], 1
	s_add_u32 s2, s38, s2
	s_addc_u32 s3, s39, s3
	s_abs_i32 s18, s22
	v_cvt_f32_u32_e32 v2, s18
	v_lshlrev_b32_e32 v3, 3, v0
	s_sub_i32 s6, 0, s18
	v_and_b32_e32 v21, 8, v3
	v_rcp_iflag_f32_e32 v2, v2
	v_lshlrev_b32_e32 v4, 4, v0
	s_add_i32 s19, s7, -1
	s_mov_b32 s24, 0
	v_mul_f32_e32 v2, 0x4f7ffffe, v2
	v_cvt_u32_f32_e32 v2, v2
	s_mov_b32 s25, s24
	s_mov_b32 s26, s24
	;; [unrolled: 1-line block ×3, first 2 shown]
	v_mul_lo_u32 v3, s6, v2
	v_mul_hi_u32 v3, v2, v3
	v_add_u32_e32 v22, v2, v3
	v_and_b32_e32 v2, 0x3f0, v4
	v_mov_b32_e32 v3, s3
	v_add_co_u32_e32 v23, vcc, s2, v2
	s_lshl_b64 s[2:3], s[36:37], 2
	v_addc_co_u32_e32 v24, vcc, 0, v3, vcc
	v_lshlrev_b64 v[2:3], 2, v[14:15]
	s_add_u32 s2, s34, s2
	s_addc_u32 s3, s35, s3
	v_add_co_u32_e32 v16, vcc, s2, v2
	v_lshlrev_b32_e32 v2, 5, v20
	v_mov_b32_e32 v4, s3
	v_lshl_or_b32 v2, v6, 6, v2
	v_addc_co_u32_e32 v17, vcc, v4, v3, vcc
	v_add_u32_e32 v15, 0x110, v2
	v_pk_mov_b32 v[2:3], s[24:25], s[24:25] op_sel:[0,1]
	s_mov_b64 s[6:7], 0
	v_pk_mov_b32 v[4:5], s[26:27], s[26:27] op_sel:[0,1]
	s_mov_b32 s21, 0x7f800000
	s_movk_i32 s22, 0x7fff
	v_mov_b32_e32 v25, 0
	s_branch .LBB159_51
.LBB159_49:                             ;   in Loop: Header=BB159_51 Depth=1
	s_or_b64 exec, exec, s[2:3]
	v_and_b32_e32 v37, 0xffff0000, v27
	v_and_b32_e32 v36, 0xffff0000, v13
	;; [unrolled: 1-line block ×8, first 2 shown]
	v_pk_add_f32 v[12:13], v[12:13], v[36:37]
	v_pk_add_f32 v[26:27], v[28:29], v[34:35]
	v_add_f32_e32 v12, v12, v13
	v_add_f32_e32 v12, v12, v26
	;; [unrolled: 1-line block ×3, first 2 shown]
	v_and_b32_e32 v29, 0xffff0000, v51
	v_and_b32_e32 v28, 0xffff0000, v49
	v_and_b32_e32 v35, 0xffff0000, v50
	v_and_b32_e32 v34, 0xffff0000, v48
	v_add_f32_e32 v2, v2, v12
	v_and_b32_e32 v13, 0xffff0000, v55
	v_and_b32_e32 v12, 0xffff0000, v53
	;; [unrolled: 1-line block ×4, first 2 shown]
	v_pk_add_f32 v[28:29], v[34:35], v[28:29]
	v_pk_add_f32 v[12:13], v[26:27], v[12:13]
	v_add_f32_e32 v26, v28, v29
	v_add_f32_e32 v12, v26, v12
	;; [unrolled: 1-line block ×3, first 2 shown]
	v_and_b32_e32 v29, 0xffff0000, v59
	v_and_b32_e32 v28, 0xffff0000, v57
	;; [unrolled: 1-line block ×4, first 2 shown]
	v_add_f32_e32 v3, v3, v12
	v_and_b32_e32 v13, 0xffff0000, v63
	v_and_b32_e32 v12, 0xffff0000, v61
	;; [unrolled: 1-line block ×4, first 2 shown]
	v_pk_add_f32 v[28:29], v[34:35], v[28:29]
	v_pk_add_f32 v[12:13], v[26:27], v[12:13]
	v_add_f32_e32 v26, v28, v29
	v_add_f32_e32 v12, v26, v12
	;; [unrolled: 1-line block ×3, first 2 shown]
	v_and_b32_e32 v13, 0xffff0000, v11
	v_and_b32_e32 v11, 0xffff0000, v31
	;; [unrolled: 1-line block ×5, first 2 shown]
	v_add_f32_e32 v4, v4, v12
	v_and_b32_e32 v12, 0xffff0000, v32
	v_and_b32_e32 v9, 0xffff0000, v9
	;; [unrolled: 1-line block ×3, first 2 shown]
	v_pk_add_f32 v[6:7], v[6:7], v[10:11]
	v_pk_add_f32 v[8:9], v[8:9], v[12:13]
	v_add_f32_e32 v6, v6, v7
	v_add_f32_e32 v6, v6, v8
	;; [unrolled: 1-line block ×4, first 2 shown]
.LBB159_50:                             ;   in Loop: Header=BB159_51 Depth=1
	s_or_b64 exec, exec, s[10:11]
	v_add_co_u32_e32 v16, vcc, 8, v16
	v_add_u32_e32 v14, 2, v14
	v_addc_co_u32_e32 v17, vcc, 0, v17, vcc
	v_cmp_le_i32_e32 vcc, s20, v14
	v_add_u32_e32 v1, 32, v1
	s_or_b64 s[6:7], vcc, s[6:7]
	v_add_u32_e32 v15, 0x80, v15
	s_andn2_b64 exec, exec, s[6:7]
	s_cbranch_execz .LBB159_220
.LBB159_51:                             ; =>This Inner Loop Header: Depth=1
	v_sub_u32_e32 v7, 0, v1
	v_max_i32_e32 v7, v1, v7
	v_mul_hi_u32 v8, v7, s48
	v_mul_lo_u32 v9, v8, s29
	v_sub_u32_e32 v7, v7, v9
	v_add_u32_e32 v9, 1, v8
	v_cmp_le_u32_e32 vcc, s29, v7
	v_cndmask_b32_e32 v8, v8, v9, vcc
	v_subrev_u32_e32 v9, s29, v7
	v_cndmask_b32_e32 v7, v7, v9, vcc
	v_ashrrev_i32_e32 v6, 31, v1
	v_add_u32_e32 v9, 1, v8
	v_cmp_le_u32_e32 vcc, s29, v7
	v_xor_b32_e32 v6, s23, v6
	v_cndmask_b32_e32 v7, v8, v9, vcc
	v_xor_b32_e32 v7, v7, v6
	v_sub_u32_e32 v6, v7, v6
	v_add_u32_e32 v7, s49, v6
	v_sub_u32_e32 v9, 0, v7
	v_ashrrev_i32_e32 v8, 31, v7
	v_max_i32_e32 v7, v7, v9
	v_mul_hi_u32 v9, v7, v22
	v_mul_lo_u32 v9, v9, s18
	v_sub_u32_e32 v7, v7, v9
	v_subrev_u32_e32 v9, s18, v7
	v_cmp_le_u32_e32 vcc, s18, v7
	v_cndmask_b32_e32 v7, v7, v9, vcc
	v_subrev_u32_e32 v9, s18, v7
	v_cmp_le_u32_e32 vcc, s18, v7
	v_cndmask_b32_e32 v7, v7, v9, vcc
	v_xor_b32_e32 v7, v7, v8
	v_sub_u32_e32 v7, v7, v8
	v_cmp_eq_u32_e32 vcc, 0, v7
	v_cmp_lt_i32_e64 s[2:3], s9, v6
	s_or_b64 s[2:3], vcc, s[2:3]
	s_and_saveexec_b64 s[10:11], s[2:3]
	s_cbranch_execz .LBB159_50
; %bb.52:                               ;   in Loop: Header=BB159_51 Depth=1
	global_load_dword v31, v[16:17], off
	ds_read2_b64 v[10:13], v15 offset1:1
	ds_read2_b64 v[6:9], v15 offset0:2 offset1:3
                                        ; implicit-def: $vgpr40
	s_waitcnt lgkmcnt(1)
	v_and_b32_e32 v26, 0x7f800000, v10
	v_cmp_ne_u32_e32 vcc, s21, v26
	s_and_saveexec_b64 s[2:3], vcc
	s_xor_b64 s[2:3], exec, s[2:3]
; %bb.53:                               ;   in Loop: Header=BB159_51 Depth=1
	v_bfe_u32 v26, v10, 16, 1
	v_add3_u32 v40, v10, v26, s22
; %bb.54:                               ;   in Loop: Header=BB159_51 Depth=1
	s_andn2_saveexec_b64 s[2:3], s[2:3]
; %bb.55:                               ;   in Loop: Header=BB159_51 Depth=1
	v_or_b32_e32 v26, 0x10000, v10
	v_cmp_eq_u32_sdwa vcc, v10, v25 src0_sel:WORD_0 src1_sel:DWORD
	v_cndmask_b32_e32 v40, v26, v10, vcc
; %bb.56:                               ;   in Loop: Header=BB159_51 Depth=1
	s_or_b64 exec, exec, s[2:3]
	v_and_b32_e32 v10, 0x7f800000, v11
	v_cmp_ne_u32_e32 vcc, s21, v10
                                        ; implicit-def: $vgpr41
	s_and_saveexec_b64 s[2:3], vcc
	s_xor_b64 s[2:3], exec, s[2:3]
; %bb.57:                               ;   in Loop: Header=BB159_51 Depth=1
	v_bfe_u32 v10, v11, 16, 1
	v_add3_u32 v41, v11, v10, s22
; %bb.58:                               ;   in Loop: Header=BB159_51 Depth=1
	s_andn2_saveexec_b64 s[2:3], s[2:3]
; %bb.59:                               ;   in Loop: Header=BB159_51 Depth=1
	v_or_b32_e32 v10, 0x10000, v11
	v_cmp_eq_u32_sdwa vcc, v11, v25 src0_sel:WORD_0 src1_sel:DWORD
	v_cndmask_b32_e32 v41, v10, v11, vcc
; %bb.60:                               ;   in Loop: Header=BB159_51 Depth=1
	s_or_b64 exec, exec, s[2:3]
	v_and_b32_e32 v10, 0x7f800000, v12
	v_cmp_ne_u32_e32 vcc, s21, v10
                                        ; implicit-def: $vgpr26
	s_and_saveexec_b64 s[2:3], vcc
	s_xor_b64 s[2:3], exec, s[2:3]
; %bb.61:                               ;   in Loop: Header=BB159_51 Depth=1
	v_bfe_u32 v10, v12, 16, 1
	v_add3_u32 v26, v12, v10, s22
; %bb.62:                               ;   in Loop: Header=BB159_51 Depth=1
	s_andn2_saveexec_b64 s[2:3], s[2:3]
; %bb.63:                               ;   in Loop: Header=BB159_51 Depth=1
	v_or_b32_e32 v10, 0x10000, v12
	v_cmp_eq_u32_sdwa vcc, v12, v25 src0_sel:WORD_0 src1_sel:DWORD
	v_cndmask_b32_e32 v26, v10, v12, vcc
; %bb.64:                               ;   in Loop: Header=BB159_51 Depth=1
	s_or_b64 exec, exec, s[2:3]
	v_and_b32_e32 v10, 0x7f800000, v13
	v_cmp_ne_u32_e32 vcc, s21, v10
                                        ; implicit-def: $vgpr27
	s_and_saveexec_b64 s[2:3], vcc
	s_xor_b64 s[2:3], exec, s[2:3]
; %bb.65:                               ;   in Loop: Header=BB159_51 Depth=1
	v_bfe_u32 v10, v13, 16, 1
	v_add3_u32 v27, v13, v10, s22
                                        ; implicit-def: $vgpr10_vgpr11_vgpr12_vgpr13
; %bb.66:                               ;   in Loop: Header=BB159_51 Depth=1
	s_andn2_saveexec_b64 s[2:3], s[2:3]
; %bb.67:                               ;   in Loop: Header=BB159_51 Depth=1
	v_or_b32_e32 v10, 0x10000, v13
	v_cmp_eq_u32_sdwa vcc, v13, v25 src0_sel:WORD_0 src1_sel:DWORD
	v_cndmask_b32_e32 v27, v10, v13, vcc
; %bb.68:                               ;   in Loop: Header=BB159_51 Depth=1
	s_or_b64 exec, exec, s[2:3]
	s_waitcnt lgkmcnt(0)
	v_and_b32_e32 v10, 0x7f800000, v6
	v_cmp_ne_u32_e32 vcc, s21, v10
                                        ; implicit-def: $vgpr28
	s_and_saveexec_b64 s[2:3], vcc
	s_xor_b64 s[2:3], exec, s[2:3]
; %bb.69:                               ;   in Loop: Header=BB159_51 Depth=1
	v_bfe_u32 v10, v6, 16, 1
	v_add3_u32 v28, v6, v10, s22
; %bb.70:                               ;   in Loop: Header=BB159_51 Depth=1
	s_andn2_saveexec_b64 s[2:3], s[2:3]
; %bb.71:                               ;   in Loop: Header=BB159_51 Depth=1
	v_or_b32_e32 v10, 0x10000, v6
	v_cmp_eq_u32_sdwa vcc, v6, v25 src0_sel:WORD_0 src1_sel:DWORD
	v_cndmask_b32_e32 v28, v10, v6, vcc
; %bb.72:                               ;   in Loop: Header=BB159_51 Depth=1
	s_or_b64 exec, exec, s[2:3]
	v_and_b32_e32 v6, 0x7f800000, v7
	v_cmp_ne_u32_e32 vcc, s21, v6
                                        ; implicit-def: $vgpr29
	s_and_saveexec_b64 s[2:3], vcc
	s_xor_b64 s[2:3], exec, s[2:3]
; %bb.73:                               ;   in Loop: Header=BB159_51 Depth=1
	v_bfe_u32 v6, v7, 16, 1
	v_add3_u32 v29, v7, v6, s22
; %bb.74:                               ;   in Loop: Header=BB159_51 Depth=1
	s_andn2_saveexec_b64 s[2:3], s[2:3]
; %bb.75:                               ;   in Loop: Header=BB159_51 Depth=1
	v_or_b32_e32 v6, 0x10000, v7
	v_cmp_eq_u32_sdwa vcc, v7, v25 src0_sel:WORD_0 src1_sel:DWORD
	v_cndmask_b32_e32 v29, v6, v7, vcc
; %bb.76:                               ;   in Loop: Header=BB159_51 Depth=1
	s_or_b64 exec, exec, s[2:3]
	v_and_b32_e32 v6, 0x7f800000, v8
	v_cmp_ne_u32_e32 vcc, s21, v6
                                        ; implicit-def: $vgpr30
	s_and_saveexec_b64 s[2:3], vcc
	s_xor_b64 s[2:3], exec, s[2:3]
; %bb.77:                               ;   in Loop: Header=BB159_51 Depth=1
	v_bfe_u32 v6, v8, 16, 1
	v_add3_u32 v30, v8, v6, s22
; %bb.78:                               ;   in Loop: Header=BB159_51 Depth=1
	s_andn2_saveexec_b64 s[2:3], s[2:3]
; %bb.79:                               ;   in Loop: Header=BB159_51 Depth=1
	v_or_b32_e32 v6, 0x10000, v8
	v_cmp_eq_u32_sdwa vcc, v8, v25 src0_sel:WORD_0 src1_sel:DWORD
	v_cndmask_b32_e32 v30, v6, v8, vcc
; %bb.80:                               ;   in Loop: Header=BB159_51 Depth=1
	s_or_b64 exec, exec, s[2:3]
	v_and_b32_e32 v6, 0x7f800000, v9
	v_cmp_ne_u32_e32 vcc, s21, v6
                                        ; implicit-def: $vgpr39
	s_and_saveexec_b64 s[2:3], vcc
	s_xor_b64 s[2:3], exec, s[2:3]
; %bb.81:                               ;   in Loop: Header=BB159_51 Depth=1
	v_bfe_u32 v6, v9, 16, 1
	v_add3_u32 v39, v9, v6, s22
                                        ; implicit-def: $vgpr6_vgpr7_vgpr8_vgpr9
; %bb.82:                               ;   in Loop: Header=BB159_51 Depth=1
	s_andn2_saveexec_b64 s[2:3], s[2:3]
; %bb.83:                               ;   in Loop: Header=BB159_51 Depth=1
	v_or_b32_e32 v6, 0x10000, v9
	v_cmp_eq_u32_sdwa vcc, v9, v25 src0_sel:WORD_0 src1_sel:DWORD
	v_cndmask_b32_e32 v39, v6, v9, vcc
; %bb.84:                               ;   in Loop: Header=BB159_51 Depth=1
	s_or_b64 exec, exec, s[2:3]
	s_waitcnt vmcnt(0)
	v_mad_i64_i32 v[6:7], s[2:3], v31, s17, 0
	v_lshlrev_b64 v[6:7], 1, v[6:7]
	v_add_co_u32_e32 v10, vcc, v23, v6
	v_addc_co_u32_e32 v11, vcc, v24, v7, vcc
	global_load_dwordx4 v[6:9], v[10:11], off
	v_add_u32_e32 v31, v21, v1
	v_cmp_eq_u32_e32 vcc, s19, v14
	v_add_u32_e32 v38, 1, v31
	v_add_u32_e32 v37, 2, v31
	;; [unrolled: 1-line block ×7, first 2 shown]
	s_waitcnt vmcnt(0)
	v_lshrrev_b32_e32 v13, 16, v6
	v_lshrrev_b32_e32 v44, 16, v7
	;; [unrolled: 1-line block ×4, first 2 shown]
	s_and_saveexec_b64 s[12:13], vcc
	s_cbranch_execz .LBB159_86
; %bb.85:                               ;   in Loop: Header=BB159_51 Depth=1
	v_cmp_gt_i32_e64 s[2:3], s33, v31
	v_cndmask_b32_e64 v6, 0, v6, s[2:3]
	v_cmp_gt_i32_e64 s[2:3], s33, v38
	v_cndmask_b32_e64 v13, 0, v13, s[2:3]
	;; [unrolled: 2-line block ×8, first 2 shown]
.LBB159_86:                             ;   in Loop: Header=BB159_51 Depth=1
	s_or_b64 exec, exec, s[12:13]
	v_and_b32_e32 v40, 0xffff0000, v40
	v_lshlrev_b32_e32 v6, 16, v6
	v_mul_f32_e32 v6, v40, v6
	v_and_b32_e32 v12, 0x7f800000, v6
	v_cmp_ne_u32_e64 s[2:3], s21, v12
                                        ; implicit-def: $vgpr12
	s_and_saveexec_b64 s[12:13], s[2:3]
	s_xor_b64 s[2:3], exec, s[12:13]
; %bb.87:                               ;   in Loop: Header=BB159_51 Depth=1
	v_bfe_u32 v12, v6, 16, 1
	v_add3_u32 v12, v6, v12, s22
                                        ; implicit-def: $vgpr6
; %bb.88:                               ;   in Loop: Header=BB159_51 Depth=1
	s_andn2_saveexec_b64 s[12:13], s[2:3]
; %bb.89:                               ;   in Loop: Header=BB159_51 Depth=1
	v_or_b32_e32 v12, 0x10000, v6
	v_cmp_eq_u32_sdwa s[2:3], v6, v25 src0_sel:WORD_0 src1_sel:DWORD
	v_cndmask_b32_e64 v12, v12, v6, s[2:3]
; %bb.90:                               ;   in Loop: Header=BB159_51 Depth=1
	s_or_b64 exec, exec, s[12:13]
	v_and_b32_e32 v41, 0xffff0000, v41
	v_lshlrev_b32_e32 v6, 16, v13
	v_mul_f32_e32 v6, v41, v6
	v_and_b32_e32 v13, 0x7f800000, v6
	v_cmp_ne_u32_e64 s[2:3], s21, v13
                                        ; implicit-def: $vgpr13
	s_and_saveexec_b64 s[12:13], s[2:3]
	s_xor_b64 s[2:3], exec, s[12:13]
; %bb.91:                               ;   in Loop: Header=BB159_51 Depth=1
	v_bfe_u32 v13, v6, 16, 1
	v_add3_u32 v13, v6, v13, s22
                                        ; implicit-def: $vgpr6
; %bb.92:                               ;   in Loop: Header=BB159_51 Depth=1
	s_andn2_saveexec_b64 s[12:13], s[2:3]
; %bb.93:                               ;   in Loop: Header=BB159_51 Depth=1
	v_or_b32_e32 v13, 0x10000, v6
	v_cmp_eq_u32_sdwa s[2:3], v6, v25 src0_sel:WORD_0 src1_sel:DWORD
	v_cndmask_b32_e64 v13, v13, v6, s[2:3]
; %bb.94:                               ;   in Loop: Header=BB159_51 Depth=1
	s_or_b64 exec, exec, s[12:13]
	v_and_b32_e32 v42, 0xffff0000, v26
	v_lshlrev_b32_e32 v6, 16, v7
	v_mul_f32_e32 v6, v42, v6
	v_and_b32_e32 v7, 0x7f800000, v6
	v_cmp_ne_u32_e64 s[2:3], s21, v7
                                        ; implicit-def: $vgpr26
	s_and_saveexec_b64 s[12:13], s[2:3]
	s_xor_b64 s[2:3], exec, s[12:13]
; %bb.95:                               ;   in Loop: Header=BB159_51 Depth=1
	v_bfe_u32 v7, v6, 16, 1
	v_add3_u32 v26, v6, v7, s22
                                        ; implicit-def: $vgpr6
; %bb.96:                               ;   in Loop: Header=BB159_51 Depth=1
	s_andn2_saveexec_b64 s[12:13], s[2:3]
; %bb.97:                               ;   in Loop: Header=BB159_51 Depth=1
	v_or_b32_e32 v7, 0x10000, v6
	v_cmp_eq_u32_sdwa s[2:3], v6, v25 src0_sel:WORD_0 src1_sel:DWORD
	v_cndmask_b32_e64 v26, v7, v6, s[2:3]
; %bb.98:                               ;   in Loop: Header=BB159_51 Depth=1
	s_or_b64 exec, exec, s[12:13]
	v_and_b32_e32 v43, 0xffff0000, v27
	v_lshlrev_b32_e32 v6, 16, v44
	v_mul_f32_e32 v6, v43, v6
	v_and_b32_e32 v7, 0x7f800000, v6
	v_cmp_ne_u32_e64 s[2:3], s21, v7
                                        ; implicit-def: $vgpr27
	s_and_saveexec_b64 s[12:13], s[2:3]
	s_xor_b64 s[2:3], exec, s[12:13]
; %bb.99:                               ;   in Loop: Header=BB159_51 Depth=1
	v_bfe_u32 v7, v6, 16, 1
	v_add3_u32 v27, v6, v7, s22
                                        ; implicit-def: $vgpr6
; %bb.100:                              ;   in Loop: Header=BB159_51 Depth=1
	s_andn2_saveexec_b64 s[12:13], s[2:3]
; %bb.101:                              ;   in Loop: Header=BB159_51 Depth=1
	v_or_b32_e32 v7, 0x10000, v6
	v_cmp_eq_u32_sdwa s[2:3], v6, v25 src0_sel:WORD_0 src1_sel:DWORD
	v_cndmask_b32_e64 v27, v7, v6, s[2:3]
; %bb.102:                              ;   in Loop: Header=BB159_51 Depth=1
	s_or_b64 exec, exec, s[12:13]
	v_and_b32_e32 v44, 0xffff0000, v28
	v_lshlrev_b32_e32 v6, 16, v8
	v_mul_f32_e32 v6, v44, v6
	v_and_b32_e32 v7, 0x7f800000, v6
	v_cmp_ne_u32_e64 s[2:3], s21, v7
                                        ; implicit-def: $vgpr28
	s_and_saveexec_b64 s[12:13], s[2:3]
	s_xor_b64 s[2:3], exec, s[12:13]
; %bb.103:                              ;   in Loop: Header=BB159_51 Depth=1
	v_bfe_u32 v7, v6, 16, 1
	v_add3_u32 v28, v6, v7, s22
                                        ; implicit-def: $vgpr6
; %bb.104:                              ;   in Loop: Header=BB159_51 Depth=1
	s_andn2_saveexec_b64 s[12:13], s[2:3]
; %bb.105:                              ;   in Loop: Header=BB159_51 Depth=1
	v_or_b32_e32 v7, 0x10000, v6
	v_cmp_eq_u32_sdwa s[2:3], v6, v25 src0_sel:WORD_0 src1_sel:DWORD
	v_cndmask_b32_e64 v28, v7, v6, s[2:3]
; %bb.106:                              ;   in Loop: Header=BB159_51 Depth=1
	s_or_b64 exec, exec, s[12:13]
	v_and_b32_e32 v45, 0xffff0000, v29
	v_lshlrev_b32_e32 v6, 16, v46
	v_mul_f32_e32 v6, v45, v6
	v_and_b32_e32 v7, 0x7f800000, v6
	v_cmp_ne_u32_e64 s[2:3], s21, v7
                                        ; implicit-def: $vgpr29
	s_and_saveexec_b64 s[12:13], s[2:3]
	s_xor_b64 s[2:3], exec, s[12:13]
; %bb.107:                              ;   in Loop: Header=BB159_51 Depth=1
	v_bfe_u32 v7, v6, 16, 1
	v_add3_u32 v29, v6, v7, s22
                                        ; implicit-def: $vgpr6
; %bb.108:                              ;   in Loop: Header=BB159_51 Depth=1
	s_andn2_saveexec_b64 s[12:13], s[2:3]
; %bb.109:                              ;   in Loop: Header=BB159_51 Depth=1
	v_or_b32_e32 v7, 0x10000, v6
	v_cmp_eq_u32_sdwa s[2:3], v6, v25 src0_sel:WORD_0 src1_sel:DWORD
	v_cndmask_b32_e64 v29, v7, v6, s[2:3]
; %bb.110:                              ;   in Loop: Header=BB159_51 Depth=1
	s_or_b64 exec, exec, s[12:13]
	v_and_b32_e32 v46, 0xffff0000, v30
	v_lshlrev_b32_e32 v6, 16, v9
	v_mul_f32_e32 v6, v46, v6
	v_and_b32_e32 v7, 0x7f800000, v6
	v_cmp_ne_u32_e64 s[2:3], s21, v7
                                        ; implicit-def: $vgpr30
	s_and_saveexec_b64 s[12:13], s[2:3]
	s_xor_b64 s[2:3], exec, s[12:13]
; %bb.111:                              ;   in Loop: Header=BB159_51 Depth=1
	v_bfe_u32 v7, v6, 16, 1
	v_add3_u32 v30, v6, v7, s22
                                        ; implicit-def: $vgpr6
; %bb.112:                              ;   in Loop: Header=BB159_51 Depth=1
	s_andn2_saveexec_b64 s[12:13], s[2:3]
; %bb.113:                              ;   in Loop: Header=BB159_51 Depth=1
	v_or_b32_e32 v7, 0x10000, v6
	v_cmp_eq_u32_sdwa s[2:3], v6, v25 src0_sel:WORD_0 src1_sel:DWORD
	v_cndmask_b32_e64 v30, v7, v6, s[2:3]
; %bb.114:                              ;   in Loop: Header=BB159_51 Depth=1
	s_or_b64 exec, exec, s[12:13]
	v_and_b32_e32 v47, 0xffff0000, v39
	v_lshlrev_b32_e32 v6, 16, v48
	v_mul_f32_e32 v6, v47, v6
	v_and_b32_e32 v7, 0x7f800000, v6
	v_cmp_ne_u32_e64 s[2:3], s21, v7
                                        ; implicit-def: $vgpr39
	s_and_saveexec_b64 s[12:13], s[2:3]
	s_xor_b64 s[2:3], exec, s[12:13]
; %bb.115:                              ;   in Loop: Header=BB159_51 Depth=1
	v_bfe_u32 v7, v6, 16, 1
	v_add3_u32 v39, v6, v7, s22
                                        ; implicit-def: $vgpr6
; %bb.116:                              ;   in Loop: Header=BB159_51 Depth=1
	s_andn2_saveexec_b64 s[12:13], s[2:3]
; %bb.117:                              ;   in Loop: Header=BB159_51 Depth=1
	v_or_b32_e32 v7, 0x10000, v6
	v_cmp_eq_u32_sdwa s[2:3], v6, v25 src0_sel:WORD_0 src1_sel:DWORD
	v_cndmask_b32_e64 v39, v7, v6, s[2:3]
; %bb.118:                              ;   in Loop: Header=BB159_51 Depth=1
	s_or_b64 exec, exec, s[12:13]
	global_load_dwordx4 v[6:9], v[10:11], off offset:1024
	s_waitcnt vmcnt(0)
	v_lshrrev_b32_e32 v49, 16, v6
	v_lshrrev_b32_e32 v51, 16, v7
	;; [unrolled: 1-line block ×4, first 2 shown]
	s_and_saveexec_b64 s[12:13], vcc
	s_cbranch_execz .LBB159_120
; %bb.119:                              ;   in Loop: Header=BB159_51 Depth=1
	v_cmp_gt_i32_e64 s[2:3], s33, v31
	v_cndmask_b32_e64 v6, 0, v6, s[2:3]
	v_cmp_gt_i32_e64 s[2:3], s33, v38
	v_cndmask_b32_e64 v49, 0, v49, s[2:3]
	v_cmp_gt_i32_e64 s[2:3], s33, v37
	v_cndmask_b32_e64 v7, 0, v7, s[2:3]
	v_cmp_gt_i32_e64 s[2:3], s33, v35
	v_cndmask_b32_e64 v51, 0, v51, s[2:3]
	v_cmp_gt_i32_e64 s[2:3], s33, v34
	v_cndmask_b32_e64 v8, 0, v8, s[2:3]
	v_cmp_gt_i32_e64 s[2:3], s33, v33
	v_cndmask_b32_e64 v53, 0, v53, s[2:3]
	v_cmp_gt_i32_e64 s[2:3], s33, v32
	v_cndmask_b32_e64 v9, 0, v9, s[2:3]
	v_cmp_gt_i32_e64 s[2:3], s33, v36
	v_cndmask_b32_e64 v55, 0, v55, s[2:3]
.LBB159_120:                            ;   in Loop: Header=BB159_51 Depth=1
	s_or_b64 exec, exec, s[12:13]
	v_lshlrev_b32_e32 v6, 16, v6
	v_mul_f32_e32 v6, v40, v6
	v_and_b32_e32 v48, 0x7f800000, v6
	v_cmp_ne_u32_e64 s[2:3], s21, v48
                                        ; implicit-def: $vgpr48
	s_and_saveexec_b64 s[12:13], s[2:3]
	s_xor_b64 s[2:3], exec, s[12:13]
; %bb.121:                              ;   in Loop: Header=BB159_51 Depth=1
	v_bfe_u32 v48, v6, 16, 1
	v_add3_u32 v48, v6, v48, s22
                                        ; implicit-def: $vgpr6
; %bb.122:                              ;   in Loop: Header=BB159_51 Depth=1
	s_andn2_saveexec_b64 s[12:13], s[2:3]
; %bb.123:                              ;   in Loop: Header=BB159_51 Depth=1
	v_or_b32_e32 v48, 0x10000, v6
	v_cmp_eq_u32_sdwa s[2:3], v6, v25 src0_sel:WORD_0 src1_sel:DWORD
	v_cndmask_b32_e64 v48, v48, v6, s[2:3]
; %bb.124:                              ;   in Loop: Header=BB159_51 Depth=1
	s_or_b64 exec, exec, s[12:13]
	v_lshlrev_b32_e32 v6, 16, v49
	v_mul_f32_e32 v6, v41, v6
	v_and_b32_e32 v49, 0x7f800000, v6
	v_cmp_ne_u32_e64 s[2:3], s21, v49
                                        ; implicit-def: $vgpr49
	s_and_saveexec_b64 s[12:13], s[2:3]
	s_xor_b64 s[2:3], exec, s[12:13]
; %bb.125:                              ;   in Loop: Header=BB159_51 Depth=1
	v_bfe_u32 v49, v6, 16, 1
	v_add3_u32 v49, v6, v49, s22
                                        ; implicit-def: $vgpr6
; %bb.126:                              ;   in Loop: Header=BB159_51 Depth=1
	s_andn2_saveexec_b64 s[12:13], s[2:3]
; %bb.127:                              ;   in Loop: Header=BB159_51 Depth=1
	v_or_b32_e32 v49, 0x10000, v6
	v_cmp_eq_u32_sdwa s[2:3], v6, v25 src0_sel:WORD_0 src1_sel:DWORD
	v_cndmask_b32_e64 v49, v49, v6, s[2:3]
; %bb.128:                              ;   in Loop: Header=BB159_51 Depth=1
	s_or_b64 exec, exec, s[12:13]
	v_lshlrev_b32_e32 v6, 16, v7
	v_mul_f32_e32 v6, v42, v6
	v_and_b32_e32 v7, 0x7f800000, v6
	v_cmp_ne_u32_e64 s[2:3], s21, v7
                                        ; implicit-def: $vgpr50
	s_and_saveexec_b64 s[12:13], s[2:3]
	s_xor_b64 s[2:3], exec, s[12:13]
; %bb.129:                              ;   in Loop: Header=BB159_51 Depth=1
	v_bfe_u32 v7, v6, 16, 1
	v_add3_u32 v50, v6, v7, s22
                                        ; implicit-def: $vgpr6
; %bb.130:                              ;   in Loop: Header=BB159_51 Depth=1
	s_andn2_saveexec_b64 s[12:13], s[2:3]
; %bb.131:                              ;   in Loop: Header=BB159_51 Depth=1
	v_or_b32_e32 v7, 0x10000, v6
	v_cmp_eq_u32_sdwa s[2:3], v6, v25 src0_sel:WORD_0 src1_sel:DWORD
	v_cndmask_b32_e64 v50, v7, v6, s[2:3]
; %bb.132:                              ;   in Loop: Header=BB159_51 Depth=1
	s_or_b64 exec, exec, s[12:13]
	v_lshlrev_b32_e32 v6, 16, v51
	v_mul_f32_e32 v6, v43, v6
	v_and_b32_e32 v7, 0x7f800000, v6
	v_cmp_ne_u32_e64 s[2:3], s21, v7
                                        ; implicit-def: $vgpr51
	s_and_saveexec_b64 s[12:13], s[2:3]
	s_xor_b64 s[2:3], exec, s[12:13]
; %bb.133:                              ;   in Loop: Header=BB159_51 Depth=1
	v_bfe_u32 v7, v6, 16, 1
	v_add3_u32 v51, v6, v7, s22
                                        ; implicit-def: $vgpr6
; %bb.134:                              ;   in Loop: Header=BB159_51 Depth=1
	s_andn2_saveexec_b64 s[12:13], s[2:3]
; %bb.135:                              ;   in Loop: Header=BB159_51 Depth=1
	v_or_b32_e32 v7, 0x10000, v6
	v_cmp_eq_u32_sdwa s[2:3], v6, v25 src0_sel:WORD_0 src1_sel:DWORD
	v_cndmask_b32_e64 v51, v7, v6, s[2:3]
; %bb.136:                              ;   in Loop: Header=BB159_51 Depth=1
	s_or_b64 exec, exec, s[12:13]
	v_lshlrev_b32_e32 v6, 16, v8
	v_mul_f32_e32 v6, v44, v6
	v_and_b32_e32 v7, 0x7f800000, v6
	v_cmp_ne_u32_e64 s[2:3], s21, v7
                                        ; implicit-def: $vgpr52
	s_and_saveexec_b64 s[12:13], s[2:3]
	s_xor_b64 s[2:3], exec, s[12:13]
; %bb.137:                              ;   in Loop: Header=BB159_51 Depth=1
	v_bfe_u32 v7, v6, 16, 1
	v_add3_u32 v52, v6, v7, s22
                                        ; implicit-def: $vgpr6
; %bb.138:                              ;   in Loop: Header=BB159_51 Depth=1
	s_andn2_saveexec_b64 s[12:13], s[2:3]
; %bb.139:                              ;   in Loop: Header=BB159_51 Depth=1
	v_or_b32_e32 v7, 0x10000, v6
	v_cmp_eq_u32_sdwa s[2:3], v6, v25 src0_sel:WORD_0 src1_sel:DWORD
	v_cndmask_b32_e64 v52, v7, v6, s[2:3]
; %bb.140:                              ;   in Loop: Header=BB159_51 Depth=1
	s_or_b64 exec, exec, s[12:13]
	v_lshlrev_b32_e32 v6, 16, v53
	v_mul_f32_e32 v6, v45, v6
	v_and_b32_e32 v7, 0x7f800000, v6
	v_cmp_ne_u32_e64 s[2:3], s21, v7
                                        ; implicit-def: $vgpr53
	s_and_saveexec_b64 s[12:13], s[2:3]
	s_xor_b64 s[2:3], exec, s[12:13]
; %bb.141:                              ;   in Loop: Header=BB159_51 Depth=1
	v_bfe_u32 v7, v6, 16, 1
	v_add3_u32 v53, v6, v7, s22
                                        ; implicit-def: $vgpr6
; %bb.142:                              ;   in Loop: Header=BB159_51 Depth=1
	s_andn2_saveexec_b64 s[12:13], s[2:3]
; %bb.143:                              ;   in Loop: Header=BB159_51 Depth=1
	v_or_b32_e32 v7, 0x10000, v6
	v_cmp_eq_u32_sdwa s[2:3], v6, v25 src0_sel:WORD_0 src1_sel:DWORD
	v_cndmask_b32_e64 v53, v7, v6, s[2:3]
; %bb.144:                              ;   in Loop: Header=BB159_51 Depth=1
	s_or_b64 exec, exec, s[12:13]
	v_lshlrev_b32_e32 v6, 16, v9
	v_mul_f32_e32 v6, v46, v6
	v_and_b32_e32 v7, 0x7f800000, v6
	v_cmp_ne_u32_e64 s[2:3], s21, v7
                                        ; implicit-def: $vgpr54
	s_and_saveexec_b64 s[12:13], s[2:3]
	s_xor_b64 s[2:3], exec, s[12:13]
; %bb.145:                              ;   in Loop: Header=BB159_51 Depth=1
	v_bfe_u32 v7, v6, 16, 1
	v_add3_u32 v54, v6, v7, s22
                                        ; implicit-def: $vgpr6
; %bb.146:                              ;   in Loop: Header=BB159_51 Depth=1
	s_andn2_saveexec_b64 s[12:13], s[2:3]
; %bb.147:                              ;   in Loop: Header=BB159_51 Depth=1
	v_or_b32_e32 v7, 0x10000, v6
	v_cmp_eq_u32_sdwa s[2:3], v6, v25 src0_sel:WORD_0 src1_sel:DWORD
	v_cndmask_b32_e64 v54, v7, v6, s[2:3]
; %bb.148:                              ;   in Loop: Header=BB159_51 Depth=1
	s_or_b64 exec, exec, s[12:13]
	v_lshlrev_b32_e32 v6, 16, v55
	v_mul_f32_e32 v6, v47, v6
	v_and_b32_e32 v7, 0x7f800000, v6
	v_cmp_ne_u32_e64 s[2:3], s21, v7
                                        ; implicit-def: $vgpr55
	s_and_saveexec_b64 s[12:13], s[2:3]
	s_xor_b64 s[2:3], exec, s[12:13]
; %bb.149:                              ;   in Loop: Header=BB159_51 Depth=1
	v_bfe_u32 v7, v6, 16, 1
	v_add3_u32 v55, v6, v7, s22
                                        ; implicit-def: $vgpr6
; %bb.150:                              ;   in Loop: Header=BB159_51 Depth=1
	s_andn2_saveexec_b64 s[12:13], s[2:3]
; %bb.151:                              ;   in Loop: Header=BB159_51 Depth=1
	v_or_b32_e32 v7, 0x10000, v6
	v_cmp_eq_u32_sdwa s[2:3], v6, v25 src0_sel:WORD_0 src1_sel:DWORD
	v_cndmask_b32_e64 v55, v7, v6, s[2:3]
; %bb.152:                              ;   in Loop: Header=BB159_51 Depth=1
	s_or_b64 exec, exec, s[12:13]
	global_load_dwordx4 v[6:9], v[10:11], off offset:2048
	s_waitcnt vmcnt(0)
	v_lshrrev_b32_e32 v57, 16, v6
	v_lshrrev_b32_e32 v59, 16, v7
	;; [unrolled: 1-line block ×4, first 2 shown]
	s_and_saveexec_b64 s[12:13], vcc
	s_cbranch_execz .LBB159_154
; %bb.153:                              ;   in Loop: Header=BB159_51 Depth=1
	v_cmp_gt_i32_e64 s[2:3], s33, v31
	v_cndmask_b32_e64 v6, 0, v6, s[2:3]
	v_cmp_gt_i32_e64 s[2:3], s33, v38
	v_cndmask_b32_e64 v57, 0, v57, s[2:3]
	;; [unrolled: 2-line block ×8, first 2 shown]
.LBB159_154:                            ;   in Loop: Header=BB159_51 Depth=1
	s_or_b64 exec, exec, s[12:13]
	v_lshlrev_b32_e32 v6, 16, v6
	v_mul_f32_e32 v6, v40, v6
	v_and_b32_e32 v56, 0x7f800000, v6
	v_cmp_ne_u32_e64 s[2:3], s21, v56
                                        ; implicit-def: $vgpr56
	s_and_saveexec_b64 s[12:13], s[2:3]
	s_xor_b64 s[2:3], exec, s[12:13]
; %bb.155:                              ;   in Loop: Header=BB159_51 Depth=1
	v_bfe_u32 v56, v6, 16, 1
	v_add3_u32 v56, v6, v56, s22
                                        ; implicit-def: $vgpr6
; %bb.156:                              ;   in Loop: Header=BB159_51 Depth=1
	s_andn2_saveexec_b64 s[12:13], s[2:3]
; %bb.157:                              ;   in Loop: Header=BB159_51 Depth=1
	v_or_b32_e32 v56, 0x10000, v6
	v_cmp_eq_u32_sdwa s[2:3], v6, v25 src0_sel:WORD_0 src1_sel:DWORD
	v_cndmask_b32_e64 v56, v56, v6, s[2:3]
; %bb.158:                              ;   in Loop: Header=BB159_51 Depth=1
	s_or_b64 exec, exec, s[12:13]
	v_lshlrev_b32_e32 v6, 16, v57
	v_mul_f32_e32 v6, v41, v6
	v_and_b32_e32 v57, 0x7f800000, v6
	v_cmp_ne_u32_e64 s[2:3], s21, v57
                                        ; implicit-def: $vgpr57
	s_and_saveexec_b64 s[12:13], s[2:3]
	s_xor_b64 s[2:3], exec, s[12:13]
; %bb.159:                              ;   in Loop: Header=BB159_51 Depth=1
	v_bfe_u32 v57, v6, 16, 1
	v_add3_u32 v57, v6, v57, s22
                                        ; implicit-def: $vgpr6
; %bb.160:                              ;   in Loop: Header=BB159_51 Depth=1
	s_andn2_saveexec_b64 s[12:13], s[2:3]
; %bb.161:                              ;   in Loop: Header=BB159_51 Depth=1
	v_or_b32_e32 v57, 0x10000, v6
	v_cmp_eq_u32_sdwa s[2:3], v6, v25 src0_sel:WORD_0 src1_sel:DWORD
	v_cndmask_b32_e64 v57, v57, v6, s[2:3]
; %bb.162:                              ;   in Loop: Header=BB159_51 Depth=1
	s_or_b64 exec, exec, s[12:13]
	v_lshlrev_b32_e32 v6, 16, v7
	v_mul_f32_e32 v6, v42, v6
	v_and_b32_e32 v7, 0x7f800000, v6
	v_cmp_ne_u32_e64 s[2:3], s21, v7
                                        ; implicit-def: $vgpr58
	s_and_saveexec_b64 s[12:13], s[2:3]
	s_xor_b64 s[2:3], exec, s[12:13]
; %bb.163:                              ;   in Loop: Header=BB159_51 Depth=1
	v_bfe_u32 v7, v6, 16, 1
	v_add3_u32 v58, v6, v7, s22
                                        ; implicit-def: $vgpr6
; %bb.164:                              ;   in Loop: Header=BB159_51 Depth=1
	s_andn2_saveexec_b64 s[12:13], s[2:3]
; %bb.165:                              ;   in Loop: Header=BB159_51 Depth=1
	v_or_b32_e32 v7, 0x10000, v6
	v_cmp_eq_u32_sdwa s[2:3], v6, v25 src0_sel:WORD_0 src1_sel:DWORD
	v_cndmask_b32_e64 v58, v7, v6, s[2:3]
; %bb.166:                              ;   in Loop: Header=BB159_51 Depth=1
	s_or_b64 exec, exec, s[12:13]
	v_lshlrev_b32_e32 v6, 16, v59
	v_mul_f32_e32 v6, v43, v6
	v_and_b32_e32 v7, 0x7f800000, v6
	v_cmp_ne_u32_e64 s[2:3], s21, v7
                                        ; implicit-def: $vgpr59
	s_and_saveexec_b64 s[12:13], s[2:3]
	s_xor_b64 s[2:3], exec, s[12:13]
; %bb.167:                              ;   in Loop: Header=BB159_51 Depth=1
	v_bfe_u32 v7, v6, 16, 1
	v_add3_u32 v59, v6, v7, s22
                                        ; implicit-def: $vgpr6
; %bb.168:                              ;   in Loop: Header=BB159_51 Depth=1
	s_andn2_saveexec_b64 s[12:13], s[2:3]
; %bb.169:                              ;   in Loop: Header=BB159_51 Depth=1
	v_or_b32_e32 v7, 0x10000, v6
	v_cmp_eq_u32_sdwa s[2:3], v6, v25 src0_sel:WORD_0 src1_sel:DWORD
	v_cndmask_b32_e64 v59, v7, v6, s[2:3]
; %bb.170:                              ;   in Loop: Header=BB159_51 Depth=1
	s_or_b64 exec, exec, s[12:13]
	v_lshlrev_b32_e32 v6, 16, v8
	v_mul_f32_e32 v6, v44, v6
	v_and_b32_e32 v7, 0x7f800000, v6
	v_cmp_ne_u32_e64 s[2:3], s21, v7
                                        ; implicit-def: $vgpr60
	s_and_saveexec_b64 s[12:13], s[2:3]
	s_xor_b64 s[2:3], exec, s[12:13]
; %bb.171:                              ;   in Loop: Header=BB159_51 Depth=1
	v_bfe_u32 v7, v6, 16, 1
	v_add3_u32 v60, v6, v7, s22
                                        ; implicit-def: $vgpr6
; %bb.172:                              ;   in Loop: Header=BB159_51 Depth=1
	s_andn2_saveexec_b64 s[12:13], s[2:3]
; %bb.173:                              ;   in Loop: Header=BB159_51 Depth=1
	v_or_b32_e32 v7, 0x10000, v6
	v_cmp_eq_u32_sdwa s[2:3], v6, v25 src0_sel:WORD_0 src1_sel:DWORD
	v_cndmask_b32_e64 v60, v7, v6, s[2:3]
; %bb.174:                              ;   in Loop: Header=BB159_51 Depth=1
	s_or_b64 exec, exec, s[12:13]
	v_lshlrev_b32_e32 v6, 16, v61
	v_mul_f32_e32 v6, v45, v6
	v_and_b32_e32 v7, 0x7f800000, v6
	v_cmp_ne_u32_e64 s[2:3], s21, v7
                                        ; implicit-def: $vgpr61
	s_and_saveexec_b64 s[12:13], s[2:3]
	s_xor_b64 s[2:3], exec, s[12:13]
; %bb.175:                              ;   in Loop: Header=BB159_51 Depth=1
	v_bfe_u32 v7, v6, 16, 1
	v_add3_u32 v61, v6, v7, s22
                                        ; implicit-def: $vgpr6
; %bb.176:                              ;   in Loop: Header=BB159_51 Depth=1
	s_andn2_saveexec_b64 s[12:13], s[2:3]
; %bb.177:                              ;   in Loop: Header=BB159_51 Depth=1
	v_or_b32_e32 v7, 0x10000, v6
	v_cmp_eq_u32_sdwa s[2:3], v6, v25 src0_sel:WORD_0 src1_sel:DWORD
	v_cndmask_b32_e64 v61, v7, v6, s[2:3]
; %bb.178:                              ;   in Loop: Header=BB159_51 Depth=1
	s_or_b64 exec, exec, s[12:13]
	v_lshlrev_b32_e32 v6, 16, v9
	v_mul_f32_e32 v6, v46, v6
	v_and_b32_e32 v7, 0x7f800000, v6
	v_cmp_ne_u32_e64 s[2:3], s21, v7
                                        ; implicit-def: $vgpr62
	s_and_saveexec_b64 s[12:13], s[2:3]
	s_xor_b64 s[2:3], exec, s[12:13]
; %bb.179:                              ;   in Loop: Header=BB159_51 Depth=1
	v_bfe_u32 v7, v6, 16, 1
	v_add3_u32 v62, v6, v7, s22
                                        ; implicit-def: $vgpr6
; %bb.180:                              ;   in Loop: Header=BB159_51 Depth=1
	s_andn2_saveexec_b64 s[12:13], s[2:3]
; %bb.181:                              ;   in Loop: Header=BB159_51 Depth=1
	v_or_b32_e32 v7, 0x10000, v6
	v_cmp_eq_u32_sdwa s[2:3], v6, v25 src0_sel:WORD_0 src1_sel:DWORD
	v_cndmask_b32_e64 v62, v7, v6, s[2:3]
; %bb.182:                              ;   in Loop: Header=BB159_51 Depth=1
	s_or_b64 exec, exec, s[12:13]
	v_lshlrev_b32_e32 v6, 16, v63
	v_mul_f32_e32 v6, v47, v6
	v_and_b32_e32 v7, 0x7f800000, v6
	v_cmp_ne_u32_e64 s[2:3], s21, v7
                                        ; implicit-def: $vgpr63
	s_and_saveexec_b64 s[12:13], s[2:3]
	s_xor_b64 s[2:3], exec, s[12:13]
; %bb.183:                              ;   in Loop: Header=BB159_51 Depth=1
	v_bfe_u32 v7, v6, 16, 1
	v_add3_u32 v63, v6, v7, s22
                                        ; implicit-def: $vgpr6
; %bb.184:                              ;   in Loop: Header=BB159_51 Depth=1
	s_andn2_saveexec_b64 s[12:13], s[2:3]
; %bb.185:                              ;   in Loop: Header=BB159_51 Depth=1
	v_or_b32_e32 v7, 0x10000, v6
	v_cmp_eq_u32_sdwa s[2:3], v6, v25 src0_sel:WORD_0 src1_sel:DWORD
	v_cndmask_b32_e64 v63, v7, v6, s[2:3]
; %bb.186:                              ;   in Loop: Header=BB159_51 Depth=1
	s_or_b64 exec, exec, s[12:13]
	global_load_dwordx4 v[6:9], v[10:11], off offset:3072
	s_waitcnt vmcnt(0)
	v_lshrrev_b32_e32 v10, 16, v6
	v_lshrrev_b32_e32 v65, 16, v7
	;; [unrolled: 1-line block ×4, first 2 shown]
	s_and_saveexec_b64 s[2:3], vcc
	s_cbranch_execz .LBB159_188
; %bb.187:                              ;   in Loop: Header=BB159_51 Depth=1
	v_cmp_gt_i32_e32 vcc, s33, v31
	v_cndmask_b32_e32 v6, 0, v6, vcc
	v_cmp_gt_i32_e32 vcc, s33, v38
	v_cndmask_b32_e32 v10, 0, v10, vcc
	v_cmp_gt_i32_e32 vcc, s33, v37
	v_cndmask_b32_e32 v7, 0, v7, vcc
	v_cmp_gt_i32_e32 vcc, s33, v35
	v_cndmask_b32_e32 v65, 0, v65, vcc
	v_cmp_gt_i32_e32 vcc, s33, v34
	v_cndmask_b32_e32 v8, 0, v8, vcc
	v_cmp_gt_i32_e32 vcc, s33, v33
	v_cndmask_b32_e32 v64, 0, v64, vcc
	v_cmp_gt_i32_e32 vcc, s33, v32
	v_cndmask_b32_e32 v9, 0, v9, vcc
	v_cmp_gt_i32_e32 vcc, s33, v36
	v_cndmask_b32_e32 v11, 0, v11, vcc
.LBB159_188:                            ;   in Loop: Header=BB159_51 Depth=1
	s_or_b64 exec, exec, s[2:3]
	v_lshlrev_b32_e32 v6, 16, v6
	v_mul_f32_e32 v31, v40, v6
	v_and_b32_e32 v6, 0x7f800000, v31
	v_cmp_ne_u32_e32 vcc, s21, v6
                                        ; implicit-def: $vgpr6
	s_and_saveexec_b64 s[2:3], vcc
	s_xor_b64 s[2:3], exec, s[2:3]
; %bb.189:                              ;   in Loop: Header=BB159_51 Depth=1
	v_bfe_u32 v6, v31, 16, 1
	v_add3_u32 v6, v31, v6, s22
                                        ; implicit-def: $vgpr31
; %bb.190:                              ;   in Loop: Header=BB159_51 Depth=1
	s_andn2_saveexec_b64 s[2:3], s[2:3]
; %bb.191:                              ;   in Loop: Header=BB159_51 Depth=1
	v_or_b32_e32 v6, 0x10000, v31
	v_cmp_eq_u32_sdwa vcc, v31, v25 src0_sel:WORD_0 src1_sel:DWORD
	v_cndmask_b32_e32 v6, v6, v31, vcc
; %bb.192:                              ;   in Loop: Header=BB159_51 Depth=1
	s_or_b64 exec, exec, s[2:3]
	v_lshlrev_b32_e32 v10, 16, v10
	v_mul_f32_e32 v31, v41, v10
	v_and_b32_e32 v10, 0x7f800000, v31
	v_cmp_ne_u32_e32 vcc, s21, v10
                                        ; implicit-def: $vgpr10
	s_and_saveexec_b64 s[2:3], vcc
	s_xor_b64 s[2:3], exec, s[2:3]
; %bb.193:                              ;   in Loop: Header=BB159_51 Depth=1
	v_bfe_u32 v10, v31, 16, 1
	v_add3_u32 v10, v31, v10, s22
                                        ; implicit-def: $vgpr31
; %bb.194:                              ;   in Loop: Header=BB159_51 Depth=1
	s_andn2_saveexec_b64 s[2:3], s[2:3]
; %bb.195:                              ;   in Loop: Header=BB159_51 Depth=1
	v_or_b32_e32 v10, 0x10000, v31
	v_cmp_eq_u32_sdwa vcc, v31, v25 src0_sel:WORD_0 src1_sel:DWORD
	v_cndmask_b32_e32 v10, v10, v31, vcc
; %bb.196:                              ;   in Loop: Header=BB159_51 Depth=1
	s_or_b64 exec, exec, s[2:3]
	v_lshlrev_b32_e32 v7, 16, v7
	v_mul_f32_e32 v31, v42, v7
	v_and_b32_e32 v7, 0x7f800000, v31
	v_cmp_ne_u32_e32 vcc, s21, v7
                                        ; implicit-def: $vgpr7
	s_and_saveexec_b64 s[2:3], vcc
	s_xor_b64 s[2:3], exec, s[2:3]
; %bb.197:                              ;   in Loop: Header=BB159_51 Depth=1
	v_bfe_u32 v7, v31, 16, 1
	v_add3_u32 v7, v31, v7, s22
                                        ; implicit-def: $vgpr31
; %bb.198:                              ;   in Loop: Header=BB159_51 Depth=1
	s_andn2_saveexec_b64 s[2:3], s[2:3]
; %bb.199:                              ;   in Loop: Header=BB159_51 Depth=1
	v_or_b32_e32 v7, 0x10000, v31
	v_cmp_eq_u32_sdwa vcc, v31, v25 src0_sel:WORD_0 src1_sel:DWORD
	v_cndmask_b32_e32 v7, v7, v31, vcc
; %bb.200:                              ;   in Loop: Header=BB159_51 Depth=1
	s_or_b64 exec, exec, s[2:3]
	v_lshlrev_b32_e32 v31, 16, v65
	v_mul_f32_e32 v32, v43, v31
	v_and_b32_e32 v31, 0x7f800000, v32
	v_cmp_ne_u32_e32 vcc, s21, v31
                                        ; implicit-def: $vgpr31
	s_and_saveexec_b64 s[2:3], vcc
	s_xor_b64 s[2:3], exec, s[2:3]
; %bb.201:                              ;   in Loop: Header=BB159_51 Depth=1
	v_bfe_u32 v31, v32, 16, 1
	v_add3_u32 v31, v32, v31, s22
                                        ; implicit-def: $vgpr32
; %bb.202:                              ;   in Loop: Header=BB159_51 Depth=1
	s_andn2_saveexec_b64 s[2:3], s[2:3]
; %bb.203:                              ;   in Loop: Header=BB159_51 Depth=1
	v_or_b32_e32 v31, 0x10000, v32
	v_cmp_eq_u32_sdwa vcc, v32, v25 src0_sel:WORD_0 src1_sel:DWORD
	v_cndmask_b32_e32 v31, v31, v32, vcc
; %bb.204:                              ;   in Loop: Header=BB159_51 Depth=1
	s_or_b64 exec, exec, s[2:3]
	v_lshlrev_b32_e32 v8, 16, v8
	v_mul_f32_e32 v32, v44, v8
	v_and_b32_e32 v8, 0x7f800000, v32
	v_cmp_ne_u32_e32 vcc, s21, v8
                                        ; implicit-def: $vgpr8
	s_and_saveexec_b64 s[2:3], vcc
	s_xor_b64 s[2:3], exec, s[2:3]
; %bb.205:                              ;   in Loop: Header=BB159_51 Depth=1
	v_bfe_u32 v8, v32, 16, 1
	v_add3_u32 v8, v32, v8, s22
                                        ; implicit-def: $vgpr32
; %bb.206:                              ;   in Loop: Header=BB159_51 Depth=1
	s_andn2_saveexec_b64 s[2:3], s[2:3]
; %bb.207:                              ;   in Loop: Header=BB159_51 Depth=1
	v_or_b32_e32 v8, 0x10000, v32
	v_cmp_eq_u32_sdwa vcc, v32, v25 src0_sel:WORD_0 src1_sel:DWORD
	v_cndmask_b32_e32 v8, v8, v32, vcc
; %bb.208:                              ;   in Loop: Header=BB159_51 Depth=1
	s_or_b64 exec, exec, s[2:3]
	v_lshlrev_b32_e32 v32, 16, v64
	v_mul_f32_e32 v33, v45, v32
	v_and_b32_e32 v32, 0x7f800000, v33
	v_cmp_ne_u32_e32 vcc, s21, v32
                                        ; implicit-def: $vgpr32
	s_and_saveexec_b64 s[2:3], vcc
	s_xor_b64 s[2:3], exec, s[2:3]
; %bb.209:                              ;   in Loop: Header=BB159_51 Depth=1
	v_bfe_u32 v32, v33, 16, 1
	v_add3_u32 v32, v33, v32, s22
                                        ; implicit-def: $vgpr33
; %bb.210:                              ;   in Loop: Header=BB159_51 Depth=1
	s_andn2_saveexec_b64 s[2:3], s[2:3]
; %bb.211:                              ;   in Loop: Header=BB159_51 Depth=1
	v_or_b32_e32 v32, 0x10000, v33
	v_cmp_eq_u32_sdwa vcc, v33, v25 src0_sel:WORD_0 src1_sel:DWORD
	v_cndmask_b32_e32 v32, v32, v33, vcc
; %bb.212:                              ;   in Loop: Header=BB159_51 Depth=1
	s_or_b64 exec, exec, s[2:3]
	v_lshlrev_b32_e32 v9, 16, v9
	v_mul_f32_e32 v33, v46, v9
	v_and_b32_e32 v9, 0x7f800000, v33
	v_cmp_ne_u32_e32 vcc, s21, v9
                                        ; implicit-def: $vgpr9
	s_and_saveexec_b64 s[2:3], vcc
	s_xor_b64 s[2:3], exec, s[2:3]
; %bb.213:                              ;   in Loop: Header=BB159_51 Depth=1
	v_bfe_u32 v9, v33, 16, 1
	v_add3_u32 v9, v33, v9, s22
                                        ; implicit-def: $vgpr33
; %bb.214:                              ;   in Loop: Header=BB159_51 Depth=1
	s_andn2_saveexec_b64 s[2:3], s[2:3]
; %bb.215:                              ;   in Loop: Header=BB159_51 Depth=1
	v_or_b32_e32 v9, 0x10000, v33
	v_cmp_eq_u32_sdwa vcc, v33, v25 src0_sel:WORD_0 src1_sel:DWORD
	v_cndmask_b32_e32 v9, v9, v33, vcc
; %bb.216:                              ;   in Loop: Header=BB159_51 Depth=1
	s_or_b64 exec, exec, s[2:3]
	v_lshlrev_b32_e32 v11, 16, v11
	v_mul_f32_e32 v33, v47, v11
	v_and_b32_e32 v11, 0x7f800000, v33
	v_cmp_ne_u32_e32 vcc, s21, v11
                                        ; implicit-def: $vgpr11
	s_and_saveexec_b64 s[2:3], vcc
	s_xor_b64 s[2:3], exec, s[2:3]
; %bb.217:                              ;   in Loop: Header=BB159_51 Depth=1
	v_bfe_u32 v11, v33, 16, 1
	v_add3_u32 v11, v33, v11, s22
                                        ; implicit-def: $vgpr33
; %bb.218:                              ;   in Loop: Header=BB159_51 Depth=1
	s_andn2_saveexec_b64 s[2:3], s[2:3]
	s_cbranch_execz .LBB159_49
; %bb.219:                              ;   in Loop: Header=BB159_51 Depth=1
	v_or_b32_e32 v11, 0x10000, v33
	v_cmp_eq_u32_sdwa vcc, v33, v25 src0_sel:WORD_0 src1_sel:DWORD
	v_cndmask_b32_e32 v11, v11, v33, vcc
	s_branch .LBB159_49
.LBB159_220:
	s_or_b64 exec, exec, s[6:7]
.LBB159_221:
	s_or_b64 exec, exec, s[4:5]
	ds_bpermute_b32 v6, v19, v2
	ds_bpermute_b32 v7, v19, v3
	;; [unrolled: 1-line block ×4, first 2 shown]
	v_and_b32_e32 v1, 0x3c1, v0
	v_cmp_eq_u32_e32 vcc, 64, v1
	s_waitcnt lgkmcnt(2)
	v_pk_add_f32 v[6:7], v[2:3], v[6:7]
	s_waitcnt lgkmcnt(0)
	v_pk_add_f32 v[2:3], v[4:5], v[8:9]
	s_barrier
	s_and_saveexec_b64 s[2:3], vcc
	s_cbranch_execz .LBB159_223
; %bb.222:
	v_mov_b32_e32 v1, 0x110
	v_lshl_add_u32 v1, v18, 1, v1
	ds_write2_b32 v1, v6, v7 offset1:32
	ds_write2_b32 v1, v2, v3 offset0:64 offset1:96
.LBB159_223:
	s_or_b64 exec, exec, s[2:3]
	s_waitcnt lgkmcnt(0)
	s_barrier
	s_and_saveexec_b64 s[2:3], s[0:1]
	s_cbranch_execz .LBB159_230
; %bb.224:
	v_cmp_eq_u32_e32 vcc, 0, v20
	v_lshrrev_b32_e32 v1, 1, v0
	s_and_saveexec_b64 s[4:5], vcc
	s_cbranch_execnz .LBB159_250
; %bb.225:
	s_or_b64 exec, exec, s[4:5]
	s_and_saveexec_b64 s[4:5], vcc
	s_cbranch_execnz .LBB159_251
.LBB159_226:
	s_or_b64 exec, exec, s[4:5]
	s_and_saveexec_b64 s[4:5], vcc
	s_cbranch_execnz .LBB159_252
.LBB159_227:
	s_or_b64 exec, exec, s[4:5]
	s_and_saveexec_b64 s[4:5], vcc
	s_cbranch_execz .LBB159_229
.LBB159_228:
	v_mov_b32_e32 v4, 0x110
	v_lshl_add_u32 v1, v1, 2, v4
	ds_read_b32 v1, v1 offset:384
	s_waitcnt lgkmcnt(0)
	v_add_f32_e32 v3, v3, v1
.LBB159_229:
	s_or_b64 exec, exec, s[4:5]
.LBB159_230:
	s_or_b64 exec, exec, s[2:3]
	s_barrier
	s_and_saveexec_b64 s[2:3], s[0:1]
	s_cbranch_execz .LBB159_249
; %bb.231:
	v_cmp_eq_u32_e32 vcc, 0, v20
	s_and_b64 exec, exec, vcc
	s_cbranch_execz .LBB159_249
; %bb.232:
	s_mov_b32 s0, 0x7f800000
	v_and_b32_e32 v1, 0x7f800000, v6
	v_cmp_ne_u32_e32 vcc, s0, v1
                                        ; implicit-def: $vgpr1
	s_and_saveexec_b64 s[0:1], vcc
	s_xor_b64 s[0:1], exec, s[0:1]
; %bb.233:
	v_bfe_u32 v1, v6, 16, 1
	s_movk_i32 s2, 0x7fff
	v_add3_u32 v1, v6, v1, s2
; %bb.234:
	s_andn2_saveexec_b64 s[0:1], s[0:1]
; %bb.235:
	v_mov_b32_e32 v1, 0
	v_or_b32_e32 v4, 0x10000, v6
	v_cmp_eq_u32_sdwa vcc, v6, v1 src0_sel:WORD_0 src1_sel:DWORD
	v_cndmask_b32_e32 v1, v4, v6, vcc
; %bb.236:
	s_or_b64 exec, exec, s[0:1]
	s_mul_i32 s0, s16, s14
	s_mul_i32 s0, s0, s15
	s_lshl_b32 s0, s0, 7
	s_ashr_i32 s1, s0, 31
	s_lshl_b64 s[0:1], s[0:1], 1
	s_add_u32 s2, s30, s0
	s_mul_i32 s0, s16, s28
	s_addc_u32 s3, s31, s1
	s_ashr_i32 s1, s0, 31
	s_lshl_b64 s[0:1], s[0:1], 1
	s_add_u32 s2, s2, s0
	s_addc_u32 s3, s3, s1
	s_lshl_b32 s0, s8, 7
	s_ashr_i32 s1, s0, 31
	s_lshl_b64 s[0:1], s[0:1], 1
	s_add_u32 s0, s2, s0
	s_addc_u32 s1, s3, s1
	v_and_b32_e32 v0, 0x3fe, v0
	v_mov_b32_e32 v5, s1
	v_add_co_u32_e32 v4, vcc, s0, v0
	v_addc_co_u32_e32 v5, vcc, 0, v5, vcc
	global_store_short_d16_hi v0, v1, s[0:1]
	s_mov_b32 s0, 0x7f800000
	v_and_b32_e32 v0, 0x7f800000, v7
	v_cmp_ne_u32_e32 vcc, s0, v0
                                        ; implicit-def: $vgpr0
	s_and_saveexec_b64 s[0:1], vcc
	s_xor_b64 s[0:1], exec, s[0:1]
; %bb.237:
	v_bfe_u32 v0, v7, 16, 1
	s_movk_i32 s2, 0x7fff
	v_add3_u32 v0, v7, v0, s2
; %bb.238:
	s_andn2_saveexec_b64 s[0:1], s[0:1]
; %bb.239:
	v_mov_b32_e32 v0, 0
	v_or_b32_e32 v1, 0x10000, v7
	v_cmp_eq_u32_sdwa vcc, v7, v0 src0_sel:WORD_0 src1_sel:DWORD
	v_cndmask_b32_e32 v0, v1, v7, vcc
; %bb.240:
	s_or_b64 exec, exec, s[0:1]
	global_store_short_d16_hi v[4:5], v0, off offset:64
	s_mov_b32 s0, 0x7f800000
	v_and_b32_e32 v0, 0x7f800000, v2
	v_cmp_ne_u32_e32 vcc, s0, v0
                                        ; implicit-def: $vgpr0
	s_and_saveexec_b64 s[0:1], vcc
	s_xor_b64 s[0:1], exec, s[0:1]
; %bb.241:
	v_bfe_u32 v0, v2, 16, 1
	s_movk_i32 s2, 0x7fff
	v_add3_u32 v0, v2, v0, s2
; %bb.242:
	s_andn2_saveexec_b64 s[0:1], s[0:1]
; %bb.243:
	v_mov_b32_e32 v0, 0
	v_or_b32_e32 v1, 0x10000, v2
	v_cmp_eq_u32_sdwa vcc, v2, v0 src0_sel:WORD_0 src1_sel:DWORD
	v_cndmask_b32_e32 v0, v1, v2, vcc
; %bb.244:
	s_or_b64 exec, exec, s[0:1]
	global_store_short_d16_hi v[4:5], v0, off offset:128
	s_mov_b32 s0, 0x7f800000
	v_and_b32_e32 v0, 0x7f800000, v3
	v_cmp_ne_u32_e32 vcc, s0, v0
                                        ; implicit-def: $vgpr6
	s_and_saveexec_b64 s[0:1], vcc
	s_xor_b64 s[0:1], exec, s[0:1]
; %bb.245:
	v_bfe_u32 v0, v3, 16, 1
	s_movk_i32 s2, 0x7fff
	v_add3_u32 v6, v3, v0, s2
                                        ; implicit-def: $vgpr0_vgpr1_vgpr2_vgpr3
; %bb.246:
	s_andn2_saveexec_b64 s[0:1], s[0:1]
; %bb.247:
	v_mov_b32_e32 v0, 0
	v_or_b32_e32 v1, 0x10000, v3
	v_cmp_eq_u32_sdwa vcc, v3, v0 src0_sel:WORD_0 src1_sel:DWORD
	v_cndmask_b32_e32 v6, v1, v3, vcc
; %bb.248:
	s_or_b64 exec, exec, s[0:1]
	global_store_short_d16_hi v[4:5], v6, off offset:192
.LBB159_249:
	s_endpgm
.LBB159_250:
	v_mov_b32_e32 v4, 0x110
	v_lshl_add_u32 v4, v1, 2, v4
	ds_read_b32 v4, v4
	s_waitcnt lgkmcnt(0)
	v_add_f32_e32 v6, v6, v4
	s_or_b64 exec, exec, s[4:5]
	s_and_saveexec_b64 s[4:5], vcc
	s_cbranch_execz .LBB159_226
.LBB159_251:
	v_mov_b32_e32 v4, 0x110
	v_lshl_add_u32 v4, v1, 2, v4
	ds_read_b32 v4, v4 offset:128
	s_waitcnt lgkmcnt(0)
	v_add_f32_e32 v7, v7, v4
	s_or_b64 exec, exec, s[4:5]
	s_and_saveexec_b64 s[4:5], vcc
	s_cbranch_execz .LBB159_227
.LBB159_252:
	v_mov_b32_e32 v4, 0x110
	v_lshl_add_u32 v4, v1, 2, v4
	ds_read_b32 v4, v4 offset:256
	s_waitcnt lgkmcnt(0)
	v_add_f32_e32 v2, v2, v4
	s_or_b64 exec, exec, s[4:5]
	s_and_saveexec_b64 s[4:5], vcc
	s_cbranch_execnz .LBB159_228
	s_branch .LBB159_229
	.section	.rodata,"a",@progbits
	.p2align	6, 0x0
	.amdhsa_kernel _ZN4vllm25paged_attention_v2_kernelI14__hip_bfloat16S1_Li128ELi16ELi128ELNS_18Fp8KVCacheDataTypeE0ELb1ELi512EEEvPfS3_PT_PKS4_PKT0_SA_ifPKiSC_iPKfiiiSE_SE_iiiii
		.amdhsa_group_segment_fixed_size 272
		.amdhsa_private_segment_fixed_size 0
		.amdhsa_kernarg_size 400
		.amdhsa_user_sgpr_count 6
		.amdhsa_user_sgpr_private_segment_buffer 1
		.amdhsa_user_sgpr_dispatch_ptr 0
		.amdhsa_user_sgpr_queue_ptr 0
		.amdhsa_user_sgpr_kernarg_segment_ptr 1
		.amdhsa_user_sgpr_dispatch_id 0
		.amdhsa_user_sgpr_flat_scratch_init 0
		.amdhsa_user_sgpr_kernarg_preload_length 0
		.amdhsa_user_sgpr_kernarg_preload_offset 0
		.amdhsa_user_sgpr_private_segment_size 0
		.amdhsa_uses_dynamic_stack 0
		.amdhsa_system_sgpr_private_segment_wavefront_offset 0
		.amdhsa_system_sgpr_workgroup_id_x 1
		.amdhsa_system_sgpr_workgroup_id_y 1
		.amdhsa_system_sgpr_workgroup_id_z 1
		.amdhsa_system_sgpr_workgroup_info 0
		.amdhsa_system_vgpr_workitem_id 0
		.amdhsa_next_free_vgpr 88
		.amdhsa_next_free_sgpr 54
		.amdhsa_accum_offset 88
		.amdhsa_reserve_vcc 1
		.amdhsa_reserve_flat_scratch 0
		.amdhsa_float_round_mode_32 0
		.amdhsa_float_round_mode_16_64 0
		.amdhsa_float_denorm_mode_32 3
		.amdhsa_float_denorm_mode_16_64 3
		.amdhsa_dx10_clamp 1
		.amdhsa_ieee_mode 1
		.amdhsa_fp16_overflow 0
		.amdhsa_tg_split 0
		.amdhsa_exception_fp_ieee_invalid_op 0
		.amdhsa_exception_fp_denorm_src 0
		.amdhsa_exception_fp_ieee_div_zero 0
		.amdhsa_exception_fp_ieee_overflow 0
		.amdhsa_exception_fp_ieee_underflow 0
		.amdhsa_exception_fp_ieee_inexact 0
		.amdhsa_exception_int_div_zero 0
	.end_amdhsa_kernel
	.section	.text._ZN4vllm25paged_attention_v2_kernelI14__hip_bfloat16S1_Li128ELi16ELi128ELNS_18Fp8KVCacheDataTypeE0ELb1ELi512EEEvPfS3_PT_PKS4_PKT0_SA_ifPKiSC_iPKfiiiSE_SE_iiiii,"axG",@progbits,_ZN4vllm25paged_attention_v2_kernelI14__hip_bfloat16S1_Li128ELi16ELi128ELNS_18Fp8KVCacheDataTypeE0ELb1ELi512EEEvPfS3_PT_PKS4_PKT0_SA_ifPKiSC_iPKfiiiSE_SE_iiiii,comdat
.Lfunc_end159:
	.size	_ZN4vllm25paged_attention_v2_kernelI14__hip_bfloat16S1_Li128ELi16ELi128ELNS_18Fp8KVCacheDataTypeE0ELb1ELi512EEEvPfS3_PT_PKS4_PKT0_SA_ifPKiSC_iPKfiiiSE_SE_iiiii, .Lfunc_end159-_ZN4vllm25paged_attention_v2_kernelI14__hip_bfloat16S1_Li128ELi16ELi128ELNS_18Fp8KVCacheDataTypeE0ELb1ELi512EEEvPfS3_PT_PKS4_PKT0_SA_ifPKiSC_iPKfiiiSE_SE_iiiii
                                        ; -- End function
	.section	.AMDGPU.csdata,"",@progbits
; Kernel info:
; codeLenInByte = 9292
; NumSgprs: 58
; NumVgprs: 88
; NumAgprs: 0
; TotalNumVgprs: 88
; ScratchSize: 0
; MemoryBound: 0
; FloatMode: 240
; IeeeMode: 1
; LDSByteSize: 272 bytes/workgroup (compile time only)
; SGPRBlocks: 7
; VGPRBlocks: 10
; NumSGPRsForWavesPerEU: 58
; NumVGPRsForWavesPerEU: 88
; AccumOffset: 88
; Occupancy: 5
; WaveLimiterHint : 1
; COMPUTE_PGM_RSRC2:SCRATCH_EN: 0
; COMPUTE_PGM_RSRC2:USER_SGPR: 6
; COMPUTE_PGM_RSRC2:TRAP_HANDLER: 0
; COMPUTE_PGM_RSRC2:TGID_X_EN: 1
; COMPUTE_PGM_RSRC2:TGID_Y_EN: 1
; COMPUTE_PGM_RSRC2:TGID_Z_EN: 1
; COMPUTE_PGM_RSRC2:TIDIG_COMP_CNT: 0
; COMPUTE_PGM_RSRC3_GFX90A:ACCUM_OFFSET: 21
; COMPUTE_PGM_RSRC3_GFX90A:TG_SPLIT: 0
	.section	.text._ZN4vllm25paged_attention_v2_kernelI14__hip_bfloat16S1_Li192ELi16ELi128ELNS_18Fp8KVCacheDataTypeE0ELb1ELi512EEEvPfS3_PT_PKS4_PKT0_SA_ifPKiSC_iPKfiiiSE_SE_iiiii,"axG",@progbits,_ZN4vllm25paged_attention_v2_kernelI14__hip_bfloat16S1_Li192ELi16ELi128ELNS_18Fp8KVCacheDataTypeE0ELb1ELi512EEEvPfS3_PT_PKS4_PKT0_SA_ifPKiSC_iPKfiiiSE_SE_iiiii,comdat
	.protected	_ZN4vllm25paged_attention_v2_kernelI14__hip_bfloat16S1_Li192ELi16ELi128ELNS_18Fp8KVCacheDataTypeE0ELb1ELi512EEEvPfS3_PT_PKS4_PKT0_SA_ifPKiSC_iPKfiiiSE_SE_iiiii ; -- Begin function _ZN4vllm25paged_attention_v2_kernelI14__hip_bfloat16S1_Li192ELi16ELi128ELNS_18Fp8KVCacheDataTypeE0ELb1ELi512EEEvPfS3_PT_PKS4_PKT0_SA_ifPKiSC_iPKfiiiSE_SE_iiiii
	.globl	_ZN4vllm25paged_attention_v2_kernelI14__hip_bfloat16S1_Li192ELi16ELi128ELNS_18Fp8KVCacheDataTypeE0ELb1ELi512EEEvPfS3_PT_PKS4_PKT0_SA_ifPKiSC_iPKfiiiSE_SE_iiiii
	.p2align	8
	.type	_ZN4vllm25paged_attention_v2_kernelI14__hip_bfloat16S1_Li192ELi16ELi128ELNS_18Fp8KVCacheDataTypeE0ELb1ELi512EEEvPfS3_PT_PKS4_PKT0_SA_ifPKiSC_iPKfiiiSE_SE_iiiii,@function
_ZN4vllm25paged_attention_v2_kernelI14__hip_bfloat16S1_Li192ELi16ELi128ELNS_18Fp8KVCacheDataTypeE0ELb1ELi512EEEvPfS3_PT_PKS4_PKT0_SA_ifPKiSC_iPKfiiiSE_SE_iiiii: ; @_ZN4vllm25paged_attention_v2_kernelI14__hip_bfloat16S1_Li192ELi16ELi128ELNS_18Fp8KVCacheDataTypeE0ELb1ELi512EEEvPfS3_PT_PKS4_PKT0_SA_ifPKiSC_iPKfiiiSE_SE_iiiii
; %bb.0:
	s_load_dwordx2 s[0:1], s[4:5], 0x40
	s_mov_b32 s24, s7
	s_ashr_i32 s25, s7, 31
	s_lshl_b64 s[2:3], s[24:25], 2
	s_waitcnt lgkmcnt(0)
	s_add_u32 s0, s0, s2
	s_addc_u32 s1, s1, s3
	s_load_dword s33, s[0:1], 0x0
	s_lshl_b32 s9, s8, 9
	s_waitcnt lgkmcnt(0)
	s_cmp_ge_i32 s9, s33
	s_cbranch_scc1 .LBB160_327
; %bb.1:
	s_load_dword s25, s[4:5], 0x90
	s_load_dwordx2 s[38:39], s[4:5], 0x30
	s_mov_b32 s49, 0
	s_waitcnt lgkmcnt(0)
	s_abs_i32 s2, s25
	s_abs_i32 s0, s38
	v_cvt_f32_u32_e32 v1, s0
	s_sub_i32 s3, 0, s0
	s_xor_b32 s1, s25, s38
	s_ashr_i32 s1, s1, 31
	v_rcp_iflag_f32_e32 v1, v1
	v_mul_f32_e32 v1, 0x4f7ffffe, v1
	v_cvt_u32_f32_e32 v1, v1
	v_readfirstlane_b32 s7, v1
	s_mul_i32 s3, s3, s7
	s_mul_hi_u32 s3, s7, s3
	s_add_i32 s7, s7, s3
	s_mul_hi_u32 s3, s2, s7
	s_mul_i32 s7, s3, s0
	s_sub_i32 s2, s2, s7
	s_add_i32 s10, s3, 1
	s_sub_i32 s7, s2, s0
	s_cmp_ge_u32 s2, s0
	s_cselect_b32 s3, s10, s3
	s_cselect_b32 s2, s7, s2
	s_add_i32 s7, s3, 1
	s_cmp_ge_u32 s2, s0
	s_cselect_b32 s0, s7, s3
	s_xor_b32 s0, s0, s1
	s_sub_i32 s11, s0, s1
	s_abs_i32 s2, s11
	v_cvt_f32_u32_e32 v1, s2
	s_load_dwordx2 s[0:1], s[4:5], 0x50
	s_sub_i32 s7, 0, s2
	s_abs_i32 s3, s6
	v_rcp_iflag_f32_e32 v1, v1
	v_mul_f32_e32 v1, 0x4f7ffffe, v1
	v_cvt_u32_f32_e32 v1, v1
	v_readfirstlane_b32 s10, v1
	s_mul_i32 s7, s7, s10
	s_mul_hi_u32 s7, s10, s7
	s_add_i32 s10, s10, s7
	s_waitcnt lgkmcnt(0)
	s_cmp_eq_u64 s[0:1], 0
	s_mul_hi_u32 s10, s3, s10
	s_cbranch_scc1 .LBB160_3
; %bb.2:
	s_ashr_i32 s7, s6, 31
	s_lshl_b64 s[12:13], s[6:7], 2
	s_add_u32 s0, s0, s12
	s_addc_u32 s1, s1, s13
	s_load_dword s49, s[0:1], 0x0
.LBB160_3:
	s_load_dwordx4 s[12:15], s[4:5], 0x58
	s_waitcnt lgkmcnt(0)
	s_movk_i32 s15, 0x60
	s_ashr_i32 s7, s6, 31
	s_ashr_i32 s11, s11, 31
	v_and_b32_e32 v2, 3, v0
	s_mul_i32 s26, s6, 0xc0
	v_cmp_gt_u32_e32 vcc, s15, v0
	s_and_saveexec_b64 s[0:1], vcc
	s_cbranch_execz .LBB160_5
; %bb.4:
	s_load_dwordx2 s[16:17], s[4:5], 0x18
	s_mul_i32 s18, s24, s12
	s_ashr_i32 s19, s18, 31
	s_lshl_b64 s[18:19], s[18:19], 1
	v_lshlrev_b32_e32 v1, 2, v0
	s_waitcnt lgkmcnt(0)
	s_add_u32 s12, s16, s18
	s_addc_u32 s18, s17, s19
	s_ashr_i32 s27, s26, 31
	s_lshl_b64 s[16:17], s[26:27], 1
	s_add_u32 s16, s12, s16
	s_addc_u32 s17, s18, s17
	global_load_dword v1, v1, s[16:17]
	v_and_b32_e32 v3, 0x3fc, v0
	v_mad_u32_u24 v3, v2, s15, v3
	s_waitcnt vmcnt(0)
	ds_write_b32 v3, v1
.LBB160_5:
	s_or_b64 exec, exec, s[0:1]
	s_mul_i32 s1, s10, s2
	s_sub_i32 s1, s3, s1
	s_xor_b32 s0, s7, s11
	s_add_i32 s3, s10, 1
	s_sub_i32 s7, s1, s2
	s_load_dwordx4 s[16:19], s[4:5], 0x78
	s_cmp_ge_u32 s1, s2
	s_cselect_b32 s3, s3, s10
	s_load_dword s10, s[4:5], 0x88
	s_cselect_b32 s1, s7, s1
	s_add_i32 s7, s3, 1
	s_cmp_ge_u32 s1, s2
	s_cselect_b32 s1, s7, s3
	s_waitcnt lgkmcnt(0)
	s_abs_i32 s27, s19
	v_cvt_f32_u32_e32 v1, s27
	s_xor_b32 s1, s1, s0
	s_sub_i32 s2, s1, s0
	s_sub_i32 s0, 0, s27
	v_rcp_iflag_f32_e32 v1, v1
	s_add_i32 s11, s33, -1
	s_abs_i32 s3, s11
	v_mul_f32_e32 v1, 0x4f7ffffe, v1
	v_cvt_u32_f32_e32 v1, v1
	s_barrier
	v_readfirstlane_b32 s46, v1
	s_mul_i32 s0, s0, s46
	s_mul_hi_u32 s0, s46, s0
	s_add_i32 s46, s46, s0
	s_cmp_lt_i32 s10, 0
	s_mul_hi_u32 s7, s3, s46
	s_cbranch_scc0 .LBB160_7
; %bb.6:
	s_mul_i32 s0, s16, s38
	s_add_i32 s0, s2, s0
	s_mul_i32 s0, s0, s10
	s_sub_i32 s47, 1, s0
	s_mov_b64 s[0:1], 0
	s_branch .LBB160_8
.LBB160_7:
	s_mov_b64 s[0:1], -1
                                        ; implicit-def: $sgpr47
.LBB160_8:
	s_load_dwordx2 s[30:31], s[4:5], 0x38
	s_ashr_i32 s11, s11, 31
	s_andn2_b64 vcc, exec, s[0:1]
	s_ashr_i32 s19, s19, 31
	s_cbranch_vccnz .LBB160_10
; %bb.9:
	s_mul_i32 s0, s25, s16
	s_add_i32 s0, s0, s6
	s_mul_i32 s0, s0, s10
	s_add_i32 s47, s0, 1
.LBB160_10:
	s_load_dword s0, s[4:5], 0x48
	s_load_dwordx2 s[36:37], s[4:5], 0x28
	s_load_dword s12, s[4:5], 0x98
	s_load_dwordx4 s[20:23], s[4:5], 0x0
	s_load_dwordx2 s[28:29], s[4:5], 0x10
	s_mul_i32 s1, s7, s27
	s_waitcnt lgkmcnt(0)
	s_mul_i32 s34, s24, s0
	s_sub_i32 s1, s3, s1
	s_ashr_i32 s35, s34, 31
	s_xor_b32 s0, s11, s19
	s_add_i32 s3, s7, 1
	s_sub_i32 s10, s1, s27
	s_cmp_ge_u32 s1, s27
	s_cselect_b32 s3, s3, s7
	s_cselect_b32 s1, s10, s1
	s_add_i32 s7, s3, 1
	s_cmp_ge_u32 s1, s27
	s_cselect_b32 s1, s7, s3
	s_xor_b32 s1, s1, s0
	s_sub_i32 s48, s1, s0
	s_add_i32 s0, s33, 15
	s_ashr_i32 s1, s0, 31
	s_lshr_b32 s1, s1, 28
	s_add_i32 s0, s0, s1
	s_lshl_b32 s38, s8, 5
	s_ashr_i32 s7, s0, 4
	s_add_i32 s0, s38, 32
	v_lshrrev_b32_e32 v32, 6, v0
	s_min_i32 s16, s0, s7
	v_or_b32_e32 v26, s38, v32
	v_cmp_gt_i32_e64 s[0:1], s16, v26
	v_mov_b32_e32 v39, 0xff7fffff
	s_mul_i32 s14, s2, s14
	v_ashrrev_i32_e32 v27, 31, v26
	v_lshl_add_u32 v1, v32, 4, s9
	v_mbcnt_lo_u32_b32 v33, -1, 0
	s_and_saveexec_b64 s[40:41], s[0:1]
	s_cbranch_execz .LBB160_20
; %bb.11:
	s_load_dwordx2 s[2:3], s[4:5], 0x20
	s_ashr_i32 s15, s14, 31
	s_sub_i32 s50, s48, s17
	s_lshl_b64 s[4:5], s[14:15], 1
	v_bfe_u32 v34, v0, 2, 4
	s_waitcnt lgkmcnt(0)
	s_add_u32 s2, s2, s4
	s_addc_u32 s3, s3, s5
	s_abs_i32 s15, s18
	v_cvt_f32_u32_e32 v5, s15
	v_lshlrev_b32_e32 v3, 4, v34
	v_mov_b32_e32 v4, s3
	v_add_co_u32_e64 v3, s[2:3], s2, v3
	v_rcp_iflag_f32_e32 v5, v5
	v_lshlrev_b32_e32 v6, 2, v0
	v_addc_co_u32_e64 v4, s[2:3], 0, v4, s[2:3]
	v_and_b32_e32 v6, 12, v6
	v_add_co_u32_e64 v35, s[2:3], v3, v6
	v_mul_f32_e32 v3, 0x4f7ffffe, v5
	v_cvt_u32_f32_e32 v3, v3
	s_sub_i32 s4, 0, s15
	v_cmp_eq_u32_e32 vcc, 0, v2
	v_mul_u32_u24_e32 v37, 0x60, v2
	v_mul_lo_u32 v2, s4, v3
	s_lshl_b64 s[4:5], s[34:35], 2
	v_mul_hi_u32 v2, v3, v2
	s_add_u32 s4, s30, s4
	v_add_u32_e32 v38, v3, v2
	v_lshlrev_b64 v[2:3], 2, v[26:27]
	s_addc_u32 s5, s31, s5
	v_addc_co_u32_e64 v36, s[2:3], 0, v4, s[2:3]
	v_mov_b32_e32 v4, s5
	v_add_co_u32_e64 v28, s[4:5], s4, v2
	v_lshlrev_b32_e32 v2, 2, v34
	v_lshl_or_b32 v2, v32, 6, v2
	v_add_u32_e32 v41, 0x190, v2
	v_subrev_u32_e32 v2, s33, v34
	v_mbcnt_hi_u32_b32 v44, -1, v33
	v_add_u32_e32 v42, 1, v2
	v_and_b32_e32 v2, 64, v44
	s_mov_b32 s51, s13
	v_cmp_neq_f32_e64 s[2:3], s49, 0
	v_addc_co_u32_e64 v29, s[4:5], v4, v3, s[4:5]
	v_lshl_add_u32 v40, v32, 4, s9
	s_mov_b64 s[42:43], 0
	v_mov_b32_e32 v43, 0xff7fffff
	s_movk_i32 s52, 0x1000
	v_add_u32_e32 v45, 64, v2
	v_xor_b32_e32 v46, 2, v44
	v_xor_b32_e32 v47, 1, v44
	v_mov_b32_e32 v39, 0xff7fffff
	v_mov_b32_e32 v48, v26
	s_branch .LBB160_14
.LBB160_12:                             ;   in Loop: Header=BB160_14 Depth=1
	s_or_b64 exec, exec, s[44:45]
.LBB160_13:                             ;   in Loop: Header=BB160_14 Depth=1
	s_or_b64 exec, exec, s[10:11]
	v_add_co_u32_e64 v28, s[4:5], 8, v28
	v_add_u32_e32 v48, 2, v48
	v_addc_co_u32_e64 v29, s[4:5], 0, v29, s[4:5]
	v_cmp_le_i32_e64 s[4:5], s16, v48
	v_add_u32_e32 v40, 32, v40
	s_or_b64 s[42:43], s[4:5], s[42:43]
	v_add_u32_e32 v41, 0x80, v41
	s_andn2_b64 exec, exec, s[42:43]
	s_cbranch_execz .LBB160_19
.LBB160_14:                             ; =>This Inner Loop Header: Depth=1
	s_waitcnt lgkmcnt(0)
	v_sub_u32_e32 v3, 0, v40
	v_max_i32_e32 v3, v40, v3
	v_mul_hi_u32 v4, v3, s46
	v_mul_lo_u32 v5, v4, s27
	v_sub_u32_e32 v3, v3, v5
	v_add_u32_e32 v5, 1, v4
	v_cmp_le_u32_e64 s[4:5], s27, v3
	v_cndmask_b32_e64 v4, v4, v5, s[4:5]
	v_subrev_u32_e32 v5, s27, v3
	v_cndmask_b32_e64 v3, v3, v5, s[4:5]
	v_ashrrev_i32_e32 v2, 31, v40
	v_add_u32_e32 v5, 1, v4
	v_cmp_le_u32_e64 s[4:5], s27, v3
	v_xor_b32_e32 v2, s19, v2
	v_cndmask_b32_e64 v3, v4, v5, s[4:5]
	v_xor_b32_e32 v3, v3, v2
	v_sub_u32_e32 v2, v3, v2
	v_add_u32_e32 v3, s47, v2
	v_sub_u32_e32 v5, 0, v3
	v_ashrrev_i32_e32 v4, 31, v3
	v_max_i32_e32 v3, v3, v5
	v_mul_hi_u32 v5, v3, v38
	v_mul_lo_u32 v5, v5, s15
	v_sub_u32_e32 v3, v3, v5
	v_subrev_u32_e32 v5, s15, v3
	v_cmp_le_u32_e64 s[4:5], s15, v3
	v_cndmask_b32_e64 v3, v3, v5, s[4:5]
	v_subrev_u32_e32 v5, s15, v3
	v_cmp_le_u32_e64 s[4:5], s15, v3
	v_cndmask_b32_e64 v3, v3, v5, s[4:5]
	v_xor_b32_e32 v3, v3, v4
	v_sub_u32_e32 v3, v3, v4
	v_cmp_ne_u32_e64 s[4:5], 0, v3
	v_cmp_ge_i32_e64 s[10:11], s50, v2
	s_and_b64 s[4:5], s[4:5], s[10:11]
	s_and_b64 s[44:45], vcc, s[4:5]
	s_and_saveexec_b64 s[10:11], s[44:45]
	s_cbranch_execz .LBB160_16
; %bb.15:                               ;   in Loop: Header=BB160_14 Depth=1
	ds_write_b32 v41, v43
.LBB160_16:                             ;   in Loop: Header=BB160_14 Depth=1
	s_or_b64 exec, exec, s[10:11]
	s_xor_b64 s[4:5], s[4:5], -1
	s_and_saveexec_b64 s[10:11], s[4:5]
	s_cbranch_execz .LBB160_13
; %bb.17:                               ;   in Loop: Header=BB160_14 Depth=1
	global_load_dword v2, v[28:29], off
	s_waitcnt vmcnt(0)
	v_mad_i64_i32 v[2:3], s[4:5], v2, s51, 0
	v_lshlrev_b64 v[2:3], 1, v[2:3]
	v_add_co_u32_e64 v30, s[4:5], v35, v2
	v_addc_co_u32_e64 v31, s[4:5], v36, v3, s[4:5]
	global_load_dword v49, v[30:31], off offset:512
	global_load_dword v50, v[30:31], off offset:768
	;; [unrolled: 1-line block ×7, first 2 shown]
	global_load_dword v56, v[30:31], off
	ds_read_b128 v[22:25], v37
	ds_read_b128 v[18:21], v37 offset:16
	ds_read_b128 v[14:17], v37 offset:32
	;; [unrolled: 1-line block ×5, first 2 shown]
	global_load_dword v62, v[30:31], off offset:2048
	global_load_dword v64, v[30:31], off offset:2304
	;; [unrolled: 1-line block ×6, first 2 shown]
	v_cmp_lt_i32_e64 s[4:5], v46, v45
	v_cndmask_b32_e64 v57, v44, v46, s[4:5]
	global_load_dword v77, v[30:31], off offset:3584
	global_load_dword v78, v[30:31], off offset:3840
	v_add_co_u32_e64 v30, s[4:5], s52, v30
	v_addc_co_u32_e64 v31, s[4:5], 0, v31, s[4:5]
	global_load_dword v79, v[30:31], off
	global_load_dword v81, v[30:31], off offset:256
	global_load_dword v84, v[30:31], off offset:512
	;; [unrolled: 1-line block ×6, first 2 shown]
	s_waitcnt lgkmcnt(5)
	v_lshlrev_b32_e32 v59, 16, v23
	global_load_dword v30, v[30:31], off offset:1792
	v_and_b32_e32 v23, 0xffff0000, v23
	v_lshlrev_b32_e32 v58, 16, v22
	v_and_b32_e32 v22, 0xffff0000, v22
	v_lshlrev_b32_e32 v60, 16, v24
	v_and_b32_e32 v24, 0xffff0000, v24
	v_lshlrev_b32_e32 v61, 16, v25
	v_and_b32_e32 v25, 0xffff0000, v25
	s_waitcnt lgkmcnt(4)
	v_lshlrev_b32_e32 v63, 16, v18
	v_and_b32_e32 v18, 0xffff0000, v18
	v_lshlrev_b32_e32 v65, 16, v19
	v_and_b32_e32 v19, 0xffff0000, v19
	v_lshlrev_b32_e32 v66, 16, v20
	v_and_b32_e32 v20, 0xffff0000, v20
	v_lshlrev_b32_e32 v68, 16, v21
	v_and_b32_e32 v21, 0xffff0000, v21
	s_waitcnt lgkmcnt(3)
	v_lshlrev_b32_e32 v69, 16, v14
	;; [unrolled: 9-line block ×5, first 2 shown]
	v_and_b32_e32 v2, 0xffff0000, v2
	v_lshlrev_b32_e32 v93, 16, v3
	v_and_b32_e32 v3, 0xffff0000, v3
	v_lshlrev_b32_e32 v95, 16, v4
	;; [unrolled: 2-line block ×4, first 2 shown]
	v_cmp_lt_i32_e64 s[4:5], v47, v45
	s_waitcnt vmcnt(23)
	v_lshlrev_b32_e32 v98, 16, v49
	v_and_b32_e32 v49, 0xffff0000, v49
	s_waitcnt vmcnt(22)
	v_lshlrev_b32_e32 v99, 16, v50
	v_and_b32_e32 v50, 0xffff0000, v50
	;; [unrolled: 3-line block ×5, first 2 shown]
	v_mul_f32_e32 v59, v59, v96
	v_mul_f32_e32 v23, v23, v55
	v_fmac_f32_e32 v59, v58, v97
	v_fmac_f32_e32 v23, v22, v56
	;; [unrolled: 1-line block ×6, first 2 shown]
	v_lshlrev_b32_e32 v101, 16, v52
	v_and_b32_e32 v52, 0xffff0000, v52
	v_fmac_f32_e32 v59, v63, v100
	v_fmac_f32_e32 v23, v18, v51
	v_lshlrev_b32_e32 v102, 16, v53
	v_and_b32_e32 v53, 0xffff0000, v53
	v_fmac_f32_e32 v59, v65, v101
	v_fmac_f32_e32 v23, v19, v52
	;; [unrolled: 4-line block ×3, first 2 shown]
	s_waitcnt vmcnt(15)
	v_lshlrev_b32_e32 v104, 16, v62
	v_and_b32_e32 v62, 0xffff0000, v62
	v_fmac_f32_e32 v59, v68, v103
	v_fmac_f32_e32 v23, v21, v54
	s_waitcnt vmcnt(14)
	v_lshlrev_b32_e32 v105, 16, v64
	v_and_b32_e32 v64, 0xffff0000, v64
	v_fmac_f32_e32 v59, v69, v104
	v_fmac_f32_e32 v23, v14, v62
	;; [unrolled: 5-line block ×16, first 2 shown]
	v_fmac_f32_e32 v59, v31, v94
	v_fmac_f32_e32 v23, v5, v30
	v_add_f32_e32 v2, v59, v23
	ds_bpermute_b32 v3, v57, v2
	v_cndmask_b32_e64 v4, v44, v47, s[4:5]
	v_lshlrev_b32_e32 v4, 2, v4
	s_waitcnt lgkmcnt(0)
	v_add_f32_e32 v2, v2, v3
	ds_bpermute_b32 v3, v4, v2
	s_and_saveexec_b64 s[44:45], vcc
	s_cbranch_execz .LBB160_12
; %bb.18:                               ;   in Loop: Header=BB160_14 Depth=1
	v_add_u32_e32 v4, v42, v40
	v_cvt_f32_i32_e32 v4, v4
	s_waitcnt lgkmcnt(0)
	v_add_f32_e32 v2, v2, v3
	v_add_u32_e32 v5, v34, v40
	v_cmp_gt_i32_e64 s[4:5], s33, v5
	v_mul_f32_e32 v3, s49, v4
	v_cndmask_b32_e64 v3, 0, v3, s[2:3]
	v_fmac_f32_e32 v3, s39, v2
	v_cndmask_b32_e64 v2, 0, v3, s[4:5]
	ds_write_b32 v41, v2
	v_max_f32_e32 v2, v39, v39
	v_max_f32_e32 v2, v2, v3
	v_cndmask_b32_e64 v39, v39, v2, s[4:5]
	s_branch .LBB160_12
.LBB160_19:
	s_or_b64 exec, exec, s[42:43]
.LBB160_20:
	s_or_b64 exec, exec, s[40:41]
	v_mbcnt_hi_u32_b32 v2, -1, v33
	s_waitcnt lgkmcnt(0)
	v_and_b32_e32 v3, 64, v2
	v_add_u32_e32 v3, 64, v3
	v_xor_b32_e32 v4, 32, v2
	v_cmp_lt_i32_e32 vcc, v4, v3
	v_cndmask_b32_e32 v4, v2, v4, vcc
	v_lshlrev_b32_e32 v5, 2, v4
	ds_bpermute_b32 v4, v5, v39
	v_xor_b32_e32 v7, 16, v2
	v_max_f32_e32 v6, v39, v39
	v_cmp_lt_i32_e32 vcc, v7, v3
	v_xor_b32_e32 v8, 8, v2
	s_waitcnt lgkmcnt(0)
	v_max_f32_e32 v4, v4, v4
	v_max_f32_e32 v4, v6, v4
	v_cndmask_b32_e32 v6, v2, v7, vcc
	v_lshlrev_b32_e32 v6, 2, v6
	ds_bpermute_b32 v7, v6, v4
	v_cmp_lt_i32_e32 vcc, v8, v3
	v_and_b32_e32 v18, 63, v0
	s_waitcnt lgkmcnt(0)
	v_max_f32_e32 v7, v7, v7
	v_max_f32_e32 v4, v4, v7
	v_cndmask_b32_e32 v7, v2, v8, vcc
	v_lshlrev_b32_e32 v9, 2, v7
	ds_bpermute_b32 v7, v9, v4
	v_xor_b32_e32 v8, 4, v2
	v_cmp_lt_i32_e32 vcc, v8, v3
	s_waitcnt lgkmcnt(0)
	v_max_f32_e32 v7, v7, v7
	v_max_f32_e32 v4, v4, v7
	v_cndmask_b32_e32 v7, v2, v8, vcc
	v_lshlrev_b32_e32 v10, 2, v7
	ds_bpermute_b32 v8, v10, v4
	v_cmp_eq_u32_e32 vcc, 0, v18
	v_lshlrev_b32_e32 v7, 2, v32
	s_and_saveexec_b64 s[2:3], vcc
	s_cbranch_execz .LBB160_22
; %bb.21:
	s_waitcnt lgkmcnt(0)
	v_max_f32_e32 v8, v8, v8
	v_max_f32_e32 v4, v4, v4
	v_max_f32_e32 v4, v4, v8
	ds_write_b32 v7, v4 offset:384
.LBB160_22:
	s_or_b64 exec, exec, s[2:3]
	v_cmp_gt_u32_e64 s[2:3], 2, v18
	v_mov_b32_e32 v4, 0xff7fffff
	s_waitcnt lgkmcnt(0)
	v_lshlrev_b32_e32 v8, 2, v18
	s_barrier
	s_and_saveexec_b64 s[4:5], s[2:3]
	s_cbranch_execz .LBB160_24
; %bb.23:
	ds_read_b32 v4, v8 offset:384
.LBB160_24:
	s_or_b64 exec, exec, s[4:5]
	v_xor_b32_e32 v11, 1, v2
	v_cmp_lt_i32_e64 s[4:5], v11, v3
	v_cndmask_b32_e64 v11, v2, v11, s[4:5]
	v_lshlrev_b32_e32 v19, 2, v11
	s_waitcnt lgkmcnt(0)
	ds_bpermute_b32 v11, v19, v4
	v_max_f32_e32 v4, v4, v4
	s_sub_i32 s4, s16, s38
	s_lshl_b32 s4, s4, 4
	s_add_i32 s4, s4, s9
	s_waitcnt lgkmcnt(0)
	v_max_f32_e32 v11, v11, v11
	v_max_f32_e32 v4, v4, v11
	v_lshlrev_b32_e32 v11, 2, v2
	v_and_b32_e32 v11, 0x100, v11
	ds_bpermute_b32 v4, v11, v4
	s_min_i32 s42, s4, s33
	s_sub_i32 s15, s42, s9
	v_cmp_gt_i32_e64 s[4:5], s15, v0
	v_mov_b32_e32 v12, 0
	s_and_saveexec_b64 s[38:39], s[4:5]
	s_cbranch_execz .LBB160_28
; %bb.25:
	v_mov_b32_e32 v12, 0x190
	v_lshl_add_u32 v13, v0, 2, v12
	s_mov_b64 s[40:41], 0
	v_mov_b32_e32 v12, 0
	v_mov_b32_e32 v14, v0
.LBB160_26:                             ; =>This Inner Loop Header: Depth=1
	ds_read_b32 v15, v13
	v_add_u32_e32 v14, 0x80, v14
	v_cmp_le_i32_e64 s[10:11], s15, v14
	s_or_b64 s[40:41], s[10:11], s[40:41]
	s_waitcnt lgkmcnt(0)
	v_sub_f32_e32 v15, v15, v4
	v_mul_f32_e32 v15, 0x3fb8aa3b, v15
	v_exp_f32_e32 v15, v15
	ds_write_b32 v13, v15
	v_add_f32_e32 v12, v12, v15
	v_add_u32_e32 v13, 0x200, v13
	s_andn2_b64 exec, exec, s[40:41]
	s_cbranch_execnz .LBB160_26
; %bb.27:
	s_or_b64 exec, exec, s[40:41]
.LBB160_28:
	s_or_b64 exec, exec, s[38:39]
	ds_bpermute_b32 v5, v5, v12
	s_waitcnt lgkmcnt(0)
	v_add_f32_e32 v5, v12, v5
	ds_bpermute_b32 v6, v6, v5
	s_waitcnt lgkmcnt(0)
	v_add_f32_e32 v5, v5, v6
	ds_bpermute_b32 v6, v9, v5
	v_xor_b32_e32 v9, 2, v2
	v_cmp_lt_i32_e64 s[10:11], v9, v3
	v_cndmask_b32_e64 v2, v2, v9, s[10:11]
	v_lshlrev_b32_e32 v2, 2, v2
	s_waitcnt lgkmcnt(0)
	v_add_f32_e32 v5, v5, v6
	ds_bpermute_b32 v6, v10, v5
	s_waitcnt lgkmcnt(0)
	v_add_f32_e32 v3, v5, v6
	ds_bpermute_b32 v2, v2, v3
	;; [unrolled: 3-line block ×3, first 2 shown]
	s_waitcnt lgkmcnt(0)
	v_add_f32_e32 v2, v2, v3
	s_and_saveexec_b64 s[10:11], vcc
	s_cbranch_execz .LBB160_30
; %bb.29:
	ds_write_b32 v7, v2 offset:392
.LBB160_30:
	s_or_b64 exec, exec, s[10:11]
	s_waitcnt lgkmcnt(0)
	s_barrier
	s_and_saveexec_b64 s[10:11], s[2:3]
	s_cbranch_execz .LBB160_32
; %bb.31:
	ds_read_b32 v2, v8 offset:392
.LBB160_32:
	s_or_b64 exec, exec, s[10:11]
	s_waitcnt lgkmcnt(0)
	ds_bpermute_b32 v3, v19, v2
	s_waitcnt lgkmcnt(0)
	v_add_f32_e32 v2, v2, v3
	ds_bpermute_b32 v5, v11, v2
	s_and_saveexec_b64 s[2:3], s[4:5]
	s_cbranch_execz .LBB160_45
; %bb.33:
	s_waitcnt lgkmcnt(0)
	v_add_f32_e32 v2, 0x358637bd, v5
	v_div_scale_f32 v3, s[4:5], v2, v2, 1.0
	v_rcp_f32_e32 v6, v3
	v_div_scale_f32 v7, vcc, 1.0, v2, 1.0
	s_movk_i32 s4, 0x7f
	v_fma_f32 v8, -v3, v6, 1.0
	v_fmac_f32_e32 v6, v8, v6
	v_mul_f32_e32 v8, v7, v6
	v_fma_f32 v9, -v3, v8, v7
	v_fmac_f32_e32 v8, v9, v6
	v_fma_f32 v3, -v3, v8, v7
	v_div_fmas_f32 v3, v3, v6, v8
	v_div_fixup_f32 v2, v3, v2, 1.0
	v_xad_u32 v3, v0, -1, s42
	v_subrev_u32_e32 v6, s9, v3
	v_cmp_lt_u32_e32 vcc, s4, v6
	s_mov_b64 s[10:11], -1
	v_mov_b32_e32 v3, v0
	s_and_saveexec_b64 s[4:5], vcc
	s_cbranch_execz .LBB160_42
; %bb.34:
	v_lshrrev_b32_e32 v6, 7, v6
	v_add_u32_e32 v8, -1, v6
	v_lshrrev_b32_e32 v7, 1, v8
	v_mov_b32_e32 v3, v2
	v_add_u32_e32 v7, 1, v7
	v_cmp_lt_u32_e32 vcc, 13, v8
	v_mov_b32_e32 v10, 0
	s_and_saveexec_b64 s[10:11], vcc
	s_cbranch_execz .LBB160_38
; %bb.35:
	v_mov_b32_e32 v9, 0x190
	v_and_b32_e32 v8, -8, v7
	v_lshl_add_u32 v9, v0, 2, v9
	s_mov_b32 s9, 0
	s_mov_b64 s[38:39], 0
.LBB160_36:                             ; =>This Inner Loop Header: Depth=1
	ds_read2st64_b32 v[10:11], v9 offset1:2
	ds_read2st64_b32 v[12:13], v9 offset0:4 offset1:6
	ds_read2st64_b32 v[14:15], v9 offset0:8 offset1:10
	;; [unrolled: 1-line block ×3, first 2 shown]
	v_add_u32_e32 v8, -8, v8
	s_waitcnt lgkmcnt(3)
	v_pk_mul_f32 v[10:11], v[2:3], v[10:11]
	s_waitcnt lgkmcnt(2)
	v_pk_mul_f32 v[12:13], v[2:3], v[12:13]
	ds_write2st64_b32 v9, v10, v11 offset1:2
	ds_write2st64_b32 v9, v12, v13 offset0:4 offset1:6
	ds_read2st64_b32 v[12:13], v9 offset0:16 offset1:18
	s_waitcnt lgkmcnt(4)
	v_pk_mul_f32 v[10:11], v[2:3], v[14:15]
	ds_write2st64_b32 v9, v10, v11 offset0:8 offset1:10
	s_waitcnt lgkmcnt(4)
	v_pk_mul_f32 v[10:11], v[2:3], v[16:17]
	ds_write2st64_b32 v9, v10, v11 offset0:12 offset1:14
	ds_read2st64_b32 v[10:11], v9 offset0:20 offset1:22
	s_waitcnt lgkmcnt(3)
	v_pk_mul_f32 v[12:13], v[2:3], v[12:13]
	ds_read2st64_b32 v[14:15], v9 offset0:24 offset1:26
	ds_write2st64_b32 v9, v12, v13 offset0:16 offset1:18
	ds_read2st64_b32 v[12:13], v9 offset0:28 offset1:30
	s_waitcnt lgkmcnt(3)
	v_pk_mul_f32 v[10:11], v[2:3], v[10:11]
	ds_write2st64_b32 v9, v10, v11 offset0:20 offset1:22
	s_waitcnt lgkmcnt(3)
	v_pk_mul_f32 v[10:11], v[2:3], v[14:15]
	ds_write2st64_b32 v9, v10, v11 offset0:24 offset1:26
	s_waitcnt lgkmcnt(2)
	v_pk_mul_f32 v[10:11], v[2:3], v[12:13]
	s_add_i32 s9, s9, 16
	v_cmp_eq_u32_e32 vcc, 0, v8
	ds_write2st64_b32 v9, v10, v11 offset0:28 offset1:30
	v_add_u32_e32 v9, 0x2000, v9
	s_or_b64 s[38:39], vcc, s[38:39]
	v_mov_b32_e32 v10, s9
	s_andn2_b64 exec, exec, s[38:39]
	s_cbranch_execnz .LBB160_36
; %bb.37:
	s_or_b64 exec, exec, s[38:39]
.LBB160_38:
	s_or_b64 exec, exec, s[10:11]
	v_and_b32_e32 v7, 7, v7
	v_cmp_ne_u32_e32 vcc, 0, v7
	s_and_saveexec_b64 s[10:11], vcc
	s_cbranch_execz .LBB160_41
; %bb.39:
	v_lshlrev_b32_e32 v8, 9, v10
	v_lshlrev_b32_e32 v9, 2, v0
	s_movk_i32 s9, 0x190
	v_add3_u32 v8, v8, v9, s9
	s_mov_b64 s[38:39], 0
.LBB160_40:                             ; =>This Inner Loop Header: Depth=1
	ds_read2st64_b32 v[10:11], v8 offset1:2
	v_add_u32_e32 v7, -1, v7
	v_cmp_eq_u32_e32 vcc, 0, v7
	s_or_b64 s[38:39], vcc, s[38:39]
	s_waitcnt lgkmcnt(0)
	v_pk_mul_f32 v[10:11], v[2:3], v[10:11]
	ds_write2st64_b32 v8, v10, v11 offset1:2
	v_add_u32_e32 v8, 0x400, v8
	s_andn2_b64 exec, exec, s[38:39]
	s_cbranch_execnz .LBB160_40
.LBB160_41:
	s_or_b64 exec, exec, s[10:11]
	v_add_u32_e32 v6, 1, v6
	v_and_b32_e32 v7, 0x3fffffe, v6
	v_cmp_ne_u32_e32 vcc, v6, v7
	v_lshl_add_u32 v3, v7, 7, v0
	s_orn2_b64 s[10:11], vcc, exec
.LBB160_42:
	s_or_b64 exec, exec, s[4:5]
	s_and_b64 exec, exec, s[10:11]
	s_cbranch_execz .LBB160_45
; %bb.43:
	v_mov_b32_e32 v6, 0x190
	v_lshl_add_u32 v6, v3, 2, v6
	s_mov_b64 s[4:5], 0
.LBB160_44:                             ; =>This Inner Loop Header: Depth=1
	ds_read_b32 v7, v6
	v_add_u32_e32 v3, 0x80, v3
	v_cmp_le_i32_e32 vcc, s15, v3
	s_or_b64 s[4:5], vcc, s[4:5]
	s_waitcnt lgkmcnt(0)
	v_mul_f32_e32 v7, v2, v7
	ds_write_b32 v6, v7
	v_add_u32_e32 v6, 0x200, v6
	s_andn2_b64 exec, exec, s[4:5]
	s_cbranch_execnz .LBB160_44
.LBB160_45:
	s_or_b64 exec, exec, s[2:3]
	v_cmp_eq_u32_e32 vcc, 0, v0
	s_waitcnt lgkmcnt(0)
	s_barrier
	s_and_saveexec_b64 s[2:3], vcc
	s_cbranch_execz .LBB160_47
; %bb.46:
	s_mul_i32 s4, s12, s24
	s_mul_i32 s4, s4, s25
	s_ashr_i32 s5, s4, 31
	s_lshl_b64 s[4:5], s[4:5], 2
	s_add_u32 s9, s22, s4
	s_mul_i32 s10, s12, s6
	s_addc_u32 s15, s23, s5
	s_ashr_i32 s11, s10, 31
	s_lshl_b64 s[10:11], s[10:11], 2
	s_add_u32 s6, s9, s10
	s_addc_u32 s15, s15, s11
	s_ashr_i32 s9, s8, 31
	s_lshl_b64 s[22:23], s[8:9], 2
	s_add_u32 s38, s6, s22
	s_addc_u32 s39, s15, s23
	s_add_u32 s4, s20, s4
	s_addc_u32 s5, s21, s5
	;; [unrolled: 2-line block ×3, first 2 shown]
	s_add_u32 s4, s4, s22
	v_mov_b32_e32 v2, 0
	s_addc_u32 s5, s5, s23
	global_store_dword v2, v4, s[38:39]
	global_store_dword v2, v5, s[4:5]
.LBB160_47:
	s_or_b64 exec, exec, s[2:3]
	v_mov_b32_e32 v11, 0
	v_and_b32_e32 v20, 1, v0
	v_mov_b32_e32 v10, 0
	v_mov_b32_e32 v13, 0
	;; [unrolled: 1-line block ×5, first 2 shown]
	s_and_saveexec_b64 s[2:3], s[0:1]
	s_cbranch_execz .LBB160_289
; %bb.48:
	s_ashr_i32 s15, s14, 31
	s_sub_i32 s9, s48, s17
	s_lshl_b64 s[0:1], s[14:15], 1
	s_add_u32 s14, s36, s0
	s_addc_u32 s15, s37, s1
	s_abs_i32 s17, s18
	v_cvt_f32_u32_e32 v2, s17
	v_lshlrev_b32_e32 v3, 3, v0
	v_and_b32_e32 v21, 8, v3
	s_sub_i32 s0, 0, s17
	v_rcp_iflag_f32_e32 v4, v2
	v_and_b32_e32 v2, 0x1f8, v3
	s_add_i32 s18, s7, -1
	v_lshlrev_b64 v[8:9], 2, v[26:27]
	v_mul_f32_e32 v3, 0x4f7ffffe, v4
	v_cvt_u32_f32_e32 v3, v3
	v_or_b32_e32 v4, 0x800, v2
	v_or_b32_e32 v6, 0xa00, v2
	v_mov_b32_e32 v22, 0
	v_mul_lo_u32 v5, s0, v3
	s_lshl_b64 s[0:1], s[34:35], 2
	s_add_u32 s0, s30, s0
	v_mul_hi_u32 v5, v3, v5
	s_addc_u32 s1, s31, s1
	v_add_u32_e32 v23, v3, v5
	v_mov_b32_e32 v3, s1
	v_add_co_u32_e32 v16, vcc, s0, v8
	v_addc_co_u32_e32 v17, vcc, v3, v9, vcc
	v_lshlrev_b32_e32 v3, 5, v20
	v_lshl_or_b32 v3, v32, 6, v3
	v_add_u32_e32 v24, 0x190, v3
	s_mov_b64 s[4:5], 0
	s_mov_b32 s20, 0x7f800000
	s_movk_i32 s21, 0x7fff
	v_lshlrev_b32_e32 v25, 1, v2
	v_lshlrev_b32_e32 v27, 1, v4
	;; [unrolled: 1-line block ×3, first 2 shown]
	v_mov_b32_e32 v14, 0
	v_mov_b32_e32 v15, 0
	;; [unrolled: 1-line block ×6, first 2 shown]
	s_branch .LBB160_51
.LBB160_49:                             ;   in Loop: Header=BB160_51 Depth=1
	s_or_b64 exec, exec, s[0:1]
	v_and_b32_e32 v45, 0xffff0000, v78
	v_and_b32_e32 v44, 0xffff0000, v76
	;; [unrolled: 1-line block ×8, first 2 shown]
	v_pk_add_f32 v[44:45], v[46:47], v[44:45]
	v_pk_add_f32 v[40:41], v[42:43], v[40:41]
	v_add_f32_e32 v39, v44, v45
	v_add_f32_e32 v39, v39, v40
	v_and_b32_e32 v45, 0xffff0000, v70
	v_and_b32_e32 v44, 0xffff0000, v7
	;; [unrolled: 1-line block ×4, first 2 shown]
	v_add_f32_e32 v39, v39, v41
	v_and_b32_e32 v41, 0xffff0000, v74
	v_and_b32_e32 v40, 0xffff0000, v72
	;; [unrolled: 1-line block ×4, first 2 shown]
	v_pk_add_f32 v[6:7], v[6:7], v[44:45]
	v_pk_add_f32 v[40:41], v[42:43], v[40:41]
	v_add_f32_e32 v6, v6, v7
	v_add_f32_e32 v6, v6, v40
	;; [unrolled: 1-line block ×3, first 2 shown]
	v_and_b32_e32 v43, 0xffff0000, v64
	v_and_b32_e32 v42, 0xffff0000, v62
	;; [unrolled: 1-line block ×4, first 2 shown]
	v_add_f32_e32 v13, v13, v6
	v_and_b32_e32 v7, 0xffff0000, v68
	v_and_b32_e32 v6, 0xffff0000, v66
	v_and_b32_e32 v41, 0xffff0000, v67
	v_and_b32_e32 v40, 0xffff0000, v65
	v_pk_add_f32 v[42:43], v[44:45], v[42:43]
	v_add_f32_e32 v10, v10, v39
	v_pk_add_f32 v[6:7], v[40:41], v[6:7]
	v_add_f32_e32 v39, v42, v43
	v_add_f32_e32 v6, v39, v6
	;; [unrolled: 1-line block ×3, first 2 shown]
	v_and_b32_e32 v43, 0xffff0000, v56
	v_and_b32_e32 v42, 0xffff0000, v54
	;; [unrolled: 1-line block ×4, first 2 shown]
	v_add_f32_e32 v12, v12, v6
	v_and_b32_e32 v7, 0xffff0000, v60
	v_and_b32_e32 v6, 0xffff0000, v58
	;; [unrolled: 1-line block ×4, first 2 shown]
	v_pk_add_f32 v[42:43], v[44:45], v[42:43]
	v_pk_add_f32 v[6:7], v[40:41], v[6:7]
	v_add_f32_e32 v39, v42, v43
	v_add_f32_e32 v6, v39, v6
	;; [unrolled: 1-line block ×4, first 2 shown]
	v_and_b32_e32 v6, 0xffff0000, v32
	v_and_b32_e32 v32, 0xffff0000, v31
	;; [unrolled: 1-line block ×8, first 2 shown]
	v_pk_add_f32 v[8:9], v[8:9], v[30:31]
	v_pk_add_f32 v[6:7], v[32:33], v[6:7]
	v_add_f32_e32 v8, v8, v9
	v_add_f32_e32 v6, v8, v6
	;; [unrolled: 1-line block ×3, first 2 shown]
	v_and_b32_e32 v9, 0xffff0000, v36
	v_and_b32_e32 v8, 0xffff0000, v35
	v_and_b32_e32 v3, 0xffff0000, v3
	v_and_b32_e32 v2, 0xffff0000, v2
	v_add_f32_e32 v14, v14, v6
	v_and_b32_e32 v7, 0xffff0000, v38
	v_and_b32_e32 v6, 0xffff0000, v37
	;; [unrolled: 1-line block ×4, first 2 shown]
	v_pk_add_f32 v[2:3], v[2:3], v[8:9]
	v_pk_add_f32 v[4:5], v[4:5], v[6:7]
	v_add_f32_e32 v2, v2, v3
	v_add_f32_e32 v2, v2, v4
	;; [unrolled: 1-line block ×4, first 2 shown]
.LBB160_50:                             ;   in Loop: Header=BB160_51 Depth=1
	s_or_b64 exec, exec, s[6:7]
	v_add_co_u32_e32 v16, vcc, 8, v16
	v_add_u32_e32 v26, 2, v26
	v_addc_co_u32_e32 v17, vcc, 0, v17, vcc
	v_cmp_le_i32_e32 vcc, s16, v26
	v_add_u32_e32 v1, 32, v1
	s_or_b64 s[4:5], vcc, s[4:5]
	v_add_u32_e32 v24, 0x80, v24
	s_andn2_b64 exec, exec, s[4:5]
	s_cbranch_execz .LBB160_288
.LBB160_51:                             ; =>This Inner Loop Header: Depth=1
	v_sub_u32_e32 v3, 0, v1
	v_max_i32_e32 v3, v1, v3
	v_mul_hi_u32 v4, v3, s46
	v_mul_lo_u32 v5, v4, s27
	v_sub_u32_e32 v3, v3, v5
	v_add_u32_e32 v5, 1, v4
	v_cmp_le_u32_e32 vcc, s27, v3
	v_cndmask_b32_e32 v4, v4, v5, vcc
	v_subrev_u32_e32 v5, s27, v3
	v_cndmask_b32_e32 v3, v3, v5, vcc
	v_ashrrev_i32_e32 v2, 31, v1
	v_add_u32_e32 v5, 1, v4
	v_cmp_le_u32_e32 vcc, s27, v3
	v_xor_b32_e32 v2, s19, v2
	v_cndmask_b32_e32 v3, v4, v5, vcc
	v_xor_b32_e32 v3, v3, v2
	v_sub_u32_e32 v2, v3, v2
	v_add_u32_e32 v3, s47, v2
	v_sub_u32_e32 v5, 0, v3
	v_ashrrev_i32_e32 v4, 31, v3
	v_max_i32_e32 v3, v3, v5
	v_mul_hi_u32 v5, v3, v23
	v_mul_lo_u32 v5, v5, s17
	v_sub_u32_e32 v3, v3, v5
	v_subrev_u32_e32 v5, s17, v3
	v_cmp_le_u32_e32 vcc, s17, v3
	v_cndmask_b32_e32 v3, v3, v5, vcc
	v_subrev_u32_e32 v5, s17, v3
	v_cmp_le_u32_e32 vcc, s17, v3
	v_cndmask_b32_e32 v3, v3, v5, vcc
	v_xor_b32_e32 v3, v3, v4
	v_sub_u32_e32 v3, v3, v4
	v_cmp_eq_u32_e32 vcc, 0, v3
	v_cmp_lt_i32_e64 s[0:1], s9, v2
	s_or_b64 s[0:1], vcc, s[0:1]
	s_and_saveexec_b64 s[6:7], s[0:1]
	s_cbranch_execz .LBB160_50
; %bb.52:                               ;   in Loop: Header=BB160_51 Depth=1
	global_load_dword v35, v[16:17], off
	ds_read2_b64 v[6:9], v24 offset1:1
	ds_read2_b64 v[2:5], v24 offset0:2 offset1:3
                                        ; implicit-def: $vgpr45
	s_waitcnt lgkmcnt(1)
	v_and_b32_e32 v29, 0x7f800000, v6
	v_cmp_ne_u32_e32 vcc, s20, v29
	s_and_saveexec_b64 s[0:1], vcc
	s_xor_b64 s[0:1], exec, s[0:1]
; %bb.53:                               ;   in Loop: Header=BB160_51 Depth=1
	v_bfe_u32 v29, v6, 16, 1
	v_add3_u32 v45, v6, v29, s21
; %bb.54:                               ;   in Loop: Header=BB160_51 Depth=1
	s_andn2_saveexec_b64 s[0:1], s[0:1]
; %bb.55:                               ;   in Loop: Header=BB160_51 Depth=1
	v_or_b32_e32 v29, 0x10000, v6
	v_cmp_eq_u32_sdwa vcc, v6, v22 src0_sel:WORD_0 src1_sel:DWORD
	v_cndmask_b32_e32 v45, v29, v6, vcc
; %bb.56:                               ;   in Loop: Header=BB160_51 Depth=1
	s_or_b64 exec, exec, s[0:1]
	v_and_b32_e32 v6, 0x7f800000, v7
	v_cmp_ne_u32_e32 vcc, s20, v6
                                        ; implicit-def: $vgpr46
	s_and_saveexec_b64 s[0:1], vcc
	s_xor_b64 s[0:1], exec, s[0:1]
; %bb.57:                               ;   in Loop: Header=BB160_51 Depth=1
	v_bfe_u32 v6, v7, 16, 1
	v_add3_u32 v46, v7, v6, s21
; %bb.58:                               ;   in Loop: Header=BB160_51 Depth=1
	s_andn2_saveexec_b64 s[0:1], s[0:1]
; %bb.59:                               ;   in Loop: Header=BB160_51 Depth=1
	v_or_b32_e32 v6, 0x10000, v7
	v_cmp_eq_u32_sdwa vcc, v7, v22 src0_sel:WORD_0 src1_sel:DWORD
	v_cndmask_b32_e32 v46, v6, v7, vcc
; %bb.60:                               ;   in Loop: Header=BB160_51 Depth=1
	s_or_b64 exec, exec, s[0:1]
	v_and_b32_e32 v6, 0x7f800000, v8
	v_cmp_ne_u32_e32 vcc, s20, v6
                                        ; implicit-def: $vgpr29
	s_and_saveexec_b64 s[0:1], vcc
	s_xor_b64 s[0:1], exec, s[0:1]
; %bb.61:                               ;   in Loop: Header=BB160_51 Depth=1
	v_bfe_u32 v6, v8, 16, 1
	v_add3_u32 v29, v8, v6, s21
; %bb.62:                               ;   in Loop: Header=BB160_51 Depth=1
	s_andn2_saveexec_b64 s[0:1], s[0:1]
; %bb.63:                               ;   in Loop: Header=BB160_51 Depth=1
	v_or_b32_e32 v6, 0x10000, v8
	v_cmp_eq_u32_sdwa vcc, v8, v22 src0_sel:WORD_0 src1_sel:DWORD
	v_cndmask_b32_e32 v29, v6, v8, vcc
; %bb.64:                               ;   in Loop: Header=BB160_51 Depth=1
	s_or_b64 exec, exec, s[0:1]
	v_and_b32_e32 v6, 0x7f800000, v9
	v_cmp_ne_u32_e32 vcc, s20, v6
                                        ; implicit-def: $vgpr30
	s_and_saveexec_b64 s[0:1], vcc
	s_xor_b64 s[0:1], exec, s[0:1]
; %bb.65:                               ;   in Loop: Header=BB160_51 Depth=1
	v_bfe_u32 v6, v9, 16, 1
	v_add3_u32 v30, v9, v6, s21
                                        ; implicit-def: $vgpr6_vgpr7_vgpr8_vgpr9
; %bb.66:                               ;   in Loop: Header=BB160_51 Depth=1
	s_andn2_saveexec_b64 s[0:1], s[0:1]
; %bb.67:                               ;   in Loop: Header=BB160_51 Depth=1
	v_or_b32_e32 v6, 0x10000, v9
	v_cmp_eq_u32_sdwa vcc, v9, v22 src0_sel:WORD_0 src1_sel:DWORD
	v_cndmask_b32_e32 v30, v6, v9, vcc
; %bb.68:                               ;   in Loop: Header=BB160_51 Depth=1
	s_or_b64 exec, exec, s[0:1]
	s_waitcnt lgkmcnt(0)
	v_and_b32_e32 v6, 0x7f800000, v2
	v_cmp_ne_u32_e32 vcc, s20, v6
                                        ; implicit-def: $vgpr31
	s_and_saveexec_b64 s[0:1], vcc
	s_xor_b64 s[0:1], exec, s[0:1]
; %bb.69:                               ;   in Loop: Header=BB160_51 Depth=1
	v_bfe_u32 v6, v2, 16, 1
	v_add3_u32 v31, v2, v6, s21
; %bb.70:                               ;   in Loop: Header=BB160_51 Depth=1
	s_andn2_saveexec_b64 s[0:1], s[0:1]
; %bb.71:                               ;   in Loop: Header=BB160_51 Depth=1
	v_or_b32_e32 v6, 0x10000, v2
	v_cmp_eq_u32_sdwa vcc, v2, v22 src0_sel:WORD_0 src1_sel:DWORD
	v_cndmask_b32_e32 v31, v6, v2, vcc
; %bb.72:                               ;   in Loop: Header=BB160_51 Depth=1
	s_or_b64 exec, exec, s[0:1]
	v_and_b32_e32 v2, 0x7f800000, v3
	v_cmp_ne_u32_e32 vcc, s20, v2
                                        ; implicit-def: $vgpr32
	s_and_saveexec_b64 s[0:1], vcc
	s_xor_b64 s[0:1], exec, s[0:1]
; %bb.73:                               ;   in Loop: Header=BB160_51 Depth=1
	v_bfe_u32 v2, v3, 16, 1
	v_add3_u32 v32, v3, v2, s21
; %bb.74:                               ;   in Loop: Header=BB160_51 Depth=1
	s_andn2_saveexec_b64 s[0:1], s[0:1]
; %bb.75:                               ;   in Loop: Header=BB160_51 Depth=1
	v_or_b32_e32 v2, 0x10000, v3
	v_cmp_eq_u32_sdwa vcc, v3, v22 src0_sel:WORD_0 src1_sel:DWORD
	v_cndmask_b32_e32 v32, v2, v3, vcc
; %bb.76:                               ;   in Loop: Header=BB160_51 Depth=1
	s_or_b64 exec, exec, s[0:1]
	v_and_b32_e32 v2, 0x7f800000, v4
	v_cmp_ne_u32_e32 vcc, s20, v2
                                        ; implicit-def: $vgpr33
	s_and_saveexec_b64 s[0:1], vcc
	s_xor_b64 s[0:1], exec, s[0:1]
; %bb.77:                               ;   in Loop: Header=BB160_51 Depth=1
	v_bfe_u32 v2, v4, 16, 1
	v_add3_u32 v33, v4, v2, s21
; %bb.78:                               ;   in Loop: Header=BB160_51 Depth=1
	s_andn2_saveexec_b64 s[0:1], s[0:1]
; %bb.79:                               ;   in Loop: Header=BB160_51 Depth=1
	v_or_b32_e32 v2, 0x10000, v4
	v_cmp_eq_u32_sdwa vcc, v4, v22 src0_sel:WORD_0 src1_sel:DWORD
	v_cndmask_b32_e32 v33, v2, v4, vcc
; %bb.80:                               ;   in Loop: Header=BB160_51 Depth=1
	s_or_b64 exec, exec, s[0:1]
	v_and_b32_e32 v2, 0x7f800000, v5
	v_cmp_ne_u32_e32 vcc, s20, v2
                                        ; implicit-def: $vgpr34
	s_and_saveexec_b64 s[0:1], vcc
	s_xor_b64 s[0:1], exec, s[0:1]
; %bb.81:                               ;   in Loop: Header=BB160_51 Depth=1
	v_bfe_u32 v2, v5, 16, 1
	v_add3_u32 v34, v5, v2, s21
                                        ; implicit-def: $vgpr2_vgpr3_vgpr4_vgpr5
; %bb.82:                               ;   in Loop: Header=BB160_51 Depth=1
	s_andn2_saveexec_b64 s[0:1], s[0:1]
; %bb.83:                               ;   in Loop: Header=BB160_51 Depth=1
	v_or_b32_e32 v2, 0x10000, v5
	v_cmp_eq_u32_sdwa vcc, v5, v22 src0_sel:WORD_0 src1_sel:DWORD
	v_cndmask_b32_e32 v34, v2, v5, vcc
; %bb.84:                               ;   in Loop: Header=BB160_51 Depth=1
	s_or_b64 exec, exec, s[0:1]
	s_waitcnt vmcnt(0)
	v_mad_i64_i32 v[2:3], s[0:1], v35, s13, 0
	v_lshlrev_b64 v[2:3], 1, v[2:3]
	v_mov_b32_e32 v4, s15
	v_add_co_u32_e32 v43, vcc, s14, v2
	v_addc_co_u32_e32 v44, vcc, v4, v3, vcc
	v_add_co_u32_e32 v6, vcc, v43, v25
	v_addc_co_u32_e32 v7, vcc, 0, v44, vcc
	global_load_dwordx4 v[2:5], v[6:7], off
	v_add_u32_e32 v35, v21, v1
	v_cmp_eq_u32_e32 vcc, s18, v26
	v_add_u32_e32 v42, 1, v35
	v_add_u32_e32 v41, 2, v35
	;; [unrolled: 1-line block ×7, first 2 shown]
	s_waitcnt vmcnt(0)
	v_lshrrev_b32_e32 v9, 16, v2
	v_lshrrev_b32_e32 v49, 16, v3
	v_lshrrev_b32_e32 v51, 16, v4
	v_lshrrev_b32_e32 v53, 16, v5
	s_and_saveexec_b64 s[10:11], vcc
	s_cbranch_execz .LBB160_86
; %bb.85:                               ;   in Loop: Header=BB160_51 Depth=1
	v_cmp_gt_i32_e64 s[0:1], s33, v35
	v_cndmask_b32_e64 v2, 0, v2, s[0:1]
	v_cmp_gt_i32_e64 s[0:1], s33, v42
	v_cndmask_b32_e64 v9, 0, v9, s[0:1]
	;; [unrolled: 2-line block ×8, first 2 shown]
.LBB160_86:                             ;   in Loop: Header=BB160_51 Depth=1
	s_or_b64 exec, exec, s[10:11]
	v_and_b32_e32 v45, 0xffff0000, v45
	v_lshlrev_b32_e32 v2, 16, v2
	v_mul_f32_e32 v2, v45, v2
	v_and_b32_e32 v8, 0x7f800000, v2
	v_cmp_ne_u32_e64 s[0:1], s20, v8
                                        ; implicit-def: $vgpr8
	s_and_saveexec_b64 s[10:11], s[0:1]
	s_xor_b64 s[0:1], exec, s[10:11]
; %bb.87:                               ;   in Loop: Header=BB160_51 Depth=1
	v_bfe_u32 v8, v2, 16, 1
	v_add3_u32 v8, v2, v8, s21
                                        ; implicit-def: $vgpr2
; %bb.88:                               ;   in Loop: Header=BB160_51 Depth=1
	s_andn2_saveexec_b64 s[10:11], s[0:1]
; %bb.89:                               ;   in Loop: Header=BB160_51 Depth=1
	v_or_b32_e32 v8, 0x10000, v2
	v_cmp_eq_u32_sdwa s[0:1], v2, v22 src0_sel:WORD_0 src1_sel:DWORD
	v_cndmask_b32_e64 v8, v8, v2, s[0:1]
; %bb.90:                               ;   in Loop: Header=BB160_51 Depth=1
	s_or_b64 exec, exec, s[10:11]
	v_and_b32_e32 v46, 0xffff0000, v46
	v_lshlrev_b32_e32 v2, 16, v9
	v_mul_f32_e32 v2, v46, v2
	v_and_b32_e32 v9, 0x7f800000, v2
	v_cmp_ne_u32_e64 s[0:1], s20, v9
                                        ; implicit-def: $vgpr9
	s_and_saveexec_b64 s[10:11], s[0:1]
	s_xor_b64 s[0:1], exec, s[10:11]
; %bb.91:                               ;   in Loop: Header=BB160_51 Depth=1
	v_bfe_u32 v9, v2, 16, 1
	v_add3_u32 v9, v2, v9, s21
                                        ; implicit-def: $vgpr2
; %bb.92:                               ;   in Loop: Header=BB160_51 Depth=1
	s_andn2_saveexec_b64 s[10:11], s[0:1]
; %bb.93:                               ;   in Loop: Header=BB160_51 Depth=1
	v_or_b32_e32 v9, 0x10000, v2
	v_cmp_eq_u32_sdwa s[0:1], v2, v22 src0_sel:WORD_0 src1_sel:DWORD
	v_cndmask_b32_e64 v9, v9, v2, s[0:1]
; %bb.94:                               ;   in Loop: Header=BB160_51 Depth=1
	s_or_b64 exec, exec, s[10:11]
	v_and_b32_e32 v47, 0xffff0000, v29
	v_lshlrev_b32_e32 v2, 16, v3
	v_mul_f32_e32 v2, v47, v2
	v_and_b32_e32 v3, 0x7f800000, v2
	v_cmp_ne_u32_e64 s[0:1], s20, v3
                                        ; implicit-def: $vgpr29
	s_and_saveexec_b64 s[10:11], s[0:1]
	s_xor_b64 s[0:1], exec, s[10:11]
; %bb.95:                               ;   in Loop: Header=BB160_51 Depth=1
	v_bfe_u32 v3, v2, 16, 1
	v_add3_u32 v29, v2, v3, s21
                                        ; implicit-def: $vgpr2
; %bb.96:                               ;   in Loop: Header=BB160_51 Depth=1
	s_andn2_saveexec_b64 s[10:11], s[0:1]
; %bb.97:                               ;   in Loop: Header=BB160_51 Depth=1
	v_or_b32_e32 v3, 0x10000, v2
	v_cmp_eq_u32_sdwa s[0:1], v2, v22 src0_sel:WORD_0 src1_sel:DWORD
	v_cndmask_b32_e64 v29, v3, v2, s[0:1]
; %bb.98:                               ;   in Loop: Header=BB160_51 Depth=1
	s_or_b64 exec, exec, s[10:11]
	v_and_b32_e32 v48, 0xffff0000, v30
	v_lshlrev_b32_e32 v2, 16, v49
	v_mul_f32_e32 v2, v48, v2
	v_and_b32_e32 v3, 0x7f800000, v2
	v_cmp_ne_u32_e64 s[0:1], s20, v3
                                        ; implicit-def: $vgpr30
	s_and_saveexec_b64 s[10:11], s[0:1]
	s_xor_b64 s[0:1], exec, s[10:11]
; %bb.99:                               ;   in Loop: Header=BB160_51 Depth=1
	v_bfe_u32 v3, v2, 16, 1
	v_add3_u32 v30, v2, v3, s21
                                        ; implicit-def: $vgpr2
; %bb.100:                              ;   in Loop: Header=BB160_51 Depth=1
	s_andn2_saveexec_b64 s[10:11], s[0:1]
; %bb.101:                              ;   in Loop: Header=BB160_51 Depth=1
	v_or_b32_e32 v3, 0x10000, v2
	v_cmp_eq_u32_sdwa s[0:1], v2, v22 src0_sel:WORD_0 src1_sel:DWORD
	v_cndmask_b32_e64 v30, v3, v2, s[0:1]
; %bb.102:                              ;   in Loop: Header=BB160_51 Depth=1
	s_or_b64 exec, exec, s[10:11]
	v_and_b32_e32 v49, 0xffff0000, v31
	v_lshlrev_b32_e32 v2, 16, v4
	v_mul_f32_e32 v2, v49, v2
	v_and_b32_e32 v3, 0x7f800000, v2
	v_cmp_ne_u32_e64 s[0:1], s20, v3
                                        ; implicit-def: $vgpr31
	s_and_saveexec_b64 s[10:11], s[0:1]
	s_xor_b64 s[0:1], exec, s[10:11]
; %bb.103:                              ;   in Loop: Header=BB160_51 Depth=1
	v_bfe_u32 v3, v2, 16, 1
	v_add3_u32 v31, v2, v3, s21
                                        ; implicit-def: $vgpr2
; %bb.104:                              ;   in Loop: Header=BB160_51 Depth=1
	s_andn2_saveexec_b64 s[10:11], s[0:1]
; %bb.105:                              ;   in Loop: Header=BB160_51 Depth=1
	v_or_b32_e32 v3, 0x10000, v2
	v_cmp_eq_u32_sdwa s[0:1], v2, v22 src0_sel:WORD_0 src1_sel:DWORD
	v_cndmask_b32_e64 v31, v3, v2, s[0:1]
; %bb.106:                              ;   in Loop: Header=BB160_51 Depth=1
	s_or_b64 exec, exec, s[10:11]
	v_and_b32_e32 v50, 0xffff0000, v32
	v_lshlrev_b32_e32 v2, 16, v51
	v_mul_f32_e32 v2, v50, v2
	v_and_b32_e32 v3, 0x7f800000, v2
	v_cmp_ne_u32_e64 s[0:1], s20, v3
                                        ; implicit-def: $vgpr32
	s_and_saveexec_b64 s[10:11], s[0:1]
	s_xor_b64 s[0:1], exec, s[10:11]
; %bb.107:                              ;   in Loop: Header=BB160_51 Depth=1
	v_bfe_u32 v3, v2, 16, 1
	v_add3_u32 v32, v2, v3, s21
                                        ; implicit-def: $vgpr2
; %bb.108:                              ;   in Loop: Header=BB160_51 Depth=1
	s_andn2_saveexec_b64 s[10:11], s[0:1]
; %bb.109:                              ;   in Loop: Header=BB160_51 Depth=1
	v_or_b32_e32 v3, 0x10000, v2
	v_cmp_eq_u32_sdwa s[0:1], v2, v22 src0_sel:WORD_0 src1_sel:DWORD
	v_cndmask_b32_e64 v32, v3, v2, s[0:1]
; %bb.110:                              ;   in Loop: Header=BB160_51 Depth=1
	s_or_b64 exec, exec, s[10:11]
	v_and_b32_e32 v51, 0xffff0000, v33
	v_lshlrev_b32_e32 v2, 16, v5
	v_mul_f32_e32 v2, v51, v2
	v_and_b32_e32 v3, 0x7f800000, v2
	v_cmp_ne_u32_e64 s[0:1], s20, v3
                                        ; implicit-def: $vgpr33
	s_and_saveexec_b64 s[10:11], s[0:1]
	s_xor_b64 s[0:1], exec, s[10:11]
; %bb.111:                              ;   in Loop: Header=BB160_51 Depth=1
	v_bfe_u32 v3, v2, 16, 1
	v_add3_u32 v33, v2, v3, s21
                                        ; implicit-def: $vgpr2
; %bb.112:                              ;   in Loop: Header=BB160_51 Depth=1
	s_andn2_saveexec_b64 s[10:11], s[0:1]
; %bb.113:                              ;   in Loop: Header=BB160_51 Depth=1
	v_or_b32_e32 v3, 0x10000, v2
	v_cmp_eq_u32_sdwa s[0:1], v2, v22 src0_sel:WORD_0 src1_sel:DWORD
	v_cndmask_b32_e64 v33, v3, v2, s[0:1]
; %bb.114:                              ;   in Loop: Header=BB160_51 Depth=1
	s_or_b64 exec, exec, s[10:11]
	v_and_b32_e32 v52, 0xffff0000, v34
	v_lshlrev_b32_e32 v2, 16, v53
	v_mul_f32_e32 v2, v52, v2
	v_and_b32_e32 v3, 0x7f800000, v2
	v_cmp_ne_u32_e64 s[0:1], s20, v3
                                        ; implicit-def: $vgpr34
	s_and_saveexec_b64 s[10:11], s[0:1]
	s_xor_b64 s[0:1], exec, s[10:11]
; %bb.115:                              ;   in Loop: Header=BB160_51 Depth=1
	v_bfe_u32 v3, v2, 16, 1
	v_add3_u32 v34, v2, v3, s21
                                        ; implicit-def: $vgpr2
; %bb.116:                              ;   in Loop: Header=BB160_51 Depth=1
	s_andn2_saveexec_b64 s[10:11], s[0:1]
; %bb.117:                              ;   in Loop: Header=BB160_51 Depth=1
	v_or_b32_e32 v3, 0x10000, v2
	v_cmp_eq_u32_sdwa s[0:1], v2, v22 src0_sel:WORD_0 src1_sel:DWORD
	v_cndmask_b32_e64 v34, v3, v2, s[0:1]
; %bb.118:                              ;   in Loop: Header=BB160_51 Depth=1
	s_or_b64 exec, exec, s[10:11]
	global_load_dwordx4 v[2:5], v[6:7], off offset:1024
	s_waitcnt vmcnt(0)
	v_lshrrev_b32_e32 v54, 16, v2
	v_lshrrev_b32_e32 v56, 16, v3
	;; [unrolled: 1-line block ×4, first 2 shown]
	s_and_saveexec_b64 s[10:11], vcc
	s_cbranch_execz .LBB160_120
; %bb.119:                              ;   in Loop: Header=BB160_51 Depth=1
	v_cmp_gt_i32_e64 s[0:1], s33, v35
	v_cndmask_b32_e64 v2, 0, v2, s[0:1]
	v_cmp_gt_i32_e64 s[0:1], s33, v42
	v_cndmask_b32_e64 v54, 0, v54, s[0:1]
	;; [unrolled: 2-line block ×8, first 2 shown]
.LBB160_120:                            ;   in Loop: Header=BB160_51 Depth=1
	s_or_b64 exec, exec, s[10:11]
	v_lshlrev_b32_e32 v2, 16, v2
	v_mul_f32_e32 v2, v45, v2
	v_and_b32_e32 v53, 0x7f800000, v2
	v_cmp_ne_u32_e64 s[0:1], s20, v53
                                        ; implicit-def: $vgpr53
	s_and_saveexec_b64 s[10:11], s[0:1]
	s_xor_b64 s[0:1], exec, s[10:11]
; %bb.121:                              ;   in Loop: Header=BB160_51 Depth=1
	v_bfe_u32 v53, v2, 16, 1
	v_add3_u32 v53, v2, v53, s21
                                        ; implicit-def: $vgpr2
; %bb.122:                              ;   in Loop: Header=BB160_51 Depth=1
	s_andn2_saveexec_b64 s[10:11], s[0:1]
; %bb.123:                              ;   in Loop: Header=BB160_51 Depth=1
	v_or_b32_e32 v53, 0x10000, v2
	v_cmp_eq_u32_sdwa s[0:1], v2, v22 src0_sel:WORD_0 src1_sel:DWORD
	v_cndmask_b32_e64 v53, v53, v2, s[0:1]
; %bb.124:                              ;   in Loop: Header=BB160_51 Depth=1
	s_or_b64 exec, exec, s[10:11]
	v_lshlrev_b32_e32 v2, 16, v54
	v_mul_f32_e32 v2, v46, v2
	v_and_b32_e32 v54, 0x7f800000, v2
	v_cmp_ne_u32_e64 s[0:1], s20, v54
                                        ; implicit-def: $vgpr54
	s_and_saveexec_b64 s[10:11], s[0:1]
	s_xor_b64 s[0:1], exec, s[10:11]
; %bb.125:                              ;   in Loop: Header=BB160_51 Depth=1
	v_bfe_u32 v54, v2, 16, 1
	v_add3_u32 v54, v2, v54, s21
                                        ; implicit-def: $vgpr2
; %bb.126:                              ;   in Loop: Header=BB160_51 Depth=1
	s_andn2_saveexec_b64 s[10:11], s[0:1]
; %bb.127:                              ;   in Loop: Header=BB160_51 Depth=1
	v_or_b32_e32 v54, 0x10000, v2
	v_cmp_eq_u32_sdwa s[0:1], v2, v22 src0_sel:WORD_0 src1_sel:DWORD
	v_cndmask_b32_e64 v54, v54, v2, s[0:1]
; %bb.128:                              ;   in Loop: Header=BB160_51 Depth=1
	s_or_b64 exec, exec, s[10:11]
	v_lshlrev_b32_e32 v2, 16, v3
	v_mul_f32_e32 v2, v47, v2
	v_and_b32_e32 v3, 0x7f800000, v2
	v_cmp_ne_u32_e64 s[0:1], s20, v3
                                        ; implicit-def: $vgpr55
	s_and_saveexec_b64 s[10:11], s[0:1]
	s_xor_b64 s[0:1], exec, s[10:11]
; %bb.129:                              ;   in Loop: Header=BB160_51 Depth=1
	v_bfe_u32 v3, v2, 16, 1
	v_add3_u32 v55, v2, v3, s21
                                        ; implicit-def: $vgpr2
; %bb.130:                              ;   in Loop: Header=BB160_51 Depth=1
	s_andn2_saveexec_b64 s[10:11], s[0:1]
; %bb.131:                              ;   in Loop: Header=BB160_51 Depth=1
	v_or_b32_e32 v3, 0x10000, v2
	v_cmp_eq_u32_sdwa s[0:1], v2, v22 src0_sel:WORD_0 src1_sel:DWORD
	v_cndmask_b32_e64 v55, v3, v2, s[0:1]
; %bb.132:                              ;   in Loop: Header=BB160_51 Depth=1
	s_or_b64 exec, exec, s[10:11]
	v_lshlrev_b32_e32 v2, 16, v56
	v_mul_f32_e32 v2, v48, v2
	v_and_b32_e32 v3, 0x7f800000, v2
	v_cmp_ne_u32_e64 s[0:1], s20, v3
                                        ; implicit-def: $vgpr56
	s_and_saveexec_b64 s[10:11], s[0:1]
	s_xor_b64 s[0:1], exec, s[10:11]
; %bb.133:                              ;   in Loop: Header=BB160_51 Depth=1
	v_bfe_u32 v3, v2, 16, 1
	v_add3_u32 v56, v2, v3, s21
                                        ; implicit-def: $vgpr2
; %bb.134:                              ;   in Loop: Header=BB160_51 Depth=1
	s_andn2_saveexec_b64 s[10:11], s[0:1]
; %bb.135:                              ;   in Loop: Header=BB160_51 Depth=1
	v_or_b32_e32 v3, 0x10000, v2
	v_cmp_eq_u32_sdwa s[0:1], v2, v22 src0_sel:WORD_0 src1_sel:DWORD
	v_cndmask_b32_e64 v56, v3, v2, s[0:1]
; %bb.136:                              ;   in Loop: Header=BB160_51 Depth=1
	s_or_b64 exec, exec, s[10:11]
	v_lshlrev_b32_e32 v2, 16, v4
	v_mul_f32_e32 v2, v49, v2
	v_and_b32_e32 v3, 0x7f800000, v2
	v_cmp_ne_u32_e64 s[0:1], s20, v3
                                        ; implicit-def: $vgpr57
	s_and_saveexec_b64 s[10:11], s[0:1]
	s_xor_b64 s[0:1], exec, s[10:11]
; %bb.137:                              ;   in Loop: Header=BB160_51 Depth=1
	v_bfe_u32 v3, v2, 16, 1
	v_add3_u32 v57, v2, v3, s21
                                        ; implicit-def: $vgpr2
; %bb.138:                              ;   in Loop: Header=BB160_51 Depth=1
	s_andn2_saveexec_b64 s[10:11], s[0:1]
; %bb.139:                              ;   in Loop: Header=BB160_51 Depth=1
	v_or_b32_e32 v3, 0x10000, v2
	v_cmp_eq_u32_sdwa s[0:1], v2, v22 src0_sel:WORD_0 src1_sel:DWORD
	v_cndmask_b32_e64 v57, v3, v2, s[0:1]
; %bb.140:                              ;   in Loop: Header=BB160_51 Depth=1
	s_or_b64 exec, exec, s[10:11]
	v_lshlrev_b32_e32 v2, 16, v58
	v_mul_f32_e32 v2, v50, v2
	v_and_b32_e32 v3, 0x7f800000, v2
	v_cmp_ne_u32_e64 s[0:1], s20, v3
                                        ; implicit-def: $vgpr58
	s_and_saveexec_b64 s[10:11], s[0:1]
	s_xor_b64 s[0:1], exec, s[10:11]
; %bb.141:                              ;   in Loop: Header=BB160_51 Depth=1
	v_bfe_u32 v3, v2, 16, 1
	v_add3_u32 v58, v2, v3, s21
                                        ; implicit-def: $vgpr2
; %bb.142:                              ;   in Loop: Header=BB160_51 Depth=1
	s_andn2_saveexec_b64 s[10:11], s[0:1]
; %bb.143:                              ;   in Loop: Header=BB160_51 Depth=1
	v_or_b32_e32 v3, 0x10000, v2
	v_cmp_eq_u32_sdwa s[0:1], v2, v22 src0_sel:WORD_0 src1_sel:DWORD
	v_cndmask_b32_e64 v58, v3, v2, s[0:1]
; %bb.144:                              ;   in Loop: Header=BB160_51 Depth=1
	s_or_b64 exec, exec, s[10:11]
	v_lshlrev_b32_e32 v2, 16, v5
	v_mul_f32_e32 v2, v51, v2
	v_and_b32_e32 v3, 0x7f800000, v2
	v_cmp_ne_u32_e64 s[0:1], s20, v3
                                        ; implicit-def: $vgpr59
	s_and_saveexec_b64 s[10:11], s[0:1]
	s_xor_b64 s[0:1], exec, s[10:11]
; %bb.145:                              ;   in Loop: Header=BB160_51 Depth=1
	v_bfe_u32 v3, v2, 16, 1
	v_add3_u32 v59, v2, v3, s21
                                        ; implicit-def: $vgpr2
; %bb.146:                              ;   in Loop: Header=BB160_51 Depth=1
	s_andn2_saveexec_b64 s[10:11], s[0:1]
; %bb.147:                              ;   in Loop: Header=BB160_51 Depth=1
	v_or_b32_e32 v3, 0x10000, v2
	v_cmp_eq_u32_sdwa s[0:1], v2, v22 src0_sel:WORD_0 src1_sel:DWORD
	v_cndmask_b32_e64 v59, v3, v2, s[0:1]
; %bb.148:                              ;   in Loop: Header=BB160_51 Depth=1
	s_or_b64 exec, exec, s[10:11]
	v_lshlrev_b32_e32 v2, 16, v60
	v_mul_f32_e32 v2, v52, v2
	v_and_b32_e32 v3, 0x7f800000, v2
	v_cmp_ne_u32_e64 s[0:1], s20, v3
                                        ; implicit-def: $vgpr60
	s_and_saveexec_b64 s[10:11], s[0:1]
	s_xor_b64 s[0:1], exec, s[10:11]
; %bb.149:                              ;   in Loop: Header=BB160_51 Depth=1
	v_bfe_u32 v3, v2, 16, 1
	v_add3_u32 v60, v2, v3, s21
                                        ; implicit-def: $vgpr2
; %bb.150:                              ;   in Loop: Header=BB160_51 Depth=1
	s_andn2_saveexec_b64 s[10:11], s[0:1]
; %bb.151:                              ;   in Loop: Header=BB160_51 Depth=1
	v_or_b32_e32 v3, 0x10000, v2
	v_cmp_eq_u32_sdwa s[0:1], v2, v22 src0_sel:WORD_0 src1_sel:DWORD
	v_cndmask_b32_e64 v60, v3, v2, s[0:1]
; %bb.152:                              ;   in Loop: Header=BB160_51 Depth=1
	s_or_b64 exec, exec, s[10:11]
	global_load_dwordx4 v[2:5], v[6:7], off offset:2048
	s_waitcnt vmcnt(0)
	v_lshrrev_b32_e32 v62, 16, v2
	v_lshrrev_b32_e32 v64, 16, v3
	;; [unrolled: 1-line block ×4, first 2 shown]
	s_and_saveexec_b64 s[10:11], vcc
	s_cbranch_execz .LBB160_154
; %bb.153:                              ;   in Loop: Header=BB160_51 Depth=1
	v_cmp_gt_i32_e64 s[0:1], s33, v35
	v_cndmask_b32_e64 v2, 0, v2, s[0:1]
	v_cmp_gt_i32_e64 s[0:1], s33, v42
	v_cndmask_b32_e64 v62, 0, v62, s[0:1]
	;; [unrolled: 2-line block ×8, first 2 shown]
.LBB160_154:                            ;   in Loop: Header=BB160_51 Depth=1
	s_or_b64 exec, exec, s[10:11]
	v_lshlrev_b32_e32 v2, 16, v2
	v_mul_f32_e32 v2, v45, v2
	v_and_b32_e32 v61, 0x7f800000, v2
	v_cmp_ne_u32_e64 s[0:1], s20, v61
                                        ; implicit-def: $vgpr61
	s_and_saveexec_b64 s[10:11], s[0:1]
	s_xor_b64 s[0:1], exec, s[10:11]
; %bb.155:                              ;   in Loop: Header=BB160_51 Depth=1
	v_bfe_u32 v61, v2, 16, 1
	v_add3_u32 v61, v2, v61, s21
                                        ; implicit-def: $vgpr2
; %bb.156:                              ;   in Loop: Header=BB160_51 Depth=1
	s_andn2_saveexec_b64 s[10:11], s[0:1]
; %bb.157:                              ;   in Loop: Header=BB160_51 Depth=1
	v_or_b32_e32 v61, 0x10000, v2
	v_cmp_eq_u32_sdwa s[0:1], v2, v22 src0_sel:WORD_0 src1_sel:DWORD
	v_cndmask_b32_e64 v61, v61, v2, s[0:1]
; %bb.158:                              ;   in Loop: Header=BB160_51 Depth=1
	s_or_b64 exec, exec, s[10:11]
	v_lshlrev_b32_e32 v2, 16, v62
	v_mul_f32_e32 v2, v46, v2
	v_and_b32_e32 v62, 0x7f800000, v2
	v_cmp_ne_u32_e64 s[0:1], s20, v62
                                        ; implicit-def: $vgpr62
	s_and_saveexec_b64 s[10:11], s[0:1]
	s_xor_b64 s[0:1], exec, s[10:11]
; %bb.159:                              ;   in Loop: Header=BB160_51 Depth=1
	v_bfe_u32 v62, v2, 16, 1
	v_add3_u32 v62, v2, v62, s21
                                        ; implicit-def: $vgpr2
; %bb.160:                              ;   in Loop: Header=BB160_51 Depth=1
	s_andn2_saveexec_b64 s[10:11], s[0:1]
; %bb.161:                              ;   in Loop: Header=BB160_51 Depth=1
	v_or_b32_e32 v62, 0x10000, v2
	v_cmp_eq_u32_sdwa s[0:1], v2, v22 src0_sel:WORD_0 src1_sel:DWORD
	v_cndmask_b32_e64 v62, v62, v2, s[0:1]
; %bb.162:                              ;   in Loop: Header=BB160_51 Depth=1
	s_or_b64 exec, exec, s[10:11]
	v_lshlrev_b32_e32 v2, 16, v3
	v_mul_f32_e32 v2, v47, v2
	v_and_b32_e32 v3, 0x7f800000, v2
	v_cmp_ne_u32_e64 s[0:1], s20, v3
                                        ; implicit-def: $vgpr63
	s_and_saveexec_b64 s[10:11], s[0:1]
	s_xor_b64 s[0:1], exec, s[10:11]
; %bb.163:                              ;   in Loop: Header=BB160_51 Depth=1
	v_bfe_u32 v3, v2, 16, 1
	v_add3_u32 v63, v2, v3, s21
                                        ; implicit-def: $vgpr2
; %bb.164:                              ;   in Loop: Header=BB160_51 Depth=1
	s_andn2_saveexec_b64 s[10:11], s[0:1]
; %bb.165:                              ;   in Loop: Header=BB160_51 Depth=1
	v_or_b32_e32 v3, 0x10000, v2
	v_cmp_eq_u32_sdwa s[0:1], v2, v22 src0_sel:WORD_0 src1_sel:DWORD
	v_cndmask_b32_e64 v63, v3, v2, s[0:1]
; %bb.166:                              ;   in Loop: Header=BB160_51 Depth=1
	s_or_b64 exec, exec, s[10:11]
	v_lshlrev_b32_e32 v2, 16, v64
	v_mul_f32_e32 v2, v48, v2
	v_and_b32_e32 v3, 0x7f800000, v2
	v_cmp_ne_u32_e64 s[0:1], s20, v3
                                        ; implicit-def: $vgpr64
	s_and_saveexec_b64 s[10:11], s[0:1]
	s_xor_b64 s[0:1], exec, s[10:11]
; %bb.167:                              ;   in Loop: Header=BB160_51 Depth=1
	v_bfe_u32 v3, v2, 16, 1
	v_add3_u32 v64, v2, v3, s21
                                        ; implicit-def: $vgpr2
; %bb.168:                              ;   in Loop: Header=BB160_51 Depth=1
	s_andn2_saveexec_b64 s[10:11], s[0:1]
; %bb.169:                              ;   in Loop: Header=BB160_51 Depth=1
	v_or_b32_e32 v3, 0x10000, v2
	v_cmp_eq_u32_sdwa s[0:1], v2, v22 src0_sel:WORD_0 src1_sel:DWORD
	v_cndmask_b32_e64 v64, v3, v2, s[0:1]
; %bb.170:                              ;   in Loop: Header=BB160_51 Depth=1
	s_or_b64 exec, exec, s[10:11]
	v_lshlrev_b32_e32 v2, 16, v4
	v_mul_f32_e32 v2, v49, v2
	v_and_b32_e32 v3, 0x7f800000, v2
	v_cmp_ne_u32_e64 s[0:1], s20, v3
                                        ; implicit-def: $vgpr65
	s_and_saveexec_b64 s[10:11], s[0:1]
	s_xor_b64 s[0:1], exec, s[10:11]
; %bb.171:                              ;   in Loop: Header=BB160_51 Depth=1
	v_bfe_u32 v3, v2, 16, 1
	v_add3_u32 v65, v2, v3, s21
                                        ; implicit-def: $vgpr2
; %bb.172:                              ;   in Loop: Header=BB160_51 Depth=1
	s_andn2_saveexec_b64 s[10:11], s[0:1]
; %bb.173:                              ;   in Loop: Header=BB160_51 Depth=1
	v_or_b32_e32 v3, 0x10000, v2
	v_cmp_eq_u32_sdwa s[0:1], v2, v22 src0_sel:WORD_0 src1_sel:DWORD
	v_cndmask_b32_e64 v65, v3, v2, s[0:1]
; %bb.174:                              ;   in Loop: Header=BB160_51 Depth=1
	s_or_b64 exec, exec, s[10:11]
	v_lshlrev_b32_e32 v2, 16, v66
	v_mul_f32_e32 v2, v50, v2
	v_and_b32_e32 v3, 0x7f800000, v2
	v_cmp_ne_u32_e64 s[0:1], s20, v3
                                        ; implicit-def: $vgpr66
	s_and_saveexec_b64 s[10:11], s[0:1]
	s_xor_b64 s[0:1], exec, s[10:11]
; %bb.175:                              ;   in Loop: Header=BB160_51 Depth=1
	v_bfe_u32 v3, v2, 16, 1
	v_add3_u32 v66, v2, v3, s21
                                        ; implicit-def: $vgpr2
; %bb.176:                              ;   in Loop: Header=BB160_51 Depth=1
	s_andn2_saveexec_b64 s[10:11], s[0:1]
; %bb.177:                              ;   in Loop: Header=BB160_51 Depth=1
	v_or_b32_e32 v3, 0x10000, v2
	v_cmp_eq_u32_sdwa s[0:1], v2, v22 src0_sel:WORD_0 src1_sel:DWORD
	v_cndmask_b32_e64 v66, v3, v2, s[0:1]
; %bb.178:                              ;   in Loop: Header=BB160_51 Depth=1
	s_or_b64 exec, exec, s[10:11]
	v_lshlrev_b32_e32 v2, 16, v5
	v_mul_f32_e32 v2, v51, v2
	v_and_b32_e32 v3, 0x7f800000, v2
	v_cmp_ne_u32_e64 s[0:1], s20, v3
                                        ; implicit-def: $vgpr67
	s_and_saveexec_b64 s[10:11], s[0:1]
	s_xor_b64 s[0:1], exec, s[10:11]
; %bb.179:                              ;   in Loop: Header=BB160_51 Depth=1
	v_bfe_u32 v3, v2, 16, 1
	v_add3_u32 v67, v2, v3, s21
                                        ; implicit-def: $vgpr2
; %bb.180:                              ;   in Loop: Header=BB160_51 Depth=1
	s_andn2_saveexec_b64 s[10:11], s[0:1]
; %bb.181:                              ;   in Loop: Header=BB160_51 Depth=1
	v_or_b32_e32 v3, 0x10000, v2
	v_cmp_eq_u32_sdwa s[0:1], v2, v22 src0_sel:WORD_0 src1_sel:DWORD
	v_cndmask_b32_e64 v67, v3, v2, s[0:1]
; %bb.182:                              ;   in Loop: Header=BB160_51 Depth=1
	s_or_b64 exec, exec, s[10:11]
	v_lshlrev_b32_e32 v2, 16, v68
	v_mul_f32_e32 v2, v52, v2
	v_and_b32_e32 v3, 0x7f800000, v2
	v_cmp_ne_u32_e64 s[0:1], s20, v3
                                        ; implicit-def: $vgpr68
	s_and_saveexec_b64 s[10:11], s[0:1]
	s_xor_b64 s[0:1], exec, s[10:11]
; %bb.183:                              ;   in Loop: Header=BB160_51 Depth=1
	v_bfe_u32 v3, v2, 16, 1
	v_add3_u32 v68, v2, v3, s21
                                        ; implicit-def: $vgpr2
; %bb.184:                              ;   in Loop: Header=BB160_51 Depth=1
	s_andn2_saveexec_b64 s[10:11], s[0:1]
; %bb.185:                              ;   in Loop: Header=BB160_51 Depth=1
	v_or_b32_e32 v3, 0x10000, v2
	v_cmp_eq_u32_sdwa s[0:1], v2, v22 src0_sel:WORD_0 src1_sel:DWORD
	v_cndmask_b32_e64 v68, v3, v2, s[0:1]
; %bb.186:                              ;   in Loop: Header=BB160_51 Depth=1
	s_or_b64 exec, exec, s[10:11]
	global_load_dwordx4 v[2:5], v[6:7], off offset:3072
	s_waitcnt vmcnt(0)
	v_lshrrev_b32_e32 v7, 16, v2
	v_lshrrev_b32_e32 v70, 16, v3
	v_lshrrev_b32_e32 v72, 16, v4
	v_lshrrev_b32_e32 v74, 16, v5
	s_and_saveexec_b64 s[10:11], vcc
	s_cbranch_execz .LBB160_188
; %bb.187:                              ;   in Loop: Header=BB160_51 Depth=1
	v_cmp_gt_i32_e64 s[0:1], s33, v35
	v_cndmask_b32_e64 v2, 0, v2, s[0:1]
	v_cmp_gt_i32_e64 s[0:1], s33, v42
	v_cndmask_b32_e64 v7, 0, v7, s[0:1]
	;; [unrolled: 2-line block ×8, first 2 shown]
.LBB160_188:                            ;   in Loop: Header=BB160_51 Depth=1
	s_or_b64 exec, exec, s[10:11]
	v_lshlrev_b32_e32 v2, 16, v2
	v_mul_f32_e32 v2, v45, v2
	v_and_b32_e32 v6, 0x7f800000, v2
	v_cmp_ne_u32_e64 s[0:1], s20, v6
                                        ; implicit-def: $vgpr6
	s_and_saveexec_b64 s[10:11], s[0:1]
	s_xor_b64 s[0:1], exec, s[10:11]
; %bb.189:                              ;   in Loop: Header=BB160_51 Depth=1
	v_bfe_u32 v6, v2, 16, 1
	v_add3_u32 v6, v2, v6, s21
                                        ; implicit-def: $vgpr2
; %bb.190:                              ;   in Loop: Header=BB160_51 Depth=1
	s_andn2_saveexec_b64 s[10:11], s[0:1]
; %bb.191:                              ;   in Loop: Header=BB160_51 Depth=1
	v_or_b32_e32 v6, 0x10000, v2
	v_cmp_eq_u32_sdwa s[0:1], v2, v22 src0_sel:WORD_0 src1_sel:DWORD
	v_cndmask_b32_e64 v6, v6, v2, s[0:1]
; %bb.192:                              ;   in Loop: Header=BB160_51 Depth=1
	s_or_b64 exec, exec, s[10:11]
	v_lshlrev_b32_e32 v2, 16, v7
	v_mul_f32_e32 v2, v46, v2
	v_and_b32_e32 v7, 0x7f800000, v2
	v_cmp_ne_u32_e64 s[0:1], s20, v7
                                        ; implicit-def: $vgpr7
	s_and_saveexec_b64 s[10:11], s[0:1]
	s_xor_b64 s[0:1], exec, s[10:11]
; %bb.193:                              ;   in Loop: Header=BB160_51 Depth=1
	v_bfe_u32 v7, v2, 16, 1
	v_add3_u32 v7, v2, v7, s21
                                        ; implicit-def: $vgpr2
; %bb.194:                              ;   in Loop: Header=BB160_51 Depth=1
	s_andn2_saveexec_b64 s[10:11], s[0:1]
; %bb.195:                              ;   in Loop: Header=BB160_51 Depth=1
	v_or_b32_e32 v7, 0x10000, v2
	v_cmp_eq_u32_sdwa s[0:1], v2, v22 src0_sel:WORD_0 src1_sel:DWORD
	v_cndmask_b32_e64 v7, v7, v2, s[0:1]
; %bb.196:                              ;   in Loop: Header=BB160_51 Depth=1
	s_or_b64 exec, exec, s[10:11]
	v_lshlrev_b32_e32 v2, 16, v3
	v_mul_f32_e32 v2, v47, v2
	v_and_b32_e32 v3, 0x7f800000, v2
	v_cmp_ne_u32_e64 s[0:1], s20, v3
                                        ; implicit-def: $vgpr69
	s_and_saveexec_b64 s[10:11], s[0:1]
	s_xor_b64 s[0:1], exec, s[10:11]
; %bb.197:                              ;   in Loop: Header=BB160_51 Depth=1
	v_bfe_u32 v3, v2, 16, 1
	v_add3_u32 v69, v2, v3, s21
                                        ; implicit-def: $vgpr2
; %bb.198:                              ;   in Loop: Header=BB160_51 Depth=1
	s_andn2_saveexec_b64 s[10:11], s[0:1]
; %bb.199:                              ;   in Loop: Header=BB160_51 Depth=1
	v_or_b32_e32 v3, 0x10000, v2
	v_cmp_eq_u32_sdwa s[0:1], v2, v22 src0_sel:WORD_0 src1_sel:DWORD
	v_cndmask_b32_e64 v69, v3, v2, s[0:1]
; %bb.200:                              ;   in Loop: Header=BB160_51 Depth=1
	s_or_b64 exec, exec, s[10:11]
	v_lshlrev_b32_e32 v2, 16, v70
	v_mul_f32_e32 v2, v48, v2
	v_and_b32_e32 v3, 0x7f800000, v2
	v_cmp_ne_u32_e64 s[0:1], s20, v3
                                        ; implicit-def: $vgpr70
	s_and_saveexec_b64 s[10:11], s[0:1]
	s_xor_b64 s[0:1], exec, s[10:11]
; %bb.201:                              ;   in Loop: Header=BB160_51 Depth=1
	v_bfe_u32 v3, v2, 16, 1
	v_add3_u32 v70, v2, v3, s21
                                        ; implicit-def: $vgpr2
; %bb.202:                              ;   in Loop: Header=BB160_51 Depth=1
	s_andn2_saveexec_b64 s[10:11], s[0:1]
; %bb.203:                              ;   in Loop: Header=BB160_51 Depth=1
	v_or_b32_e32 v3, 0x10000, v2
	v_cmp_eq_u32_sdwa s[0:1], v2, v22 src0_sel:WORD_0 src1_sel:DWORD
	v_cndmask_b32_e64 v70, v3, v2, s[0:1]
; %bb.204:                              ;   in Loop: Header=BB160_51 Depth=1
	s_or_b64 exec, exec, s[10:11]
	v_lshlrev_b32_e32 v2, 16, v4
	v_mul_f32_e32 v2, v49, v2
	v_and_b32_e32 v3, 0x7f800000, v2
	v_cmp_ne_u32_e64 s[0:1], s20, v3
                                        ; implicit-def: $vgpr71
	s_and_saveexec_b64 s[10:11], s[0:1]
	s_xor_b64 s[0:1], exec, s[10:11]
; %bb.205:                              ;   in Loop: Header=BB160_51 Depth=1
	v_bfe_u32 v3, v2, 16, 1
	v_add3_u32 v71, v2, v3, s21
                                        ; implicit-def: $vgpr2
; %bb.206:                              ;   in Loop: Header=BB160_51 Depth=1
	s_andn2_saveexec_b64 s[10:11], s[0:1]
; %bb.207:                              ;   in Loop: Header=BB160_51 Depth=1
	v_or_b32_e32 v3, 0x10000, v2
	v_cmp_eq_u32_sdwa s[0:1], v2, v22 src0_sel:WORD_0 src1_sel:DWORD
	v_cndmask_b32_e64 v71, v3, v2, s[0:1]
; %bb.208:                              ;   in Loop: Header=BB160_51 Depth=1
	s_or_b64 exec, exec, s[10:11]
	v_lshlrev_b32_e32 v2, 16, v72
	v_mul_f32_e32 v2, v50, v2
	v_and_b32_e32 v3, 0x7f800000, v2
	v_cmp_ne_u32_e64 s[0:1], s20, v3
                                        ; implicit-def: $vgpr72
	s_and_saveexec_b64 s[10:11], s[0:1]
	s_xor_b64 s[0:1], exec, s[10:11]
; %bb.209:                              ;   in Loop: Header=BB160_51 Depth=1
	v_bfe_u32 v3, v2, 16, 1
	v_add3_u32 v72, v2, v3, s21
                                        ; implicit-def: $vgpr2
; %bb.210:                              ;   in Loop: Header=BB160_51 Depth=1
	s_andn2_saveexec_b64 s[10:11], s[0:1]
; %bb.211:                              ;   in Loop: Header=BB160_51 Depth=1
	v_or_b32_e32 v3, 0x10000, v2
	v_cmp_eq_u32_sdwa s[0:1], v2, v22 src0_sel:WORD_0 src1_sel:DWORD
	v_cndmask_b32_e64 v72, v3, v2, s[0:1]
; %bb.212:                              ;   in Loop: Header=BB160_51 Depth=1
	s_or_b64 exec, exec, s[10:11]
	v_lshlrev_b32_e32 v2, 16, v5
	v_mul_f32_e32 v2, v51, v2
	v_and_b32_e32 v3, 0x7f800000, v2
	v_cmp_ne_u32_e64 s[0:1], s20, v3
                                        ; implicit-def: $vgpr73
	s_and_saveexec_b64 s[10:11], s[0:1]
	s_xor_b64 s[0:1], exec, s[10:11]
; %bb.213:                              ;   in Loop: Header=BB160_51 Depth=1
	v_bfe_u32 v3, v2, 16, 1
	v_add3_u32 v73, v2, v3, s21
                                        ; implicit-def: $vgpr2
; %bb.214:                              ;   in Loop: Header=BB160_51 Depth=1
	s_andn2_saveexec_b64 s[10:11], s[0:1]
; %bb.215:                              ;   in Loop: Header=BB160_51 Depth=1
	v_or_b32_e32 v3, 0x10000, v2
	v_cmp_eq_u32_sdwa s[0:1], v2, v22 src0_sel:WORD_0 src1_sel:DWORD
	v_cndmask_b32_e64 v73, v3, v2, s[0:1]
; %bb.216:                              ;   in Loop: Header=BB160_51 Depth=1
	s_or_b64 exec, exec, s[10:11]
	v_lshlrev_b32_e32 v2, 16, v74
	v_mul_f32_e32 v2, v52, v2
	v_and_b32_e32 v3, 0x7f800000, v2
	v_cmp_ne_u32_e64 s[0:1], s20, v3
                                        ; implicit-def: $vgpr74
	s_and_saveexec_b64 s[10:11], s[0:1]
	s_xor_b64 s[0:1], exec, s[10:11]
; %bb.217:                              ;   in Loop: Header=BB160_51 Depth=1
	v_bfe_u32 v3, v2, 16, 1
	v_add3_u32 v74, v2, v3, s21
                                        ; implicit-def: $vgpr2
; %bb.218:                              ;   in Loop: Header=BB160_51 Depth=1
	s_andn2_saveexec_b64 s[10:11], s[0:1]
; %bb.219:                              ;   in Loop: Header=BB160_51 Depth=1
	v_or_b32_e32 v3, 0x10000, v2
	v_cmp_eq_u32_sdwa s[0:1], v2, v22 src0_sel:WORD_0 src1_sel:DWORD
	v_cndmask_b32_e64 v74, v3, v2, s[0:1]
; %bb.220:                              ;   in Loop: Header=BB160_51 Depth=1
	s_or_b64 exec, exec, s[10:11]
	v_add_co_u32_e64 v2, s[0:1], v43, v27
	v_addc_co_u32_e64 v3, s[0:1], 0, v44, s[0:1]
	global_load_dwordx4 v[2:5], v[2:3], off
	s_waitcnt vmcnt(0)
	v_lshrrev_b32_e32 v76, 16, v2
	v_lshrrev_b32_e32 v78, 16, v3
	;; [unrolled: 1-line block ×4, first 2 shown]
	s_and_saveexec_b64 s[10:11], vcc
	s_cbranch_execz .LBB160_222
; %bb.221:                              ;   in Loop: Header=BB160_51 Depth=1
	v_cmp_gt_i32_e64 s[0:1], s33, v35
	v_cndmask_b32_e64 v2, 0, v2, s[0:1]
	v_cmp_gt_i32_e64 s[0:1], s33, v42
	v_cndmask_b32_e64 v76, 0, v76, s[0:1]
	;; [unrolled: 2-line block ×8, first 2 shown]
.LBB160_222:                            ;   in Loop: Header=BB160_51 Depth=1
	s_or_b64 exec, exec, s[10:11]
	v_lshlrev_b32_e32 v2, 16, v2
	v_mul_f32_e32 v2, v45, v2
	v_and_b32_e32 v75, 0x7f800000, v2
	v_cmp_ne_u32_e64 s[0:1], s20, v75
                                        ; implicit-def: $vgpr75
	s_and_saveexec_b64 s[10:11], s[0:1]
	s_xor_b64 s[0:1], exec, s[10:11]
; %bb.223:                              ;   in Loop: Header=BB160_51 Depth=1
	v_bfe_u32 v75, v2, 16, 1
	v_add3_u32 v75, v2, v75, s21
                                        ; implicit-def: $vgpr2
; %bb.224:                              ;   in Loop: Header=BB160_51 Depth=1
	s_andn2_saveexec_b64 s[10:11], s[0:1]
; %bb.225:                              ;   in Loop: Header=BB160_51 Depth=1
	v_or_b32_e32 v75, 0x10000, v2
	v_cmp_eq_u32_sdwa s[0:1], v2, v22 src0_sel:WORD_0 src1_sel:DWORD
	v_cndmask_b32_e64 v75, v75, v2, s[0:1]
; %bb.226:                              ;   in Loop: Header=BB160_51 Depth=1
	s_or_b64 exec, exec, s[10:11]
	v_lshlrev_b32_e32 v2, 16, v76
	v_mul_f32_e32 v2, v46, v2
	v_and_b32_e32 v76, 0x7f800000, v2
	v_cmp_ne_u32_e64 s[0:1], s20, v76
                                        ; implicit-def: $vgpr76
	s_and_saveexec_b64 s[10:11], s[0:1]
	s_xor_b64 s[0:1], exec, s[10:11]
; %bb.227:                              ;   in Loop: Header=BB160_51 Depth=1
	v_bfe_u32 v76, v2, 16, 1
	v_add3_u32 v76, v2, v76, s21
                                        ; implicit-def: $vgpr2
; %bb.228:                              ;   in Loop: Header=BB160_51 Depth=1
	s_andn2_saveexec_b64 s[10:11], s[0:1]
; %bb.229:                              ;   in Loop: Header=BB160_51 Depth=1
	v_or_b32_e32 v76, 0x10000, v2
	v_cmp_eq_u32_sdwa s[0:1], v2, v22 src0_sel:WORD_0 src1_sel:DWORD
	v_cndmask_b32_e64 v76, v76, v2, s[0:1]
; %bb.230:                              ;   in Loop: Header=BB160_51 Depth=1
	s_or_b64 exec, exec, s[10:11]
	v_lshlrev_b32_e32 v2, 16, v3
	v_mul_f32_e32 v2, v47, v2
	v_and_b32_e32 v3, 0x7f800000, v2
	v_cmp_ne_u32_e64 s[0:1], s20, v3
                                        ; implicit-def: $vgpr77
	s_and_saveexec_b64 s[10:11], s[0:1]
	s_xor_b64 s[0:1], exec, s[10:11]
; %bb.231:                              ;   in Loop: Header=BB160_51 Depth=1
	v_bfe_u32 v3, v2, 16, 1
	v_add3_u32 v77, v2, v3, s21
                                        ; implicit-def: $vgpr2
; %bb.232:                              ;   in Loop: Header=BB160_51 Depth=1
	s_andn2_saveexec_b64 s[10:11], s[0:1]
; %bb.233:                              ;   in Loop: Header=BB160_51 Depth=1
	v_or_b32_e32 v3, 0x10000, v2
	v_cmp_eq_u32_sdwa s[0:1], v2, v22 src0_sel:WORD_0 src1_sel:DWORD
	v_cndmask_b32_e64 v77, v3, v2, s[0:1]
; %bb.234:                              ;   in Loop: Header=BB160_51 Depth=1
	s_or_b64 exec, exec, s[10:11]
	v_lshlrev_b32_e32 v2, 16, v78
	v_mul_f32_e32 v2, v48, v2
	v_and_b32_e32 v3, 0x7f800000, v2
	v_cmp_ne_u32_e64 s[0:1], s20, v3
                                        ; implicit-def: $vgpr78
	s_and_saveexec_b64 s[10:11], s[0:1]
	s_xor_b64 s[0:1], exec, s[10:11]
; %bb.235:                              ;   in Loop: Header=BB160_51 Depth=1
	v_bfe_u32 v3, v2, 16, 1
	v_add3_u32 v78, v2, v3, s21
                                        ; implicit-def: $vgpr2
; %bb.236:                              ;   in Loop: Header=BB160_51 Depth=1
	s_andn2_saveexec_b64 s[10:11], s[0:1]
; %bb.237:                              ;   in Loop: Header=BB160_51 Depth=1
	v_or_b32_e32 v3, 0x10000, v2
	v_cmp_eq_u32_sdwa s[0:1], v2, v22 src0_sel:WORD_0 src1_sel:DWORD
	v_cndmask_b32_e64 v78, v3, v2, s[0:1]
; %bb.238:                              ;   in Loop: Header=BB160_51 Depth=1
	s_or_b64 exec, exec, s[10:11]
	v_lshlrev_b32_e32 v2, 16, v4
	v_mul_f32_e32 v2, v49, v2
	v_and_b32_e32 v3, 0x7f800000, v2
	v_cmp_ne_u32_e64 s[0:1], s20, v3
                                        ; implicit-def: $vgpr79
	s_and_saveexec_b64 s[10:11], s[0:1]
	s_xor_b64 s[0:1], exec, s[10:11]
; %bb.239:                              ;   in Loop: Header=BB160_51 Depth=1
	v_bfe_u32 v3, v2, 16, 1
	v_add3_u32 v79, v2, v3, s21
                                        ; implicit-def: $vgpr2
; %bb.240:                              ;   in Loop: Header=BB160_51 Depth=1
	s_andn2_saveexec_b64 s[10:11], s[0:1]
; %bb.241:                              ;   in Loop: Header=BB160_51 Depth=1
	v_or_b32_e32 v3, 0x10000, v2
	v_cmp_eq_u32_sdwa s[0:1], v2, v22 src0_sel:WORD_0 src1_sel:DWORD
	v_cndmask_b32_e64 v79, v3, v2, s[0:1]
; %bb.242:                              ;   in Loop: Header=BB160_51 Depth=1
	s_or_b64 exec, exec, s[10:11]
	v_lshlrev_b32_e32 v2, 16, v80
	v_mul_f32_e32 v2, v50, v2
	v_and_b32_e32 v3, 0x7f800000, v2
	v_cmp_ne_u32_e64 s[0:1], s20, v3
                                        ; implicit-def: $vgpr80
	s_and_saveexec_b64 s[10:11], s[0:1]
	s_xor_b64 s[0:1], exec, s[10:11]
; %bb.243:                              ;   in Loop: Header=BB160_51 Depth=1
	v_bfe_u32 v3, v2, 16, 1
	v_add3_u32 v80, v2, v3, s21
                                        ; implicit-def: $vgpr2
; %bb.244:                              ;   in Loop: Header=BB160_51 Depth=1
	s_andn2_saveexec_b64 s[10:11], s[0:1]
; %bb.245:                              ;   in Loop: Header=BB160_51 Depth=1
	v_or_b32_e32 v3, 0x10000, v2
	v_cmp_eq_u32_sdwa s[0:1], v2, v22 src0_sel:WORD_0 src1_sel:DWORD
	v_cndmask_b32_e64 v80, v3, v2, s[0:1]
; %bb.246:                              ;   in Loop: Header=BB160_51 Depth=1
	s_or_b64 exec, exec, s[10:11]
	v_lshlrev_b32_e32 v2, 16, v5
	v_mul_f32_e32 v2, v51, v2
	v_and_b32_e32 v3, 0x7f800000, v2
	v_cmp_ne_u32_e64 s[0:1], s20, v3
                                        ; implicit-def: $vgpr81
	s_and_saveexec_b64 s[10:11], s[0:1]
	s_xor_b64 s[0:1], exec, s[10:11]
; %bb.247:                              ;   in Loop: Header=BB160_51 Depth=1
	v_bfe_u32 v3, v2, 16, 1
	v_add3_u32 v81, v2, v3, s21
                                        ; implicit-def: $vgpr2
; %bb.248:                              ;   in Loop: Header=BB160_51 Depth=1
	s_andn2_saveexec_b64 s[10:11], s[0:1]
; %bb.249:                              ;   in Loop: Header=BB160_51 Depth=1
	v_or_b32_e32 v3, 0x10000, v2
	v_cmp_eq_u32_sdwa s[0:1], v2, v22 src0_sel:WORD_0 src1_sel:DWORD
	v_cndmask_b32_e64 v81, v3, v2, s[0:1]
; %bb.250:                              ;   in Loop: Header=BB160_51 Depth=1
	s_or_b64 exec, exec, s[10:11]
	v_lshlrev_b32_e32 v2, 16, v82
	v_mul_f32_e32 v2, v52, v2
	v_and_b32_e32 v3, 0x7f800000, v2
	v_cmp_ne_u32_e64 s[0:1], s20, v3
                                        ; implicit-def: $vgpr82
	s_and_saveexec_b64 s[10:11], s[0:1]
	s_xor_b64 s[0:1], exec, s[10:11]
; %bb.251:                              ;   in Loop: Header=BB160_51 Depth=1
	v_bfe_u32 v3, v2, 16, 1
	v_add3_u32 v82, v2, v3, s21
                                        ; implicit-def: $vgpr2
; %bb.252:                              ;   in Loop: Header=BB160_51 Depth=1
	s_andn2_saveexec_b64 s[10:11], s[0:1]
; %bb.253:                              ;   in Loop: Header=BB160_51 Depth=1
	v_or_b32_e32 v3, 0x10000, v2
	v_cmp_eq_u32_sdwa s[0:1], v2, v22 src0_sel:WORD_0 src1_sel:DWORD
	v_cndmask_b32_e64 v82, v3, v2, s[0:1]
; %bb.254:                              ;   in Loop: Header=BB160_51 Depth=1
	s_or_b64 exec, exec, s[10:11]
	v_add_co_u32_e64 v2, s[0:1], v43, v28
	v_addc_co_u32_e64 v3, s[0:1], 0, v44, s[0:1]
	global_load_dwordx4 v[2:5], v[2:3], off
	s_waitcnt vmcnt(0)
	v_lshrrev_b32_e32 v84, 16, v2
	v_lshrrev_b32_e32 v83, 16, v3
	;; [unrolled: 1-line block ×4, first 2 shown]
	s_and_saveexec_b64 s[0:1], vcc
	s_cbranch_execz .LBB160_256
; %bb.255:                              ;   in Loop: Header=BB160_51 Depth=1
	v_cmp_gt_i32_e32 vcc, s33, v35
	v_cndmask_b32_e32 v2, 0, v2, vcc
	v_cmp_gt_i32_e32 vcc, s33, v42
	v_cndmask_b32_e32 v84, 0, v84, vcc
	;; [unrolled: 2-line block ×8, first 2 shown]
.LBB160_256:                            ;   in Loop: Header=BB160_51 Depth=1
	s_or_b64 exec, exec, s[0:1]
	v_lshlrev_b32_e32 v2, 16, v2
	v_mul_f32_e32 v35, v45, v2
	v_and_b32_e32 v2, 0x7f800000, v35
	v_cmp_ne_u32_e32 vcc, s20, v2
                                        ; implicit-def: $vgpr2
	s_and_saveexec_b64 s[0:1], vcc
	s_xor_b64 s[0:1], exec, s[0:1]
; %bb.257:                              ;   in Loop: Header=BB160_51 Depth=1
	v_bfe_u32 v2, v35, 16, 1
	v_add3_u32 v2, v35, v2, s21
                                        ; implicit-def: $vgpr35
; %bb.258:                              ;   in Loop: Header=BB160_51 Depth=1
	s_andn2_saveexec_b64 s[0:1], s[0:1]
; %bb.259:                              ;   in Loop: Header=BB160_51 Depth=1
	v_or_b32_e32 v2, 0x10000, v35
	v_cmp_eq_u32_sdwa vcc, v35, v22 src0_sel:WORD_0 src1_sel:DWORD
	v_cndmask_b32_e32 v2, v2, v35, vcc
; %bb.260:                              ;   in Loop: Header=BB160_51 Depth=1
	s_or_b64 exec, exec, s[0:1]
	v_lshlrev_b32_e32 v35, 16, v84
	v_mul_f32_e32 v36, v46, v35
	v_and_b32_e32 v35, 0x7f800000, v36
	v_cmp_ne_u32_e32 vcc, s20, v35
                                        ; implicit-def: $vgpr35
	s_and_saveexec_b64 s[0:1], vcc
	s_xor_b64 s[0:1], exec, s[0:1]
; %bb.261:                              ;   in Loop: Header=BB160_51 Depth=1
	v_bfe_u32 v35, v36, 16, 1
	v_add3_u32 v35, v36, v35, s21
                                        ; implicit-def: $vgpr36
; %bb.262:                              ;   in Loop: Header=BB160_51 Depth=1
	s_andn2_saveexec_b64 s[0:1], s[0:1]
; %bb.263:                              ;   in Loop: Header=BB160_51 Depth=1
	v_or_b32_e32 v35, 0x10000, v36
	v_cmp_eq_u32_sdwa vcc, v36, v22 src0_sel:WORD_0 src1_sel:DWORD
	v_cndmask_b32_e32 v35, v35, v36, vcc
; %bb.264:                              ;   in Loop: Header=BB160_51 Depth=1
	s_or_b64 exec, exec, s[0:1]
	v_lshlrev_b32_e32 v3, 16, v3
	v_mul_f32_e32 v36, v47, v3
	v_and_b32_e32 v3, 0x7f800000, v36
	v_cmp_ne_u32_e32 vcc, s20, v3
                                        ; implicit-def: $vgpr3
	s_and_saveexec_b64 s[0:1], vcc
	s_xor_b64 s[0:1], exec, s[0:1]
; %bb.265:                              ;   in Loop: Header=BB160_51 Depth=1
	v_bfe_u32 v3, v36, 16, 1
	v_add3_u32 v3, v36, v3, s21
                                        ; implicit-def: $vgpr36
; %bb.266:                              ;   in Loop: Header=BB160_51 Depth=1
	s_andn2_saveexec_b64 s[0:1], s[0:1]
; %bb.267:                              ;   in Loop: Header=BB160_51 Depth=1
	v_or_b32_e32 v3, 0x10000, v36
	v_cmp_eq_u32_sdwa vcc, v36, v22 src0_sel:WORD_0 src1_sel:DWORD
	v_cndmask_b32_e32 v3, v3, v36, vcc
; %bb.268:                              ;   in Loop: Header=BB160_51 Depth=1
	s_or_b64 exec, exec, s[0:1]
	v_lshlrev_b32_e32 v36, 16, v83
	v_mul_f32_e32 v37, v48, v36
	v_and_b32_e32 v36, 0x7f800000, v37
	v_cmp_ne_u32_e32 vcc, s20, v36
                                        ; implicit-def: $vgpr36
	s_and_saveexec_b64 s[0:1], vcc
	s_xor_b64 s[0:1], exec, s[0:1]
; %bb.269:                              ;   in Loop: Header=BB160_51 Depth=1
	v_bfe_u32 v36, v37, 16, 1
	v_add3_u32 v36, v37, v36, s21
                                        ; implicit-def: $vgpr37
; %bb.270:                              ;   in Loop: Header=BB160_51 Depth=1
	s_andn2_saveexec_b64 s[0:1], s[0:1]
; %bb.271:                              ;   in Loop: Header=BB160_51 Depth=1
	v_or_b32_e32 v36, 0x10000, v37
	v_cmp_eq_u32_sdwa vcc, v37, v22 src0_sel:WORD_0 src1_sel:DWORD
	v_cndmask_b32_e32 v36, v36, v37, vcc
; %bb.272:                              ;   in Loop: Header=BB160_51 Depth=1
	s_or_b64 exec, exec, s[0:1]
	v_lshlrev_b32_e32 v4, 16, v4
	v_mul_f32_e32 v37, v49, v4
	v_and_b32_e32 v4, 0x7f800000, v37
	v_cmp_ne_u32_e32 vcc, s20, v4
                                        ; implicit-def: $vgpr4
	s_and_saveexec_b64 s[0:1], vcc
	s_xor_b64 s[0:1], exec, s[0:1]
; %bb.273:                              ;   in Loop: Header=BB160_51 Depth=1
	v_bfe_u32 v4, v37, 16, 1
	v_add3_u32 v4, v37, v4, s21
                                        ; implicit-def: $vgpr37
; %bb.274:                              ;   in Loop: Header=BB160_51 Depth=1
	s_andn2_saveexec_b64 s[0:1], s[0:1]
; %bb.275:                              ;   in Loop: Header=BB160_51 Depth=1
	v_or_b32_e32 v4, 0x10000, v37
	v_cmp_eq_u32_sdwa vcc, v37, v22 src0_sel:WORD_0 src1_sel:DWORD
	v_cndmask_b32_e32 v4, v4, v37, vcc
; %bb.276:                              ;   in Loop: Header=BB160_51 Depth=1
	s_or_b64 exec, exec, s[0:1]
	v_lshlrev_b32_e32 v37, 16, v44
	v_mul_f32_e32 v38, v50, v37
	v_and_b32_e32 v37, 0x7f800000, v38
	v_cmp_ne_u32_e32 vcc, s20, v37
                                        ; implicit-def: $vgpr37
	s_and_saveexec_b64 s[0:1], vcc
	s_xor_b64 s[0:1], exec, s[0:1]
; %bb.277:                              ;   in Loop: Header=BB160_51 Depth=1
	v_bfe_u32 v37, v38, 16, 1
	v_add3_u32 v37, v38, v37, s21
                                        ; implicit-def: $vgpr38
; %bb.278:                              ;   in Loop: Header=BB160_51 Depth=1
	s_andn2_saveexec_b64 s[0:1], s[0:1]
; %bb.279:                              ;   in Loop: Header=BB160_51 Depth=1
	v_or_b32_e32 v37, 0x10000, v38
	v_cmp_eq_u32_sdwa vcc, v38, v22 src0_sel:WORD_0 src1_sel:DWORD
	v_cndmask_b32_e32 v37, v37, v38, vcc
; %bb.280:                              ;   in Loop: Header=BB160_51 Depth=1
	s_or_b64 exec, exec, s[0:1]
	v_lshlrev_b32_e32 v5, 16, v5
	v_mul_f32_e32 v38, v51, v5
	v_and_b32_e32 v5, 0x7f800000, v38
	v_cmp_ne_u32_e32 vcc, s20, v5
                                        ; implicit-def: $vgpr5
	s_and_saveexec_b64 s[0:1], vcc
	s_xor_b64 s[0:1], exec, s[0:1]
; %bb.281:                              ;   in Loop: Header=BB160_51 Depth=1
	v_bfe_u32 v5, v38, 16, 1
	v_add3_u32 v5, v38, v5, s21
                                        ; implicit-def: $vgpr38
; %bb.282:                              ;   in Loop: Header=BB160_51 Depth=1
	s_andn2_saveexec_b64 s[0:1], s[0:1]
; %bb.283:                              ;   in Loop: Header=BB160_51 Depth=1
	v_or_b32_e32 v5, 0x10000, v38
	v_cmp_eq_u32_sdwa vcc, v38, v22 src0_sel:WORD_0 src1_sel:DWORD
	v_cndmask_b32_e32 v5, v5, v38, vcc
; %bb.284:                              ;   in Loop: Header=BB160_51 Depth=1
	s_or_b64 exec, exec, s[0:1]
	v_lshlrev_b32_e32 v38, 16, v43
	v_mul_f32_e32 v39, v52, v38
	v_and_b32_e32 v38, 0x7f800000, v39
	v_cmp_ne_u32_e32 vcc, s20, v38
                                        ; implicit-def: $vgpr38
	s_and_saveexec_b64 s[0:1], vcc
	s_xor_b64 s[0:1], exec, s[0:1]
; %bb.285:                              ;   in Loop: Header=BB160_51 Depth=1
	v_bfe_u32 v38, v39, 16, 1
	v_add3_u32 v38, v39, v38, s21
                                        ; implicit-def: $vgpr39
; %bb.286:                              ;   in Loop: Header=BB160_51 Depth=1
	s_andn2_saveexec_b64 s[0:1], s[0:1]
	s_cbranch_execz .LBB160_49
; %bb.287:                              ;   in Loop: Header=BB160_51 Depth=1
	v_or_b32_e32 v38, 0x10000, v39
	v_cmp_eq_u32_sdwa vcc, v39, v22 src0_sel:WORD_0 src1_sel:DWORD
	v_cndmask_b32_e32 v38, v38, v39, vcc
	s_branch .LBB160_49
.LBB160_288:
	s_or_b64 exec, exec, s[4:5]
.LBB160_289:
	s_or_b64 exec, exec, s[2:3]
	ds_bpermute_b32 v2, v19, v14
	ds_bpermute_b32 v3, v19, v15
	;; [unrolled: 1-line block ×6, first 2 shown]
	v_and_b32_e32 v1, 0x3c1, v0
	s_waitcnt lgkmcnt(4)
	v_pk_add_f32 v[6:7], v[14:15], v[2:3]
	s_waitcnt lgkmcnt(2)
	v_pk_add_f32 v[2:3], v[12:13], v[4:5]
	v_cmp_eq_u32_e32 vcc, 64, v1
	s_waitcnt lgkmcnt(0)
	v_pk_add_f32 v[4:5], v[10:11], v[8:9]
	s_barrier
	s_and_saveexec_b64 s[0:1], vcc
	s_cbranch_execz .LBB160_291
; %bb.290:
	v_mov_b32_e32 v1, 0x190
	v_lshl_add_u32 v1, v18, 1, v1
	ds_write2_b32 v1, v6, v7 offset1:32
	ds_write2_b32 v1, v2, v3 offset0:64 offset1:96
	ds_write2_b32 v1, v4, v5 offset0:128 offset1:160
.LBB160_291:
	s_or_b64 exec, exec, s[0:1]
	v_cmp_gt_u32_e32 vcc, 64, v0
	s_waitcnt lgkmcnt(0)
	s_barrier
	s_and_saveexec_b64 s[2:3], vcc
	s_cbranch_execz .LBB160_300
; %bb.292:
	v_cmp_eq_u32_e64 s[0:1], 0, v20
	v_lshrrev_b32_e32 v1, 1, v0
	s_and_saveexec_b64 s[4:5], s[0:1]
	s_cbranch_execnz .LBB160_328
; %bb.293:
	s_or_b64 exec, exec, s[4:5]
	s_and_saveexec_b64 s[4:5], s[0:1]
	s_cbranch_execnz .LBB160_329
.LBB160_294:
	s_or_b64 exec, exec, s[4:5]
	s_and_saveexec_b64 s[4:5], s[0:1]
	s_cbranch_execnz .LBB160_330
.LBB160_295:
	s_or_b64 exec, exec, s[4:5]
	s_and_saveexec_b64 s[4:5], s[0:1]
	s_cbranch_execnz .LBB160_331
.LBB160_296:
	s_or_b64 exec, exec, s[4:5]
	s_and_saveexec_b64 s[4:5], s[0:1]
	s_cbranch_execnz .LBB160_332
.LBB160_297:
	s_or_b64 exec, exec, s[4:5]
	s_and_saveexec_b64 s[4:5], s[0:1]
	s_cbranch_execz .LBB160_299
.LBB160_298:
	v_mov_b32_e32 v8, 0x190
	v_lshl_add_u32 v1, v1, 2, v8
	ds_read_b32 v1, v1 offset:640
	s_waitcnt lgkmcnt(0)
	v_add_f32_e32 v5, v5, v1
.LBB160_299:
	s_or_b64 exec, exec, s[4:5]
.LBB160_300:
	s_or_b64 exec, exec, s[2:3]
	s_barrier
	s_and_saveexec_b64 s[0:1], vcc
	s_cbranch_execz .LBB160_327
; %bb.301:
	v_cmp_eq_u32_e32 vcc, 0, v20
	s_and_b64 exec, exec, vcc
	s_cbranch_execz .LBB160_327
; %bb.302:
	s_mov_b32 s0, 0x7f800000
	v_and_b32_e32 v1, 0x7f800000, v6
	v_cmp_ne_u32_e32 vcc, s0, v1
                                        ; implicit-def: $vgpr1
	s_and_saveexec_b64 s[0:1], vcc
	s_xor_b64 s[0:1], exec, s[0:1]
; %bb.303:
	v_bfe_u32 v1, v6, 16, 1
	s_movk_i32 s2, 0x7fff
	v_add3_u32 v1, v6, v1, s2
; %bb.304:
	s_andn2_saveexec_b64 s[0:1], s[0:1]
; %bb.305:
	v_mov_b32_e32 v1, 0
	v_or_b32_e32 v8, 0x10000, v6
	v_cmp_eq_u32_sdwa vcc, v6, v1 src0_sel:WORD_0 src1_sel:DWORD
	v_cndmask_b32_e32 v1, v8, v6, vcc
; %bb.306:
	s_or_b64 exec, exec, s[0:1]
	s_mul_i32 s0, s12, s24
	s_mul_i32 s0, s0, s25
	s_mulk_i32 s0, 0xc0
	s_ashr_i32 s1, s0, 31
	s_lshl_b64 s[0:1], s[0:1], 1
	s_add_u32 s2, s28, s0
	s_mul_i32 s0, s12, s26
	s_addc_u32 s3, s29, s1
	s_ashr_i32 s1, s0, 31
	s_lshl_b64 s[0:1], s[0:1], 1
	s_add_u32 s2, s2, s0
	s_mul_i32 s0, s8, 0xc0
	s_addc_u32 s3, s3, s1
	s_ashr_i32 s1, s0, 31
	s_lshl_b64 s[0:1], s[0:1], 1
	s_add_u32 s0, s2, s0
	s_addc_u32 s1, s3, s1
	v_and_b32_e32 v0, 0x3fe, v0
	v_mov_b32_e32 v6, s1
	v_add_co_u32_e32 v8, vcc, s0, v0
	v_addc_co_u32_e32 v9, vcc, 0, v6, vcc
	global_store_short_d16_hi v0, v1, s[0:1]
	s_mov_b32 s0, 0x7f800000
	v_and_b32_e32 v0, 0x7f800000, v7
	v_cmp_ne_u32_e32 vcc, s0, v0
                                        ; implicit-def: $vgpr0
	s_and_saveexec_b64 s[0:1], vcc
	s_xor_b64 s[0:1], exec, s[0:1]
; %bb.307:
	v_bfe_u32 v0, v7, 16, 1
	s_movk_i32 s2, 0x7fff
	v_add3_u32 v0, v7, v0, s2
; %bb.308:
	s_andn2_saveexec_b64 s[0:1], s[0:1]
; %bb.309:
	v_mov_b32_e32 v0, 0
	v_or_b32_e32 v1, 0x10000, v7
	v_cmp_eq_u32_sdwa vcc, v7, v0 src0_sel:WORD_0 src1_sel:DWORD
	v_cndmask_b32_e32 v0, v1, v7, vcc
; %bb.310:
	s_or_b64 exec, exec, s[0:1]
	global_store_short_d16_hi v[8:9], v0, off offset:64
	s_mov_b32 s0, 0x7f800000
	v_and_b32_e32 v0, 0x7f800000, v2
	v_cmp_ne_u32_e32 vcc, s0, v0
                                        ; implicit-def: $vgpr0
	s_and_saveexec_b64 s[0:1], vcc
	s_xor_b64 s[0:1], exec, s[0:1]
; %bb.311:
	v_bfe_u32 v0, v2, 16, 1
	s_movk_i32 s2, 0x7fff
	v_add3_u32 v0, v2, v0, s2
; %bb.312:
	s_andn2_saveexec_b64 s[0:1], s[0:1]
; %bb.313:
	v_mov_b32_e32 v0, 0
	v_or_b32_e32 v1, 0x10000, v2
	v_cmp_eq_u32_sdwa vcc, v2, v0 src0_sel:WORD_0 src1_sel:DWORD
	v_cndmask_b32_e32 v0, v1, v2, vcc
; %bb.314:
	s_or_b64 exec, exec, s[0:1]
	global_store_short_d16_hi v[8:9], v0, off offset:128
	;; [unrolled: 20-line block ×4, first 2 shown]
	s_mov_b32 s0, 0x7f800000
	v_and_b32_e32 v0, 0x7f800000, v5
	v_cmp_ne_u32_e32 vcc, s0, v0
                                        ; implicit-def: $vgpr6
	s_and_saveexec_b64 s[0:1], vcc
	s_xor_b64 s[0:1], exec, s[0:1]
; %bb.323:
	v_bfe_u32 v0, v5, 16, 1
	s_movk_i32 s2, 0x7fff
	v_add3_u32 v6, v5, v0, s2
                                        ; implicit-def: $vgpr0_vgpr1_vgpr2_vgpr3_vgpr4_vgpr5
; %bb.324:
	s_andn2_saveexec_b64 s[0:1], s[0:1]
; %bb.325:
	v_mov_b32_e32 v0, 0
	v_or_b32_e32 v1, 0x10000, v5
	v_cmp_eq_u32_sdwa vcc, v5, v0 src0_sel:WORD_0 src1_sel:DWORD
	v_cndmask_b32_e32 v6, v1, v5, vcc
; %bb.326:
	s_or_b64 exec, exec, s[0:1]
	global_store_short_d16_hi v[8:9], v6, off offset:320
.LBB160_327:
	s_endpgm
.LBB160_328:
	v_mov_b32_e32 v8, 0x190
	v_lshl_add_u32 v8, v1, 2, v8
	ds_read_b32 v8, v8
	s_waitcnt lgkmcnt(0)
	v_add_f32_e32 v6, v6, v8
	s_or_b64 exec, exec, s[4:5]
	s_and_saveexec_b64 s[4:5], s[0:1]
	s_cbranch_execz .LBB160_294
.LBB160_329:
	v_mov_b32_e32 v8, 0x190
	v_lshl_add_u32 v8, v1, 2, v8
	ds_read_b32 v8, v8 offset:128
	s_waitcnt lgkmcnt(0)
	v_add_f32_e32 v7, v7, v8
	s_or_b64 exec, exec, s[4:5]
	s_and_saveexec_b64 s[4:5], s[0:1]
	s_cbranch_execz .LBB160_295
.LBB160_330:
	v_mov_b32_e32 v8, 0x190
	v_lshl_add_u32 v8, v1, 2, v8
	ds_read_b32 v8, v8 offset:256
	s_waitcnt lgkmcnt(0)
	v_add_f32_e32 v2, v2, v8
	s_or_b64 exec, exec, s[4:5]
	s_and_saveexec_b64 s[4:5], s[0:1]
	s_cbranch_execz .LBB160_296
.LBB160_331:
	v_mov_b32_e32 v8, 0x190
	v_lshl_add_u32 v8, v1, 2, v8
	ds_read_b32 v8, v8 offset:384
	s_waitcnt lgkmcnt(0)
	v_add_f32_e32 v3, v3, v8
	s_or_b64 exec, exec, s[4:5]
	s_and_saveexec_b64 s[4:5], s[0:1]
	s_cbranch_execz .LBB160_297
.LBB160_332:
	v_mov_b32_e32 v8, 0x190
	v_lshl_add_u32 v8, v1, 2, v8
	ds_read_b32 v8, v8 offset:512
	s_waitcnt lgkmcnt(0)
	v_add_f32_e32 v4, v4, v8
	s_or_b64 exec, exec, s[4:5]
	s_and_saveexec_b64 s[4:5], s[0:1]
	s_cbranch_execnz .LBB160_298
	s_branch .LBB160_299
	.section	.rodata,"a",@progbits
	.p2align	6, 0x0
	.amdhsa_kernel _ZN4vllm25paged_attention_v2_kernelI14__hip_bfloat16S1_Li192ELi16ELi128ELNS_18Fp8KVCacheDataTypeE0ELb1ELi512EEEvPfS3_PT_PKS4_PKT0_SA_ifPKiSC_iPKfiiiSE_SE_iiiii
		.amdhsa_group_segment_fixed_size 400
		.amdhsa_private_segment_fixed_size 0
		.amdhsa_kernarg_size 400
		.amdhsa_user_sgpr_count 6
		.amdhsa_user_sgpr_private_segment_buffer 1
		.amdhsa_user_sgpr_dispatch_ptr 0
		.amdhsa_user_sgpr_queue_ptr 0
		.amdhsa_user_sgpr_kernarg_segment_ptr 1
		.amdhsa_user_sgpr_dispatch_id 0
		.amdhsa_user_sgpr_flat_scratch_init 0
		.amdhsa_user_sgpr_kernarg_preload_length 0
		.amdhsa_user_sgpr_kernarg_preload_offset 0
		.amdhsa_user_sgpr_private_segment_size 0
		.amdhsa_uses_dynamic_stack 0
		.amdhsa_system_sgpr_private_segment_wavefront_offset 0
		.amdhsa_system_sgpr_workgroup_id_x 1
		.amdhsa_system_sgpr_workgroup_id_y 1
		.amdhsa_system_sgpr_workgroup_id_z 1
		.amdhsa_system_sgpr_workgroup_info 0
		.amdhsa_system_vgpr_workitem_id 0
		.amdhsa_next_free_vgpr 106
		.amdhsa_next_free_sgpr 53
		.amdhsa_accum_offset 108
		.amdhsa_reserve_vcc 1
		.amdhsa_reserve_flat_scratch 0
		.amdhsa_float_round_mode_32 0
		.amdhsa_float_round_mode_16_64 0
		.amdhsa_float_denorm_mode_32 3
		.amdhsa_float_denorm_mode_16_64 3
		.amdhsa_dx10_clamp 1
		.amdhsa_ieee_mode 1
		.amdhsa_fp16_overflow 0
		.amdhsa_tg_split 0
		.amdhsa_exception_fp_ieee_invalid_op 0
		.amdhsa_exception_fp_denorm_src 0
		.amdhsa_exception_fp_ieee_div_zero 0
		.amdhsa_exception_fp_ieee_overflow 0
		.amdhsa_exception_fp_ieee_underflow 0
		.amdhsa_exception_fp_ieee_inexact 0
		.amdhsa_exception_int_div_zero 0
	.end_amdhsa_kernel
	.section	.text._ZN4vllm25paged_attention_v2_kernelI14__hip_bfloat16S1_Li192ELi16ELi128ELNS_18Fp8KVCacheDataTypeE0ELb1ELi512EEEvPfS3_PT_PKS4_PKT0_SA_ifPKiSC_iPKfiiiSE_SE_iiiii,"axG",@progbits,_ZN4vllm25paged_attention_v2_kernelI14__hip_bfloat16S1_Li192ELi16ELi128ELNS_18Fp8KVCacheDataTypeE0ELb1ELi512EEEvPfS3_PT_PKS4_PKT0_SA_ifPKiSC_iPKfiiiSE_SE_iiiii,comdat
.Lfunc_end160:
	.size	_ZN4vllm25paged_attention_v2_kernelI14__hip_bfloat16S1_Li192ELi16ELi128ELNS_18Fp8KVCacheDataTypeE0ELb1ELi512EEEvPfS3_PT_PKS4_PKT0_SA_ifPKiSC_iPKfiiiSE_SE_iiiii, .Lfunc_end160-_ZN4vllm25paged_attention_v2_kernelI14__hip_bfloat16S1_Li192ELi16ELi128ELNS_18Fp8KVCacheDataTypeE0ELb1ELi512EEEvPfS3_PT_PKS4_PKT0_SA_ifPKiSC_iPKfiiiSE_SE_iiiii
                                        ; -- End function
	.section	.AMDGPU.csdata,"",@progbits
; Kernel info:
; codeLenInByte = 11892
; NumSgprs: 57
; NumVgprs: 106
; NumAgprs: 0
; TotalNumVgprs: 106
; ScratchSize: 0
; MemoryBound: 0
; FloatMode: 240
; IeeeMode: 1
; LDSByteSize: 400 bytes/workgroup (compile time only)
; SGPRBlocks: 7
; VGPRBlocks: 13
; NumSGPRsForWavesPerEU: 57
; NumVGPRsForWavesPerEU: 106
; AccumOffset: 108
; Occupancy: 4
; WaveLimiterHint : 1
; COMPUTE_PGM_RSRC2:SCRATCH_EN: 0
; COMPUTE_PGM_RSRC2:USER_SGPR: 6
; COMPUTE_PGM_RSRC2:TRAP_HANDLER: 0
; COMPUTE_PGM_RSRC2:TGID_X_EN: 1
; COMPUTE_PGM_RSRC2:TGID_Y_EN: 1
; COMPUTE_PGM_RSRC2:TGID_Z_EN: 1
; COMPUTE_PGM_RSRC2:TIDIG_COMP_CNT: 0
; COMPUTE_PGM_RSRC3_GFX90A:ACCUM_OFFSET: 26
; COMPUTE_PGM_RSRC3_GFX90A:TG_SPLIT: 0
	.section	.text._ZN4vllm25paged_attention_v2_kernelI14__hip_bfloat16S1_Li256ELi16ELi128ELNS_18Fp8KVCacheDataTypeE0ELb1ELi512EEEvPfS3_PT_PKS4_PKT0_SA_ifPKiSC_iPKfiiiSE_SE_iiiii,"axG",@progbits,_ZN4vllm25paged_attention_v2_kernelI14__hip_bfloat16S1_Li256ELi16ELi128ELNS_18Fp8KVCacheDataTypeE0ELb1ELi512EEEvPfS3_PT_PKS4_PKT0_SA_ifPKiSC_iPKfiiiSE_SE_iiiii,comdat
	.protected	_ZN4vllm25paged_attention_v2_kernelI14__hip_bfloat16S1_Li256ELi16ELi128ELNS_18Fp8KVCacheDataTypeE0ELb1ELi512EEEvPfS3_PT_PKS4_PKT0_SA_ifPKiSC_iPKfiiiSE_SE_iiiii ; -- Begin function _ZN4vllm25paged_attention_v2_kernelI14__hip_bfloat16S1_Li256ELi16ELi128ELNS_18Fp8KVCacheDataTypeE0ELb1ELi512EEEvPfS3_PT_PKS4_PKT0_SA_ifPKiSC_iPKfiiiSE_SE_iiiii
	.globl	_ZN4vllm25paged_attention_v2_kernelI14__hip_bfloat16S1_Li256ELi16ELi128ELNS_18Fp8KVCacheDataTypeE0ELb1ELi512EEEvPfS3_PT_PKS4_PKT0_SA_ifPKiSC_iPKfiiiSE_SE_iiiii
	.p2align	8
	.type	_ZN4vllm25paged_attention_v2_kernelI14__hip_bfloat16S1_Li256ELi16ELi128ELNS_18Fp8KVCacheDataTypeE0ELb1ELi512EEEvPfS3_PT_PKS4_PKT0_SA_ifPKiSC_iPKfiiiSE_SE_iiiii,@function
_ZN4vllm25paged_attention_v2_kernelI14__hip_bfloat16S1_Li256ELi16ELi128ELNS_18Fp8KVCacheDataTypeE0ELb1ELi512EEEvPfS3_PT_PKS4_PKT0_SA_ifPKiSC_iPKfiiiSE_SE_iiiii: ; @_ZN4vllm25paged_attention_v2_kernelI14__hip_bfloat16S1_Li256ELi16ELi128ELNS_18Fp8KVCacheDataTypeE0ELb1ELi512EEEvPfS3_PT_PKS4_PKT0_SA_ifPKiSC_iPKfiiiSE_SE_iiiii
; %bb.0:
	s_load_dwordx2 s[0:1], s[4:5], 0x40
	s_mov_b32 s24, s7
	s_ashr_i32 s25, s7, 31
	s_lshl_b64 s[2:3], s[24:25], 2
	s_waitcnt lgkmcnt(0)
	s_add_u32 s0, s0, s2
	s_addc_u32 s1, s1, s3
	s_load_dword s33, s[0:1], 0x0
	s_lshl_b32 s9, s8, 9
	s_waitcnt lgkmcnt(0)
	s_cmp_ge_i32 s9, s33
	s_cbranch_scc1 .LBB161_405
; %bb.1:
	s_load_dword s25, s[4:5], 0x90
	s_load_dwordx2 s[38:39], s[4:5], 0x30
	s_mov_b32 s49, 0
	s_waitcnt lgkmcnt(0)
	s_abs_i32 s2, s25
	s_abs_i32 s0, s38
	v_cvt_f32_u32_e32 v1, s0
	s_sub_i32 s3, 0, s0
	s_xor_b32 s1, s25, s38
	s_ashr_i32 s1, s1, 31
	v_rcp_iflag_f32_e32 v1, v1
	v_mul_f32_e32 v1, 0x4f7ffffe, v1
	v_cvt_u32_f32_e32 v1, v1
	v_readfirstlane_b32 s7, v1
	s_mul_i32 s3, s3, s7
	s_mul_hi_u32 s3, s7, s3
	s_add_i32 s7, s7, s3
	s_mul_hi_u32 s3, s2, s7
	s_mul_i32 s7, s3, s0
	s_sub_i32 s2, s2, s7
	s_add_i32 s10, s3, 1
	s_sub_i32 s7, s2, s0
	s_cmp_ge_u32 s2, s0
	s_cselect_b32 s3, s10, s3
	s_cselect_b32 s2, s7, s2
	s_add_i32 s7, s3, 1
	s_cmp_ge_u32 s2, s0
	s_cselect_b32 s0, s7, s3
	s_xor_b32 s0, s0, s1
	s_sub_i32 s11, s0, s1
	s_abs_i32 s2, s11
	v_cvt_f32_u32_e32 v1, s2
	s_load_dwordx2 s[0:1], s[4:5], 0x50
	s_sub_i32 s7, 0, s2
	s_abs_i32 s3, s6
	v_rcp_iflag_f32_e32 v1, v1
	v_mul_f32_e32 v1, 0x4f7ffffe, v1
	v_cvt_u32_f32_e32 v1, v1
	v_readfirstlane_b32 s10, v1
	s_mul_i32 s7, s7, s10
	s_mul_hi_u32 s7, s10, s7
	s_add_i32 s10, s10, s7
	s_waitcnt lgkmcnt(0)
	s_cmp_eq_u64 s[0:1], 0
	s_mul_hi_u32 s10, s3, s10
	s_cbranch_scc1 .LBB161_3
; %bb.2:
	s_ashr_i32 s7, s6, 31
	s_lshl_b64 s[12:13], s[6:7], 2
	s_add_u32 s0, s0, s12
	s_addc_u32 s1, s1, s13
	s_load_dword s49, s[0:1], 0x0
.LBB161_3:
	s_load_dwordx4 s[12:15], s[4:5], 0x58
	s_movk_i32 s0, 0x80
	s_ashr_i32 s7, s6, 31
	s_ashr_i32 s11, s11, 31
	v_and_b32_e32 v2, 3, v0
	s_lshl_b32 s26, s6, 8
	v_cmp_gt_u32_e32 vcc, s0, v0
	s_and_saveexec_b64 s[0:1], vcc
	s_cbranch_execz .LBB161_5
; %bb.4:
	s_load_dwordx2 s[16:17], s[4:5], 0x18
	s_waitcnt lgkmcnt(0)
	s_mul_i32 s18, s24, s12
	s_ashr_i32 s19, s18, 31
	s_lshl_b64 s[18:19], s[18:19], 1
	v_lshlrev_b32_e32 v1, 2, v0
	s_add_u32 s12, s16, s18
	s_addc_u32 s15, s17, s19
	s_ashr_i32 s27, s26, 31
	s_lshl_b64 s[16:17], s[26:27], 1
	s_add_u32 s16, s12, s16
	s_addc_u32 s17, s15, s17
	global_load_dword v1, v1, s[16:17]
	v_and_b32_e32 v3, 0x3fc, v0
	v_lshl_add_u32 v3, v2, 7, v3
	s_waitcnt vmcnt(0)
	ds_write_b32 v3, v1
.LBB161_5:
	s_or_b64 exec, exec, s[0:1]
	s_mul_i32 s1, s10, s2
	s_sub_i32 s1, s3, s1
	s_xor_b32 s0, s7, s11
	s_add_i32 s3, s10, 1
	s_sub_i32 s7, s1, s2
	s_load_dwordx4 s[16:19], s[4:5], 0x78
	s_cmp_ge_u32 s1, s2
	s_cselect_b32 s3, s3, s10
	s_load_dword s10, s[4:5], 0x88
	s_cselect_b32 s1, s7, s1
	s_add_i32 s7, s3, 1
	s_cmp_ge_u32 s1, s2
	s_cselect_b32 s1, s7, s3
	s_waitcnt lgkmcnt(0)
	s_abs_i32 s27, s19
	v_cvt_f32_u32_e32 v1, s27
	s_xor_b32 s1, s1, s0
	s_sub_i32 s2, s1, s0
	s_sub_i32 s0, 0, s27
	v_rcp_iflag_f32_e32 v1, v1
	s_add_i32 s11, s33, -1
	s_abs_i32 s3, s11
	v_mul_f32_e32 v1, 0x4f7ffffe, v1
	v_cvt_u32_f32_e32 v1, v1
	s_barrier
	v_readfirstlane_b32 s46, v1
	s_mul_i32 s0, s0, s46
	s_mul_hi_u32 s0, s46, s0
	s_add_i32 s46, s46, s0
	s_cmp_lt_i32 s10, 0
	s_mul_hi_u32 s7, s3, s46
	s_cbranch_scc0 .LBB161_7
; %bb.6:
	s_mul_i32 s0, s16, s38
	s_add_i32 s0, s2, s0
	s_mul_i32 s0, s0, s10
	s_sub_i32 s47, 1, s0
	s_mov_b64 s[0:1], 0
	s_branch .LBB161_8
.LBB161_7:
	s_mov_b64 s[0:1], -1
                                        ; implicit-def: $sgpr47
.LBB161_8:
	s_load_dwordx2 s[30:31], s[4:5], 0x38
	s_ashr_i32 s11, s11, 31
	s_andn2_b64 vcc, exec, s[0:1]
	s_ashr_i32 s19, s19, 31
	s_cbranch_vccnz .LBB161_10
; %bb.9:
	s_mul_i32 s0, s25, s16
	s_add_i32 s0, s0, s6
	s_mul_i32 s0, s0, s10
	s_add_i32 s47, s0, 1
.LBB161_10:
	s_load_dword s0, s[4:5], 0x48
	s_load_dwordx2 s[36:37], s[4:5], 0x28
	s_load_dword s12, s[4:5], 0x98
	s_load_dwordx4 s[20:23], s[4:5], 0x0
	s_load_dwordx2 s[28:29], s[4:5], 0x10
	s_mul_i32 s1, s7, s27
	s_waitcnt lgkmcnt(0)
	s_mul_i32 s34, s24, s0
	s_sub_i32 s1, s3, s1
	s_ashr_i32 s35, s34, 31
	s_xor_b32 s0, s11, s19
	s_add_i32 s3, s7, 1
	s_sub_i32 s10, s1, s27
	s_cmp_ge_u32 s1, s27
	s_cselect_b32 s3, s3, s7
	s_cselect_b32 s1, s10, s1
	s_add_i32 s7, s3, 1
	s_cmp_ge_u32 s1, s27
	s_cselect_b32 s1, s7, s3
	s_xor_b32 s1, s1, s0
	s_sub_i32 s48, s1, s0
	s_add_i32 s0, s33, 15
	s_ashr_i32 s1, s0, 31
	s_lshr_b32 s1, s1, 28
	s_add_i32 s0, s0, s1
	s_lshl_b32 s38, s8, 5
	s_ashr_i32 s7, s0, 4
	s_add_i32 s0, s38, 32
	v_lshrrev_b32_e32 v28, 6, v0
	s_min_i32 s16, s0, s7
	v_or_b32_e32 v10, s38, v28
	v_cmp_gt_i32_e64 s[0:1], s16, v10
	v_mov_b32_e32 v22, 0xff7fffff
	s_mul_i32 s14, s2, s14
	v_ashrrev_i32_e32 v11, 31, v10
	v_lshl_add_u32 v1, v28, 4, s9
	v_mbcnt_lo_u32_b32 v16, -1, 0
	s_and_saveexec_b64 s[40:41], s[0:1]
	s_cbranch_execz .LBB161_20
; %bb.11:
	s_load_dwordx2 s[2:3], s[4:5], 0x20
	s_ashr_i32 s15, s14, 31
	s_sub_i32 s50, s48, s17
	s_lshl_b64 s[4:5], s[14:15], 1
	v_bfe_u32 v17, v0, 2, 4
	s_waitcnt lgkmcnt(0)
	s_add_u32 s2, s2, s4
	s_addc_u32 s3, s3, s5
	s_abs_i32 s15, s18
	v_cvt_f32_u32_e32 v5, s15
	v_lshlrev_b32_e32 v3, 4, v17
	v_mov_b32_e32 v4, s3
	v_add_co_u32_e64 v3, s[2:3], s2, v3
	v_rcp_iflag_f32_e32 v5, v5
	v_lshlrev_b32_e32 v6, 2, v0
	v_addc_co_u32_e64 v4, s[2:3], 0, v4, s[2:3]
	v_and_b32_e32 v6, 12, v6
	v_add_co_u32_e64 v18, s[2:3], v3, v6
	v_mul_f32_e32 v3, 0x4f7ffffe, v5
	v_cvt_u32_f32_e32 v3, v3
	s_sub_i32 s4, 0, s15
	v_cmp_eq_u32_e32 vcc, 0, v2
	v_lshlrev_b32_e32 v20, 7, v2
	v_mul_lo_u32 v2, s4, v3
	s_lshl_b64 s[4:5], s[34:35], 2
	v_mul_hi_u32 v2, v3, v2
	s_add_u32 s4, s30, s4
	v_add_u32_e32 v21, v3, v2
	v_lshlrev_b64 v[2:3], 2, v[10:11]
	s_addc_u32 s5, s31, s5
	v_addc_co_u32_e64 v19, s[2:3], 0, v4, s[2:3]
	v_mov_b32_e32 v4, s5
	v_add_co_u32_e64 v12, s[4:5], s4, v2
	v_lshlrev_b32_e32 v2, 2, v17
	v_lshl_or_b32 v2, v28, 6, v2
	v_add_u32_e32 v24, 0x210, v2
	v_subrev_u32_e32 v2, s33, v17
	v_mbcnt_hi_u32_b32 v27, -1, v16
	v_add_u32_e32 v25, 1, v2
	v_and_b32_e32 v2, 64, v27
	s_mov_b32 s51, s13
	v_cmp_neq_f32_e64 s[2:3], s49, 0
	v_addc_co_u32_e64 v13, s[4:5], v4, v3, s[4:5]
	v_lshl_add_u32 v23, v28, 4, s9
	s_mov_b64 s[42:43], 0
	v_mov_b32_e32 v26, 0xff7fffff
	s_movk_i32 s52, 0x1000
	v_add_u32_e32 v29, 64, v2
	v_xor_b32_e32 v30, 2, v27
	v_xor_b32_e32 v31, 1, v27
	v_mov_b32_e32 v22, 0xff7fffff
	v_mov_b32_e32 v32, v10
	s_branch .LBB161_14
.LBB161_12:                             ;   in Loop: Header=BB161_14 Depth=1
	s_or_b64 exec, exec, s[44:45]
.LBB161_13:                             ;   in Loop: Header=BB161_14 Depth=1
	s_or_b64 exec, exec, s[10:11]
	v_add_co_u32_e64 v12, s[4:5], 8, v12
	v_add_u32_e32 v32, 2, v32
	v_addc_co_u32_e64 v13, s[4:5], 0, v13, s[4:5]
	v_cmp_le_i32_e64 s[4:5], s16, v32
	v_add_u32_e32 v23, 32, v23
	s_or_b64 s[42:43], s[4:5], s[42:43]
	v_add_u32_e32 v24, 0x80, v24
	s_andn2_b64 exec, exec, s[42:43]
	s_cbranch_execz .LBB161_19
.LBB161_14:                             ; =>This Inner Loop Header: Depth=1
	s_waitcnt lgkmcnt(0)
	v_sub_u32_e32 v3, 0, v23
	v_max_i32_e32 v3, v23, v3
	v_mul_hi_u32 v4, v3, s46
	v_mul_lo_u32 v5, v4, s27
	v_sub_u32_e32 v3, v3, v5
	v_add_u32_e32 v5, 1, v4
	v_cmp_le_u32_e64 s[4:5], s27, v3
	v_cndmask_b32_e64 v4, v4, v5, s[4:5]
	v_subrev_u32_e32 v5, s27, v3
	v_cndmask_b32_e64 v3, v3, v5, s[4:5]
	v_ashrrev_i32_e32 v2, 31, v23
	v_add_u32_e32 v5, 1, v4
	v_cmp_le_u32_e64 s[4:5], s27, v3
	v_xor_b32_e32 v2, s19, v2
	v_cndmask_b32_e64 v3, v4, v5, s[4:5]
	v_xor_b32_e32 v3, v3, v2
	v_sub_u32_e32 v2, v3, v2
	v_add_u32_e32 v3, s47, v2
	v_sub_u32_e32 v5, 0, v3
	v_ashrrev_i32_e32 v4, 31, v3
	v_max_i32_e32 v3, v3, v5
	v_mul_hi_u32 v5, v3, v21
	v_mul_lo_u32 v5, v5, s15
	v_sub_u32_e32 v3, v3, v5
	v_subrev_u32_e32 v5, s15, v3
	v_cmp_le_u32_e64 s[4:5], s15, v3
	v_cndmask_b32_e64 v3, v3, v5, s[4:5]
	v_subrev_u32_e32 v5, s15, v3
	v_cmp_le_u32_e64 s[4:5], s15, v3
	v_cndmask_b32_e64 v3, v3, v5, s[4:5]
	v_xor_b32_e32 v3, v3, v4
	v_sub_u32_e32 v3, v3, v4
	v_cmp_ne_u32_e64 s[4:5], 0, v3
	v_cmp_ge_i32_e64 s[10:11], s50, v2
	s_and_b64 s[4:5], s[4:5], s[10:11]
	s_and_b64 s[44:45], vcc, s[4:5]
	s_and_saveexec_b64 s[10:11], s[44:45]
	s_cbranch_execz .LBB161_16
; %bb.15:                               ;   in Loop: Header=BB161_14 Depth=1
	ds_write_b32 v24, v26
.LBB161_16:                             ;   in Loop: Header=BB161_14 Depth=1
	s_or_b64 exec, exec, s[10:11]
	s_xor_b64 s[4:5], s[4:5], -1
	s_and_saveexec_b64 s[10:11], s[4:5]
	s_cbranch_execz .LBB161_13
; %bb.17:                               ;   in Loop: Header=BB161_14 Depth=1
	ds_read_b128 v[6:9], v20
	ds_read_b128 v[42:45], v20 offset:16
	ds_read_b128 v[46:49], v20 offset:32
	;; [unrolled: 1-line block ×3, first 2 shown]
	global_load_dword v14, v[12:13], off
	ds_read_b128 v[64:67], v20 offset:64
	ds_read_b128 v[68:71], v20 offset:80
	s_waitcnt lgkmcnt(5)
	v_lshlrev_b32_e32 v53, 16, v6
	s_waitcnt lgkmcnt(2)
	v_lshlrev_b32_e32 v2, 16, v56
	v_and_b32_e32 v72, 0xffff0000, v6
	v_and_b32_e32 v6, 0xffff0000, v56
	v_lshlrev_b32_e32 v3, 16, v57
	v_and_b32_e32 v62, 0xffff0000, v57
	v_lshlrev_b32_e32 v52, 16, v7
	v_lshlrev_b32_e32 v55, 16, v8
	;; [unrolled: 1-line block ×8, first 2 shown]
	s_waitcnt lgkmcnt(1)
	v_lshlrev_b32_e32 v40, 16, v64
	v_lshlrev_b32_e32 v37, 16, v67
	s_waitcnt lgkmcnt(0)
	v_lshlrev_b32_e32 v35, 16, v69
	v_and_b32_e32 v77, 0xffff0000, v7
	v_and_b32_e32 v78, 0xffff0000, v8
	;; [unrolled: 1-line block ×11, first 2 shown]
	v_lshlrev_b32_e32 v76, 16, v47
	v_lshlrev_b32_e32 v39, 16, v65
	v_and_b32_e32 v84, 0xffff0000, v47
	v_and_b32_e32 v47, 0xffff0000, v65
	v_lshlrev_b32_e32 v61, 16, v42
	v_lshlrev_b32_e32 v75, 16, v46
	;; [unrolled: 1-line block ×4, first 2 shown]
	v_and_b32_e32 v79, 0xffff0000, v42
	v_and_b32_e32 v83, 0xffff0000, v46
	;; [unrolled: 1-line block ×4, first 2 shown]
	v_lshlrev_b32_e32 v60, 16, v9
	v_and_b32_e32 v9, 0xffff0000, v9
	v_lshlrev_b32_e32 v73, 16, v44
	v_lshlrev_b32_e32 v36, 16, v68
	v_and_b32_e32 v81, 0xffff0000, v44
	v_and_b32_e32 v44, 0xffff0000, v68
	v_lshlrev_b32_e32 v33, 16, v71
	v_and_b32_e32 v41, 0xffff0000, v71
	s_waitcnt vmcnt(0)
	v_mad_i64_i32 v[14:15], s[4:5], v14, s51, 0
	v_lshlrev_b64 v[14:15], 1, v[14:15]
	v_add_co_u32_e64 v56, s[4:5], v18, v14
	v_addc_co_u32_e64 v57, s[4:5], v19, v15, s[4:5]
	global_load_dword v14, v[56:57], off offset:256
	global_load_dword v15, v[56:57], off offset:512
	;; [unrolled: 1-line block ×8, first 2 shown]
	s_waitcnt vmcnt(7)
	v_lshlrev_b32_e32 v65, 16, v14
	v_mul_f32_e32 v52, v52, v65
	global_load_dword v65, v[56:57], off
	v_and_b32_e32 v14, 0xffff0000, v14
	s_waitcnt vmcnt(0)
	v_lshlrev_b32_e32 v66, 16, v65
	v_fmac_f32_e32 v52, v53, v66
	v_mul_f32_e32 v53, v77, v14
	v_and_b32_e32 v14, 0xffff0000, v65
	v_fmac_f32_e32 v53, v72, v14
	v_lshlrev_b32_e32 v14, 16, v15
	v_fmac_f32_e32 v52, v55, v14
	v_and_b32_e32 v14, 0xffff0000, v15
	v_fmac_f32_e32 v53, v78, v14
	v_lshlrev_b32_e32 v14, 16, v58
	v_fmac_f32_e32 v52, v60, v14
	global_load_dword v55, v[56:57], off offset:2048
	v_and_b32_e32 v14, 0xffff0000, v58
	v_fmac_f32_e32 v53, v9, v14
	global_load_dword v9, v[56:57], off offset:2304
	global_load_dword v77, v[56:57], off offset:2816
	;; [unrolled: 1-line block ×5, first 2 shown]
	v_lshlrev_b32_e32 v14, 16, v59
	v_fmac_f32_e32 v52, v61, v14
	v_and_b32_e32 v14, 0xffff0000, v59
	v_fmac_f32_e32 v53, v79, v14
	v_lshlrev_b32_e32 v14, 16, v64
	v_fmac_f32_e32 v52, v63, v14
	v_and_b32_e32 v14, 0xffff0000, v64
	v_fmac_f32_e32 v53, v80, v14
	v_add_co_u32_e64 v14, s[4:5], s52, v56
	v_addc_co_u32_e64 v15, s[4:5], 0, v57, s[4:5]
	global_load_dword v68, v[56:57], off offset:3840
	v_lshlrev_b32_e32 v56, 16, v67
	global_load_dword v66, v[14:15], off
	v_fmac_f32_e32 v52, v73, v56
	v_and_b32_e32 v56, 0xffff0000, v67
	global_load_dword v67, v[14:15], off offset:256
	global_load_dword v63, v[14:15], off offset:512
	;; [unrolled: 1-line block ×5, first 2 shown]
	v_fmac_f32_e32 v53, v81, v56
	v_lshlrev_b32_e32 v56, 16, v69
	v_fmac_f32_e32 v52, v74, v56
	v_and_b32_e32 v56, 0xffff0000, v69
	global_load_dword v59, v[14:15], off offset:1536
	global_load_dword v58, v[14:15], off offset:1792
	v_fmac_f32_e32 v53, v82, v56
	global_load_dword v57, v[14:15], off offset:2048
	v_and_b32_e32 v69, 0xffff0000, v70
	v_cmp_lt_i32_e64 s[4:5], v30, v29
	v_cndmask_b32_e64 v73, v27, v30, s[4:5]
	v_lshlrev_b32_e32 v73, 2, v73
	v_cmp_lt_i32_e64 s[4:5], v31, v29
	s_waitcnt vmcnt(15)
	v_lshlrev_b32_e32 v56, 16, v55
	v_and_b32_e32 v55, 0xffff0000, v55
	v_fmac_f32_e32 v52, v75, v56
	v_fmac_f32_e32 v53, v83, v55
	s_waitcnt vmcnt(14)
	v_lshlrev_b32_e32 v55, 16, v9
	v_and_b32_e32 v9, 0xffff0000, v9
	v_fmac_f32_e32 v52, v76, v55
	global_load_dword v56, v[14:15], off offset:2304
	global_load_dword v55, v[14:15], off offset:2560
	v_fmac_f32_e32 v53, v84, v9
	v_lshlrev_b32_e32 v9, 16, v70
	v_fmac_f32_e32 v52, v5, v9
	v_fmac_f32_e32 v53, v8, v69
	s_waitcnt vmcnt(15)
	v_lshlrev_b32_e32 v5, 16, v77
	v_and_b32_e32 v8, 0xffff0000, v77
	v_fmac_f32_e32 v52, v4, v5
	s_waitcnt vmcnt(14)
	v_lshlrev_b32_e32 v4, 16, v78
	v_and_b32_e32 v5, 0xffff0000, v78
	v_fmac_f32_e32 v53, v7, v8
	global_load_dword v71, v[14:15], off offset:2816
	global_load_dword v70, v[14:15], off offset:3072
	;; [unrolled: 1-line block ×3, first 2 shown]
	s_waitcnt vmcnt(16)
	v_lshlrev_b32_e32 v9, 16, v72
	v_fmac_f32_e32 v52, v2, v4
	v_fmac_f32_e32 v53, v6, v5
	v_and_b32_e32 v72, 0xffff0000, v72
	v_fmac_f32_e32 v52, v3, v9
	ds_read_b128 v[2:5], v20 offset:96
	ds_read_b128 v[6:9], v20 offset:112
	v_fmac_f32_e32 v53, v62, v72
	global_load_dword v62, v[14:15], off offset:3584
	s_waitcnt vmcnt(16)
	v_lshlrev_b32_e32 v72, 16, v65
	global_load_dword v14, v[14:15], off offset:3840
	v_and_b32_e32 v15, 0xffff0000, v65
	v_fmac_f32_e32 v52, v54, v72
	s_waitcnt vmcnt(16)
	v_lshlrev_b32_e32 v65, 16, v68
	v_and_b32_e32 v68, 0xffff0000, v68
	v_fmac_f32_e32 v53, v51, v15
	s_waitcnt vmcnt(15)
	v_lshlrev_b32_e32 v15, 16, v66
	v_and_b32_e32 v51, 0xffff0000, v66
	v_fmac_f32_e32 v52, v50, v65
	v_fmac_f32_e32 v53, v49, v68
	s_waitcnt vmcnt(14)
	v_lshlrev_b32_e32 v66, 16, v67
	v_and_b32_e32 v67, 0xffff0000, v67
	v_fmac_f32_e32 v52, v40, v15
	;; [unrolled: 5-line block ×4, first 2 shown]
	v_fmac_f32_e32 v53, v46, v63
	v_fmac_f32_e32 v52, v37, v65
	;; [unrolled: 1-line block ×3, first 2 shown]
	s_waitcnt vmcnt(11)
	v_lshlrev_b32_e32 v15, 16, v61
	v_and_b32_e32 v37, 0xffff0000, v61
	v_fmac_f32_e32 v52, v36, v15
	v_fmac_f32_e32 v53, v44, v37
	s_waitcnt vmcnt(10)
	v_lshlrev_b32_e32 v15, 16, v60
	v_and_b32_e32 v36, 0xffff0000, v60
	v_fmac_f32_e32 v52, v35, v15
	v_fmac_f32_e32 v53, v43, v36
	;; [unrolled: 5-line block ×3, first 2 shown]
	s_waitcnt vmcnt(8)
	v_lshlrev_b32_e32 v15, 16, v58
	v_and_b32_e32 v34, 0xffff0000, v58
	s_waitcnt lgkmcnt(1)
	v_lshlrev_b32_e32 v54, 16, v2
	v_and_b32_e32 v2, 0xffff0000, v2
	v_fmac_f32_e32 v52, v33, v15
	v_fmac_f32_e32 v53, v41, v34
	s_waitcnt vmcnt(7)
	v_lshlrev_b32_e32 v15, 16, v57
	v_and_b32_e32 v33, 0xffff0000, v57
	v_fmac_f32_e32 v52, v54, v15
	v_fmac_f32_e32 v53, v2, v33
	v_lshlrev_b32_e32 v2, 16, v3
	v_and_b32_e32 v3, 0xffff0000, v3
	s_waitcnt vmcnt(6)
	v_lshlrev_b32_e32 v15, 16, v56
	v_and_b32_e32 v33, 0xffff0000, v56
	v_fmac_f32_e32 v52, v15, v2
	v_fmac_f32_e32 v53, v33, v3
	v_lshlrev_b32_e32 v2, 16, v4
	v_and_b32_e32 v3, 0xffff0000, v4
	s_waitcnt vmcnt(5)
	v_lshlrev_b32_e32 v4, 16, v55
	v_and_b32_e32 v15, 0xffff0000, v55
	v_fmac_f32_e32 v52, v4, v2
	v_fmac_f32_e32 v53, v15, v3
	v_lshlrev_b32_e32 v2, 16, v5
	v_and_b32_e32 v3, 0xffff0000, v5
	s_waitcnt vmcnt(4)
	v_lshlrev_b32_e32 v4, 16, v71
	v_and_b32_e32 v5, 0xffff0000, v71
	v_fmac_f32_e32 v52, v4, v2
	v_fmac_f32_e32 v53, v5, v3
	s_waitcnt lgkmcnt(0)
	v_lshlrev_b32_e32 v2, 16, v6
	v_and_b32_e32 v3, 0xffff0000, v6
	s_waitcnt vmcnt(3)
	v_lshlrev_b32_e32 v4, 16, v70
	v_and_b32_e32 v5, 0xffff0000, v70
	v_fmac_f32_e32 v52, v4, v2
	v_fmac_f32_e32 v53, v5, v3
	v_lshlrev_b32_e32 v2, 16, v7
	v_and_b32_e32 v3, 0xffff0000, v7
	s_waitcnt vmcnt(2)
	v_lshlrev_b32_e32 v4, 16, v69
	v_and_b32_e32 v5, 0xffff0000, v69
	v_fmac_f32_e32 v52, v4, v2
	v_fmac_f32_e32 v53, v5, v3
	;; [unrolled: 7-line block ×4, first 2 shown]
	v_add_f32_e32 v2, v52, v53
	ds_bpermute_b32 v3, v73, v2
	v_cndmask_b32_e64 v4, v27, v31, s[4:5]
	v_lshlrev_b32_e32 v4, 2, v4
	s_waitcnt lgkmcnt(0)
	v_add_f32_e32 v2, v2, v3
	ds_bpermute_b32 v3, v4, v2
	s_and_saveexec_b64 s[44:45], vcc
	s_cbranch_execz .LBB161_12
; %bb.18:                               ;   in Loop: Header=BB161_14 Depth=1
	v_add_u32_e32 v4, v25, v23
	v_cvt_f32_i32_e32 v4, v4
	s_waitcnt lgkmcnt(0)
	v_add_f32_e32 v2, v2, v3
	v_add_u32_e32 v5, v17, v23
	v_cmp_gt_i32_e64 s[4:5], s33, v5
	v_mul_f32_e32 v3, s49, v4
	v_cndmask_b32_e64 v3, 0, v3, s[2:3]
	v_fmac_f32_e32 v3, s39, v2
	v_cndmask_b32_e64 v2, 0, v3, s[4:5]
	ds_write_b32 v24, v2
	v_max_f32_e32 v2, v22, v22
	v_max_f32_e32 v2, v2, v3
	v_cndmask_b32_e64 v22, v22, v2, s[4:5]
	s_branch .LBB161_12
.LBB161_19:
	s_or_b64 exec, exec, s[42:43]
.LBB161_20:
	s_or_b64 exec, exec, s[40:41]
	v_mbcnt_hi_u32_b32 v2, -1, v16
	s_waitcnt lgkmcnt(0)
	v_and_b32_e32 v3, 64, v2
	v_add_u32_e32 v3, 64, v3
	v_xor_b32_e32 v4, 32, v2
	v_cmp_lt_i32_e32 vcc, v4, v3
	v_cndmask_b32_e32 v4, v2, v4, vcc
	v_lshlrev_b32_e32 v5, 2, v4
	ds_bpermute_b32 v4, v5, v22
	v_xor_b32_e32 v7, 16, v2
	v_max_f32_e32 v6, v22, v22
	v_cmp_lt_i32_e32 vcc, v7, v3
	v_xor_b32_e32 v8, 8, v2
	s_waitcnt lgkmcnt(0)
	v_max_f32_e32 v4, v4, v4
	v_max_f32_e32 v4, v6, v4
	v_cndmask_b32_e32 v6, v2, v7, vcc
	v_lshlrev_b32_e32 v6, 2, v6
	ds_bpermute_b32 v7, v6, v4
	v_cmp_lt_i32_e32 vcc, v8, v3
	v_and_b32_e32 v22, 63, v0
	s_waitcnt lgkmcnt(0)
	v_max_f32_e32 v7, v7, v7
	v_max_f32_e32 v4, v4, v7
	v_cndmask_b32_e32 v7, v2, v8, vcc
	v_lshlrev_b32_e32 v9, 2, v7
	ds_bpermute_b32 v7, v9, v4
	v_xor_b32_e32 v8, 4, v2
	v_cmp_lt_i32_e32 vcc, v8, v3
	s_waitcnt lgkmcnt(0)
	v_max_f32_e32 v7, v7, v7
	v_max_f32_e32 v4, v4, v7
	v_cndmask_b32_e32 v7, v2, v8, vcc
	v_lshlrev_b32_e32 v12, 2, v7
	ds_bpermute_b32 v8, v12, v4
	v_cmp_eq_u32_e32 vcc, 0, v22
	v_lshlrev_b32_e32 v7, 2, v28
	s_and_saveexec_b64 s[2:3], vcc
	s_cbranch_execz .LBB161_22
; %bb.21:
	s_waitcnt lgkmcnt(0)
	v_max_f32_e32 v8, v8, v8
	v_max_f32_e32 v4, v4, v4
	;; [unrolled: 1-line block ×3, first 2 shown]
	ds_write_b32 v7, v4 offset:512
.LBB161_22:
	s_or_b64 exec, exec, s[2:3]
	v_cmp_gt_u32_e64 s[2:3], 2, v22
	v_mov_b32_e32 v4, 0xff7fffff
	s_waitcnt lgkmcnt(0)
	v_lshlrev_b32_e32 v8, 2, v22
	s_barrier
	s_and_saveexec_b64 s[4:5], s[2:3]
	s_cbranch_execz .LBB161_24
; %bb.23:
	ds_read_b32 v4, v8 offset:512
.LBB161_24:
	s_or_b64 exec, exec, s[4:5]
	v_xor_b32_e32 v13, 1, v2
	v_cmp_lt_i32_e64 s[4:5], v13, v3
	v_cndmask_b32_e64 v13, v2, v13, s[4:5]
	v_lshlrev_b32_e32 v23, 2, v13
	s_waitcnt lgkmcnt(0)
	ds_bpermute_b32 v13, v23, v4
	v_max_f32_e32 v4, v4, v4
	s_sub_i32 s4, s16, s38
	s_lshl_b32 s4, s4, 4
	s_add_i32 s4, s4, s9
	s_waitcnt lgkmcnt(0)
	v_max_f32_e32 v13, v13, v13
	v_max_f32_e32 v4, v4, v13
	v_lshlrev_b32_e32 v13, 2, v2
	v_and_b32_e32 v13, 0x100, v13
	ds_bpermute_b32 v4, v13, v4
	s_min_i32 s42, s4, s33
	s_sub_i32 s15, s42, s9
	v_cmp_gt_i32_e64 s[4:5], s15, v0
	v_mov_b32_e32 v14, 0
	s_and_saveexec_b64 s[38:39], s[4:5]
	s_cbranch_execz .LBB161_28
; %bb.25:
	v_mov_b32_e32 v14, 0x210
	v_lshl_add_u32 v15, v0, 2, v14
	s_mov_b64 s[40:41], 0
	v_mov_b32_e32 v14, 0
	v_mov_b32_e32 v16, v0
.LBB161_26:                             ; =>This Inner Loop Header: Depth=1
	ds_read_b32 v17, v15
	v_add_u32_e32 v16, 0x80, v16
	v_cmp_le_i32_e64 s[10:11], s15, v16
	s_or_b64 s[40:41], s[10:11], s[40:41]
	s_waitcnt lgkmcnt(0)
	v_sub_f32_e32 v17, v17, v4
	v_mul_f32_e32 v17, 0x3fb8aa3b, v17
	v_exp_f32_e32 v17, v17
	ds_write_b32 v15, v17
	v_add_f32_e32 v14, v14, v17
	v_add_u32_e32 v15, 0x200, v15
	s_andn2_b64 exec, exec, s[40:41]
	s_cbranch_execnz .LBB161_26
; %bb.27:
	s_or_b64 exec, exec, s[40:41]
.LBB161_28:
	s_or_b64 exec, exec, s[38:39]
	ds_bpermute_b32 v5, v5, v14
	s_waitcnt lgkmcnt(0)
	v_add_f32_e32 v5, v14, v5
	ds_bpermute_b32 v6, v6, v5
	s_waitcnt lgkmcnt(0)
	v_add_f32_e32 v5, v5, v6
	ds_bpermute_b32 v6, v9, v5
	v_xor_b32_e32 v9, 2, v2
	v_cmp_lt_i32_e64 s[10:11], v9, v3
	v_cndmask_b32_e64 v2, v2, v9, s[10:11]
	v_lshlrev_b32_e32 v2, 2, v2
	s_waitcnt lgkmcnt(0)
	v_add_f32_e32 v5, v5, v6
	ds_bpermute_b32 v6, v12, v5
	s_waitcnt lgkmcnt(0)
	v_add_f32_e32 v3, v5, v6
	ds_bpermute_b32 v2, v2, v3
	;; [unrolled: 3-line block ×3, first 2 shown]
	s_waitcnt lgkmcnt(0)
	v_add_f32_e32 v2, v2, v3
	s_and_saveexec_b64 s[10:11], vcc
	s_cbranch_execz .LBB161_30
; %bb.29:
	ds_write_b32 v7, v2 offset:520
.LBB161_30:
	s_or_b64 exec, exec, s[10:11]
	s_waitcnt lgkmcnt(0)
	s_barrier
	s_and_saveexec_b64 s[10:11], s[2:3]
	s_cbranch_execz .LBB161_32
; %bb.31:
	ds_read_b32 v2, v8 offset:520
.LBB161_32:
	s_or_b64 exec, exec, s[10:11]
	s_waitcnt lgkmcnt(0)
	ds_bpermute_b32 v3, v23, v2
	s_waitcnt lgkmcnt(0)
	v_add_f32_e32 v2, v2, v3
	ds_bpermute_b32 v5, v13, v2
	s_and_saveexec_b64 s[2:3], s[4:5]
	s_cbranch_execz .LBB161_45
; %bb.33:
	s_waitcnt lgkmcnt(0)
	v_add_f32_e32 v2, 0x358637bd, v5
	v_div_scale_f32 v3, s[4:5], v2, v2, 1.0
	v_rcp_f32_e32 v6, v3
	v_div_scale_f32 v7, vcc, 1.0, v2, 1.0
	s_movk_i32 s4, 0x7f
	v_fma_f32 v8, -v3, v6, 1.0
	v_fmac_f32_e32 v6, v8, v6
	v_mul_f32_e32 v8, v7, v6
	v_fma_f32 v9, -v3, v8, v7
	v_fmac_f32_e32 v8, v9, v6
	v_fma_f32 v3, -v3, v8, v7
	v_div_fmas_f32 v3, v3, v6, v8
	v_div_fixup_f32 v2, v3, v2, 1.0
	v_xad_u32 v3, v0, -1, s42
	v_subrev_u32_e32 v6, s9, v3
	v_cmp_lt_u32_e32 vcc, s4, v6
	s_mov_b64 s[10:11], -1
	v_mov_b32_e32 v3, v0
	s_and_saveexec_b64 s[4:5], vcc
	s_cbranch_execz .LBB161_42
; %bb.34:
	v_lshrrev_b32_e32 v6, 7, v6
	v_add_u32_e32 v8, -1, v6
	v_lshrrev_b32_e32 v7, 1, v8
	v_mov_b32_e32 v3, v2
	v_add_u32_e32 v7, 1, v7
	v_cmp_lt_u32_e32 vcc, 13, v8
	v_mov_b32_e32 v12, 0
	s_and_saveexec_b64 s[10:11], vcc
	s_cbranch_execz .LBB161_38
; %bb.35:
	v_mov_b32_e32 v9, 0x210
	v_and_b32_e32 v8, -8, v7
	v_lshl_add_u32 v9, v0, 2, v9
	s_mov_b32 s9, 0
	s_mov_b64 s[38:39], 0
.LBB161_36:                             ; =>This Inner Loop Header: Depth=1
	ds_read2st64_b32 v[12:13], v9 offset1:2
	ds_read2st64_b32 v[14:15], v9 offset0:4 offset1:6
	ds_read2st64_b32 v[16:17], v9 offset0:8 offset1:10
	;; [unrolled: 1-line block ×3, first 2 shown]
	v_add_u32_e32 v8, -8, v8
	s_waitcnt lgkmcnt(3)
	v_pk_mul_f32 v[12:13], v[2:3], v[12:13]
	s_waitcnt lgkmcnt(2)
	v_pk_mul_f32 v[14:15], v[2:3], v[14:15]
	ds_write2st64_b32 v9, v12, v13 offset1:2
	ds_write2st64_b32 v9, v14, v15 offset0:4 offset1:6
	ds_read2st64_b32 v[14:15], v9 offset0:16 offset1:18
	s_waitcnt lgkmcnt(4)
	v_pk_mul_f32 v[12:13], v[2:3], v[16:17]
	ds_write2st64_b32 v9, v12, v13 offset0:8 offset1:10
	s_waitcnt lgkmcnt(4)
	v_pk_mul_f32 v[12:13], v[2:3], v[18:19]
	ds_write2st64_b32 v9, v12, v13 offset0:12 offset1:14
	ds_read2st64_b32 v[12:13], v9 offset0:20 offset1:22
	s_waitcnt lgkmcnt(3)
	v_pk_mul_f32 v[14:15], v[2:3], v[14:15]
	ds_read2st64_b32 v[16:17], v9 offset0:24 offset1:26
	ds_write2st64_b32 v9, v14, v15 offset0:16 offset1:18
	ds_read2st64_b32 v[14:15], v9 offset0:28 offset1:30
	s_waitcnt lgkmcnt(3)
	v_pk_mul_f32 v[12:13], v[2:3], v[12:13]
	ds_write2st64_b32 v9, v12, v13 offset0:20 offset1:22
	s_waitcnt lgkmcnt(3)
	v_pk_mul_f32 v[12:13], v[2:3], v[16:17]
	ds_write2st64_b32 v9, v12, v13 offset0:24 offset1:26
	s_waitcnt lgkmcnt(2)
	v_pk_mul_f32 v[12:13], v[2:3], v[14:15]
	s_add_i32 s9, s9, 16
	v_cmp_eq_u32_e32 vcc, 0, v8
	ds_write2st64_b32 v9, v12, v13 offset0:28 offset1:30
	v_add_u32_e32 v9, 0x2000, v9
	s_or_b64 s[38:39], vcc, s[38:39]
	v_mov_b32_e32 v12, s9
	s_andn2_b64 exec, exec, s[38:39]
	s_cbranch_execnz .LBB161_36
; %bb.37:
	s_or_b64 exec, exec, s[38:39]
.LBB161_38:
	s_or_b64 exec, exec, s[10:11]
	v_and_b32_e32 v7, 7, v7
	v_cmp_ne_u32_e32 vcc, 0, v7
	s_and_saveexec_b64 s[10:11], vcc
	s_cbranch_execz .LBB161_41
; %bb.39:
	v_lshlrev_b32_e32 v8, 9, v12
	v_lshlrev_b32_e32 v9, 2, v0
	s_movk_i32 s9, 0x210
	v_add3_u32 v8, v8, v9, s9
	s_mov_b64 s[38:39], 0
.LBB161_40:                             ; =>This Inner Loop Header: Depth=1
	ds_read2st64_b32 v[12:13], v8 offset1:2
	v_add_u32_e32 v7, -1, v7
	v_cmp_eq_u32_e32 vcc, 0, v7
	s_or_b64 s[38:39], vcc, s[38:39]
	s_waitcnt lgkmcnt(0)
	v_pk_mul_f32 v[12:13], v[2:3], v[12:13]
	ds_write2st64_b32 v8, v12, v13 offset1:2
	v_add_u32_e32 v8, 0x400, v8
	s_andn2_b64 exec, exec, s[38:39]
	s_cbranch_execnz .LBB161_40
.LBB161_41:
	s_or_b64 exec, exec, s[10:11]
	v_add_u32_e32 v6, 1, v6
	v_and_b32_e32 v7, 0x3fffffe, v6
	v_cmp_ne_u32_e32 vcc, v6, v7
	v_lshl_add_u32 v3, v7, 7, v0
	s_orn2_b64 s[10:11], vcc, exec
.LBB161_42:
	s_or_b64 exec, exec, s[4:5]
	s_and_b64 exec, exec, s[10:11]
	s_cbranch_execz .LBB161_45
; %bb.43:
	v_mov_b32_e32 v6, 0x210
	v_lshl_add_u32 v6, v3, 2, v6
	s_mov_b64 s[4:5], 0
.LBB161_44:                             ; =>This Inner Loop Header: Depth=1
	ds_read_b32 v7, v6
	v_add_u32_e32 v3, 0x80, v3
	v_cmp_le_i32_e32 vcc, s15, v3
	s_or_b64 s[4:5], vcc, s[4:5]
	s_waitcnt lgkmcnt(0)
	v_mul_f32_e32 v7, v2, v7
	ds_write_b32 v6, v7
	v_add_u32_e32 v6, 0x200, v6
	s_andn2_b64 exec, exec, s[4:5]
	s_cbranch_execnz .LBB161_44
.LBB161_45:
	s_or_b64 exec, exec, s[2:3]
	v_cmp_eq_u32_e32 vcc, 0, v0
	s_waitcnt lgkmcnt(0)
	s_barrier
	s_and_saveexec_b64 s[2:3], vcc
	s_cbranch_execz .LBB161_47
; %bb.46:
	s_mul_i32 s4, s12, s24
	s_mul_i32 s4, s4, s25
	s_ashr_i32 s5, s4, 31
	s_lshl_b64 s[4:5], s[4:5], 2
	s_add_u32 s9, s22, s4
	s_mul_i32 s10, s12, s6
	s_addc_u32 s15, s23, s5
	s_ashr_i32 s11, s10, 31
	s_lshl_b64 s[10:11], s[10:11], 2
	s_add_u32 s6, s9, s10
	s_addc_u32 s15, s15, s11
	s_ashr_i32 s9, s8, 31
	s_lshl_b64 s[22:23], s[8:9], 2
	s_add_u32 s38, s6, s22
	s_addc_u32 s39, s15, s23
	s_add_u32 s4, s20, s4
	s_addc_u32 s5, s21, s5
	;; [unrolled: 2-line block ×3, first 2 shown]
	s_add_u32 s4, s4, s22
	v_mov_b32_e32 v2, 0
	s_addc_u32 s5, s5, s23
	global_store_dword v2, v4, s[38:39]
	global_store_dword v2, v5, s[4:5]
.LBB161_47:
	s_or_b64 exec, exec, s[2:3]
	v_mov_b32_e32 v13, 0
	v_and_b32_e32 v24, 1, v0
	v_mov_b32_e32 v12, 0
	v_mov_b32_e32 v15, 0
	;; [unrolled: 1-line block ×7, first 2 shown]
	s_and_saveexec_b64 s[2:3], s[0:1]
	s_cbranch_execz .LBB161_357
; %bb.48:
	s_ashr_i32 s15, s14, 31
	s_sub_i32 s9, s48, s17
	s_lshl_b64 s[0:1], s[14:15], 1
	s_add_u32 s14, s36, s0
	s_addc_u32 s15, s37, s1
	s_abs_i32 s17, s18
	v_cvt_f32_u32_e32 v3, s17
	s_sub_i32 s0, 0, s17
	s_add_i32 s18, s7, -1
	v_lshlrev_b64 v[14:15], 2, v[10:11]
	v_rcp_iflag_f32_e32 v3, v3
	v_lshlrev_b32_e32 v2, 3, v0
	v_and_b32_e32 v25, 8, v2
	v_and_b32_e32 v2, 0x1f8, v2
	v_mul_f32_e32 v3, 0x4f7ffffe, v3
	v_cvt_u32_f32_e32 v3, v3
	v_or_b32_e32 v4, 0x800, v2
	v_or_b32_e32 v6, 0xa00, v2
	;; [unrolled: 1-line block ×3, first 2 shown]
	v_mul_lo_u32 v5, s0, v3
	s_lshl_b64 s[0:1], s[34:35], 2
	s_add_u32 s0, s30, s0
	v_mul_hi_u32 v5, v3, v5
	s_addc_u32 s1, s31, s1
	v_add_u32_e32 v27, v3, v5
	v_mov_b32_e32 v3, s1
	v_add_co_u32_e32 v20, vcc, s0, v14
	v_addc_co_u32_e32 v21, vcc, v3, v15, vcc
	v_lshlrev_b32_e32 v3, 5, v24
	v_or_b32_e32 v12, 0xe00, v2
	v_lshl_or_b32 v3, v28, 6, v3
	v_mov_b32_e32 v26, 0
	v_add_u32_e32 v11, 0x210, v3
	s_mov_b64 s[4:5], 0
	s_mov_b32 s20, 0x7f800000
	s_movk_i32 s21, 0x7fff
	v_lshlrev_b32_e32 v28, 1, v2
	v_lshlrev_b32_e32 v29, 1, v4
	v_lshlrev_b32_e32 v30, 1, v6
	v_lshlrev_b32_e32 v31, 1, v8
	v_lshlrev_b32_e32 v32, 1, v12
	v_mov_b32_e32 v18, 0
	v_mov_b32_e32 v19, 0
	;; [unrolled: 1-line block ×8, first 2 shown]
	s_branch .LBB161_51
.LBB161_49:                             ;   in Loop: Header=BB161_51 Depth=1
	s_or_b64 exec, exec, s[0:1]
	v_and_b32_e32 v49, 0xffff0000, v98
	v_and_b32_e32 v48, 0xffff0000, v96
	v_and_b32_e32 v53, 0xffff0000, v97
	v_and_b32_e32 v52, 0xffff0000, v95
	v_and_b32_e32 v45, 0xffff0000, v102
	v_and_b32_e32 v44, 0xffff0000, v100
	v_and_b32_e32 v47, 0xffff0000, v101
	v_and_b32_e32 v46, 0xffff0000, v99
	v_pk_add_f32 v[48:49], v[52:53], v[48:49]
	v_pk_add_f32 v[44:45], v[46:47], v[44:45]
	v_add_f32_e32 v46, v48, v49
	v_add_f32_e32 v44, v46, v44
	v_add_f32_e32 v44, v44, v45
	v_and_b32_e32 v49, 0xffff0000, v90
	v_and_b32_e32 v48, 0xffff0000, v88
	v_and_b32_e32 v53, 0xffff0000, v89
	v_and_b32_e32 v52, 0xffff0000, v87
	v_add_f32_e32 v12, v12, v44
	v_and_b32_e32 v45, 0xffff0000, v94
	v_and_b32_e32 v44, 0xffff0000, v92
	v_and_b32_e32 v47, 0xffff0000, v93
	v_and_b32_e32 v46, 0xffff0000, v91
	v_pk_add_f32 v[48:49], v[52:53], v[48:49]
	v_pk_add_f32 v[44:45], v[46:47], v[44:45]
	v_add_f32_e32 v46, v48, v49
	v_add_f32_e32 v44, v46, v44
	v_add_f32_e32 v44, v44, v45
	v_and_b32_e32 v49, 0xffff0000, v82
	v_and_b32_e32 v48, 0xffff0000, v80
	v_and_b32_e32 v53, 0xffff0000, v81
	v_and_b32_e32 v52, 0xffff0000, v79
	v_add_f32_e32 v15, v15, v44
	v_and_b32_e32 v45, 0xffff0000, v86
	v_and_b32_e32 v44, 0xffff0000, v84
	v_and_b32_e32 v47, 0xffff0000, v85
	v_and_b32_e32 v46, 0xffff0000, v83
	;; [unrolled: 14-line block ×5, first 2 shown]
	v_pk_add_f32 v[46:47], v[48:49], v[46:47]
	v_pk_add_f32 v[6:7], v[44:45], v[6:7]
	v_add_f32_e32 v40, v46, v47
	v_add_f32_e32 v6, v40, v6
	;; [unrolled: 1-line block ×4, first 2 shown]
	v_and_b32_e32 v6, 0xffff0000, v36
	v_and_b32_e32 v36, 0xffff0000, v35
	;; [unrolled: 1-line block ×8, first 2 shown]
	v_pk_add_f32 v[8:9], v[8:9], v[34:35]
	v_pk_add_f32 v[6:7], v[36:37], v[6:7]
	v_add_f32_e32 v8, v8, v9
	v_add_f32_e32 v6, v8, v6
	;; [unrolled: 1-line block ×3, first 2 shown]
	v_and_b32_e32 v9, 0xffff0000, v41
	v_and_b32_e32 v8, 0xffff0000, v39
	;; [unrolled: 1-line block ×4, first 2 shown]
	v_add_f32_e32 v18, v18, v6
	v_and_b32_e32 v7, 0xffff0000, v43
	v_and_b32_e32 v6, 0xffff0000, v42
	;; [unrolled: 1-line block ×4, first 2 shown]
	v_pk_add_f32 v[2:3], v[2:3], v[8:9]
	v_pk_add_f32 v[4:5], v[4:5], v[6:7]
	v_add_f32_e32 v2, v2, v3
	v_add_f32_e32 v2, v2, v4
	;; [unrolled: 1-line block ×4, first 2 shown]
.LBB161_50:                             ;   in Loop: Header=BB161_51 Depth=1
	s_or_b64 exec, exec, s[6:7]
	v_add_co_u32_e32 v20, vcc, 8, v20
	v_add_u32_e32 v10, 2, v10
	v_addc_co_u32_e32 v21, vcc, 0, v21, vcc
	v_cmp_le_i32_e32 vcc, s16, v10
	v_add_u32_e32 v1, 32, v1
	s_or_b64 s[4:5], vcc, s[4:5]
	v_add_u32_e32 v11, 0x80, v11
	s_andn2_b64 exec, exec, s[4:5]
	s_cbranch_execz .LBB161_356
.LBB161_51:                             ; =>This Inner Loop Header: Depth=1
	v_sub_u32_e32 v3, 0, v1
	v_max_i32_e32 v3, v1, v3
	v_mul_hi_u32 v4, v3, s46
	v_mul_lo_u32 v5, v4, s27
	v_sub_u32_e32 v3, v3, v5
	v_add_u32_e32 v5, 1, v4
	v_cmp_le_u32_e32 vcc, s27, v3
	v_cndmask_b32_e32 v4, v4, v5, vcc
	v_subrev_u32_e32 v5, s27, v3
	v_cndmask_b32_e32 v3, v3, v5, vcc
	v_ashrrev_i32_e32 v2, 31, v1
	v_add_u32_e32 v5, 1, v4
	v_cmp_le_u32_e32 vcc, s27, v3
	v_xor_b32_e32 v2, s19, v2
	v_cndmask_b32_e32 v3, v4, v5, vcc
	v_xor_b32_e32 v3, v3, v2
	v_sub_u32_e32 v2, v3, v2
	v_add_u32_e32 v3, s47, v2
	v_sub_u32_e32 v5, 0, v3
	v_ashrrev_i32_e32 v4, 31, v3
	v_max_i32_e32 v3, v3, v5
	v_mul_hi_u32 v5, v3, v27
	v_mul_lo_u32 v5, v5, s17
	v_sub_u32_e32 v3, v3, v5
	v_subrev_u32_e32 v5, s17, v3
	v_cmp_le_u32_e32 vcc, s17, v3
	v_cndmask_b32_e32 v3, v3, v5, vcc
	v_subrev_u32_e32 v5, s17, v3
	v_cmp_le_u32_e32 vcc, s17, v3
	v_cndmask_b32_e32 v3, v3, v5, vcc
	v_xor_b32_e32 v3, v3, v4
	v_sub_u32_e32 v3, v3, v4
	v_cmp_eq_u32_e32 vcc, 0, v3
	v_cmp_lt_i32_e64 s[0:1], s9, v2
	s_or_b64 s[0:1], vcc, s[0:1]
	s_and_saveexec_b64 s[6:7], s[0:1]
	s_cbranch_execz .LBB161_50
; %bb.52:                               ;   in Loop: Header=BB161_51 Depth=1
	global_load_dword v39, v[20:21], off
	ds_read2_b64 v[6:9], v11 offset1:1
	ds_read2_b64 v[2:5], v11 offset0:2 offset1:3
                                        ; implicit-def: $vgpr50
	s_waitcnt lgkmcnt(1)
	v_and_b32_e32 v33, 0x7f800000, v6
	v_cmp_ne_u32_e32 vcc, s20, v33
	s_and_saveexec_b64 s[0:1], vcc
	s_xor_b64 s[0:1], exec, s[0:1]
; %bb.53:                               ;   in Loop: Header=BB161_51 Depth=1
	v_bfe_u32 v33, v6, 16, 1
	v_add3_u32 v50, v6, v33, s21
; %bb.54:                               ;   in Loop: Header=BB161_51 Depth=1
	s_andn2_saveexec_b64 s[0:1], s[0:1]
; %bb.55:                               ;   in Loop: Header=BB161_51 Depth=1
	v_or_b32_e32 v33, 0x10000, v6
	v_cmp_eq_u32_sdwa vcc, v6, v26 src0_sel:WORD_0 src1_sel:DWORD
	v_cndmask_b32_e32 v50, v33, v6, vcc
; %bb.56:                               ;   in Loop: Header=BB161_51 Depth=1
	s_or_b64 exec, exec, s[0:1]
	v_and_b32_e32 v6, 0x7f800000, v7
	v_cmp_ne_u32_e32 vcc, s20, v6
                                        ; implicit-def: $vgpr40
	s_and_saveexec_b64 s[0:1], vcc
	s_xor_b64 s[0:1], exec, s[0:1]
; %bb.57:                               ;   in Loop: Header=BB161_51 Depth=1
	v_bfe_u32 v6, v7, 16, 1
	v_add3_u32 v40, v7, v6, s21
; %bb.58:                               ;   in Loop: Header=BB161_51 Depth=1
	s_andn2_saveexec_b64 s[0:1], s[0:1]
; %bb.59:                               ;   in Loop: Header=BB161_51 Depth=1
	v_or_b32_e32 v6, 0x10000, v7
	v_cmp_eq_u32_sdwa vcc, v7, v26 src0_sel:WORD_0 src1_sel:DWORD
	v_cndmask_b32_e32 v40, v6, v7, vcc
; %bb.60:                               ;   in Loop: Header=BB161_51 Depth=1
	s_or_b64 exec, exec, s[0:1]
	v_and_b32_e32 v6, 0x7f800000, v8
	v_cmp_ne_u32_e32 vcc, s20, v6
                                        ; implicit-def: $vgpr33
	s_and_saveexec_b64 s[0:1], vcc
	s_xor_b64 s[0:1], exec, s[0:1]
; %bb.61:                               ;   in Loop: Header=BB161_51 Depth=1
	v_bfe_u32 v6, v8, 16, 1
	v_add3_u32 v33, v8, v6, s21
; %bb.62:                               ;   in Loop: Header=BB161_51 Depth=1
	s_andn2_saveexec_b64 s[0:1], s[0:1]
; %bb.63:                               ;   in Loop: Header=BB161_51 Depth=1
	v_or_b32_e32 v6, 0x10000, v8
	v_cmp_eq_u32_sdwa vcc, v8, v26 src0_sel:WORD_0 src1_sel:DWORD
	v_cndmask_b32_e32 v33, v6, v8, vcc
; %bb.64:                               ;   in Loop: Header=BB161_51 Depth=1
	s_or_b64 exec, exec, s[0:1]
	v_and_b32_e32 v6, 0x7f800000, v9
	v_cmp_ne_u32_e32 vcc, s20, v6
                                        ; implicit-def: $vgpr34
	s_and_saveexec_b64 s[0:1], vcc
	s_xor_b64 s[0:1], exec, s[0:1]
; %bb.65:                               ;   in Loop: Header=BB161_51 Depth=1
	v_bfe_u32 v6, v9, 16, 1
	v_add3_u32 v34, v9, v6, s21
                                        ; implicit-def: $vgpr6_vgpr7_vgpr8_vgpr9
; %bb.66:                               ;   in Loop: Header=BB161_51 Depth=1
	s_andn2_saveexec_b64 s[0:1], s[0:1]
; %bb.67:                               ;   in Loop: Header=BB161_51 Depth=1
	v_or_b32_e32 v6, 0x10000, v9
	v_cmp_eq_u32_sdwa vcc, v9, v26 src0_sel:WORD_0 src1_sel:DWORD
	v_cndmask_b32_e32 v34, v6, v9, vcc
; %bb.68:                               ;   in Loop: Header=BB161_51 Depth=1
	s_or_b64 exec, exec, s[0:1]
	s_waitcnt lgkmcnt(0)
	v_and_b32_e32 v6, 0x7f800000, v2
	v_cmp_ne_u32_e32 vcc, s20, v6
                                        ; implicit-def: $vgpr35
	s_and_saveexec_b64 s[0:1], vcc
	s_xor_b64 s[0:1], exec, s[0:1]
; %bb.69:                               ;   in Loop: Header=BB161_51 Depth=1
	v_bfe_u32 v6, v2, 16, 1
	v_add3_u32 v35, v2, v6, s21
; %bb.70:                               ;   in Loop: Header=BB161_51 Depth=1
	s_andn2_saveexec_b64 s[0:1], s[0:1]
; %bb.71:                               ;   in Loop: Header=BB161_51 Depth=1
	v_or_b32_e32 v6, 0x10000, v2
	v_cmp_eq_u32_sdwa vcc, v2, v26 src0_sel:WORD_0 src1_sel:DWORD
	v_cndmask_b32_e32 v35, v6, v2, vcc
; %bb.72:                               ;   in Loop: Header=BB161_51 Depth=1
	s_or_b64 exec, exec, s[0:1]
	v_and_b32_e32 v2, 0x7f800000, v3
	v_cmp_ne_u32_e32 vcc, s20, v2
                                        ; implicit-def: $vgpr36
	s_and_saveexec_b64 s[0:1], vcc
	s_xor_b64 s[0:1], exec, s[0:1]
; %bb.73:                               ;   in Loop: Header=BB161_51 Depth=1
	v_bfe_u32 v2, v3, 16, 1
	v_add3_u32 v36, v3, v2, s21
; %bb.74:                               ;   in Loop: Header=BB161_51 Depth=1
	s_andn2_saveexec_b64 s[0:1], s[0:1]
; %bb.75:                               ;   in Loop: Header=BB161_51 Depth=1
	v_or_b32_e32 v2, 0x10000, v3
	v_cmp_eq_u32_sdwa vcc, v3, v26 src0_sel:WORD_0 src1_sel:DWORD
	v_cndmask_b32_e32 v36, v2, v3, vcc
; %bb.76:                               ;   in Loop: Header=BB161_51 Depth=1
	s_or_b64 exec, exec, s[0:1]
	v_and_b32_e32 v2, 0x7f800000, v4
	v_cmp_ne_u32_e32 vcc, s20, v2
                                        ; implicit-def: $vgpr37
	s_and_saveexec_b64 s[0:1], vcc
	s_xor_b64 s[0:1], exec, s[0:1]
; %bb.77:                               ;   in Loop: Header=BB161_51 Depth=1
	v_bfe_u32 v2, v4, 16, 1
	v_add3_u32 v37, v4, v2, s21
; %bb.78:                               ;   in Loop: Header=BB161_51 Depth=1
	s_andn2_saveexec_b64 s[0:1], s[0:1]
; %bb.79:                               ;   in Loop: Header=BB161_51 Depth=1
	v_or_b32_e32 v2, 0x10000, v4
	v_cmp_eq_u32_sdwa vcc, v4, v26 src0_sel:WORD_0 src1_sel:DWORD
	v_cndmask_b32_e32 v37, v2, v4, vcc
; %bb.80:                               ;   in Loop: Header=BB161_51 Depth=1
	s_or_b64 exec, exec, s[0:1]
	v_and_b32_e32 v2, 0x7f800000, v5
	v_cmp_ne_u32_e32 vcc, s20, v2
                                        ; implicit-def: $vgpr38
	s_and_saveexec_b64 s[0:1], vcc
	s_xor_b64 s[0:1], exec, s[0:1]
; %bb.81:                               ;   in Loop: Header=BB161_51 Depth=1
	v_bfe_u32 v2, v5, 16, 1
	v_add3_u32 v38, v5, v2, s21
                                        ; implicit-def: $vgpr2_vgpr3_vgpr4_vgpr5
; %bb.82:                               ;   in Loop: Header=BB161_51 Depth=1
	s_andn2_saveexec_b64 s[0:1], s[0:1]
; %bb.83:                               ;   in Loop: Header=BB161_51 Depth=1
	v_or_b32_e32 v2, 0x10000, v5
	v_cmp_eq_u32_sdwa vcc, v5, v26 src0_sel:WORD_0 src1_sel:DWORD
	v_cndmask_b32_e32 v38, v2, v5, vcc
; %bb.84:                               ;   in Loop: Header=BB161_51 Depth=1
	s_or_b64 exec, exec, s[0:1]
	s_waitcnt vmcnt(0)
	v_mad_i64_i32 v[2:3], s[0:1], v39, s13, 0
	v_lshlrev_b64 v[2:3], 1, v[2:3]
	v_mov_b32_e32 v4, s15
	v_add_co_u32_e32 v48, vcc, s14, v2
	v_addc_co_u32_e32 v49, vcc, v4, v3, vcc
	v_add_co_u32_e32 v6, vcc, v48, v28
	v_addc_co_u32_e32 v7, vcc, 0, v49, vcc
	global_load_dwordx4 v[2:5], v[6:7], off
	v_add_u32_e32 v39, v25, v1
	v_cmp_eq_u32_e32 vcc, s18, v10
	v_add_u32_e32 v47, 1, v39
	v_add_u32_e32 v46, 2, v39
	;; [unrolled: 1-line block ×7, first 2 shown]
	s_waitcnt vmcnt(0)
	v_lshrrev_b32_e32 v9, 16, v2
	v_lshrrev_b32_e32 v55, 16, v3
	;; [unrolled: 1-line block ×4, first 2 shown]
	s_and_saveexec_b64 s[10:11], vcc
	s_cbranch_execz .LBB161_86
; %bb.85:                               ;   in Loop: Header=BB161_51 Depth=1
	v_cmp_gt_i32_e64 s[0:1], s33, v39
	v_cndmask_b32_e64 v2, 0, v2, s[0:1]
	v_cmp_gt_i32_e64 s[0:1], s33, v47
	v_cndmask_b32_e64 v9, 0, v9, s[0:1]
	v_cmp_gt_i32_e64 s[0:1], s33, v46
	v_cndmask_b32_e64 v3, 0, v3, s[0:1]
	v_cmp_gt_i32_e64 s[0:1], s33, v44
	v_cndmask_b32_e64 v55, 0, v55, s[0:1]
	v_cmp_gt_i32_e64 s[0:1], s33, v43
	v_cndmask_b32_e64 v4, 0, v4, s[0:1]
	v_cmp_gt_i32_e64 s[0:1], s33, v42
	v_cndmask_b32_e64 v57, 0, v57, s[0:1]
	v_cmp_gt_i32_e64 s[0:1], s33, v41
	v_cndmask_b32_e64 v5, 0, v5, s[0:1]
	v_cmp_gt_i32_e64 s[0:1], s33, v45
	v_cndmask_b32_e64 v51, 0, v51, s[0:1]
.LBB161_86:                             ;   in Loop: Header=BB161_51 Depth=1
	s_or_b64 exec, exec, s[10:11]
	v_and_b32_e32 v50, 0xffff0000, v50
	v_lshlrev_b32_e32 v2, 16, v2
	v_mul_f32_e32 v2, v50, v2
	v_and_b32_e32 v8, 0x7f800000, v2
	v_cmp_ne_u32_e64 s[0:1], s20, v8
                                        ; implicit-def: $vgpr8
	s_and_saveexec_b64 s[10:11], s[0:1]
	s_xor_b64 s[0:1], exec, s[10:11]
; %bb.87:                               ;   in Loop: Header=BB161_51 Depth=1
	v_bfe_u32 v8, v2, 16, 1
	v_add3_u32 v8, v2, v8, s21
                                        ; implicit-def: $vgpr2
; %bb.88:                               ;   in Loop: Header=BB161_51 Depth=1
	s_andn2_saveexec_b64 s[10:11], s[0:1]
; %bb.89:                               ;   in Loop: Header=BB161_51 Depth=1
	v_or_b32_e32 v8, 0x10000, v2
	v_cmp_eq_u32_sdwa s[0:1], v2, v26 src0_sel:WORD_0 src1_sel:DWORD
	v_cndmask_b32_e64 v8, v8, v2, s[0:1]
; %bb.90:                               ;   in Loop: Header=BB161_51 Depth=1
	s_or_b64 exec, exec, s[10:11]
	v_and_b32_e32 v52, 0xffff0000, v40
	v_lshlrev_b32_e32 v2, 16, v9
	v_mul_f32_e32 v2, v52, v2
	v_and_b32_e32 v9, 0x7f800000, v2
	v_cmp_ne_u32_e64 s[0:1], s20, v9
                                        ; implicit-def: $vgpr9
	s_and_saveexec_b64 s[10:11], s[0:1]
	s_xor_b64 s[0:1], exec, s[10:11]
; %bb.91:                               ;   in Loop: Header=BB161_51 Depth=1
	v_bfe_u32 v9, v2, 16, 1
	v_add3_u32 v9, v2, v9, s21
                                        ; implicit-def: $vgpr2
; %bb.92:                               ;   in Loop: Header=BB161_51 Depth=1
	s_andn2_saveexec_b64 s[10:11], s[0:1]
; %bb.93:                               ;   in Loop: Header=BB161_51 Depth=1
	v_or_b32_e32 v9, 0x10000, v2
	v_cmp_eq_u32_sdwa s[0:1], v2, v26 src0_sel:WORD_0 src1_sel:DWORD
	v_cndmask_b32_e64 v9, v9, v2, s[0:1]
; %bb.94:                               ;   in Loop: Header=BB161_51 Depth=1
	s_or_b64 exec, exec, s[10:11]
	v_and_b32_e32 v53, 0xffff0000, v33
	v_lshlrev_b32_e32 v2, 16, v3
	v_mul_f32_e32 v2, v53, v2
	v_and_b32_e32 v3, 0x7f800000, v2
	v_cmp_ne_u32_e64 s[0:1], s20, v3
                                        ; implicit-def: $vgpr33
	s_and_saveexec_b64 s[10:11], s[0:1]
	s_xor_b64 s[0:1], exec, s[10:11]
; %bb.95:                               ;   in Loop: Header=BB161_51 Depth=1
	v_bfe_u32 v3, v2, 16, 1
	v_add3_u32 v33, v2, v3, s21
                                        ; implicit-def: $vgpr2
; %bb.96:                               ;   in Loop: Header=BB161_51 Depth=1
	s_andn2_saveexec_b64 s[10:11], s[0:1]
; %bb.97:                               ;   in Loop: Header=BB161_51 Depth=1
	v_or_b32_e32 v3, 0x10000, v2
	v_cmp_eq_u32_sdwa s[0:1], v2, v26 src0_sel:WORD_0 src1_sel:DWORD
	v_cndmask_b32_e64 v33, v3, v2, s[0:1]
; %bb.98:                               ;   in Loop: Header=BB161_51 Depth=1
	s_or_b64 exec, exec, s[10:11]
	v_and_b32_e32 v54, 0xffff0000, v34
	v_lshlrev_b32_e32 v2, 16, v55
	v_mul_f32_e32 v2, v54, v2
	v_and_b32_e32 v3, 0x7f800000, v2
	v_cmp_ne_u32_e64 s[0:1], s20, v3
                                        ; implicit-def: $vgpr34
	s_and_saveexec_b64 s[10:11], s[0:1]
	s_xor_b64 s[0:1], exec, s[10:11]
; %bb.99:                               ;   in Loop: Header=BB161_51 Depth=1
	v_bfe_u32 v3, v2, 16, 1
	v_add3_u32 v34, v2, v3, s21
                                        ; implicit-def: $vgpr2
; %bb.100:                              ;   in Loop: Header=BB161_51 Depth=1
	s_andn2_saveexec_b64 s[10:11], s[0:1]
; %bb.101:                              ;   in Loop: Header=BB161_51 Depth=1
	v_or_b32_e32 v3, 0x10000, v2
	v_cmp_eq_u32_sdwa s[0:1], v2, v26 src0_sel:WORD_0 src1_sel:DWORD
	v_cndmask_b32_e64 v34, v3, v2, s[0:1]
; %bb.102:                              ;   in Loop: Header=BB161_51 Depth=1
	s_or_b64 exec, exec, s[10:11]
	v_and_b32_e32 v55, 0xffff0000, v35
	v_lshlrev_b32_e32 v2, 16, v4
	v_mul_f32_e32 v2, v55, v2
	v_and_b32_e32 v3, 0x7f800000, v2
	v_cmp_ne_u32_e64 s[0:1], s20, v3
                                        ; implicit-def: $vgpr35
	s_and_saveexec_b64 s[10:11], s[0:1]
	s_xor_b64 s[0:1], exec, s[10:11]
; %bb.103:                              ;   in Loop: Header=BB161_51 Depth=1
	v_bfe_u32 v3, v2, 16, 1
	v_add3_u32 v35, v2, v3, s21
                                        ; implicit-def: $vgpr2
; %bb.104:                              ;   in Loop: Header=BB161_51 Depth=1
	s_andn2_saveexec_b64 s[10:11], s[0:1]
; %bb.105:                              ;   in Loop: Header=BB161_51 Depth=1
	v_or_b32_e32 v3, 0x10000, v2
	v_cmp_eq_u32_sdwa s[0:1], v2, v26 src0_sel:WORD_0 src1_sel:DWORD
	v_cndmask_b32_e64 v35, v3, v2, s[0:1]
; %bb.106:                              ;   in Loop: Header=BB161_51 Depth=1
	s_or_b64 exec, exec, s[10:11]
	v_and_b32_e32 v56, 0xffff0000, v36
	v_lshlrev_b32_e32 v2, 16, v57
	v_mul_f32_e32 v2, v56, v2
	v_and_b32_e32 v3, 0x7f800000, v2
	v_cmp_ne_u32_e64 s[0:1], s20, v3
                                        ; implicit-def: $vgpr36
	s_and_saveexec_b64 s[10:11], s[0:1]
	s_xor_b64 s[0:1], exec, s[10:11]
; %bb.107:                              ;   in Loop: Header=BB161_51 Depth=1
	v_bfe_u32 v3, v2, 16, 1
	v_add3_u32 v36, v2, v3, s21
                                        ; implicit-def: $vgpr2
; %bb.108:                              ;   in Loop: Header=BB161_51 Depth=1
	s_andn2_saveexec_b64 s[10:11], s[0:1]
; %bb.109:                              ;   in Loop: Header=BB161_51 Depth=1
	v_or_b32_e32 v3, 0x10000, v2
	v_cmp_eq_u32_sdwa s[0:1], v2, v26 src0_sel:WORD_0 src1_sel:DWORD
	v_cndmask_b32_e64 v36, v3, v2, s[0:1]
; %bb.110:                              ;   in Loop: Header=BB161_51 Depth=1
	s_or_b64 exec, exec, s[10:11]
	v_and_b32_e32 v57, 0xffff0000, v37
	v_lshlrev_b32_e32 v2, 16, v5
	v_mul_f32_e32 v2, v57, v2
	v_and_b32_e32 v3, 0x7f800000, v2
	v_cmp_ne_u32_e64 s[0:1], s20, v3
                                        ; implicit-def: $vgpr37
	s_and_saveexec_b64 s[10:11], s[0:1]
	s_xor_b64 s[0:1], exec, s[10:11]
; %bb.111:                              ;   in Loop: Header=BB161_51 Depth=1
	v_bfe_u32 v3, v2, 16, 1
	v_add3_u32 v37, v2, v3, s21
                                        ; implicit-def: $vgpr2
; %bb.112:                              ;   in Loop: Header=BB161_51 Depth=1
	s_andn2_saveexec_b64 s[10:11], s[0:1]
; %bb.113:                              ;   in Loop: Header=BB161_51 Depth=1
	v_or_b32_e32 v3, 0x10000, v2
	v_cmp_eq_u32_sdwa s[0:1], v2, v26 src0_sel:WORD_0 src1_sel:DWORD
	v_cndmask_b32_e64 v37, v3, v2, s[0:1]
; %bb.114:                              ;   in Loop: Header=BB161_51 Depth=1
	s_or_b64 exec, exec, s[10:11]
	v_and_b32_e32 v58, 0xffff0000, v38
	v_lshlrev_b32_e32 v2, 16, v51
	v_mul_f32_e32 v2, v58, v2
	v_and_b32_e32 v3, 0x7f800000, v2
	v_cmp_ne_u32_e64 s[0:1], s20, v3
                                        ; implicit-def: $vgpr38
	s_and_saveexec_b64 s[10:11], s[0:1]
	s_xor_b64 s[0:1], exec, s[10:11]
; %bb.115:                              ;   in Loop: Header=BB161_51 Depth=1
	v_bfe_u32 v3, v2, 16, 1
	v_add3_u32 v38, v2, v3, s21
                                        ; implicit-def: $vgpr2
; %bb.116:                              ;   in Loop: Header=BB161_51 Depth=1
	s_andn2_saveexec_b64 s[10:11], s[0:1]
; %bb.117:                              ;   in Loop: Header=BB161_51 Depth=1
	v_or_b32_e32 v3, 0x10000, v2
	v_cmp_eq_u32_sdwa s[0:1], v2, v26 src0_sel:WORD_0 src1_sel:DWORD
	v_cndmask_b32_e64 v38, v3, v2, s[0:1]
; %bb.118:                              ;   in Loop: Header=BB161_51 Depth=1
	s_or_b64 exec, exec, s[10:11]
	global_load_dwordx4 v[2:5], v[6:7], off offset:1024
	s_waitcnt vmcnt(0)
	v_lshrrev_b32_e32 v51, 16, v2
	v_lshrrev_b32_e32 v60, 16, v3
	;; [unrolled: 1-line block ×4, first 2 shown]
	s_and_saveexec_b64 s[10:11], vcc
	s_cbranch_execz .LBB161_120
; %bb.119:                              ;   in Loop: Header=BB161_51 Depth=1
	v_cmp_gt_i32_e64 s[0:1], s33, v39
	v_cndmask_b32_e64 v2, 0, v2, s[0:1]
	v_cmp_gt_i32_e64 s[0:1], s33, v47
	v_cndmask_b32_e64 v51, 0, v51, s[0:1]
	;; [unrolled: 2-line block ×8, first 2 shown]
.LBB161_120:                            ;   in Loop: Header=BB161_51 Depth=1
	s_or_b64 exec, exec, s[10:11]
	v_lshlrev_b32_e32 v2, 16, v2
	v_mul_f32_e32 v2, v50, v2
	v_and_b32_e32 v40, 0x7f800000, v2
	v_cmp_ne_u32_e64 s[0:1], s20, v40
                                        ; implicit-def: $vgpr40
	s_and_saveexec_b64 s[10:11], s[0:1]
	s_xor_b64 s[0:1], exec, s[10:11]
; %bb.121:                              ;   in Loop: Header=BB161_51 Depth=1
	v_bfe_u32 v40, v2, 16, 1
	v_add3_u32 v40, v2, v40, s21
                                        ; implicit-def: $vgpr2
; %bb.122:                              ;   in Loop: Header=BB161_51 Depth=1
	s_andn2_saveexec_b64 s[10:11], s[0:1]
; %bb.123:                              ;   in Loop: Header=BB161_51 Depth=1
	v_or_b32_e32 v40, 0x10000, v2
	v_cmp_eq_u32_sdwa s[0:1], v2, v26 src0_sel:WORD_0 src1_sel:DWORD
	v_cndmask_b32_e64 v40, v40, v2, s[0:1]
; %bb.124:                              ;   in Loop: Header=BB161_51 Depth=1
	s_or_b64 exec, exec, s[10:11]
	v_lshlrev_b32_e32 v2, 16, v51
	v_mul_f32_e32 v2, v52, v2
	v_and_b32_e32 v51, 0x7f800000, v2
	v_cmp_ne_u32_e64 s[0:1], s20, v51
                                        ; implicit-def: $vgpr51
	s_and_saveexec_b64 s[10:11], s[0:1]
	s_xor_b64 s[0:1], exec, s[10:11]
; %bb.125:                              ;   in Loop: Header=BB161_51 Depth=1
	v_bfe_u32 v51, v2, 16, 1
	v_add3_u32 v51, v2, v51, s21
                                        ; implicit-def: $vgpr2
; %bb.126:                              ;   in Loop: Header=BB161_51 Depth=1
	s_andn2_saveexec_b64 s[10:11], s[0:1]
; %bb.127:                              ;   in Loop: Header=BB161_51 Depth=1
	v_or_b32_e32 v51, 0x10000, v2
	v_cmp_eq_u32_sdwa s[0:1], v2, v26 src0_sel:WORD_0 src1_sel:DWORD
	v_cndmask_b32_e64 v51, v51, v2, s[0:1]
; %bb.128:                              ;   in Loop: Header=BB161_51 Depth=1
	s_or_b64 exec, exec, s[10:11]
	v_lshlrev_b32_e32 v2, 16, v3
	v_mul_f32_e32 v2, v53, v2
	v_and_b32_e32 v3, 0x7f800000, v2
	v_cmp_ne_u32_e64 s[0:1], s20, v3
                                        ; implicit-def: $vgpr59
	s_and_saveexec_b64 s[10:11], s[0:1]
	s_xor_b64 s[0:1], exec, s[10:11]
; %bb.129:                              ;   in Loop: Header=BB161_51 Depth=1
	v_bfe_u32 v3, v2, 16, 1
	v_add3_u32 v59, v2, v3, s21
                                        ; implicit-def: $vgpr2
; %bb.130:                              ;   in Loop: Header=BB161_51 Depth=1
	s_andn2_saveexec_b64 s[10:11], s[0:1]
; %bb.131:                              ;   in Loop: Header=BB161_51 Depth=1
	v_or_b32_e32 v3, 0x10000, v2
	v_cmp_eq_u32_sdwa s[0:1], v2, v26 src0_sel:WORD_0 src1_sel:DWORD
	v_cndmask_b32_e64 v59, v3, v2, s[0:1]
; %bb.132:                              ;   in Loop: Header=BB161_51 Depth=1
	s_or_b64 exec, exec, s[10:11]
	v_lshlrev_b32_e32 v2, 16, v60
	v_mul_f32_e32 v2, v54, v2
	v_and_b32_e32 v3, 0x7f800000, v2
	v_cmp_ne_u32_e64 s[0:1], s20, v3
                                        ; implicit-def: $vgpr60
	s_and_saveexec_b64 s[10:11], s[0:1]
	s_xor_b64 s[0:1], exec, s[10:11]
; %bb.133:                              ;   in Loop: Header=BB161_51 Depth=1
	v_bfe_u32 v3, v2, 16, 1
	v_add3_u32 v60, v2, v3, s21
                                        ; implicit-def: $vgpr2
; %bb.134:                              ;   in Loop: Header=BB161_51 Depth=1
	s_andn2_saveexec_b64 s[10:11], s[0:1]
; %bb.135:                              ;   in Loop: Header=BB161_51 Depth=1
	v_or_b32_e32 v3, 0x10000, v2
	v_cmp_eq_u32_sdwa s[0:1], v2, v26 src0_sel:WORD_0 src1_sel:DWORD
	v_cndmask_b32_e64 v60, v3, v2, s[0:1]
; %bb.136:                              ;   in Loop: Header=BB161_51 Depth=1
	s_or_b64 exec, exec, s[10:11]
	v_lshlrev_b32_e32 v2, 16, v4
	v_mul_f32_e32 v2, v55, v2
	v_and_b32_e32 v3, 0x7f800000, v2
	v_cmp_ne_u32_e64 s[0:1], s20, v3
                                        ; implicit-def: $vgpr61
	s_and_saveexec_b64 s[10:11], s[0:1]
	s_xor_b64 s[0:1], exec, s[10:11]
; %bb.137:                              ;   in Loop: Header=BB161_51 Depth=1
	v_bfe_u32 v3, v2, 16, 1
	v_add3_u32 v61, v2, v3, s21
                                        ; implicit-def: $vgpr2
; %bb.138:                              ;   in Loop: Header=BB161_51 Depth=1
	s_andn2_saveexec_b64 s[10:11], s[0:1]
; %bb.139:                              ;   in Loop: Header=BB161_51 Depth=1
	v_or_b32_e32 v3, 0x10000, v2
	v_cmp_eq_u32_sdwa s[0:1], v2, v26 src0_sel:WORD_0 src1_sel:DWORD
	v_cndmask_b32_e64 v61, v3, v2, s[0:1]
; %bb.140:                              ;   in Loop: Header=BB161_51 Depth=1
	s_or_b64 exec, exec, s[10:11]
	v_lshlrev_b32_e32 v2, 16, v62
	v_mul_f32_e32 v2, v56, v2
	v_and_b32_e32 v3, 0x7f800000, v2
	v_cmp_ne_u32_e64 s[0:1], s20, v3
                                        ; implicit-def: $vgpr62
	s_and_saveexec_b64 s[10:11], s[0:1]
	s_xor_b64 s[0:1], exec, s[10:11]
; %bb.141:                              ;   in Loop: Header=BB161_51 Depth=1
	v_bfe_u32 v3, v2, 16, 1
	v_add3_u32 v62, v2, v3, s21
                                        ; implicit-def: $vgpr2
; %bb.142:                              ;   in Loop: Header=BB161_51 Depth=1
	s_andn2_saveexec_b64 s[10:11], s[0:1]
; %bb.143:                              ;   in Loop: Header=BB161_51 Depth=1
	v_or_b32_e32 v3, 0x10000, v2
	v_cmp_eq_u32_sdwa s[0:1], v2, v26 src0_sel:WORD_0 src1_sel:DWORD
	v_cndmask_b32_e64 v62, v3, v2, s[0:1]
; %bb.144:                              ;   in Loop: Header=BB161_51 Depth=1
	s_or_b64 exec, exec, s[10:11]
	v_lshlrev_b32_e32 v2, 16, v5
	v_mul_f32_e32 v2, v57, v2
	v_and_b32_e32 v3, 0x7f800000, v2
	v_cmp_ne_u32_e64 s[0:1], s20, v3
                                        ; implicit-def: $vgpr63
	s_and_saveexec_b64 s[10:11], s[0:1]
	s_xor_b64 s[0:1], exec, s[10:11]
; %bb.145:                              ;   in Loop: Header=BB161_51 Depth=1
	v_bfe_u32 v3, v2, 16, 1
	v_add3_u32 v63, v2, v3, s21
                                        ; implicit-def: $vgpr2
; %bb.146:                              ;   in Loop: Header=BB161_51 Depth=1
	s_andn2_saveexec_b64 s[10:11], s[0:1]
; %bb.147:                              ;   in Loop: Header=BB161_51 Depth=1
	v_or_b32_e32 v3, 0x10000, v2
	v_cmp_eq_u32_sdwa s[0:1], v2, v26 src0_sel:WORD_0 src1_sel:DWORD
	v_cndmask_b32_e64 v63, v3, v2, s[0:1]
; %bb.148:                              ;   in Loop: Header=BB161_51 Depth=1
	s_or_b64 exec, exec, s[10:11]
	v_lshlrev_b32_e32 v2, 16, v64
	v_mul_f32_e32 v2, v58, v2
	v_and_b32_e32 v3, 0x7f800000, v2
	v_cmp_ne_u32_e64 s[0:1], s20, v3
                                        ; implicit-def: $vgpr64
	s_and_saveexec_b64 s[10:11], s[0:1]
	s_xor_b64 s[0:1], exec, s[10:11]
; %bb.149:                              ;   in Loop: Header=BB161_51 Depth=1
	v_bfe_u32 v3, v2, 16, 1
	v_add3_u32 v64, v2, v3, s21
                                        ; implicit-def: $vgpr2
; %bb.150:                              ;   in Loop: Header=BB161_51 Depth=1
	s_andn2_saveexec_b64 s[10:11], s[0:1]
; %bb.151:                              ;   in Loop: Header=BB161_51 Depth=1
	v_or_b32_e32 v3, 0x10000, v2
	v_cmp_eq_u32_sdwa s[0:1], v2, v26 src0_sel:WORD_0 src1_sel:DWORD
	v_cndmask_b32_e64 v64, v3, v2, s[0:1]
; %bb.152:                              ;   in Loop: Header=BB161_51 Depth=1
	s_or_b64 exec, exec, s[10:11]
	global_load_dwordx4 v[2:5], v[6:7], off offset:2048
	s_waitcnt vmcnt(0)
	v_lshrrev_b32_e32 v66, 16, v2
	v_lshrrev_b32_e32 v68, 16, v3
	;; [unrolled: 1-line block ×4, first 2 shown]
	s_and_saveexec_b64 s[10:11], vcc
	s_cbranch_execz .LBB161_154
; %bb.153:                              ;   in Loop: Header=BB161_51 Depth=1
	v_cmp_gt_i32_e64 s[0:1], s33, v39
	v_cndmask_b32_e64 v2, 0, v2, s[0:1]
	v_cmp_gt_i32_e64 s[0:1], s33, v47
	v_cndmask_b32_e64 v66, 0, v66, s[0:1]
	;; [unrolled: 2-line block ×8, first 2 shown]
.LBB161_154:                            ;   in Loop: Header=BB161_51 Depth=1
	s_or_b64 exec, exec, s[10:11]
	v_lshlrev_b32_e32 v2, 16, v2
	v_mul_f32_e32 v2, v50, v2
	v_and_b32_e32 v65, 0x7f800000, v2
	v_cmp_ne_u32_e64 s[0:1], s20, v65
                                        ; implicit-def: $vgpr65
	s_and_saveexec_b64 s[10:11], s[0:1]
	s_xor_b64 s[0:1], exec, s[10:11]
; %bb.155:                              ;   in Loop: Header=BB161_51 Depth=1
	v_bfe_u32 v65, v2, 16, 1
	v_add3_u32 v65, v2, v65, s21
                                        ; implicit-def: $vgpr2
; %bb.156:                              ;   in Loop: Header=BB161_51 Depth=1
	s_andn2_saveexec_b64 s[10:11], s[0:1]
; %bb.157:                              ;   in Loop: Header=BB161_51 Depth=1
	v_or_b32_e32 v65, 0x10000, v2
	v_cmp_eq_u32_sdwa s[0:1], v2, v26 src0_sel:WORD_0 src1_sel:DWORD
	v_cndmask_b32_e64 v65, v65, v2, s[0:1]
; %bb.158:                              ;   in Loop: Header=BB161_51 Depth=1
	s_or_b64 exec, exec, s[10:11]
	v_lshlrev_b32_e32 v2, 16, v66
	v_mul_f32_e32 v2, v52, v2
	v_and_b32_e32 v66, 0x7f800000, v2
	v_cmp_ne_u32_e64 s[0:1], s20, v66
                                        ; implicit-def: $vgpr66
	s_and_saveexec_b64 s[10:11], s[0:1]
	s_xor_b64 s[0:1], exec, s[10:11]
; %bb.159:                              ;   in Loop: Header=BB161_51 Depth=1
	v_bfe_u32 v66, v2, 16, 1
	v_add3_u32 v66, v2, v66, s21
                                        ; implicit-def: $vgpr2
; %bb.160:                              ;   in Loop: Header=BB161_51 Depth=1
	s_andn2_saveexec_b64 s[10:11], s[0:1]
; %bb.161:                              ;   in Loop: Header=BB161_51 Depth=1
	v_or_b32_e32 v66, 0x10000, v2
	v_cmp_eq_u32_sdwa s[0:1], v2, v26 src0_sel:WORD_0 src1_sel:DWORD
	v_cndmask_b32_e64 v66, v66, v2, s[0:1]
; %bb.162:                              ;   in Loop: Header=BB161_51 Depth=1
	s_or_b64 exec, exec, s[10:11]
	v_lshlrev_b32_e32 v2, 16, v3
	v_mul_f32_e32 v2, v53, v2
	v_and_b32_e32 v3, 0x7f800000, v2
	v_cmp_ne_u32_e64 s[0:1], s20, v3
                                        ; implicit-def: $vgpr67
	s_and_saveexec_b64 s[10:11], s[0:1]
	s_xor_b64 s[0:1], exec, s[10:11]
; %bb.163:                              ;   in Loop: Header=BB161_51 Depth=1
	v_bfe_u32 v3, v2, 16, 1
	v_add3_u32 v67, v2, v3, s21
                                        ; implicit-def: $vgpr2
; %bb.164:                              ;   in Loop: Header=BB161_51 Depth=1
	s_andn2_saveexec_b64 s[10:11], s[0:1]
; %bb.165:                              ;   in Loop: Header=BB161_51 Depth=1
	v_or_b32_e32 v3, 0x10000, v2
	v_cmp_eq_u32_sdwa s[0:1], v2, v26 src0_sel:WORD_0 src1_sel:DWORD
	v_cndmask_b32_e64 v67, v3, v2, s[0:1]
; %bb.166:                              ;   in Loop: Header=BB161_51 Depth=1
	s_or_b64 exec, exec, s[10:11]
	v_lshlrev_b32_e32 v2, 16, v68
	v_mul_f32_e32 v2, v54, v2
	v_and_b32_e32 v3, 0x7f800000, v2
	v_cmp_ne_u32_e64 s[0:1], s20, v3
                                        ; implicit-def: $vgpr68
	s_and_saveexec_b64 s[10:11], s[0:1]
	s_xor_b64 s[0:1], exec, s[10:11]
; %bb.167:                              ;   in Loop: Header=BB161_51 Depth=1
	v_bfe_u32 v3, v2, 16, 1
	v_add3_u32 v68, v2, v3, s21
                                        ; implicit-def: $vgpr2
; %bb.168:                              ;   in Loop: Header=BB161_51 Depth=1
	s_andn2_saveexec_b64 s[10:11], s[0:1]
; %bb.169:                              ;   in Loop: Header=BB161_51 Depth=1
	v_or_b32_e32 v3, 0x10000, v2
	v_cmp_eq_u32_sdwa s[0:1], v2, v26 src0_sel:WORD_0 src1_sel:DWORD
	v_cndmask_b32_e64 v68, v3, v2, s[0:1]
; %bb.170:                              ;   in Loop: Header=BB161_51 Depth=1
	s_or_b64 exec, exec, s[10:11]
	v_lshlrev_b32_e32 v2, 16, v4
	v_mul_f32_e32 v2, v55, v2
	v_and_b32_e32 v3, 0x7f800000, v2
	v_cmp_ne_u32_e64 s[0:1], s20, v3
                                        ; implicit-def: $vgpr69
	s_and_saveexec_b64 s[10:11], s[0:1]
	s_xor_b64 s[0:1], exec, s[10:11]
; %bb.171:                              ;   in Loop: Header=BB161_51 Depth=1
	v_bfe_u32 v3, v2, 16, 1
	v_add3_u32 v69, v2, v3, s21
                                        ; implicit-def: $vgpr2
; %bb.172:                              ;   in Loop: Header=BB161_51 Depth=1
	s_andn2_saveexec_b64 s[10:11], s[0:1]
; %bb.173:                              ;   in Loop: Header=BB161_51 Depth=1
	v_or_b32_e32 v3, 0x10000, v2
	v_cmp_eq_u32_sdwa s[0:1], v2, v26 src0_sel:WORD_0 src1_sel:DWORD
	v_cndmask_b32_e64 v69, v3, v2, s[0:1]
; %bb.174:                              ;   in Loop: Header=BB161_51 Depth=1
	s_or_b64 exec, exec, s[10:11]
	v_lshlrev_b32_e32 v2, 16, v70
	v_mul_f32_e32 v2, v56, v2
	v_and_b32_e32 v3, 0x7f800000, v2
	v_cmp_ne_u32_e64 s[0:1], s20, v3
                                        ; implicit-def: $vgpr70
	s_and_saveexec_b64 s[10:11], s[0:1]
	s_xor_b64 s[0:1], exec, s[10:11]
; %bb.175:                              ;   in Loop: Header=BB161_51 Depth=1
	v_bfe_u32 v3, v2, 16, 1
	v_add3_u32 v70, v2, v3, s21
                                        ; implicit-def: $vgpr2
; %bb.176:                              ;   in Loop: Header=BB161_51 Depth=1
	s_andn2_saveexec_b64 s[10:11], s[0:1]
; %bb.177:                              ;   in Loop: Header=BB161_51 Depth=1
	v_or_b32_e32 v3, 0x10000, v2
	v_cmp_eq_u32_sdwa s[0:1], v2, v26 src0_sel:WORD_0 src1_sel:DWORD
	v_cndmask_b32_e64 v70, v3, v2, s[0:1]
; %bb.178:                              ;   in Loop: Header=BB161_51 Depth=1
	s_or_b64 exec, exec, s[10:11]
	v_lshlrev_b32_e32 v2, 16, v5
	v_mul_f32_e32 v2, v57, v2
	v_and_b32_e32 v3, 0x7f800000, v2
	v_cmp_ne_u32_e64 s[0:1], s20, v3
                                        ; implicit-def: $vgpr71
	s_and_saveexec_b64 s[10:11], s[0:1]
	s_xor_b64 s[0:1], exec, s[10:11]
; %bb.179:                              ;   in Loop: Header=BB161_51 Depth=1
	v_bfe_u32 v3, v2, 16, 1
	v_add3_u32 v71, v2, v3, s21
                                        ; implicit-def: $vgpr2
; %bb.180:                              ;   in Loop: Header=BB161_51 Depth=1
	s_andn2_saveexec_b64 s[10:11], s[0:1]
; %bb.181:                              ;   in Loop: Header=BB161_51 Depth=1
	v_or_b32_e32 v3, 0x10000, v2
	v_cmp_eq_u32_sdwa s[0:1], v2, v26 src0_sel:WORD_0 src1_sel:DWORD
	v_cndmask_b32_e64 v71, v3, v2, s[0:1]
; %bb.182:                              ;   in Loop: Header=BB161_51 Depth=1
	s_or_b64 exec, exec, s[10:11]
	v_lshlrev_b32_e32 v2, 16, v72
	v_mul_f32_e32 v2, v58, v2
	v_and_b32_e32 v3, 0x7f800000, v2
	v_cmp_ne_u32_e64 s[0:1], s20, v3
                                        ; implicit-def: $vgpr72
	s_and_saveexec_b64 s[10:11], s[0:1]
	s_xor_b64 s[0:1], exec, s[10:11]
; %bb.183:                              ;   in Loop: Header=BB161_51 Depth=1
	v_bfe_u32 v3, v2, 16, 1
	v_add3_u32 v72, v2, v3, s21
                                        ; implicit-def: $vgpr2
; %bb.184:                              ;   in Loop: Header=BB161_51 Depth=1
	s_andn2_saveexec_b64 s[10:11], s[0:1]
; %bb.185:                              ;   in Loop: Header=BB161_51 Depth=1
	v_or_b32_e32 v3, 0x10000, v2
	v_cmp_eq_u32_sdwa s[0:1], v2, v26 src0_sel:WORD_0 src1_sel:DWORD
	v_cndmask_b32_e64 v72, v3, v2, s[0:1]
; %bb.186:                              ;   in Loop: Header=BB161_51 Depth=1
	s_or_b64 exec, exec, s[10:11]
	global_load_dwordx4 v[2:5], v[6:7], off offset:3072
	s_waitcnt vmcnt(0)
	v_lshrrev_b32_e32 v7, 16, v2
	v_lshrrev_b32_e32 v74, 16, v3
	v_lshrrev_b32_e32 v76, 16, v4
	v_lshrrev_b32_e32 v78, 16, v5
	s_and_saveexec_b64 s[10:11], vcc
	s_cbranch_execz .LBB161_188
; %bb.187:                              ;   in Loop: Header=BB161_51 Depth=1
	v_cmp_gt_i32_e64 s[0:1], s33, v39
	v_cndmask_b32_e64 v2, 0, v2, s[0:1]
	v_cmp_gt_i32_e64 s[0:1], s33, v47
	v_cndmask_b32_e64 v7, 0, v7, s[0:1]
	;; [unrolled: 2-line block ×8, first 2 shown]
.LBB161_188:                            ;   in Loop: Header=BB161_51 Depth=1
	s_or_b64 exec, exec, s[10:11]
	v_lshlrev_b32_e32 v2, 16, v2
	v_mul_f32_e32 v2, v50, v2
	v_and_b32_e32 v6, 0x7f800000, v2
	v_cmp_ne_u32_e64 s[0:1], s20, v6
                                        ; implicit-def: $vgpr6
	s_and_saveexec_b64 s[10:11], s[0:1]
	s_xor_b64 s[0:1], exec, s[10:11]
; %bb.189:                              ;   in Loop: Header=BB161_51 Depth=1
	v_bfe_u32 v6, v2, 16, 1
	v_add3_u32 v6, v2, v6, s21
                                        ; implicit-def: $vgpr2
; %bb.190:                              ;   in Loop: Header=BB161_51 Depth=1
	s_andn2_saveexec_b64 s[10:11], s[0:1]
; %bb.191:                              ;   in Loop: Header=BB161_51 Depth=1
	v_or_b32_e32 v6, 0x10000, v2
	v_cmp_eq_u32_sdwa s[0:1], v2, v26 src0_sel:WORD_0 src1_sel:DWORD
	v_cndmask_b32_e64 v6, v6, v2, s[0:1]
; %bb.192:                              ;   in Loop: Header=BB161_51 Depth=1
	s_or_b64 exec, exec, s[10:11]
	v_lshlrev_b32_e32 v2, 16, v7
	v_mul_f32_e32 v2, v52, v2
	v_and_b32_e32 v7, 0x7f800000, v2
	v_cmp_ne_u32_e64 s[0:1], s20, v7
                                        ; implicit-def: $vgpr7
	s_and_saveexec_b64 s[10:11], s[0:1]
	s_xor_b64 s[0:1], exec, s[10:11]
; %bb.193:                              ;   in Loop: Header=BB161_51 Depth=1
	v_bfe_u32 v7, v2, 16, 1
	v_add3_u32 v7, v2, v7, s21
                                        ; implicit-def: $vgpr2
; %bb.194:                              ;   in Loop: Header=BB161_51 Depth=1
	s_andn2_saveexec_b64 s[10:11], s[0:1]
; %bb.195:                              ;   in Loop: Header=BB161_51 Depth=1
	v_or_b32_e32 v7, 0x10000, v2
	v_cmp_eq_u32_sdwa s[0:1], v2, v26 src0_sel:WORD_0 src1_sel:DWORD
	v_cndmask_b32_e64 v7, v7, v2, s[0:1]
; %bb.196:                              ;   in Loop: Header=BB161_51 Depth=1
	s_or_b64 exec, exec, s[10:11]
	v_lshlrev_b32_e32 v2, 16, v3
	v_mul_f32_e32 v2, v53, v2
	v_and_b32_e32 v3, 0x7f800000, v2
	v_cmp_ne_u32_e64 s[0:1], s20, v3
                                        ; implicit-def: $vgpr73
	s_and_saveexec_b64 s[10:11], s[0:1]
	s_xor_b64 s[0:1], exec, s[10:11]
; %bb.197:                              ;   in Loop: Header=BB161_51 Depth=1
	v_bfe_u32 v3, v2, 16, 1
	v_add3_u32 v73, v2, v3, s21
                                        ; implicit-def: $vgpr2
; %bb.198:                              ;   in Loop: Header=BB161_51 Depth=1
	s_andn2_saveexec_b64 s[10:11], s[0:1]
; %bb.199:                              ;   in Loop: Header=BB161_51 Depth=1
	v_or_b32_e32 v3, 0x10000, v2
	v_cmp_eq_u32_sdwa s[0:1], v2, v26 src0_sel:WORD_0 src1_sel:DWORD
	v_cndmask_b32_e64 v73, v3, v2, s[0:1]
; %bb.200:                              ;   in Loop: Header=BB161_51 Depth=1
	s_or_b64 exec, exec, s[10:11]
	v_lshlrev_b32_e32 v2, 16, v74
	v_mul_f32_e32 v2, v54, v2
	v_and_b32_e32 v3, 0x7f800000, v2
	v_cmp_ne_u32_e64 s[0:1], s20, v3
                                        ; implicit-def: $vgpr74
	s_and_saveexec_b64 s[10:11], s[0:1]
	s_xor_b64 s[0:1], exec, s[10:11]
; %bb.201:                              ;   in Loop: Header=BB161_51 Depth=1
	v_bfe_u32 v3, v2, 16, 1
	v_add3_u32 v74, v2, v3, s21
                                        ; implicit-def: $vgpr2
; %bb.202:                              ;   in Loop: Header=BB161_51 Depth=1
	s_andn2_saveexec_b64 s[10:11], s[0:1]
; %bb.203:                              ;   in Loop: Header=BB161_51 Depth=1
	v_or_b32_e32 v3, 0x10000, v2
	v_cmp_eq_u32_sdwa s[0:1], v2, v26 src0_sel:WORD_0 src1_sel:DWORD
	v_cndmask_b32_e64 v74, v3, v2, s[0:1]
; %bb.204:                              ;   in Loop: Header=BB161_51 Depth=1
	s_or_b64 exec, exec, s[10:11]
	v_lshlrev_b32_e32 v2, 16, v4
	v_mul_f32_e32 v2, v55, v2
	v_and_b32_e32 v3, 0x7f800000, v2
	v_cmp_ne_u32_e64 s[0:1], s20, v3
                                        ; implicit-def: $vgpr75
	s_and_saveexec_b64 s[10:11], s[0:1]
	s_xor_b64 s[0:1], exec, s[10:11]
; %bb.205:                              ;   in Loop: Header=BB161_51 Depth=1
	v_bfe_u32 v3, v2, 16, 1
	v_add3_u32 v75, v2, v3, s21
                                        ; implicit-def: $vgpr2
; %bb.206:                              ;   in Loop: Header=BB161_51 Depth=1
	s_andn2_saveexec_b64 s[10:11], s[0:1]
; %bb.207:                              ;   in Loop: Header=BB161_51 Depth=1
	v_or_b32_e32 v3, 0x10000, v2
	v_cmp_eq_u32_sdwa s[0:1], v2, v26 src0_sel:WORD_0 src1_sel:DWORD
	v_cndmask_b32_e64 v75, v3, v2, s[0:1]
; %bb.208:                              ;   in Loop: Header=BB161_51 Depth=1
	s_or_b64 exec, exec, s[10:11]
	v_lshlrev_b32_e32 v2, 16, v76
	v_mul_f32_e32 v2, v56, v2
	v_and_b32_e32 v3, 0x7f800000, v2
	v_cmp_ne_u32_e64 s[0:1], s20, v3
                                        ; implicit-def: $vgpr76
	s_and_saveexec_b64 s[10:11], s[0:1]
	s_xor_b64 s[0:1], exec, s[10:11]
; %bb.209:                              ;   in Loop: Header=BB161_51 Depth=1
	v_bfe_u32 v3, v2, 16, 1
	v_add3_u32 v76, v2, v3, s21
                                        ; implicit-def: $vgpr2
; %bb.210:                              ;   in Loop: Header=BB161_51 Depth=1
	s_andn2_saveexec_b64 s[10:11], s[0:1]
; %bb.211:                              ;   in Loop: Header=BB161_51 Depth=1
	v_or_b32_e32 v3, 0x10000, v2
	v_cmp_eq_u32_sdwa s[0:1], v2, v26 src0_sel:WORD_0 src1_sel:DWORD
	v_cndmask_b32_e64 v76, v3, v2, s[0:1]
; %bb.212:                              ;   in Loop: Header=BB161_51 Depth=1
	s_or_b64 exec, exec, s[10:11]
	v_lshlrev_b32_e32 v2, 16, v5
	v_mul_f32_e32 v2, v57, v2
	v_and_b32_e32 v3, 0x7f800000, v2
	v_cmp_ne_u32_e64 s[0:1], s20, v3
                                        ; implicit-def: $vgpr77
	s_and_saveexec_b64 s[10:11], s[0:1]
	s_xor_b64 s[0:1], exec, s[10:11]
; %bb.213:                              ;   in Loop: Header=BB161_51 Depth=1
	v_bfe_u32 v3, v2, 16, 1
	v_add3_u32 v77, v2, v3, s21
                                        ; implicit-def: $vgpr2
; %bb.214:                              ;   in Loop: Header=BB161_51 Depth=1
	s_andn2_saveexec_b64 s[10:11], s[0:1]
; %bb.215:                              ;   in Loop: Header=BB161_51 Depth=1
	v_or_b32_e32 v3, 0x10000, v2
	v_cmp_eq_u32_sdwa s[0:1], v2, v26 src0_sel:WORD_0 src1_sel:DWORD
	v_cndmask_b32_e64 v77, v3, v2, s[0:1]
; %bb.216:                              ;   in Loop: Header=BB161_51 Depth=1
	s_or_b64 exec, exec, s[10:11]
	v_lshlrev_b32_e32 v2, 16, v78
	v_mul_f32_e32 v2, v58, v2
	v_and_b32_e32 v3, 0x7f800000, v2
	v_cmp_ne_u32_e64 s[0:1], s20, v3
                                        ; implicit-def: $vgpr78
	s_and_saveexec_b64 s[10:11], s[0:1]
	s_xor_b64 s[0:1], exec, s[10:11]
; %bb.217:                              ;   in Loop: Header=BB161_51 Depth=1
	v_bfe_u32 v3, v2, 16, 1
	v_add3_u32 v78, v2, v3, s21
                                        ; implicit-def: $vgpr2
; %bb.218:                              ;   in Loop: Header=BB161_51 Depth=1
	s_andn2_saveexec_b64 s[10:11], s[0:1]
; %bb.219:                              ;   in Loop: Header=BB161_51 Depth=1
	v_or_b32_e32 v3, 0x10000, v2
	v_cmp_eq_u32_sdwa s[0:1], v2, v26 src0_sel:WORD_0 src1_sel:DWORD
	v_cndmask_b32_e64 v78, v3, v2, s[0:1]
; %bb.220:                              ;   in Loop: Header=BB161_51 Depth=1
	s_or_b64 exec, exec, s[10:11]
	v_add_co_u32_e64 v2, s[0:1], v48, v29
	v_addc_co_u32_e64 v3, s[0:1], 0, v49, s[0:1]
	global_load_dwordx4 v[2:5], v[2:3], off
	s_waitcnt vmcnt(0)
	v_lshrrev_b32_e32 v80, 16, v2
	v_lshrrev_b32_e32 v82, 16, v3
	;; [unrolled: 1-line block ×4, first 2 shown]
	s_and_saveexec_b64 s[10:11], vcc
	s_cbranch_execz .LBB161_222
; %bb.221:                              ;   in Loop: Header=BB161_51 Depth=1
	v_cmp_gt_i32_e64 s[0:1], s33, v39
	v_cndmask_b32_e64 v2, 0, v2, s[0:1]
	v_cmp_gt_i32_e64 s[0:1], s33, v47
	v_cndmask_b32_e64 v80, 0, v80, s[0:1]
	;; [unrolled: 2-line block ×8, first 2 shown]
.LBB161_222:                            ;   in Loop: Header=BB161_51 Depth=1
	s_or_b64 exec, exec, s[10:11]
	v_lshlrev_b32_e32 v2, 16, v2
	v_mul_f32_e32 v2, v50, v2
	v_and_b32_e32 v79, 0x7f800000, v2
	v_cmp_ne_u32_e64 s[0:1], s20, v79
                                        ; implicit-def: $vgpr79
	s_and_saveexec_b64 s[10:11], s[0:1]
	s_xor_b64 s[0:1], exec, s[10:11]
; %bb.223:                              ;   in Loop: Header=BB161_51 Depth=1
	v_bfe_u32 v79, v2, 16, 1
	v_add3_u32 v79, v2, v79, s21
                                        ; implicit-def: $vgpr2
; %bb.224:                              ;   in Loop: Header=BB161_51 Depth=1
	s_andn2_saveexec_b64 s[10:11], s[0:1]
; %bb.225:                              ;   in Loop: Header=BB161_51 Depth=1
	v_or_b32_e32 v79, 0x10000, v2
	v_cmp_eq_u32_sdwa s[0:1], v2, v26 src0_sel:WORD_0 src1_sel:DWORD
	v_cndmask_b32_e64 v79, v79, v2, s[0:1]
; %bb.226:                              ;   in Loop: Header=BB161_51 Depth=1
	s_or_b64 exec, exec, s[10:11]
	v_lshlrev_b32_e32 v2, 16, v80
	v_mul_f32_e32 v2, v52, v2
	v_and_b32_e32 v80, 0x7f800000, v2
	v_cmp_ne_u32_e64 s[0:1], s20, v80
                                        ; implicit-def: $vgpr80
	s_and_saveexec_b64 s[10:11], s[0:1]
	s_xor_b64 s[0:1], exec, s[10:11]
; %bb.227:                              ;   in Loop: Header=BB161_51 Depth=1
	v_bfe_u32 v80, v2, 16, 1
	v_add3_u32 v80, v2, v80, s21
                                        ; implicit-def: $vgpr2
; %bb.228:                              ;   in Loop: Header=BB161_51 Depth=1
	s_andn2_saveexec_b64 s[10:11], s[0:1]
; %bb.229:                              ;   in Loop: Header=BB161_51 Depth=1
	v_or_b32_e32 v80, 0x10000, v2
	v_cmp_eq_u32_sdwa s[0:1], v2, v26 src0_sel:WORD_0 src1_sel:DWORD
	v_cndmask_b32_e64 v80, v80, v2, s[0:1]
; %bb.230:                              ;   in Loop: Header=BB161_51 Depth=1
	s_or_b64 exec, exec, s[10:11]
	v_lshlrev_b32_e32 v2, 16, v3
	v_mul_f32_e32 v2, v53, v2
	v_and_b32_e32 v3, 0x7f800000, v2
	v_cmp_ne_u32_e64 s[0:1], s20, v3
                                        ; implicit-def: $vgpr81
	s_and_saveexec_b64 s[10:11], s[0:1]
	s_xor_b64 s[0:1], exec, s[10:11]
; %bb.231:                              ;   in Loop: Header=BB161_51 Depth=1
	v_bfe_u32 v3, v2, 16, 1
	v_add3_u32 v81, v2, v3, s21
                                        ; implicit-def: $vgpr2
; %bb.232:                              ;   in Loop: Header=BB161_51 Depth=1
	s_andn2_saveexec_b64 s[10:11], s[0:1]
; %bb.233:                              ;   in Loop: Header=BB161_51 Depth=1
	v_or_b32_e32 v3, 0x10000, v2
	v_cmp_eq_u32_sdwa s[0:1], v2, v26 src0_sel:WORD_0 src1_sel:DWORD
	v_cndmask_b32_e64 v81, v3, v2, s[0:1]
; %bb.234:                              ;   in Loop: Header=BB161_51 Depth=1
	s_or_b64 exec, exec, s[10:11]
	v_lshlrev_b32_e32 v2, 16, v82
	v_mul_f32_e32 v2, v54, v2
	v_and_b32_e32 v3, 0x7f800000, v2
	v_cmp_ne_u32_e64 s[0:1], s20, v3
                                        ; implicit-def: $vgpr82
	s_and_saveexec_b64 s[10:11], s[0:1]
	s_xor_b64 s[0:1], exec, s[10:11]
; %bb.235:                              ;   in Loop: Header=BB161_51 Depth=1
	v_bfe_u32 v3, v2, 16, 1
	v_add3_u32 v82, v2, v3, s21
                                        ; implicit-def: $vgpr2
; %bb.236:                              ;   in Loop: Header=BB161_51 Depth=1
	s_andn2_saveexec_b64 s[10:11], s[0:1]
; %bb.237:                              ;   in Loop: Header=BB161_51 Depth=1
	v_or_b32_e32 v3, 0x10000, v2
	v_cmp_eq_u32_sdwa s[0:1], v2, v26 src0_sel:WORD_0 src1_sel:DWORD
	v_cndmask_b32_e64 v82, v3, v2, s[0:1]
; %bb.238:                              ;   in Loop: Header=BB161_51 Depth=1
	s_or_b64 exec, exec, s[10:11]
	v_lshlrev_b32_e32 v2, 16, v4
	v_mul_f32_e32 v2, v55, v2
	v_and_b32_e32 v3, 0x7f800000, v2
	v_cmp_ne_u32_e64 s[0:1], s20, v3
                                        ; implicit-def: $vgpr83
	s_and_saveexec_b64 s[10:11], s[0:1]
	s_xor_b64 s[0:1], exec, s[10:11]
; %bb.239:                              ;   in Loop: Header=BB161_51 Depth=1
	v_bfe_u32 v3, v2, 16, 1
	v_add3_u32 v83, v2, v3, s21
                                        ; implicit-def: $vgpr2
; %bb.240:                              ;   in Loop: Header=BB161_51 Depth=1
	s_andn2_saveexec_b64 s[10:11], s[0:1]
; %bb.241:                              ;   in Loop: Header=BB161_51 Depth=1
	v_or_b32_e32 v3, 0x10000, v2
	v_cmp_eq_u32_sdwa s[0:1], v2, v26 src0_sel:WORD_0 src1_sel:DWORD
	v_cndmask_b32_e64 v83, v3, v2, s[0:1]
; %bb.242:                              ;   in Loop: Header=BB161_51 Depth=1
	s_or_b64 exec, exec, s[10:11]
	v_lshlrev_b32_e32 v2, 16, v84
	v_mul_f32_e32 v2, v56, v2
	v_and_b32_e32 v3, 0x7f800000, v2
	v_cmp_ne_u32_e64 s[0:1], s20, v3
                                        ; implicit-def: $vgpr84
	s_and_saveexec_b64 s[10:11], s[0:1]
	s_xor_b64 s[0:1], exec, s[10:11]
; %bb.243:                              ;   in Loop: Header=BB161_51 Depth=1
	v_bfe_u32 v3, v2, 16, 1
	v_add3_u32 v84, v2, v3, s21
                                        ; implicit-def: $vgpr2
; %bb.244:                              ;   in Loop: Header=BB161_51 Depth=1
	s_andn2_saveexec_b64 s[10:11], s[0:1]
; %bb.245:                              ;   in Loop: Header=BB161_51 Depth=1
	v_or_b32_e32 v3, 0x10000, v2
	v_cmp_eq_u32_sdwa s[0:1], v2, v26 src0_sel:WORD_0 src1_sel:DWORD
	v_cndmask_b32_e64 v84, v3, v2, s[0:1]
; %bb.246:                              ;   in Loop: Header=BB161_51 Depth=1
	s_or_b64 exec, exec, s[10:11]
	v_lshlrev_b32_e32 v2, 16, v5
	v_mul_f32_e32 v2, v57, v2
	v_and_b32_e32 v3, 0x7f800000, v2
	v_cmp_ne_u32_e64 s[0:1], s20, v3
                                        ; implicit-def: $vgpr85
	s_and_saveexec_b64 s[10:11], s[0:1]
	s_xor_b64 s[0:1], exec, s[10:11]
; %bb.247:                              ;   in Loop: Header=BB161_51 Depth=1
	v_bfe_u32 v3, v2, 16, 1
	v_add3_u32 v85, v2, v3, s21
                                        ; implicit-def: $vgpr2
; %bb.248:                              ;   in Loop: Header=BB161_51 Depth=1
	s_andn2_saveexec_b64 s[10:11], s[0:1]
; %bb.249:                              ;   in Loop: Header=BB161_51 Depth=1
	v_or_b32_e32 v3, 0x10000, v2
	v_cmp_eq_u32_sdwa s[0:1], v2, v26 src0_sel:WORD_0 src1_sel:DWORD
	v_cndmask_b32_e64 v85, v3, v2, s[0:1]
; %bb.250:                              ;   in Loop: Header=BB161_51 Depth=1
	s_or_b64 exec, exec, s[10:11]
	v_lshlrev_b32_e32 v2, 16, v86
	v_mul_f32_e32 v2, v58, v2
	v_and_b32_e32 v3, 0x7f800000, v2
	v_cmp_ne_u32_e64 s[0:1], s20, v3
                                        ; implicit-def: $vgpr86
	s_and_saveexec_b64 s[10:11], s[0:1]
	s_xor_b64 s[0:1], exec, s[10:11]
; %bb.251:                              ;   in Loop: Header=BB161_51 Depth=1
	v_bfe_u32 v3, v2, 16, 1
	v_add3_u32 v86, v2, v3, s21
                                        ; implicit-def: $vgpr2
; %bb.252:                              ;   in Loop: Header=BB161_51 Depth=1
	s_andn2_saveexec_b64 s[10:11], s[0:1]
; %bb.253:                              ;   in Loop: Header=BB161_51 Depth=1
	v_or_b32_e32 v3, 0x10000, v2
	v_cmp_eq_u32_sdwa s[0:1], v2, v26 src0_sel:WORD_0 src1_sel:DWORD
	v_cndmask_b32_e64 v86, v3, v2, s[0:1]
; %bb.254:                              ;   in Loop: Header=BB161_51 Depth=1
	s_or_b64 exec, exec, s[10:11]
	v_add_co_u32_e64 v2, s[0:1], v48, v30
	v_addc_co_u32_e64 v3, s[0:1], 0, v49, s[0:1]
	global_load_dwordx4 v[2:5], v[2:3], off
	s_waitcnt vmcnt(0)
	v_lshrrev_b32_e32 v88, 16, v2
	v_lshrrev_b32_e32 v90, 16, v3
	;; [unrolled: 1-line block ×4, first 2 shown]
	s_and_saveexec_b64 s[10:11], vcc
	s_cbranch_execz .LBB161_256
; %bb.255:                              ;   in Loop: Header=BB161_51 Depth=1
	v_cmp_gt_i32_e64 s[0:1], s33, v39
	v_cndmask_b32_e64 v2, 0, v2, s[0:1]
	v_cmp_gt_i32_e64 s[0:1], s33, v47
	v_cndmask_b32_e64 v88, 0, v88, s[0:1]
	;; [unrolled: 2-line block ×8, first 2 shown]
.LBB161_256:                            ;   in Loop: Header=BB161_51 Depth=1
	s_or_b64 exec, exec, s[10:11]
	v_lshlrev_b32_e32 v2, 16, v2
	v_mul_f32_e32 v2, v50, v2
	v_and_b32_e32 v87, 0x7f800000, v2
	v_cmp_ne_u32_e64 s[0:1], s20, v87
                                        ; implicit-def: $vgpr87
	s_and_saveexec_b64 s[10:11], s[0:1]
	s_xor_b64 s[0:1], exec, s[10:11]
; %bb.257:                              ;   in Loop: Header=BB161_51 Depth=1
	v_bfe_u32 v87, v2, 16, 1
	v_add3_u32 v87, v2, v87, s21
                                        ; implicit-def: $vgpr2
; %bb.258:                              ;   in Loop: Header=BB161_51 Depth=1
	s_andn2_saveexec_b64 s[10:11], s[0:1]
; %bb.259:                              ;   in Loop: Header=BB161_51 Depth=1
	v_or_b32_e32 v87, 0x10000, v2
	v_cmp_eq_u32_sdwa s[0:1], v2, v26 src0_sel:WORD_0 src1_sel:DWORD
	v_cndmask_b32_e64 v87, v87, v2, s[0:1]
; %bb.260:                              ;   in Loop: Header=BB161_51 Depth=1
	s_or_b64 exec, exec, s[10:11]
	v_lshlrev_b32_e32 v2, 16, v88
	v_mul_f32_e32 v2, v52, v2
	v_and_b32_e32 v88, 0x7f800000, v2
	v_cmp_ne_u32_e64 s[0:1], s20, v88
                                        ; implicit-def: $vgpr88
	s_and_saveexec_b64 s[10:11], s[0:1]
	s_xor_b64 s[0:1], exec, s[10:11]
; %bb.261:                              ;   in Loop: Header=BB161_51 Depth=1
	v_bfe_u32 v88, v2, 16, 1
	v_add3_u32 v88, v2, v88, s21
                                        ; implicit-def: $vgpr2
; %bb.262:                              ;   in Loop: Header=BB161_51 Depth=1
	s_andn2_saveexec_b64 s[10:11], s[0:1]
; %bb.263:                              ;   in Loop: Header=BB161_51 Depth=1
	v_or_b32_e32 v88, 0x10000, v2
	v_cmp_eq_u32_sdwa s[0:1], v2, v26 src0_sel:WORD_0 src1_sel:DWORD
	v_cndmask_b32_e64 v88, v88, v2, s[0:1]
; %bb.264:                              ;   in Loop: Header=BB161_51 Depth=1
	s_or_b64 exec, exec, s[10:11]
	v_lshlrev_b32_e32 v2, 16, v3
	v_mul_f32_e32 v2, v53, v2
	v_and_b32_e32 v3, 0x7f800000, v2
	v_cmp_ne_u32_e64 s[0:1], s20, v3
                                        ; implicit-def: $vgpr89
	s_and_saveexec_b64 s[10:11], s[0:1]
	s_xor_b64 s[0:1], exec, s[10:11]
; %bb.265:                              ;   in Loop: Header=BB161_51 Depth=1
	v_bfe_u32 v3, v2, 16, 1
	v_add3_u32 v89, v2, v3, s21
                                        ; implicit-def: $vgpr2
; %bb.266:                              ;   in Loop: Header=BB161_51 Depth=1
	s_andn2_saveexec_b64 s[10:11], s[0:1]
; %bb.267:                              ;   in Loop: Header=BB161_51 Depth=1
	v_or_b32_e32 v3, 0x10000, v2
	v_cmp_eq_u32_sdwa s[0:1], v2, v26 src0_sel:WORD_0 src1_sel:DWORD
	v_cndmask_b32_e64 v89, v3, v2, s[0:1]
; %bb.268:                              ;   in Loop: Header=BB161_51 Depth=1
	s_or_b64 exec, exec, s[10:11]
	v_lshlrev_b32_e32 v2, 16, v90
	v_mul_f32_e32 v2, v54, v2
	v_and_b32_e32 v3, 0x7f800000, v2
	v_cmp_ne_u32_e64 s[0:1], s20, v3
                                        ; implicit-def: $vgpr90
	s_and_saveexec_b64 s[10:11], s[0:1]
	s_xor_b64 s[0:1], exec, s[10:11]
; %bb.269:                              ;   in Loop: Header=BB161_51 Depth=1
	v_bfe_u32 v3, v2, 16, 1
	v_add3_u32 v90, v2, v3, s21
                                        ; implicit-def: $vgpr2
; %bb.270:                              ;   in Loop: Header=BB161_51 Depth=1
	s_andn2_saveexec_b64 s[10:11], s[0:1]
; %bb.271:                              ;   in Loop: Header=BB161_51 Depth=1
	v_or_b32_e32 v3, 0x10000, v2
	v_cmp_eq_u32_sdwa s[0:1], v2, v26 src0_sel:WORD_0 src1_sel:DWORD
	v_cndmask_b32_e64 v90, v3, v2, s[0:1]
; %bb.272:                              ;   in Loop: Header=BB161_51 Depth=1
	s_or_b64 exec, exec, s[10:11]
	v_lshlrev_b32_e32 v2, 16, v4
	v_mul_f32_e32 v2, v55, v2
	v_and_b32_e32 v3, 0x7f800000, v2
	v_cmp_ne_u32_e64 s[0:1], s20, v3
                                        ; implicit-def: $vgpr91
	s_and_saveexec_b64 s[10:11], s[0:1]
	s_xor_b64 s[0:1], exec, s[10:11]
; %bb.273:                              ;   in Loop: Header=BB161_51 Depth=1
	v_bfe_u32 v3, v2, 16, 1
	v_add3_u32 v91, v2, v3, s21
                                        ; implicit-def: $vgpr2
; %bb.274:                              ;   in Loop: Header=BB161_51 Depth=1
	s_andn2_saveexec_b64 s[10:11], s[0:1]
; %bb.275:                              ;   in Loop: Header=BB161_51 Depth=1
	v_or_b32_e32 v3, 0x10000, v2
	v_cmp_eq_u32_sdwa s[0:1], v2, v26 src0_sel:WORD_0 src1_sel:DWORD
	v_cndmask_b32_e64 v91, v3, v2, s[0:1]
; %bb.276:                              ;   in Loop: Header=BB161_51 Depth=1
	s_or_b64 exec, exec, s[10:11]
	v_lshlrev_b32_e32 v2, 16, v92
	v_mul_f32_e32 v2, v56, v2
	v_and_b32_e32 v3, 0x7f800000, v2
	v_cmp_ne_u32_e64 s[0:1], s20, v3
                                        ; implicit-def: $vgpr92
	s_and_saveexec_b64 s[10:11], s[0:1]
	s_xor_b64 s[0:1], exec, s[10:11]
; %bb.277:                              ;   in Loop: Header=BB161_51 Depth=1
	v_bfe_u32 v3, v2, 16, 1
	v_add3_u32 v92, v2, v3, s21
                                        ; implicit-def: $vgpr2
; %bb.278:                              ;   in Loop: Header=BB161_51 Depth=1
	s_andn2_saveexec_b64 s[10:11], s[0:1]
; %bb.279:                              ;   in Loop: Header=BB161_51 Depth=1
	v_or_b32_e32 v3, 0x10000, v2
	v_cmp_eq_u32_sdwa s[0:1], v2, v26 src0_sel:WORD_0 src1_sel:DWORD
	v_cndmask_b32_e64 v92, v3, v2, s[0:1]
; %bb.280:                              ;   in Loop: Header=BB161_51 Depth=1
	s_or_b64 exec, exec, s[10:11]
	v_lshlrev_b32_e32 v2, 16, v5
	v_mul_f32_e32 v2, v57, v2
	v_and_b32_e32 v3, 0x7f800000, v2
	v_cmp_ne_u32_e64 s[0:1], s20, v3
                                        ; implicit-def: $vgpr93
	s_and_saveexec_b64 s[10:11], s[0:1]
	s_xor_b64 s[0:1], exec, s[10:11]
; %bb.281:                              ;   in Loop: Header=BB161_51 Depth=1
	v_bfe_u32 v3, v2, 16, 1
	v_add3_u32 v93, v2, v3, s21
                                        ; implicit-def: $vgpr2
; %bb.282:                              ;   in Loop: Header=BB161_51 Depth=1
	s_andn2_saveexec_b64 s[10:11], s[0:1]
; %bb.283:                              ;   in Loop: Header=BB161_51 Depth=1
	v_or_b32_e32 v3, 0x10000, v2
	v_cmp_eq_u32_sdwa s[0:1], v2, v26 src0_sel:WORD_0 src1_sel:DWORD
	v_cndmask_b32_e64 v93, v3, v2, s[0:1]
; %bb.284:                              ;   in Loop: Header=BB161_51 Depth=1
	s_or_b64 exec, exec, s[10:11]
	v_lshlrev_b32_e32 v2, 16, v94
	v_mul_f32_e32 v2, v58, v2
	v_and_b32_e32 v3, 0x7f800000, v2
	v_cmp_ne_u32_e64 s[0:1], s20, v3
                                        ; implicit-def: $vgpr94
	s_and_saveexec_b64 s[10:11], s[0:1]
	s_xor_b64 s[0:1], exec, s[10:11]
; %bb.285:                              ;   in Loop: Header=BB161_51 Depth=1
	v_bfe_u32 v3, v2, 16, 1
	v_add3_u32 v94, v2, v3, s21
                                        ; implicit-def: $vgpr2
; %bb.286:                              ;   in Loop: Header=BB161_51 Depth=1
	s_andn2_saveexec_b64 s[10:11], s[0:1]
; %bb.287:                              ;   in Loop: Header=BB161_51 Depth=1
	v_or_b32_e32 v3, 0x10000, v2
	v_cmp_eq_u32_sdwa s[0:1], v2, v26 src0_sel:WORD_0 src1_sel:DWORD
	v_cndmask_b32_e64 v94, v3, v2, s[0:1]
; %bb.288:                              ;   in Loop: Header=BB161_51 Depth=1
	s_or_b64 exec, exec, s[10:11]
	v_add_co_u32_e64 v2, s[0:1], v48, v31
	v_addc_co_u32_e64 v3, s[0:1], 0, v49, s[0:1]
	global_load_dwordx4 v[2:5], v[2:3], off
	s_waitcnt vmcnt(0)
	v_lshrrev_b32_e32 v96, 16, v2
	v_lshrrev_b32_e32 v98, 16, v3
	;; [unrolled: 1-line block ×4, first 2 shown]
	s_and_saveexec_b64 s[10:11], vcc
	s_cbranch_execz .LBB161_290
; %bb.289:                              ;   in Loop: Header=BB161_51 Depth=1
	v_cmp_gt_i32_e64 s[0:1], s33, v39
	v_cndmask_b32_e64 v2, 0, v2, s[0:1]
	v_cmp_gt_i32_e64 s[0:1], s33, v47
	v_cndmask_b32_e64 v96, 0, v96, s[0:1]
	;; [unrolled: 2-line block ×8, first 2 shown]
.LBB161_290:                            ;   in Loop: Header=BB161_51 Depth=1
	s_or_b64 exec, exec, s[10:11]
	v_lshlrev_b32_e32 v2, 16, v2
	v_mul_f32_e32 v2, v50, v2
	v_and_b32_e32 v95, 0x7f800000, v2
	v_cmp_ne_u32_e64 s[0:1], s20, v95
                                        ; implicit-def: $vgpr95
	s_and_saveexec_b64 s[10:11], s[0:1]
	s_xor_b64 s[0:1], exec, s[10:11]
; %bb.291:                              ;   in Loop: Header=BB161_51 Depth=1
	v_bfe_u32 v95, v2, 16, 1
	v_add3_u32 v95, v2, v95, s21
                                        ; implicit-def: $vgpr2
; %bb.292:                              ;   in Loop: Header=BB161_51 Depth=1
	s_andn2_saveexec_b64 s[10:11], s[0:1]
; %bb.293:                              ;   in Loop: Header=BB161_51 Depth=1
	v_or_b32_e32 v95, 0x10000, v2
	v_cmp_eq_u32_sdwa s[0:1], v2, v26 src0_sel:WORD_0 src1_sel:DWORD
	v_cndmask_b32_e64 v95, v95, v2, s[0:1]
; %bb.294:                              ;   in Loop: Header=BB161_51 Depth=1
	s_or_b64 exec, exec, s[10:11]
	v_lshlrev_b32_e32 v2, 16, v96
	v_mul_f32_e32 v2, v52, v2
	v_and_b32_e32 v96, 0x7f800000, v2
	v_cmp_ne_u32_e64 s[0:1], s20, v96
                                        ; implicit-def: $vgpr96
	s_and_saveexec_b64 s[10:11], s[0:1]
	s_xor_b64 s[0:1], exec, s[10:11]
; %bb.295:                              ;   in Loop: Header=BB161_51 Depth=1
	v_bfe_u32 v96, v2, 16, 1
	v_add3_u32 v96, v2, v96, s21
                                        ; implicit-def: $vgpr2
; %bb.296:                              ;   in Loop: Header=BB161_51 Depth=1
	s_andn2_saveexec_b64 s[10:11], s[0:1]
; %bb.297:                              ;   in Loop: Header=BB161_51 Depth=1
	v_or_b32_e32 v96, 0x10000, v2
	v_cmp_eq_u32_sdwa s[0:1], v2, v26 src0_sel:WORD_0 src1_sel:DWORD
	v_cndmask_b32_e64 v96, v96, v2, s[0:1]
; %bb.298:                              ;   in Loop: Header=BB161_51 Depth=1
	s_or_b64 exec, exec, s[10:11]
	v_lshlrev_b32_e32 v2, 16, v3
	v_mul_f32_e32 v2, v53, v2
	v_and_b32_e32 v3, 0x7f800000, v2
	v_cmp_ne_u32_e64 s[0:1], s20, v3
                                        ; implicit-def: $vgpr97
	s_and_saveexec_b64 s[10:11], s[0:1]
	s_xor_b64 s[0:1], exec, s[10:11]
; %bb.299:                              ;   in Loop: Header=BB161_51 Depth=1
	v_bfe_u32 v3, v2, 16, 1
	v_add3_u32 v97, v2, v3, s21
                                        ; implicit-def: $vgpr2
; %bb.300:                              ;   in Loop: Header=BB161_51 Depth=1
	s_andn2_saveexec_b64 s[10:11], s[0:1]
; %bb.301:                              ;   in Loop: Header=BB161_51 Depth=1
	v_or_b32_e32 v3, 0x10000, v2
	v_cmp_eq_u32_sdwa s[0:1], v2, v26 src0_sel:WORD_0 src1_sel:DWORD
	v_cndmask_b32_e64 v97, v3, v2, s[0:1]
; %bb.302:                              ;   in Loop: Header=BB161_51 Depth=1
	s_or_b64 exec, exec, s[10:11]
	v_lshlrev_b32_e32 v2, 16, v98
	v_mul_f32_e32 v2, v54, v2
	v_and_b32_e32 v3, 0x7f800000, v2
	v_cmp_ne_u32_e64 s[0:1], s20, v3
                                        ; implicit-def: $vgpr98
	s_and_saveexec_b64 s[10:11], s[0:1]
	s_xor_b64 s[0:1], exec, s[10:11]
; %bb.303:                              ;   in Loop: Header=BB161_51 Depth=1
	v_bfe_u32 v3, v2, 16, 1
	v_add3_u32 v98, v2, v3, s21
                                        ; implicit-def: $vgpr2
; %bb.304:                              ;   in Loop: Header=BB161_51 Depth=1
	s_andn2_saveexec_b64 s[10:11], s[0:1]
; %bb.305:                              ;   in Loop: Header=BB161_51 Depth=1
	v_or_b32_e32 v3, 0x10000, v2
	v_cmp_eq_u32_sdwa s[0:1], v2, v26 src0_sel:WORD_0 src1_sel:DWORD
	v_cndmask_b32_e64 v98, v3, v2, s[0:1]
; %bb.306:                              ;   in Loop: Header=BB161_51 Depth=1
	s_or_b64 exec, exec, s[10:11]
	v_lshlrev_b32_e32 v2, 16, v4
	v_mul_f32_e32 v2, v55, v2
	v_and_b32_e32 v3, 0x7f800000, v2
	v_cmp_ne_u32_e64 s[0:1], s20, v3
                                        ; implicit-def: $vgpr99
	s_and_saveexec_b64 s[10:11], s[0:1]
	s_xor_b64 s[0:1], exec, s[10:11]
; %bb.307:                              ;   in Loop: Header=BB161_51 Depth=1
	v_bfe_u32 v3, v2, 16, 1
	v_add3_u32 v99, v2, v3, s21
                                        ; implicit-def: $vgpr2
; %bb.308:                              ;   in Loop: Header=BB161_51 Depth=1
	s_andn2_saveexec_b64 s[10:11], s[0:1]
; %bb.309:                              ;   in Loop: Header=BB161_51 Depth=1
	v_or_b32_e32 v3, 0x10000, v2
	v_cmp_eq_u32_sdwa s[0:1], v2, v26 src0_sel:WORD_0 src1_sel:DWORD
	v_cndmask_b32_e64 v99, v3, v2, s[0:1]
; %bb.310:                              ;   in Loop: Header=BB161_51 Depth=1
	s_or_b64 exec, exec, s[10:11]
	v_lshlrev_b32_e32 v2, 16, v100
	v_mul_f32_e32 v2, v56, v2
	v_and_b32_e32 v3, 0x7f800000, v2
	v_cmp_ne_u32_e64 s[0:1], s20, v3
                                        ; implicit-def: $vgpr100
	s_and_saveexec_b64 s[10:11], s[0:1]
	s_xor_b64 s[0:1], exec, s[10:11]
; %bb.311:                              ;   in Loop: Header=BB161_51 Depth=1
	v_bfe_u32 v3, v2, 16, 1
	v_add3_u32 v100, v2, v3, s21
                                        ; implicit-def: $vgpr2
; %bb.312:                              ;   in Loop: Header=BB161_51 Depth=1
	s_andn2_saveexec_b64 s[10:11], s[0:1]
; %bb.313:                              ;   in Loop: Header=BB161_51 Depth=1
	v_or_b32_e32 v3, 0x10000, v2
	v_cmp_eq_u32_sdwa s[0:1], v2, v26 src0_sel:WORD_0 src1_sel:DWORD
	v_cndmask_b32_e64 v100, v3, v2, s[0:1]
; %bb.314:                              ;   in Loop: Header=BB161_51 Depth=1
	s_or_b64 exec, exec, s[10:11]
	v_lshlrev_b32_e32 v2, 16, v5
	v_mul_f32_e32 v2, v57, v2
	v_and_b32_e32 v3, 0x7f800000, v2
	v_cmp_ne_u32_e64 s[0:1], s20, v3
                                        ; implicit-def: $vgpr101
	s_and_saveexec_b64 s[10:11], s[0:1]
	s_xor_b64 s[0:1], exec, s[10:11]
; %bb.315:                              ;   in Loop: Header=BB161_51 Depth=1
	v_bfe_u32 v3, v2, 16, 1
	v_add3_u32 v101, v2, v3, s21
                                        ; implicit-def: $vgpr2
; %bb.316:                              ;   in Loop: Header=BB161_51 Depth=1
	s_andn2_saveexec_b64 s[10:11], s[0:1]
; %bb.317:                              ;   in Loop: Header=BB161_51 Depth=1
	v_or_b32_e32 v3, 0x10000, v2
	v_cmp_eq_u32_sdwa s[0:1], v2, v26 src0_sel:WORD_0 src1_sel:DWORD
	v_cndmask_b32_e64 v101, v3, v2, s[0:1]
; %bb.318:                              ;   in Loop: Header=BB161_51 Depth=1
	s_or_b64 exec, exec, s[10:11]
	v_lshlrev_b32_e32 v2, 16, v102
	v_mul_f32_e32 v2, v58, v2
	v_and_b32_e32 v3, 0x7f800000, v2
	v_cmp_ne_u32_e64 s[0:1], s20, v3
                                        ; implicit-def: $vgpr102
	s_and_saveexec_b64 s[10:11], s[0:1]
	s_xor_b64 s[0:1], exec, s[10:11]
; %bb.319:                              ;   in Loop: Header=BB161_51 Depth=1
	v_bfe_u32 v3, v2, 16, 1
	v_add3_u32 v102, v2, v3, s21
                                        ; implicit-def: $vgpr2
; %bb.320:                              ;   in Loop: Header=BB161_51 Depth=1
	s_andn2_saveexec_b64 s[10:11], s[0:1]
; %bb.321:                              ;   in Loop: Header=BB161_51 Depth=1
	v_or_b32_e32 v3, 0x10000, v2
	v_cmp_eq_u32_sdwa s[0:1], v2, v26 src0_sel:WORD_0 src1_sel:DWORD
	v_cndmask_b32_e64 v102, v3, v2, s[0:1]
; %bb.322:                              ;   in Loop: Header=BB161_51 Depth=1
	s_or_b64 exec, exec, s[10:11]
	v_add_co_u32_e64 v2, s[0:1], v48, v32
	v_addc_co_u32_e64 v3, s[0:1], 0, v49, s[0:1]
	global_load_dwordx4 v[2:5], v[2:3], off
	s_waitcnt vmcnt(0)
	v_lshrrev_b32_e32 v104, 16, v2
	v_lshrrev_b32_e32 v103, 16, v3
	v_lshrrev_b32_e32 v49, 16, v4
	v_lshrrev_b32_e32 v48, 16, v5
	s_and_saveexec_b64 s[0:1], vcc
	s_cbranch_execz .LBB161_324
; %bb.323:                              ;   in Loop: Header=BB161_51 Depth=1
	v_cmp_gt_i32_e32 vcc, s33, v39
	v_cndmask_b32_e32 v2, 0, v2, vcc
	v_cmp_gt_i32_e32 vcc, s33, v47
	v_cndmask_b32_e32 v104, 0, v104, vcc
	;; [unrolled: 2-line block ×8, first 2 shown]
.LBB161_324:                            ;   in Loop: Header=BB161_51 Depth=1
	s_or_b64 exec, exec, s[0:1]
	v_lshlrev_b32_e32 v2, 16, v2
	v_mul_f32_e32 v39, v50, v2
	v_and_b32_e32 v2, 0x7f800000, v39
	v_cmp_ne_u32_e32 vcc, s20, v2
                                        ; implicit-def: $vgpr2
	s_and_saveexec_b64 s[0:1], vcc
	s_xor_b64 s[0:1], exec, s[0:1]
; %bb.325:                              ;   in Loop: Header=BB161_51 Depth=1
	v_bfe_u32 v2, v39, 16, 1
	v_add3_u32 v2, v39, v2, s21
                                        ; implicit-def: $vgpr39
; %bb.326:                              ;   in Loop: Header=BB161_51 Depth=1
	s_andn2_saveexec_b64 s[0:1], s[0:1]
; %bb.327:                              ;   in Loop: Header=BB161_51 Depth=1
	v_or_b32_e32 v2, 0x10000, v39
	v_cmp_eq_u32_sdwa vcc, v39, v26 src0_sel:WORD_0 src1_sel:DWORD
	v_cndmask_b32_e32 v2, v2, v39, vcc
; %bb.328:                              ;   in Loop: Header=BB161_51 Depth=1
	s_or_b64 exec, exec, s[0:1]
	v_lshlrev_b32_e32 v39, 16, v104
	v_mul_f32_e32 v41, v52, v39
	v_and_b32_e32 v39, 0x7f800000, v41
	v_cmp_ne_u32_e32 vcc, s20, v39
                                        ; implicit-def: $vgpr39
	s_and_saveexec_b64 s[0:1], vcc
	s_xor_b64 s[0:1], exec, s[0:1]
; %bb.329:                              ;   in Loop: Header=BB161_51 Depth=1
	v_bfe_u32 v39, v41, 16, 1
	v_add3_u32 v39, v41, v39, s21
                                        ; implicit-def: $vgpr41
; %bb.330:                              ;   in Loop: Header=BB161_51 Depth=1
	s_andn2_saveexec_b64 s[0:1], s[0:1]
; %bb.331:                              ;   in Loop: Header=BB161_51 Depth=1
	v_or_b32_e32 v39, 0x10000, v41
	v_cmp_eq_u32_sdwa vcc, v41, v26 src0_sel:WORD_0 src1_sel:DWORD
	v_cndmask_b32_e32 v39, v39, v41, vcc
; %bb.332:                              ;   in Loop: Header=BB161_51 Depth=1
	s_or_b64 exec, exec, s[0:1]
	v_lshlrev_b32_e32 v3, 16, v3
	v_mul_f32_e32 v41, v53, v3
	v_and_b32_e32 v3, 0x7f800000, v41
	v_cmp_ne_u32_e32 vcc, s20, v3
                                        ; implicit-def: $vgpr3
	s_and_saveexec_b64 s[0:1], vcc
	s_xor_b64 s[0:1], exec, s[0:1]
; %bb.333:                              ;   in Loop: Header=BB161_51 Depth=1
	v_bfe_u32 v3, v41, 16, 1
	v_add3_u32 v3, v41, v3, s21
                                        ; implicit-def: $vgpr41
; %bb.334:                              ;   in Loop: Header=BB161_51 Depth=1
	s_andn2_saveexec_b64 s[0:1], s[0:1]
; %bb.335:                              ;   in Loop: Header=BB161_51 Depth=1
	v_or_b32_e32 v3, 0x10000, v41
	v_cmp_eq_u32_sdwa vcc, v41, v26 src0_sel:WORD_0 src1_sel:DWORD
	v_cndmask_b32_e32 v3, v3, v41, vcc
; %bb.336:                              ;   in Loop: Header=BB161_51 Depth=1
	s_or_b64 exec, exec, s[0:1]
	v_lshlrev_b32_e32 v41, 16, v103
	v_mul_f32_e32 v42, v54, v41
	v_and_b32_e32 v41, 0x7f800000, v42
	v_cmp_ne_u32_e32 vcc, s20, v41
                                        ; implicit-def: $vgpr41
	s_and_saveexec_b64 s[0:1], vcc
	s_xor_b64 s[0:1], exec, s[0:1]
; %bb.337:                              ;   in Loop: Header=BB161_51 Depth=1
	v_bfe_u32 v41, v42, 16, 1
	v_add3_u32 v41, v42, v41, s21
                                        ; implicit-def: $vgpr42
; %bb.338:                              ;   in Loop: Header=BB161_51 Depth=1
	s_andn2_saveexec_b64 s[0:1], s[0:1]
; %bb.339:                              ;   in Loop: Header=BB161_51 Depth=1
	v_or_b32_e32 v41, 0x10000, v42
	v_cmp_eq_u32_sdwa vcc, v42, v26 src0_sel:WORD_0 src1_sel:DWORD
	v_cndmask_b32_e32 v41, v41, v42, vcc
; %bb.340:                              ;   in Loop: Header=BB161_51 Depth=1
	s_or_b64 exec, exec, s[0:1]
	v_lshlrev_b32_e32 v4, 16, v4
	v_mul_f32_e32 v42, v55, v4
	v_and_b32_e32 v4, 0x7f800000, v42
	v_cmp_ne_u32_e32 vcc, s20, v4
                                        ; implicit-def: $vgpr4
	s_and_saveexec_b64 s[0:1], vcc
	s_xor_b64 s[0:1], exec, s[0:1]
; %bb.341:                              ;   in Loop: Header=BB161_51 Depth=1
	v_bfe_u32 v4, v42, 16, 1
	v_add3_u32 v4, v42, v4, s21
                                        ; implicit-def: $vgpr42
; %bb.342:                              ;   in Loop: Header=BB161_51 Depth=1
	s_andn2_saveexec_b64 s[0:1], s[0:1]
; %bb.343:                              ;   in Loop: Header=BB161_51 Depth=1
	v_or_b32_e32 v4, 0x10000, v42
	v_cmp_eq_u32_sdwa vcc, v42, v26 src0_sel:WORD_0 src1_sel:DWORD
	v_cndmask_b32_e32 v4, v4, v42, vcc
; %bb.344:                              ;   in Loop: Header=BB161_51 Depth=1
	s_or_b64 exec, exec, s[0:1]
	v_lshlrev_b32_e32 v42, 16, v49
	v_mul_f32_e32 v43, v56, v42
	v_and_b32_e32 v42, 0x7f800000, v43
	v_cmp_ne_u32_e32 vcc, s20, v42
                                        ; implicit-def: $vgpr42
	s_and_saveexec_b64 s[0:1], vcc
	s_xor_b64 s[0:1], exec, s[0:1]
; %bb.345:                              ;   in Loop: Header=BB161_51 Depth=1
	v_bfe_u32 v42, v43, 16, 1
	v_add3_u32 v42, v43, v42, s21
                                        ; implicit-def: $vgpr43
; %bb.346:                              ;   in Loop: Header=BB161_51 Depth=1
	s_andn2_saveexec_b64 s[0:1], s[0:1]
; %bb.347:                              ;   in Loop: Header=BB161_51 Depth=1
	v_or_b32_e32 v42, 0x10000, v43
	v_cmp_eq_u32_sdwa vcc, v43, v26 src0_sel:WORD_0 src1_sel:DWORD
	v_cndmask_b32_e32 v42, v42, v43, vcc
; %bb.348:                              ;   in Loop: Header=BB161_51 Depth=1
	s_or_b64 exec, exec, s[0:1]
	v_lshlrev_b32_e32 v5, 16, v5
	v_mul_f32_e32 v43, v57, v5
	v_and_b32_e32 v5, 0x7f800000, v43
	v_cmp_ne_u32_e32 vcc, s20, v5
                                        ; implicit-def: $vgpr5
	s_and_saveexec_b64 s[0:1], vcc
	s_xor_b64 s[0:1], exec, s[0:1]
; %bb.349:                              ;   in Loop: Header=BB161_51 Depth=1
	v_bfe_u32 v5, v43, 16, 1
	v_add3_u32 v5, v43, v5, s21
                                        ; implicit-def: $vgpr43
; %bb.350:                              ;   in Loop: Header=BB161_51 Depth=1
	s_andn2_saveexec_b64 s[0:1], s[0:1]
; %bb.351:                              ;   in Loop: Header=BB161_51 Depth=1
	v_or_b32_e32 v5, 0x10000, v43
	v_cmp_eq_u32_sdwa vcc, v43, v26 src0_sel:WORD_0 src1_sel:DWORD
	v_cndmask_b32_e32 v5, v5, v43, vcc
; %bb.352:                              ;   in Loop: Header=BB161_51 Depth=1
	s_or_b64 exec, exec, s[0:1]
	v_lshlrev_b32_e32 v43, 16, v48
	v_mul_f32_e32 v44, v58, v43
	v_and_b32_e32 v43, 0x7f800000, v44
	v_cmp_ne_u32_e32 vcc, s20, v43
                                        ; implicit-def: $vgpr43
	s_and_saveexec_b64 s[0:1], vcc
	s_xor_b64 s[0:1], exec, s[0:1]
; %bb.353:                              ;   in Loop: Header=BB161_51 Depth=1
	v_bfe_u32 v43, v44, 16, 1
	v_add3_u32 v43, v44, v43, s21
                                        ; implicit-def: $vgpr44
; %bb.354:                              ;   in Loop: Header=BB161_51 Depth=1
	s_andn2_saveexec_b64 s[0:1], s[0:1]
	s_cbranch_execz .LBB161_49
; %bb.355:                              ;   in Loop: Header=BB161_51 Depth=1
	v_or_b32_e32 v43, 0x10000, v44
	v_cmp_eq_u32_sdwa vcc, v44, v26 src0_sel:WORD_0 src1_sel:DWORD
	v_cndmask_b32_e32 v43, v43, v44, vcc
	s_branch .LBB161_49
.LBB161_356:
	s_or_b64 exec, exec, s[4:5]
.LBB161_357:
	s_or_b64 exec, exec, s[2:3]
	ds_bpermute_b32 v2, v23, v18
	ds_bpermute_b32 v3, v23, v19
	;; [unrolled: 1-line block ×8, first 2 shown]
	v_and_b32_e32 v1, 0x3c1, v0
	s_waitcnt lgkmcnt(6)
	v_pk_add_f32 v[8:9], v[18:19], v[2:3]
	s_waitcnt lgkmcnt(4)
	v_pk_add_f32 v[4:5], v[16:17], v[4:5]
	;; [unrolled: 2-line block ×4, first 2 shown]
	v_cmp_eq_u32_e32 vcc, 64, v1
	s_barrier
	s_and_saveexec_b64 s[0:1], vcc
	s_cbranch_execz .LBB161_359
; %bb.358:
	v_mov_b32_e32 v1, 0x210
	v_lshl_add_u32 v1, v22, 1, v1
	ds_write2_b32 v1, v8, v9 offset1:32
	ds_write2_b32 v1, v4, v5 offset0:64 offset1:96
	ds_write2_b32 v1, v2, v3 offset0:128 offset1:160
	;; [unrolled: 1-line block ×3, first 2 shown]
.LBB161_359:
	s_or_b64 exec, exec, s[0:1]
	v_cmp_gt_u32_e32 vcc, 64, v0
	s_waitcnt lgkmcnt(0)
	s_barrier
	s_and_saveexec_b64 s[2:3], vcc
	s_cbranch_execz .LBB161_370
; %bb.360:
	v_cmp_eq_u32_e64 s[0:1], 0, v24
	v_lshrrev_b32_e32 v1, 1, v0
	s_and_saveexec_b64 s[4:5], s[0:1]
	s_cbranch_execnz .LBB161_406
; %bb.361:
	s_or_b64 exec, exec, s[4:5]
	s_and_saveexec_b64 s[4:5], s[0:1]
	s_cbranch_execnz .LBB161_407
.LBB161_362:
	s_or_b64 exec, exec, s[4:5]
	s_and_saveexec_b64 s[4:5], s[0:1]
	s_cbranch_execnz .LBB161_408
.LBB161_363:
	s_or_b64 exec, exec, s[4:5]
	s_and_saveexec_b64 s[4:5], s[0:1]
	s_cbranch_execnz .LBB161_409
.LBB161_364:
	s_or_b64 exec, exec, s[4:5]
	s_and_saveexec_b64 s[4:5], s[0:1]
	s_cbranch_execnz .LBB161_410
.LBB161_365:
	s_or_b64 exec, exec, s[4:5]
	s_and_saveexec_b64 s[4:5], s[0:1]
	s_cbranch_execnz .LBB161_411
.LBB161_366:
	s_or_b64 exec, exec, s[4:5]
	s_and_saveexec_b64 s[4:5], s[0:1]
	s_cbranch_execnz .LBB161_412
.LBB161_367:
	s_or_b64 exec, exec, s[4:5]
	s_and_saveexec_b64 s[4:5], s[0:1]
	s_cbranch_execz .LBB161_369
.LBB161_368:
	v_mov_b32_e32 v10, 0x210
	v_lshl_add_u32 v1, v1, 2, v10
	ds_read_b32 v1, v1 offset:896
	s_waitcnt lgkmcnt(0)
	v_add_f32_e32 v7, v7, v1
.LBB161_369:
	s_or_b64 exec, exec, s[4:5]
.LBB161_370:
	s_or_b64 exec, exec, s[2:3]
	s_barrier
	s_and_saveexec_b64 s[0:1], vcc
	s_cbranch_execz .LBB161_405
; %bb.371:
	v_cmp_eq_u32_e32 vcc, 0, v24
	s_and_b64 exec, exec, vcc
	s_cbranch_execz .LBB161_405
; %bb.372:
	s_mov_b32 s0, 0x7f800000
	v_and_b32_e32 v1, 0x7f800000, v8
	v_cmp_ne_u32_e32 vcc, s0, v1
                                        ; implicit-def: $vgpr1
	s_and_saveexec_b64 s[0:1], vcc
	s_xor_b64 s[0:1], exec, s[0:1]
; %bb.373:
	v_bfe_u32 v1, v8, 16, 1
	s_movk_i32 s2, 0x7fff
	v_add3_u32 v1, v8, v1, s2
; %bb.374:
	s_andn2_saveexec_b64 s[0:1], s[0:1]
; %bb.375:
	v_mov_b32_e32 v1, 0
	v_or_b32_e32 v10, 0x10000, v8
	v_cmp_eq_u32_sdwa vcc, v8, v1 src0_sel:WORD_0 src1_sel:DWORD
	v_cndmask_b32_e32 v1, v10, v8, vcc
; %bb.376:
	s_or_b64 exec, exec, s[0:1]
	s_mul_i32 s0, s12, s24
	s_mul_i32 s0, s0, s25
	s_lshl_b32 s0, s0, 8
	s_ashr_i32 s1, s0, 31
	s_lshl_b64 s[0:1], s[0:1], 1
	s_add_u32 s2, s28, s0
	s_mul_i32 s0, s12, s26
	s_addc_u32 s3, s29, s1
	s_ashr_i32 s1, s0, 31
	s_lshl_b64 s[0:1], s[0:1], 1
	s_add_u32 s2, s2, s0
	s_addc_u32 s3, s3, s1
	s_lshl_b32 s0, s8, 8
	s_ashr_i32 s1, s0, 31
	s_lshl_b64 s[0:1], s[0:1], 1
	s_add_u32 s0, s2, s0
	s_addc_u32 s1, s3, s1
	v_and_b32_e32 v0, 0x3fe, v0
	v_mov_b32_e32 v8, s1
	v_add_co_u32_e32 v10, vcc, s0, v0
	v_addc_co_u32_e32 v11, vcc, 0, v8, vcc
	global_store_short_d16_hi v0, v1, s[0:1]
	s_mov_b32 s0, 0x7f800000
	v_and_b32_e32 v0, 0x7f800000, v9
	v_cmp_ne_u32_e32 vcc, s0, v0
                                        ; implicit-def: $vgpr0
	s_and_saveexec_b64 s[0:1], vcc
	s_xor_b64 s[0:1], exec, s[0:1]
; %bb.377:
	v_bfe_u32 v0, v9, 16, 1
	s_movk_i32 s2, 0x7fff
	v_add3_u32 v0, v9, v0, s2
; %bb.378:
	s_andn2_saveexec_b64 s[0:1], s[0:1]
; %bb.379:
	v_mov_b32_e32 v0, 0
	v_or_b32_e32 v1, 0x10000, v9
	v_cmp_eq_u32_sdwa vcc, v9, v0 src0_sel:WORD_0 src1_sel:DWORD
	v_cndmask_b32_e32 v0, v1, v9, vcc
; %bb.380:
	s_or_b64 exec, exec, s[0:1]
	global_store_short_d16_hi v[10:11], v0, off offset:64
	s_mov_b32 s0, 0x7f800000
	v_and_b32_e32 v0, 0x7f800000, v4
	v_cmp_ne_u32_e32 vcc, s0, v0
                                        ; implicit-def: $vgpr0
	s_and_saveexec_b64 s[0:1], vcc
	s_xor_b64 s[0:1], exec, s[0:1]
; %bb.381:
	v_bfe_u32 v0, v4, 16, 1
	s_movk_i32 s2, 0x7fff
	v_add3_u32 v0, v4, v0, s2
; %bb.382:
	s_andn2_saveexec_b64 s[0:1], s[0:1]
; %bb.383:
	v_mov_b32_e32 v0, 0
	v_or_b32_e32 v1, 0x10000, v4
	v_cmp_eq_u32_sdwa vcc, v4, v0 src0_sel:WORD_0 src1_sel:DWORD
	v_cndmask_b32_e32 v0, v1, v4, vcc
; %bb.384:
	s_or_b64 exec, exec, s[0:1]
	global_store_short_d16_hi v[10:11], v0, off offset:128
	;; [unrolled: 20-line block ×6, first 2 shown]
	s_mov_b32 s0, 0x7f800000
	v_and_b32_e32 v0, 0x7f800000, v7
	v_cmp_ne_u32_e32 vcc, s0, v0
                                        ; implicit-def: $vgpr8
	s_and_saveexec_b64 s[0:1], vcc
	s_xor_b64 s[0:1], exec, s[0:1]
; %bb.401:
	v_bfe_u32 v0, v7, 16, 1
	s_movk_i32 s2, 0x7fff
	v_add3_u32 v8, v7, v0, s2
                                        ; implicit-def: $vgpr0_vgpr1_vgpr2_vgpr3_vgpr4_vgpr5_vgpr6_vgpr7
; %bb.402:
	s_andn2_saveexec_b64 s[0:1], s[0:1]
; %bb.403:
	v_mov_b32_e32 v0, 0
	v_or_b32_e32 v1, 0x10000, v7
	v_cmp_eq_u32_sdwa vcc, v7, v0 src0_sel:WORD_0 src1_sel:DWORD
	v_cndmask_b32_e32 v8, v1, v7, vcc
; %bb.404:
	s_or_b64 exec, exec, s[0:1]
	global_store_short_d16_hi v[10:11], v8, off offset:448
.LBB161_405:
	s_endpgm
.LBB161_406:
	v_mov_b32_e32 v10, 0x210
	v_lshl_add_u32 v10, v1, 2, v10
	ds_read_b32 v10, v10
	s_waitcnt lgkmcnt(0)
	v_add_f32_e32 v8, v8, v10
	s_or_b64 exec, exec, s[4:5]
	s_and_saveexec_b64 s[4:5], s[0:1]
	s_cbranch_execz .LBB161_362
.LBB161_407:
	v_mov_b32_e32 v10, 0x210
	v_lshl_add_u32 v10, v1, 2, v10
	ds_read_b32 v10, v10 offset:128
	s_waitcnt lgkmcnt(0)
	v_add_f32_e32 v9, v9, v10
	s_or_b64 exec, exec, s[4:5]
	s_and_saveexec_b64 s[4:5], s[0:1]
	s_cbranch_execz .LBB161_363
.LBB161_408:
	v_mov_b32_e32 v10, 0x210
	v_lshl_add_u32 v10, v1, 2, v10
	ds_read_b32 v10, v10 offset:256
	s_waitcnt lgkmcnt(0)
	v_add_f32_e32 v4, v4, v10
	s_or_b64 exec, exec, s[4:5]
	s_and_saveexec_b64 s[4:5], s[0:1]
	s_cbranch_execz .LBB161_364
.LBB161_409:
	v_mov_b32_e32 v10, 0x210
	v_lshl_add_u32 v10, v1, 2, v10
	ds_read_b32 v10, v10 offset:384
	s_waitcnt lgkmcnt(0)
	v_add_f32_e32 v5, v5, v10
	s_or_b64 exec, exec, s[4:5]
	s_and_saveexec_b64 s[4:5], s[0:1]
	s_cbranch_execz .LBB161_365
.LBB161_410:
	v_mov_b32_e32 v10, 0x210
	v_lshl_add_u32 v10, v1, 2, v10
	ds_read_b32 v10, v10 offset:512
	s_waitcnt lgkmcnt(0)
	v_add_f32_e32 v2, v2, v10
	s_or_b64 exec, exec, s[4:5]
	s_and_saveexec_b64 s[4:5], s[0:1]
	s_cbranch_execz .LBB161_366
.LBB161_411:
	v_mov_b32_e32 v10, 0x210
	v_lshl_add_u32 v10, v1, 2, v10
	ds_read_b32 v10, v10 offset:640
	s_waitcnt lgkmcnt(0)
	v_add_f32_e32 v3, v3, v10
	s_or_b64 exec, exec, s[4:5]
	s_and_saveexec_b64 s[4:5], s[0:1]
	s_cbranch_execz .LBB161_367
.LBB161_412:
	v_mov_b32_e32 v10, 0x210
	v_lshl_add_u32 v10, v1, 2, v10
	ds_read_b32 v10, v10 offset:768
	s_waitcnt lgkmcnt(0)
	v_add_f32_e32 v6, v6, v10
	s_or_b64 exec, exec, s[4:5]
	s_and_saveexec_b64 s[4:5], s[0:1]
	s_cbranch_execnz .LBB161_368
	s_branch .LBB161_369
	.section	.rodata,"a",@progbits
	.p2align	6, 0x0
	.amdhsa_kernel _ZN4vllm25paged_attention_v2_kernelI14__hip_bfloat16S1_Li256ELi16ELi128ELNS_18Fp8KVCacheDataTypeE0ELb1ELi512EEEvPfS3_PT_PKS4_PKT0_SA_ifPKiSC_iPKfiiiSE_SE_iiiii
		.amdhsa_group_segment_fixed_size 528
		.amdhsa_private_segment_fixed_size 0
		.amdhsa_kernarg_size 400
		.amdhsa_user_sgpr_count 6
		.amdhsa_user_sgpr_private_segment_buffer 1
		.amdhsa_user_sgpr_dispatch_ptr 0
		.amdhsa_user_sgpr_queue_ptr 0
		.amdhsa_user_sgpr_kernarg_segment_ptr 1
		.amdhsa_user_sgpr_dispatch_id 0
		.amdhsa_user_sgpr_flat_scratch_init 0
		.amdhsa_user_sgpr_kernarg_preload_length 0
		.amdhsa_user_sgpr_kernarg_preload_offset 0
		.amdhsa_user_sgpr_private_segment_size 0
		.amdhsa_uses_dynamic_stack 0
		.amdhsa_system_sgpr_private_segment_wavefront_offset 0
		.amdhsa_system_sgpr_workgroup_id_x 1
		.amdhsa_system_sgpr_workgroup_id_y 1
		.amdhsa_system_sgpr_workgroup_id_z 1
		.amdhsa_system_sgpr_workgroup_info 0
		.amdhsa_system_vgpr_workitem_id 0
		.amdhsa_next_free_vgpr 105
		.amdhsa_next_free_sgpr 53
		.amdhsa_accum_offset 108
		.amdhsa_reserve_vcc 1
		.amdhsa_reserve_flat_scratch 0
		.amdhsa_float_round_mode_32 0
		.amdhsa_float_round_mode_16_64 0
		.amdhsa_float_denorm_mode_32 3
		.amdhsa_float_denorm_mode_16_64 3
		.amdhsa_dx10_clamp 1
		.amdhsa_ieee_mode 1
		.amdhsa_fp16_overflow 0
		.amdhsa_tg_split 0
		.amdhsa_exception_fp_ieee_invalid_op 0
		.amdhsa_exception_fp_denorm_src 0
		.amdhsa_exception_fp_ieee_div_zero 0
		.amdhsa_exception_fp_ieee_overflow 0
		.amdhsa_exception_fp_ieee_underflow 0
		.amdhsa_exception_fp_ieee_inexact 0
		.amdhsa_exception_int_div_zero 0
	.end_amdhsa_kernel
	.section	.text._ZN4vllm25paged_attention_v2_kernelI14__hip_bfloat16S1_Li256ELi16ELi128ELNS_18Fp8KVCacheDataTypeE0ELb1ELi512EEEvPfS3_PT_PKS4_PKT0_SA_ifPKiSC_iPKfiiiSE_SE_iiiii,"axG",@progbits,_ZN4vllm25paged_attention_v2_kernelI14__hip_bfloat16S1_Li256ELi16ELi128ELNS_18Fp8KVCacheDataTypeE0ELb1ELi512EEEvPfS3_PT_PKS4_PKT0_SA_ifPKiSC_iPKfiiiSE_SE_iiiii,comdat
.Lfunc_end161:
	.size	_ZN4vllm25paged_attention_v2_kernelI14__hip_bfloat16S1_Li256ELi16ELi128ELNS_18Fp8KVCacheDataTypeE0ELb1ELi512EEEvPfS3_PT_PKS4_PKT0_SA_ifPKiSC_iPKfiiiSE_SE_iiiii, .Lfunc_end161-_ZN4vllm25paged_attention_v2_kernelI14__hip_bfloat16S1_Li256ELi16ELi128ELNS_18Fp8KVCacheDataTypeE0ELb1ELi512EEEvPfS3_PT_PKS4_PKT0_SA_ifPKiSC_iPKfiiiSE_SE_iiiii
                                        ; -- End function
	.section	.AMDGPU.csdata,"",@progbits
; Kernel info:
; codeLenInByte = 14432
; NumSgprs: 57
; NumVgprs: 105
; NumAgprs: 0
; TotalNumVgprs: 105
; ScratchSize: 0
; MemoryBound: 0
; FloatMode: 240
; IeeeMode: 1
; LDSByteSize: 528 bytes/workgroup (compile time only)
; SGPRBlocks: 7
; VGPRBlocks: 13
; NumSGPRsForWavesPerEU: 57
; NumVGPRsForWavesPerEU: 105
; AccumOffset: 108
; Occupancy: 4
; WaveLimiterHint : 1
; COMPUTE_PGM_RSRC2:SCRATCH_EN: 0
; COMPUTE_PGM_RSRC2:USER_SGPR: 6
; COMPUTE_PGM_RSRC2:TRAP_HANDLER: 0
; COMPUTE_PGM_RSRC2:TGID_X_EN: 1
; COMPUTE_PGM_RSRC2:TGID_Y_EN: 1
; COMPUTE_PGM_RSRC2:TGID_Z_EN: 1
; COMPUTE_PGM_RSRC2:TIDIG_COMP_CNT: 0
; COMPUTE_PGM_RSRC3_GFX90A:ACCUM_OFFSET: 26
; COMPUTE_PGM_RSRC3_GFX90A:TG_SPLIT: 0
	.section	.text._ZN4vllm25paged_attention_v2_kernelI14__hip_bfloat16S1_Li32ELi16ELi128ELNS_18Fp8KVCacheDataTypeE0ELb0ELi512EEEvPfS3_PT_PKS4_PKT0_SA_ifPKiSC_iPKfiiiSE_SE_iiiii,"axG",@progbits,_ZN4vllm25paged_attention_v2_kernelI14__hip_bfloat16S1_Li32ELi16ELi128ELNS_18Fp8KVCacheDataTypeE0ELb0ELi512EEEvPfS3_PT_PKS4_PKT0_SA_ifPKiSC_iPKfiiiSE_SE_iiiii,comdat
	.protected	_ZN4vllm25paged_attention_v2_kernelI14__hip_bfloat16S1_Li32ELi16ELi128ELNS_18Fp8KVCacheDataTypeE0ELb0ELi512EEEvPfS3_PT_PKS4_PKT0_SA_ifPKiSC_iPKfiiiSE_SE_iiiii ; -- Begin function _ZN4vllm25paged_attention_v2_kernelI14__hip_bfloat16S1_Li32ELi16ELi128ELNS_18Fp8KVCacheDataTypeE0ELb0ELi512EEEvPfS3_PT_PKS4_PKT0_SA_ifPKiSC_iPKfiiiSE_SE_iiiii
	.globl	_ZN4vllm25paged_attention_v2_kernelI14__hip_bfloat16S1_Li32ELi16ELi128ELNS_18Fp8KVCacheDataTypeE0ELb0ELi512EEEvPfS3_PT_PKS4_PKT0_SA_ifPKiSC_iPKfiiiSE_SE_iiiii
	.p2align	8
	.type	_ZN4vllm25paged_attention_v2_kernelI14__hip_bfloat16S1_Li32ELi16ELi128ELNS_18Fp8KVCacheDataTypeE0ELb0ELi512EEEvPfS3_PT_PKS4_PKT0_SA_ifPKiSC_iPKfiiiSE_SE_iiiii,@function
_ZN4vllm25paged_attention_v2_kernelI14__hip_bfloat16S1_Li32ELi16ELi128ELNS_18Fp8KVCacheDataTypeE0ELb0ELi512EEEvPfS3_PT_PKS4_PKT0_SA_ifPKiSC_iPKfiiiSE_SE_iiiii: ; @_ZN4vllm25paged_attention_v2_kernelI14__hip_bfloat16S1_Li32ELi16ELi128ELNS_18Fp8KVCacheDataTypeE0ELb0ELi512EEEvPfS3_PT_PKS4_PKT0_SA_ifPKiSC_iPKfiiiSE_SE_iiiii
; %bb.0:
	s_load_dwordx2 s[0:1], s[4:5], 0x40
	s_mov_b32 s24, s7
	s_ashr_i32 s25, s7, 31
	s_lshl_b64 s[2:3], s[24:25], 2
	s_waitcnt lgkmcnt(0)
	s_add_u32 s0, s0, s2
	s_addc_u32 s1, s1, s3
	s_load_dword s25, s[0:1], 0x0
	s_lshl_b32 s40, s8, 9
	s_waitcnt lgkmcnt(0)
	s_cmp_ge_i32 s40, s25
	s_cbranch_scc1 .LBB162_120
; %bb.1:
	s_load_dword s9, s[4:5], 0x90
	s_load_dwordx2 s[10:11], s[4:5], 0x30
	s_waitcnt lgkmcnt(0)
	s_abs_i32 s2, s9
	s_abs_i32 s0, s10
	v_cvt_f32_u32_e32 v1, s0
	s_sub_i32 s3, 0, s0
	s_xor_b32 s1, s9, s10
	s_ashr_i32 s1, s1, 31
	v_rcp_iflag_f32_e32 v1, v1
	v_mul_f32_e32 v1, 0x4f7ffffe, v1
	v_cvt_u32_f32_e32 v1, v1
	v_readfirstlane_b32 s7, v1
	s_mul_i32 s3, s3, s7
	s_mul_hi_u32 s3, s7, s3
	s_add_i32 s7, s7, s3
	s_mul_hi_u32 s3, s2, s7
	s_mul_i32 s7, s3, s0
	s_sub_i32 s2, s2, s7
	s_add_i32 s10, s3, 1
	s_sub_i32 s7, s2, s0
	s_cmp_ge_u32 s2, s0
	s_cselect_b32 s3, s10, s3
	s_cselect_b32 s2, s7, s2
	s_add_i32 s7, s3, 1
	s_cmp_ge_u32 s2, s0
	s_cselect_b32 s0, s7, s3
	s_xor_b32 s0, s0, s1
	s_sub_i32 s18, s0, s1
	s_abs_i32 s2, s18
	v_cvt_f32_u32_e32 v1, s2
	s_load_dwordx2 s[0:1], s[4:5], 0x50
	s_sub_i32 s7, 0, s2
	s_abs_i32 s3, s6
	v_rcp_iflag_f32_e32 v1, v1
	s_mov_b32 s10, 0
	v_mul_f32_e32 v1, 0x4f7ffffe, v1
	v_cvt_u32_f32_e32 v1, v1
	v_readfirstlane_b32 s12, v1
	s_mul_i32 s7, s7, s12
	s_mul_hi_u32 s7, s12, s7
	s_add_i32 s12, s12, s7
	s_waitcnt lgkmcnt(0)
	s_cmp_eq_u64 s[0:1], 0
	s_mul_hi_u32 s16, s3, s12
	s_cbranch_scc1 .LBB162_3
; %bb.2:
	s_ashr_i32 s7, s6, 31
	s_lshl_b64 s[12:13], s[6:7], 2
	s_add_u32 s0, s0, s12
	s_addc_u32 s1, s1, s13
	s_load_dword s10, s[0:1], 0x0
.LBB162_3:
	s_load_dwordx4 s[12:15], s[4:5], 0x58
	s_ashr_i32 s17, s6, 31
	s_waitcnt lgkmcnt(0)
	s_ashr_i32 s15, s18, 31
	v_and_b32_e32 v2, 3, v0
	s_lshl_b32 s20, s6, 5
	v_cmp_gt_u32_e32 vcc, 16, v0
	s_and_saveexec_b64 s[0:1], vcc
	s_cbranch_execz .LBB162_5
; %bb.4:
	s_load_dwordx2 s[18:19], s[4:5], 0x18
	s_mul_i32 s22, s24, s12
	s_ashr_i32 s23, s22, 31
	s_lshl_b64 s[22:23], s[22:23], 1
	v_lshlrev_b32_e32 v1, 2, v0
	s_waitcnt lgkmcnt(0)
	s_add_u32 s7, s18, s22
	s_addc_u32 s12, s19, s23
	s_ashr_i32 s21, s20, 31
	s_lshl_b64 s[18:19], s[20:21], 1
	s_add_u32 s18, s7, s18
	s_addc_u32 s19, s12, s19
	global_load_dword v1, v1, s[18:19]
	v_and_b32_e32 v3, 0x3fc, v0
	v_lshl_add_u32 v3, v2, 4, v3
	s_waitcnt vmcnt(0)
	ds_write_b32 v3, v1
.LBB162_5:
	s_or_b64 exec, exec, s[0:1]
	s_add_i32 s0, s25, 15
	s_ashr_i32 s1, s0, 31
	s_lshr_b32 s1, s1, 28
	s_add_i32 s0, s0, s1
	s_lshl_b32 s12, s8, 5
	s_mul_i32 s1, s16, s2
	s_ashr_i32 s7, s0, 4
	s_add_i32 s0, s12, 32
	s_sub_i32 s1, s3, s1
	s_min_i32 s33, s0, s7
	s_xor_b32 s0, s17, s15
	s_add_i32 s3, s16, 1
	s_sub_i32 s15, s1, s2
	s_cmp_ge_u32 s1, s2
	s_cselect_b32 s3, s3, s16
	s_cselect_b32 s1, s15, s1
	s_add_i32 s15, s3, 1
	s_cmp_ge_u32 s1, s2
	s_load_dwordx2 s[26:27], s[4:5], 0x38
	s_load_dword s2, s[4:5], 0x48
	v_lshrrev_b32_e32 v4, 6, v0
	s_cselect_b32 s1, s15, s3
	s_xor_b32 s1, s1, s0
	v_or_b32_e32 v10, s12, v4
	s_waitcnt lgkmcnt(0)
	s_mul_i32 s28, s24, s2
	s_sub_i32 s15, s1, s0
	s_ashr_i32 s29, s28, 31
	v_cmp_gt_i32_e64 s[0:1], s33, v10
	v_cmp_le_i32_e32 vcc, s33, v10
	v_mbcnt_lo_u32_b32 v3, -1, 0
	s_barrier
	s_waitcnt lgkmcnt(0)
                                        ; implicit-def: $sgpr36
                                        ; implicit-def: $vgpr6
                                        ; implicit-def: $vgpr7
	s_and_saveexec_b64 s[2:3], vcc
	s_xor_b64 s[2:3], exec, s[2:3]
; %bb.6:
	v_mbcnt_hi_u32_b32 v6, -1, v3
	v_and_b32_e32 v1, 64, v6
	v_add_u32_e32 v7, 64, v1
	s_mov_b32 s36, 0xff7fffff
                                        ; implicit-def: $vgpr2
                                        ; implicit-def: $vgpr3
; %bb.7:
	s_or_saveexec_b64 s[34:35], s[2:3]
	s_load_dwordx4 s[16:19], s[4:5], 0x0
	s_load_dwordx2 s[22:23], s[4:5], 0x10
	s_load_dwordx2 s[30:31], s[4:5], 0x28
	s_load_dword s21, s[4:5], 0x98
	v_mov_b32_e32 v18, s36
	s_mul_i32 s14, s15, s14
	v_ashrrev_i32_e32 v11, 31, v10
	s_xor_b64 exec, exec, s[34:35]
	s_cbranch_execz .LBB162_13
; %bb.8:
	s_load_dwordx2 s[2:3], s[4:5], 0x20
	s_ashr_i32 s15, s14, 31
	s_lshl_b64 s[4:5], s[14:15], 1
	v_bfe_u32 v18, v0, 2, 4
	v_lshlrev_b32_e32 v1, 4, v18
	s_waitcnt lgkmcnt(0)
	s_add_u32 s2, s2, s4
	s_addc_u32 s3, s3, s5
	v_mov_b32_e32 v5, s3
	v_add_co_u32_e32 v1, vcc, s2, v1
	v_lshlrev_b32_e32 v6, 2, v0
	v_addc_co_u32_e32 v5, vcc, 0, v5, vcc
	v_and_b32_e32 v6, 12, v6
	v_add_co_u32_e32 v1, vcc, v1, v6
	v_mbcnt_hi_u32_b32 v6, -1, v3
	v_lshlrev_b32_e32 v7, 4, v2
	v_and_b32_e32 v3, 64, v6
	ds_read_b128 v[14:17], v7
	v_addc_co_u32_e32 v5, vcc, 0, v5, vcc
	v_add_u32_e32 v7, 64, v3
	v_xor_b32_e32 v3, 2, v6
	v_cmp_lt_i32_e32 vcc, v3, v7
	v_cndmask_b32_e32 v3, v6, v3, vcc
	v_lshlrev_b32_e32 v19, 2, v3
	v_xor_b32_e32 v3, 1, v6
	v_cmp_lt_i32_e32 vcc, v3, v7
	v_cndmask_b32_e32 v3, v6, v3, vcc
	v_cmp_eq_u32_e32 vcc, 0, v2
	v_lshlrev_b32_e32 v2, 4, v4
	s_sub_i32 s15, 1, s25
	v_add3_u32 v21, s40, v2, v18
	v_lshlrev_b32_e32 v2, 2, v18
	s_lshl_b64 s[4:5], s[28:29], 2
	v_lshl_or_b32 v2, v4, 6, v2
	s_add_u32 s4, s26, s4
	v_lshlrev_b32_e32 v20, 2, v3
	v_add_u32_e32 v22, 0x50, v2
	v_lshlrev_b64 v[2:3], 2, v[10:11]
	s_addc_u32 s5, s27, s5
	v_mov_b32_e32 v18, s5
	v_add_co_u32_e64 v2, s[4:5], s4, v2
	s_mov_b32 s41, s13
	s_waitcnt lgkmcnt(0)
	v_lshlrev_b32_e32 v8, 16, v14
	v_and_b32_e32 v9, 0xffff0000, v14
	v_lshlrev_b32_e32 v12, 16, v15
	v_and_b32_e32 v13, 0xffff0000, v15
	;; [unrolled: 2-line block ×4, first 2 shown]
	v_cmp_neq_f32_e64 s[2:3], s10, 0
	v_addc_co_u32_e64 v3, s[4:5], v18, v3, s[4:5]
	s_mov_b64 s[36:37], 0
	v_mov_b32_e32 v18, 0xff7fffff
	v_mov_b32_e32 v23, v10
	s_branch .LBB162_10
.LBB162_9:                              ;   in Loop: Header=BB162_10 Depth=1
	s_or_b64 exec, exec, s[38:39]
	v_add_u32_e32 v23, 2, v23
	v_cmp_le_i32_e64 s[4:5], s33, v23
	s_or_b64 s[36:37], s[4:5], s[36:37]
	v_add_co_u32_e64 v2, s[4:5], 8, v2
	v_add_u32_e32 v21, 32, v21
	v_add_u32_e32 v22, 0x80, v22
	v_addc_co_u32_e64 v3, s[4:5], 0, v3, s[4:5]
	s_andn2_b64 exec, exec, s[36:37]
	s_cbranch_execz .LBB162_12
.LBB162_10:                             ; =>This Inner Loop Header: Depth=1
	global_load_dword v24, v[2:3], off
	s_waitcnt vmcnt(0) lgkmcnt(0)
	v_mad_i64_i32 v[24:25], s[4:5], v24, s41, 0
	v_lshlrev_b64 v[24:25], 1, v[24:25]
	v_add_co_u32_e64 v24, s[4:5], v1, v24
	v_addc_co_u32_e64 v25, s[4:5], v5, v25, s[4:5]
	global_load_dword v26, v[24:25], off
	global_load_dword v27, v[24:25], off offset:256
	global_load_dword v28, v[24:25], off offset:512
	global_load_dword v29, v[24:25], off offset:768
	s_waitcnt vmcnt(3)
	v_lshlrev_b32_e32 v24, 16, v26
	v_and_b32_e32 v25, 0xffff0000, v26
	s_waitcnt vmcnt(2)
	v_lshlrev_b32_e32 v26, 16, v27
	v_and_b32_e32 v27, 0xffff0000, v27
	v_mul_f32_e32 v26, v12, v26
	v_mul_f32_e32 v27, v13, v27
	s_waitcnt vmcnt(1)
	v_lshlrev_b32_e32 v30, 16, v28
	v_and_b32_e32 v28, 0xffff0000, v28
	v_fmac_f32_e32 v26, v8, v24
	v_fmac_f32_e32 v27, v9, v25
	s_waitcnt vmcnt(0)
	v_lshlrev_b32_e32 v31, 16, v29
	v_and_b32_e32 v29, 0xffff0000, v29
	v_fmac_f32_e32 v26, v14, v30
	v_fmac_f32_e32 v27, v15, v28
	;; [unrolled: 1-line block ×4, first 2 shown]
	v_add_f32_e32 v24, v26, v27
	ds_bpermute_b32 v25, v19, v24
	s_waitcnt lgkmcnt(0)
	v_add_f32_e32 v24, v24, v25
	ds_bpermute_b32 v25, v20, v24
	s_and_saveexec_b64 s[38:39], vcc
	s_cbranch_execz .LBB162_9
; %bb.11:                               ;   in Loop: Header=BB162_10 Depth=1
	v_add_u32_e32 v26, s15, v21
	v_cvt_f32_i32_e32 v26, v26
	s_waitcnt lgkmcnt(0)
	v_add_f32_e32 v24, v24, v25
	v_cmp_gt_i32_e64 s[4:5], s25, v21
	v_max_f32_e32 v25, v18, v18
	v_mul_f32_e32 v26, s10, v26
	v_cndmask_b32_e64 v26, 0, v26, s[2:3]
	v_fmac_f32_e32 v26, s11, v24
	v_cndmask_b32_e64 v24, 0, v26, s[4:5]
	ds_write_b32 v22, v24
	v_max_f32_e32 v24, v25, v26
	v_cndmask_b32_e64 v18, v18, v24, s[4:5]
	s_branch .LBB162_9
.LBB162_12:
	s_or_b64 exec, exec, s[36:37]
.LBB162_13:
	s_or_b64 exec, exec, s[34:35]
	v_xor_b32_e32 v1, 32, v6
	v_cmp_lt_i32_e32 vcc, v1, v7
	v_cndmask_b32_e32 v1, v6, v1, vcc
	v_lshlrev_b32_e32 v2, 2, v1
	ds_bpermute_b32 v1, v2, v18
	v_xor_b32_e32 v5, 16, v6
	v_max_f32_e32 v3, v18, v18
	v_cmp_lt_i32_e32 vcc, v5, v7
	v_xor_b32_e32 v8, 8, v6
	s_waitcnt lgkmcnt(0)
	v_max_f32_e32 v1, v1, v1
	v_max_f32_e32 v1, v3, v1
	v_cndmask_b32_e32 v3, v6, v5, vcc
	v_lshlrev_b32_e32 v3, 2, v3
	ds_bpermute_b32 v5, v3, v1
	v_cmp_lt_i32_e32 vcc, v8, v7
	s_waitcnt lgkmcnt(0)
	v_max_f32_e32 v5, v5, v5
	v_max_f32_e32 v1, v1, v5
	v_cndmask_b32_e32 v5, v6, v8, vcc
	v_lshlrev_b32_e32 v12, 2, v5
	ds_bpermute_b32 v5, v12, v1
	v_xor_b32_e32 v8, 4, v6
	v_cmp_lt_i32_e32 vcc, v8, v7
	s_waitcnt lgkmcnt(0)
	v_max_f32_e32 v5, v5, v5
	v_max_f32_e32 v5, v1, v5
	v_cndmask_b32_e32 v1, v6, v8, vcc
	v_lshlrev_b32_e32 v13, 2, v1
	ds_bpermute_b32 v9, v13, v5
	v_and_b32_e32 v1, 63, v0
	v_cmp_eq_u32_e32 vcc, 0, v1
	v_lshlrev_b32_e32 v8, 2, v4
	s_and_saveexec_b64 s[2:3], vcc
	s_cbranch_execz .LBB162_15
; %bb.14:
	s_waitcnt lgkmcnt(0)
	v_max_f32_e32 v9, v9, v9
	v_max_f32_e32 v5, v5, v5
	;; [unrolled: 1-line block ×3, first 2 shown]
	ds_write_b32 v8, v5 offset:64
.LBB162_15:
	s_or_b64 exec, exec, s[2:3]
	v_cmp_gt_u32_e64 s[2:3], 2, v1
	v_mov_b32_e32 v5, 0xff7fffff
	s_waitcnt lgkmcnt(0)
	v_lshlrev_b32_e32 v9, 2, v1
	s_barrier
	s_and_saveexec_b64 s[4:5], s[2:3]
	s_cbranch_execz .LBB162_17
; %bb.16:
	ds_read_b32 v5, v9 offset:64
.LBB162_17:
	s_or_b64 exec, exec, s[4:5]
	v_xor_b32_e32 v14, 1, v6
	v_cmp_lt_i32_e64 s[4:5], v14, v7
	v_cndmask_b32_e64 v14, v6, v14, s[4:5]
	v_lshlrev_b32_e32 v14, 2, v14
	s_waitcnt lgkmcnt(0)
	ds_bpermute_b32 v15, v14, v5
	v_max_f32_e32 v5, v5, v5
	s_sub_i32 s4, s33, s12
	s_lshl_b32 s4, s4, 4
	s_add_i32 s4, s4, s40
	s_waitcnt lgkmcnt(0)
	v_max_f32_e32 v15, v15, v15
	v_max_f32_e32 v5, v5, v15
	v_lshlrev_b32_e32 v15, 2, v6
	v_and_b32_e32 v15, 0xffffff00, v15
	ds_bpermute_b32 v5, v15, v5
	s_min_i32 s38, s4, s25
	s_sub_i32 s15, s38, s40
	v_cmp_gt_i32_e64 s[4:5], s15, v0
	v_mov_b32_e32 v16, 0
	s_and_saveexec_b64 s[34:35], s[4:5]
	s_cbranch_execz .LBB162_21
; %bb.18:
	v_mov_b32_e32 v16, 0x50
	v_lshl_add_u32 v17, v0, 2, v16
	s_mov_b64 s[36:37], 0
	v_mov_b32_e32 v16, 0
	v_mov_b32_e32 v18, v0
.LBB162_19:                             ; =>This Inner Loop Header: Depth=1
	ds_read_b32 v19, v17
	v_add_u32_e32 v18, 0x80, v18
	v_cmp_le_i32_e64 s[10:11], s15, v18
	s_or_b64 s[36:37], s[10:11], s[36:37]
	s_waitcnt lgkmcnt(0)
	v_sub_f32_e32 v19, v19, v5
	v_mul_f32_e32 v19, 0x3fb8aa3b, v19
	v_exp_f32_e32 v19, v19
	ds_write_b32 v17, v19
	v_add_f32_e32 v16, v16, v19
	v_add_u32_e32 v17, 0x200, v17
	s_andn2_b64 exec, exec, s[36:37]
	s_cbranch_execnz .LBB162_19
; %bb.20:
	s_or_b64 exec, exec, s[36:37]
.LBB162_21:
	s_or_b64 exec, exec, s[34:35]
	ds_bpermute_b32 v2, v2, v16
	s_waitcnt lgkmcnt(0)
	v_add_f32_e32 v2, v16, v2
	ds_bpermute_b32 v3, v3, v2
	s_waitcnt lgkmcnt(0)
	v_add_f32_e32 v2, v2, v3
	ds_bpermute_b32 v3, v12, v2
	v_xor_b32_e32 v12, 2, v6
	v_cmp_lt_i32_e64 s[10:11], v12, v7
	v_cndmask_b32_e64 v6, v6, v12, s[10:11]
	s_waitcnt lgkmcnt(0)
	v_add_f32_e32 v2, v2, v3
	ds_bpermute_b32 v3, v13, v2
	s_waitcnt lgkmcnt(0)
	v_add_f32_e32 v2, v2, v3
	v_lshlrev_b32_e32 v3, 2, v6
	ds_bpermute_b32 v3, v3, v2
	s_waitcnt lgkmcnt(0)
	v_add_f32_e32 v2, v2, v3
	ds_bpermute_b32 v3, v14, v2
	s_waitcnt lgkmcnt(0)
	v_add_f32_e32 v2, v2, v3
	s_and_saveexec_b64 s[10:11], vcc
	s_cbranch_execz .LBB162_23
; %bb.22:
	ds_write_b32 v8, v2 offset:72
.LBB162_23:
	s_or_b64 exec, exec, s[10:11]
	s_waitcnt lgkmcnt(0)
	s_barrier
	s_and_saveexec_b64 s[10:11], s[2:3]
	s_cbranch_execz .LBB162_25
; %bb.24:
	ds_read_b32 v2, v9 offset:72
.LBB162_25:
	s_or_b64 exec, exec, s[10:11]
	s_waitcnt lgkmcnt(0)
	ds_bpermute_b32 v3, v14, v2
	s_waitcnt lgkmcnt(0)
	v_add_f32_e32 v2, v2, v3
	ds_bpermute_b32 v6, v15, v2
	s_and_saveexec_b64 s[2:3], s[4:5]
	s_cbranch_execz .LBB162_38
; %bb.26:
	s_waitcnt lgkmcnt(0)
	v_add_f32_e32 v2, 0x358637bd, v6
	v_div_scale_f32 v3, s[4:5], v2, v2, 1.0
	v_rcp_f32_e32 v7, v3
	v_div_scale_f32 v8, vcc, 1.0, v2, 1.0
	s_movk_i32 s4, 0x7f
	v_fma_f32 v9, -v3, v7, 1.0
	v_fmac_f32_e32 v7, v9, v7
	v_mul_f32_e32 v9, v8, v7
	v_fma_f32 v12, -v3, v9, v8
	v_fmac_f32_e32 v9, v12, v7
	v_fma_f32 v3, -v3, v9, v8
	v_div_fmas_f32 v3, v3, v7, v9
	v_div_fixup_f32 v2, v3, v2, 1.0
	v_xad_u32 v3, v0, -1, s38
	v_subrev_u32_e32 v7, s40, v3
	v_cmp_lt_u32_e32 vcc, s4, v7
	s_mov_b64 s[10:11], -1
	v_mov_b32_e32 v3, v0
	s_and_saveexec_b64 s[4:5], vcc
	s_cbranch_execz .LBB162_35
; %bb.27:
	v_lshrrev_b32_e32 v7, 7, v7
	v_add_u32_e32 v9, -1, v7
	v_lshrrev_b32_e32 v8, 1, v9
	v_mov_b32_e32 v3, v2
	v_add_u32_e32 v8, 1, v8
	v_cmp_lt_u32_e32 vcc, 13, v9
	v_mov_b32_e32 v13, 0
	s_and_saveexec_b64 s[10:11], vcc
	s_cbranch_execz .LBB162_31
; %bb.28:
	v_mov_b32_e32 v12, 0x50
	v_and_b32_e32 v9, -8, v8
	v_lshl_add_u32 v12, v0, 2, v12
	s_mov_b32 s36, 0
	s_mov_b64 s[34:35], 0
.LBB162_29:                             ; =>This Inner Loop Header: Depth=1
	ds_read2st64_b32 v[16:17], v12 offset1:2
	ds_read2st64_b32 v[18:19], v12 offset0:4 offset1:6
	ds_read2st64_b32 v[20:21], v12 offset0:8 offset1:10
	;; [unrolled: 1-line block ×3, first 2 shown]
	v_add_u32_e32 v9, -8, v9
	s_waitcnt lgkmcnt(3)
	v_pk_mul_f32 v[16:17], v[2:3], v[16:17]
	s_waitcnt lgkmcnt(2)
	v_pk_mul_f32 v[18:19], v[2:3], v[18:19]
	ds_write2st64_b32 v12, v16, v17 offset1:2
	ds_write2st64_b32 v12, v18, v19 offset0:4 offset1:6
	ds_read2st64_b32 v[18:19], v12 offset0:16 offset1:18
	s_waitcnt lgkmcnt(4)
	v_pk_mul_f32 v[16:17], v[2:3], v[20:21]
	ds_write2st64_b32 v12, v16, v17 offset0:8 offset1:10
	s_waitcnt lgkmcnt(4)
	v_pk_mul_f32 v[16:17], v[2:3], v[22:23]
	ds_write2st64_b32 v12, v16, v17 offset0:12 offset1:14
	ds_read2st64_b32 v[16:17], v12 offset0:20 offset1:22
	s_waitcnt lgkmcnt(3)
	v_pk_mul_f32 v[18:19], v[2:3], v[18:19]
	ds_read2st64_b32 v[20:21], v12 offset0:24 offset1:26
	ds_write2st64_b32 v12, v18, v19 offset0:16 offset1:18
	ds_read2st64_b32 v[18:19], v12 offset0:28 offset1:30
	s_waitcnt lgkmcnt(3)
	v_pk_mul_f32 v[16:17], v[2:3], v[16:17]
	ds_write2st64_b32 v12, v16, v17 offset0:20 offset1:22
	s_waitcnt lgkmcnt(3)
	v_pk_mul_f32 v[16:17], v[2:3], v[20:21]
	ds_write2st64_b32 v12, v16, v17 offset0:24 offset1:26
	s_waitcnt lgkmcnt(2)
	v_pk_mul_f32 v[16:17], v[2:3], v[18:19]
	s_add_i32 s36, s36, 16
	v_cmp_eq_u32_e32 vcc, 0, v9
	ds_write2st64_b32 v12, v16, v17 offset0:28 offset1:30
	v_add_u32_e32 v12, 0x2000, v12
	s_or_b64 s[34:35], vcc, s[34:35]
	v_mov_b32_e32 v13, s36
	s_andn2_b64 exec, exec, s[34:35]
	s_cbranch_execnz .LBB162_29
; %bb.30:
	s_or_b64 exec, exec, s[34:35]
.LBB162_31:
	s_or_b64 exec, exec, s[10:11]
	v_and_b32_e32 v8, 7, v8
	v_cmp_ne_u32_e32 vcc, 0, v8
	s_and_saveexec_b64 s[10:11], vcc
	s_cbranch_execz .LBB162_34
; %bb.32:
	v_lshlrev_b32_e32 v9, 9, v13
	v_lshlrev_b32_e32 v12, 2, v0
	s_movk_i32 s34, 0x50
	v_add3_u32 v9, v9, v12, s34
	s_mov_b64 s[34:35], 0
.LBB162_33:                             ; =>This Inner Loop Header: Depth=1
	ds_read2st64_b32 v[12:13], v9 offset1:2
	v_add_u32_e32 v8, -1, v8
	v_cmp_eq_u32_e32 vcc, 0, v8
	s_or_b64 s[34:35], vcc, s[34:35]
	s_waitcnt lgkmcnt(0)
	v_pk_mul_f32 v[12:13], v[2:3], v[12:13]
	ds_write2st64_b32 v9, v12, v13 offset1:2
	v_add_u32_e32 v9, 0x400, v9
	s_andn2_b64 exec, exec, s[34:35]
	s_cbranch_execnz .LBB162_33
.LBB162_34:
	s_or_b64 exec, exec, s[10:11]
	v_add_u32_e32 v7, 1, v7
	v_and_b32_e32 v8, 0x3fffffe, v7
	v_cmp_ne_u32_e32 vcc, v7, v8
	v_lshl_add_u32 v3, v8, 7, v0
	s_orn2_b64 s[10:11], vcc, exec
.LBB162_35:
	s_or_b64 exec, exec, s[4:5]
	s_and_b64 exec, exec, s[10:11]
	s_cbranch_execz .LBB162_38
; %bb.36:
	v_mov_b32_e32 v7, 0x50
	v_lshl_add_u32 v7, v3, 2, v7
	s_mov_b64 s[4:5], 0
.LBB162_37:                             ; =>This Inner Loop Header: Depth=1
	ds_read_b32 v8, v7
	v_add_u32_e32 v3, 0x80, v3
	v_cmp_le_i32_e32 vcc, s15, v3
	s_or_b64 s[4:5], vcc, s[4:5]
	s_waitcnt lgkmcnt(0)
	v_mul_f32_e32 v8, v2, v8
	ds_write_b32 v7, v8
	v_add_u32_e32 v7, 0x200, v7
	s_andn2_b64 exec, exec, s[4:5]
	s_cbranch_execnz .LBB162_37
.LBB162_38:
	s_or_b64 exec, exec, s[2:3]
	s_mul_i32 s2, s21, s24
	v_cmp_eq_u32_e32 vcc, 0, v0
	s_mul_i32 s2, s2, s9
	s_waitcnt lgkmcnt(0)
	s_barrier
	s_and_saveexec_b64 s[4:5], vcc
	s_cbranch_execz .LBB162_40
; %bb.39:
	s_ashr_i32 s3, s2, 31
	s_lshl_b64 s[10:11], s[2:3], 2
	s_add_u32 s3, s18, s10
	s_mul_i32 s18, s21, s6
	s_addc_u32 s9, s19, s11
	s_ashr_i32 s19, s18, 31
	s_lshl_b64 s[18:19], s[18:19], 2
	s_add_u32 s3, s3, s18
	s_addc_u32 s6, s9, s19
	s_ashr_i32 s9, s8, 31
	s_lshl_b64 s[8:9], s[8:9], 2
	s_add_u32 s34, s3, s8
	s_addc_u32 s35, s6, s9
	s_add_u32 s3, s16, s10
	s_addc_u32 s6, s17, s11
	s_add_u32 s3, s3, s18
	s_addc_u32 s6, s6, s19
	s_add_u32 s8, s3, s8
	v_mov_b32_e32 v2, 0
	s_addc_u32 s9, s6, s9
	global_store_dword v2, v5, s[34:35]
	global_store_dword v2, v6, s[8:9]
.LBB162_40:
	s_or_b64 exec, exec, s[4:5]
	v_mov_b32_e32 v19, 0
	s_and_saveexec_b64 s[4:5], s[0:1]
	s_cbranch_execz .LBB162_110
; %bb.41:
	s_ashr_i32 s15, s14, 31
	s_lshl_b64 s[0:1], s[14:15], 1
	v_lshlrev_b32_e32 v3, 4, v0
	v_lshlrev_b32_e32 v2, 3, v0
	s_add_u32 s0, s30, s0
	v_and_b32_e32 v3, 0x3f0, v3
	v_and_b32_e32 v2, 8, v2
	v_add_co_u32_e32 v16, vcc, s0, v3
	v_lshl_add_u32 v3, v4, 4, s40
	s_addc_u32 s1, s31, s1
	v_add3_u32 v18, v3, v2, 7
	v_and_b32_e32 v2, 1, v0
	v_mov_b32_e32 v5, s1
	s_add_i32 s8, s7, -1
	v_lshlrev_b32_e32 v2, 5, v2
	s_lshl_b64 s[0:1], s[28:29], 2
	v_lshl_or_b32 v2, v4, 6, v2
	s_add_u32 s0, s26, s0
	v_addc_co_u32_e32 v17, vcc, 0, v5, vcc
	v_add_u32_e32 v20, 0x50, v2
	v_lshlrev_b64 v[2:3], 2, v[10:11]
	s_addc_u32 s1, s27, s1
	v_mov_b32_e32 v4, s1
	v_add_co_u32_e32 v12, vcc, s0, v2
	s_mov_b32 s3, s13
	v_mov_b32_e32 v15, 0
	v_addc_co_u32_e32 v13, vcc, v4, v3, vcc
	s_mov_b64 s[0:1], 0
	s_mov_b32 s9, 0x7f800000
	s_movk_i32 s10, 0x7fff
	v_mov_b32_e32 v19, 0
	s_branch .LBB162_43
.LBB162_42:                             ;   in Loop: Header=BB162_43 Depth=1
	s_or_b64 exec, exec, s[6:7]
	v_and_b32_e32 v6, 0xffff0000, v8
	v_and_b32_e32 v9, 0xffff0000, v11
	;; [unrolled: 1-line block ×5, first 2 shown]
	v_pk_add_f32 v[2:3], v[2:3], v[8:9]
	v_and_b32_e32 v7, 0xffff0000, v7
	v_and_b32_e32 v5, 0xffff0000, v5
	;; [unrolled: 1-line block ×3, first 2 shown]
	v_mov_b32_e32 v8, v3
	v_pk_add_f32 v[2:3], v[2:3], v[8:9]
	v_pk_add_f32 v[4:5], v[4:5], v[6:7]
	v_add_u32_e32 v10, 2, v10
	v_pk_add_f32 v[2:3], v[2:3], v[4:5]
	v_mov_b32_e32 v4, v5
	v_cmp_le_i32_e32 vcc, s33, v10
	v_pk_add_f32 v[2:3], v[2:3], v[4:5]
	s_or_b64 s[0:1], vcc, s[0:1]
	v_add_co_u32_e32 v12, vcc, 8, v12
	v_add_f32_e32 v19, v19, v2
	v_add_u32_e32 v18, 32, v18
	v_add_u32_e32 v20, 0x80, v20
	v_addc_co_u32_e32 v13, vcc, 0, v13, vcc
	s_andn2_b64 exec, exec, s[0:1]
	s_cbranch_execz .LBB162_109
.LBB162_43:                             ; =>This Inner Loop Header: Depth=1
	global_load_dword v24, v[12:13], off
	ds_read2_b64 v[6:9], v20 offset1:1
	ds_read2_b64 v[2:5], v20 offset0:2 offset1:3
                                        ; implicit-def: $vgpr23
	s_waitcnt lgkmcnt(1)
	v_and_b32_e32 v11, 0x7f800000, v6
	v_cmp_ne_u32_e32 vcc, s9, v11
	s_and_saveexec_b64 s[6:7], vcc
	s_xor_b64 s[6:7], exec, s[6:7]
; %bb.44:                               ;   in Loop: Header=BB162_43 Depth=1
	v_bfe_u32 v11, v6, 16, 1
	v_add3_u32 v23, v6, v11, s10
; %bb.45:                               ;   in Loop: Header=BB162_43 Depth=1
	s_andn2_saveexec_b64 s[6:7], s[6:7]
; %bb.46:                               ;   in Loop: Header=BB162_43 Depth=1
	v_or_b32_e32 v11, 0x10000, v6
	v_cmp_eq_u32_sdwa vcc, v6, v15 src0_sel:WORD_0 src1_sel:DWORD
	v_cndmask_b32_e32 v23, v11, v6, vcc
; %bb.47:                               ;   in Loop: Header=BB162_43 Depth=1
	s_or_b64 exec, exec, s[6:7]
	v_and_b32_e32 v6, 0x7f800000, v7
	v_cmp_ne_u32_e32 vcc, s9, v6
                                        ; implicit-def: $vgpr22
	s_and_saveexec_b64 s[6:7], vcc
	s_xor_b64 s[6:7], exec, s[6:7]
; %bb.48:                               ;   in Loop: Header=BB162_43 Depth=1
	v_bfe_u32 v6, v7, 16, 1
	v_add3_u32 v22, v7, v6, s10
; %bb.49:                               ;   in Loop: Header=BB162_43 Depth=1
	s_andn2_saveexec_b64 s[6:7], s[6:7]
; %bb.50:                               ;   in Loop: Header=BB162_43 Depth=1
	v_or_b32_e32 v6, 0x10000, v7
	v_cmp_eq_u32_sdwa vcc, v7, v15 src0_sel:WORD_0 src1_sel:DWORD
	v_cndmask_b32_e32 v22, v6, v7, vcc
; %bb.51:                               ;   in Loop: Header=BB162_43 Depth=1
	s_or_b64 exec, exec, s[6:7]
	v_and_b32_e32 v6, 0x7f800000, v8
	v_cmp_ne_u32_e32 vcc, s9, v6
                                        ; implicit-def: $vgpr21
	s_and_saveexec_b64 s[6:7], vcc
	s_xor_b64 s[6:7], exec, s[6:7]
; %bb.52:                               ;   in Loop: Header=BB162_43 Depth=1
	v_bfe_u32 v6, v8, 16, 1
	v_add3_u32 v21, v8, v6, s10
; %bb.53:                               ;   in Loop: Header=BB162_43 Depth=1
	s_andn2_saveexec_b64 s[6:7], s[6:7]
; %bb.54:                               ;   in Loop: Header=BB162_43 Depth=1
	v_or_b32_e32 v6, 0x10000, v8
	v_cmp_eq_u32_sdwa vcc, v8, v15 src0_sel:WORD_0 src1_sel:DWORD
	v_cndmask_b32_e32 v21, v6, v8, vcc
; %bb.55:                               ;   in Loop: Header=BB162_43 Depth=1
	s_or_b64 exec, exec, s[6:7]
	v_and_b32_e32 v6, 0x7f800000, v9
	v_cmp_ne_u32_e32 vcc, s9, v6
                                        ; implicit-def: $vgpr11
	s_and_saveexec_b64 s[6:7], vcc
	s_xor_b64 s[6:7], exec, s[6:7]
; %bb.56:                               ;   in Loop: Header=BB162_43 Depth=1
	v_bfe_u32 v6, v9, 16, 1
	v_add3_u32 v11, v9, v6, s10
                                        ; implicit-def: $vgpr6_vgpr7_vgpr8_vgpr9
; %bb.57:                               ;   in Loop: Header=BB162_43 Depth=1
	s_andn2_saveexec_b64 s[6:7], s[6:7]
; %bb.58:                               ;   in Loop: Header=BB162_43 Depth=1
	v_or_b32_e32 v6, 0x10000, v9
	v_cmp_eq_u32_sdwa vcc, v9, v15 src0_sel:WORD_0 src1_sel:DWORD
	v_cndmask_b32_e32 v11, v6, v9, vcc
; %bb.59:                               ;   in Loop: Header=BB162_43 Depth=1
	s_or_b64 exec, exec, s[6:7]
	s_waitcnt lgkmcnt(0)
	v_and_b32_e32 v6, 0x7f800000, v2
	v_cmp_ne_u32_e32 vcc, s9, v6
                                        ; implicit-def: $vgpr9
	s_and_saveexec_b64 s[6:7], vcc
	s_xor_b64 s[6:7], exec, s[6:7]
; %bb.60:                               ;   in Loop: Header=BB162_43 Depth=1
	v_bfe_u32 v6, v2, 16, 1
	v_add3_u32 v9, v2, v6, s10
; %bb.61:                               ;   in Loop: Header=BB162_43 Depth=1
	s_andn2_saveexec_b64 s[6:7], s[6:7]
; %bb.62:                               ;   in Loop: Header=BB162_43 Depth=1
	v_or_b32_e32 v6, 0x10000, v2
	v_cmp_eq_u32_sdwa vcc, v2, v15 src0_sel:WORD_0 src1_sel:DWORD
	v_cndmask_b32_e32 v9, v6, v2, vcc
; %bb.63:                               ;   in Loop: Header=BB162_43 Depth=1
	s_or_b64 exec, exec, s[6:7]
	v_and_b32_e32 v2, 0x7f800000, v3
	v_cmp_ne_u32_e32 vcc, s9, v2
                                        ; implicit-def: $vgpr8
	s_and_saveexec_b64 s[6:7], vcc
	s_xor_b64 s[6:7], exec, s[6:7]
; %bb.64:                               ;   in Loop: Header=BB162_43 Depth=1
	v_bfe_u32 v2, v3, 16, 1
	v_add3_u32 v8, v3, v2, s10
; %bb.65:                               ;   in Loop: Header=BB162_43 Depth=1
	s_andn2_saveexec_b64 s[6:7], s[6:7]
; %bb.66:                               ;   in Loop: Header=BB162_43 Depth=1
	v_or_b32_e32 v2, 0x10000, v3
	v_cmp_eq_u32_sdwa vcc, v3, v15 src0_sel:WORD_0 src1_sel:DWORD
	v_cndmask_b32_e32 v8, v2, v3, vcc
; %bb.67:                               ;   in Loop: Header=BB162_43 Depth=1
	s_or_b64 exec, exec, s[6:7]
	v_and_b32_e32 v2, 0x7f800000, v4
	v_cmp_ne_u32_e32 vcc, s9, v2
                                        ; implicit-def: $vgpr7
	s_and_saveexec_b64 s[6:7], vcc
	s_xor_b64 s[6:7], exec, s[6:7]
; %bb.68:                               ;   in Loop: Header=BB162_43 Depth=1
	v_bfe_u32 v2, v4, 16, 1
	v_add3_u32 v7, v4, v2, s10
; %bb.69:                               ;   in Loop: Header=BB162_43 Depth=1
	s_andn2_saveexec_b64 s[6:7], s[6:7]
; %bb.70:                               ;   in Loop: Header=BB162_43 Depth=1
	v_or_b32_e32 v2, 0x10000, v4
	v_cmp_eq_u32_sdwa vcc, v4, v15 src0_sel:WORD_0 src1_sel:DWORD
	v_cndmask_b32_e32 v7, v2, v4, vcc
; %bb.71:                               ;   in Loop: Header=BB162_43 Depth=1
	s_or_b64 exec, exec, s[6:7]
	v_and_b32_e32 v2, 0x7f800000, v5
	v_cmp_ne_u32_e32 vcc, s9, v2
                                        ; implicit-def: $vgpr6
	s_and_saveexec_b64 s[6:7], vcc
	s_xor_b64 s[6:7], exec, s[6:7]
; %bb.72:                               ;   in Loop: Header=BB162_43 Depth=1
	v_bfe_u32 v2, v5, 16, 1
	v_add3_u32 v6, v5, v2, s10
                                        ; implicit-def: $vgpr2_vgpr3_vgpr4_vgpr5
; %bb.73:                               ;   in Loop: Header=BB162_43 Depth=1
	s_andn2_saveexec_b64 s[6:7], s[6:7]
; %bb.74:                               ;   in Loop: Header=BB162_43 Depth=1
	v_or_b32_e32 v2, 0x10000, v5
	v_cmp_eq_u32_sdwa vcc, v5, v15 src0_sel:WORD_0 src1_sel:DWORD
	v_cndmask_b32_e32 v6, v2, v5, vcc
; %bb.75:                               ;   in Loop: Header=BB162_43 Depth=1
	s_or_b64 exec, exec, s[6:7]
	s_waitcnt vmcnt(0)
	v_mad_i64_i32 v[2:3], s[6:7], v24, s3, 0
	v_lshlrev_b64 v[2:3], 1, v[2:3]
	v_add_co_u32_e32 v2, vcc, v16, v2
	v_addc_co_u32_e32 v3, vcc, v17, v3, vcc
	global_load_dwordx4 v[2:5], v[2:3], off
	v_cmp_eq_u32_e32 vcc, s8, v10
	s_waitcnt vmcnt(0)
	v_lshrrev_b32_e32 v27, 16, v2
	v_lshrrev_b32_e32 v26, 16, v3
	;; [unrolled: 1-line block ×4, first 2 shown]
	s_and_saveexec_b64 s[6:7], vcc
	s_cbranch_execz .LBB162_77
; %bb.76:                               ;   in Loop: Header=BB162_43 Depth=1
	v_add_u32_e32 v28, -7, v18
	v_cmp_gt_i32_e32 vcc, s25, v28
	v_add_u32_e32 v28, -6, v18
	v_cndmask_b32_e32 v2, 0, v2, vcc
	v_cmp_gt_i32_e32 vcc, s25, v28
	v_add_u32_e32 v28, -5, v18
	v_cndmask_b32_e32 v27, 0, v27, vcc
	;; [unrolled: 3-line block ×6, first 2 shown]
	v_cmp_gt_i32_e32 vcc, s25, v28
	v_cndmask_b32_e32 v5, 0, v5, vcc
	v_cmp_gt_i32_e32 vcc, s25, v18
	v_cndmask_b32_e32 v24, 0, v24, vcc
.LBB162_77:                             ;   in Loop: Header=BB162_43 Depth=1
	s_or_b64 exec, exec, s[6:7]
	v_and_b32_e32 v23, 0xffff0000, v23
	v_lshlrev_b32_e32 v2, 16, v2
	v_mul_f32_e32 v23, v23, v2
	v_and_b32_e32 v2, 0x7f800000, v23
	v_cmp_ne_u32_e32 vcc, s9, v2
                                        ; implicit-def: $vgpr2
	s_and_saveexec_b64 s[6:7], vcc
	s_xor_b64 s[6:7], exec, s[6:7]
; %bb.78:                               ;   in Loop: Header=BB162_43 Depth=1
	v_bfe_u32 v2, v23, 16, 1
	v_add3_u32 v2, v23, v2, s10
                                        ; implicit-def: $vgpr23
; %bb.79:                               ;   in Loop: Header=BB162_43 Depth=1
	s_andn2_saveexec_b64 s[6:7], s[6:7]
; %bb.80:                               ;   in Loop: Header=BB162_43 Depth=1
	v_or_b32_e32 v2, 0x10000, v23
	v_cmp_eq_u32_sdwa vcc, v23, v15 src0_sel:WORD_0 src1_sel:DWORD
	v_cndmask_b32_e32 v2, v2, v23, vcc
; %bb.81:                               ;   in Loop: Header=BB162_43 Depth=1
	s_or_b64 exec, exec, s[6:7]
	v_and_b32_e32 v22, 0xffff0000, v22
	v_lshlrev_b32_e32 v23, 16, v27
	v_mul_f32_e32 v23, v22, v23
	v_and_b32_e32 v22, 0x7f800000, v23
	v_cmp_ne_u32_e32 vcc, s9, v22
                                        ; implicit-def: $vgpr22
	s_and_saveexec_b64 s[6:7], vcc
	s_xor_b64 s[6:7], exec, s[6:7]
; %bb.82:                               ;   in Loop: Header=BB162_43 Depth=1
	v_bfe_u32 v22, v23, 16, 1
	v_add3_u32 v22, v23, v22, s10
                                        ; implicit-def: $vgpr23
; %bb.83:                               ;   in Loop: Header=BB162_43 Depth=1
	s_andn2_saveexec_b64 s[6:7], s[6:7]
; %bb.84:                               ;   in Loop: Header=BB162_43 Depth=1
	v_or_b32_e32 v22, 0x10000, v23
	v_cmp_eq_u32_sdwa vcc, v23, v15 src0_sel:WORD_0 src1_sel:DWORD
	v_cndmask_b32_e32 v22, v22, v23, vcc
; %bb.85:                               ;   in Loop: Header=BB162_43 Depth=1
	s_or_b64 exec, exec, s[6:7]
	v_and_b32_e32 v21, 0xffff0000, v21
	v_lshlrev_b32_e32 v3, 16, v3
	v_mul_f32_e32 v21, v21, v3
	v_and_b32_e32 v3, 0x7f800000, v21
	v_cmp_ne_u32_e32 vcc, s9, v3
                                        ; implicit-def: $vgpr3
	s_and_saveexec_b64 s[6:7], vcc
	s_xor_b64 s[6:7], exec, s[6:7]
; %bb.86:                               ;   in Loop: Header=BB162_43 Depth=1
	v_bfe_u32 v3, v21, 16, 1
	v_add3_u32 v3, v21, v3, s10
                                        ; implicit-def: $vgpr21
; %bb.87:                               ;   in Loop: Header=BB162_43 Depth=1
	s_andn2_saveexec_b64 s[6:7], s[6:7]
; %bb.88:                               ;   in Loop: Header=BB162_43 Depth=1
	v_or_b32_e32 v3, 0x10000, v21
	v_cmp_eq_u32_sdwa vcc, v21, v15 src0_sel:WORD_0 src1_sel:DWORD
	v_cndmask_b32_e32 v3, v3, v21, vcc
; %bb.89:                               ;   in Loop: Header=BB162_43 Depth=1
	s_or_b64 exec, exec, s[6:7]
	v_and_b32_e32 v11, 0xffff0000, v11
	v_lshlrev_b32_e32 v21, 16, v26
	v_mul_f32_e32 v21, v11, v21
	v_and_b32_e32 v11, 0x7f800000, v21
	v_cmp_ne_u32_e32 vcc, s9, v11
                                        ; implicit-def: $vgpr11
	s_and_saveexec_b64 s[6:7], vcc
	s_xor_b64 s[6:7], exec, s[6:7]
; %bb.90:                               ;   in Loop: Header=BB162_43 Depth=1
	v_bfe_u32 v11, v21, 16, 1
	v_add3_u32 v11, v21, v11, s10
                                        ; implicit-def: $vgpr21
; %bb.91:                               ;   in Loop: Header=BB162_43 Depth=1
	s_andn2_saveexec_b64 s[6:7], s[6:7]
; %bb.92:                               ;   in Loop: Header=BB162_43 Depth=1
	v_or_b32_e32 v11, 0x10000, v21
	v_cmp_eq_u32_sdwa vcc, v21, v15 src0_sel:WORD_0 src1_sel:DWORD
	v_cndmask_b32_e32 v11, v11, v21, vcc
; %bb.93:                               ;   in Loop: Header=BB162_43 Depth=1
	s_or_b64 exec, exec, s[6:7]
	v_and_b32_e32 v9, 0xffff0000, v9
	v_lshlrev_b32_e32 v4, 16, v4
	v_mul_f32_e32 v9, v9, v4
	v_and_b32_e32 v4, 0x7f800000, v9
	v_cmp_ne_u32_e32 vcc, s9, v4
                                        ; implicit-def: $vgpr4
	s_and_saveexec_b64 s[6:7], vcc
	s_xor_b64 s[6:7], exec, s[6:7]
; %bb.94:                               ;   in Loop: Header=BB162_43 Depth=1
	v_bfe_u32 v4, v9, 16, 1
	v_add3_u32 v4, v9, v4, s10
                                        ; implicit-def: $vgpr9
; %bb.95:                               ;   in Loop: Header=BB162_43 Depth=1
	s_andn2_saveexec_b64 s[6:7], s[6:7]
; %bb.96:                               ;   in Loop: Header=BB162_43 Depth=1
	v_or_b32_e32 v4, 0x10000, v9
	v_cmp_eq_u32_sdwa vcc, v9, v15 src0_sel:WORD_0 src1_sel:DWORD
	v_cndmask_b32_e32 v4, v4, v9, vcc
; %bb.97:                               ;   in Loop: Header=BB162_43 Depth=1
	s_or_b64 exec, exec, s[6:7]
	v_and_b32_e32 v8, 0xffff0000, v8
	v_lshlrev_b32_e32 v9, 16, v25
	v_mul_f32_e32 v9, v8, v9
	v_and_b32_e32 v8, 0x7f800000, v9
	v_cmp_ne_u32_e32 vcc, s9, v8
                                        ; implicit-def: $vgpr8
	s_and_saveexec_b64 s[6:7], vcc
	s_xor_b64 s[6:7], exec, s[6:7]
; %bb.98:                               ;   in Loop: Header=BB162_43 Depth=1
	v_bfe_u32 v8, v9, 16, 1
	v_add3_u32 v8, v9, v8, s10
                                        ; implicit-def: $vgpr9
; %bb.99:                               ;   in Loop: Header=BB162_43 Depth=1
	s_andn2_saveexec_b64 s[6:7], s[6:7]
; %bb.100:                              ;   in Loop: Header=BB162_43 Depth=1
	v_or_b32_e32 v8, 0x10000, v9
	v_cmp_eq_u32_sdwa vcc, v9, v15 src0_sel:WORD_0 src1_sel:DWORD
	v_cndmask_b32_e32 v8, v8, v9, vcc
; %bb.101:                              ;   in Loop: Header=BB162_43 Depth=1
	s_or_b64 exec, exec, s[6:7]
	v_and_b32_e32 v7, 0xffff0000, v7
	v_lshlrev_b32_e32 v5, 16, v5
	v_mul_f32_e32 v7, v7, v5
	v_and_b32_e32 v5, 0x7f800000, v7
	v_cmp_ne_u32_e32 vcc, s9, v5
                                        ; implicit-def: $vgpr5
	s_and_saveexec_b64 s[6:7], vcc
	s_xor_b64 s[6:7], exec, s[6:7]
; %bb.102:                              ;   in Loop: Header=BB162_43 Depth=1
	v_bfe_u32 v5, v7, 16, 1
	v_add3_u32 v5, v7, v5, s10
                                        ; implicit-def: $vgpr7
; %bb.103:                              ;   in Loop: Header=BB162_43 Depth=1
	s_andn2_saveexec_b64 s[6:7], s[6:7]
; %bb.104:                              ;   in Loop: Header=BB162_43 Depth=1
	v_or_b32_e32 v5, 0x10000, v7
	v_cmp_eq_u32_sdwa vcc, v7, v15 src0_sel:WORD_0 src1_sel:DWORD
	v_cndmask_b32_e32 v5, v5, v7, vcc
; %bb.105:                              ;   in Loop: Header=BB162_43 Depth=1
	s_or_b64 exec, exec, s[6:7]
	v_and_b32_e32 v6, 0xffff0000, v6
	v_lshlrev_b32_e32 v7, 16, v24
	v_mul_f32_e32 v6, v6, v7
	v_and_b32_e32 v7, 0x7f800000, v6
	v_cmp_ne_u32_e32 vcc, s9, v7
                                        ; implicit-def: $vgpr7
	s_and_saveexec_b64 s[6:7], vcc
	s_xor_b64 s[6:7], exec, s[6:7]
; %bb.106:                              ;   in Loop: Header=BB162_43 Depth=1
	v_bfe_u32 v7, v6, 16, 1
	v_add3_u32 v7, v6, v7, s10
                                        ; implicit-def: $vgpr6
; %bb.107:                              ;   in Loop: Header=BB162_43 Depth=1
	s_andn2_saveexec_b64 s[6:7], s[6:7]
	s_cbranch_execz .LBB162_42
; %bb.108:                              ;   in Loop: Header=BB162_43 Depth=1
	v_or_b32_e32 v7, 0x10000, v6
	v_cmp_eq_u32_sdwa vcc, v6, v15 src0_sel:WORD_0 src1_sel:DWORD
	v_cndmask_b32_e32 v7, v7, v6, vcc
	s_branch .LBB162_42
.LBB162_109:
	s_or_b64 exec, exec, s[0:1]
.LBB162_110:
	s_or_b64 exec, exec, s[4:5]
	ds_bpermute_b32 v2, v14, v19
	v_and_b32_e32 v3, 0x3c1, v0
	v_cmp_eq_u32_e32 vcc, 64, v3
	s_waitcnt lgkmcnt(0)
	s_barrier
	v_add_f32_e32 v2, v19, v2
	s_and_saveexec_b64 s[0:1], vcc
	s_cbranch_execz .LBB162_112
; %bb.111:
	v_mov_b32_e32 v4, 0x50
	v_lshl_add_u32 v1, v1, 1, v4
	ds_write_b32 v1, v2
.LBB162_112:
	s_or_b64 exec, exec, s[0:1]
	v_cmp_eq_u32_e32 vcc, 0, v3
	s_waitcnt lgkmcnt(0)
	s_barrier
	s_and_saveexec_b64 s[0:1], vcc
	s_cbranch_execz .LBB162_114
; %bb.113:
	v_mov_b32_e32 v1, 0x50
	v_lshl_add_u32 v1, v0, 1, v1
	ds_read_b32 v1, v1
	s_waitcnt lgkmcnt(0)
	v_add_f32_e32 v2, v2, v1
.LBB162_114:
	s_or_b64 exec, exec, s[0:1]
	s_barrier
	s_and_saveexec_b64 s[0:1], vcc
	s_cbranch_execz .LBB162_120
; %bb.115:
	s_mov_b32 s0, 0x7f800000
	v_and_b32_e32 v1, 0x7f800000, v2
	v_cmp_ne_u32_e32 vcc, s0, v1
                                        ; implicit-def: $vgpr1
	s_and_saveexec_b64 s[0:1], vcc
	s_xor_b64 s[0:1], exec, s[0:1]
; %bb.116:
	v_bfe_u32 v1, v2, 16, 1
	s_movk_i32 s3, 0x7fff
	v_add3_u32 v1, v2, v1, s3
                                        ; implicit-def: $vgpr2
; %bb.117:
	s_andn2_saveexec_b64 s[0:1], s[0:1]
; %bb.118:
	v_mov_b32_e32 v1, 0
	v_or_b32_e32 v3, 0x10000, v2
	v_cmp_eq_u32_sdwa vcc, v2, v1 src0_sel:WORD_0 src1_sel:DWORD
	v_cndmask_b32_e32 v1, v3, v2, vcc
; %bb.119:
	s_or_b64 exec, exec, s[0:1]
	s_lshl_b32 s0, s2, 5
	s_ashr_i32 s1, s0, 31
	s_lshl_b64 s[0:1], s[0:1], 1
	s_add_u32 s2, s22, s0
	s_mul_i32 s0, s21, s20
	s_addc_u32 s3, s23, s1
	s_ashr_i32 s1, s0, 31
	s_lshl_b64 s[0:1], s[0:1], 1
	s_add_u32 s2, s2, s0
	s_addc_u32 s3, s3, s1
	s_ashr_i32 s13, s12, 31
	s_lshl_b64 s[0:1], s[12:13], 1
	s_add_u32 s0, s2, s0
	s_addc_u32 s1, s3, s1
	global_store_short_d16_hi v0, v1, s[0:1]
.LBB162_120:
	s_endpgm
	.section	.rodata,"a",@progbits
	.p2align	6, 0x0
	.amdhsa_kernel _ZN4vllm25paged_attention_v2_kernelI14__hip_bfloat16S1_Li32ELi16ELi128ELNS_18Fp8KVCacheDataTypeE0ELb0ELi512EEEvPfS3_PT_PKS4_PKT0_SA_ifPKiSC_iPKfiiiSE_SE_iiiii
		.amdhsa_group_segment_fixed_size 80
		.amdhsa_private_segment_fixed_size 0
		.amdhsa_kernarg_size 400
		.amdhsa_user_sgpr_count 6
		.amdhsa_user_sgpr_private_segment_buffer 1
		.amdhsa_user_sgpr_dispatch_ptr 0
		.amdhsa_user_sgpr_queue_ptr 0
		.amdhsa_user_sgpr_kernarg_segment_ptr 1
		.amdhsa_user_sgpr_dispatch_id 0
		.amdhsa_user_sgpr_flat_scratch_init 0
		.amdhsa_user_sgpr_kernarg_preload_length 0
		.amdhsa_user_sgpr_kernarg_preload_offset 0
		.amdhsa_user_sgpr_private_segment_size 0
		.amdhsa_uses_dynamic_stack 0
		.amdhsa_system_sgpr_private_segment_wavefront_offset 0
		.amdhsa_system_sgpr_workgroup_id_x 1
		.amdhsa_system_sgpr_workgroup_id_y 1
		.amdhsa_system_sgpr_workgroup_id_z 1
		.amdhsa_system_sgpr_workgroup_info 0
		.amdhsa_system_vgpr_workitem_id 0
		.amdhsa_next_free_vgpr 32
		.amdhsa_next_free_sgpr 42
		.amdhsa_accum_offset 32
		.amdhsa_reserve_vcc 1
		.amdhsa_reserve_flat_scratch 0
		.amdhsa_float_round_mode_32 0
		.amdhsa_float_round_mode_16_64 0
		.amdhsa_float_denorm_mode_32 3
		.amdhsa_float_denorm_mode_16_64 3
		.amdhsa_dx10_clamp 1
		.amdhsa_ieee_mode 1
		.amdhsa_fp16_overflow 0
		.amdhsa_tg_split 0
		.amdhsa_exception_fp_ieee_invalid_op 0
		.amdhsa_exception_fp_denorm_src 0
		.amdhsa_exception_fp_ieee_div_zero 0
		.amdhsa_exception_fp_ieee_overflow 0
		.amdhsa_exception_fp_ieee_underflow 0
		.amdhsa_exception_fp_ieee_inexact 0
		.amdhsa_exception_int_div_zero 0
	.end_amdhsa_kernel
	.section	.text._ZN4vllm25paged_attention_v2_kernelI14__hip_bfloat16S1_Li32ELi16ELi128ELNS_18Fp8KVCacheDataTypeE0ELb0ELi512EEEvPfS3_PT_PKS4_PKT0_SA_ifPKiSC_iPKfiiiSE_SE_iiiii,"axG",@progbits,_ZN4vllm25paged_attention_v2_kernelI14__hip_bfloat16S1_Li32ELi16ELi128ELNS_18Fp8KVCacheDataTypeE0ELb0ELi512EEEvPfS3_PT_PKS4_PKT0_SA_ifPKiSC_iPKfiiiSE_SE_iiiii,comdat
.Lfunc_end162:
	.size	_ZN4vllm25paged_attention_v2_kernelI14__hip_bfloat16S1_Li32ELi16ELi128ELNS_18Fp8KVCacheDataTypeE0ELb0ELi512EEEvPfS3_PT_PKS4_PKT0_SA_ifPKiSC_iPKfiiiSE_SE_iiiii, .Lfunc_end162-_ZN4vllm25paged_attention_v2_kernelI14__hip_bfloat16S1_Li32ELi16ELi128ELNS_18Fp8KVCacheDataTypeE0ELb0ELi512EEEvPfS3_PT_PKS4_PKT0_SA_ifPKiSC_iPKfiiiSE_SE_iiiii
                                        ; -- End function
	.section	.AMDGPU.csdata,"",@progbits
; Kernel info:
; codeLenInByte = 4724
; NumSgprs: 46
; NumVgprs: 32
; NumAgprs: 0
; TotalNumVgprs: 32
; ScratchSize: 0
; MemoryBound: 0
; FloatMode: 240
; IeeeMode: 1
; LDSByteSize: 80 bytes/workgroup (compile time only)
; SGPRBlocks: 5
; VGPRBlocks: 3
; NumSGPRsForWavesPerEU: 46
; NumVGPRsForWavesPerEU: 32
; AccumOffset: 32
; Occupancy: 8
; WaveLimiterHint : 1
; COMPUTE_PGM_RSRC2:SCRATCH_EN: 0
; COMPUTE_PGM_RSRC2:USER_SGPR: 6
; COMPUTE_PGM_RSRC2:TRAP_HANDLER: 0
; COMPUTE_PGM_RSRC2:TGID_X_EN: 1
; COMPUTE_PGM_RSRC2:TGID_Y_EN: 1
; COMPUTE_PGM_RSRC2:TGID_Z_EN: 1
; COMPUTE_PGM_RSRC2:TIDIG_COMP_CNT: 0
; COMPUTE_PGM_RSRC3_GFX90A:ACCUM_OFFSET: 7
; COMPUTE_PGM_RSRC3_GFX90A:TG_SPLIT: 0
	.section	.text._ZN4vllm25paged_attention_v2_kernelI14__hip_bfloat16S1_Li64ELi16ELi128ELNS_18Fp8KVCacheDataTypeE0ELb0ELi512EEEvPfS3_PT_PKS4_PKT0_SA_ifPKiSC_iPKfiiiSE_SE_iiiii,"axG",@progbits,_ZN4vllm25paged_attention_v2_kernelI14__hip_bfloat16S1_Li64ELi16ELi128ELNS_18Fp8KVCacheDataTypeE0ELb0ELi512EEEvPfS3_PT_PKS4_PKT0_SA_ifPKiSC_iPKfiiiSE_SE_iiiii,comdat
	.protected	_ZN4vllm25paged_attention_v2_kernelI14__hip_bfloat16S1_Li64ELi16ELi128ELNS_18Fp8KVCacheDataTypeE0ELb0ELi512EEEvPfS3_PT_PKS4_PKT0_SA_ifPKiSC_iPKfiiiSE_SE_iiiii ; -- Begin function _ZN4vllm25paged_attention_v2_kernelI14__hip_bfloat16S1_Li64ELi16ELi128ELNS_18Fp8KVCacheDataTypeE0ELb0ELi512EEEvPfS3_PT_PKS4_PKT0_SA_ifPKiSC_iPKfiiiSE_SE_iiiii
	.globl	_ZN4vllm25paged_attention_v2_kernelI14__hip_bfloat16S1_Li64ELi16ELi128ELNS_18Fp8KVCacheDataTypeE0ELb0ELi512EEEvPfS3_PT_PKS4_PKT0_SA_ifPKiSC_iPKfiiiSE_SE_iiiii
	.p2align	8
	.type	_ZN4vllm25paged_attention_v2_kernelI14__hip_bfloat16S1_Li64ELi16ELi128ELNS_18Fp8KVCacheDataTypeE0ELb0ELi512EEEvPfS3_PT_PKS4_PKT0_SA_ifPKiSC_iPKfiiiSE_SE_iiiii,@function
_ZN4vllm25paged_attention_v2_kernelI14__hip_bfloat16S1_Li64ELi16ELi128ELNS_18Fp8KVCacheDataTypeE0ELb0ELi512EEEvPfS3_PT_PKS4_PKT0_SA_ifPKiSC_iPKfiiiSE_SE_iiiii: ; @_ZN4vllm25paged_attention_v2_kernelI14__hip_bfloat16S1_Li64ELi16ELi128ELNS_18Fp8KVCacheDataTypeE0ELb0ELi512EEEvPfS3_PT_PKS4_PKT0_SA_ifPKiSC_iPKfiiiSE_SE_iiiii
; %bb.0:
	s_load_dwordx2 s[0:1], s[4:5], 0x40
	s_mov_b32 s20, s7
	s_ashr_i32 s21, s7, 31
	s_lshl_b64 s[2:3], s[20:21], 2
	s_waitcnt lgkmcnt(0)
	s_add_u32 s0, s0, s2
	s_addc_u32 s1, s1, s3
	s_load_dword s33, s[0:1], 0x0
	s_lshl_b32 s40, s8, 9
	s_waitcnt lgkmcnt(0)
	s_cmp_ge_i32 s40, s33
	s_cbranch_scc1 .LBB163_163
; %bb.1:
	s_load_dword s21, s[4:5], 0x90
	s_load_dwordx2 s[10:11], s[4:5], 0x30
	s_waitcnt lgkmcnt(0)
	s_abs_i32 s2, s21
	s_abs_i32 s0, s10
	v_cvt_f32_u32_e32 v1, s0
	s_sub_i32 s3, 0, s0
	s_xor_b32 s1, s21, s10
	s_ashr_i32 s1, s1, 31
	v_rcp_iflag_f32_e32 v1, v1
	s_mov_b32 s10, 0
	v_mul_f32_e32 v1, 0x4f7ffffe, v1
	v_cvt_u32_f32_e32 v1, v1
	v_readfirstlane_b32 s7, v1
	s_mul_i32 s3, s3, s7
	s_mul_hi_u32 s3, s7, s3
	s_add_i32 s7, s7, s3
	s_mul_hi_u32 s3, s2, s7
	s_mul_i32 s7, s3, s0
	s_sub_i32 s2, s2, s7
	s_add_i32 s9, s3, 1
	s_sub_i32 s7, s2, s0
	s_cmp_ge_u32 s2, s0
	s_cselect_b32 s3, s9, s3
	s_cselect_b32 s2, s7, s2
	s_add_i32 s7, s3, 1
	s_cmp_ge_u32 s2, s0
	s_cselect_b32 s0, s7, s3
	s_xor_b32 s0, s0, s1
	s_sub_i32 s9, s0, s1
	s_abs_i32 s2, s9
	v_cvt_f32_u32_e32 v1, s2
	s_load_dwordx2 s[0:1], s[4:5], 0x50
	s_sub_i32 s7, 0, s2
	s_abs_i32 s3, s6
	v_rcp_iflag_f32_e32 v1, v1
	v_mul_f32_e32 v1, 0x4f7ffffe, v1
	v_cvt_u32_f32_e32 v1, v1
	v_readfirstlane_b32 s12, v1
	s_mul_i32 s7, s7, s12
	s_mul_hi_u32 s7, s12, s7
	s_add_i32 s12, s12, s7
	s_waitcnt lgkmcnt(0)
	s_cmp_eq_u64 s[0:1], 0
	s_mul_hi_u32 s16, s3, s12
	s_cbranch_scc1 .LBB163_3
; %bb.2:
	s_ashr_i32 s7, s6, 31
	s_lshl_b64 s[12:13], s[6:7], 2
	s_add_u32 s0, s0, s12
	s_addc_u32 s1, s1, s13
	s_load_dword s10, s[0:1], 0x0
.LBB163_3:
	s_load_dwordx4 s[12:15], s[4:5], 0x58
	s_ashr_i32 s17, s6, 31
	s_waitcnt lgkmcnt(0)
	s_ashr_i32 s15, s9, 31
	v_and_b32_e32 v2, 3, v0
	s_lshl_b32 s22, s6, 6
	v_cmp_gt_u32_e32 vcc, 32, v0
	s_and_saveexec_b64 s[0:1], vcc
	s_cbranch_execz .LBB163_5
; %bb.4:
	s_load_dwordx2 s[18:19], s[4:5], 0x18
	s_mul_i32 s24, s20, s12
	s_ashr_i32 s25, s24, 31
	s_lshl_b64 s[24:25], s[24:25], 1
	v_lshlrev_b32_e32 v1, 2, v0
	s_waitcnt lgkmcnt(0)
	s_add_u32 s7, s18, s24
	s_addc_u32 s9, s19, s25
	s_ashr_i32 s23, s22, 31
	s_lshl_b64 s[18:19], s[22:23], 1
	s_add_u32 s18, s7, s18
	s_addc_u32 s19, s9, s19
	global_load_dword v1, v1, s[18:19]
	v_and_b32_e32 v3, 0x3fc, v0
	v_lshl_add_u32 v3, v2, 5, v3
	s_waitcnt vmcnt(0)
	ds_write_b32 v3, v1
.LBB163_5:
	s_or_b64 exec, exec, s[0:1]
	s_add_i32 s0, s33, 15
	s_ashr_i32 s1, s0, 31
	s_lshr_b32 s1, s1, 28
	s_add_i32 s0, s0, s1
	s_lshl_b32 s9, s8, 5
	s_mul_i32 s1, s16, s2
	s_ashr_i32 s7, s0, 4
	s_add_i32 s0, s9, 32
	s_sub_i32 s1, s3, s1
	s_min_i32 s23, s0, s7
	s_xor_b32 s0, s17, s15
	s_add_i32 s3, s16, 1
	s_sub_i32 s12, s1, s2
	s_cmp_ge_u32 s1, s2
	s_cselect_b32 s3, s3, s16
	s_cselect_b32 s1, s12, s1
	s_add_i32 s12, s3, 1
	s_cmp_ge_u32 s1, s2
	s_load_dwordx2 s[26:27], s[4:5], 0x38
	s_load_dword s2, s[4:5], 0x48
	v_lshrrev_b32_e32 v4, 6, v0
	s_cselect_b32 s1, s12, s3
	s_xor_b32 s1, s1, s0
	v_or_b32_e32 v10, s9, v4
	s_waitcnt lgkmcnt(0)
	s_mul_i32 s28, s20, s2
	s_sub_i32 s15, s1, s0
	s_ashr_i32 s29, s28, 31
	v_cmp_gt_i32_e64 s[0:1], s23, v10
	v_cmp_le_i32_e32 vcc, s23, v10
	v_mbcnt_lo_u32_b32 v3, -1, 0
	s_barrier
	s_waitcnt lgkmcnt(0)
                                        ; implicit-def: $sgpr36
                                        ; implicit-def: $vgpr5
                                        ; implicit-def: $vgpr6
	s_and_saveexec_b64 s[2:3], vcc
	s_xor_b64 s[2:3], exec, s[2:3]
; %bb.6:
	v_mbcnt_hi_u32_b32 v5, -1, v3
	v_and_b32_e32 v1, 64, v5
	v_add_u32_e32 v6, 64, v1
	s_mov_b32 s36, 0xff7fffff
                                        ; implicit-def: $vgpr2
                                        ; implicit-def: $vgpr3
; %bb.7:
	s_or_saveexec_b64 s[34:35], s[2:3]
	s_load_dwordx4 s[16:19], s[4:5], 0x0
	s_load_dwordx2 s[24:25], s[4:5], 0x10
	s_load_dwordx2 s[30:31], s[4:5], 0x28
	s_load_dword s12, s[4:5], 0x98
	v_mov_b32_e32 v26, s36
	s_mul_i32 s14, s15, s14
	v_ashrrev_i32_e32 v11, 31, v10
	s_xor_b64 exec, exec, s[34:35]
	s_cbranch_execz .LBB163_13
; %bb.8:
	s_load_dwordx2 s[2:3], s[4:5], 0x20
	s_ashr_i32 s15, s14, 31
	s_lshl_b64 s[4:5], s[14:15], 1
	v_bfe_u32 v26, v0, 2, 4
	v_lshlrev_b32_e32 v1, 4, v26
	s_waitcnt lgkmcnt(0)
	s_add_u32 s2, s2, s4
	s_addc_u32 s3, s3, s5
	v_mov_b32_e32 v5, s3
	v_add_co_u32_e32 v1, vcc, s2, v1
	v_lshlrev_b32_e32 v6, 2, v0
	v_addc_co_u32_e32 v5, vcc, 0, v5, vcc
	v_and_b32_e32 v6, 12, v6
	v_add_co_u32_e32 v1, vcc, v1, v6
	v_addc_co_u32_e32 v7, vcc, 0, v5, vcc
	v_mbcnt_hi_u32_b32 v5, -1, v3
	v_and_b32_e32 v3, 64, v5
	v_add_u32_e32 v6, 64, v3
	v_xor_b32_e32 v3, 2, v5
	v_cmp_lt_i32_e32 vcc, v3, v6
	v_cndmask_b32_e32 v3, v5, v3, vcc
	v_lshlrev_b32_e32 v27, 2, v3
	v_xor_b32_e32 v3, 1, v5
	v_lshlrev_b32_e32 v8, 5, v2
	v_cmp_lt_i32_e32 vcc, v3, v6
	ds_read_b128 v[14:17], v8
	ds_read_b128 v[22:25], v8 offset:16
	v_cndmask_b32_e32 v3, v5, v3, vcc
	v_cmp_eq_u32_e32 vcc, 0, v2
	v_lshlrev_b32_e32 v2, 4, v4
	s_sub_i32 s15, 1, s33
	v_add3_u32 v29, s40, v2, v26
	v_lshlrev_b32_e32 v2, 2, v26
	s_lshl_b64 s[4:5], s[28:29], 2
	v_lshl_or_b32 v2, v4, 6, v2
	s_add_u32 s4, s26, s4
	v_lshlrev_b32_e32 v28, 2, v3
	v_add_u32_e32 v30, 0x90, v2
	v_lshlrev_b64 v[2:3], 2, v[10:11]
	s_addc_u32 s5, s27, s5
	v_mov_b32_e32 v26, s5
	v_add_co_u32_e64 v2, s[4:5], s4, v2
	s_mov_b32 s41, s13
	s_waitcnt lgkmcnt(1)
	v_lshlrev_b32_e32 v8, 16, v14
	v_and_b32_e32 v9, 0xffff0000, v14
	v_lshlrev_b32_e32 v12, 16, v15
	v_and_b32_e32 v13, 0xffff0000, v15
	;; [unrolled: 2-line block ×4, first 2 shown]
	s_waitcnt lgkmcnt(0)
	v_lshlrev_b32_e32 v18, 16, v22
	v_and_b32_e32 v19, 0xffff0000, v22
	v_lshlrev_b32_e32 v20, 16, v23
	v_and_b32_e32 v21, 0xffff0000, v23
	;; [unrolled: 2-line block ×4, first 2 shown]
	v_cmp_neq_f32_e64 s[2:3], s10, 0
	v_addc_co_u32_e64 v3, s[4:5], v26, v3, s[4:5]
	s_mov_b64 s[36:37], 0
	v_mov_b32_e32 v26, 0xff7fffff
	v_mov_b32_e32 v31, v10
	s_branch .LBB163_10
.LBB163_9:                              ;   in Loop: Header=BB163_10 Depth=1
	s_or_b64 exec, exec, s[38:39]
	v_add_u32_e32 v31, 2, v31
	v_cmp_le_i32_e64 s[4:5], s23, v31
	s_or_b64 s[36:37], s[4:5], s[36:37]
	v_add_co_u32_e64 v2, s[4:5], 8, v2
	v_add_u32_e32 v29, 32, v29
	v_add_u32_e32 v30, 0x80, v30
	v_addc_co_u32_e64 v3, s[4:5], 0, v3, s[4:5]
	s_andn2_b64 exec, exec, s[36:37]
	s_cbranch_execz .LBB163_12
.LBB163_10:                             ; =>This Inner Loop Header: Depth=1
	global_load_dword v32, v[2:3], off
	s_waitcnt vmcnt(0) lgkmcnt(0)
	v_mad_i64_i32 v[32:33], s[4:5], v32, s41, 0
	v_lshlrev_b64 v[32:33], 1, v[32:33]
	v_add_co_u32_e64 v32, s[4:5], v1, v32
	v_addc_co_u32_e64 v33, s[4:5], v7, v33, s[4:5]
	global_load_dword v34, v[32:33], off
	global_load_dword v35, v[32:33], off offset:256
	global_load_dword v36, v[32:33], off offset:512
	;; [unrolled: 1-line block ×7, first 2 shown]
	s_waitcnt vmcnt(7)
	v_lshlrev_b32_e32 v32, 16, v34
	v_and_b32_e32 v33, 0xffff0000, v34
	s_waitcnt vmcnt(6)
	v_lshlrev_b32_e32 v34, 16, v35
	v_and_b32_e32 v35, 0xffff0000, v35
	v_mul_f32_e32 v34, v12, v34
	v_mul_f32_e32 v35, v13, v35
	s_waitcnt vmcnt(5)
	v_lshlrev_b32_e32 v42, 16, v36
	v_and_b32_e32 v36, 0xffff0000, v36
	v_fmac_f32_e32 v34, v8, v32
	v_fmac_f32_e32 v35, v9, v33
	s_waitcnt vmcnt(4)
	v_lshlrev_b32_e32 v43, 16, v37
	v_and_b32_e32 v37, 0xffff0000, v37
	v_fmac_f32_e32 v34, v14, v42
	v_fmac_f32_e32 v35, v15, v36
	;; [unrolled: 5-line block ×6, first 2 shown]
	v_fmac_f32_e32 v34, v24, v47
	v_fmac_f32_e32 v35, v25, v41
	v_add_f32_e32 v32, v34, v35
	ds_bpermute_b32 v33, v27, v32
	s_waitcnt lgkmcnt(0)
	v_add_f32_e32 v32, v32, v33
	ds_bpermute_b32 v33, v28, v32
	s_and_saveexec_b64 s[38:39], vcc
	s_cbranch_execz .LBB163_9
; %bb.11:                               ;   in Loop: Header=BB163_10 Depth=1
	v_add_u32_e32 v34, s15, v29
	v_cvt_f32_i32_e32 v34, v34
	s_waitcnt lgkmcnt(0)
	v_add_f32_e32 v32, v32, v33
	v_cmp_gt_i32_e64 s[4:5], s33, v29
	v_max_f32_e32 v33, v26, v26
	v_mul_f32_e32 v34, s10, v34
	v_cndmask_b32_e64 v34, 0, v34, s[2:3]
	v_fmac_f32_e32 v34, s11, v32
	v_cndmask_b32_e64 v32, 0, v34, s[4:5]
	ds_write_b32 v30, v32
	v_max_f32_e32 v32, v33, v34
	v_cndmask_b32_e64 v26, v26, v32, s[4:5]
	s_branch .LBB163_9
.LBB163_12:
	s_or_b64 exec, exec, s[36:37]
.LBB163_13:
	s_or_b64 exec, exec, s[34:35]
	v_xor_b32_e32 v1, 32, v5
	v_cmp_lt_i32_e32 vcc, v1, v6
	v_cndmask_b32_e32 v1, v5, v1, vcc
	v_lshlrev_b32_e32 v2, 2, v1
	ds_bpermute_b32 v1, v2, v26
	v_xor_b32_e32 v7, 16, v5
	v_max_f32_e32 v3, v26, v26
	v_cmp_lt_i32_e32 vcc, v7, v6
	v_xor_b32_e32 v8, 8, v5
	s_waitcnt lgkmcnt(0)
	v_max_f32_e32 v1, v1, v1
	v_max_f32_e32 v1, v3, v1
	v_cndmask_b32_e32 v3, v5, v7, vcc
	v_lshlrev_b32_e32 v3, 2, v3
	ds_bpermute_b32 v7, v3, v1
	v_cmp_lt_i32_e32 vcc, v8, v6
	s_waitcnt lgkmcnt(0)
	v_max_f32_e32 v7, v7, v7
	v_max_f32_e32 v1, v1, v7
	v_cndmask_b32_e32 v7, v5, v8, vcc
	v_lshlrev_b32_e32 v12, 2, v7
	ds_bpermute_b32 v7, v12, v1
	v_xor_b32_e32 v8, 4, v5
	v_cmp_lt_i32_e32 vcc, v8, v6
	s_waitcnt lgkmcnt(0)
	v_max_f32_e32 v7, v7, v7
	v_max_f32_e32 v7, v1, v7
	v_cndmask_b32_e32 v1, v5, v8, vcc
	v_lshlrev_b32_e32 v13, 2, v1
	ds_bpermute_b32 v9, v13, v7
	v_and_b32_e32 v1, 63, v0
	v_cmp_eq_u32_e32 vcc, 0, v1
	v_lshlrev_b32_e32 v8, 2, v4
	s_and_saveexec_b64 s[2:3], vcc
	s_cbranch_execz .LBB163_15
; %bb.14:
	s_waitcnt lgkmcnt(0)
	v_max_f32_e32 v9, v9, v9
	v_max_f32_e32 v7, v7, v7
	;; [unrolled: 1-line block ×3, first 2 shown]
	ds_write_b32 v8, v7 offset:128
.LBB163_15:
	s_or_b64 exec, exec, s[2:3]
	v_cmp_gt_u32_e64 s[2:3], 2, v1
	v_mov_b32_e32 v7, 0xff7fffff
	s_waitcnt lgkmcnt(0)
	v_lshlrev_b32_e32 v9, 2, v1
	s_barrier
	s_and_saveexec_b64 s[4:5], s[2:3]
	s_cbranch_execz .LBB163_17
; %bb.16:
	ds_read_b32 v7, v9 offset:128
.LBB163_17:
	s_or_b64 exec, exec, s[4:5]
	v_xor_b32_e32 v14, 1, v5
	v_cmp_lt_i32_e64 s[4:5], v14, v6
	v_cndmask_b32_e64 v14, v5, v14, s[4:5]
	v_lshlrev_b32_e32 v16, 2, v14
	s_waitcnt lgkmcnt(0)
	ds_bpermute_b32 v14, v16, v7
	v_max_f32_e32 v7, v7, v7
	s_sub_i32 s4, s23, s9
	s_lshl_b32 s4, s4, 4
	s_add_i32 s4, s4, s40
	s_waitcnt lgkmcnt(0)
	v_max_f32_e32 v14, v14, v14
	v_max_f32_e32 v7, v7, v14
	v_lshlrev_b32_e32 v14, 2, v5
	v_and_b32_e32 v14, 0xffffff00, v14
	ds_bpermute_b32 v7, v14, v7
	s_min_i32 s15, s4, s33
	s_sub_i32 s9, s15, s40
	v_cmp_gt_i32_e64 s[4:5], s9, v0
	v_mov_b32_e32 v15, 0
	s_and_saveexec_b64 s[34:35], s[4:5]
	s_cbranch_execz .LBB163_21
; %bb.18:
	v_mov_b32_e32 v15, 0x90
	v_lshl_add_u32 v17, v0, 2, v15
	s_mov_b64 s[36:37], 0
	v_mov_b32_e32 v15, 0
	v_mov_b32_e32 v18, v0
.LBB163_19:                             ; =>This Inner Loop Header: Depth=1
	ds_read_b32 v19, v17
	v_add_u32_e32 v18, 0x80, v18
	v_cmp_le_i32_e64 s[10:11], s9, v18
	s_or_b64 s[36:37], s[10:11], s[36:37]
	s_waitcnt lgkmcnt(0)
	v_sub_f32_e32 v19, v19, v7
	v_mul_f32_e32 v19, 0x3fb8aa3b, v19
	v_exp_f32_e32 v19, v19
	ds_write_b32 v17, v19
	v_add_f32_e32 v15, v15, v19
	v_add_u32_e32 v17, 0x200, v17
	s_andn2_b64 exec, exec, s[36:37]
	s_cbranch_execnz .LBB163_19
; %bb.20:
	s_or_b64 exec, exec, s[36:37]
.LBB163_21:
	s_or_b64 exec, exec, s[34:35]
	ds_bpermute_b32 v2, v2, v15
	s_waitcnt lgkmcnt(0)
	v_add_f32_e32 v2, v15, v2
	ds_bpermute_b32 v3, v3, v2
	s_waitcnt lgkmcnt(0)
	v_add_f32_e32 v2, v2, v3
	ds_bpermute_b32 v3, v12, v2
	v_xor_b32_e32 v12, 2, v5
	v_cmp_lt_i32_e64 s[10:11], v12, v6
	v_cndmask_b32_e64 v5, v5, v12, s[10:11]
	s_waitcnt lgkmcnt(0)
	v_add_f32_e32 v2, v2, v3
	ds_bpermute_b32 v3, v13, v2
	s_waitcnt lgkmcnt(0)
	v_add_f32_e32 v2, v2, v3
	v_lshlrev_b32_e32 v3, 2, v5
	ds_bpermute_b32 v3, v3, v2
	s_waitcnt lgkmcnt(0)
	v_add_f32_e32 v2, v2, v3
	ds_bpermute_b32 v3, v16, v2
	s_waitcnt lgkmcnt(0)
	v_add_f32_e32 v2, v2, v3
	s_and_saveexec_b64 s[10:11], vcc
	s_cbranch_execz .LBB163_23
; %bb.22:
	ds_write_b32 v8, v2 offset:136
.LBB163_23:
	s_or_b64 exec, exec, s[10:11]
	s_waitcnt lgkmcnt(0)
	s_barrier
	s_and_saveexec_b64 s[10:11], s[2:3]
	s_cbranch_execz .LBB163_25
; %bb.24:
	ds_read_b32 v2, v9 offset:136
.LBB163_25:
	s_or_b64 exec, exec, s[10:11]
	s_waitcnt lgkmcnt(0)
	ds_bpermute_b32 v3, v16, v2
	s_waitcnt lgkmcnt(0)
	v_add_f32_e32 v2, v2, v3
	ds_bpermute_b32 v5, v14, v2
	s_and_saveexec_b64 s[2:3], s[4:5]
	s_cbranch_execz .LBB163_38
; %bb.26:
	s_waitcnt lgkmcnt(0)
	v_add_f32_e32 v2, 0x358637bd, v5
	v_div_scale_f32 v3, s[4:5], v2, v2, 1.0
	v_rcp_f32_e32 v6, v3
	v_div_scale_f32 v8, vcc, 1.0, v2, 1.0
	s_movk_i32 s4, 0x7f
	v_fma_f32 v9, -v3, v6, 1.0
	v_fmac_f32_e32 v6, v9, v6
	v_mul_f32_e32 v9, v8, v6
	v_fma_f32 v12, -v3, v9, v8
	v_fmac_f32_e32 v9, v12, v6
	v_fma_f32 v3, -v3, v9, v8
	v_div_fmas_f32 v3, v3, v6, v9
	v_div_fixup_f32 v2, v3, v2, 1.0
	v_xad_u32 v3, v0, -1, s15
	v_subrev_u32_e32 v6, s40, v3
	v_cmp_lt_u32_e32 vcc, s4, v6
	s_mov_b64 s[10:11], -1
	v_mov_b32_e32 v3, v0
	s_and_saveexec_b64 s[4:5], vcc
	s_cbranch_execz .LBB163_35
; %bb.27:
	v_lshrrev_b32_e32 v6, 7, v6
	v_add_u32_e32 v9, -1, v6
	v_lshrrev_b32_e32 v8, 1, v9
	v_mov_b32_e32 v3, v2
	v_add_u32_e32 v8, 1, v8
	v_cmp_lt_u32_e32 vcc, 13, v9
	v_mov_b32_e32 v13, 0
	s_and_saveexec_b64 s[10:11], vcc
	s_cbranch_execz .LBB163_31
; %bb.28:
	v_mov_b32_e32 v12, 0x90
	v_and_b32_e32 v9, -8, v8
	v_lshl_add_u32 v12, v0, 2, v12
	s_mov_b32 s15, 0
	s_mov_b64 s[34:35], 0
.LBB163_29:                             ; =>This Inner Loop Header: Depth=1
	ds_read2st64_b32 v[14:15], v12 offset1:2
	ds_read2st64_b32 v[18:19], v12 offset0:4 offset1:6
	ds_read2st64_b32 v[20:21], v12 offset0:8 offset1:10
	;; [unrolled: 1-line block ×3, first 2 shown]
	v_add_u32_e32 v9, -8, v9
	s_waitcnt lgkmcnt(3)
	v_pk_mul_f32 v[14:15], v[2:3], v[14:15]
	s_waitcnt lgkmcnt(2)
	v_pk_mul_f32 v[18:19], v[2:3], v[18:19]
	ds_write2st64_b32 v12, v14, v15 offset1:2
	ds_write2st64_b32 v12, v18, v19 offset0:4 offset1:6
	ds_read2st64_b32 v[18:19], v12 offset0:16 offset1:18
	s_waitcnt lgkmcnt(4)
	v_pk_mul_f32 v[14:15], v[2:3], v[20:21]
	ds_write2st64_b32 v12, v14, v15 offset0:8 offset1:10
	s_waitcnt lgkmcnt(4)
	v_pk_mul_f32 v[14:15], v[2:3], v[22:23]
	ds_write2st64_b32 v12, v14, v15 offset0:12 offset1:14
	ds_read2st64_b32 v[14:15], v12 offset0:20 offset1:22
	s_waitcnt lgkmcnt(3)
	v_pk_mul_f32 v[18:19], v[2:3], v[18:19]
	ds_read2st64_b32 v[20:21], v12 offset0:24 offset1:26
	ds_write2st64_b32 v12, v18, v19 offset0:16 offset1:18
	ds_read2st64_b32 v[18:19], v12 offset0:28 offset1:30
	s_waitcnt lgkmcnt(3)
	v_pk_mul_f32 v[14:15], v[2:3], v[14:15]
	ds_write2st64_b32 v12, v14, v15 offset0:20 offset1:22
	s_waitcnt lgkmcnt(3)
	v_pk_mul_f32 v[14:15], v[2:3], v[20:21]
	ds_write2st64_b32 v12, v14, v15 offset0:24 offset1:26
	s_waitcnt lgkmcnt(2)
	v_pk_mul_f32 v[14:15], v[2:3], v[18:19]
	s_add_i32 s15, s15, 16
	v_cmp_eq_u32_e32 vcc, 0, v9
	ds_write2st64_b32 v12, v14, v15 offset0:28 offset1:30
	v_add_u32_e32 v12, 0x2000, v12
	s_or_b64 s[34:35], vcc, s[34:35]
	v_mov_b32_e32 v13, s15
	s_andn2_b64 exec, exec, s[34:35]
	s_cbranch_execnz .LBB163_29
; %bb.30:
	s_or_b64 exec, exec, s[34:35]
.LBB163_31:
	s_or_b64 exec, exec, s[10:11]
	v_and_b32_e32 v8, 7, v8
	v_cmp_ne_u32_e32 vcc, 0, v8
	s_and_saveexec_b64 s[10:11], vcc
	s_cbranch_execz .LBB163_34
; %bb.32:
	v_lshlrev_b32_e32 v9, 9, v13
	v_lshlrev_b32_e32 v12, 2, v0
	s_movk_i32 s15, 0x90
	v_add3_u32 v9, v9, v12, s15
	s_mov_b64 s[34:35], 0
.LBB163_33:                             ; =>This Inner Loop Header: Depth=1
	ds_read2st64_b32 v[12:13], v9 offset1:2
	v_add_u32_e32 v8, -1, v8
	v_cmp_eq_u32_e32 vcc, 0, v8
	s_or_b64 s[34:35], vcc, s[34:35]
	s_waitcnt lgkmcnt(0)
	v_pk_mul_f32 v[12:13], v[2:3], v[12:13]
	ds_write2st64_b32 v9, v12, v13 offset1:2
	v_add_u32_e32 v9, 0x400, v9
	s_andn2_b64 exec, exec, s[34:35]
	s_cbranch_execnz .LBB163_33
.LBB163_34:
	s_or_b64 exec, exec, s[10:11]
	v_add_u32_e32 v6, 1, v6
	v_and_b32_e32 v8, 0x3fffffe, v6
	v_cmp_ne_u32_e32 vcc, v6, v8
	v_lshl_add_u32 v3, v8, 7, v0
	s_orn2_b64 s[10:11], vcc, exec
.LBB163_35:
	s_or_b64 exec, exec, s[4:5]
	s_and_b64 exec, exec, s[10:11]
	s_cbranch_execz .LBB163_38
; %bb.36:
	v_mov_b32_e32 v6, 0x90
	v_lshl_add_u32 v6, v3, 2, v6
	s_mov_b64 s[4:5], 0
.LBB163_37:                             ; =>This Inner Loop Header: Depth=1
	ds_read_b32 v8, v6
	v_add_u32_e32 v3, 0x80, v3
	v_cmp_le_i32_e32 vcc, s9, v3
	s_or_b64 s[4:5], vcc, s[4:5]
	s_waitcnt lgkmcnt(0)
	v_mul_f32_e32 v8, v2, v8
	ds_write_b32 v6, v8
	v_add_u32_e32 v6, 0x200, v6
	s_andn2_b64 exec, exec, s[4:5]
	s_cbranch_execnz .LBB163_37
.LBB163_38:
	s_or_b64 exec, exec, s[2:3]
	v_cmp_eq_u32_e32 vcc, 0, v0
	s_waitcnt lgkmcnt(0)
	s_barrier
	s_and_saveexec_b64 s[2:3], vcc
	s_cbranch_execz .LBB163_40
; %bb.39:
	s_mul_i32 s4, s12, s20
	s_mul_i32 s4, s4, s21
	s_ashr_i32 s5, s4, 31
	s_lshl_b64 s[4:5], s[4:5], 2
	s_add_u32 s9, s18, s4
	s_mul_i32 s10, s12, s6
	s_addc_u32 s15, s19, s5
	s_ashr_i32 s11, s10, 31
	s_lshl_b64 s[10:11], s[10:11], 2
	s_add_u32 s6, s9, s10
	s_addc_u32 s15, s15, s11
	s_ashr_i32 s9, s8, 31
	s_lshl_b64 s[18:19], s[8:9], 2
	s_add_u32 s34, s6, s18
	s_addc_u32 s35, s15, s19
	s_add_u32 s4, s16, s4
	s_addc_u32 s5, s17, s5
	;; [unrolled: 2-line block ×3, first 2 shown]
	s_add_u32 s4, s4, s18
	v_mov_b32_e32 v2, 0
	s_addc_u32 s5, s5, s19
	global_store_dword v2, v7, s[34:35]
	global_store_dword v2, v5, s[4:5]
.LBB163_40:
	s_or_b64 exec, exec, s[2:3]
	v_mov_b32_e32 v13, 0
	v_and_b32_e32 v17, 1, v0
	v_mov_b32_e32 v12, v13
	s_and_saveexec_b64 s[2:3], s[0:1]
	s_cbranch_execz .LBB163_144
; %bb.41:
	s_ashr_i32 s15, s14, 31
	s_lshl_b64 s[0:1], s[14:15], 1
	v_lshlrev_b32_e32 v3, 4, v0
	v_lshlrev_b32_e32 v2, 3, v0
	s_add_u32 s0, s30, s0
	v_and_b32_e32 v3, 0x3f0, v3
	v_and_b32_e32 v2, 8, v2
	s_addc_u32 s1, s31, s1
	v_add_co_u32_e32 v18, vcc, s0, v3
	v_lshl_add_u32 v3, v4, 4, s40
	s_add_i32 s10, s7, -1
	v_mov_b32_e32 v5, s1
	v_add3_u32 v20, v3, v2, 7
	v_lshlrev_b32_e32 v2, 5, v17
	s_lshl_b64 s[0:1], s[28:29], 2
	v_lshl_or_b32 v2, v4, 6, v2
	s_add_u32 s0, s26, s0
	v_addc_co_u32_e32 v19, vcc, 0, v5, vcc
	v_add_u32_e32 v21, 0x90, v2
	v_lshlrev_b64 v[2:3], 2, v[10:11]
	s_addc_u32 s1, s27, s1
	v_mov_b32_e32 v4, s1
	v_add_co_u32_e32 v14, vcc, s0, v2
	v_mov_b32_e32 v11, 0
	s_mov_b32 s9, s13
	v_addc_co_u32_e32 v15, vcc, v4, v3, vcc
	s_mov_b64 s[4:5], 0
	s_mov_b32 s11, 0x7f800000
	s_movk_i32 s13, 0x7fff
	v_mov_b32_e32 v12, 0
	v_mov_b32_e32 v13, v11
	s_branch .LBB163_43
.LBB163_42:                             ;   in Loop: Header=BB163_43 Depth=1
	s_or_b64 exec, exec, s[0:1]
	v_and_b32_e32 v33, 0xffff0000, v23
	v_and_b32_e32 v32, 0xffff0000, v9
	;; [unrolled: 1-line block ×4, first 2 shown]
	v_pk_add_f32 v[8:9], v[8:9], v[32:33]
	v_and_b32_e32 v31, 0xffff0000, v34
	v_and_b32_e32 v30, 0xffff0000, v25
	;; [unrolled: 1-line block ×4, first 2 shown]
	v_mov_b32_e32 v22, v9
	v_pk_add_f32 v[8:9], v[8:9], v[22:23]
	v_pk_add_f32 v[22:23], v[24:25], v[30:31]
	v_and_b32_e32 v25, 0xffff0000, v27
	v_and_b32_e32 v24, 0xffff0000, v7
	;; [unrolled: 1-line block ×4, first 2 shown]
	v_pk_add_f32 v[8:9], v[8:9], v[22:23]
	v_mov_b32_e32 v22, v23
	v_pk_add_f32 v[2:3], v[2:3], v[24:25]
	v_pk_add_f32 v[8:9], v[8:9], v[22:23]
	v_and_b32_e32 v23, 0xffff0000, v6
	v_and_b32_e32 v22, 0xffff0000, v28
	;; [unrolled: 1-line block ×4, first 2 shown]
	v_mov_b32_e32 v6, v3
	v_pk_add_f32 v[2:3], v[2:3], v[6:7]
	v_pk_add_f32 v[4:5], v[4:5], v[22:23]
	;; [unrolled: 1-line block ×3, first 2 shown]
	v_mov_b32_e32 v4, v5
	v_pk_add_f32 v[2:3], v[2:3], v[4:5]
	v_add_u32_e32 v10, 2, v10
	v_mov_b32_e32 v3, v2
	v_cmp_le_i32_e32 vcc, s23, v10
	v_pk_add_f32 v[8:9], v[12:13], v[8:9]
	v_pk_add_f32 v[12:13], v[12:13], v[2:3]
	s_or_b64 s[4:5], vcc, s[4:5]
	v_add_co_u32_e32 v14, vcc, 8, v14
	v_mov_b32_e32 v12, v8
	v_add_u32_e32 v20, 32, v20
	v_add_u32_e32 v21, 0x80, v21
	v_addc_co_u32_e32 v15, vcc, 0, v15, vcc
	s_andn2_b64 exec, exec, s[4:5]
	s_cbranch_execz .LBB163_143
.LBB163_43:                             ; =>This Inner Loop Header: Depth=1
	global_load_dword v27, v[14:15], off
	ds_read2_b64 v[6:9], v21 offset1:1
	ds_read2_b64 v[2:5], v21 offset0:2 offset1:3
                                        ; implicit-def: $vgpr35
	s_waitcnt lgkmcnt(1)
	v_and_b32_e32 v22, 0x7f800000, v6
	v_cmp_ne_u32_e32 vcc, s11, v22
	s_and_saveexec_b64 s[0:1], vcc
	s_xor_b64 s[0:1], exec, s[0:1]
; %bb.44:                               ;   in Loop: Header=BB163_43 Depth=1
	v_bfe_u32 v22, v6, 16, 1
	v_add3_u32 v35, v6, v22, s13
; %bb.45:                               ;   in Loop: Header=BB163_43 Depth=1
	s_andn2_saveexec_b64 s[0:1], s[0:1]
; %bb.46:                               ;   in Loop: Header=BB163_43 Depth=1
	v_or_b32_e32 v22, 0x10000, v6
	v_cmp_eq_u32_sdwa vcc, v6, v11 src0_sel:WORD_0 src1_sel:DWORD
	v_cndmask_b32_e32 v35, v22, v6, vcc
; %bb.47:                               ;   in Loop: Header=BB163_43 Depth=1
	s_or_b64 exec, exec, s[0:1]
	v_and_b32_e32 v6, 0x7f800000, v7
	v_cmp_ne_u32_e32 vcc, s11, v6
                                        ; implicit-def: $vgpr36
	s_and_saveexec_b64 s[0:1], vcc
	s_xor_b64 s[0:1], exec, s[0:1]
; %bb.48:                               ;   in Loop: Header=BB163_43 Depth=1
	v_bfe_u32 v6, v7, 16, 1
	v_add3_u32 v36, v7, v6, s13
; %bb.49:                               ;   in Loop: Header=BB163_43 Depth=1
	s_andn2_saveexec_b64 s[0:1], s[0:1]
; %bb.50:                               ;   in Loop: Header=BB163_43 Depth=1
	v_or_b32_e32 v6, 0x10000, v7
	v_cmp_eq_u32_sdwa vcc, v7, v11 src0_sel:WORD_0 src1_sel:DWORD
	v_cndmask_b32_e32 v36, v6, v7, vcc
; %bb.51:                               ;   in Loop: Header=BB163_43 Depth=1
	s_or_b64 exec, exec, s[0:1]
	v_and_b32_e32 v6, 0x7f800000, v8
	v_cmp_ne_u32_e32 vcc, s11, v6
                                        ; implicit-def: $vgpr22
	s_and_saveexec_b64 s[0:1], vcc
	s_xor_b64 s[0:1], exec, s[0:1]
; %bb.52:                               ;   in Loop: Header=BB163_43 Depth=1
	v_bfe_u32 v6, v8, 16, 1
	v_add3_u32 v22, v8, v6, s13
; %bb.53:                               ;   in Loop: Header=BB163_43 Depth=1
	s_andn2_saveexec_b64 s[0:1], s[0:1]
; %bb.54:                               ;   in Loop: Header=BB163_43 Depth=1
	v_or_b32_e32 v6, 0x10000, v8
	v_cmp_eq_u32_sdwa vcc, v8, v11 src0_sel:WORD_0 src1_sel:DWORD
	v_cndmask_b32_e32 v22, v6, v8, vcc
; %bb.55:                               ;   in Loop: Header=BB163_43 Depth=1
	s_or_b64 exec, exec, s[0:1]
	v_and_b32_e32 v6, 0x7f800000, v9
	v_cmp_ne_u32_e32 vcc, s11, v6
                                        ; implicit-def: $vgpr23
	s_and_saveexec_b64 s[0:1], vcc
	s_xor_b64 s[0:1], exec, s[0:1]
; %bb.56:                               ;   in Loop: Header=BB163_43 Depth=1
	v_bfe_u32 v6, v9, 16, 1
	v_add3_u32 v23, v9, v6, s13
                                        ; implicit-def: $vgpr6_vgpr7_vgpr8_vgpr9
; %bb.57:                               ;   in Loop: Header=BB163_43 Depth=1
	s_andn2_saveexec_b64 s[0:1], s[0:1]
; %bb.58:                               ;   in Loop: Header=BB163_43 Depth=1
	v_or_b32_e32 v6, 0x10000, v9
	v_cmp_eq_u32_sdwa vcc, v9, v11 src0_sel:WORD_0 src1_sel:DWORD
	v_cndmask_b32_e32 v23, v6, v9, vcc
; %bb.59:                               ;   in Loop: Header=BB163_43 Depth=1
	s_or_b64 exec, exec, s[0:1]
	s_waitcnt lgkmcnt(0)
	v_and_b32_e32 v6, 0x7f800000, v2
	v_cmp_ne_u32_e32 vcc, s11, v6
                                        ; implicit-def: $vgpr24
	s_and_saveexec_b64 s[0:1], vcc
	s_xor_b64 s[0:1], exec, s[0:1]
; %bb.60:                               ;   in Loop: Header=BB163_43 Depth=1
	v_bfe_u32 v6, v2, 16, 1
	v_add3_u32 v24, v2, v6, s13
; %bb.61:                               ;   in Loop: Header=BB163_43 Depth=1
	s_andn2_saveexec_b64 s[0:1], s[0:1]
; %bb.62:                               ;   in Loop: Header=BB163_43 Depth=1
	v_or_b32_e32 v6, 0x10000, v2
	v_cmp_eq_u32_sdwa vcc, v2, v11 src0_sel:WORD_0 src1_sel:DWORD
	v_cndmask_b32_e32 v24, v6, v2, vcc
; %bb.63:                               ;   in Loop: Header=BB163_43 Depth=1
	s_or_b64 exec, exec, s[0:1]
	v_and_b32_e32 v2, 0x7f800000, v3
	v_cmp_ne_u32_e32 vcc, s11, v2
                                        ; implicit-def: $vgpr25
	s_and_saveexec_b64 s[0:1], vcc
	s_xor_b64 s[0:1], exec, s[0:1]
; %bb.64:                               ;   in Loop: Header=BB163_43 Depth=1
	v_bfe_u32 v2, v3, 16, 1
	v_add3_u32 v25, v3, v2, s13
; %bb.65:                               ;   in Loop: Header=BB163_43 Depth=1
	s_andn2_saveexec_b64 s[0:1], s[0:1]
; %bb.66:                               ;   in Loop: Header=BB163_43 Depth=1
	v_or_b32_e32 v2, 0x10000, v3
	v_cmp_eq_u32_sdwa vcc, v3, v11 src0_sel:WORD_0 src1_sel:DWORD
	v_cndmask_b32_e32 v25, v2, v3, vcc
; %bb.67:                               ;   in Loop: Header=BB163_43 Depth=1
	s_or_b64 exec, exec, s[0:1]
	v_and_b32_e32 v2, 0x7f800000, v4
	v_cmp_ne_u32_e32 vcc, s11, v2
                                        ; implicit-def: $vgpr26
	s_and_saveexec_b64 s[0:1], vcc
	s_xor_b64 s[0:1], exec, s[0:1]
; %bb.68:                               ;   in Loop: Header=BB163_43 Depth=1
	v_bfe_u32 v2, v4, 16, 1
	v_add3_u32 v26, v4, v2, s13
; %bb.69:                               ;   in Loop: Header=BB163_43 Depth=1
	s_andn2_saveexec_b64 s[0:1], s[0:1]
; %bb.70:                               ;   in Loop: Header=BB163_43 Depth=1
	v_or_b32_e32 v2, 0x10000, v4
	v_cmp_eq_u32_sdwa vcc, v4, v11 src0_sel:WORD_0 src1_sel:DWORD
	v_cndmask_b32_e32 v26, v2, v4, vcc
; %bb.71:                               ;   in Loop: Header=BB163_43 Depth=1
	s_or_b64 exec, exec, s[0:1]
	v_and_b32_e32 v2, 0x7f800000, v5
	v_cmp_ne_u32_e32 vcc, s11, v2
                                        ; implicit-def: $vgpr34
	s_and_saveexec_b64 s[0:1], vcc
	s_xor_b64 s[0:1], exec, s[0:1]
; %bb.72:                               ;   in Loop: Header=BB163_43 Depth=1
	v_bfe_u32 v2, v5, 16, 1
	v_add3_u32 v34, v5, v2, s13
                                        ; implicit-def: $vgpr2_vgpr3_vgpr4_vgpr5
; %bb.73:                               ;   in Loop: Header=BB163_43 Depth=1
	s_andn2_saveexec_b64 s[0:1], s[0:1]
; %bb.74:                               ;   in Loop: Header=BB163_43 Depth=1
	v_or_b32_e32 v2, 0x10000, v5
	v_cmp_eq_u32_sdwa vcc, v5, v11 src0_sel:WORD_0 src1_sel:DWORD
	v_cndmask_b32_e32 v34, v2, v5, vcc
; %bb.75:                               ;   in Loop: Header=BB163_43 Depth=1
	s_or_b64 exec, exec, s[0:1]
	s_waitcnt vmcnt(0)
	v_mad_i64_i32 v[2:3], s[0:1], v27, s9, 0
	v_lshlrev_b64 v[2:3], 1, v[2:3]
	v_add_co_u32_e32 v6, vcc, v18, v2
	v_addc_co_u32_e32 v7, vcc, v19, v3, vcc
	global_load_dwordx4 v[2:5], v[6:7], off
	v_add_u32_e32 v27, -7, v20
	v_cmp_eq_u32_e32 vcc, s10, v10
	v_add_u32_e32 v33, -6, v20
	v_add_u32_e32 v31, -5, v20
	;; [unrolled: 1-line block ×6, first 2 shown]
	s_waitcnt vmcnt(0)
	v_lshrrev_b32_e32 v9, 16, v2
	v_lshrrev_b32_e32 v39, 16, v3
	;; [unrolled: 1-line block ×4, first 2 shown]
	s_and_saveexec_b64 s[6:7], vcc
	s_cbranch_execz .LBB163_77
; %bb.76:                               ;   in Loop: Header=BB163_43 Depth=1
	v_cmp_gt_i32_e64 s[0:1], s33, v27
	v_cndmask_b32_e64 v2, 0, v2, s[0:1]
	v_cmp_gt_i32_e64 s[0:1], s33, v33
	v_cndmask_b32_e64 v9, 0, v9, s[0:1]
	;; [unrolled: 2-line block ×8, first 2 shown]
.LBB163_77:                             ;   in Loop: Header=BB163_43 Depth=1
	s_or_b64 exec, exec, s[6:7]
	v_and_b32_e32 v35, 0xffff0000, v35
	v_lshlrev_b32_e32 v2, 16, v2
	v_mul_f32_e32 v2, v35, v2
	v_and_b32_e32 v8, 0x7f800000, v2
	v_cmp_ne_u32_e64 s[0:1], s11, v8
                                        ; implicit-def: $vgpr8
	s_and_saveexec_b64 s[6:7], s[0:1]
	s_xor_b64 s[0:1], exec, s[6:7]
; %bb.78:                               ;   in Loop: Header=BB163_43 Depth=1
	v_bfe_u32 v8, v2, 16, 1
	v_add3_u32 v8, v2, v8, s13
                                        ; implicit-def: $vgpr2
; %bb.79:                               ;   in Loop: Header=BB163_43 Depth=1
	s_andn2_saveexec_b64 s[6:7], s[0:1]
; %bb.80:                               ;   in Loop: Header=BB163_43 Depth=1
	v_or_b32_e32 v8, 0x10000, v2
	v_cmp_eq_u32_sdwa s[0:1], v2, v11 src0_sel:WORD_0 src1_sel:DWORD
	v_cndmask_b32_e64 v8, v8, v2, s[0:1]
; %bb.81:                               ;   in Loop: Header=BB163_43 Depth=1
	s_or_b64 exec, exec, s[6:7]
	v_and_b32_e32 v36, 0xffff0000, v36
	v_lshlrev_b32_e32 v2, 16, v9
	v_mul_f32_e32 v2, v36, v2
	v_and_b32_e32 v9, 0x7f800000, v2
	v_cmp_ne_u32_e64 s[0:1], s11, v9
                                        ; implicit-def: $vgpr9
	s_and_saveexec_b64 s[6:7], s[0:1]
	s_xor_b64 s[0:1], exec, s[6:7]
; %bb.82:                               ;   in Loop: Header=BB163_43 Depth=1
	v_bfe_u32 v9, v2, 16, 1
	v_add3_u32 v9, v2, v9, s13
                                        ; implicit-def: $vgpr2
; %bb.83:                               ;   in Loop: Header=BB163_43 Depth=1
	s_andn2_saveexec_b64 s[6:7], s[0:1]
; %bb.84:                               ;   in Loop: Header=BB163_43 Depth=1
	v_or_b32_e32 v9, 0x10000, v2
	v_cmp_eq_u32_sdwa s[0:1], v2, v11 src0_sel:WORD_0 src1_sel:DWORD
	v_cndmask_b32_e64 v9, v9, v2, s[0:1]
; %bb.85:                               ;   in Loop: Header=BB163_43 Depth=1
	s_or_b64 exec, exec, s[6:7]
	v_and_b32_e32 v37, 0xffff0000, v22
	v_lshlrev_b32_e32 v2, 16, v3
	v_mul_f32_e32 v2, v37, v2
	v_and_b32_e32 v3, 0x7f800000, v2
	v_cmp_ne_u32_e64 s[0:1], s11, v3
                                        ; implicit-def: $vgpr22
	s_and_saveexec_b64 s[6:7], s[0:1]
	s_xor_b64 s[0:1], exec, s[6:7]
; %bb.86:                               ;   in Loop: Header=BB163_43 Depth=1
	v_bfe_u32 v3, v2, 16, 1
	v_add3_u32 v22, v2, v3, s13
                                        ; implicit-def: $vgpr2
; %bb.87:                               ;   in Loop: Header=BB163_43 Depth=1
	s_andn2_saveexec_b64 s[6:7], s[0:1]
; %bb.88:                               ;   in Loop: Header=BB163_43 Depth=1
	v_or_b32_e32 v3, 0x10000, v2
	v_cmp_eq_u32_sdwa s[0:1], v2, v11 src0_sel:WORD_0 src1_sel:DWORD
	v_cndmask_b32_e64 v22, v3, v2, s[0:1]
; %bb.89:                               ;   in Loop: Header=BB163_43 Depth=1
	s_or_b64 exec, exec, s[6:7]
	v_and_b32_e32 v38, 0xffff0000, v23
	v_lshlrev_b32_e32 v2, 16, v39
	v_mul_f32_e32 v2, v38, v2
	v_and_b32_e32 v3, 0x7f800000, v2
	v_cmp_ne_u32_e64 s[0:1], s11, v3
                                        ; implicit-def: $vgpr23
	s_and_saveexec_b64 s[6:7], s[0:1]
	s_xor_b64 s[0:1], exec, s[6:7]
; %bb.90:                               ;   in Loop: Header=BB163_43 Depth=1
	v_bfe_u32 v3, v2, 16, 1
	v_add3_u32 v23, v2, v3, s13
                                        ; implicit-def: $vgpr2
; %bb.91:                               ;   in Loop: Header=BB163_43 Depth=1
	s_andn2_saveexec_b64 s[6:7], s[0:1]
; %bb.92:                               ;   in Loop: Header=BB163_43 Depth=1
	v_or_b32_e32 v3, 0x10000, v2
	v_cmp_eq_u32_sdwa s[0:1], v2, v11 src0_sel:WORD_0 src1_sel:DWORD
	v_cndmask_b32_e64 v23, v3, v2, s[0:1]
; %bb.93:                               ;   in Loop: Header=BB163_43 Depth=1
	s_or_b64 exec, exec, s[6:7]
	v_and_b32_e32 v39, 0xffff0000, v24
	v_lshlrev_b32_e32 v2, 16, v4
	v_mul_f32_e32 v2, v39, v2
	v_and_b32_e32 v3, 0x7f800000, v2
	v_cmp_ne_u32_e64 s[0:1], s11, v3
                                        ; implicit-def: $vgpr24
	s_and_saveexec_b64 s[6:7], s[0:1]
	s_xor_b64 s[0:1], exec, s[6:7]
; %bb.94:                               ;   in Loop: Header=BB163_43 Depth=1
	v_bfe_u32 v3, v2, 16, 1
	v_add3_u32 v24, v2, v3, s13
                                        ; implicit-def: $vgpr2
; %bb.95:                               ;   in Loop: Header=BB163_43 Depth=1
	s_andn2_saveexec_b64 s[6:7], s[0:1]
; %bb.96:                               ;   in Loop: Header=BB163_43 Depth=1
	v_or_b32_e32 v3, 0x10000, v2
	v_cmp_eq_u32_sdwa s[0:1], v2, v11 src0_sel:WORD_0 src1_sel:DWORD
	v_cndmask_b32_e64 v24, v3, v2, s[0:1]
; %bb.97:                               ;   in Loop: Header=BB163_43 Depth=1
	s_or_b64 exec, exec, s[6:7]
	v_and_b32_e32 v40, 0xffff0000, v25
	v_lshlrev_b32_e32 v2, 16, v41
	v_mul_f32_e32 v2, v40, v2
	v_and_b32_e32 v3, 0x7f800000, v2
	v_cmp_ne_u32_e64 s[0:1], s11, v3
                                        ; implicit-def: $vgpr25
	s_and_saveexec_b64 s[6:7], s[0:1]
	s_xor_b64 s[0:1], exec, s[6:7]
; %bb.98:                               ;   in Loop: Header=BB163_43 Depth=1
	v_bfe_u32 v3, v2, 16, 1
	v_add3_u32 v25, v2, v3, s13
                                        ; implicit-def: $vgpr2
; %bb.99:                               ;   in Loop: Header=BB163_43 Depth=1
	s_andn2_saveexec_b64 s[6:7], s[0:1]
; %bb.100:                              ;   in Loop: Header=BB163_43 Depth=1
	v_or_b32_e32 v3, 0x10000, v2
	v_cmp_eq_u32_sdwa s[0:1], v2, v11 src0_sel:WORD_0 src1_sel:DWORD
	v_cndmask_b32_e64 v25, v3, v2, s[0:1]
; %bb.101:                              ;   in Loop: Header=BB163_43 Depth=1
	s_or_b64 exec, exec, s[6:7]
	v_and_b32_e32 v41, 0xffff0000, v26
	v_lshlrev_b32_e32 v2, 16, v5
	v_mul_f32_e32 v2, v41, v2
	v_and_b32_e32 v3, 0x7f800000, v2
	v_cmp_ne_u32_e64 s[0:1], s11, v3
                                        ; implicit-def: $vgpr26
	s_and_saveexec_b64 s[6:7], s[0:1]
	s_xor_b64 s[0:1], exec, s[6:7]
; %bb.102:                              ;   in Loop: Header=BB163_43 Depth=1
	v_bfe_u32 v3, v2, 16, 1
	v_add3_u32 v26, v2, v3, s13
                                        ; implicit-def: $vgpr2
; %bb.103:                              ;   in Loop: Header=BB163_43 Depth=1
	s_andn2_saveexec_b64 s[6:7], s[0:1]
; %bb.104:                              ;   in Loop: Header=BB163_43 Depth=1
	v_or_b32_e32 v3, 0x10000, v2
	v_cmp_eq_u32_sdwa s[0:1], v2, v11 src0_sel:WORD_0 src1_sel:DWORD
	v_cndmask_b32_e64 v26, v3, v2, s[0:1]
; %bb.105:                              ;   in Loop: Header=BB163_43 Depth=1
	s_or_b64 exec, exec, s[6:7]
	v_and_b32_e32 v42, 0xffff0000, v34
	v_lshlrev_b32_e32 v2, 16, v43
	v_mul_f32_e32 v2, v42, v2
	v_and_b32_e32 v3, 0x7f800000, v2
	v_cmp_ne_u32_e64 s[0:1], s11, v3
                                        ; implicit-def: $vgpr34
	s_and_saveexec_b64 s[6:7], s[0:1]
	s_xor_b64 s[0:1], exec, s[6:7]
; %bb.106:                              ;   in Loop: Header=BB163_43 Depth=1
	v_bfe_u32 v3, v2, 16, 1
	v_add3_u32 v34, v2, v3, s13
                                        ; implicit-def: $vgpr2
; %bb.107:                              ;   in Loop: Header=BB163_43 Depth=1
	s_andn2_saveexec_b64 s[6:7], s[0:1]
; %bb.108:                              ;   in Loop: Header=BB163_43 Depth=1
	v_or_b32_e32 v3, 0x10000, v2
	v_cmp_eq_u32_sdwa s[0:1], v2, v11 src0_sel:WORD_0 src1_sel:DWORD
	v_cndmask_b32_e64 v34, v3, v2, s[0:1]
; %bb.109:                              ;   in Loop: Header=BB163_43 Depth=1
	s_or_b64 exec, exec, s[6:7]
	global_load_dwordx4 v[2:5], v[6:7], off offset:1024
	s_waitcnt vmcnt(0)
	v_lshrrev_b32_e32 v7, 16, v2
	v_lshrrev_b32_e32 v44, 16, v3
	;; [unrolled: 1-line block ×4, first 2 shown]
	s_and_saveexec_b64 s[0:1], vcc
	s_cbranch_execz .LBB163_111
; %bb.110:                              ;   in Loop: Header=BB163_43 Depth=1
	v_cmp_gt_i32_e32 vcc, s33, v27
	v_cndmask_b32_e32 v2, 0, v2, vcc
	v_cmp_gt_i32_e32 vcc, s33, v33
	v_cndmask_b32_e32 v7, 0, v7, vcc
	;; [unrolled: 2-line block ×8, first 2 shown]
.LBB163_111:                            ;   in Loop: Header=BB163_43 Depth=1
	s_or_b64 exec, exec, s[0:1]
	v_lshlrev_b32_e32 v2, 16, v2
	v_mul_f32_e32 v27, v35, v2
	v_and_b32_e32 v2, 0x7f800000, v27
	v_cmp_ne_u32_e32 vcc, s11, v2
                                        ; implicit-def: $vgpr2
	s_and_saveexec_b64 s[0:1], vcc
	s_xor_b64 s[0:1], exec, s[0:1]
; %bb.112:                              ;   in Loop: Header=BB163_43 Depth=1
	v_bfe_u32 v2, v27, 16, 1
	v_add3_u32 v2, v27, v2, s13
                                        ; implicit-def: $vgpr27
; %bb.113:                              ;   in Loop: Header=BB163_43 Depth=1
	s_andn2_saveexec_b64 s[0:1], s[0:1]
; %bb.114:                              ;   in Loop: Header=BB163_43 Depth=1
	v_or_b32_e32 v2, 0x10000, v27
	v_cmp_eq_u32_sdwa vcc, v27, v11 src0_sel:WORD_0 src1_sel:DWORD
	v_cndmask_b32_e32 v2, v2, v27, vcc
; %bb.115:                              ;   in Loop: Header=BB163_43 Depth=1
	s_or_b64 exec, exec, s[0:1]
	v_lshlrev_b32_e32 v7, 16, v7
	v_mul_f32_e32 v27, v36, v7
	v_and_b32_e32 v7, 0x7f800000, v27
	v_cmp_ne_u32_e32 vcc, s11, v7
                                        ; implicit-def: $vgpr7
	s_and_saveexec_b64 s[0:1], vcc
	s_xor_b64 s[0:1], exec, s[0:1]
; %bb.116:                              ;   in Loop: Header=BB163_43 Depth=1
	v_bfe_u32 v7, v27, 16, 1
	v_add3_u32 v7, v27, v7, s13
                                        ; implicit-def: $vgpr27
; %bb.117:                              ;   in Loop: Header=BB163_43 Depth=1
	s_andn2_saveexec_b64 s[0:1], s[0:1]
; %bb.118:                              ;   in Loop: Header=BB163_43 Depth=1
	v_or_b32_e32 v7, 0x10000, v27
	v_cmp_eq_u32_sdwa vcc, v27, v11 src0_sel:WORD_0 src1_sel:DWORD
	v_cndmask_b32_e32 v7, v7, v27, vcc
; %bb.119:                              ;   in Loop: Header=BB163_43 Depth=1
	s_or_b64 exec, exec, s[0:1]
	v_lshlrev_b32_e32 v3, 16, v3
	v_mul_f32_e32 v27, v37, v3
	v_and_b32_e32 v3, 0x7f800000, v27
	v_cmp_ne_u32_e32 vcc, s11, v3
                                        ; implicit-def: $vgpr3
	s_and_saveexec_b64 s[0:1], vcc
	s_xor_b64 s[0:1], exec, s[0:1]
; %bb.120:                              ;   in Loop: Header=BB163_43 Depth=1
	v_bfe_u32 v3, v27, 16, 1
	v_add3_u32 v3, v27, v3, s13
                                        ; implicit-def: $vgpr27
; %bb.121:                              ;   in Loop: Header=BB163_43 Depth=1
	s_andn2_saveexec_b64 s[0:1], s[0:1]
; %bb.122:                              ;   in Loop: Header=BB163_43 Depth=1
	v_or_b32_e32 v3, 0x10000, v27
	v_cmp_eq_u32_sdwa vcc, v27, v11 src0_sel:WORD_0 src1_sel:DWORD
	v_cndmask_b32_e32 v3, v3, v27, vcc
; %bb.123:                              ;   in Loop: Header=BB163_43 Depth=1
	s_or_b64 exec, exec, s[0:1]
	v_lshlrev_b32_e32 v27, 16, v44
	v_mul_f32_e32 v28, v38, v27
	v_and_b32_e32 v27, 0x7f800000, v28
	v_cmp_ne_u32_e32 vcc, s11, v27
                                        ; implicit-def: $vgpr27
	s_and_saveexec_b64 s[0:1], vcc
	s_xor_b64 s[0:1], exec, s[0:1]
; %bb.124:                              ;   in Loop: Header=BB163_43 Depth=1
	v_bfe_u32 v27, v28, 16, 1
	v_add3_u32 v27, v28, v27, s13
                                        ; implicit-def: $vgpr28
; %bb.125:                              ;   in Loop: Header=BB163_43 Depth=1
	s_andn2_saveexec_b64 s[0:1], s[0:1]
; %bb.126:                              ;   in Loop: Header=BB163_43 Depth=1
	v_or_b32_e32 v27, 0x10000, v28
	v_cmp_eq_u32_sdwa vcc, v28, v11 src0_sel:WORD_0 src1_sel:DWORD
	v_cndmask_b32_e32 v27, v27, v28, vcc
; %bb.127:                              ;   in Loop: Header=BB163_43 Depth=1
	s_or_b64 exec, exec, s[0:1]
	v_lshlrev_b32_e32 v4, 16, v4
	v_mul_f32_e32 v28, v39, v4
	v_and_b32_e32 v4, 0x7f800000, v28
	v_cmp_ne_u32_e32 vcc, s11, v4
                                        ; implicit-def: $vgpr4
	s_and_saveexec_b64 s[0:1], vcc
	s_xor_b64 s[0:1], exec, s[0:1]
; %bb.128:                              ;   in Loop: Header=BB163_43 Depth=1
	v_bfe_u32 v4, v28, 16, 1
	v_add3_u32 v4, v28, v4, s13
                                        ; implicit-def: $vgpr28
; %bb.129:                              ;   in Loop: Header=BB163_43 Depth=1
	s_andn2_saveexec_b64 s[0:1], s[0:1]
; %bb.130:                              ;   in Loop: Header=BB163_43 Depth=1
	v_or_b32_e32 v4, 0x10000, v28
	v_cmp_eq_u32_sdwa vcc, v28, v11 src0_sel:WORD_0 src1_sel:DWORD
	v_cndmask_b32_e32 v4, v4, v28, vcc
; %bb.131:                              ;   in Loop: Header=BB163_43 Depth=1
	s_or_b64 exec, exec, s[0:1]
	v_lshlrev_b32_e32 v28, 16, v43
	v_mul_f32_e32 v29, v40, v28
	v_and_b32_e32 v28, 0x7f800000, v29
	v_cmp_ne_u32_e32 vcc, s11, v28
                                        ; implicit-def: $vgpr28
	s_and_saveexec_b64 s[0:1], vcc
	s_xor_b64 s[0:1], exec, s[0:1]
; %bb.132:                              ;   in Loop: Header=BB163_43 Depth=1
	v_bfe_u32 v28, v29, 16, 1
	v_add3_u32 v28, v29, v28, s13
                                        ; implicit-def: $vgpr29
; %bb.133:                              ;   in Loop: Header=BB163_43 Depth=1
	s_andn2_saveexec_b64 s[0:1], s[0:1]
; %bb.134:                              ;   in Loop: Header=BB163_43 Depth=1
	v_or_b32_e32 v28, 0x10000, v29
	v_cmp_eq_u32_sdwa vcc, v29, v11 src0_sel:WORD_0 src1_sel:DWORD
	v_cndmask_b32_e32 v28, v28, v29, vcc
; %bb.135:                              ;   in Loop: Header=BB163_43 Depth=1
	s_or_b64 exec, exec, s[0:1]
	v_lshlrev_b32_e32 v5, 16, v5
	v_mul_f32_e32 v29, v41, v5
	v_and_b32_e32 v5, 0x7f800000, v29
	v_cmp_ne_u32_e32 vcc, s11, v5
                                        ; implicit-def: $vgpr5
	s_and_saveexec_b64 s[0:1], vcc
	s_xor_b64 s[0:1], exec, s[0:1]
; %bb.136:                              ;   in Loop: Header=BB163_43 Depth=1
	v_bfe_u32 v5, v29, 16, 1
	v_add3_u32 v5, v29, v5, s13
                                        ; implicit-def: $vgpr29
; %bb.137:                              ;   in Loop: Header=BB163_43 Depth=1
	s_andn2_saveexec_b64 s[0:1], s[0:1]
; %bb.138:                              ;   in Loop: Header=BB163_43 Depth=1
	v_or_b32_e32 v5, 0x10000, v29
	v_cmp_eq_u32_sdwa vcc, v29, v11 src0_sel:WORD_0 src1_sel:DWORD
	v_cndmask_b32_e32 v5, v5, v29, vcc
; %bb.139:                              ;   in Loop: Header=BB163_43 Depth=1
	s_or_b64 exec, exec, s[0:1]
	v_lshlrev_b32_e32 v6, 16, v6
	v_mul_f32_e32 v29, v42, v6
	v_and_b32_e32 v6, 0x7f800000, v29
	v_cmp_ne_u32_e32 vcc, s11, v6
                                        ; implicit-def: $vgpr6
	s_and_saveexec_b64 s[0:1], vcc
	s_xor_b64 s[0:1], exec, s[0:1]
; %bb.140:                              ;   in Loop: Header=BB163_43 Depth=1
	v_bfe_u32 v6, v29, 16, 1
	v_add3_u32 v6, v29, v6, s13
                                        ; implicit-def: $vgpr29
; %bb.141:                              ;   in Loop: Header=BB163_43 Depth=1
	s_andn2_saveexec_b64 s[0:1], s[0:1]
	s_cbranch_execz .LBB163_42
; %bb.142:                              ;   in Loop: Header=BB163_43 Depth=1
	v_or_b32_e32 v6, 0x10000, v29
	v_cmp_eq_u32_sdwa vcc, v29, v11 src0_sel:WORD_0 src1_sel:DWORD
	v_cndmask_b32_e32 v6, v6, v29, vcc
	s_branch .LBB163_42
.LBB163_143:
	s_or_b64 exec, exec, s[4:5]
.LBB163_144:
	s_or_b64 exec, exec, s[2:3]
	ds_bpermute_b32 v2, v16, v12
	ds_bpermute_b32 v3, v16, v13
	v_and_b32_e32 v4, 0x3c1, v0
	v_cmp_eq_u32_e32 vcc, 64, v4
	s_waitcnt lgkmcnt(0)
	s_barrier
	v_pk_add_f32 v[2:3], v[12:13], v[2:3]
	s_and_saveexec_b64 s[0:1], vcc
	s_cbranch_execz .LBB163_146
; %bb.145:
	v_mov_b32_e32 v4, 0x90
	v_lshl_add_u32 v1, v1, 1, v4
	ds_write2_b32 v1, v2, v3 offset1:32
.LBB163_146:
	s_or_b64 exec, exec, s[0:1]
	v_cmp_gt_u32_e32 vcc, 64, v0
	s_waitcnt lgkmcnt(0)
	s_barrier
	s_and_saveexec_b64 s[2:3], vcc
	s_cbranch_execz .LBB163_152
; %bb.147:
	v_cmp_eq_u32_e64 s[0:1], 0, v17
	v_lshrrev_b32_e32 v1, 1, v0
	s_and_saveexec_b64 s[4:5], s[0:1]
	s_cbranch_execz .LBB163_149
; %bb.148:
	v_mov_b32_e32 v4, 0x90
	v_lshl_add_u32 v4, v1, 2, v4
	ds_read_b32 v4, v4
	s_waitcnt lgkmcnt(0)
	v_add_f32_e32 v2, v2, v4
.LBB163_149:
	s_or_b64 exec, exec, s[4:5]
	s_and_saveexec_b64 s[4:5], s[0:1]
	s_cbranch_execz .LBB163_151
; %bb.150:
	v_mov_b32_e32 v4, 0x90
	v_lshl_add_u32 v1, v1, 2, v4
	ds_read_b32 v1, v1 offset:128
	s_waitcnt lgkmcnt(0)
	v_add_f32_e32 v3, v3, v1
.LBB163_151:
	s_or_b64 exec, exec, s[4:5]
.LBB163_152:
	s_or_b64 exec, exec, s[2:3]
	s_barrier
	s_and_saveexec_b64 s[0:1], vcc
	s_cbranch_execz .LBB163_163
; %bb.153:
	v_cmp_eq_u32_e32 vcc, 0, v17
	s_and_b64 exec, exec, vcc
	s_cbranch_execz .LBB163_163
; %bb.154:
	s_mov_b32 s0, 0x7f800000
	v_and_b32_e32 v1, 0x7f800000, v2
	v_cmp_ne_u32_e32 vcc, s0, v1
                                        ; implicit-def: $vgpr4
	s_and_saveexec_b64 s[0:1], vcc
	s_xor_b64 s[0:1], exec, s[0:1]
; %bb.155:
	v_bfe_u32 v1, v2, 16, 1
	s_movk_i32 s2, 0x7fff
	v_add3_u32 v4, v2, v1, s2
; %bb.156:
	s_andn2_saveexec_b64 s[0:1], s[0:1]
; %bb.157:
	v_mov_b32_e32 v1, 0
	v_or_b32_e32 v4, 0x10000, v2
	v_cmp_eq_u32_sdwa vcc, v2, v1 src0_sel:WORD_0 src1_sel:DWORD
	v_cndmask_b32_e32 v4, v4, v2, vcc
; %bb.158:
	s_or_b64 exec, exec, s[0:1]
	s_mul_i32 s0, s12, s20
	s_mul_i32 s0, s0, s21
	s_lshl_b32 s0, s0, 6
	s_ashr_i32 s1, s0, 31
	s_lshl_b64 s[0:1], s[0:1], 1
	s_add_u32 s2, s24, s0
	s_mul_i32 s0, s12, s22
	s_addc_u32 s3, s25, s1
	s_ashr_i32 s1, s0, 31
	s_lshl_b64 s[0:1], s[0:1], 1
	s_add_u32 s2, s2, s0
	s_addc_u32 s3, s3, s1
	s_lshl_b32 s0, s8, 6
	s_ashr_i32 s1, s0, 31
	s_lshl_b64 s[0:1], s[0:1], 1
	s_add_u32 s0, s2, s0
	s_addc_u32 s1, s3, s1
	v_and_b32_e32 v2, 0x3fe, v0
	v_mov_b32_e32 v1, s1
	v_add_co_u32_e32 v0, vcc, s0, v2
	v_addc_co_u32_e32 v1, vcc, 0, v1, vcc
	global_store_short_d16_hi v2, v4, s[0:1]
	s_mov_b32 s0, 0x7f800000
	v_and_b32_e32 v2, 0x7f800000, v3
	v_cmp_ne_u32_e32 vcc, s0, v2
                                        ; implicit-def: $vgpr4
	s_and_saveexec_b64 s[0:1], vcc
	s_xor_b64 s[0:1], exec, s[0:1]
; %bb.159:
	v_bfe_u32 v2, v3, 16, 1
	s_movk_i32 s2, 0x7fff
	v_add3_u32 v4, v3, v2, s2
                                        ; implicit-def: $vgpr2_vgpr3
; %bb.160:
	s_andn2_saveexec_b64 s[0:1], s[0:1]
; %bb.161:
	v_mov_b32_e32 v2, 0
	v_or_b32_e32 v4, 0x10000, v3
	v_cmp_eq_u32_sdwa vcc, v3, v2 src0_sel:WORD_0 src1_sel:DWORD
	v_cndmask_b32_e32 v4, v4, v3, vcc
; %bb.162:
	s_or_b64 exec, exec, s[0:1]
	global_store_short_d16_hi v[0:1], v4, off offset:64
.LBB163_163:
	s_endpgm
	.section	.rodata,"a",@progbits
	.p2align	6, 0x0
	.amdhsa_kernel _ZN4vllm25paged_attention_v2_kernelI14__hip_bfloat16S1_Li64ELi16ELi128ELNS_18Fp8KVCacheDataTypeE0ELb0ELi512EEEvPfS3_PT_PKS4_PKT0_SA_ifPKiSC_iPKfiiiSE_SE_iiiii
		.amdhsa_group_segment_fixed_size 144
		.amdhsa_private_segment_fixed_size 0
		.amdhsa_kernarg_size 400
		.amdhsa_user_sgpr_count 6
		.amdhsa_user_sgpr_private_segment_buffer 1
		.amdhsa_user_sgpr_dispatch_ptr 0
		.amdhsa_user_sgpr_queue_ptr 0
		.amdhsa_user_sgpr_kernarg_segment_ptr 1
		.amdhsa_user_sgpr_dispatch_id 0
		.amdhsa_user_sgpr_flat_scratch_init 0
		.amdhsa_user_sgpr_kernarg_preload_length 0
		.amdhsa_user_sgpr_kernarg_preload_offset 0
		.amdhsa_user_sgpr_private_segment_size 0
		.amdhsa_uses_dynamic_stack 0
		.amdhsa_system_sgpr_private_segment_wavefront_offset 0
		.amdhsa_system_sgpr_workgroup_id_x 1
		.amdhsa_system_sgpr_workgroup_id_y 1
		.amdhsa_system_sgpr_workgroup_id_z 1
		.amdhsa_system_sgpr_workgroup_info 0
		.amdhsa_system_vgpr_workitem_id 0
		.amdhsa_next_free_vgpr 48
		.amdhsa_next_free_sgpr 42
		.amdhsa_accum_offset 48
		.amdhsa_reserve_vcc 1
		.amdhsa_reserve_flat_scratch 0
		.amdhsa_float_round_mode_32 0
		.amdhsa_float_round_mode_16_64 0
		.amdhsa_float_denorm_mode_32 3
		.amdhsa_float_denorm_mode_16_64 3
		.amdhsa_dx10_clamp 1
		.amdhsa_ieee_mode 1
		.amdhsa_fp16_overflow 0
		.amdhsa_tg_split 0
		.amdhsa_exception_fp_ieee_invalid_op 0
		.amdhsa_exception_fp_denorm_src 0
		.amdhsa_exception_fp_ieee_div_zero 0
		.amdhsa_exception_fp_ieee_overflow 0
		.amdhsa_exception_fp_ieee_underflow 0
		.amdhsa_exception_fp_ieee_inexact 0
		.amdhsa_exception_int_div_zero 0
	.end_amdhsa_kernel
	.section	.text._ZN4vllm25paged_attention_v2_kernelI14__hip_bfloat16S1_Li64ELi16ELi128ELNS_18Fp8KVCacheDataTypeE0ELb0ELi512EEEvPfS3_PT_PKS4_PKT0_SA_ifPKiSC_iPKfiiiSE_SE_iiiii,"axG",@progbits,_ZN4vllm25paged_attention_v2_kernelI14__hip_bfloat16S1_Li64ELi16ELi128ELNS_18Fp8KVCacheDataTypeE0ELb0ELi512EEEvPfS3_PT_PKS4_PKT0_SA_ifPKiSC_iPKfiiiSE_SE_iiiii,comdat
.Lfunc_end163:
	.size	_ZN4vllm25paged_attention_v2_kernelI14__hip_bfloat16S1_Li64ELi16ELi128ELNS_18Fp8KVCacheDataTypeE0ELb0ELi512EEEvPfS3_PT_PKS4_PKT0_SA_ifPKiSC_iPKfiiiSE_SE_iiiii, .Lfunc_end163-_ZN4vllm25paged_attention_v2_kernelI14__hip_bfloat16S1_Li64ELi16ELi128ELNS_18Fp8KVCacheDataTypeE0ELb0ELi512EEEvPfS3_PT_PKS4_PKT0_SA_ifPKiSC_iPKfiiiSE_SE_iiiii
                                        ; -- End function
	.section	.AMDGPU.csdata,"",@progbits
; Kernel info:
; codeLenInByte = 6072
; NumSgprs: 46
; NumVgprs: 48
; NumAgprs: 0
; TotalNumVgprs: 48
; ScratchSize: 0
; MemoryBound: 0
; FloatMode: 240
; IeeeMode: 1
; LDSByteSize: 144 bytes/workgroup (compile time only)
; SGPRBlocks: 5
; VGPRBlocks: 5
; NumSGPRsForWavesPerEU: 46
; NumVGPRsForWavesPerEU: 48
; AccumOffset: 48
; Occupancy: 8
; WaveLimiterHint : 1
; COMPUTE_PGM_RSRC2:SCRATCH_EN: 0
; COMPUTE_PGM_RSRC2:USER_SGPR: 6
; COMPUTE_PGM_RSRC2:TRAP_HANDLER: 0
; COMPUTE_PGM_RSRC2:TGID_X_EN: 1
; COMPUTE_PGM_RSRC2:TGID_Y_EN: 1
; COMPUTE_PGM_RSRC2:TGID_Z_EN: 1
; COMPUTE_PGM_RSRC2:TIDIG_COMP_CNT: 0
; COMPUTE_PGM_RSRC3_GFX90A:ACCUM_OFFSET: 11
; COMPUTE_PGM_RSRC3_GFX90A:TG_SPLIT: 0
	.section	.text._ZN4vllm25paged_attention_v2_kernelI14__hip_bfloat16S1_Li80ELi16ELi128ELNS_18Fp8KVCacheDataTypeE0ELb0ELi512EEEvPfS3_PT_PKS4_PKT0_SA_ifPKiSC_iPKfiiiSE_SE_iiiii,"axG",@progbits,_ZN4vllm25paged_attention_v2_kernelI14__hip_bfloat16S1_Li80ELi16ELi128ELNS_18Fp8KVCacheDataTypeE0ELb0ELi512EEEvPfS3_PT_PKS4_PKT0_SA_ifPKiSC_iPKfiiiSE_SE_iiiii,comdat
	.protected	_ZN4vllm25paged_attention_v2_kernelI14__hip_bfloat16S1_Li80ELi16ELi128ELNS_18Fp8KVCacheDataTypeE0ELb0ELi512EEEvPfS3_PT_PKS4_PKT0_SA_ifPKiSC_iPKfiiiSE_SE_iiiii ; -- Begin function _ZN4vllm25paged_attention_v2_kernelI14__hip_bfloat16S1_Li80ELi16ELi128ELNS_18Fp8KVCacheDataTypeE0ELb0ELi512EEEvPfS3_PT_PKS4_PKT0_SA_ifPKiSC_iPKfiiiSE_SE_iiiii
	.globl	_ZN4vllm25paged_attention_v2_kernelI14__hip_bfloat16S1_Li80ELi16ELi128ELNS_18Fp8KVCacheDataTypeE0ELb0ELi512EEEvPfS3_PT_PKS4_PKT0_SA_ifPKiSC_iPKfiiiSE_SE_iiiii
	.p2align	8
	.type	_ZN4vllm25paged_attention_v2_kernelI14__hip_bfloat16S1_Li80ELi16ELi128ELNS_18Fp8KVCacheDataTypeE0ELb0ELi512EEEvPfS3_PT_PKS4_PKT0_SA_ifPKiSC_iPKfiiiSE_SE_iiiii,@function
_ZN4vllm25paged_attention_v2_kernelI14__hip_bfloat16S1_Li80ELi16ELi128ELNS_18Fp8KVCacheDataTypeE0ELb0ELi512EEEvPfS3_PT_PKS4_PKT0_SA_ifPKiSC_iPKfiiiSE_SE_iiiii: ; @_ZN4vllm25paged_attention_v2_kernelI14__hip_bfloat16S1_Li80ELi16ELi128ELNS_18Fp8KVCacheDataTypeE0ELb0ELi512EEEvPfS3_PT_PKS4_PKT0_SA_ifPKiSC_iPKfiiiSE_SE_iiiii
; %bb.0:
	s_load_dwordx2 s[0:1], s[4:5], 0x40
	s_mov_b32 s24, s7
	s_ashr_i32 s25, s7, 31
	s_lshl_b64 s[2:3], s[24:25], 2
	s_waitcnt lgkmcnt(0)
	s_add_u32 s0, s0, s2
	s_addc_u32 s1, s1, s3
	s_load_dword s25, s[0:1], 0x0
	s_lshl_b32 s40, s8, 9
	s_waitcnt lgkmcnt(0)
	s_cmp_ge_i32 s40, s25
	s_cbranch_scc1 .LBB164_210
; %bb.1:
	s_load_dword s9, s[4:5], 0x90
	s_load_dwordx2 s[10:11], s[4:5], 0x30
	s_waitcnt lgkmcnt(0)
	s_abs_i32 s2, s9
	s_abs_i32 s0, s10
	v_cvt_f32_u32_e32 v1, s0
	s_sub_i32 s3, 0, s0
	s_xor_b32 s1, s9, s10
	s_ashr_i32 s1, s1, 31
	v_rcp_iflag_f32_e32 v1, v1
	v_mul_f32_e32 v1, 0x4f7ffffe, v1
	v_cvt_u32_f32_e32 v1, v1
	v_readfirstlane_b32 s7, v1
	s_mul_i32 s3, s3, s7
	s_mul_hi_u32 s3, s7, s3
	s_add_i32 s7, s7, s3
	s_mul_hi_u32 s3, s2, s7
	s_mul_i32 s7, s3, s0
	s_sub_i32 s2, s2, s7
	s_add_i32 s10, s3, 1
	s_sub_i32 s7, s2, s0
	s_cmp_ge_u32 s2, s0
	s_cselect_b32 s3, s10, s3
	s_cselect_b32 s2, s7, s2
	s_add_i32 s7, s3, 1
	s_cmp_ge_u32 s2, s0
	s_cselect_b32 s0, s7, s3
	s_xor_b32 s0, s0, s1
	s_sub_i32 s18, s0, s1
	s_abs_i32 s2, s18
	v_cvt_f32_u32_e32 v1, s2
	s_load_dwordx2 s[0:1], s[4:5], 0x50
	s_sub_i32 s7, 0, s2
	s_abs_i32 s3, s6
	v_rcp_iflag_f32_e32 v1, v1
	s_mov_b32 s10, 0
	v_mul_f32_e32 v1, 0x4f7ffffe, v1
	v_cvt_u32_f32_e32 v1, v1
	v_readfirstlane_b32 s12, v1
	s_mul_i32 s7, s7, s12
	s_mul_hi_u32 s7, s12, s7
	s_add_i32 s12, s12, s7
	s_waitcnt lgkmcnt(0)
	s_cmp_eq_u64 s[0:1], 0
	s_mul_hi_u32 s16, s3, s12
	s_cbranch_scc1 .LBB164_3
; %bb.2:
	s_ashr_i32 s7, s6, 31
	s_lshl_b64 s[12:13], s[6:7], 2
	s_add_u32 s0, s0, s12
	s_addc_u32 s1, s1, s13
	s_load_dword s10, s[0:1], 0x0
.LBB164_3:
	s_load_dwordx4 s[12:15], s[4:5], 0x58
	s_ashr_i32 s17, s6, 31
	s_waitcnt lgkmcnt(0)
	s_ashr_i32 s15, s18, 31
	v_and_b32_e32 v2, 3, v0
	s_mul_i32 s20, s6, 0x50
	v_cmp_gt_u32_e32 vcc, 40, v0
	s_and_saveexec_b64 s[0:1], vcc
	s_cbranch_execz .LBB164_5
; %bb.4:
	s_load_dwordx2 s[18:19], s[4:5], 0x18
	s_mul_i32 s22, s24, s12
	s_ashr_i32 s23, s22, 31
	s_lshl_b64 s[22:23], s[22:23], 1
	v_lshlrev_b32_e32 v1, 2, v0
	s_waitcnt lgkmcnt(0)
	s_add_u32 s7, s18, s22
	s_addc_u32 s12, s19, s23
	s_ashr_i32 s21, s20, 31
	s_lshl_b64 s[18:19], s[20:21], 1
	s_add_u32 s18, s7, s18
	s_addc_u32 s19, s12, s19
	global_load_dword v1, v1, s[18:19]
	v_and_b32_e32 v3, 0x3fc, v0
	v_mad_u32_u24 v3, v2, 40, v3
	s_waitcnt vmcnt(0)
	ds_write_b32 v3, v1
.LBB164_5:
	s_or_b64 exec, exec, s[0:1]
	s_add_i32 s0, s25, 15
	s_ashr_i32 s1, s0, 31
	s_lshr_b32 s1, s1, 28
	s_add_i32 s0, s0, s1
	s_lshl_b32 s7, s8, 5
	s_mul_i32 s1, s16, s2
	s_ashr_i32 s12, s0, 4
	s_add_i32 s0, s7, 32
	s_sub_i32 s1, s3, s1
	s_min_i32 s33, s0, s12
	s_xor_b32 s0, s17, s15
	s_add_i32 s3, s16, 1
	s_sub_i32 s15, s1, s2
	s_cmp_ge_u32 s1, s2
	s_cselect_b32 s3, s3, s16
	s_cselect_b32 s1, s15, s1
	s_add_i32 s15, s3, 1
	s_cmp_ge_u32 s1, s2
	s_load_dwordx2 s[26:27], s[4:5], 0x38
	s_load_dword s2, s[4:5], 0x48
	v_lshrrev_b32_e32 v4, 6, v0
	s_cselect_b32 s1, s15, s3
	s_xor_b32 s1, s1, s0
	v_or_b32_e32 v12, s7, v4
	s_waitcnt lgkmcnt(0)
	s_mul_i32 s28, s24, s2
	s_sub_i32 s15, s1, s0
	s_ashr_i32 s29, s28, 31
	v_cmp_gt_i32_e64 s[0:1], s33, v12
	v_cmp_le_i32_e32 vcc, s33, v12
	v_mbcnt_lo_u32_b32 v3, -1, 0
	s_barrier
	s_waitcnt lgkmcnt(0)
                                        ; implicit-def: $sgpr36
                                        ; implicit-def: $vgpr6
                                        ; implicit-def: $vgpr7
	s_and_saveexec_b64 s[2:3], vcc
	s_xor_b64 s[2:3], exec, s[2:3]
; %bb.6:
	v_mbcnt_hi_u32_b32 v6, -1, v3
	v_and_b32_e32 v1, 64, v6
	v_add_u32_e32 v7, 64, v1
	s_mov_b32 s36, 0xff7fffff
                                        ; implicit-def: $vgpr2
                                        ; implicit-def: $vgpr3
; %bb.7:
	s_or_saveexec_b64 s[34:35], s[2:3]
	s_load_dwordx4 s[16:19], s[4:5], 0x0
	s_load_dwordx2 s[22:23], s[4:5], 0x10
	s_load_dwordx2 s[30:31], s[4:5], 0x28
	s_load_dword s21, s[4:5], 0x98
	v_mov_b32_e32 v30, s36
	s_mul_i32 s14, s15, s14
	v_ashrrev_i32_e32 v13, 31, v12
	s_xor_b64 exec, exec, s[34:35]
	s_cbranch_execz .LBB164_13
; %bb.8:
	s_load_dwordx2 s[2:3], s[4:5], 0x20
	s_ashr_i32 s15, s14, 31
	s_lshl_b64 s[4:5], s[14:15], 1
	v_bfe_u32 v30, v0, 2, 4
	v_lshlrev_b32_e32 v1, 4, v30
	s_waitcnt lgkmcnt(0)
	s_add_u32 s2, s2, s4
	s_addc_u32 s3, s3, s5
	v_mov_b32_e32 v5, s3
	v_add_co_u32_e32 v1, vcc, s2, v1
	v_lshlrev_b32_e32 v6, 2, v0
	v_addc_co_u32_e32 v5, vcc, 0, v5, vcc
	v_and_b32_e32 v6, 12, v6
	v_mul_u32_u24_e32 v7, 40, v2
	ds_read2_b64 v[14:17], v7 offset1:1
	ds_read2_b64 v[22:25], v7 offset0:2 offset1:3
	v_add_co_u32_e32 v1, vcc, v1, v6
	ds_read_b64 v[6:7], v7 offset:32
	v_addc_co_u32_e32 v5, vcc, 0, v5, vcc
	s_sub_i32 s15, 1, s25
	s_lshl_b64 s[4:5], s[28:29], 2
	s_waitcnt lgkmcnt(0)
	v_lshlrev_b32_e32 v26, 16, v6
	v_and_b32_e32 v27, 0xffff0000, v6
	v_mbcnt_hi_u32_b32 v6, -1, v3
	v_and_b32_e32 v3, 64, v6
	v_lshlrev_b32_e32 v28, 16, v7
	v_and_b32_e32 v29, 0xffff0000, v7
	v_add_u32_e32 v7, 64, v3
	v_xor_b32_e32 v3, 2, v6
	v_cmp_lt_i32_e32 vcc, v3, v7
	v_cndmask_b32_e32 v3, v6, v3, vcc
	v_lshlrev_b32_e32 v31, 2, v3
	v_xor_b32_e32 v3, 1, v6
	v_cmp_lt_i32_e32 vcc, v3, v7
	v_cndmask_b32_e32 v3, v6, v3, vcc
	v_cmp_eq_u32_e32 vcc, 0, v2
	v_lshlrev_b32_e32 v2, 4, v4
	v_add3_u32 v33, s40, v2, v30
	v_lshlrev_b32_e32 v2, 2, v30
	v_lshl_or_b32 v2, v4, 6, v2
	s_add_u32 s4, s26, s4
	v_lshlrev_b32_e32 v32, 2, v3
	v_add_u32_e32 v34, 0xb0, v2
	v_lshlrev_b64 v[2:3], 2, v[12:13]
	s_addc_u32 s5, s27, s5
	v_mov_b32_e32 v30, s5
	v_add_co_u32_e64 v2, s[4:5], s4, v2
	s_mov_b32 s41, s13
	v_lshlrev_b32_e32 v8, 16, v14
	v_and_b32_e32 v9, 0xffff0000, v14
	v_lshlrev_b32_e32 v10, 16, v15
	v_and_b32_e32 v11, 0xffff0000, v15
	;; [unrolled: 2-line block ×8, first 2 shown]
	v_cmp_neq_f32_e64 s[2:3], s10, 0
	v_addc_co_u32_e64 v3, s[4:5], v30, v3, s[4:5]
	s_mov_b64 s[36:37], 0
	v_mov_b32_e32 v30, 0xff7fffff
	v_mov_b32_e32 v35, v12
	s_branch .LBB164_10
.LBB164_9:                              ;   in Loop: Header=BB164_10 Depth=1
	s_or_b64 exec, exec, s[38:39]
	v_add_u32_e32 v35, 2, v35
	v_cmp_le_i32_e64 s[4:5], s33, v35
	s_or_b64 s[36:37], s[4:5], s[36:37]
	v_add_co_u32_e64 v2, s[4:5], 8, v2
	v_add_u32_e32 v33, 32, v33
	v_add_u32_e32 v34, 0x80, v34
	v_addc_co_u32_e64 v3, s[4:5], 0, v3, s[4:5]
	s_andn2_b64 exec, exec, s[36:37]
	s_cbranch_execz .LBB164_12
.LBB164_10:                             ; =>This Inner Loop Header: Depth=1
	global_load_dword v36, v[2:3], off
	s_waitcnt vmcnt(0) lgkmcnt(0)
	v_mad_i64_i32 v[36:37], s[4:5], v36, s41, 0
	v_lshlrev_b64 v[36:37], 1, v[36:37]
	v_add_co_u32_e64 v36, s[4:5], v1, v36
	v_addc_co_u32_e64 v37, s[4:5], v5, v37, s[4:5]
	global_load_dword v38, v[36:37], off
	global_load_dword v39, v[36:37], off offset:256
	global_load_dword v40, v[36:37], off offset:512
	;; [unrolled: 1-line block ×9, first 2 shown]
	s_waitcnt vmcnt(9)
	v_lshlrev_b32_e32 v36, 16, v38
	v_and_b32_e32 v37, 0xffff0000, v38
	s_waitcnt vmcnt(8)
	v_lshlrev_b32_e32 v38, 16, v39
	v_and_b32_e32 v39, 0xffff0000, v39
	v_mul_f32_e32 v38, v10, v38
	v_mul_f32_e32 v39, v11, v39
	s_waitcnt vmcnt(7)
	v_lshlrev_b32_e32 v48, 16, v40
	v_and_b32_e32 v40, 0xffff0000, v40
	v_fmac_f32_e32 v38, v8, v36
	v_fmac_f32_e32 v39, v9, v37
	s_waitcnt vmcnt(6)
	v_lshlrev_b32_e32 v49, 16, v41
	v_and_b32_e32 v41, 0xffff0000, v41
	v_fmac_f32_e32 v38, v14, v48
	v_fmac_f32_e32 v39, v15, v40
	;; [unrolled: 5-line block ×8, first 2 shown]
	v_fmac_f32_e32 v38, v28, v55
	v_fmac_f32_e32 v39, v29, v47
	v_add_f32_e32 v36, v38, v39
	ds_bpermute_b32 v37, v31, v36
	s_waitcnt lgkmcnt(0)
	v_add_f32_e32 v36, v36, v37
	ds_bpermute_b32 v37, v32, v36
	s_and_saveexec_b64 s[38:39], vcc
	s_cbranch_execz .LBB164_9
; %bb.11:                               ;   in Loop: Header=BB164_10 Depth=1
	v_add_u32_e32 v38, s15, v33
	v_cvt_f32_i32_e32 v38, v38
	s_waitcnt lgkmcnt(0)
	v_add_f32_e32 v36, v36, v37
	v_cmp_gt_i32_e64 s[4:5], s25, v33
	v_max_f32_e32 v37, v30, v30
	v_mul_f32_e32 v38, s10, v38
	v_cndmask_b32_e64 v38, 0, v38, s[2:3]
	v_fmac_f32_e32 v38, s11, v36
	v_cndmask_b32_e64 v36, 0, v38, s[4:5]
	ds_write_b32 v34, v36
	v_max_f32_e32 v36, v37, v38
	v_cndmask_b32_e64 v30, v30, v36, s[4:5]
	s_branch .LBB164_9
.LBB164_12:
	s_or_b64 exec, exec, s[36:37]
.LBB164_13:
	s_or_b64 exec, exec, s[34:35]
	v_xor_b32_e32 v1, 32, v6
	v_cmp_lt_i32_e32 vcc, v1, v7
	v_cndmask_b32_e32 v1, v6, v1, vcc
	v_lshlrev_b32_e32 v2, 2, v1
	ds_bpermute_b32 v1, v2, v30
	v_xor_b32_e32 v5, 16, v6
	v_max_f32_e32 v3, v30, v30
	v_cmp_lt_i32_e32 vcc, v5, v7
	v_xor_b32_e32 v8, 8, v6
	s_waitcnt lgkmcnt(0)
	v_max_f32_e32 v1, v1, v1
	v_max_f32_e32 v1, v3, v1
	v_cndmask_b32_e32 v3, v6, v5, vcc
	v_lshlrev_b32_e32 v3, 2, v3
	ds_bpermute_b32 v5, v3, v1
	v_cmp_lt_i32_e32 vcc, v8, v7
	v_lshlrev_b32_e32 v9, 2, v4
	s_waitcnt lgkmcnt(0)
	v_max_f32_e32 v5, v5, v5
	v_max_f32_e32 v1, v1, v5
	v_cndmask_b32_e32 v5, v6, v8, vcc
	v_lshlrev_b32_e32 v11, 2, v5
	ds_bpermute_b32 v5, v11, v1
	v_xor_b32_e32 v8, 4, v6
	v_cmp_lt_i32_e32 vcc, v8, v7
	s_waitcnt lgkmcnt(0)
	v_max_f32_e32 v5, v5, v5
	v_max_f32_e32 v1, v1, v5
	v_cndmask_b32_e32 v5, v6, v8, vcc
	v_lshlrev_b32_e32 v14, 2, v5
	ds_bpermute_b32 v8, v14, v1
	v_and_b32_e32 v5, 63, v0
	v_cmp_eq_u32_e32 vcc, 0, v5
	s_and_saveexec_b64 s[2:3], vcc
	s_cbranch_execz .LBB164_15
; %bb.14:
	s_waitcnt lgkmcnt(0)
	v_max_f32_e32 v8, v8, v8
	v_max_f32_e32 v1, v1, v1
	;; [unrolled: 1-line block ×3, first 2 shown]
	ds_write_b32 v9, v1 offset:160
.LBB164_15:
	s_or_b64 exec, exec, s[2:3]
	v_cmp_gt_u32_e64 s[2:3], 2, v5
	s_waitcnt lgkmcnt(0)
	v_mov_b32_e32 v8, 0xff7fffff
	v_lshlrev_b32_e32 v10, 2, v5
	s_barrier
	s_and_saveexec_b64 s[4:5], s[2:3]
	s_cbranch_execz .LBB164_17
; %bb.16:
	ds_read_b32 v8, v10 offset:160
.LBB164_17:
	s_or_b64 exec, exec, s[4:5]
	v_xor_b32_e32 v1, 1, v6
	v_cmp_lt_i32_e64 s[4:5], v1, v7
	v_cndmask_b32_e64 v1, v6, v1, s[4:5]
	v_lshlrev_b32_e32 v1, 2, v1
	s_waitcnt lgkmcnt(0)
	ds_bpermute_b32 v15, v1, v8
	v_max_f32_e32 v8, v8, v8
	s_sub_i32 s4, s33, s7
	s_lshl_b32 s4, s4, 4
	s_add_i32 s4, s4, s40
	s_waitcnt lgkmcnt(0)
	v_max_f32_e32 v15, v15, v15
	v_max_f32_e32 v8, v8, v15
	v_lshlrev_b32_e32 v15, 2, v6
	v_and_b32_e32 v15, 0xffffff00, v15
	ds_bpermute_b32 v8, v15, v8
	s_min_i32 s15, s4, s25
	s_sub_i32 s7, s15, s40
	v_cmp_gt_i32_e64 s[4:5], s7, v0
	v_mov_b32_e32 v16, 0
	s_and_saveexec_b64 s[34:35], s[4:5]
	s_cbranch_execz .LBB164_21
; %bb.18:
	v_mov_b32_e32 v16, 0xb0
	v_lshl_add_u32 v17, v0, 2, v16
	s_mov_b64 s[36:37], 0
	v_mov_b32_e32 v16, 0
	v_mov_b32_e32 v18, v0
.LBB164_19:                             ; =>This Inner Loop Header: Depth=1
	ds_read_b32 v19, v17
	v_add_u32_e32 v18, 0x80, v18
	v_cmp_le_i32_e64 s[10:11], s7, v18
	s_or_b64 s[36:37], s[10:11], s[36:37]
	s_waitcnt lgkmcnt(0)
	v_sub_f32_e32 v19, v19, v8
	v_mul_f32_e32 v19, 0x3fb8aa3b, v19
	v_exp_f32_e32 v19, v19
	ds_write_b32 v17, v19
	v_add_f32_e32 v16, v16, v19
	v_add_u32_e32 v17, 0x200, v17
	s_andn2_b64 exec, exec, s[36:37]
	s_cbranch_execnz .LBB164_19
; %bb.20:
	s_or_b64 exec, exec, s[36:37]
.LBB164_21:
	s_or_b64 exec, exec, s[34:35]
	ds_bpermute_b32 v2, v2, v16
	s_waitcnt lgkmcnt(0)
	v_add_f32_e32 v2, v16, v2
	ds_bpermute_b32 v3, v3, v2
	s_waitcnt lgkmcnt(0)
	v_add_f32_e32 v2, v2, v3
	ds_bpermute_b32 v3, v11, v2
	v_xor_b32_e32 v11, 2, v6
	v_cmp_lt_i32_e64 s[10:11], v11, v7
	v_cndmask_b32_e64 v6, v6, v11, s[10:11]
	s_waitcnt lgkmcnt(0)
	v_add_f32_e32 v2, v2, v3
	ds_bpermute_b32 v3, v14, v2
	s_waitcnt lgkmcnt(0)
	v_add_f32_e32 v2, v2, v3
	v_lshlrev_b32_e32 v3, 2, v6
	ds_bpermute_b32 v3, v3, v2
	s_waitcnt lgkmcnt(0)
	v_add_f32_e32 v2, v2, v3
	ds_bpermute_b32 v3, v1, v2
	s_waitcnt lgkmcnt(0)
	v_add_f32_e32 v2, v2, v3
	s_and_saveexec_b64 s[10:11], vcc
	s_cbranch_execz .LBB164_23
; %bb.22:
	ds_write_b32 v9, v2 offset:168
.LBB164_23:
	s_or_b64 exec, exec, s[10:11]
	s_waitcnt lgkmcnt(0)
	s_barrier
	s_and_saveexec_b64 s[10:11], s[2:3]
	s_cbranch_execz .LBB164_25
; %bb.24:
	ds_read_b32 v2, v10 offset:168
.LBB164_25:
	s_or_b64 exec, exec, s[10:11]
	s_waitcnt lgkmcnt(0)
	ds_bpermute_b32 v3, v1, v2
	s_waitcnt lgkmcnt(0)
	v_add_f32_e32 v2, v2, v3
	ds_bpermute_b32 v6, v15, v2
	s_and_saveexec_b64 s[2:3], s[4:5]
	s_cbranch_execz .LBB164_38
; %bb.26:
	s_waitcnt lgkmcnt(0)
	v_add_f32_e32 v2, 0x358637bd, v6
	v_div_scale_f32 v3, s[4:5], v2, v2, 1.0
	v_rcp_f32_e32 v7, v3
	v_div_scale_f32 v9, vcc, 1.0, v2, 1.0
	s_movk_i32 s4, 0x7f
	v_fma_f32 v10, -v3, v7, 1.0
	v_fmac_f32_e32 v7, v10, v7
	v_mul_f32_e32 v10, v9, v7
	v_fma_f32 v11, -v3, v10, v9
	v_fmac_f32_e32 v10, v11, v7
	v_fma_f32 v3, -v3, v10, v9
	v_div_fmas_f32 v3, v3, v7, v10
	v_div_fixup_f32 v2, v3, v2, 1.0
	v_xad_u32 v3, v0, -1, s15
	v_subrev_u32_e32 v7, s40, v3
	v_cmp_lt_u32_e32 vcc, s4, v7
	s_mov_b64 s[10:11], -1
	v_mov_b32_e32 v3, v0
	s_and_saveexec_b64 s[4:5], vcc
	s_cbranch_execz .LBB164_35
; %bb.27:
	v_lshrrev_b32_e32 v7, 7, v7
	v_add_u32_e32 v10, -1, v7
	v_lshrrev_b32_e32 v9, 1, v10
	v_mov_b32_e32 v3, v2
	v_add_u32_e32 v9, 1, v9
	v_cmp_lt_u32_e32 vcc, 13, v10
	v_mov_b32_e32 v14, 0
	s_and_saveexec_b64 s[10:11], vcc
	s_cbranch_execz .LBB164_31
; %bb.28:
	v_mov_b32_e32 v11, 0xb0
	v_and_b32_e32 v10, -8, v9
	v_lshl_add_u32 v11, v0, 2, v11
	s_mov_b32 s15, 0
	s_mov_b64 s[34:35], 0
.LBB164_29:                             ; =>This Inner Loop Header: Depth=1
	ds_read2st64_b32 v[14:15], v11 offset1:2
	ds_read2st64_b32 v[16:17], v11 offset0:4 offset1:6
	ds_read2st64_b32 v[18:19], v11 offset0:8 offset1:10
	;; [unrolled: 1-line block ×3, first 2 shown]
	v_add_u32_e32 v10, -8, v10
	s_waitcnt lgkmcnt(3)
	v_pk_mul_f32 v[14:15], v[2:3], v[14:15]
	s_waitcnt lgkmcnt(2)
	v_pk_mul_f32 v[16:17], v[2:3], v[16:17]
	ds_write2st64_b32 v11, v14, v15 offset1:2
	ds_write2st64_b32 v11, v16, v17 offset0:4 offset1:6
	ds_read2st64_b32 v[16:17], v11 offset0:16 offset1:18
	s_waitcnt lgkmcnt(4)
	v_pk_mul_f32 v[14:15], v[2:3], v[18:19]
	ds_write2st64_b32 v11, v14, v15 offset0:8 offset1:10
	s_waitcnt lgkmcnt(4)
	v_pk_mul_f32 v[14:15], v[2:3], v[20:21]
	ds_write2st64_b32 v11, v14, v15 offset0:12 offset1:14
	ds_read2st64_b32 v[14:15], v11 offset0:20 offset1:22
	s_waitcnt lgkmcnt(3)
	v_pk_mul_f32 v[16:17], v[2:3], v[16:17]
	ds_read2st64_b32 v[18:19], v11 offset0:24 offset1:26
	ds_write2st64_b32 v11, v16, v17 offset0:16 offset1:18
	ds_read2st64_b32 v[16:17], v11 offset0:28 offset1:30
	s_waitcnt lgkmcnt(3)
	v_pk_mul_f32 v[14:15], v[2:3], v[14:15]
	ds_write2st64_b32 v11, v14, v15 offset0:20 offset1:22
	s_waitcnt lgkmcnt(3)
	v_pk_mul_f32 v[14:15], v[2:3], v[18:19]
	ds_write2st64_b32 v11, v14, v15 offset0:24 offset1:26
	s_waitcnt lgkmcnt(2)
	v_pk_mul_f32 v[14:15], v[2:3], v[16:17]
	s_add_i32 s15, s15, 16
	v_cmp_eq_u32_e32 vcc, 0, v10
	ds_write2st64_b32 v11, v14, v15 offset0:28 offset1:30
	v_add_u32_e32 v11, 0x2000, v11
	s_or_b64 s[34:35], vcc, s[34:35]
	v_mov_b32_e32 v14, s15
	s_andn2_b64 exec, exec, s[34:35]
	s_cbranch_execnz .LBB164_29
; %bb.30:
	s_or_b64 exec, exec, s[34:35]
.LBB164_31:
	s_or_b64 exec, exec, s[10:11]
	v_and_b32_e32 v9, 7, v9
	v_cmp_ne_u32_e32 vcc, 0, v9
	s_and_saveexec_b64 s[10:11], vcc
	s_cbranch_execz .LBB164_34
; %bb.32:
	v_lshlrev_b32_e32 v10, 9, v14
	v_lshlrev_b32_e32 v11, 2, v0
	s_movk_i32 s15, 0xb0
	v_add3_u32 v10, v10, v11, s15
	s_mov_b64 s[34:35], 0
.LBB164_33:                             ; =>This Inner Loop Header: Depth=1
	ds_read2st64_b32 v[14:15], v10 offset1:2
	v_add_u32_e32 v9, -1, v9
	v_cmp_eq_u32_e32 vcc, 0, v9
	s_or_b64 s[34:35], vcc, s[34:35]
	s_waitcnt lgkmcnt(0)
	v_pk_mul_f32 v[14:15], v[2:3], v[14:15]
	ds_write2st64_b32 v10, v14, v15 offset1:2
	v_add_u32_e32 v10, 0x400, v10
	s_andn2_b64 exec, exec, s[34:35]
	s_cbranch_execnz .LBB164_33
.LBB164_34:
	s_or_b64 exec, exec, s[10:11]
	v_add_u32_e32 v7, 1, v7
	v_and_b32_e32 v9, 0x3fffffe, v7
	v_cmp_ne_u32_e32 vcc, v7, v9
	v_lshl_add_u32 v3, v9, 7, v0
	s_orn2_b64 s[10:11], vcc, exec
.LBB164_35:
	s_or_b64 exec, exec, s[4:5]
	s_and_b64 exec, exec, s[10:11]
	s_cbranch_execz .LBB164_38
; %bb.36:
	v_mov_b32_e32 v7, 0xb0
	v_lshl_add_u32 v7, v3, 2, v7
	s_mov_b64 s[4:5], 0
.LBB164_37:                             ; =>This Inner Loop Header: Depth=1
	ds_read_b32 v9, v7
	v_add_u32_e32 v3, 0x80, v3
	v_cmp_le_i32_e32 vcc, s7, v3
	s_or_b64 s[4:5], vcc, s[4:5]
	s_waitcnt lgkmcnt(0)
	v_mul_f32_e32 v9, v2, v9
	ds_write_b32 v7, v9
	v_add_u32_e32 v7, 0x200, v7
	s_andn2_b64 exec, exec, s[4:5]
	s_cbranch_execnz .LBB164_37
.LBB164_38:
	s_or_b64 exec, exec, s[2:3]
	s_mul_i32 s2, s21, s24
	v_cmp_eq_u32_e32 vcc, 0, v0
	s_mul_i32 s4, s2, s9
	s_waitcnt lgkmcnt(0)
	s_barrier
	s_and_saveexec_b64 s[2:3], vcc
	s_cbranch_execz .LBB164_40
; %bb.39:
	s_ashr_i32 s5, s4, 31
	s_lshl_b64 s[10:11], s[4:5], 2
	s_add_u32 s5, s18, s10
	s_mul_i32 s6, s21, s6
	s_addc_u32 s9, s19, s11
	s_ashr_i32 s7, s6, 31
	s_lshl_b64 s[6:7], s[6:7], 2
	s_add_u32 s5, s5, s6
	s_addc_u32 s15, s9, s7
	s_ashr_i32 s9, s8, 31
	s_lshl_b64 s[18:19], s[8:9], 2
	s_add_u32 s34, s5, s18
	s_addc_u32 s35, s15, s19
	s_add_u32 s5, s16, s10
	s_addc_u32 s9, s17, s11
	;; [unrolled: 2-line block ×3, first 2 shown]
	s_add_u32 s6, s5, s18
	v_mov_b32_e32 v2, 0
	s_addc_u32 s7, s7, s19
	global_store_dword v2, v8, s[34:35]
	global_store_dword v2, v6, s[6:7]
.LBB164_40:
	s_or_b64 exec, exec, s[2:3]
	v_mov_b32_e32 v10, 0
	v_lshrrev_b32_e32 v18, 1, v5
	v_and_b32_e32 v11, 1, v0
	v_mov_b32_e32 v15, v10
	v_mov_b32_e32 v14, v10
	s_and_saveexec_b64 s[6:7], s[0:1]
	s_cbranch_execz .LBB164_180
; %bb.41:
	s_ashr_i32 s15, s14, 31
	v_lshlrev_b32_e32 v2, 3, v0
	s_lshl_b64 s[0:1], s[14:15], 1
	v_and_b32_e32 v3, 8, v2
	s_add_u32 s9, s30, s0
	v_or_b32_e32 v5, 64, v18
	s_movk_i32 s0, 0x50
	s_addc_u32 s14, s31, s1
	s_add_i32 s15, s12, -1
	v_cmp_gt_u32_e32 vcc, s0, v5
	v_lshl_or_b32 v6, v5, 4, v3
	v_lshl_add_u32 v5, v4, 4, s40
	s_lshl_b64 s[0:1], s[28:29], 2
	v_lshl_or_b32 v2, v18, 4, v3
	v_add3_u32 v20, v5, v3, 7
	v_lshlrev_b32_e32 v3, 5, v11
	s_add_u32 s0, s26, s0
	v_lshl_or_b32 v3, v4, 6, v3
	v_lshlrev_b64 v[4:5], 2, v[12:13]
	s_addc_u32 s1, s27, s1
	v_mov_b32_e32 v19, 0
	v_add_u32_e32 v21, 0xb0, v3
	v_mov_b32_e32 v3, s1
	v_add_co_u32_e64 v16, s[0:1], s0, v4
	s_mov_b32 s5, s13
	v_addc_co_u32_e64 v17, s[0:1], v3, v5, s[0:1]
	s_mov_b64 s[10:11], 0
	s_mov_b32 s16, 0x7f800000
	s_movk_i32 s17, 0x7fff
	v_lshlrev_b32_e32 v13, 1, v2
	v_lshlrev_b32_e32 v22, 1, v6
	v_mov_b32_e32 v14, 0
	v_mov_b32_e32 v15, v19
	v_mov_b32_e32 v10, v19
	s_branch .LBB164_44
.LBB164_42:                             ;   in Loop: Header=BB164_44 Depth=1
	s_or_b64 exec, exec, s[2:3]
	v_and_b32_e32 v24, 0xffff0000, v9
	v_and_b32_e32 v9, 0xffff0000, v8
	v_and_b32_e32 v8, 0xffff0000, v7
	v_and_b32_e32 v3, 0xffff0000, v3
	v_and_b32_e32 v2, 0xffff0000, v2
	v_and_b32_e32 v25, 0xffff0000, v23
	v_and_b32_e32 v5, 0xffff0000, v5
	v_and_b32_e32 v4, 0xffff0000, v4
	v_pk_add_f32 v[2:3], v[2:3], v[8:9]
	v_pk_add_f32 v[4:5], v[4:5], v[24:25]
	v_add_f32_e32 v2, v2, v3
	v_add_f32_e32 v2, v2, v4
	;; [unrolled: 1-line block ×4, first 2 shown]
.LBB164_43:                             ;   in Loop: Header=BB164_44 Depth=1
	s_or_b64 exec, exec, s[12:13]
	v_add_u32_e32 v12, 2, v12
	v_cmp_le_i32_e64 s[0:1], s33, v12
	s_or_b64 s[10:11], s[0:1], s[10:11]
	v_add_co_u32_e64 v16, s[0:1], 8, v16
	v_add_u32_e32 v20, 32, v20
	v_add_u32_e32 v21, 0x80, v21
	v_addc_co_u32_e64 v17, s[0:1], 0, v17, s[0:1]
	s_andn2_b64 exec, exec, s[10:11]
	s_cbranch_execz .LBB164_179
.LBB164_44:                             ; =>This Inner Loop Header: Depth=1
	global_load_dword v23, v[16:17], off
	ds_read2_b64 v[6:9], v21 offset1:1
	ds_read2_b64 v[2:5], v21 offset0:2 offset1:3
	s_waitcnt lgkmcnt(1)
	v_and_b32_e32 v24, 0x7f800000, v6
	v_cmp_ne_u32_e64 s[0:1], s16, v24
                                        ; implicit-def: $vgpr24
	s_and_saveexec_b64 s[2:3], s[0:1]
	s_xor_b64 s[0:1], exec, s[2:3]
; %bb.45:                               ;   in Loop: Header=BB164_44 Depth=1
	v_bfe_u32 v24, v6, 16, 1
	v_add3_u32 v24, v6, v24, s17
; %bb.46:                               ;   in Loop: Header=BB164_44 Depth=1
	s_andn2_saveexec_b64 s[2:3], s[0:1]
; %bb.47:                               ;   in Loop: Header=BB164_44 Depth=1
	v_or_b32_e32 v24, 0x10000, v6
	v_cmp_eq_u32_sdwa s[0:1], v6, v19 src0_sel:WORD_0 src1_sel:DWORD
	v_cndmask_b32_e64 v24, v24, v6, s[0:1]
; %bb.48:                               ;   in Loop: Header=BB164_44 Depth=1
	s_or_b64 exec, exec, s[2:3]
	v_and_b32_e32 v6, 0x7f800000, v7
	v_cmp_ne_u32_e64 s[0:1], s16, v6
                                        ; implicit-def: $vgpr25
	s_and_saveexec_b64 s[2:3], s[0:1]
	s_xor_b64 s[0:1], exec, s[2:3]
; %bb.49:                               ;   in Loop: Header=BB164_44 Depth=1
	v_bfe_u32 v6, v7, 16, 1
	v_add3_u32 v25, v7, v6, s17
; %bb.50:                               ;   in Loop: Header=BB164_44 Depth=1
	s_andn2_saveexec_b64 s[2:3], s[0:1]
; %bb.51:                               ;   in Loop: Header=BB164_44 Depth=1
	v_or_b32_e32 v6, 0x10000, v7
	v_cmp_eq_u32_sdwa s[0:1], v7, v19 src0_sel:WORD_0 src1_sel:DWORD
	v_cndmask_b32_e64 v25, v6, v7, s[0:1]
; %bb.52:                               ;   in Loop: Header=BB164_44 Depth=1
	s_or_b64 exec, exec, s[2:3]
	v_and_b32_e32 v6, 0x7f800000, v8
	v_cmp_ne_u32_e64 s[0:1], s16, v6
                                        ; implicit-def: $vgpr26
	s_and_saveexec_b64 s[2:3], s[0:1]
	s_xor_b64 s[0:1], exec, s[2:3]
; %bb.53:                               ;   in Loop: Header=BB164_44 Depth=1
	v_bfe_u32 v6, v8, 16, 1
	v_add3_u32 v26, v8, v6, s17
; %bb.54:                               ;   in Loop: Header=BB164_44 Depth=1
	s_andn2_saveexec_b64 s[2:3], s[0:1]
; %bb.55:                               ;   in Loop: Header=BB164_44 Depth=1
	v_or_b32_e32 v6, 0x10000, v8
	v_cmp_eq_u32_sdwa s[0:1], v8, v19 src0_sel:WORD_0 src1_sel:DWORD
	v_cndmask_b32_e64 v26, v6, v8, s[0:1]
; %bb.56:                               ;   in Loop: Header=BB164_44 Depth=1
	s_or_b64 exec, exec, s[2:3]
	v_and_b32_e32 v6, 0x7f800000, v9
	v_cmp_ne_u32_e64 s[0:1], s16, v6
                                        ; implicit-def: $vgpr27
	s_and_saveexec_b64 s[2:3], s[0:1]
	s_xor_b64 s[0:1], exec, s[2:3]
; %bb.57:                               ;   in Loop: Header=BB164_44 Depth=1
	v_bfe_u32 v6, v9, 16, 1
	v_add3_u32 v27, v9, v6, s17
                                        ; implicit-def: $vgpr6_vgpr7_vgpr8_vgpr9
; %bb.58:                               ;   in Loop: Header=BB164_44 Depth=1
	s_andn2_saveexec_b64 s[2:3], s[0:1]
; %bb.59:                               ;   in Loop: Header=BB164_44 Depth=1
	v_or_b32_e32 v6, 0x10000, v9
	v_cmp_eq_u32_sdwa s[0:1], v9, v19 src0_sel:WORD_0 src1_sel:DWORD
	v_cndmask_b32_e64 v27, v6, v9, s[0:1]
; %bb.60:                               ;   in Loop: Header=BB164_44 Depth=1
	s_or_b64 exec, exec, s[2:3]
	s_waitcnt lgkmcnt(0)
	v_and_b32_e32 v6, 0x7f800000, v2
	v_cmp_ne_u32_e64 s[0:1], s16, v6
                                        ; implicit-def: $vgpr28
	s_and_saveexec_b64 s[2:3], s[0:1]
	s_xor_b64 s[0:1], exec, s[2:3]
; %bb.61:                               ;   in Loop: Header=BB164_44 Depth=1
	v_bfe_u32 v6, v2, 16, 1
	v_add3_u32 v28, v2, v6, s17
; %bb.62:                               ;   in Loop: Header=BB164_44 Depth=1
	s_andn2_saveexec_b64 s[2:3], s[0:1]
; %bb.63:                               ;   in Loop: Header=BB164_44 Depth=1
	v_or_b32_e32 v6, 0x10000, v2
	v_cmp_eq_u32_sdwa s[0:1], v2, v19 src0_sel:WORD_0 src1_sel:DWORD
	v_cndmask_b32_e64 v28, v6, v2, s[0:1]
; %bb.64:                               ;   in Loop: Header=BB164_44 Depth=1
	s_or_b64 exec, exec, s[2:3]
	v_and_b32_e32 v2, 0x7f800000, v3
	v_cmp_ne_u32_e64 s[0:1], s16, v2
                                        ; implicit-def: $vgpr29
	s_and_saveexec_b64 s[2:3], s[0:1]
	s_xor_b64 s[0:1], exec, s[2:3]
; %bb.65:                               ;   in Loop: Header=BB164_44 Depth=1
	v_bfe_u32 v2, v3, 16, 1
	v_add3_u32 v29, v3, v2, s17
; %bb.66:                               ;   in Loop: Header=BB164_44 Depth=1
	s_andn2_saveexec_b64 s[2:3], s[0:1]
; %bb.67:                               ;   in Loop: Header=BB164_44 Depth=1
	v_or_b32_e32 v2, 0x10000, v3
	v_cmp_eq_u32_sdwa s[0:1], v3, v19 src0_sel:WORD_0 src1_sel:DWORD
	v_cndmask_b32_e64 v29, v2, v3, s[0:1]
; %bb.68:                               ;   in Loop: Header=BB164_44 Depth=1
	s_or_b64 exec, exec, s[2:3]
	v_and_b32_e32 v2, 0x7f800000, v4
	v_cmp_ne_u32_e64 s[0:1], s16, v2
                                        ; implicit-def: $vgpr30
	s_and_saveexec_b64 s[2:3], s[0:1]
	s_xor_b64 s[0:1], exec, s[2:3]
; %bb.69:                               ;   in Loop: Header=BB164_44 Depth=1
	v_bfe_u32 v2, v4, 16, 1
	v_add3_u32 v30, v4, v2, s17
; %bb.70:                               ;   in Loop: Header=BB164_44 Depth=1
	s_andn2_saveexec_b64 s[2:3], s[0:1]
; %bb.71:                               ;   in Loop: Header=BB164_44 Depth=1
	v_or_b32_e32 v2, 0x10000, v4
	v_cmp_eq_u32_sdwa s[0:1], v4, v19 src0_sel:WORD_0 src1_sel:DWORD
	v_cndmask_b32_e64 v30, v2, v4, s[0:1]
; %bb.72:                               ;   in Loop: Header=BB164_44 Depth=1
	s_or_b64 exec, exec, s[2:3]
	v_and_b32_e32 v2, 0x7f800000, v5
	v_cmp_ne_u32_e64 s[0:1], s16, v2
                                        ; implicit-def: $vgpr31
	s_and_saveexec_b64 s[2:3], s[0:1]
	s_xor_b64 s[0:1], exec, s[2:3]
; %bb.73:                               ;   in Loop: Header=BB164_44 Depth=1
	v_bfe_u32 v2, v5, 16, 1
	v_add3_u32 v31, v5, v2, s17
                                        ; implicit-def: $vgpr2_vgpr3_vgpr4_vgpr5
; %bb.74:                               ;   in Loop: Header=BB164_44 Depth=1
	s_andn2_saveexec_b64 s[2:3], s[0:1]
; %bb.75:                               ;   in Loop: Header=BB164_44 Depth=1
	v_or_b32_e32 v2, 0x10000, v5
	v_cmp_eq_u32_sdwa s[0:1], v5, v19 src0_sel:WORD_0 src1_sel:DWORD
	v_cndmask_b32_e64 v31, v2, v5, s[0:1]
; %bb.76:                               ;   in Loop: Header=BB164_44 Depth=1
	s_or_b64 exec, exec, s[2:3]
	s_waitcnt vmcnt(0)
	v_mad_i64_i32 v[2:3], s[0:1], v23, s5, 0
	v_lshlrev_b64 v[2:3], 1, v[2:3]
	v_mov_b32_e32 v4, s14
	v_add_co_u32_e64 v9, s[0:1], s9, v2
	v_addc_co_u32_e64 v23, s[0:1], v4, v3, s[0:1]
	v_add_co_u32_e64 v6, s[0:1], v9, v13
	v_addc_co_u32_e64 v7, s[0:1], 0, v23, s[0:1]
	global_load_dwordx4 v[2:5], v[6:7], off
	v_add_u32_e32 v8, -7, v20
	v_cmp_eq_u32_e64 s[0:1], s15, v12
	s_waitcnt vmcnt(0)
	v_lshrrev_b32_e32 v33, 16, v2
	v_lshrrev_b32_e32 v35, 16, v3
	;; [unrolled: 1-line block ×4, first 2 shown]
	s_and_saveexec_b64 s[12:13], s[0:1]
	s_cbranch_execz .LBB164_78
; %bb.77:                               ;   in Loop: Header=BB164_44 Depth=1
	v_cmp_gt_i32_e64 s[2:3], s25, v8
	v_add_u32_e32 v32, -6, v20
	v_cndmask_b32_e64 v2, 0, v2, s[2:3]
	v_cmp_gt_i32_e64 s[2:3], s25, v32
	v_add_u32_e32 v32, -5, v20
	v_cndmask_b32_e64 v33, 0, v33, s[2:3]
	;; [unrolled: 3-line block ×6, first 2 shown]
	v_cmp_gt_i32_e64 s[2:3], s25, v32
	v_cndmask_b32_e64 v5, 0, v5, s[2:3]
	v_cmp_gt_i32_e64 s[2:3], s25, v20
	v_cndmask_b32_e64 v39, 0, v39, s[2:3]
.LBB164_78:                             ;   in Loop: Header=BB164_44 Depth=1
	s_or_b64 exec, exec, s[12:13]
	v_and_b32_e32 v24, 0xffff0000, v24
	v_lshlrev_b32_e32 v2, 16, v2
	v_mul_f32_e32 v2, v24, v2
	v_and_b32_e32 v32, 0x7f800000, v2
	v_cmp_ne_u32_e64 s[2:3], s16, v32
                                        ; implicit-def: $vgpr32
	s_and_saveexec_b64 s[12:13], s[2:3]
	s_xor_b64 s[2:3], exec, s[12:13]
; %bb.79:                               ;   in Loop: Header=BB164_44 Depth=1
	v_bfe_u32 v32, v2, 16, 1
	v_add3_u32 v32, v2, v32, s17
                                        ; implicit-def: $vgpr2
; %bb.80:                               ;   in Loop: Header=BB164_44 Depth=1
	s_andn2_saveexec_b64 s[12:13], s[2:3]
; %bb.81:                               ;   in Loop: Header=BB164_44 Depth=1
	v_or_b32_e32 v32, 0x10000, v2
	v_cmp_eq_u32_sdwa s[2:3], v2, v19 src0_sel:WORD_0 src1_sel:DWORD
	v_cndmask_b32_e64 v32, v32, v2, s[2:3]
; %bb.82:                               ;   in Loop: Header=BB164_44 Depth=1
	s_or_b64 exec, exec, s[12:13]
	v_and_b32_e32 v25, 0xffff0000, v25
	v_lshlrev_b32_e32 v2, 16, v33
	v_mul_f32_e32 v2, v25, v2
	v_and_b32_e32 v33, 0x7f800000, v2
	v_cmp_ne_u32_e64 s[2:3], s16, v33
                                        ; implicit-def: $vgpr33
	s_and_saveexec_b64 s[12:13], s[2:3]
	s_xor_b64 s[2:3], exec, s[12:13]
; %bb.83:                               ;   in Loop: Header=BB164_44 Depth=1
	v_bfe_u32 v33, v2, 16, 1
	v_add3_u32 v33, v2, v33, s17
                                        ; implicit-def: $vgpr2
; %bb.84:                               ;   in Loop: Header=BB164_44 Depth=1
	s_andn2_saveexec_b64 s[12:13], s[2:3]
; %bb.85:                               ;   in Loop: Header=BB164_44 Depth=1
	v_or_b32_e32 v33, 0x10000, v2
	v_cmp_eq_u32_sdwa s[2:3], v2, v19 src0_sel:WORD_0 src1_sel:DWORD
	v_cndmask_b32_e64 v33, v33, v2, s[2:3]
; %bb.86:                               ;   in Loop: Header=BB164_44 Depth=1
	s_or_b64 exec, exec, s[12:13]
	v_and_b32_e32 v26, 0xffff0000, v26
	v_lshlrev_b32_e32 v2, 16, v3
	v_mul_f32_e32 v2, v26, v2
	v_and_b32_e32 v3, 0x7f800000, v2
	v_cmp_ne_u32_e64 s[2:3], s16, v3
                                        ; implicit-def: $vgpr34
	s_and_saveexec_b64 s[12:13], s[2:3]
	s_xor_b64 s[2:3], exec, s[12:13]
; %bb.87:                               ;   in Loop: Header=BB164_44 Depth=1
	v_bfe_u32 v3, v2, 16, 1
	v_add3_u32 v34, v2, v3, s17
                                        ; implicit-def: $vgpr2
; %bb.88:                               ;   in Loop: Header=BB164_44 Depth=1
	s_andn2_saveexec_b64 s[12:13], s[2:3]
; %bb.89:                               ;   in Loop: Header=BB164_44 Depth=1
	v_or_b32_e32 v3, 0x10000, v2
	v_cmp_eq_u32_sdwa s[2:3], v2, v19 src0_sel:WORD_0 src1_sel:DWORD
	v_cndmask_b32_e64 v34, v3, v2, s[2:3]
; %bb.90:                               ;   in Loop: Header=BB164_44 Depth=1
	s_or_b64 exec, exec, s[12:13]
	v_and_b32_e32 v27, 0xffff0000, v27
	v_lshlrev_b32_e32 v2, 16, v35
	v_mul_f32_e32 v2, v27, v2
	v_and_b32_e32 v3, 0x7f800000, v2
	v_cmp_ne_u32_e64 s[2:3], s16, v3
                                        ; implicit-def: $vgpr35
	s_and_saveexec_b64 s[12:13], s[2:3]
	s_xor_b64 s[2:3], exec, s[12:13]
; %bb.91:                               ;   in Loop: Header=BB164_44 Depth=1
	v_bfe_u32 v3, v2, 16, 1
	v_add3_u32 v35, v2, v3, s17
                                        ; implicit-def: $vgpr2
; %bb.92:                               ;   in Loop: Header=BB164_44 Depth=1
	s_andn2_saveexec_b64 s[12:13], s[2:3]
; %bb.93:                               ;   in Loop: Header=BB164_44 Depth=1
	v_or_b32_e32 v3, 0x10000, v2
	v_cmp_eq_u32_sdwa s[2:3], v2, v19 src0_sel:WORD_0 src1_sel:DWORD
	v_cndmask_b32_e64 v35, v3, v2, s[2:3]
; %bb.94:                               ;   in Loop: Header=BB164_44 Depth=1
	s_or_b64 exec, exec, s[12:13]
	v_and_b32_e32 v28, 0xffff0000, v28
	v_lshlrev_b32_e32 v2, 16, v4
	v_mul_f32_e32 v2, v28, v2
	v_and_b32_e32 v3, 0x7f800000, v2
	v_cmp_ne_u32_e64 s[2:3], s16, v3
                                        ; implicit-def: $vgpr36
	s_and_saveexec_b64 s[12:13], s[2:3]
	s_xor_b64 s[2:3], exec, s[12:13]
; %bb.95:                               ;   in Loop: Header=BB164_44 Depth=1
	v_bfe_u32 v3, v2, 16, 1
	v_add3_u32 v36, v2, v3, s17
                                        ; implicit-def: $vgpr2
; %bb.96:                               ;   in Loop: Header=BB164_44 Depth=1
	s_andn2_saveexec_b64 s[12:13], s[2:3]
; %bb.97:                               ;   in Loop: Header=BB164_44 Depth=1
	v_or_b32_e32 v3, 0x10000, v2
	v_cmp_eq_u32_sdwa s[2:3], v2, v19 src0_sel:WORD_0 src1_sel:DWORD
	v_cndmask_b32_e64 v36, v3, v2, s[2:3]
; %bb.98:                               ;   in Loop: Header=BB164_44 Depth=1
	s_or_b64 exec, exec, s[12:13]
	v_and_b32_e32 v29, 0xffff0000, v29
	v_lshlrev_b32_e32 v2, 16, v37
	v_mul_f32_e32 v2, v29, v2
	v_and_b32_e32 v3, 0x7f800000, v2
	v_cmp_ne_u32_e64 s[2:3], s16, v3
                                        ; implicit-def: $vgpr37
	s_and_saveexec_b64 s[12:13], s[2:3]
	s_xor_b64 s[2:3], exec, s[12:13]
; %bb.99:                               ;   in Loop: Header=BB164_44 Depth=1
	v_bfe_u32 v3, v2, 16, 1
	v_add3_u32 v37, v2, v3, s17
                                        ; implicit-def: $vgpr2
; %bb.100:                              ;   in Loop: Header=BB164_44 Depth=1
	s_andn2_saveexec_b64 s[12:13], s[2:3]
; %bb.101:                              ;   in Loop: Header=BB164_44 Depth=1
	v_or_b32_e32 v3, 0x10000, v2
	v_cmp_eq_u32_sdwa s[2:3], v2, v19 src0_sel:WORD_0 src1_sel:DWORD
	v_cndmask_b32_e64 v37, v3, v2, s[2:3]
; %bb.102:                              ;   in Loop: Header=BB164_44 Depth=1
	s_or_b64 exec, exec, s[12:13]
	v_and_b32_e32 v30, 0xffff0000, v30
	v_lshlrev_b32_e32 v2, 16, v5
	v_mul_f32_e32 v2, v30, v2
	v_and_b32_e32 v3, 0x7f800000, v2
	v_cmp_ne_u32_e64 s[2:3], s16, v3
                                        ; implicit-def: $vgpr38
	s_and_saveexec_b64 s[12:13], s[2:3]
	s_xor_b64 s[2:3], exec, s[12:13]
; %bb.103:                              ;   in Loop: Header=BB164_44 Depth=1
	v_bfe_u32 v3, v2, 16, 1
	v_add3_u32 v38, v2, v3, s17
                                        ; implicit-def: $vgpr2
; %bb.104:                              ;   in Loop: Header=BB164_44 Depth=1
	s_andn2_saveexec_b64 s[12:13], s[2:3]
; %bb.105:                              ;   in Loop: Header=BB164_44 Depth=1
	v_or_b32_e32 v3, 0x10000, v2
	v_cmp_eq_u32_sdwa s[2:3], v2, v19 src0_sel:WORD_0 src1_sel:DWORD
	v_cndmask_b32_e64 v38, v3, v2, s[2:3]
; %bb.106:                              ;   in Loop: Header=BB164_44 Depth=1
	s_or_b64 exec, exec, s[12:13]
	v_and_b32_e32 v31, 0xffff0000, v31
	v_lshlrev_b32_e32 v2, 16, v39
	v_mul_f32_e32 v2, v31, v2
	v_and_b32_e32 v3, 0x7f800000, v2
	v_cmp_ne_u32_e64 s[2:3], s16, v3
                                        ; implicit-def: $vgpr39
	s_and_saveexec_b64 s[12:13], s[2:3]
	s_xor_b64 s[2:3], exec, s[12:13]
; %bb.107:                              ;   in Loop: Header=BB164_44 Depth=1
	v_bfe_u32 v3, v2, 16, 1
	v_add3_u32 v39, v2, v3, s17
                                        ; implicit-def: $vgpr2
; %bb.108:                              ;   in Loop: Header=BB164_44 Depth=1
	s_andn2_saveexec_b64 s[12:13], s[2:3]
; %bb.109:                              ;   in Loop: Header=BB164_44 Depth=1
	v_or_b32_e32 v3, 0x10000, v2
	v_cmp_eq_u32_sdwa s[2:3], v2, v19 src0_sel:WORD_0 src1_sel:DWORD
	v_cndmask_b32_e64 v39, v3, v2, s[2:3]
; %bb.110:                              ;   in Loop: Header=BB164_44 Depth=1
	s_or_b64 exec, exec, s[12:13]
	global_load_dwordx4 v[2:5], v[6:7], off offset:1024
	s_waitcnt vmcnt(0)
	v_lshrrev_b32_e32 v7, 16, v2
	v_lshrrev_b32_e32 v41, 16, v3
	;; [unrolled: 1-line block ×4, first 2 shown]
	s_and_saveexec_b64 s[12:13], s[0:1]
	s_cbranch_execz .LBB164_112
; %bb.111:                              ;   in Loop: Header=BB164_44 Depth=1
	v_cmp_gt_i32_e64 s[2:3], s25, v8
	v_add_u32_e32 v42, -6, v20
	v_cndmask_b32_e64 v2, 0, v2, s[2:3]
	v_cmp_gt_i32_e64 s[2:3], s25, v42
	v_add_u32_e32 v42, -5, v20
	v_cndmask_b32_e64 v7, 0, v7, s[2:3]
	;; [unrolled: 3-line block ×6, first 2 shown]
	v_cmp_gt_i32_e64 s[2:3], s25, v42
	v_cndmask_b32_e64 v5, 0, v5, s[2:3]
	v_cmp_gt_i32_e64 s[2:3], s25, v20
	v_cndmask_b32_e64 v6, 0, v6, s[2:3]
.LBB164_112:                            ;   in Loop: Header=BB164_44 Depth=1
	s_or_b64 exec, exec, s[12:13]
	v_lshlrev_b32_e32 v2, 16, v2
	v_mul_f32_e32 v42, v24, v2
	v_and_b32_e32 v2, 0x7f800000, v42
	v_cmp_ne_u32_e64 s[2:3], s16, v2
                                        ; implicit-def: $vgpr2
	s_and_saveexec_b64 s[12:13], s[2:3]
	s_xor_b64 s[2:3], exec, s[12:13]
; %bb.113:                              ;   in Loop: Header=BB164_44 Depth=1
	v_bfe_u32 v2, v42, 16, 1
	v_add3_u32 v2, v42, v2, s17
                                        ; implicit-def: $vgpr42
; %bb.114:                              ;   in Loop: Header=BB164_44 Depth=1
	s_andn2_saveexec_b64 s[12:13], s[2:3]
; %bb.115:                              ;   in Loop: Header=BB164_44 Depth=1
	v_or_b32_e32 v2, 0x10000, v42
	v_cmp_eq_u32_sdwa s[2:3], v42, v19 src0_sel:WORD_0 src1_sel:DWORD
	v_cndmask_b32_e64 v2, v2, v42, s[2:3]
; %bb.116:                              ;   in Loop: Header=BB164_44 Depth=1
	s_or_b64 exec, exec, s[12:13]
	v_lshlrev_b32_e32 v7, 16, v7
	v_mul_f32_e32 v42, v25, v7
	v_and_b32_e32 v7, 0x7f800000, v42
	v_cmp_ne_u32_e64 s[2:3], s16, v7
                                        ; implicit-def: $vgpr7
	s_and_saveexec_b64 s[12:13], s[2:3]
	s_xor_b64 s[2:3], exec, s[12:13]
; %bb.117:                              ;   in Loop: Header=BB164_44 Depth=1
	v_bfe_u32 v7, v42, 16, 1
	v_add3_u32 v7, v42, v7, s17
                                        ; implicit-def: $vgpr42
; %bb.118:                              ;   in Loop: Header=BB164_44 Depth=1
	s_andn2_saveexec_b64 s[12:13], s[2:3]
; %bb.119:                              ;   in Loop: Header=BB164_44 Depth=1
	v_or_b32_e32 v7, 0x10000, v42
	v_cmp_eq_u32_sdwa s[2:3], v42, v19 src0_sel:WORD_0 src1_sel:DWORD
	v_cndmask_b32_e64 v7, v7, v42, s[2:3]
; %bb.120:                              ;   in Loop: Header=BB164_44 Depth=1
	s_or_b64 exec, exec, s[12:13]
	v_lshlrev_b32_e32 v3, 16, v3
	v_mul_f32_e32 v42, v26, v3
	v_and_b32_e32 v3, 0x7f800000, v42
	v_cmp_ne_u32_e64 s[2:3], s16, v3
                                        ; implicit-def: $vgpr3
	s_and_saveexec_b64 s[12:13], s[2:3]
	s_xor_b64 s[2:3], exec, s[12:13]
; %bb.121:                              ;   in Loop: Header=BB164_44 Depth=1
	v_bfe_u32 v3, v42, 16, 1
	v_add3_u32 v3, v42, v3, s17
                                        ; implicit-def: $vgpr42
; %bb.122:                              ;   in Loop: Header=BB164_44 Depth=1
	s_andn2_saveexec_b64 s[12:13], s[2:3]
; %bb.123:                              ;   in Loop: Header=BB164_44 Depth=1
	v_or_b32_e32 v3, 0x10000, v42
	v_cmp_eq_u32_sdwa s[2:3], v42, v19 src0_sel:WORD_0 src1_sel:DWORD
	v_cndmask_b32_e64 v3, v3, v42, s[2:3]
; %bb.124:                              ;   in Loop: Header=BB164_44 Depth=1
	s_or_b64 exec, exec, s[12:13]
	v_lshlrev_b32_e32 v41, 16, v41
	v_mul_f32_e32 v42, v27, v41
	v_and_b32_e32 v41, 0x7f800000, v42
	v_cmp_ne_u32_e64 s[2:3], s16, v41
                                        ; implicit-def: $vgpr41
	s_and_saveexec_b64 s[12:13], s[2:3]
	s_xor_b64 s[2:3], exec, s[12:13]
; %bb.125:                              ;   in Loop: Header=BB164_44 Depth=1
	v_bfe_u32 v41, v42, 16, 1
	v_add3_u32 v41, v42, v41, s17
                                        ; implicit-def: $vgpr42
; %bb.126:                              ;   in Loop: Header=BB164_44 Depth=1
	s_andn2_saveexec_b64 s[12:13], s[2:3]
; %bb.127:                              ;   in Loop: Header=BB164_44 Depth=1
	v_or_b32_e32 v41, 0x10000, v42
	v_cmp_eq_u32_sdwa s[2:3], v42, v19 src0_sel:WORD_0 src1_sel:DWORD
	v_cndmask_b32_e64 v41, v41, v42, s[2:3]
; %bb.128:                              ;   in Loop: Header=BB164_44 Depth=1
	s_or_b64 exec, exec, s[12:13]
	v_lshlrev_b32_e32 v4, 16, v4
	v_mul_f32_e32 v42, v28, v4
	v_and_b32_e32 v4, 0x7f800000, v42
	v_cmp_ne_u32_e64 s[2:3], s16, v4
                                        ; implicit-def: $vgpr4
	s_and_saveexec_b64 s[12:13], s[2:3]
	s_xor_b64 s[2:3], exec, s[12:13]
; %bb.129:                              ;   in Loop: Header=BB164_44 Depth=1
	v_bfe_u32 v4, v42, 16, 1
	v_add3_u32 v4, v42, v4, s17
                                        ; implicit-def: $vgpr42
; %bb.130:                              ;   in Loop: Header=BB164_44 Depth=1
	s_andn2_saveexec_b64 s[12:13], s[2:3]
; %bb.131:                              ;   in Loop: Header=BB164_44 Depth=1
	v_or_b32_e32 v4, 0x10000, v42
	v_cmp_eq_u32_sdwa s[2:3], v42, v19 src0_sel:WORD_0 src1_sel:DWORD
	v_cndmask_b32_e64 v4, v4, v42, s[2:3]
; %bb.132:                              ;   in Loop: Header=BB164_44 Depth=1
	s_or_b64 exec, exec, s[12:13]
	v_lshlrev_b32_e32 v40, 16, v40
	v_mul_f32_e32 v42, v29, v40
	v_and_b32_e32 v40, 0x7f800000, v42
	v_cmp_ne_u32_e64 s[2:3], s16, v40
                                        ; implicit-def: $vgpr40
	s_and_saveexec_b64 s[12:13], s[2:3]
	s_xor_b64 s[2:3], exec, s[12:13]
; %bb.133:                              ;   in Loop: Header=BB164_44 Depth=1
	v_bfe_u32 v40, v42, 16, 1
	v_add3_u32 v40, v42, v40, s17
                                        ; implicit-def: $vgpr42
; %bb.134:                              ;   in Loop: Header=BB164_44 Depth=1
	s_andn2_saveexec_b64 s[12:13], s[2:3]
; %bb.135:                              ;   in Loop: Header=BB164_44 Depth=1
	v_or_b32_e32 v40, 0x10000, v42
	v_cmp_eq_u32_sdwa s[2:3], v42, v19 src0_sel:WORD_0 src1_sel:DWORD
	v_cndmask_b32_e64 v40, v40, v42, s[2:3]
; %bb.136:                              ;   in Loop: Header=BB164_44 Depth=1
	s_or_b64 exec, exec, s[12:13]
	v_lshlrev_b32_e32 v5, 16, v5
	v_mul_f32_e32 v42, v30, v5
	v_and_b32_e32 v5, 0x7f800000, v42
	v_cmp_ne_u32_e64 s[2:3], s16, v5
                                        ; implicit-def: $vgpr5
	s_and_saveexec_b64 s[12:13], s[2:3]
	s_xor_b64 s[2:3], exec, s[12:13]
; %bb.137:                              ;   in Loop: Header=BB164_44 Depth=1
	v_bfe_u32 v5, v42, 16, 1
	v_add3_u32 v5, v42, v5, s17
                                        ; implicit-def: $vgpr42
; %bb.138:                              ;   in Loop: Header=BB164_44 Depth=1
	s_andn2_saveexec_b64 s[12:13], s[2:3]
; %bb.139:                              ;   in Loop: Header=BB164_44 Depth=1
	v_or_b32_e32 v5, 0x10000, v42
	v_cmp_eq_u32_sdwa s[2:3], v42, v19 src0_sel:WORD_0 src1_sel:DWORD
	v_cndmask_b32_e64 v5, v5, v42, s[2:3]
; %bb.140:                              ;   in Loop: Header=BB164_44 Depth=1
	s_or_b64 exec, exec, s[12:13]
	v_lshlrev_b32_e32 v6, 16, v6
	v_mul_f32_e32 v42, v31, v6
	v_and_b32_e32 v6, 0x7f800000, v42
	v_cmp_ne_u32_e64 s[2:3], s16, v6
                                        ; implicit-def: $vgpr6
	s_and_saveexec_b64 s[12:13], s[2:3]
	s_xor_b64 s[2:3], exec, s[12:13]
; %bb.141:                              ;   in Loop: Header=BB164_44 Depth=1
	v_bfe_u32 v6, v42, 16, 1
	v_add3_u32 v6, v42, v6, s17
                                        ; implicit-def: $vgpr42
; %bb.142:                              ;   in Loop: Header=BB164_44 Depth=1
	s_andn2_saveexec_b64 s[12:13], s[2:3]
; %bb.143:                              ;   in Loop: Header=BB164_44 Depth=1
	v_or_b32_e32 v6, 0x10000, v42
	v_cmp_eq_u32_sdwa s[2:3], v42, v19 src0_sel:WORD_0 src1_sel:DWORD
	v_cndmask_b32_e64 v6, v6, v42, s[2:3]
; %bb.144:                              ;   in Loop: Header=BB164_44 Depth=1
	s_or_b64 exec, exec, s[12:13]
	v_and_b32_e32 v43, 0xffff0000, v39
	v_and_b32_e32 v42, 0xffff0000, v37
	;; [unrolled: 1-line block ×8, first 2 shown]
	v_pk_add_f32 v[32:33], v[32:33], v[38:39]
	v_pk_add_f32 v[34:35], v[36:37], v[42:43]
	v_add_f32_e32 v32, v32, v33
	v_add_f32_e32 v32, v32, v34
	;; [unrolled: 1-line block ×3, first 2 shown]
	v_and_b32_e32 v35, 0xffff0000, v41
	v_and_b32_e32 v34, 0xffff0000, v7
	;; [unrolled: 1-line block ×4, first 2 shown]
	v_add_f32_e32 v14, v14, v32
	v_and_b32_e32 v33, 0xffff0000, v6
	v_and_b32_e32 v32, 0xffff0000, v40
	;; [unrolled: 1-line block ×4, first 2 shown]
	v_pk_add_f32 v[2:3], v[2:3], v[34:35]
	v_pk_add_f32 v[4:5], v[4:5], v[32:33]
	v_add_f32_e32 v2, v2, v3
	v_add_f32_e32 v2, v2, v4
	;; [unrolled: 1-line block ×4, first 2 shown]
	s_and_saveexec_b64 s[12:13], vcc
	s_cbranch_execz .LBB164_43
; %bb.145:                              ;   in Loop: Header=BB164_44 Depth=1
	v_add_co_u32_e64 v2, s[2:3], v9, v22
	v_addc_co_u32_e64 v3, s[2:3], 0, v23, s[2:3]
	global_load_dwordx4 v[2:5], v[2:3], off
	s_waitcnt vmcnt(0)
	v_lshrrev_b32_e32 v7, 16, v2
	v_lshrrev_b32_e32 v23, 16, v3
	;; [unrolled: 1-line block ×4, first 2 shown]
	s_and_saveexec_b64 s[2:3], s[0:1]
	s_cbranch_execz .LBB164_147
; %bb.146:                              ;   in Loop: Header=BB164_44 Depth=1
	v_cmp_gt_i32_e64 s[0:1], s25, v8
	v_add_u32_e32 v8, -6, v20
	v_cndmask_b32_e64 v2, 0, v2, s[0:1]
	v_cmp_gt_i32_e64 s[0:1], s25, v8
	v_add_u32_e32 v8, -5, v20
	v_cndmask_b32_e64 v7, 0, v7, s[0:1]
	;; [unrolled: 3-line block ×6, first 2 shown]
	v_cmp_gt_i32_e64 s[0:1], s25, v8
	v_cndmask_b32_e64 v5, 0, v5, s[0:1]
	v_cmp_gt_i32_e64 s[0:1], s25, v20
	v_cndmask_b32_e64 v6, 0, v6, s[0:1]
.LBB164_147:                            ;   in Loop: Header=BB164_44 Depth=1
	s_or_b64 exec, exec, s[2:3]
	v_lshlrev_b32_e32 v2, 16, v2
	v_mul_f32_e32 v8, v24, v2
	v_and_b32_e32 v2, 0x7f800000, v8
	v_cmp_ne_u32_e64 s[0:1], s16, v2
                                        ; implicit-def: $vgpr2
	s_and_saveexec_b64 s[2:3], s[0:1]
	s_xor_b64 s[0:1], exec, s[2:3]
; %bb.148:                              ;   in Loop: Header=BB164_44 Depth=1
	v_bfe_u32 v2, v8, 16, 1
	v_add3_u32 v2, v8, v2, s17
                                        ; implicit-def: $vgpr8
; %bb.149:                              ;   in Loop: Header=BB164_44 Depth=1
	s_andn2_saveexec_b64 s[2:3], s[0:1]
; %bb.150:                              ;   in Loop: Header=BB164_44 Depth=1
	v_or_b32_e32 v2, 0x10000, v8
	v_cmp_eq_u32_sdwa s[0:1], v8, v19 src0_sel:WORD_0 src1_sel:DWORD
	v_cndmask_b32_e64 v2, v2, v8, s[0:1]
; %bb.151:                              ;   in Loop: Header=BB164_44 Depth=1
	s_or_b64 exec, exec, s[2:3]
	v_lshlrev_b32_e32 v7, 16, v7
	v_mul_f32_e32 v8, v25, v7
	v_and_b32_e32 v7, 0x7f800000, v8
	v_cmp_ne_u32_e64 s[0:1], s16, v7
                                        ; implicit-def: $vgpr7
	s_and_saveexec_b64 s[2:3], s[0:1]
	s_xor_b64 s[0:1], exec, s[2:3]
; %bb.152:                              ;   in Loop: Header=BB164_44 Depth=1
	v_bfe_u32 v7, v8, 16, 1
	v_add3_u32 v7, v8, v7, s17
                                        ; implicit-def: $vgpr8
; %bb.153:                              ;   in Loop: Header=BB164_44 Depth=1
	s_andn2_saveexec_b64 s[2:3], s[0:1]
; %bb.154:                              ;   in Loop: Header=BB164_44 Depth=1
	v_or_b32_e32 v7, 0x10000, v8
	v_cmp_eq_u32_sdwa s[0:1], v8, v19 src0_sel:WORD_0 src1_sel:DWORD
	v_cndmask_b32_e64 v7, v7, v8, s[0:1]
; %bb.155:                              ;   in Loop: Header=BB164_44 Depth=1
	s_or_b64 exec, exec, s[2:3]
	v_lshlrev_b32_e32 v3, 16, v3
	v_mul_f32_e32 v8, v26, v3
	v_and_b32_e32 v3, 0x7f800000, v8
	v_cmp_ne_u32_e64 s[0:1], s16, v3
                                        ; implicit-def: $vgpr3
	s_and_saveexec_b64 s[2:3], s[0:1]
	s_xor_b64 s[0:1], exec, s[2:3]
; %bb.156:                              ;   in Loop: Header=BB164_44 Depth=1
	v_bfe_u32 v3, v8, 16, 1
	v_add3_u32 v3, v8, v3, s17
                                        ; implicit-def: $vgpr8
; %bb.157:                              ;   in Loop: Header=BB164_44 Depth=1
	s_andn2_saveexec_b64 s[2:3], s[0:1]
; %bb.158:                              ;   in Loop: Header=BB164_44 Depth=1
	v_or_b32_e32 v3, 0x10000, v8
	v_cmp_eq_u32_sdwa s[0:1], v8, v19 src0_sel:WORD_0 src1_sel:DWORD
	v_cndmask_b32_e64 v3, v3, v8, s[0:1]
; %bb.159:                              ;   in Loop: Header=BB164_44 Depth=1
	s_or_b64 exec, exec, s[2:3]
	v_lshlrev_b32_e32 v8, 16, v23
	v_mul_f32_e32 v23, v27, v8
	v_and_b32_e32 v8, 0x7f800000, v23
	v_cmp_ne_u32_e64 s[0:1], s16, v8
                                        ; implicit-def: $vgpr8
	s_and_saveexec_b64 s[2:3], s[0:1]
	s_xor_b64 s[0:1], exec, s[2:3]
; %bb.160:                              ;   in Loop: Header=BB164_44 Depth=1
	v_bfe_u32 v8, v23, 16, 1
	v_add3_u32 v8, v23, v8, s17
                                        ; implicit-def: $vgpr23
; %bb.161:                              ;   in Loop: Header=BB164_44 Depth=1
	s_andn2_saveexec_b64 s[2:3], s[0:1]
; %bb.162:                              ;   in Loop: Header=BB164_44 Depth=1
	v_or_b32_e32 v8, 0x10000, v23
	v_cmp_eq_u32_sdwa s[0:1], v23, v19 src0_sel:WORD_0 src1_sel:DWORD
	v_cndmask_b32_e64 v8, v8, v23, s[0:1]
; %bb.163:                              ;   in Loop: Header=BB164_44 Depth=1
	s_or_b64 exec, exec, s[2:3]
	v_lshlrev_b32_e32 v4, 16, v4
	v_mul_f32_e32 v23, v28, v4
	v_and_b32_e32 v4, 0x7f800000, v23
	v_cmp_ne_u32_e64 s[0:1], s16, v4
                                        ; implicit-def: $vgpr4
	s_and_saveexec_b64 s[2:3], s[0:1]
	s_xor_b64 s[0:1], exec, s[2:3]
; %bb.164:                              ;   in Loop: Header=BB164_44 Depth=1
	v_bfe_u32 v4, v23, 16, 1
	v_add3_u32 v4, v23, v4, s17
                                        ; implicit-def: $vgpr23
; %bb.165:                              ;   in Loop: Header=BB164_44 Depth=1
	s_andn2_saveexec_b64 s[2:3], s[0:1]
; %bb.166:                              ;   in Loop: Header=BB164_44 Depth=1
	v_or_b32_e32 v4, 0x10000, v23
	v_cmp_eq_u32_sdwa s[0:1], v23, v19 src0_sel:WORD_0 src1_sel:DWORD
	v_cndmask_b32_e64 v4, v4, v23, s[0:1]
; %bb.167:                              ;   in Loop: Header=BB164_44 Depth=1
	s_or_b64 exec, exec, s[2:3]
	v_lshlrev_b32_e32 v9, 16, v9
	v_mul_f32_e32 v23, v29, v9
	v_and_b32_e32 v9, 0x7f800000, v23
	v_cmp_ne_u32_e64 s[0:1], s16, v9
                                        ; implicit-def: $vgpr9
	s_and_saveexec_b64 s[2:3], s[0:1]
	s_xor_b64 s[0:1], exec, s[2:3]
; %bb.168:                              ;   in Loop: Header=BB164_44 Depth=1
	v_bfe_u32 v9, v23, 16, 1
	v_add3_u32 v9, v23, v9, s17
                                        ; implicit-def: $vgpr23
; %bb.169:                              ;   in Loop: Header=BB164_44 Depth=1
	s_andn2_saveexec_b64 s[2:3], s[0:1]
; %bb.170:                              ;   in Loop: Header=BB164_44 Depth=1
	v_or_b32_e32 v9, 0x10000, v23
	v_cmp_eq_u32_sdwa s[0:1], v23, v19 src0_sel:WORD_0 src1_sel:DWORD
	v_cndmask_b32_e64 v9, v9, v23, s[0:1]
; %bb.171:                              ;   in Loop: Header=BB164_44 Depth=1
	s_or_b64 exec, exec, s[2:3]
	v_lshlrev_b32_e32 v5, 16, v5
	v_mul_f32_e32 v23, v30, v5
	v_and_b32_e32 v5, 0x7f800000, v23
	v_cmp_ne_u32_e64 s[0:1], s16, v5
                                        ; implicit-def: $vgpr5
	s_and_saveexec_b64 s[2:3], s[0:1]
	s_xor_b64 s[0:1], exec, s[2:3]
; %bb.172:                              ;   in Loop: Header=BB164_44 Depth=1
	v_bfe_u32 v5, v23, 16, 1
	v_add3_u32 v5, v23, v5, s17
                                        ; implicit-def: $vgpr23
; %bb.173:                              ;   in Loop: Header=BB164_44 Depth=1
	s_andn2_saveexec_b64 s[2:3], s[0:1]
; %bb.174:                              ;   in Loop: Header=BB164_44 Depth=1
	v_or_b32_e32 v5, 0x10000, v23
	v_cmp_eq_u32_sdwa s[0:1], v23, v19 src0_sel:WORD_0 src1_sel:DWORD
	v_cndmask_b32_e64 v5, v5, v23, s[0:1]
; %bb.175:                              ;   in Loop: Header=BB164_44 Depth=1
	s_or_b64 exec, exec, s[2:3]
	v_lshlrev_b32_e32 v6, 16, v6
	v_mul_f32_e32 v6, v31, v6
	v_and_b32_e32 v23, 0x7f800000, v6
	v_cmp_ne_u32_e64 s[0:1], s16, v23
                                        ; implicit-def: $vgpr23
	s_and_saveexec_b64 s[2:3], s[0:1]
	s_xor_b64 s[0:1], exec, s[2:3]
; %bb.176:                              ;   in Loop: Header=BB164_44 Depth=1
	v_bfe_u32 v23, v6, 16, 1
	v_add3_u32 v23, v6, v23, s17
                                        ; implicit-def: $vgpr6
; %bb.177:                              ;   in Loop: Header=BB164_44 Depth=1
	s_andn2_saveexec_b64 s[2:3], s[0:1]
	s_cbranch_execz .LBB164_42
; %bb.178:                              ;   in Loop: Header=BB164_44 Depth=1
	v_or_b32_e32 v23, 0x10000, v6
	v_cmp_eq_u32_sdwa s[0:1], v6, v19 src0_sel:WORD_0 src1_sel:DWORD
	v_cndmask_b32_e64 v23, v23, v6, s[0:1]
	s_branch .LBB164_42
.LBB164_179:
	s_or_b64 exec, exec, s[10:11]
.LBB164_180:
	s_or_b64 exec, exec, s[6:7]
	ds_bpermute_b32 v2, v1, v14
	ds_bpermute_b32 v3, v1, v15
	;; [unrolled: 1-line block ×3, first 2 shown]
	s_waitcnt lgkmcnt(0)
	s_barrier
	v_pk_add_f32 v[4:5], v[14:15], v[2:3]
	v_add_f32_e32 v2, v10, v1
	v_and_b32_e32 v1, 0x3c0, v0
	v_cmp_eq_u32_e32 vcc, 64, v1
	s_and_saveexec_b64 s[2:3], vcc
	s_cbranch_execz .LBB164_185
; %bb.181:
	v_cmp_eq_u32_e32 vcc, 0, v11
	s_and_saveexec_b64 s[0:1], vcc
	s_cbranch_execz .LBB164_183
; %bb.182:
	v_mov_b32_e32 v1, 0xb0
	v_lshl_add_u32 v1, v18, 2, v1
	ds_write2_b32 v1, v4, v5 offset1:32
.LBB164_183:
	s_or_b64 exec, exec, s[0:1]
	v_or_b32_e32 v1, 64, v18
	s_movk_i32 s0, 0x50
	v_cmp_gt_u32_e64 s[0:1], s0, v1
	s_and_b64 s[0:1], vcc, s[0:1]
	s_and_b64 exec, exec, s[0:1]
	s_cbranch_execz .LBB164_185
; %bb.184:
	v_mov_b32_e32 v1, 0xb0
	v_lshl_add_u32 v1, v18, 2, v1
	ds_write_b32 v1, v2 offset:256
.LBB164_185:
	s_or_b64 exec, exec, s[2:3]
	v_cmp_gt_u32_e32 vcc, 64, v0
	v_cmp_lt_u32_e64 s[0:1], 63, v0
	s_waitcnt lgkmcnt(0)
	s_barrier
	s_and_saveexec_b64 s[2:3], s[0:1]
	s_xor_b64 s[0:1], exec, s[2:3]
	s_or_saveexec_b64 s[6:7], s[0:1]
	v_lshrrev_b32_e32 v3, 1, v0
	s_xor_b64 exec, exec, s[6:7]
	s_cbranch_execz .LBB164_193
; %bb.186:
	v_cmp_eq_u32_e64 s[0:1], 0, v11
	s_and_saveexec_b64 s[2:3], s[0:1]
	s_cbranch_execz .LBB164_188
; %bb.187:
	v_mov_b32_e32 v0, 0xb0
	v_lshl_add_u32 v0, v3, 2, v0
	ds_read_b32 v0, v0
	s_waitcnt lgkmcnt(0)
	v_add_f32_e32 v4, v4, v0
.LBB164_188:
	s_or_b64 exec, exec, s[2:3]
	s_and_saveexec_b64 s[2:3], s[0:1]
	s_cbranch_execz .LBB164_190
; %bb.189:
	v_mov_b32_e32 v0, 0xb0
	v_lshl_add_u32 v0, v3, 2, v0
	ds_read_b32 v0, v0 offset:128
	s_waitcnt lgkmcnt(0)
	v_add_f32_e32 v5, v5, v0
.LBB164_190:
	s_or_b64 exec, exec, s[2:3]
	v_or_b32_e32 v0, 64, v3
	s_movk_i32 s2, 0x50
	v_cmp_gt_u32_e64 s[2:3], s2, v0
	s_and_b64 s[2:3], s[0:1], s[2:3]
	s_and_saveexec_b64 s[0:1], s[2:3]
	s_cbranch_execz .LBB164_192
; %bb.191:
	v_mov_b32_e32 v0, 0xb0
	v_lshl_add_u32 v0, v3, 2, v0
	ds_read_b32 v0, v0 offset:256
	s_waitcnt lgkmcnt(0)
	v_add_f32_e32 v2, v2, v0
.LBB164_192:
	s_or_b64 exec, exec, s[0:1]
.LBB164_193:
	s_or_b64 exec, exec, s[6:7]
	s_barrier
	s_and_saveexec_b64 s[0:1], vcc
	s_cbranch_execz .LBB164_210
; %bb.194:
	s_mul_i32 s0, s4, 0x50
	s_ashr_i32 s1, s0, 31
	s_lshl_b64 s[0:1], s[0:1], 1
	s_add_u32 s2, s22, s0
	s_mul_i32 s0, s21, s20
	s_addc_u32 s3, s23, s1
	s_ashr_i32 s1, s0, 31
	s_lshl_b64 s[0:1], s[0:1], 1
	s_add_u32 s2, s2, s0
	s_mul_i32 s0, s8, 0x50
	s_addc_u32 s3, s3, s1
	s_ashr_i32 s1, s0, 31
	s_lshl_b64 s[0:1], s[0:1], 1
	s_add_u32 s2, s2, s0
	s_addc_u32 s3, s3, s1
	v_cmp_eq_u32_e32 vcc, 0, v11
	s_and_saveexec_b64 s[4:5], vcc
	s_cbranch_execz .LBB164_204
; %bb.195:
	s_mov_b32 s0, 0x7f800000
	v_and_b32_e32 v0, 0x7f800000, v4
	v_cmp_ne_u32_e64 s[0:1], s0, v0
                                        ; implicit-def: $vgpr6
	s_and_saveexec_b64 s[6:7], s[0:1]
	s_xor_b64 s[0:1], exec, s[6:7]
; %bb.196:
	v_bfe_u32 v0, v4, 16, 1
	s_movk_i32 s6, 0x7fff
	v_add3_u32 v6, v4, v0, s6
; %bb.197:
	s_andn2_saveexec_b64 s[6:7], s[0:1]
; %bb.198:
	v_mov_b32_e32 v0, 0
	v_or_b32_e32 v1, 0x10000, v4
	v_cmp_eq_u32_sdwa s[0:1], v4, v0 src0_sel:WORD_0 src1_sel:DWORD
	v_cndmask_b32_e64 v6, v1, v4, s[0:1]
; %bb.199:
	s_or_b64 exec, exec, s[6:7]
	v_lshlrev_b32_e32 v4, 1, v3
	v_mov_b32_e32 v1, s3
	v_add_co_u32_e64 v0, s[0:1], s2, v4
	v_addc_co_u32_e64 v1, s[0:1], 0, v1, s[0:1]
	global_store_short_d16_hi v4, v6, s[2:3]
	s_mov_b32 s0, 0x7f800000
	v_and_b32_e32 v4, 0x7f800000, v5
	v_cmp_ne_u32_e64 s[0:1], s0, v4
                                        ; implicit-def: $vgpr7
	s_and_saveexec_b64 s[6:7], s[0:1]
	s_xor_b64 s[0:1], exec, s[6:7]
; %bb.200:
	v_bfe_u32 v4, v5, 16, 1
	s_movk_i32 s6, 0x7fff
	v_add3_u32 v7, v5, v4, s6
                                        ; implicit-def: $vgpr4_vgpr5_vgpr6
; %bb.201:
	s_andn2_saveexec_b64 s[6:7], s[0:1]
; %bb.202:
	v_mov_b32_e32 v4, 0
	v_or_b32_e32 v6, 0x10000, v5
	v_cmp_eq_u32_sdwa s[0:1], v5, v4 src0_sel:WORD_0 src1_sel:DWORD
	v_cndmask_b32_e64 v7, v6, v5, s[0:1]
; %bb.203:
	s_or_b64 exec, exec, s[6:7]
	global_store_short_d16_hi v[0:1], v7, off offset:64
.LBB164_204:
	s_or_b64 exec, exec, s[4:5]
	v_or_b32_e32 v0, 64, v3
	s_movk_i32 s0, 0x50
	v_cmp_gt_u32_e64 s[0:1], s0, v0
	s_and_b64 s[0:1], vcc, s[0:1]
	s_and_b64 exec, exec, s[0:1]
	s_cbranch_execz .LBB164_210
; %bb.205:
	s_mov_b32 s0, 0x7f800000
	v_and_b32_e32 v0, 0x7f800000, v2
	v_cmp_ne_u32_e32 vcc, s0, v0
                                        ; implicit-def: $vgpr0
	s_and_saveexec_b64 s[0:1], vcc
	s_xor_b64 s[0:1], exec, s[0:1]
; %bb.206:
	v_bfe_u32 v0, v2, 16, 1
	s_movk_i32 s4, 0x7fff
	v_add3_u32 v0, v2, v0, s4
                                        ; implicit-def: $vgpr2
; %bb.207:
	s_andn2_saveexec_b64 s[0:1], s[0:1]
; %bb.208:
	v_mov_b32_e32 v0, 0
	v_or_b32_e32 v1, 0x10000, v2
	v_cmp_eq_u32_sdwa vcc, v2, v0 src0_sel:WORD_0 src1_sel:DWORD
	v_cndmask_b32_e32 v0, v1, v2, vcc
; %bb.209:
	s_or_b64 exec, exec, s[0:1]
	v_lshlrev_b32_e32 v1, 1, v3
	global_store_short_d16_hi v1, v0, s[2:3] offset:128
.LBB164_210:
	s_endpgm
	.section	.rodata,"a",@progbits
	.p2align	6, 0x0
	.amdhsa_kernel _ZN4vllm25paged_attention_v2_kernelI14__hip_bfloat16S1_Li80ELi16ELi128ELNS_18Fp8KVCacheDataTypeE0ELb0ELi512EEEvPfS3_PT_PKS4_PKT0_SA_ifPKiSC_iPKfiiiSE_SE_iiiii
		.amdhsa_group_segment_fixed_size 176
		.amdhsa_private_segment_fixed_size 0
		.amdhsa_kernarg_size 400
		.amdhsa_user_sgpr_count 6
		.amdhsa_user_sgpr_private_segment_buffer 1
		.amdhsa_user_sgpr_dispatch_ptr 0
		.amdhsa_user_sgpr_queue_ptr 0
		.amdhsa_user_sgpr_kernarg_segment_ptr 1
		.amdhsa_user_sgpr_dispatch_id 0
		.amdhsa_user_sgpr_flat_scratch_init 0
		.amdhsa_user_sgpr_kernarg_preload_length 0
		.amdhsa_user_sgpr_kernarg_preload_offset 0
		.amdhsa_user_sgpr_private_segment_size 0
		.amdhsa_uses_dynamic_stack 0
		.amdhsa_system_sgpr_private_segment_wavefront_offset 0
		.amdhsa_system_sgpr_workgroup_id_x 1
		.amdhsa_system_sgpr_workgroup_id_y 1
		.amdhsa_system_sgpr_workgroup_id_z 1
		.amdhsa_system_sgpr_workgroup_info 0
		.amdhsa_system_vgpr_workitem_id 0
		.amdhsa_next_free_vgpr 56
		.amdhsa_next_free_sgpr 42
		.amdhsa_accum_offset 56
		.amdhsa_reserve_vcc 1
		.amdhsa_reserve_flat_scratch 0
		.amdhsa_float_round_mode_32 0
		.amdhsa_float_round_mode_16_64 0
		.amdhsa_float_denorm_mode_32 3
		.amdhsa_float_denorm_mode_16_64 3
		.amdhsa_dx10_clamp 1
		.amdhsa_ieee_mode 1
		.amdhsa_fp16_overflow 0
		.amdhsa_tg_split 0
		.amdhsa_exception_fp_ieee_invalid_op 0
		.amdhsa_exception_fp_denorm_src 0
		.amdhsa_exception_fp_ieee_div_zero 0
		.amdhsa_exception_fp_ieee_overflow 0
		.amdhsa_exception_fp_ieee_underflow 0
		.amdhsa_exception_fp_ieee_inexact 0
		.amdhsa_exception_int_div_zero 0
	.end_amdhsa_kernel
	.section	.text._ZN4vllm25paged_attention_v2_kernelI14__hip_bfloat16S1_Li80ELi16ELi128ELNS_18Fp8KVCacheDataTypeE0ELb0ELi512EEEvPfS3_PT_PKS4_PKT0_SA_ifPKiSC_iPKfiiiSE_SE_iiiii,"axG",@progbits,_ZN4vllm25paged_attention_v2_kernelI14__hip_bfloat16S1_Li80ELi16ELi128ELNS_18Fp8KVCacheDataTypeE0ELb0ELi512EEEvPfS3_PT_PKS4_PKT0_SA_ifPKiSC_iPKfiiiSE_SE_iiiii,comdat
.Lfunc_end164:
	.size	_ZN4vllm25paged_attention_v2_kernelI14__hip_bfloat16S1_Li80ELi16ELi128ELNS_18Fp8KVCacheDataTypeE0ELb0ELi512EEEvPfS3_PT_PKS4_PKT0_SA_ifPKiSC_iPKfiiiSE_SE_iiiii, .Lfunc_end164-_ZN4vllm25paged_attention_v2_kernelI14__hip_bfloat16S1_Li80ELi16ELi128ELNS_18Fp8KVCacheDataTypeE0ELb0ELi512EEEvPfS3_PT_PKS4_PKT0_SA_ifPKiSC_iPKfiiiSE_SE_iiiii
                                        ; -- End function
	.section	.AMDGPU.csdata,"",@progbits
; Kernel info:
; codeLenInByte = 7668
; NumSgprs: 46
; NumVgprs: 56
; NumAgprs: 0
; TotalNumVgprs: 56
; ScratchSize: 0
; MemoryBound: 0
; FloatMode: 240
; IeeeMode: 1
; LDSByteSize: 176 bytes/workgroup (compile time only)
; SGPRBlocks: 5
; VGPRBlocks: 6
; NumSGPRsForWavesPerEU: 46
; NumVGPRsForWavesPerEU: 56
; AccumOffset: 56
; Occupancy: 8
; WaveLimiterHint : 1
; COMPUTE_PGM_RSRC2:SCRATCH_EN: 0
; COMPUTE_PGM_RSRC2:USER_SGPR: 6
; COMPUTE_PGM_RSRC2:TRAP_HANDLER: 0
; COMPUTE_PGM_RSRC2:TGID_X_EN: 1
; COMPUTE_PGM_RSRC2:TGID_Y_EN: 1
; COMPUTE_PGM_RSRC2:TGID_Z_EN: 1
; COMPUTE_PGM_RSRC2:TIDIG_COMP_CNT: 0
; COMPUTE_PGM_RSRC3_GFX90A:ACCUM_OFFSET: 13
; COMPUTE_PGM_RSRC3_GFX90A:TG_SPLIT: 0
	.section	.text._ZN4vllm25paged_attention_v2_kernelI14__hip_bfloat16S1_Li96ELi16ELi128ELNS_18Fp8KVCacheDataTypeE0ELb0ELi512EEEvPfS3_PT_PKS4_PKT0_SA_ifPKiSC_iPKfiiiSE_SE_iiiii,"axG",@progbits,_ZN4vllm25paged_attention_v2_kernelI14__hip_bfloat16S1_Li96ELi16ELi128ELNS_18Fp8KVCacheDataTypeE0ELb0ELi512EEEvPfS3_PT_PKS4_PKT0_SA_ifPKiSC_iPKfiiiSE_SE_iiiii,comdat
	.protected	_ZN4vllm25paged_attention_v2_kernelI14__hip_bfloat16S1_Li96ELi16ELi128ELNS_18Fp8KVCacheDataTypeE0ELb0ELi512EEEvPfS3_PT_PKS4_PKT0_SA_ifPKiSC_iPKfiiiSE_SE_iiiii ; -- Begin function _ZN4vllm25paged_attention_v2_kernelI14__hip_bfloat16S1_Li96ELi16ELi128ELNS_18Fp8KVCacheDataTypeE0ELb0ELi512EEEvPfS3_PT_PKS4_PKT0_SA_ifPKiSC_iPKfiiiSE_SE_iiiii
	.globl	_ZN4vllm25paged_attention_v2_kernelI14__hip_bfloat16S1_Li96ELi16ELi128ELNS_18Fp8KVCacheDataTypeE0ELb0ELi512EEEvPfS3_PT_PKS4_PKT0_SA_ifPKiSC_iPKfiiiSE_SE_iiiii
	.p2align	8
	.type	_ZN4vllm25paged_attention_v2_kernelI14__hip_bfloat16S1_Li96ELi16ELi128ELNS_18Fp8KVCacheDataTypeE0ELb0ELi512EEEvPfS3_PT_PKS4_PKT0_SA_ifPKiSC_iPKfiiiSE_SE_iiiii,@function
_ZN4vllm25paged_attention_v2_kernelI14__hip_bfloat16S1_Li96ELi16ELi128ELNS_18Fp8KVCacheDataTypeE0ELb0ELi512EEEvPfS3_PT_PKS4_PKT0_SA_ifPKiSC_iPKfiiiSE_SE_iiiii: ; @_ZN4vllm25paged_attention_v2_kernelI14__hip_bfloat16S1_Li96ELi16ELi128ELNS_18Fp8KVCacheDataTypeE0ELb0ELi512EEEvPfS3_PT_PKS4_PKT0_SA_ifPKiSC_iPKfiiiSE_SE_iiiii
; %bb.0:
	s_load_dwordx2 s[0:1], s[4:5], 0x40
	s_mov_b32 s20, s7
	s_ashr_i32 s21, s7, 31
	s_lshl_b64 s[2:3], s[20:21], 2
	s_waitcnt lgkmcnt(0)
	s_add_u32 s0, s0, s2
	s_addc_u32 s1, s1, s3
	s_load_dword s33, s[0:1], 0x0
	s_lshl_b32 s40, s8, 9
	s_waitcnt lgkmcnt(0)
	s_cmp_ge_i32 s40, s33
	s_cbranch_scc1 .LBB165_201
; %bb.1:
	s_load_dword s21, s[4:5], 0x90
	s_load_dwordx2 s[10:11], s[4:5], 0x30
	s_waitcnt lgkmcnt(0)
	s_abs_i32 s2, s21
	s_abs_i32 s0, s10
	v_cvt_f32_u32_e32 v1, s0
	s_sub_i32 s3, 0, s0
	s_xor_b32 s1, s21, s10
	s_ashr_i32 s1, s1, 31
	v_rcp_iflag_f32_e32 v1, v1
	s_mov_b32 s10, 0
	v_mul_f32_e32 v1, 0x4f7ffffe, v1
	v_cvt_u32_f32_e32 v1, v1
	v_readfirstlane_b32 s7, v1
	s_mul_i32 s3, s3, s7
	s_mul_hi_u32 s3, s7, s3
	s_add_i32 s7, s7, s3
	s_mul_hi_u32 s3, s2, s7
	s_mul_i32 s7, s3, s0
	s_sub_i32 s2, s2, s7
	s_add_i32 s9, s3, 1
	s_sub_i32 s7, s2, s0
	s_cmp_ge_u32 s2, s0
	s_cselect_b32 s3, s9, s3
	s_cselect_b32 s2, s7, s2
	s_add_i32 s7, s3, 1
	s_cmp_ge_u32 s2, s0
	s_cselect_b32 s0, s7, s3
	s_xor_b32 s0, s0, s1
	s_sub_i32 s9, s0, s1
	s_abs_i32 s2, s9
	v_cvt_f32_u32_e32 v1, s2
	s_load_dwordx2 s[0:1], s[4:5], 0x50
	s_sub_i32 s7, 0, s2
	s_abs_i32 s3, s6
	v_rcp_iflag_f32_e32 v1, v1
	v_mul_f32_e32 v1, 0x4f7ffffe, v1
	v_cvt_u32_f32_e32 v1, v1
	v_readfirstlane_b32 s12, v1
	s_mul_i32 s7, s7, s12
	s_mul_hi_u32 s7, s12, s7
	s_add_i32 s12, s12, s7
	s_waitcnt lgkmcnt(0)
	s_cmp_eq_u64 s[0:1], 0
	s_mul_hi_u32 s16, s3, s12
	s_cbranch_scc1 .LBB165_3
; %bb.2:
	s_ashr_i32 s7, s6, 31
	s_lshl_b64 s[12:13], s[6:7], 2
	s_add_u32 s0, s0, s12
	s_addc_u32 s1, s1, s13
	s_load_dword s10, s[0:1], 0x0
.LBB165_3:
	s_load_dwordx4 s[12:15], s[4:5], 0x58
	s_ashr_i32 s17, s6, 31
	s_waitcnt lgkmcnt(0)
	s_ashr_i32 s15, s9, 31
	v_and_b32_e32 v2, 3, v0
	s_mul_i32 s22, s6, 0x60
	v_cmp_gt_u32_e32 vcc, 48, v0
	s_and_saveexec_b64 s[0:1], vcc
	s_cbranch_execz .LBB165_5
; %bb.4:
	s_load_dwordx2 s[18:19], s[4:5], 0x18
	s_mul_i32 s24, s20, s12
	s_ashr_i32 s25, s24, 31
	s_lshl_b64 s[24:25], s[24:25], 1
	v_lshlrev_b32_e32 v1, 2, v0
	s_waitcnt lgkmcnt(0)
	s_add_u32 s7, s18, s24
	s_addc_u32 s9, s19, s25
	s_ashr_i32 s23, s22, 31
	s_lshl_b64 s[18:19], s[22:23], 1
	s_add_u32 s18, s7, s18
	s_addc_u32 s19, s9, s19
	global_load_dword v1, v1, s[18:19]
	v_and_b32_e32 v3, 0x3fc, v0
	v_mad_u32_u24 v3, v2, 48, v3
	s_waitcnt vmcnt(0)
	ds_write_b32 v3, v1
.LBB165_5:
	s_or_b64 exec, exec, s[0:1]
	s_add_i32 s0, s33, 15
	s_ashr_i32 s1, s0, 31
	s_lshr_b32 s1, s1, 28
	s_add_i32 s0, s0, s1
	s_lshl_b32 s9, s8, 5
	s_mul_i32 s1, s16, s2
	s_ashr_i32 s7, s0, 4
	s_add_i32 s0, s9, 32
	s_sub_i32 s1, s3, s1
	s_min_i32 s23, s0, s7
	s_xor_b32 s0, s17, s15
	s_add_i32 s3, s16, 1
	s_sub_i32 s12, s1, s2
	s_cmp_ge_u32 s1, s2
	s_cselect_b32 s3, s3, s16
	s_cselect_b32 s1, s12, s1
	s_add_i32 s12, s3, 1
	s_cmp_ge_u32 s1, s2
	s_load_dwordx2 s[26:27], s[4:5], 0x38
	s_load_dword s2, s[4:5], 0x48
	v_lshrrev_b32_e32 v4, 6, v0
	s_cselect_b32 s1, s12, s3
	s_xor_b32 s1, s1, s0
	v_or_b32_e32 v10, s9, v4
	s_waitcnt lgkmcnt(0)
	s_mul_i32 s28, s20, s2
	s_sub_i32 s15, s1, s0
	s_ashr_i32 s29, s28, 31
	v_cmp_gt_i32_e64 s[0:1], s23, v10
	v_cmp_le_i32_e32 vcc, s23, v10
	v_mbcnt_lo_u32_b32 v3, -1, 0
	s_barrier
	s_waitcnt lgkmcnt(0)
                                        ; implicit-def: $sgpr36
                                        ; implicit-def: $vgpr5
                                        ; implicit-def: $vgpr6
	s_and_saveexec_b64 s[2:3], vcc
	s_xor_b64 s[2:3], exec, s[2:3]
; %bb.6:
	v_mbcnt_hi_u32_b32 v5, -1, v3
	v_and_b32_e32 v1, 64, v5
	v_add_u32_e32 v6, 64, v1
	s_mov_b32 s36, 0xff7fffff
                                        ; implicit-def: $vgpr2
                                        ; implicit-def: $vgpr3
; %bb.7:
	s_or_saveexec_b64 s[34:35], s[2:3]
	s_load_dwordx4 s[16:19], s[4:5], 0x0
	s_load_dwordx2 s[24:25], s[4:5], 0x10
	s_load_dwordx2 s[30:31], s[4:5], 0x28
	s_load_dword s12, s[4:5], 0x98
	v_mov_b32_e32 v34, s36
	s_mul_i32 s14, s15, s14
	v_ashrrev_i32_e32 v11, 31, v10
	s_xor_b64 exec, exec, s[34:35]
	s_cbranch_execz .LBB165_13
; %bb.8:
	s_load_dwordx2 s[2:3], s[4:5], 0x20
	s_ashr_i32 s15, s14, 31
	s_lshl_b64 s[4:5], s[14:15], 1
	v_bfe_u32 v34, v0, 2, 4
	v_lshlrev_b32_e32 v1, 4, v34
	s_waitcnt lgkmcnt(0)
	s_add_u32 s2, s2, s4
	s_addc_u32 s3, s3, s5
	v_mov_b32_e32 v5, s3
	v_add_co_u32_e32 v1, vcc, s2, v1
	v_lshlrev_b32_e32 v6, 2, v0
	v_addc_co_u32_e32 v5, vcc, 0, v5, vcc
	v_and_b32_e32 v6, 12, v6
	v_add_co_u32_e32 v1, vcc, v1, v6
	v_addc_co_u32_e32 v7, vcc, 0, v5, vcc
	v_mbcnt_hi_u32_b32 v5, -1, v3
	v_and_b32_e32 v3, 64, v5
	v_add_u32_e32 v6, 64, v3
	v_xor_b32_e32 v3, 2, v5
	v_cmp_lt_i32_e32 vcc, v3, v6
	v_cndmask_b32_e32 v3, v5, v3, vcc
	v_lshlrev_b32_e32 v35, 2, v3
	v_xor_b32_e32 v3, 1, v5
	v_mul_u32_u24_e32 v8, 48, v2
	v_cmp_lt_i32_e32 vcc, v3, v6
	ds_read_b128 v[14:17], v8
	ds_read_b128 v[22:25], v8 offset:16
	ds_read_b128 v[30:33], v8 offset:32
	v_cndmask_b32_e32 v3, v5, v3, vcc
	v_cmp_eq_u32_e32 vcc, 0, v2
	v_lshlrev_b32_e32 v2, 4, v4
	s_sub_i32 s15, 1, s33
	v_add3_u32 v37, s40, v2, v34
	v_lshlrev_b32_e32 v2, 2, v34
	s_lshl_b64 s[4:5], s[28:29], 2
	v_lshl_or_b32 v2, v4, 6, v2
	s_add_u32 s4, s26, s4
	v_lshlrev_b32_e32 v36, 2, v3
	v_add_u32_e32 v38, 0xd0, v2
	v_lshlrev_b64 v[2:3], 2, v[10:11]
	s_addc_u32 s5, s27, s5
	v_mov_b32_e32 v34, s5
	v_add_co_u32_e64 v2, s[4:5], s4, v2
	s_mov_b32 s41, s13
	s_waitcnt lgkmcnt(2)
	v_lshlrev_b32_e32 v8, 16, v14
	v_and_b32_e32 v9, 0xffff0000, v14
	v_lshlrev_b32_e32 v12, 16, v15
	v_and_b32_e32 v13, 0xffff0000, v15
	v_lshlrev_b32_e32 v14, 16, v16
	v_and_b32_e32 v15, 0xffff0000, v16
	v_lshlrev_b32_e32 v16, 16, v17
	v_and_b32_e32 v17, 0xffff0000, v17
	s_waitcnt lgkmcnt(1)
	v_lshlrev_b32_e32 v18, 16, v22
	v_and_b32_e32 v19, 0xffff0000, v22
	v_lshlrev_b32_e32 v20, 16, v23
	v_and_b32_e32 v21, 0xffff0000, v23
	v_lshlrev_b32_e32 v22, 16, v24
	v_and_b32_e32 v23, 0xffff0000, v24
	v_lshlrev_b32_e32 v24, 16, v25
	v_and_b32_e32 v25, 0xffff0000, v25
	;; [unrolled: 9-line block ×3, first 2 shown]
	v_cmp_neq_f32_e64 s[2:3], s10, 0
	v_addc_co_u32_e64 v3, s[4:5], v34, v3, s[4:5]
	s_mov_b64 s[36:37], 0
	v_mov_b32_e32 v34, 0xff7fffff
	v_mov_b32_e32 v39, v10
	s_branch .LBB165_10
.LBB165_9:                              ;   in Loop: Header=BB165_10 Depth=1
	s_or_b64 exec, exec, s[38:39]
	v_add_u32_e32 v39, 2, v39
	v_cmp_le_i32_e64 s[4:5], s23, v39
	s_or_b64 s[36:37], s[4:5], s[36:37]
	v_add_co_u32_e64 v2, s[4:5], 8, v2
	v_add_u32_e32 v37, 32, v37
	v_add_u32_e32 v38, 0x80, v38
	v_addc_co_u32_e64 v3, s[4:5], 0, v3, s[4:5]
	s_andn2_b64 exec, exec, s[36:37]
	s_cbranch_execz .LBB165_12
.LBB165_10:                             ; =>This Inner Loop Header: Depth=1
	global_load_dword v40, v[2:3], off
	s_waitcnt vmcnt(0) lgkmcnt(0)
	v_mad_i64_i32 v[40:41], s[4:5], v40, s41, 0
	v_lshlrev_b64 v[40:41], 1, v[40:41]
	v_add_co_u32_e64 v40, s[4:5], v1, v40
	v_addc_co_u32_e64 v41, s[4:5], v7, v41, s[4:5]
	global_load_dword v42, v[40:41], off
	global_load_dword v43, v[40:41], off offset:256
	global_load_dword v44, v[40:41], off offset:512
	;; [unrolled: 1-line block ×11, first 2 shown]
	s_waitcnt vmcnt(11)
	v_lshlrev_b32_e32 v40, 16, v42
	v_and_b32_e32 v41, 0xffff0000, v42
	s_waitcnt vmcnt(10)
	v_lshlrev_b32_e32 v42, 16, v43
	v_and_b32_e32 v43, 0xffff0000, v43
	v_mul_f32_e32 v42, v12, v42
	v_mul_f32_e32 v43, v13, v43
	s_waitcnt vmcnt(9)
	v_lshlrev_b32_e32 v54, 16, v44
	v_and_b32_e32 v44, 0xffff0000, v44
	v_fmac_f32_e32 v42, v8, v40
	v_fmac_f32_e32 v43, v9, v41
	s_waitcnt vmcnt(8)
	v_lshlrev_b32_e32 v55, 16, v45
	v_and_b32_e32 v45, 0xffff0000, v45
	v_fmac_f32_e32 v42, v14, v54
	v_fmac_f32_e32 v43, v15, v44
	;; [unrolled: 5-line block ×10, first 2 shown]
	v_fmac_f32_e32 v42, v32, v63
	v_fmac_f32_e32 v43, v33, v53
	v_add_f32_e32 v40, v42, v43
	ds_bpermute_b32 v41, v35, v40
	s_waitcnt lgkmcnt(0)
	v_add_f32_e32 v40, v40, v41
	ds_bpermute_b32 v41, v36, v40
	s_and_saveexec_b64 s[38:39], vcc
	s_cbranch_execz .LBB165_9
; %bb.11:                               ;   in Loop: Header=BB165_10 Depth=1
	v_add_u32_e32 v42, s15, v37
	v_cvt_f32_i32_e32 v42, v42
	s_waitcnt lgkmcnt(0)
	v_add_f32_e32 v40, v40, v41
	v_cmp_gt_i32_e64 s[4:5], s33, v37
	v_max_f32_e32 v41, v34, v34
	v_mul_f32_e32 v42, s10, v42
	v_cndmask_b32_e64 v42, 0, v42, s[2:3]
	v_fmac_f32_e32 v42, s11, v40
	v_cndmask_b32_e64 v40, 0, v42, s[4:5]
	ds_write_b32 v38, v40
	v_max_f32_e32 v40, v41, v42
	v_cndmask_b32_e64 v34, v34, v40, s[4:5]
	s_branch .LBB165_9
.LBB165_12:
	s_or_b64 exec, exec, s[36:37]
.LBB165_13:
	s_or_b64 exec, exec, s[34:35]
	v_xor_b32_e32 v1, 32, v5
	v_cmp_lt_i32_e32 vcc, v1, v6
	v_cndmask_b32_e32 v1, v5, v1, vcc
	v_lshlrev_b32_e32 v2, 2, v1
	ds_bpermute_b32 v1, v2, v34
	v_xor_b32_e32 v7, 16, v5
	v_max_f32_e32 v3, v34, v34
	v_cmp_lt_i32_e32 vcc, v7, v6
	v_xor_b32_e32 v8, 8, v5
	s_waitcnt lgkmcnt(0)
	v_max_f32_e32 v1, v1, v1
	v_max_f32_e32 v1, v3, v1
	v_cndmask_b32_e32 v3, v5, v7, vcc
	v_lshlrev_b32_e32 v3, 2, v3
	ds_bpermute_b32 v7, v3, v1
	v_cmp_lt_i32_e32 vcc, v8, v6
	s_waitcnt lgkmcnt(0)
	v_max_f32_e32 v7, v7, v7
	v_max_f32_e32 v1, v1, v7
	v_cndmask_b32_e32 v7, v5, v8, vcc
	v_lshlrev_b32_e32 v12, 2, v7
	ds_bpermute_b32 v7, v12, v1
	v_xor_b32_e32 v8, 4, v5
	v_cmp_lt_i32_e32 vcc, v8, v6
	s_waitcnt lgkmcnt(0)
	v_max_f32_e32 v7, v7, v7
	v_max_f32_e32 v7, v1, v7
	v_cndmask_b32_e32 v1, v5, v8, vcc
	v_lshlrev_b32_e32 v13, 2, v1
	ds_bpermute_b32 v9, v13, v7
	v_and_b32_e32 v1, 63, v0
	v_cmp_eq_u32_e32 vcc, 0, v1
	v_lshlrev_b32_e32 v8, 2, v4
	s_and_saveexec_b64 s[2:3], vcc
	s_cbranch_execz .LBB165_15
; %bb.14:
	s_waitcnt lgkmcnt(0)
	v_max_f32_e32 v9, v9, v9
	v_max_f32_e32 v7, v7, v7
	;; [unrolled: 1-line block ×3, first 2 shown]
	ds_write_b32 v8, v7 offset:192
.LBB165_15:
	s_or_b64 exec, exec, s[2:3]
	v_cmp_gt_u32_e64 s[2:3], 2, v1
	v_mov_b32_e32 v7, 0xff7fffff
	s_waitcnt lgkmcnt(0)
	v_lshlrev_b32_e32 v9, 2, v1
	s_barrier
	s_and_saveexec_b64 s[4:5], s[2:3]
	s_cbranch_execz .LBB165_17
; %bb.16:
	ds_read_b32 v7, v9 offset:192
.LBB165_17:
	s_or_b64 exec, exec, s[4:5]
	v_xor_b32_e32 v14, 1, v5
	v_cmp_lt_i32_e64 s[4:5], v14, v6
	v_cndmask_b32_e64 v14, v5, v14, s[4:5]
	v_lshlrev_b32_e32 v16, 2, v14
	s_waitcnt lgkmcnt(0)
	ds_bpermute_b32 v14, v16, v7
	v_max_f32_e32 v7, v7, v7
	s_sub_i32 s4, s23, s9
	s_lshl_b32 s4, s4, 4
	s_add_i32 s4, s4, s40
	s_waitcnt lgkmcnt(0)
	v_max_f32_e32 v14, v14, v14
	v_max_f32_e32 v7, v7, v14
	v_lshlrev_b32_e32 v14, 2, v5
	v_and_b32_e32 v14, 0xffffff00, v14
	ds_bpermute_b32 v7, v14, v7
	s_min_i32 s15, s4, s33
	s_sub_i32 s9, s15, s40
	v_cmp_gt_i32_e64 s[4:5], s9, v0
	v_mov_b32_e32 v15, 0
	s_and_saveexec_b64 s[34:35], s[4:5]
	s_cbranch_execz .LBB165_21
; %bb.18:
	v_mov_b32_e32 v15, 0xd0
	v_lshl_add_u32 v17, v0, 2, v15
	s_mov_b64 s[36:37], 0
	v_mov_b32_e32 v15, 0
	v_mov_b32_e32 v18, v0
.LBB165_19:                             ; =>This Inner Loop Header: Depth=1
	ds_read_b32 v19, v17
	v_add_u32_e32 v18, 0x80, v18
	v_cmp_le_i32_e64 s[10:11], s9, v18
	s_or_b64 s[36:37], s[10:11], s[36:37]
	s_waitcnt lgkmcnt(0)
	v_sub_f32_e32 v19, v19, v7
	v_mul_f32_e32 v19, 0x3fb8aa3b, v19
	v_exp_f32_e32 v19, v19
	ds_write_b32 v17, v19
	v_add_f32_e32 v15, v15, v19
	v_add_u32_e32 v17, 0x200, v17
	s_andn2_b64 exec, exec, s[36:37]
	s_cbranch_execnz .LBB165_19
; %bb.20:
	s_or_b64 exec, exec, s[36:37]
.LBB165_21:
	s_or_b64 exec, exec, s[34:35]
	ds_bpermute_b32 v2, v2, v15
	s_waitcnt lgkmcnt(0)
	v_add_f32_e32 v2, v15, v2
	ds_bpermute_b32 v3, v3, v2
	s_waitcnt lgkmcnt(0)
	v_add_f32_e32 v2, v2, v3
	ds_bpermute_b32 v3, v12, v2
	v_xor_b32_e32 v12, 2, v5
	v_cmp_lt_i32_e64 s[10:11], v12, v6
	v_cndmask_b32_e64 v5, v5, v12, s[10:11]
	s_waitcnt lgkmcnt(0)
	v_add_f32_e32 v2, v2, v3
	ds_bpermute_b32 v3, v13, v2
	s_waitcnt lgkmcnt(0)
	v_add_f32_e32 v2, v2, v3
	v_lshlrev_b32_e32 v3, 2, v5
	ds_bpermute_b32 v3, v3, v2
	s_waitcnt lgkmcnt(0)
	v_add_f32_e32 v2, v2, v3
	ds_bpermute_b32 v3, v16, v2
	s_waitcnt lgkmcnt(0)
	v_add_f32_e32 v2, v2, v3
	s_and_saveexec_b64 s[10:11], vcc
	s_cbranch_execz .LBB165_23
; %bb.22:
	ds_write_b32 v8, v2 offset:200
.LBB165_23:
	s_or_b64 exec, exec, s[10:11]
	s_waitcnt lgkmcnt(0)
	s_barrier
	s_and_saveexec_b64 s[10:11], s[2:3]
	s_cbranch_execz .LBB165_25
; %bb.24:
	ds_read_b32 v2, v9 offset:200
.LBB165_25:
	s_or_b64 exec, exec, s[10:11]
	s_waitcnt lgkmcnt(0)
	ds_bpermute_b32 v3, v16, v2
	s_waitcnt lgkmcnt(0)
	v_add_f32_e32 v2, v2, v3
	ds_bpermute_b32 v5, v14, v2
	s_and_saveexec_b64 s[2:3], s[4:5]
	s_cbranch_execz .LBB165_38
; %bb.26:
	s_waitcnt lgkmcnt(0)
	v_add_f32_e32 v2, 0x358637bd, v5
	v_div_scale_f32 v3, s[4:5], v2, v2, 1.0
	v_rcp_f32_e32 v6, v3
	v_div_scale_f32 v8, vcc, 1.0, v2, 1.0
	s_movk_i32 s4, 0x7f
	v_fma_f32 v9, -v3, v6, 1.0
	v_fmac_f32_e32 v6, v9, v6
	v_mul_f32_e32 v9, v8, v6
	v_fma_f32 v12, -v3, v9, v8
	v_fmac_f32_e32 v9, v12, v6
	v_fma_f32 v3, -v3, v9, v8
	v_div_fmas_f32 v3, v3, v6, v9
	v_div_fixup_f32 v2, v3, v2, 1.0
	v_xad_u32 v3, v0, -1, s15
	v_subrev_u32_e32 v6, s40, v3
	v_cmp_lt_u32_e32 vcc, s4, v6
	s_mov_b64 s[10:11], -1
	v_mov_b32_e32 v3, v0
	s_and_saveexec_b64 s[4:5], vcc
	s_cbranch_execz .LBB165_35
; %bb.27:
	v_lshrrev_b32_e32 v6, 7, v6
	v_add_u32_e32 v9, -1, v6
	v_lshrrev_b32_e32 v8, 1, v9
	v_mov_b32_e32 v3, v2
	v_add_u32_e32 v8, 1, v8
	v_cmp_lt_u32_e32 vcc, 13, v9
	v_mov_b32_e32 v13, 0
	s_and_saveexec_b64 s[10:11], vcc
	s_cbranch_execz .LBB165_31
; %bb.28:
	v_mov_b32_e32 v12, 0xd0
	v_and_b32_e32 v9, -8, v8
	v_lshl_add_u32 v12, v0, 2, v12
	s_mov_b32 s15, 0
	s_mov_b64 s[34:35], 0
.LBB165_29:                             ; =>This Inner Loop Header: Depth=1
	ds_read2st64_b32 v[14:15], v12 offset1:2
	ds_read2st64_b32 v[18:19], v12 offset0:4 offset1:6
	ds_read2st64_b32 v[20:21], v12 offset0:8 offset1:10
	ds_read2st64_b32 v[22:23], v12 offset0:12 offset1:14
	v_add_u32_e32 v9, -8, v9
	s_waitcnt lgkmcnt(3)
	v_pk_mul_f32 v[14:15], v[2:3], v[14:15]
	s_waitcnt lgkmcnt(2)
	v_pk_mul_f32 v[18:19], v[2:3], v[18:19]
	ds_write2st64_b32 v12, v14, v15 offset1:2
	ds_write2st64_b32 v12, v18, v19 offset0:4 offset1:6
	ds_read2st64_b32 v[18:19], v12 offset0:16 offset1:18
	s_waitcnt lgkmcnt(4)
	v_pk_mul_f32 v[14:15], v[2:3], v[20:21]
	ds_write2st64_b32 v12, v14, v15 offset0:8 offset1:10
	s_waitcnt lgkmcnt(4)
	v_pk_mul_f32 v[14:15], v[2:3], v[22:23]
	ds_write2st64_b32 v12, v14, v15 offset0:12 offset1:14
	ds_read2st64_b32 v[14:15], v12 offset0:20 offset1:22
	s_waitcnt lgkmcnt(3)
	v_pk_mul_f32 v[18:19], v[2:3], v[18:19]
	ds_read2st64_b32 v[20:21], v12 offset0:24 offset1:26
	ds_write2st64_b32 v12, v18, v19 offset0:16 offset1:18
	ds_read2st64_b32 v[18:19], v12 offset0:28 offset1:30
	s_waitcnt lgkmcnt(3)
	v_pk_mul_f32 v[14:15], v[2:3], v[14:15]
	ds_write2st64_b32 v12, v14, v15 offset0:20 offset1:22
	s_waitcnt lgkmcnt(3)
	v_pk_mul_f32 v[14:15], v[2:3], v[20:21]
	ds_write2st64_b32 v12, v14, v15 offset0:24 offset1:26
	s_waitcnt lgkmcnt(2)
	v_pk_mul_f32 v[14:15], v[2:3], v[18:19]
	s_add_i32 s15, s15, 16
	v_cmp_eq_u32_e32 vcc, 0, v9
	ds_write2st64_b32 v12, v14, v15 offset0:28 offset1:30
	v_add_u32_e32 v12, 0x2000, v12
	s_or_b64 s[34:35], vcc, s[34:35]
	v_mov_b32_e32 v13, s15
	s_andn2_b64 exec, exec, s[34:35]
	s_cbranch_execnz .LBB165_29
; %bb.30:
	s_or_b64 exec, exec, s[34:35]
.LBB165_31:
	s_or_b64 exec, exec, s[10:11]
	v_and_b32_e32 v8, 7, v8
	v_cmp_ne_u32_e32 vcc, 0, v8
	s_and_saveexec_b64 s[10:11], vcc
	s_cbranch_execz .LBB165_34
; %bb.32:
	v_lshlrev_b32_e32 v9, 9, v13
	v_lshlrev_b32_e32 v12, 2, v0
	s_movk_i32 s15, 0xd0
	v_add3_u32 v9, v9, v12, s15
	s_mov_b64 s[34:35], 0
.LBB165_33:                             ; =>This Inner Loop Header: Depth=1
	ds_read2st64_b32 v[12:13], v9 offset1:2
	v_add_u32_e32 v8, -1, v8
	v_cmp_eq_u32_e32 vcc, 0, v8
	s_or_b64 s[34:35], vcc, s[34:35]
	s_waitcnt lgkmcnt(0)
	v_pk_mul_f32 v[12:13], v[2:3], v[12:13]
	ds_write2st64_b32 v9, v12, v13 offset1:2
	v_add_u32_e32 v9, 0x400, v9
	s_andn2_b64 exec, exec, s[34:35]
	s_cbranch_execnz .LBB165_33
.LBB165_34:
	s_or_b64 exec, exec, s[10:11]
	v_add_u32_e32 v6, 1, v6
	v_and_b32_e32 v8, 0x3fffffe, v6
	v_cmp_ne_u32_e32 vcc, v6, v8
	v_lshl_add_u32 v3, v8, 7, v0
	s_orn2_b64 s[10:11], vcc, exec
.LBB165_35:
	s_or_b64 exec, exec, s[4:5]
	s_and_b64 exec, exec, s[10:11]
	s_cbranch_execz .LBB165_38
; %bb.36:
	v_mov_b32_e32 v6, 0xd0
	v_lshl_add_u32 v6, v3, 2, v6
	s_mov_b64 s[4:5], 0
.LBB165_37:                             ; =>This Inner Loop Header: Depth=1
	ds_read_b32 v8, v6
	v_add_u32_e32 v3, 0x80, v3
	v_cmp_le_i32_e32 vcc, s9, v3
	s_or_b64 s[4:5], vcc, s[4:5]
	s_waitcnt lgkmcnt(0)
	v_mul_f32_e32 v8, v2, v8
	ds_write_b32 v6, v8
	v_add_u32_e32 v6, 0x200, v6
	s_andn2_b64 exec, exec, s[4:5]
	s_cbranch_execnz .LBB165_37
.LBB165_38:
	s_or_b64 exec, exec, s[2:3]
	v_cmp_eq_u32_e32 vcc, 0, v0
	s_waitcnt lgkmcnt(0)
	s_barrier
	s_and_saveexec_b64 s[2:3], vcc
	s_cbranch_execz .LBB165_40
; %bb.39:
	s_mul_i32 s4, s12, s20
	s_mul_i32 s4, s4, s21
	s_ashr_i32 s5, s4, 31
	s_lshl_b64 s[4:5], s[4:5], 2
	s_add_u32 s9, s18, s4
	s_mul_i32 s10, s12, s6
	s_addc_u32 s15, s19, s5
	s_ashr_i32 s11, s10, 31
	s_lshl_b64 s[10:11], s[10:11], 2
	s_add_u32 s6, s9, s10
	s_addc_u32 s15, s15, s11
	s_ashr_i32 s9, s8, 31
	s_lshl_b64 s[18:19], s[8:9], 2
	s_add_u32 s34, s6, s18
	s_addc_u32 s35, s15, s19
	s_add_u32 s4, s16, s4
	s_addc_u32 s5, s17, s5
	;; [unrolled: 2-line block ×3, first 2 shown]
	s_add_u32 s4, s4, s18
	v_mov_b32_e32 v2, 0
	s_addc_u32 s5, s5, s19
	global_store_dword v2, v7, s[34:35]
	global_store_dword v2, v5, s[4:5]
.LBB165_40:
	s_or_b64 exec, exec, s[2:3]
	v_mov_b32_e32 v18, 0
	v_and_b32_e32 v17, 1, v0
	v_mov_b32_e32 v13, 0
	v_mov_b32_e32 v12, 0
	s_and_saveexec_b64 s[2:3], s[0:1]
	s_cbranch_execz .LBB165_178
; %bb.41:
	s_ashr_i32 s15, s14, 31
	s_lshl_b64 s[0:1], s[14:15], 1
	v_lshlrev_b32_e32 v3, 4, v0
	v_lshlrev_b32_e32 v2, 3, v0
	s_add_u32 s0, s30, s0
	v_and_b32_e32 v3, 0x3f0, v3
	v_and_b32_e32 v2, 8, v2
	s_addc_u32 s1, s31, s1
	v_add_co_u32_e32 v19, vcc, s0, v3
	v_lshl_add_u32 v3, v4, 4, s40
	s_add_i32 s10, s7, -1
	v_mov_b32_e32 v5, s1
	v_add3_u32 v21, v3, v2, 7
	v_lshlrev_b32_e32 v2, 5, v17
	s_lshl_b64 s[0:1], s[28:29], 2
	v_lshl_or_b32 v2, v4, 6, v2
	s_add_u32 s0, s26, s0
	v_addc_co_u32_e32 v20, vcc, 0, v5, vcc
	v_add_u32_e32 v22, 0xd0, v2
	v_lshlrev_b64 v[2:3], 2, v[10:11]
	s_addc_u32 s1, s27, s1
	v_mov_b32_e32 v4, s1
	v_add_co_u32_e32 v14, vcc, s0, v2
	s_mov_b32 s9, s13
	v_addc_co_u32_e32 v15, vcc, v4, v3, vcc
	s_mov_b64 s[4:5], 0
	v_mov_b32_e32 v11, 0
	s_mov_b32 s11, 0x7f800000
	s_movk_i32 s13, 0x7fff
	v_mov_b32_e32 v12, 0
	v_mov_b32_e32 v13, 0
	;; [unrolled: 1-line block ×3, first 2 shown]
	s_branch .LBB165_43
.LBB165_42:                             ;   in Loop: Header=BB165_43 Depth=1
	s_or_b64 exec, exec, s[0:1]
	v_and_b32_e32 v30, 0xffff0000, v26
	v_and_b32_e32 v26, 0xffff0000, v25
	;; [unrolled: 1-line block ×8, first 2 shown]
	v_pk_add_f32 v[8:9], v[8:9], v[24:25]
	v_pk_add_f32 v[24:25], v[26:27], v[30:31]
	v_add_f32_e32 v8, v8, v9
	v_add_f32_e32 v8, v8, v24
	;; [unrolled: 1-line block ×3, first 2 shown]
	v_and_b32_e32 v27, 0xffff0000, v47
	v_and_b32_e32 v26, 0xffff0000, v45
	;; [unrolled: 1-line block ×4, first 2 shown]
	v_add_f32_e32 v12, v12, v8
	v_and_b32_e32 v9, 0xffff0000, v51
	v_and_b32_e32 v8, 0xffff0000, v49
	;; [unrolled: 1-line block ×4, first 2 shown]
	v_pk_add_f32 v[26:27], v[30:31], v[26:27]
	v_pk_add_f32 v[8:9], v[24:25], v[8:9]
	v_add_f32_e32 v23, v26, v27
	v_add_f32_e32 v8, v23, v8
	;; [unrolled: 1-line block ×3, first 2 shown]
	v_and_b32_e32 v25, 0xffff0000, v28
	v_and_b32_e32 v24, 0xffff0000, v7
	;; [unrolled: 1-line block ×4, first 2 shown]
	v_add_f32_e32 v13, v13, v8
	v_and_b32_e32 v9, 0xffff0000, v6
	v_and_b32_e32 v8, 0xffff0000, v29
	;; [unrolled: 1-line block ×4, first 2 shown]
	v_pk_add_f32 v[2:3], v[2:3], v[24:25]
	v_pk_add_f32 v[4:5], v[4:5], v[8:9]
	v_add_f32_e32 v2, v2, v3
	v_add_u32_e32 v10, 2, v10
	v_add_f32_e32 v2, v2, v4
	v_cmp_le_i32_e32 vcc, s23, v10
	v_add_f32_e32 v2, v2, v5
	s_or_b64 s[4:5], vcc, s[4:5]
	v_add_co_u32_e32 v14, vcc, 8, v14
	v_add_f32_e32 v18, v18, v2
	v_add_u32_e32 v21, 32, v21
	v_add_u32_e32 v22, 0x80, v22
	v_addc_co_u32_e32 v15, vcc, 0, v15, vcc
	s_andn2_b64 exec, exec, s[4:5]
	s_cbranch_execz .LBB165_177
.LBB165_43:                             ; =>This Inner Loop Header: Depth=1
	global_load_dword v28, v[14:15], off
	ds_read2_b64 v[6:9], v22 offset1:1
	ds_read2_b64 v[2:5], v22 offset0:2 offset1:3
                                        ; implicit-def: $vgpr36
	s_waitcnt lgkmcnt(1)
	v_and_b32_e32 v23, 0x7f800000, v6
	v_cmp_ne_u32_e32 vcc, s11, v23
	s_and_saveexec_b64 s[0:1], vcc
	s_xor_b64 s[0:1], exec, s[0:1]
; %bb.44:                               ;   in Loop: Header=BB165_43 Depth=1
	v_bfe_u32 v23, v6, 16, 1
	v_add3_u32 v36, v6, v23, s13
; %bb.45:                               ;   in Loop: Header=BB165_43 Depth=1
	s_andn2_saveexec_b64 s[0:1], s[0:1]
; %bb.46:                               ;   in Loop: Header=BB165_43 Depth=1
	v_or_b32_e32 v23, 0x10000, v6
	v_cmp_eq_u32_sdwa vcc, v6, v11 src0_sel:WORD_0 src1_sel:DWORD
	v_cndmask_b32_e32 v36, v23, v6, vcc
; %bb.47:                               ;   in Loop: Header=BB165_43 Depth=1
	s_or_b64 exec, exec, s[0:1]
	v_and_b32_e32 v6, 0x7f800000, v7
	v_cmp_ne_u32_e32 vcc, s11, v6
                                        ; implicit-def: $vgpr37
	s_and_saveexec_b64 s[0:1], vcc
	s_xor_b64 s[0:1], exec, s[0:1]
; %bb.48:                               ;   in Loop: Header=BB165_43 Depth=1
	v_bfe_u32 v6, v7, 16, 1
	v_add3_u32 v37, v7, v6, s13
; %bb.49:                               ;   in Loop: Header=BB165_43 Depth=1
	s_andn2_saveexec_b64 s[0:1], s[0:1]
; %bb.50:                               ;   in Loop: Header=BB165_43 Depth=1
	v_or_b32_e32 v6, 0x10000, v7
	v_cmp_eq_u32_sdwa vcc, v7, v11 src0_sel:WORD_0 src1_sel:DWORD
	v_cndmask_b32_e32 v37, v6, v7, vcc
; %bb.51:                               ;   in Loop: Header=BB165_43 Depth=1
	s_or_b64 exec, exec, s[0:1]
	v_and_b32_e32 v6, 0x7f800000, v8
	v_cmp_ne_u32_e32 vcc, s11, v6
                                        ; implicit-def: $vgpr23
	s_and_saveexec_b64 s[0:1], vcc
	s_xor_b64 s[0:1], exec, s[0:1]
; %bb.52:                               ;   in Loop: Header=BB165_43 Depth=1
	v_bfe_u32 v6, v8, 16, 1
	v_add3_u32 v23, v8, v6, s13
; %bb.53:                               ;   in Loop: Header=BB165_43 Depth=1
	s_andn2_saveexec_b64 s[0:1], s[0:1]
; %bb.54:                               ;   in Loop: Header=BB165_43 Depth=1
	v_or_b32_e32 v6, 0x10000, v8
	v_cmp_eq_u32_sdwa vcc, v8, v11 src0_sel:WORD_0 src1_sel:DWORD
	v_cndmask_b32_e32 v23, v6, v8, vcc
; %bb.55:                               ;   in Loop: Header=BB165_43 Depth=1
	s_or_b64 exec, exec, s[0:1]
	v_and_b32_e32 v6, 0x7f800000, v9
	v_cmp_ne_u32_e32 vcc, s11, v6
                                        ; implicit-def: $vgpr24
	s_and_saveexec_b64 s[0:1], vcc
	s_xor_b64 s[0:1], exec, s[0:1]
; %bb.56:                               ;   in Loop: Header=BB165_43 Depth=1
	v_bfe_u32 v6, v9, 16, 1
	v_add3_u32 v24, v9, v6, s13
                                        ; implicit-def: $vgpr6_vgpr7_vgpr8_vgpr9
; %bb.57:                               ;   in Loop: Header=BB165_43 Depth=1
	s_andn2_saveexec_b64 s[0:1], s[0:1]
; %bb.58:                               ;   in Loop: Header=BB165_43 Depth=1
	v_or_b32_e32 v6, 0x10000, v9
	v_cmp_eq_u32_sdwa vcc, v9, v11 src0_sel:WORD_0 src1_sel:DWORD
	v_cndmask_b32_e32 v24, v6, v9, vcc
; %bb.59:                               ;   in Loop: Header=BB165_43 Depth=1
	s_or_b64 exec, exec, s[0:1]
	s_waitcnt lgkmcnt(0)
	v_and_b32_e32 v6, 0x7f800000, v2
	v_cmp_ne_u32_e32 vcc, s11, v6
                                        ; implicit-def: $vgpr25
	s_and_saveexec_b64 s[0:1], vcc
	s_xor_b64 s[0:1], exec, s[0:1]
; %bb.60:                               ;   in Loop: Header=BB165_43 Depth=1
	v_bfe_u32 v6, v2, 16, 1
	v_add3_u32 v25, v2, v6, s13
; %bb.61:                               ;   in Loop: Header=BB165_43 Depth=1
	s_andn2_saveexec_b64 s[0:1], s[0:1]
; %bb.62:                               ;   in Loop: Header=BB165_43 Depth=1
	v_or_b32_e32 v6, 0x10000, v2
	v_cmp_eq_u32_sdwa vcc, v2, v11 src0_sel:WORD_0 src1_sel:DWORD
	v_cndmask_b32_e32 v25, v6, v2, vcc
; %bb.63:                               ;   in Loop: Header=BB165_43 Depth=1
	s_or_b64 exec, exec, s[0:1]
	v_and_b32_e32 v2, 0x7f800000, v3
	v_cmp_ne_u32_e32 vcc, s11, v2
                                        ; implicit-def: $vgpr26
	s_and_saveexec_b64 s[0:1], vcc
	s_xor_b64 s[0:1], exec, s[0:1]
; %bb.64:                               ;   in Loop: Header=BB165_43 Depth=1
	v_bfe_u32 v2, v3, 16, 1
	v_add3_u32 v26, v3, v2, s13
; %bb.65:                               ;   in Loop: Header=BB165_43 Depth=1
	s_andn2_saveexec_b64 s[0:1], s[0:1]
; %bb.66:                               ;   in Loop: Header=BB165_43 Depth=1
	v_or_b32_e32 v2, 0x10000, v3
	v_cmp_eq_u32_sdwa vcc, v3, v11 src0_sel:WORD_0 src1_sel:DWORD
	v_cndmask_b32_e32 v26, v2, v3, vcc
; %bb.67:                               ;   in Loop: Header=BB165_43 Depth=1
	s_or_b64 exec, exec, s[0:1]
	v_and_b32_e32 v2, 0x7f800000, v4
	v_cmp_ne_u32_e32 vcc, s11, v2
                                        ; implicit-def: $vgpr27
	s_and_saveexec_b64 s[0:1], vcc
	s_xor_b64 s[0:1], exec, s[0:1]
; %bb.68:                               ;   in Loop: Header=BB165_43 Depth=1
	v_bfe_u32 v2, v4, 16, 1
	v_add3_u32 v27, v4, v2, s13
; %bb.69:                               ;   in Loop: Header=BB165_43 Depth=1
	s_andn2_saveexec_b64 s[0:1], s[0:1]
; %bb.70:                               ;   in Loop: Header=BB165_43 Depth=1
	v_or_b32_e32 v2, 0x10000, v4
	v_cmp_eq_u32_sdwa vcc, v4, v11 src0_sel:WORD_0 src1_sel:DWORD
	v_cndmask_b32_e32 v27, v2, v4, vcc
; %bb.71:                               ;   in Loop: Header=BB165_43 Depth=1
	s_or_b64 exec, exec, s[0:1]
	v_and_b32_e32 v2, 0x7f800000, v5
	v_cmp_ne_u32_e32 vcc, s11, v2
                                        ; implicit-def: $vgpr35
	s_and_saveexec_b64 s[0:1], vcc
	s_xor_b64 s[0:1], exec, s[0:1]
; %bb.72:                               ;   in Loop: Header=BB165_43 Depth=1
	v_bfe_u32 v2, v5, 16, 1
	v_add3_u32 v35, v5, v2, s13
                                        ; implicit-def: $vgpr2_vgpr3_vgpr4_vgpr5
; %bb.73:                               ;   in Loop: Header=BB165_43 Depth=1
	s_andn2_saveexec_b64 s[0:1], s[0:1]
; %bb.74:                               ;   in Loop: Header=BB165_43 Depth=1
	v_or_b32_e32 v2, 0x10000, v5
	v_cmp_eq_u32_sdwa vcc, v5, v11 src0_sel:WORD_0 src1_sel:DWORD
	v_cndmask_b32_e32 v35, v2, v5, vcc
; %bb.75:                               ;   in Loop: Header=BB165_43 Depth=1
	s_or_b64 exec, exec, s[0:1]
	s_waitcnt vmcnt(0)
	v_mad_i64_i32 v[2:3], s[0:1], v28, s9, 0
	v_lshlrev_b64 v[2:3], 1, v[2:3]
	v_add_co_u32_e32 v6, vcc, v19, v2
	v_addc_co_u32_e32 v7, vcc, v20, v3, vcc
	global_load_dwordx4 v[2:5], v[6:7], off
	v_add_u32_e32 v28, -7, v21
	v_cmp_eq_u32_e32 vcc, s10, v10
	v_add_u32_e32 v34, -6, v21
	v_add_u32_e32 v32, -5, v21
	;; [unrolled: 1-line block ×6, first 2 shown]
	s_waitcnt vmcnt(0)
	v_lshrrev_b32_e32 v9, 16, v2
	v_lshrrev_b32_e32 v40, 16, v3
	;; [unrolled: 1-line block ×4, first 2 shown]
	s_and_saveexec_b64 s[6:7], vcc
	s_cbranch_execz .LBB165_77
; %bb.76:                               ;   in Loop: Header=BB165_43 Depth=1
	v_cmp_gt_i32_e64 s[0:1], s33, v28
	v_cndmask_b32_e64 v2, 0, v2, s[0:1]
	v_cmp_gt_i32_e64 s[0:1], s33, v34
	v_cndmask_b32_e64 v9, 0, v9, s[0:1]
	;; [unrolled: 2-line block ×8, first 2 shown]
.LBB165_77:                             ;   in Loop: Header=BB165_43 Depth=1
	s_or_b64 exec, exec, s[6:7]
	v_and_b32_e32 v36, 0xffff0000, v36
	v_lshlrev_b32_e32 v2, 16, v2
	v_mul_f32_e32 v2, v36, v2
	v_and_b32_e32 v8, 0x7f800000, v2
	v_cmp_ne_u32_e64 s[0:1], s11, v8
                                        ; implicit-def: $vgpr8
	s_and_saveexec_b64 s[6:7], s[0:1]
	s_xor_b64 s[0:1], exec, s[6:7]
; %bb.78:                               ;   in Loop: Header=BB165_43 Depth=1
	v_bfe_u32 v8, v2, 16, 1
	v_add3_u32 v8, v2, v8, s13
                                        ; implicit-def: $vgpr2
; %bb.79:                               ;   in Loop: Header=BB165_43 Depth=1
	s_andn2_saveexec_b64 s[6:7], s[0:1]
; %bb.80:                               ;   in Loop: Header=BB165_43 Depth=1
	v_or_b32_e32 v8, 0x10000, v2
	v_cmp_eq_u32_sdwa s[0:1], v2, v11 src0_sel:WORD_0 src1_sel:DWORD
	v_cndmask_b32_e64 v8, v8, v2, s[0:1]
; %bb.81:                               ;   in Loop: Header=BB165_43 Depth=1
	s_or_b64 exec, exec, s[6:7]
	v_and_b32_e32 v37, 0xffff0000, v37
	v_lshlrev_b32_e32 v2, 16, v9
	v_mul_f32_e32 v2, v37, v2
	v_and_b32_e32 v9, 0x7f800000, v2
	v_cmp_ne_u32_e64 s[0:1], s11, v9
                                        ; implicit-def: $vgpr9
	s_and_saveexec_b64 s[6:7], s[0:1]
	s_xor_b64 s[0:1], exec, s[6:7]
; %bb.82:                               ;   in Loop: Header=BB165_43 Depth=1
	v_bfe_u32 v9, v2, 16, 1
	v_add3_u32 v9, v2, v9, s13
                                        ; implicit-def: $vgpr2
; %bb.83:                               ;   in Loop: Header=BB165_43 Depth=1
	s_andn2_saveexec_b64 s[6:7], s[0:1]
; %bb.84:                               ;   in Loop: Header=BB165_43 Depth=1
	v_or_b32_e32 v9, 0x10000, v2
	v_cmp_eq_u32_sdwa s[0:1], v2, v11 src0_sel:WORD_0 src1_sel:DWORD
	v_cndmask_b32_e64 v9, v9, v2, s[0:1]
; %bb.85:                               ;   in Loop: Header=BB165_43 Depth=1
	s_or_b64 exec, exec, s[6:7]
	v_and_b32_e32 v38, 0xffff0000, v23
	v_lshlrev_b32_e32 v2, 16, v3
	v_mul_f32_e32 v2, v38, v2
	v_and_b32_e32 v3, 0x7f800000, v2
	v_cmp_ne_u32_e64 s[0:1], s11, v3
                                        ; implicit-def: $vgpr23
	s_and_saveexec_b64 s[6:7], s[0:1]
	s_xor_b64 s[0:1], exec, s[6:7]
; %bb.86:                               ;   in Loop: Header=BB165_43 Depth=1
	v_bfe_u32 v3, v2, 16, 1
	v_add3_u32 v23, v2, v3, s13
                                        ; implicit-def: $vgpr2
; %bb.87:                               ;   in Loop: Header=BB165_43 Depth=1
	s_andn2_saveexec_b64 s[6:7], s[0:1]
; %bb.88:                               ;   in Loop: Header=BB165_43 Depth=1
	v_or_b32_e32 v3, 0x10000, v2
	v_cmp_eq_u32_sdwa s[0:1], v2, v11 src0_sel:WORD_0 src1_sel:DWORD
	v_cndmask_b32_e64 v23, v3, v2, s[0:1]
; %bb.89:                               ;   in Loop: Header=BB165_43 Depth=1
	s_or_b64 exec, exec, s[6:7]
	v_and_b32_e32 v39, 0xffff0000, v24
	v_lshlrev_b32_e32 v2, 16, v40
	v_mul_f32_e32 v2, v39, v2
	v_and_b32_e32 v3, 0x7f800000, v2
	v_cmp_ne_u32_e64 s[0:1], s11, v3
                                        ; implicit-def: $vgpr24
	s_and_saveexec_b64 s[6:7], s[0:1]
	s_xor_b64 s[0:1], exec, s[6:7]
; %bb.90:                               ;   in Loop: Header=BB165_43 Depth=1
	v_bfe_u32 v3, v2, 16, 1
	v_add3_u32 v24, v2, v3, s13
                                        ; implicit-def: $vgpr2
; %bb.91:                               ;   in Loop: Header=BB165_43 Depth=1
	s_andn2_saveexec_b64 s[6:7], s[0:1]
; %bb.92:                               ;   in Loop: Header=BB165_43 Depth=1
	v_or_b32_e32 v3, 0x10000, v2
	v_cmp_eq_u32_sdwa s[0:1], v2, v11 src0_sel:WORD_0 src1_sel:DWORD
	v_cndmask_b32_e64 v24, v3, v2, s[0:1]
; %bb.93:                               ;   in Loop: Header=BB165_43 Depth=1
	s_or_b64 exec, exec, s[6:7]
	v_and_b32_e32 v40, 0xffff0000, v25
	v_lshlrev_b32_e32 v2, 16, v4
	v_mul_f32_e32 v2, v40, v2
	v_and_b32_e32 v3, 0x7f800000, v2
	v_cmp_ne_u32_e64 s[0:1], s11, v3
                                        ; implicit-def: $vgpr25
	s_and_saveexec_b64 s[6:7], s[0:1]
	s_xor_b64 s[0:1], exec, s[6:7]
; %bb.94:                               ;   in Loop: Header=BB165_43 Depth=1
	v_bfe_u32 v3, v2, 16, 1
	v_add3_u32 v25, v2, v3, s13
                                        ; implicit-def: $vgpr2
; %bb.95:                               ;   in Loop: Header=BB165_43 Depth=1
	s_andn2_saveexec_b64 s[6:7], s[0:1]
; %bb.96:                               ;   in Loop: Header=BB165_43 Depth=1
	v_or_b32_e32 v3, 0x10000, v2
	v_cmp_eq_u32_sdwa s[0:1], v2, v11 src0_sel:WORD_0 src1_sel:DWORD
	v_cndmask_b32_e64 v25, v3, v2, s[0:1]
; %bb.97:                               ;   in Loop: Header=BB165_43 Depth=1
	s_or_b64 exec, exec, s[6:7]
	v_and_b32_e32 v41, 0xffff0000, v26
	v_lshlrev_b32_e32 v2, 16, v42
	v_mul_f32_e32 v2, v41, v2
	v_and_b32_e32 v3, 0x7f800000, v2
	v_cmp_ne_u32_e64 s[0:1], s11, v3
                                        ; implicit-def: $vgpr26
	s_and_saveexec_b64 s[6:7], s[0:1]
	s_xor_b64 s[0:1], exec, s[6:7]
; %bb.98:                               ;   in Loop: Header=BB165_43 Depth=1
	v_bfe_u32 v3, v2, 16, 1
	v_add3_u32 v26, v2, v3, s13
                                        ; implicit-def: $vgpr2
; %bb.99:                               ;   in Loop: Header=BB165_43 Depth=1
	s_andn2_saveexec_b64 s[6:7], s[0:1]
; %bb.100:                              ;   in Loop: Header=BB165_43 Depth=1
	v_or_b32_e32 v3, 0x10000, v2
	v_cmp_eq_u32_sdwa s[0:1], v2, v11 src0_sel:WORD_0 src1_sel:DWORD
	v_cndmask_b32_e64 v26, v3, v2, s[0:1]
; %bb.101:                              ;   in Loop: Header=BB165_43 Depth=1
	s_or_b64 exec, exec, s[6:7]
	v_and_b32_e32 v42, 0xffff0000, v27
	v_lshlrev_b32_e32 v2, 16, v5
	v_mul_f32_e32 v2, v42, v2
	v_and_b32_e32 v3, 0x7f800000, v2
	v_cmp_ne_u32_e64 s[0:1], s11, v3
                                        ; implicit-def: $vgpr27
	s_and_saveexec_b64 s[6:7], s[0:1]
	s_xor_b64 s[0:1], exec, s[6:7]
; %bb.102:                              ;   in Loop: Header=BB165_43 Depth=1
	v_bfe_u32 v3, v2, 16, 1
	v_add3_u32 v27, v2, v3, s13
                                        ; implicit-def: $vgpr2
; %bb.103:                              ;   in Loop: Header=BB165_43 Depth=1
	s_andn2_saveexec_b64 s[6:7], s[0:1]
; %bb.104:                              ;   in Loop: Header=BB165_43 Depth=1
	v_or_b32_e32 v3, 0x10000, v2
	v_cmp_eq_u32_sdwa s[0:1], v2, v11 src0_sel:WORD_0 src1_sel:DWORD
	v_cndmask_b32_e64 v27, v3, v2, s[0:1]
; %bb.105:                              ;   in Loop: Header=BB165_43 Depth=1
	s_or_b64 exec, exec, s[6:7]
	v_and_b32_e32 v43, 0xffff0000, v35
	v_lshlrev_b32_e32 v2, 16, v44
	v_mul_f32_e32 v2, v43, v2
	v_and_b32_e32 v3, 0x7f800000, v2
	v_cmp_ne_u32_e64 s[0:1], s11, v3
                                        ; implicit-def: $vgpr35
	s_and_saveexec_b64 s[6:7], s[0:1]
	s_xor_b64 s[0:1], exec, s[6:7]
; %bb.106:                              ;   in Loop: Header=BB165_43 Depth=1
	v_bfe_u32 v3, v2, 16, 1
	v_add3_u32 v35, v2, v3, s13
                                        ; implicit-def: $vgpr2
; %bb.107:                              ;   in Loop: Header=BB165_43 Depth=1
	s_andn2_saveexec_b64 s[6:7], s[0:1]
; %bb.108:                              ;   in Loop: Header=BB165_43 Depth=1
	v_or_b32_e32 v3, 0x10000, v2
	v_cmp_eq_u32_sdwa s[0:1], v2, v11 src0_sel:WORD_0 src1_sel:DWORD
	v_cndmask_b32_e64 v35, v3, v2, s[0:1]
; %bb.109:                              ;   in Loop: Header=BB165_43 Depth=1
	s_or_b64 exec, exec, s[6:7]
	global_load_dwordx4 v[2:5], v[6:7], off offset:1024
	s_waitcnt vmcnt(0)
	v_lshrrev_b32_e32 v45, 16, v2
	v_lshrrev_b32_e32 v47, 16, v3
	;; [unrolled: 1-line block ×4, first 2 shown]
	s_and_saveexec_b64 s[6:7], vcc
	s_cbranch_execz .LBB165_111
; %bb.110:                              ;   in Loop: Header=BB165_43 Depth=1
	v_cmp_gt_i32_e64 s[0:1], s33, v28
	v_cndmask_b32_e64 v2, 0, v2, s[0:1]
	v_cmp_gt_i32_e64 s[0:1], s33, v34
	v_cndmask_b32_e64 v45, 0, v45, s[0:1]
	;; [unrolled: 2-line block ×8, first 2 shown]
.LBB165_111:                            ;   in Loop: Header=BB165_43 Depth=1
	s_or_b64 exec, exec, s[6:7]
	v_lshlrev_b32_e32 v2, 16, v2
	v_mul_f32_e32 v2, v36, v2
	v_and_b32_e32 v44, 0x7f800000, v2
	v_cmp_ne_u32_e64 s[0:1], s11, v44
                                        ; implicit-def: $vgpr44
	s_and_saveexec_b64 s[6:7], s[0:1]
	s_xor_b64 s[0:1], exec, s[6:7]
; %bb.112:                              ;   in Loop: Header=BB165_43 Depth=1
	v_bfe_u32 v44, v2, 16, 1
	v_add3_u32 v44, v2, v44, s13
                                        ; implicit-def: $vgpr2
; %bb.113:                              ;   in Loop: Header=BB165_43 Depth=1
	s_andn2_saveexec_b64 s[6:7], s[0:1]
; %bb.114:                              ;   in Loop: Header=BB165_43 Depth=1
	v_or_b32_e32 v44, 0x10000, v2
	v_cmp_eq_u32_sdwa s[0:1], v2, v11 src0_sel:WORD_0 src1_sel:DWORD
	v_cndmask_b32_e64 v44, v44, v2, s[0:1]
; %bb.115:                              ;   in Loop: Header=BB165_43 Depth=1
	s_or_b64 exec, exec, s[6:7]
	v_lshlrev_b32_e32 v2, 16, v45
	v_mul_f32_e32 v2, v37, v2
	v_and_b32_e32 v45, 0x7f800000, v2
	v_cmp_ne_u32_e64 s[0:1], s11, v45
                                        ; implicit-def: $vgpr45
	s_and_saveexec_b64 s[6:7], s[0:1]
	s_xor_b64 s[0:1], exec, s[6:7]
; %bb.116:                              ;   in Loop: Header=BB165_43 Depth=1
	v_bfe_u32 v45, v2, 16, 1
	v_add3_u32 v45, v2, v45, s13
                                        ; implicit-def: $vgpr2
; %bb.117:                              ;   in Loop: Header=BB165_43 Depth=1
	s_andn2_saveexec_b64 s[6:7], s[0:1]
; %bb.118:                              ;   in Loop: Header=BB165_43 Depth=1
	v_or_b32_e32 v45, 0x10000, v2
	v_cmp_eq_u32_sdwa s[0:1], v2, v11 src0_sel:WORD_0 src1_sel:DWORD
	v_cndmask_b32_e64 v45, v45, v2, s[0:1]
; %bb.119:                              ;   in Loop: Header=BB165_43 Depth=1
	s_or_b64 exec, exec, s[6:7]
	v_lshlrev_b32_e32 v2, 16, v3
	v_mul_f32_e32 v2, v38, v2
	v_and_b32_e32 v3, 0x7f800000, v2
	v_cmp_ne_u32_e64 s[0:1], s11, v3
                                        ; implicit-def: $vgpr46
	s_and_saveexec_b64 s[6:7], s[0:1]
	s_xor_b64 s[0:1], exec, s[6:7]
; %bb.120:                              ;   in Loop: Header=BB165_43 Depth=1
	v_bfe_u32 v3, v2, 16, 1
	v_add3_u32 v46, v2, v3, s13
                                        ; implicit-def: $vgpr2
; %bb.121:                              ;   in Loop: Header=BB165_43 Depth=1
	s_andn2_saveexec_b64 s[6:7], s[0:1]
; %bb.122:                              ;   in Loop: Header=BB165_43 Depth=1
	v_or_b32_e32 v3, 0x10000, v2
	v_cmp_eq_u32_sdwa s[0:1], v2, v11 src0_sel:WORD_0 src1_sel:DWORD
	v_cndmask_b32_e64 v46, v3, v2, s[0:1]
; %bb.123:                              ;   in Loop: Header=BB165_43 Depth=1
	s_or_b64 exec, exec, s[6:7]
	v_lshlrev_b32_e32 v2, 16, v47
	v_mul_f32_e32 v2, v39, v2
	v_and_b32_e32 v3, 0x7f800000, v2
	v_cmp_ne_u32_e64 s[0:1], s11, v3
                                        ; implicit-def: $vgpr47
	s_and_saveexec_b64 s[6:7], s[0:1]
	s_xor_b64 s[0:1], exec, s[6:7]
; %bb.124:                              ;   in Loop: Header=BB165_43 Depth=1
	v_bfe_u32 v3, v2, 16, 1
	v_add3_u32 v47, v2, v3, s13
                                        ; implicit-def: $vgpr2
; %bb.125:                              ;   in Loop: Header=BB165_43 Depth=1
	s_andn2_saveexec_b64 s[6:7], s[0:1]
; %bb.126:                              ;   in Loop: Header=BB165_43 Depth=1
	v_or_b32_e32 v3, 0x10000, v2
	v_cmp_eq_u32_sdwa s[0:1], v2, v11 src0_sel:WORD_0 src1_sel:DWORD
	v_cndmask_b32_e64 v47, v3, v2, s[0:1]
; %bb.127:                              ;   in Loop: Header=BB165_43 Depth=1
	s_or_b64 exec, exec, s[6:7]
	v_lshlrev_b32_e32 v2, 16, v4
	v_mul_f32_e32 v2, v40, v2
	v_and_b32_e32 v3, 0x7f800000, v2
	v_cmp_ne_u32_e64 s[0:1], s11, v3
                                        ; implicit-def: $vgpr48
	s_and_saveexec_b64 s[6:7], s[0:1]
	s_xor_b64 s[0:1], exec, s[6:7]
; %bb.128:                              ;   in Loop: Header=BB165_43 Depth=1
	v_bfe_u32 v3, v2, 16, 1
	v_add3_u32 v48, v2, v3, s13
                                        ; implicit-def: $vgpr2
; %bb.129:                              ;   in Loop: Header=BB165_43 Depth=1
	s_andn2_saveexec_b64 s[6:7], s[0:1]
; %bb.130:                              ;   in Loop: Header=BB165_43 Depth=1
	v_or_b32_e32 v3, 0x10000, v2
	v_cmp_eq_u32_sdwa s[0:1], v2, v11 src0_sel:WORD_0 src1_sel:DWORD
	v_cndmask_b32_e64 v48, v3, v2, s[0:1]
; %bb.131:                              ;   in Loop: Header=BB165_43 Depth=1
	s_or_b64 exec, exec, s[6:7]
	v_lshlrev_b32_e32 v2, 16, v49
	v_mul_f32_e32 v2, v41, v2
	v_and_b32_e32 v3, 0x7f800000, v2
	v_cmp_ne_u32_e64 s[0:1], s11, v3
                                        ; implicit-def: $vgpr49
	s_and_saveexec_b64 s[6:7], s[0:1]
	s_xor_b64 s[0:1], exec, s[6:7]
; %bb.132:                              ;   in Loop: Header=BB165_43 Depth=1
	v_bfe_u32 v3, v2, 16, 1
	v_add3_u32 v49, v2, v3, s13
                                        ; implicit-def: $vgpr2
; %bb.133:                              ;   in Loop: Header=BB165_43 Depth=1
	s_andn2_saveexec_b64 s[6:7], s[0:1]
; %bb.134:                              ;   in Loop: Header=BB165_43 Depth=1
	v_or_b32_e32 v3, 0x10000, v2
	v_cmp_eq_u32_sdwa s[0:1], v2, v11 src0_sel:WORD_0 src1_sel:DWORD
	v_cndmask_b32_e64 v49, v3, v2, s[0:1]
; %bb.135:                              ;   in Loop: Header=BB165_43 Depth=1
	s_or_b64 exec, exec, s[6:7]
	v_lshlrev_b32_e32 v2, 16, v5
	v_mul_f32_e32 v2, v42, v2
	v_and_b32_e32 v3, 0x7f800000, v2
	v_cmp_ne_u32_e64 s[0:1], s11, v3
                                        ; implicit-def: $vgpr50
	s_and_saveexec_b64 s[6:7], s[0:1]
	s_xor_b64 s[0:1], exec, s[6:7]
; %bb.136:                              ;   in Loop: Header=BB165_43 Depth=1
	v_bfe_u32 v3, v2, 16, 1
	v_add3_u32 v50, v2, v3, s13
                                        ; implicit-def: $vgpr2
; %bb.137:                              ;   in Loop: Header=BB165_43 Depth=1
	s_andn2_saveexec_b64 s[6:7], s[0:1]
; %bb.138:                              ;   in Loop: Header=BB165_43 Depth=1
	v_or_b32_e32 v3, 0x10000, v2
	v_cmp_eq_u32_sdwa s[0:1], v2, v11 src0_sel:WORD_0 src1_sel:DWORD
	v_cndmask_b32_e64 v50, v3, v2, s[0:1]
; %bb.139:                              ;   in Loop: Header=BB165_43 Depth=1
	s_or_b64 exec, exec, s[6:7]
	v_lshlrev_b32_e32 v2, 16, v51
	v_mul_f32_e32 v2, v43, v2
	v_and_b32_e32 v3, 0x7f800000, v2
	v_cmp_ne_u32_e64 s[0:1], s11, v3
                                        ; implicit-def: $vgpr51
	s_and_saveexec_b64 s[6:7], s[0:1]
	s_xor_b64 s[0:1], exec, s[6:7]
; %bb.140:                              ;   in Loop: Header=BB165_43 Depth=1
	v_bfe_u32 v3, v2, 16, 1
	v_add3_u32 v51, v2, v3, s13
                                        ; implicit-def: $vgpr2
; %bb.141:                              ;   in Loop: Header=BB165_43 Depth=1
	s_andn2_saveexec_b64 s[6:7], s[0:1]
; %bb.142:                              ;   in Loop: Header=BB165_43 Depth=1
	v_or_b32_e32 v3, 0x10000, v2
	v_cmp_eq_u32_sdwa s[0:1], v2, v11 src0_sel:WORD_0 src1_sel:DWORD
	v_cndmask_b32_e64 v51, v3, v2, s[0:1]
; %bb.143:                              ;   in Loop: Header=BB165_43 Depth=1
	s_or_b64 exec, exec, s[6:7]
	global_load_dwordx4 v[2:5], v[6:7], off offset:2048
	s_waitcnt vmcnt(0)
	v_lshrrev_b32_e32 v7, 16, v2
	v_lshrrev_b32_e32 v53, 16, v3
	;; [unrolled: 1-line block ×4, first 2 shown]
	s_and_saveexec_b64 s[0:1], vcc
	s_cbranch_execz .LBB165_145
; %bb.144:                              ;   in Loop: Header=BB165_43 Depth=1
	v_cmp_gt_i32_e32 vcc, s33, v28
	v_cndmask_b32_e32 v2, 0, v2, vcc
	v_cmp_gt_i32_e32 vcc, s33, v34
	v_cndmask_b32_e32 v7, 0, v7, vcc
	;; [unrolled: 2-line block ×8, first 2 shown]
.LBB165_145:                            ;   in Loop: Header=BB165_43 Depth=1
	s_or_b64 exec, exec, s[0:1]
	v_lshlrev_b32_e32 v2, 16, v2
	v_mul_f32_e32 v28, v36, v2
	v_and_b32_e32 v2, 0x7f800000, v28
	v_cmp_ne_u32_e32 vcc, s11, v2
                                        ; implicit-def: $vgpr2
	s_and_saveexec_b64 s[0:1], vcc
	s_xor_b64 s[0:1], exec, s[0:1]
; %bb.146:                              ;   in Loop: Header=BB165_43 Depth=1
	v_bfe_u32 v2, v28, 16, 1
	v_add3_u32 v2, v28, v2, s13
                                        ; implicit-def: $vgpr28
; %bb.147:                              ;   in Loop: Header=BB165_43 Depth=1
	s_andn2_saveexec_b64 s[0:1], s[0:1]
; %bb.148:                              ;   in Loop: Header=BB165_43 Depth=1
	v_or_b32_e32 v2, 0x10000, v28
	v_cmp_eq_u32_sdwa vcc, v28, v11 src0_sel:WORD_0 src1_sel:DWORD
	v_cndmask_b32_e32 v2, v2, v28, vcc
; %bb.149:                              ;   in Loop: Header=BB165_43 Depth=1
	s_or_b64 exec, exec, s[0:1]
	v_lshlrev_b32_e32 v7, 16, v7
	v_mul_f32_e32 v28, v37, v7
	v_and_b32_e32 v7, 0x7f800000, v28
	v_cmp_ne_u32_e32 vcc, s11, v7
                                        ; implicit-def: $vgpr7
	s_and_saveexec_b64 s[0:1], vcc
	s_xor_b64 s[0:1], exec, s[0:1]
; %bb.150:                              ;   in Loop: Header=BB165_43 Depth=1
	v_bfe_u32 v7, v28, 16, 1
	v_add3_u32 v7, v28, v7, s13
                                        ; implicit-def: $vgpr28
; %bb.151:                              ;   in Loop: Header=BB165_43 Depth=1
	s_andn2_saveexec_b64 s[0:1], s[0:1]
; %bb.152:                              ;   in Loop: Header=BB165_43 Depth=1
	v_or_b32_e32 v7, 0x10000, v28
	v_cmp_eq_u32_sdwa vcc, v28, v11 src0_sel:WORD_0 src1_sel:DWORD
	v_cndmask_b32_e32 v7, v7, v28, vcc
; %bb.153:                              ;   in Loop: Header=BB165_43 Depth=1
	s_or_b64 exec, exec, s[0:1]
	v_lshlrev_b32_e32 v3, 16, v3
	v_mul_f32_e32 v28, v38, v3
	v_and_b32_e32 v3, 0x7f800000, v28
	v_cmp_ne_u32_e32 vcc, s11, v3
                                        ; implicit-def: $vgpr3
	s_and_saveexec_b64 s[0:1], vcc
	s_xor_b64 s[0:1], exec, s[0:1]
; %bb.154:                              ;   in Loop: Header=BB165_43 Depth=1
	v_bfe_u32 v3, v28, 16, 1
	v_add3_u32 v3, v28, v3, s13
                                        ; implicit-def: $vgpr28
; %bb.155:                              ;   in Loop: Header=BB165_43 Depth=1
	s_andn2_saveexec_b64 s[0:1], s[0:1]
; %bb.156:                              ;   in Loop: Header=BB165_43 Depth=1
	v_or_b32_e32 v3, 0x10000, v28
	v_cmp_eq_u32_sdwa vcc, v28, v11 src0_sel:WORD_0 src1_sel:DWORD
	v_cndmask_b32_e32 v3, v3, v28, vcc
; %bb.157:                              ;   in Loop: Header=BB165_43 Depth=1
	s_or_b64 exec, exec, s[0:1]
	v_lshlrev_b32_e32 v28, 16, v53
	v_mul_f32_e32 v29, v39, v28
	v_and_b32_e32 v28, 0x7f800000, v29
	v_cmp_ne_u32_e32 vcc, s11, v28
                                        ; implicit-def: $vgpr28
	s_and_saveexec_b64 s[0:1], vcc
	s_xor_b64 s[0:1], exec, s[0:1]
; %bb.158:                              ;   in Loop: Header=BB165_43 Depth=1
	v_bfe_u32 v28, v29, 16, 1
	v_add3_u32 v28, v29, v28, s13
                                        ; implicit-def: $vgpr29
; %bb.159:                              ;   in Loop: Header=BB165_43 Depth=1
	s_andn2_saveexec_b64 s[0:1], s[0:1]
; %bb.160:                              ;   in Loop: Header=BB165_43 Depth=1
	v_or_b32_e32 v28, 0x10000, v29
	v_cmp_eq_u32_sdwa vcc, v29, v11 src0_sel:WORD_0 src1_sel:DWORD
	v_cndmask_b32_e32 v28, v28, v29, vcc
; %bb.161:                              ;   in Loop: Header=BB165_43 Depth=1
	s_or_b64 exec, exec, s[0:1]
	v_lshlrev_b32_e32 v4, 16, v4
	v_mul_f32_e32 v29, v40, v4
	v_and_b32_e32 v4, 0x7f800000, v29
	v_cmp_ne_u32_e32 vcc, s11, v4
                                        ; implicit-def: $vgpr4
	s_and_saveexec_b64 s[0:1], vcc
	s_xor_b64 s[0:1], exec, s[0:1]
; %bb.162:                              ;   in Loop: Header=BB165_43 Depth=1
	v_bfe_u32 v4, v29, 16, 1
	v_add3_u32 v4, v29, v4, s13
                                        ; implicit-def: $vgpr29
; %bb.163:                              ;   in Loop: Header=BB165_43 Depth=1
	s_andn2_saveexec_b64 s[0:1], s[0:1]
; %bb.164:                              ;   in Loop: Header=BB165_43 Depth=1
	v_or_b32_e32 v4, 0x10000, v29
	v_cmp_eq_u32_sdwa vcc, v29, v11 src0_sel:WORD_0 src1_sel:DWORD
	v_cndmask_b32_e32 v4, v4, v29, vcc
; %bb.165:                              ;   in Loop: Header=BB165_43 Depth=1
	s_or_b64 exec, exec, s[0:1]
	v_lshlrev_b32_e32 v29, 16, v52
	v_mul_f32_e32 v30, v41, v29
	v_and_b32_e32 v29, 0x7f800000, v30
	v_cmp_ne_u32_e32 vcc, s11, v29
                                        ; implicit-def: $vgpr29
	s_and_saveexec_b64 s[0:1], vcc
	s_xor_b64 s[0:1], exec, s[0:1]
; %bb.166:                              ;   in Loop: Header=BB165_43 Depth=1
	v_bfe_u32 v29, v30, 16, 1
	v_add3_u32 v29, v30, v29, s13
                                        ; implicit-def: $vgpr30
; %bb.167:                              ;   in Loop: Header=BB165_43 Depth=1
	s_andn2_saveexec_b64 s[0:1], s[0:1]
; %bb.168:                              ;   in Loop: Header=BB165_43 Depth=1
	v_or_b32_e32 v29, 0x10000, v30
	v_cmp_eq_u32_sdwa vcc, v30, v11 src0_sel:WORD_0 src1_sel:DWORD
	v_cndmask_b32_e32 v29, v29, v30, vcc
; %bb.169:                              ;   in Loop: Header=BB165_43 Depth=1
	s_or_b64 exec, exec, s[0:1]
	v_lshlrev_b32_e32 v5, 16, v5
	v_mul_f32_e32 v30, v42, v5
	v_and_b32_e32 v5, 0x7f800000, v30
	v_cmp_ne_u32_e32 vcc, s11, v5
                                        ; implicit-def: $vgpr5
	s_and_saveexec_b64 s[0:1], vcc
	s_xor_b64 s[0:1], exec, s[0:1]
; %bb.170:                              ;   in Loop: Header=BB165_43 Depth=1
	v_bfe_u32 v5, v30, 16, 1
	v_add3_u32 v5, v30, v5, s13
                                        ; implicit-def: $vgpr30
; %bb.171:                              ;   in Loop: Header=BB165_43 Depth=1
	s_andn2_saveexec_b64 s[0:1], s[0:1]
; %bb.172:                              ;   in Loop: Header=BB165_43 Depth=1
	v_or_b32_e32 v5, 0x10000, v30
	v_cmp_eq_u32_sdwa vcc, v30, v11 src0_sel:WORD_0 src1_sel:DWORD
	v_cndmask_b32_e32 v5, v5, v30, vcc
; %bb.173:                              ;   in Loop: Header=BB165_43 Depth=1
	s_or_b64 exec, exec, s[0:1]
	v_lshlrev_b32_e32 v6, 16, v6
	v_mul_f32_e32 v30, v43, v6
	v_and_b32_e32 v6, 0x7f800000, v30
	v_cmp_ne_u32_e32 vcc, s11, v6
                                        ; implicit-def: $vgpr6
	s_and_saveexec_b64 s[0:1], vcc
	s_xor_b64 s[0:1], exec, s[0:1]
; %bb.174:                              ;   in Loop: Header=BB165_43 Depth=1
	v_bfe_u32 v6, v30, 16, 1
	v_add3_u32 v6, v30, v6, s13
                                        ; implicit-def: $vgpr30
; %bb.175:                              ;   in Loop: Header=BB165_43 Depth=1
	s_andn2_saveexec_b64 s[0:1], s[0:1]
	s_cbranch_execz .LBB165_42
; %bb.176:                              ;   in Loop: Header=BB165_43 Depth=1
	v_or_b32_e32 v6, 0x10000, v30
	v_cmp_eq_u32_sdwa vcc, v30, v11 src0_sel:WORD_0 src1_sel:DWORD
	v_cndmask_b32_e32 v6, v6, v30, vcc
	s_branch .LBB165_42
.LBB165_177:
	s_or_b64 exec, exec, s[4:5]
.LBB165_178:
	s_or_b64 exec, exec, s[2:3]
	ds_bpermute_b32 v2, v16, v12
	ds_bpermute_b32 v3, v16, v13
	;; [unrolled: 1-line block ×3, first 2 shown]
	s_waitcnt lgkmcnt(0)
	s_barrier
	v_pk_add_f32 v[4:5], v[12:13], v[2:3]
	v_and_b32_e32 v3, 0x3c1, v0
	v_add_f32_e32 v2, v18, v6
	v_cmp_eq_u32_e32 vcc, 64, v3
	s_and_saveexec_b64 s[0:1], vcc
	s_cbranch_execz .LBB165_180
; %bb.179:
	v_mov_b32_e32 v3, 0xd0
	v_lshl_add_u32 v1, v1, 1, v3
	ds_write2_b32 v1, v4, v5 offset1:32
	ds_write_b32 v1, v2 offset:256
.LBB165_180:
	s_or_b64 exec, exec, s[0:1]
	v_cmp_gt_u32_e32 vcc, 64, v0
	v_cmp_lt_u32_e64 s[0:1], 63, v0
	s_waitcnt lgkmcnt(0)
	s_barrier
	s_and_saveexec_b64 s[2:3], s[0:1]
	s_xor_b64 s[0:1], exec, s[2:3]
	s_andn2_saveexec_b64 s[2:3], s[0:1]
	s_cbranch_execz .LBB165_186
; %bb.181:
	v_cmp_eq_u32_e64 s[0:1], 0, v17
	v_lshrrev_b32_e32 v1, 1, v0
	s_and_saveexec_b64 s[4:5], s[0:1]
	s_cbranch_execnz .LBB165_202
; %bb.182:
	s_or_b64 exec, exec, s[4:5]
	s_and_saveexec_b64 s[4:5], s[0:1]
	s_cbranch_execnz .LBB165_203
.LBB165_183:
	s_or_b64 exec, exec, s[4:5]
	s_and_saveexec_b64 s[4:5], s[0:1]
	s_cbranch_execz .LBB165_185
.LBB165_184:
	v_mov_b32_e32 v3, 0xd0
	v_lshl_add_u32 v1, v1, 2, v3
	ds_read_b32 v1, v1 offset:256
	s_waitcnt lgkmcnt(0)
	v_add_f32_e32 v2, v2, v1
.LBB165_185:
	s_or_b64 exec, exec, s[4:5]
.LBB165_186:
	s_or_b64 exec, exec, s[2:3]
	s_barrier
	s_and_saveexec_b64 s[0:1], vcc
	s_cbranch_execz .LBB165_201
; %bb.187:
	v_cmp_eq_u32_e32 vcc, 0, v17
	s_and_b64 exec, exec, vcc
	s_cbranch_execz .LBB165_201
; %bb.188:
	s_mov_b32 s0, 0x7f800000
	v_and_b32_e32 v1, 0x7f800000, v4
	v_cmp_ne_u32_e32 vcc, s0, v1
                                        ; implicit-def: $vgpr3
	s_and_saveexec_b64 s[0:1], vcc
	s_xor_b64 s[0:1], exec, s[0:1]
; %bb.189:
	v_bfe_u32 v1, v4, 16, 1
	s_movk_i32 s2, 0x7fff
	v_add3_u32 v3, v4, v1, s2
; %bb.190:
	s_andn2_saveexec_b64 s[0:1], s[0:1]
; %bb.191:
	v_mov_b32_e32 v1, 0
	v_or_b32_e32 v3, 0x10000, v4
	v_cmp_eq_u32_sdwa vcc, v4, v1 src0_sel:WORD_0 src1_sel:DWORD
	v_cndmask_b32_e32 v3, v3, v4, vcc
; %bb.192:
	s_or_b64 exec, exec, s[0:1]
	s_mul_i32 s0, s12, s20
	s_mul_i32 s0, s0, s21
	s_mulk_i32 s0, 0x60
	s_ashr_i32 s1, s0, 31
	s_lshl_b64 s[0:1], s[0:1], 1
	s_add_u32 s2, s24, s0
	s_mul_i32 s0, s12, s22
	s_addc_u32 s3, s25, s1
	s_ashr_i32 s1, s0, 31
	s_lshl_b64 s[0:1], s[0:1], 1
	s_add_u32 s2, s2, s0
	s_mul_i32 s0, s8, 0x60
	s_addc_u32 s3, s3, s1
	s_ashr_i32 s1, s0, 31
	s_lshl_b64 s[0:1], s[0:1], 1
	s_add_u32 s0, s2, s0
	s_addc_u32 s1, s3, s1
	v_and_b32_e32 v4, 0x3fe, v0
	v_mov_b32_e32 v1, s1
	v_add_co_u32_e32 v0, vcc, s0, v4
	v_addc_co_u32_e32 v1, vcc, 0, v1, vcc
	global_store_short_d16_hi v4, v3, s[0:1]
	s_mov_b32 s0, 0x7f800000
	v_and_b32_e32 v3, 0x7f800000, v5
	v_cmp_ne_u32_e32 vcc, s0, v3
                                        ; implicit-def: $vgpr3
	s_and_saveexec_b64 s[0:1], vcc
	s_xor_b64 s[0:1], exec, s[0:1]
; %bb.193:
	v_bfe_u32 v3, v5, 16, 1
	s_movk_i32 s2, 0x7fff
	v_add3_u32 v3, v5, v3, s2
                                        ; implicit-def: $vgpr4_vgpr5_vgpr6
; %bb.194:
	s_andn2_saveexec_b64 s[0:1], s[0:1]
; %bb.195:
	v_mov_b32_e32 v3, 0
	v_or_b32_e32 v4, 0x10000, v5
	v_cmp_eq_u32_sdwa vcc, v5, v3 src0_sel:WORD_0 src1_sel:DWORD
	v_cndmask_b32_e32 v3, v4, v5, vcc
; %bb.196:
	s_or_b64 exec, exec, s[0:1]
	global_store_short_d16_hi v[0:1], v3, off offset:64
	s_mov_b32 s0, 0x7f800000
	v_and_b32_e32 v3, 0x7f800000, v2
	v_cmp_ne_u32_e32 vcc, s0, v3
                                        ; implicit-def: $vgpr3
	s_and_saveexec_b64 s[0:1], vcc
	s_xor_b64 s[0:1], exec, s[0:1]
; %bb.197:
	v_bfe_u32 v3, v2, 16, 1
	s_movk_i32 s2, 0x7fff
	v_add3_u32 v3, v2, v3, s2
                                        ; implicit-def: $vgpr2
; %bb.198:
	s_andn2_saveexec_b64 s[0:1], s[0:1]
; %bb.199:
	v_mov_b32_e32 v3, 0
	v_or_b32_e32 v4, 0x10000, v2
	v_cmp_eq_u32_sdwa vcc, v2, v3 src0_sel:WORD_0 src1_sel:DWORD
	v_cndmask_b32_e32 v3, v4, v2, vcc
; %bb.200:
	s_or_b64 exec, exec, s[0:1]
	global_store_short_d16_hi v[0:1], v3, off offset:128
.LBB165_201:
	s_endpgm
.LBB165_202:
	v_mov_b32_e32 v3, 0xd0
	v_lshl_add_u32 v3, v1, 2, v3
	ds_read_b32 v3, v3
	s_waitcnt lgkmcnt(0)
	v_add_f32_e32 v4, v4, v3
	s_or_b64 exec, exec, s[4:5]
	s_and_saveexec_b64 s[4:5], s[0:1]
	s_cbranch_execz .LBB165_183
.LBB165_203:
	v_mov_b32_e32 v3, 0xd0
	v_lshl_add_u32 v3, v1, 2, v3
	ds_read_b32 v3, v3 offset:128
	s_waitcnt lgkmcnt(0)
	v_add_f32_e32 v5, v5, v3
	s_or_b64 exec, exec, s[4:5]
	s_and_saveexec_b64 s[4:5], s[0:1]
	s_cbranch_execnz .LBB165_184
	s_branch .LBB165_185
	.section	.rodata,"a",@progbits
	.p2align	6, 0x0
	.amdhsa_kernel _ZN4vllm25paged_attention_v2_kernelI14__hip_bfloat16S1_Li96ELi16ELi128ELNS_18Fp8KVCacheDataTypeE0ELb0ELi512EEEvPfS3_PT_PKS4_PKT0_SA_ifPKiSC_iPKfiiiSE_SE_iiiii
		.amdhsa_group_segment_fixed_size 208
		.amdhsa_private_segment_fixed_size 0
		.amdhsa_kernarg_size 400
		.amdhsa_user_sgpr_count 6
		.amdhsa_user_sgpr_private_segment_buffer 1
		.amdhsa_user_sgpr_dispatch_ptr 0
		.amdhsa_user_sgpr_queue_ptr 0
		.amdhsa_user_sgpr_kernarg_segment_ptr 1
		.amdhsa_user_sgpr_dispatch_id 0
		.amdhsa_user_sgpr_flat_scratch_init 0
		.amdhsa_user_sgpr_kernarg_preload_length 0
		.amdhsa_user_sgpr_kernarg_preload_offset 0
		.amdhsa_user_sgpr_private_segment_size 0
		.amdhsa_uses_dynamic_stack 0
		.amdhsa_system_sgpr_private_segment_wavefront_offset 0
		.amdhsa_system_sgpr_workgroup_id_x 1
		.amdhsa_system_sgpr_workgroup_id_y 1
		.amdhsa_system_sgpr_workgroup_id_z 1
		.amdhsa_system_sgpr_workgroup_info 0
		.amdhsa_system_vgpr_workitem_id 0
		.amdhsa_next_free_vgpr 64
		.amdhsa_next_free_sgpr 42
		.amdhsa_accum_offset 64
		.amdhsa_reserve_vcc 1
		.amdhsa_reserve_flat_scratch 0
		.amdhsa_float_round_mode_32 0
		.amdhsa_float_round_mode_16_64 0
		.amdhsa_float_denorm_mode_32 3
		.amdhsa_float_denorm_mode_16_64 3
		.amdhsa_dx10_clamp 1
		.amdhsa_ieee_mode 1
		.amdhsa_fp16_overflow 0
		.amdhsa_tg_split 0
		.amdhsa_exception_fp_ieee_invalid_op 0
		.amdhsa_exception_fp_denorm_src 0
		.amdhsa_exception_fp_ieee_div_zero 0
		.amdhsa_exception_fp_ieee_overflow 0
		.amdhsa_exception_fp_ieee_underflow 0
		.amdhsa_exception_fp_ieee_inexact 0
		.amdhsa_exception_int_div_zero 0
	.end_amdhsa_kernel
	.section	.text._ZN4vllm25paged_attention_v2_kernelI14__hip_bfloat16S1_Li96ELi16ELi128ELNS_18Fp8KVCacheDataTypeE0ELb0ELi512EEEvPfS3_PT_PKS4_PKT0_SA_ifPKiSC_iPKfiiiSE_SE_iiiii,"axG",@progbits,_ZN4vllm25paged_attention_v2_kernelI14__hip_bfloat16S1_Li96ELi16ELi128ELNS_18Fp8KVCacheDataTypeE0ELb0ELi512EEEvPfS3_PT_PKS4_PKT0_SA_ifPKiSC_iPKfiiiSE_SE_iiiii,comdat
.Lfunc_end165:
	.size	_ZN4vllm25paged_attention_v2_kernelI14__hip_bfloat16S1_Li96ELi16ELi128ELNS_18Fp8KVCacheDataTypeE0ELb0ELi512EEEvPfS3_PT_PKS4_PKT0_SA_ifPKiSC_iPKfiiiSE_SE_iiiii, .Lfunc_end165-_ZN4vllm25paged_attention_v2_kernelI14__hip_bfloat16S1_Li96ELi16ELi128ELNS_18Fp8KVCacheDataTypeE0ELb0ELi512EEEvPfS3_PT_PKS4_PKT0_SA_ifPKiSC_iPKfiiiSE_SE_iiiii
                                        ; -- End function
	.section	.AMDGPU.csdata,"",@progbits
; Kernel info:
; codeLenInByte = 7320
; NumSgprs: 46
; NumVgprs: 64
; NumAgprs: 0
; TotalNumVgprs: 64
; ScratchSize: 0
; MemoryBound: 0
; FloatMode: 240
; IeeeMode: 1
; LDSByteSize: 208 bytes/workgroup (compile time only)
; SGPRBlocks: 5
; VGPRBlocks: 7
; NumSGPRsForWavesPerEU: 46
; NumVGPRsForWavesPerEU: 64
; AccumOffset: 64
; Occupancy: 8
; WaveLimiterHint : 1
; COMPUTE_PGM_RSRC2:SCRATCH_EN: 0
; COMPUTE_PGM_RSRC2:USER_SGPR: 6
; COMPUTE_PGM_RSRC2:TRAP_HANDLER: 0
; COMPUTE_PGM_RSRC2:TGID_X_EN: 1
; COMPUTE_PGM_RSRC2:TGID_Y_EN: 1
; COMPUTE_PGM_RSRC2:TGID_Z_EN: 1
; COMPUTE_PGM_RSRC2:TIDIG_COMP_CNT: 0
; COMPUTE_PGM_RSRC3_GFX90A:ACCUM_OFFSET: 15
; COMPUTE_PGM_RSRC3_GFX90A:TG_SPLIT: 0
	.section	.text._ZN4vllm25paged_attention_v2_kernelI14__hip_bfloat16S1_Li112ELi16ELi128ELNS_18Fp8KVCacheDataTypeE0ELb0ELi512EEEvPfS3_PT_PKS4_PKT0_SA_ifPKiSC_iPKfiiiSE_SE_iiiii,"axG",@progbits,_ZN4vllm25paged_attention_v2_kernelI14__hip_bfloat16S1_Li112ELi16ELi128ELNS_18Fp8KVCacheDataTypeE0ELb0ELi512EEEvPfS3_PT_PKS4_PKT0_SA_ifPKiSC_iPKfiiiSE_SE_iiiii,comdat
	.protected	_ZN4vllm25paged_attention_v2_kernelI14__hip_bfloat16S1_Li112ELi16ELi128ELNS_18Fp8KVCacheDataTypeE0ELb0ELi512EEEvPfS3_PT_PKS4_PKT0_SA_ifPKiSC_iPKfiiiSE_SE_iiiii ; -- Begin function _ZN4vllm25paged_attention_v2_kernelI14__hip_bfloat16S1_Li112ELi16ELi128ELNS_18Fp8KVCacheDataTypeE0ELb0ELi512EEEvPfS3_PT_PKS4_PKT0_SA_ifPKiSC_iPKfiiiSE_SE_iiiii
	.globl	_ZN4vllm25paged_attention_v2_kernelI14__hip_bfloat16S1_Li112ELi16ELi128ELNS_18Fp8KVCacheDataTypeE0ELb0ELi512EEEvPfS3_PT_PKS4_PKT0_SA_ifPKiSC_iPKfiiiSE_SE_iiiii
	.p2align	8
	.type	_ZN4vllm25paged_attention_v2_kernelI14__hip_bfloat16S1_Li112ELi16ELi128ELNS_18Fp8KVCacheDataTypeE0ELb0ELi512EEEvPfS3_PT_PKS4_PKT0_SA_ifPKiSC_iPKfiiiSE_SE_iiiii,@function
_ZN4vllm25paged_attention_v2_kernelI14__hip_bfloat16S1_Li112ELi16ELi128ELNS_18Fp8KVCacheDataTypeE0ELb0ELi512EEEvPfS3_PT_PKS4_PKT0_SA_ifPKiSC_iPKfiiiSE_SE_iiiii: ; @_ZN4vllm25paged_attention_v2_kernelI14__hip_bfloat16S1_Li112ELi16ELi128ELNS_18Fp8KVCacheDataTypeE0ELb0ELi512EEEvPfS3_PT_PKS4_PKT0_SA_ifPKiSC_iPKfiiiSE_SE_iiiii
; %bb.0:
	s_load_dwordx2 s[0:1], s[4:5], 0x40
	s_mov_b32 s24, s7
	s_ashr_i32 s25, s7, 31
	s_lshl_b64 s[2:3], s[24:25], 2
	s_waitcnt lgkmcnt(0)
	s_add_u32 s0, s0, s2
	s_addc_u32 s1, s1, s3
	s_load_dword s25, s[0:1], 0x0
	s_lshl_b32 s40, s8, 9
	s_waitcnt lgkmcnt(0)
	s_cmp_ge_i32 s40, s25
	s_cbranch_scc1 .LBB166_248
; %bb.1:
	s_load_dword s9, s[4:5], 0x90
	s_load_dwordx2 s[10:11], s[4:5], 0x30
	s_waitcnt lgkmcnt(0)
	s_abs_i32 s2, s9
	s_abs_i32 s0, s10
	v_cvt_f32_u32_e32 v1, s0
	s_sub_i32 s3, 0, s0
	s_xor_b32 s1, s9, s10
	s_ashr_i32 s1, s1, 31
	v_rcp_iflag_f32_e32 v1, v1
	v_mul_f32_e32 v1, 0x4f7ffffe, v1
	v_cvt_u32_f32_e32 v1, v1
	v_readfirstlane_b32 s7, v1
	s_mul_i32 s3, s3, s7
	s_mul_hi_u32 s3, s7, s3
	s_add_i32 s7, s7, s3
	s_mul_hi_u32 s3, s2, s7
	s_mul_i32 s7, s3, s0
	s_sub_i32 s2, s2, s7
	s_add_i32 s10, s3, 1
	s_sub_i32 s7, s2, s0
	s_cmp_ge_u32 s2, s0
	s_cselect_b32 s3, s10, s3
	s_cselect_b32 s2, s7, s2
	s_add_i32 s7, s3, 1
	s_cmp_ge_u32 s2, s0
	s_cselect_b32 s0, s7, s3
	s_xor_b32 s0, s0, s1
	s_sub_i32 s18, s0, s1
	s_abs_i32 s2, s18
	v_cvt_f32_u32_e32 v1, s2
	s_load_dwordx2 s[0:1], s[4:5], 0x50
	s_sub_i32 s7, 0, s2
	s_abs_i32 s3, s6
	v_rcp_iflag_f32_e32 v1, v1
	s_mov_b32 s10, 0
	v_mul_f32_e32 v1, 0x4f7ffffe, v1
	v_cvt_u32_f32_e32 v1, v1
	v_readfirstlane_b32 s12, v1
	s_mul_i32 s7, s7, s12
	s_mul_hi_u32 s7, s12, s7
	s_add_i32 s12, s12, s7
	s_waitcnt lgkmcnt(0)
	s_cmp_eq_u64 s[0:1], 0
	s_mul_hi_u32 s16, s3, s12
	s_cbranch_scc1 .LBB166_3
; %bb.2:
	s_ashr_i32 s7, s6, 31
	s_lshl_b64 s[12:13], s[6:7], 2
	s_add_u32 s0, s0, s12
	s_addc_u32 s1, s1, s13
	s_load_dword s10, s[0:1], 0x0
.LBB166_3:
	s_load_dwordx4 s[12:15], s[4:5], 0x58
	s_ashr_i32 s17, s6, 31
	s_waitcnt lgkmcnt(0)
	s_ashr_i32 s15, s18, 31
	v_and_b32_e32 v2, 3, v0
	s_mul_i32 s20, s6, 0x70
	v_cmp_gt_u32_e32 vcc, 56, v0
	s_and_saveexec_b64 s[0:1], vcc
	s_cbranch_execz .LBB166_5
; %bb.4:
	s_load_dwordx2 s[18:19], s[4:5], 0x18
	s_mul_i32 s22, s24, s12
	s_ashr_i32 s23, s22, 31
	s_lshl_b64 s[22:23], s[22:23], 1
	v_lshlrev_b32_e32 v1, 2, v0
	s_waitcnt lgkmcnt(0)
	s_add_u32 s7, s18, s22
	s_addc_u32 s12, s19, s23
	s_ashr_i32 s21, s20, 31
	s_lshl_b64 s[18:19], s[20:21], 1
	s_add_u32 s18, s7, s18
	s_addc_u32 s19, s12, s19
	global_load_dword v1, v1, s[18:19]
	v_and_b32_e32 v3, 0x3fc, v0
	v_mad_u32_u24 v3, v2, 56, v3
	s_waitcnt vmcnt(0)
	ds_write_b32 v3, v1
.LBB166_5:
	s_or_b64 exec, exec, s[0:1]
	s_add_i32 s0, s25, 15
	s_ashr_i32 s1, s0, 31
	s_lshr_b32 s1, s1, 28
	s_add_i32 s0, s0, s1
	s_lshl_b32 s7, s8, 5
	s_mul_i32 s1, s16, s2
	s_ashr_i32 s12, s0, 4
	s_add_i32 s0, s7, 32
	s_sub_i32 s1, s3, s1
	s_min_i32 s33, s0, s12
	s_xor_b32 s0, s17, s15
	s_add_i32 s3, s16, 1
	s_sub_i32 s15, s1, s2
	s_cmp_ge_u32 s1, s2
	s_cselect_b32 s3, s3, s16
	s_cselect_b32 s1, s15, s1
	s_add_i32 s15, s3, 1
	s_cmp_ge_u32 s1, s2
	s_load_dwordx2 s[26:27], s[4:5], 0x38
	s_load_dword s2, s[4:5], 0x48
	v_lshrrev_b32_e32 v4, 6, v0
	s_cselect_b32 s1, s15, s3
	s_xor_b32 s1, s1, s0
	v_or_b32_e32 v10, s7, v4
	s_waitcnt lgkmcnt(0)
	s_mul_i32 s28, s24, s2
	s_sub_i32 s15, s1, s0
	s_ashr_i32 s29, s28, 31
	v_cmp_gt_i32_e64 s[0:1], s33, v10
	v_cmp_le_i32_e32 vcc, s33, v10
	v_mbcnt_lo_u32_b32 v3, -1, 0
	s_barrier
	s_waitcnt lgkmcnt(0)
                                        ; implicit-def: $sgpr36
                                        ; implicit-def: $vgpr5
                                        ; implicit-def: $vgpr6
	s_and_saveexec_b64 s[2:3], vcc
	s_xor_b64 s[2:3], exec, s[2:3]
; %bb.6:
	v_mbcnt_hi_u32_b32 v5, -1, v3
	v_and_b32_e32 v1, 64, v5
	v_add_u32_e32 v6, 64, v1
	s_mov_b32 s36, 0xff7fffff
                                        ; implicit-def: $vgpr2
                                        ; implicit-def: $vgpr3
; %bb.7:
	s_or_saveexec_b64 s[34:35], s[2:3]
	s_load_dwordx4 s[16:19], s[4:5], 0x0
	s_load_dwordx2 s[22:23], s[4:5], 0x10
	s_load_dwordx2 s[30:31], s[4:5], 0x28
	s_load_dword s21, s[4:5], 0x98
	v_mov_b32_e32 v38, s36
	s_mul_i32 s14, s15, s14
	v_ashrrev_i32_e32 v11, 31, v10
	s_xor_b64 exec, exec, s[34:35]
	s_cbranch_execz .LBB166_13
; %bb.8:
	s_load_dwordx2 s[2:3], s[4:5], 0x20
	s_ashr_i32 s15, s14, 31
	s_lshl_b64 s[4:5], s[14:15], 1
	v_bfe_u32 v38, v0, 2, 4
	v_lshlrev_b32_e32 v1, 4, v38
	s_waitcnt lgkmcnt(0)
	s_add_u32 s2, s2, s4
	s_addc_u32 s3, s3, s5
	v_mov_b32_e32 v5, s3
	v_add_co_u32_e32 v1, vcc, s2, v1
	v_lshlrev_b32_e32 v6, 2, v0
	v_addc_co_u32_e32 v5, vcc, 0, v5, vcc
	v_and_b32_e32 v6, 12, v6
	v_add_co_u32_e32 v1, vcc, v1, v6
	v_addc_co_u32_e32 v7, vcc, 0, v5, vcc
	v_mbcnt_hi_u32_b32 v5, -1, v3
	v_and_b32_e32 v3, 64, v5
	v_add_u32_e32 v6, 64, v3
	v_xor_b32_e32 v3, 2, v5
	v_cmp_lt_i32_e32 vcc, v3, v6
	v_cndmask_b32_e32 v3, v5, v3, vcc
	v_lshlrev_b32_e32 v39, 2, v3
	v_xor_b32_e32 v3, 1, v5
	v_mul_u32_u24_e32 v26, 56, v2
	v_cmp_lt_i32_e32 vcc, v3, v6
	ds_read2_b64 v[14:17], v26 offset1:1
	ds_read2_b64 v[22:25], v26 offset0:2 offset1:3
	ds_read2_b64 v[30:33], v26 offset0:4 offset1:5
	ds_read_b64 v[36:37], v26 offset:48
	v_cndmask_b32_e32 v3, v5, v3, vcc
	v_cmp_eq_u32_e32 vcc, 0, v2
	v_lshlrev_b32_e32 v2, 4, v4
	s_sub_i32 s15, 1, s25
	v_add3_u32 v41, s40, v2, v38
	v_lshlrev_b32_e32 v2, 2, v38
	s_lshl_b64 s[4:5], s[28:29], 2
	v_lshl_or_b32 v2, v4, 6, v2
	s_add_u32 s4, s26, s4
	v_lshlrev_b32_e32 v40, 2, v3
	v_add_u32_e32 v42, 0xf0, v2
	v_lshlrev_b64 v[2:3], 2, v[10:11]
	s_addc_u32 s5, s27, s5
	v_mov_b32_e32 v38, s5
	v_add_co_u32_e64 v2, s[4:5], s4, v2
	s_mov_b32 s41, s13
	s_waitcnt lgkmcnt(3)
	v_lshlrev_b32_e32 v8, 16, v14
	v_and_b32_e32 v9, 0xffff0000, v14
	v_lshlrev_b32_e32 v12, 16, v15
	v_and_b32_e32 v13, 0xffff0000, v15
	v_lshlrev_b32_e32 v14, 16, v16
	v_and_b32_e32 v15, 0xffff0000, v16
	v_lshlrev_b32_e32 v16, 16, v17
	v_and_b32_e32 v17, 0xffff0000, v17
	s_waitcnt lgkmcnt(2)
	v_lshlrev_b32_e32 v18, 16, v22
	v_and_b32_e32 v19, 0xffff0000, v22
	v_lshlrev_b32_e32 v20, 16, v23
	v_and_b32_e32 v21, 0xffff0000, v23
	v_lshlrev_b32_e32 v22, 16, v24
	v_and_b32_e32 v23, 0xffff0000, v24
	v_lshlrev_b32_e32 v24, 16, v25
	v_and_b32_e32 v25, 0xffff0000, v25
	;; [unrolled: 9-line block ×3, first 2 shown]
	s_waitcnt lgkmcnt(0)
	v_lshlrev_b32_e32 v34, 16, v36
	v_and_b32_e32 v35, 0xffff0000, v36
	v_lshlrev_b32_e32 v36, 16, v37
	v_and_b32_e32 v37, 0xffff0000, v37
	v_cmp_neq_f32_e64 s[2:3], s10, 0
	v_addc_co_u32_e64 v3, s[4:5], v38, v3, s[4:5]
	s_mov_b64 s[36:37], 0
	v_mov_b32_e32 v38, 0xff7fffff
	v_mov_b32_e32 v43, v10
	s_branch .LBB166_10
.LBB166_9:                              ;   in Loop: Header=BB166_10 Depth=1
	s_or_b64 exec, exec, s[38:39]
	v_add_u32_e32 v43, 2, v43
	v_cmp_le_i32_e64 s[4:5], s33, v43
	s_or_b64 s[36:37], s[4:5], s[36:37]
	v_add_co_u32_e64 v2, s[4:5], 8, v2
	v_add_u32_e32 v41, 32, v41
	v_add_u32_e32 v42, 0x80, v42
	v_addc_co_u32_e64 v3, s[4:5], 0, v3, s[4:5]
	s_andn2_b64 exec, exec, s[36:37]
	s_cbranch_execz .LBB166_12
.LBB166_10:                             ; =>This Inner Loop Header: Depth=1
	global_load_dword v44, v[2:3], off
	s_waitcnt vmcnt(0) lgkmcnt(0)
	v_mad_i64_i32 v[44:45], s[4:5], v44, s41, 0
	v_lshlrev_b64 v[44:45], 1, v[44:45]
	v_add_co_u32_e64 v44, s[4:5], v1, v44
	v_addc_co_u32_e64 v45, s[4:5], v7, v45, s[4:5]
	global_load_dword v46, v[44:45], off
	global_load_dword v47, v[44:45], off offset:256
	global_load_dword v48, v[44:45], off offset:512
	;; [unrolled: 1-line block ×13, first 2 shown]
	s_waitcnt vmcnt(13)
	v_lshlrev_b32_e32 v44, 16, v46
	v_and_b32_e32 v45, 0xffff0000, v46
	s_waitcnt vmcnt(12)
	v_lshlrev_b32_e32 v46, 16, v47
	v_and_b32_e32 v47, 0xffff0000, v47
	v_mul_f32_e32 v46, v12, v46
	v_mul_f32_e32 v47, v13, v47
	s_waitcnt vmcnt(11)
	v_lshlrev_b32_e32 v60, 16, v48
	v_and_b32_e32 v48, 0xffff0000, v48
	v_fmac_f32_e32 v46, v8, v44
	v_fmac_f32_e32 v47, v9, v45
	s_waitcnt vmcnt(10)
	v_lshlrev_b32_e32 v61, 16, v49
	v_and_b32_e32 v49, 0xffff0000, v49
	v_fmac_f32_e32 v46, v14, v60
	v_fmac_f32_e32 v47, v15, v48
	;; [unrolled: 5-line block ×12, first 2 shown]
	v_fmac_f32_e32 v46, v36, v44
	v_fmac_f32_e32 v47, v37, v59
	v_add_f32_e32 v44, v46, v47
	ds_bpermute_b32 v45, v39, v44
	s_waitcnt lgkmcnt(0)
	v_add_f32_e32 v44, v44, v45
	ds_bpermute_b32 v45, v40, v44
	s_and_saveexec_b64 s[38:39], vcc
	s_cbranch_execz .LBB166_9
; %bb.11:                               ;   in Loop: Header=BB166_10 Depth=1
	v_add_u32_e32 v46, s15, v41
	v_cvt_f32_i32_e32 v46, v46
	s_waitcnt lgkmcnt(0)
	v_add_f32_e32 v44, v44, v45
	v_cmp_gt_i32_e64 s[4:5], s25, v41
	v_max_f32_e32 v45, v38, v38
	v_mul_f32_e32 v46, s10, v46
	v_cndmask_b32_e64 v46, 0, v46, s[2:3]
	v_fmac_f32_e32 v46, s11, v44
	v_cndmask_b32_e64 v44, 0, v46, s[4:5]
	ds_write_b32 v42, v44
	v_max_f32_e32 v44, v45, v46
	v_cndmask_b32_e64 v38, v38, v44, s[4:5]
	s_branch .LBB166_9
.LBB166_12:
	s_or_b64 exec, exec, s[36:37]
.LBB166_13:
	s_or_b64 exec, exec, s[34:35]
	v_xor_b32_e32 v1, 32, v5
	v_cmp_lt_i32_e32 vcc, v1, v6
	v_cndmask_b32_e32 v1, v5, v1, vcc
	v_lshlrev_b32_e32 v2, 2, v1
	ds_bpermute_b32 v1, v2, v38
	v_xor_b32_e32 v7, 16, v5
	v_max_f32_e32 v3, v38, v38
	v_cmp_lt_i32_e32 vcc, v7, v6
	v_xor_b32_e32 v8, 8, v5
	s_waitcnt lgkmcnt(0)
	v_max_f32_e32 v1, v1, v1
	v_max_f32_e32 v1, v3, v1
	v_cndmask_b32_e32 v3, v5, v7, vcc
	v_lshlrev_b32_e32 v3, 2, v3
	ds_bpermute_b32 v7, v3, v1
	v_cmp_lt_i32_e32 vcc, v8, v6
	v_lshlrev_b32_e32 v9, 2, v4
	s_waitcnt lgkmcnt(0)
	v_max_f32_e32 v7, v7, v7
	v_max_f32_e32 v1, v1, v7
	v_cndmask_b32_e32 v7, v5, v8, vcc
	v_lshlrev_b32_e32 v13, 2, v7
	ds_bpermute_b32 v7, v13, v1
	v_xor_b32_e32 v8, 4, v5
	v_cmp_lt_i32_e32 vcc, v8, v6
	s_waitcnt lgkmcnt(0)
	v_max_f32_e32 v7, v7, v7
	v_max_f32_e32 v1, v1, v7
	v_cndmask_b32_e32 v7, v5, v8, vcc
	v_lshlrev_b32_e32 v14, 2, v7
	ds_bpermute_b32 v8, v14, v1
	v_and_b32_e32 v7, 63, v0
	v_cmp_eq_u32_e32 vcc, 0, v7
	s_and_saveexec_b64 s[2:3], vcc
	s_cbranch_execz .LBB166_15
; %bb.14:
	s_waitcnt lgkmcnt(0)
	v_max_f32_e32 v8, v8, v8
	v_max_f32_e32 v1, v1, v1
	;; [unrolled: 1-line block ×3, first 2 shown]
	ds_write_b32 v9, v1 offset:224
.LBB166_15:
	s_or_b64 exec, exec, s[2:3]
	v_cmp_gt_u32_e64 s[2:3], 2, v7
	s_waitcnt lgkmcnt(0)
	v_mov_b32_e32 v8, 0xff7fffff
	v_lshlrev_b32_e32 v12, 2, v7
	s_barrier
	s_and_saveexec_b64 s[4:5], s[2:3]
	s_cbranch_execz .LBB166_17
; %bb.16:
	ds_read_b32 v8, v12 offset:224
.LBB166_17:
	s_or_b64 exec, exec, s[4:5]
	v_xor_b32_e32 v1, 1, v5
	v_cmp_lt_i32_e64 s[4:5], v1, v6
	v_cndmask_b32_e64 v1, v5, v1, s[4:5]
	v_lshlrev_b32_e32 v1, 2, v1
	s_waitcnt lgkmcnt(0)
	ds_bpermute_b32 v15, v1, v8
	v_max_f32_e32 v8, v8, v8
	s_sub_i32 s4, s33, s7
	s_lshl_b32 s4, s4, 4
	s_add_i32 s4, s4, s40
	s_waitcnt lgkmcnt(0)
	v_max_f32_e32 v15, v15, v15
	v_max_f32_e32 v8, v8, v15
	v_lshlrev_b32_e32 v15, 2, v5
	v_and_b32_e32 v15, 0xffffff00, v15
	ds_bpermute_b32 v8, v15, v8
	s_min_i32 s15, s4, s25
	s_sub_i32 s7, s15, s40
	v_cmp_gt_i32_e64 s[4:5], s7, v0
	v_mov_b32_e32 v16, 0
	s_and_saveexec_b64 s[34:35], s[4:5]
	s_cbranch_execz .LBB166_21
; %bb.18:
	v_mov_b32_e32 v16, 0xf0
	v_lshl_add_u32 v17, v0, 2, v16
	s_mov_b64 s[36:37], 0
	v_mov_b32_e32 v16, 0
	v_mov_b32_e32 v18, v0
.LBB166_19:                             ; =>This Inner Loop Header: Depth=1
	ds_read_b32 v19, v17
	v_add_u32_e32 v18, 0x80, v18
	v_cmp_le_i32_e64 s[10:11], s7, v18
	s_or_b64 s[36:37], s[10:11], s[36:37]
	s_waitcnt lgkmcnt(0)
	v_sub_f32_e32 v19, v19, v8
	v_mul_f32_e32 v19, 0x3fb8aa3b, v19
	v_exp_f32_e32 v19, v19
	ds_write_b32 v17, v19
	v_add_f32_e32 v16, v16, v19
	v_add_u32_e32 v17, 0x200, v17
	s_andn2_b64 exec, exec, s[36:37]
	s_cbranch_execnz .LBB166_19
; %bb.20:
	s_or_b64 exec, exec, s[36:37]
.LBB166_21:
	s_or_b64 exec, exec, s[34:35]
	ds_bpermute_b32 v2, v2, v16
	s_waitcnt lgkmcnt(0)
	v_add_f32_e32 v2, v16, v2
	ds_bpermute_b32 v3, v3, v2
	s_waitcnt lgkmcnt(0)
	v_add_f32_e32 v2, v2, v3
	ds_bpermute_b32 v3, v13, v2
	v_xor_b32_e32 v13, 2, v5
	v_cmp_lt_i32_e64 s[10:11], v13, v6
	v_cndmask_b32_e64 v5, v5, v13, s[10:11]
	s_waitcnt lgkmcnt(0)
	v_add_f32_e32 v2, v2, v3
	ds_bpermute_b32 v3, v14, v2
	s_waitcnt lgkmcnt(0)
	v_add_f32_e32 v2, v2, v3
	v_lshlrev_b32_e32 v3, 2, v5
	ds_bpermute_b32 v3, v3, v2
	s_waitcnt lgkmcnt(0)
	v_add_f32_e32 v2, v2, v3
	ds_bpermute_b32 v3, v1, v2
	s_waitcnt lgkmcnt(0)
	v_add_f32_e32 v2, v2, v3
	s_and_saveexec_b64 s[10:11], vcc
	s_cbranch_execz .LBB166_23
; %bb.22:
	ds_write_b32 v9, v2 offset:232
.LBB166_23:
	s_or_b64 exec, exec, s[10:11]
	s_waitcnt lgkmcnt(0)
	s_barrier
	s_and_saveexec_b64 s[10:11], s[2:3]
	s_cbranch_execz .LBB166_25
; %bb.24:
	ds_read_b32 v2, v12 offset:232
.LBB166_25:
	s_or_b64 exec, exec, s[10:11]
	s_waitcnt lgkmcnt(0)
	ds_bpermute_b32 v3, v1, v2
	s_waitcnt lgkmcnt(0)
	v_add_f32_e32 v2, v2, v3
	ds_bpermute_b32 v5, v15, v2
	s_and_saveexec_b64 s[2:3], s[4:5]
	s_cbranch_execz .LBB166_38
; %bb.26:
	s_waitcnt lgkmcnt(0)
	v_add_f32_e32 v2, 0x358637bd, v5
	v_div_scale_f32 v3, s[4:5], v2, v2, 1.0
	v_rcp_f32_e32 v6, v3
	v_div_scale_f32 v9, vcc, 1.0, v2, 1.0
	s_movk_i32 s4, 0x7f
	v_fma_f32 v12, -v3, v6, 1.0
	v_fmac_f32_e32 v6, v12, v6
	v_mul_f32_e32 v12, v9, v6
	v_fma_f32 v13, -v3, v12, v9
	v_fmac_f32_e32 v12, v13, v6
	v_fma_f32 v3, -v3, v12, v9
	v_div_fmas_f32 v3, v3, v6, v12
	v_div_fixup_f32 v2, v3, v2, 1.0
	v_xad_u32 v3, v0, -1, s15
	v_subrev_u32_e32 v6, s40, v3
	v_cmp_lt_u32_e32 vcc, s4, v6
	s_mov_b64 s[10:11], -1
	v_mov_b32_e32 v3, v0
	s_and_saveexec_b64 s[4:5], vcc
	s_cbranch_execz .LBB166_35
; %bb.27:
	v_lshrrev_b32_e32 v6, 7, v6
	v_add_u32_e32 v12, -1, v6
	v_lshrrev_b32_e32 v9, 1, v12
	v_mov_b32_e32 v3, v2
	v_add_u32_e32 v9, 1, v9
	v_cmp_lt_u32_e32 vcc, 13, v12
	v_mov_b32_e32 v14, 0
	s_and_saveexec_b64 s[10:11], vcc
	s_cbranch_execz .LBB166_31
; %bb.28:
	v_mov_b32_e32 v13, 0xf0
	v_and_b32_e32 v12, -8, v9
	v_lshl_add_u32 v13, v0, 2, v13
	s_mov_b32 s15, 0
	s_mov_b64 s[34:35], 0
.LBB166_29:                             ; =>This Inner Loop Header: Depth=1
	ds_read2st64_b32 v[14:15], v13 offset1:2
	ds_read2st64_b32 v[16:17], v13 offset0:4 offset1:6
	ds_read2st64_b32 v[18:19], v13 offset0:8 offset1:10
	;; [unrolled: 1-line block ×3, first 2 shown]
	v_add_u32_e32 v12, -8, v12
	s_waitcnt lgkmcnt(3)
	v_pk_mul_f32 v[14:15], v[2:3], v[14:15]
	s_waitcnt lgkmcnt(2)
	v_pk_mul_f32 v[16:17], v[2:3], v[16:17]
	ds_write2st64_b32 v13, v14, v15 offset1:2
	ds_write2st64_b32 v13, v16, v17 offset0:4 offset1:6
	ds_read2st64_b32 v[16:17], v13 offset0:16 offset1:18
	s_waitcnt lgkmcnt(4)
	v_pk_mul_f32 v[14:15], v[2:3], v[18:19]
	ds_write2st64_b32 v13, v14, v15 offset0:8 offset1:10
	s_waitcnt lgkmcnt(4)
	v_pk_mul_f32 v[14:15], v[2:3], v[20:21]
	ds_write2st64_b32 v13, v14, v15 offset0:12 offset1:14
	ds_read2st64_b32 v[14:15], v13 offset0:20 offset1:22
	s_waitcnt lgkmcnt(3)
	v_pk_mul_f32 v[16:17], v[2:3], v[16:17]
	ds_read2st64_b32 v[18:19], v13 offset0:24 offset1:26
	ds_write2st64_b32 v13, v16, v17 offset0:16 offset1:18
	ds_read2st64_b32 v[16:17], v13 offset0:28 offset1:30
	s_waitcnt lgkmcnt(3)
	v_pk_mul_f32 v[14:15], v[2:3], v[14:15]
	ds_write2st64_b32 v13, v14, v15 offset0:20 offset1:22
	s_waitcnt lgkmcnt(3)
	v_pk_mul_f32 v[14:15], v[2:3], v[18:19]
	ds_write2st64_b32 v13, v14, v15 offset0:24 offset1:26
	s_waitcnt lgkmcnt(2)
	v_pk_mul_f32 v[14:15], v[2:3], v[16:17]
	s_add_i32 s15, s15, 16
	v_cmp_eq_u32_e32 vcc, 0, v12
	ds_write2st64_b32 v13, v14, v15 offset0:28 offset1:30
	v_add_u32_e32 v13, 0x2000, v13
	s_or_b64 s[34:35], vcc, s[34:35]
	v_mov_b32_e32 v14, s15
	s_andn2_b64 exec, exec, s[34:35]
	s_cbranch_execnz .LBB166_29
; %bb.30:
	s_or_b64 exec, exec, s[34:35]
.LBB166_31:
	s_or_b64 exec, exec, s[10:11]
	v_and_b32_e32 v9, 7, v9
	v_cmp_ne_u32_e32 vcc, 0, v9
	s_and_saveexec_b64 s[10:11], vcc
	s_cbranch_execz .LBB166_34
; %bb.32:
	v_lshlrev_b32_e32 v12, 9, v14
	v_lshlrev_b32_e32 v13, 2, v0
	s_movk_i32 s15, 0xf0
	v_add3_u32 v12, v12, v13, s15
	s_mov_b64 s[34:35], 0
.LBB166_33:                             ; =>This Inner Loop Header: Depth=1
	ds_read2st64_b32 v[14:15], v12 offset1:2
	v_add_u32_e32 v9, -1, v9
	v_cmp_eq_u32_e32 vcc, 0, v9
	s_or_b64 s[34:35], vcc, s[34:35]
	s_waitcnt lgkmcnt(0)
	v_pk_mul_f32 v[14:15], v[2:3], v[14:15]
	ds_write2st64_b32 v12, v14, v15 offset1:2
	v_add_u32_e32 v12, 0x400, v12
	s_andn2_b64 exec, exec, s[34:35]
	s_cbranch_execnz .LBB166_33
.LBB166_34:
	s_or_b64 exec, exec, s[10:11]
	v_add_u32_e32 v6, 1, v6
	v_and_b32_e32 v9, 0x3fffffe, v6
	v_cmp_ne_u32_e32 vcc, v6, v9
	v_lshl_add_u32 v3, v9, 7, v0
	s_orn2_b64 s[10:11], vcc, exec
.LBB166_35:
	s_or_b64 exec, exec, s[4:5]
	s_and_b64 exec, exec, s[10:11]
	s_cbranch_execz .LBB166_38
; %bb.36:
	v_mov_b32_e32 v6, 0xf0
	v_lshl_add_u32 v6, v3, 2, v6
	s_mov_b64 s[4:5], 0
.LBB166_37:                             ; =>This Inner Loop Header: Depth=1
	ds_read_b32 v9, v6
	v_add_u32_e32 v3, 0x80, v3
	v_cmp_le_i32_e32 vcc, s7, v3
	s_or_b64 s[4:5], vcc, s[4:5]
	s_waitcnt lgkmcnt(0)
	v_mul_f32_e32 v9, v2, v9
	ds_write_b32 v6, v9
	v_add_u32_e32 v6, 0x200, v6
	s_andn2_b64 exec, exec, s[4:5]
	s_cbranch_execnz .LBB166_37
.LBB166_38:
	s_or_b64 exec, exec, s[2:3]
	s_mul_i32 s2, s21, s24
	v_cmp_eq_u32_e32 vcc, 0, v0
	s_mul_i32 s4, s2, s9
	s_waitcnt lgkmcnt(0)
	s_barrier
	s_and_saveexec_b64 s[2:3], vcc
	s_cbranch_execz .LBB166_40
; %bb.39:
	s_ashr_i32 s5, s4, 31
	s_lshl_b64 s[10:11], s[4:5], 2
	s_add_u32 s5, s18, s10
	s_mul_i32 s6, s21, s6
	s_addc_u32 s9, s19, s11
	s_ashr_i32 s7, s6, 31
	s_lshl_b64 s[6:7], s[6:7], 2
	s_add_u32 s5, s5, s6
	s_addc_u32 s15, s9, s7
	s_ashr_i32 s9, s8, 31
	s_lshl_b64 s[18:19], s[8:9], 2
	s_add_u32 s34, s5, s18
	s_addc_u32 s35, s15, s19
	s_add_u32 s5, s16, s10
	s_addc_u32 s9, s17, s11
	;; [unrolled: 2-line block ×3, first 2 shown]
	s_add_u32 s6, s5, s18
	v_mov_b32_e32 v2, 0
	s_addc_u32 s7, s7, s19
	global_store_dword v2, v8, s[34:35]
	global_store_dword v2, v5, s[6:7]
.LBB166_40:
	s_or_b64 exec, exec, s[2:3]
	v_mov_b32_e32 v13, 0
	v_lshrrev_b32_e32 v19, 1, v7
	v_and_b32_e32 v18, 1, v0
	v_mov_b32_e32 v12, 0
	v_mov_b32_e32 v15, 0
	;; [unrolled: 1-line block ×3, first 2 shown]
	s_and_saveexec_b64 s[6:7], s[0:1]
	s_cbranch_execz .LBB166_214
; %bb.41:
	s_ashr_i32 s15, s14, 31
	v_lshlrev_b32_e32 v2, 3, v0
	s_lshl_b64 s[0:1], s[14:15], 1
	v_and_b32_e32 v3, 8, v2
	s_add_u32 s9, s30, s0
	v_or_b32_e32 v5, 0x60, v19
	s_movk_i32 s0, 0x70
	s_addc_u32 s14, s31, s1
	s_add_i32 s15, s12, -1
	v_cmp_gt_u32_e32 vcc, s0, v5
	v_lshl_or_b32 v6, v5, 4, v3
	v_lshl_add_u32 v5, v4, 4, s40
	s_lshl_b64 s[0:1], s[28:29], 2
	v_lshl_or_b32 v2, v19, 4, v3
	v_add3_u32 v21, v5, v3, 7
	v_lshlrev_b32_e32 v3, 5, v18
	s_add_u32 s0, s26, s0
	v_lshl_or_b32 v3, v4, 6, v3
	v_lshlrev_b64 v[4:5], 2, v[10:11]
	s_addc_u32 s1, s27, s1
	v_add_u32_e32 v22, 0xf0, v3
	v_mov_b32_e32 v3, s1
	v_add_co_u32_e64 v16, s[0:1], s0, v4
	s_mov_b32 s5, s13
	v_mov_b32_e32 v20, 0
	v_addc_co_u32_e64 v17, s[0:1], v3, v5, s[0:1]
	s_mov_b64 s[10:11], 0
	s_mov_b32 s16, 0x7f800000
	s_movk_i32 s17, 0x7fff
	v_lshlrev_b32_e32 v11, 1, v2
	v_lshlrev_b32_e32 v23, 1, v6
	v_mov_b32_e32 v14, 0
	v_mov_b32_e32 v15, 0
	;; [unrolled: 1-line block ×4, first 2 shown]
	s_branch .LBB166_44
.LBB166_42:                             ;   in Loop: Header=BB166_44 Depth=1
	s_or_b64 exec, exec, s[2:3]
	v_and_b32_e32 v31, 0xffff0000, v33
	v_and_b32_e32 v30, 0xffff0000, v30
	;; [unrolled: 1-line block ×8, first 2 shown]
	v_pk_add_f32 v[2:3], v[2:3], v[30:31]
	v_pk_add_f32 v[4:5], v[4:5], v[34:35]
	v_add_f32_e32 v2, v2, v3
	v_add_f32_e32 v2, v2, v4
	;; [unrolled: 1-line block ×4, first 2 shown]
.LBB166_43:                             ;   in Loop: Header=BB166_44 Depth=1
	s_or_b64 exec, exec, s[12:13]
	v_and_b32_e32 v2, 0xffff0000, v27
	v_and_b32_e32 v4, 0xffff0000, v26
	;; [unrolled: 1-line block ×8, first 2 shown]
	v_pk_add_f32 v[8:9], v[8:9], v[26:27]
	v_pk_add_f32 v[2:3], v[4:5], v[2:3]
	v_add_f32_e32 v4, v8, v9
	v_add_f32_e32 v2, v4, v2
	;; [unrolled: 1-line block ×3, first 2 shown]
	v_and_b32_e32 v9, 0xffff0000, v44
	v_and_b32_e32 v8, 0xffff0000, v42
	;; [unrolled: 1-line block ×4, first 2 shown]
	v_add_f32_e32 v14, v14, v2
	v_and_b32_e32 v3, 0xffff0000, v48
	v_and_b32_e32 v2, 0xffff0000, v46
	;; [unrolled: 1-line block ×4, first 2 shown]
	v_pk_add_f32 v[8:9], v[24:25], v[8:9]
	v_pk_add_f32 v[2:3], v[4:5], v[2:3]
	v_add_f32_e32 v4, v8, v9
	v_add_f32_e32 v2, v4, v2
	v_add_f32_e32 v2, v2, v3
	v_and_b32_e32 v9, 0xffff0000, v50
	v_and_b32_e32 v8, 0xffff0000, v7
	;; [unrolled: 1-line block ×4, first 2 shown]
	v_add_f32_e32 v15, v15, v2
	v_and_b32_e32 v3, 0xffff0000, v54
	v_and_b32_e32 v2, 0xffff0000, v52
	;; [unrolled: 1-line block ×4, first 2 shown]
	v_pk_add_f32 v[6:7], v[6:7], v[8:9]
	v_pk_add_f32 v[2:3], v[4:5], v[2:3]
	v_add_f32_e32 v4, v6, v7
	v_add_u32_e32 v10, 2, v10
	v_add_f32_e32 v2, v4, v2
	v_cmp_le_i32_e64 s[0:1], s33, v10
	v_add_f32_e32 v2, v2, v3
	s_or_b64 s[10:11], s[0:1], s[10:11]
	v_add_co_u32_e64 v16, s[0:1], 8, v16
	v_add_f32_e32 v12, v12, v2
	v_add_u32_e32 v21, 32, v21
	v_add_u32_e32 v22, 0x80, v22
	v_addc_co_u32_e64 v17, s[0:1], 0, v17, s[0:1]
	s_andn2_b64 exec, exec, s[10:11]
	s_cbranch_execz .LBB166_213
.LBB166_44:                             ; =>This Inner Loop Header: Depth=1
	global_load_dword v30, v[16:17], off
	ds_read2_b64 v[6:9], v22 offset1:1
	ds_read2_b64 v[2:5], v22 offset0:2 offset1:3
                                        ; implicit-def: $vgpr33
	s_waitcnt lgkmcnt(1)
	v_and_b32_e32 v24, 0x7f800000, v6
	v_cmp_ne_u32_e64 s[0:1], s16, v24
	s_and_saveexec_b64 s[2:3], s[0:1]
	s_xor_b64 s[0:1], exec, s[2:3]
; %bb.45:                               ;   in Loop: Header=BB166_44 Depth=1
	v_bfe_u32 v24, v6, 16, 1
	v_add3_u32 v33, v6, v24, s17
; %bb.46:                               ;   in Loop: Header=BB166_44 Depth=1
	s_andn2_saveexec_b64 s[2:3], s[0:1]
; %bb.47:                               ;   in Loop: Header=BB166_44 Depth=1
	v_or_b32_e32 v24, 0x10000, v6
	v_cmp_eq_u32_sdwa s[0:1], v6, v20 src0_sel:WORD_0 src1_sel:DWORD
	v_cndmask_b32_e64 v33, v24, v6, s[0:1]
; %bb.48:                               ;   in Loop: Header=BB166_44 Depth=1
	s_or_b64 exec, exec, s[2:3]
	v_and_b32_e32 v6, 0x7f800000, v7
	v_cmp_ne_u32_e64 s[0:1], s16, v6
                                        ; implicit-def: $vgpr34
	s_and_saveexec_b64 s[2:3], s[0:1]
	s_xor_b64 s[0:1], exec, s[2:3]
; %bb.49:                               ;   in Loop: Header=BB166_44 Depth=1
	v_bfe_u32 v6, v7, 16, 1
	v_add3_u32 v34, v7, v6, s17
; %bb.50:                               ;   in Loop: Header=BB166_44 Depth=1
	s_andn2_saveexec_b64 s[2:3], s[0:1]
; %bb.51:                               ;   in Loop: Header=BB166_44 Depth=1
	v_or_b32_e32 v6, 0x10000, v7
	v_cmp_eq_u32_sdwa s[0:1], v7, v20 src0_sel:WORD_0 src1_sel:DWORD
	v_cndmask_b32_e64 v34, v6, v7, s[0:1]
; %bb.52:                               ;   in Loop: Header=BB166_44 Depth=1
	s_or_b64 exec, exec, s[2:3]
	v_and_b32_e32 v6, 0x7f800000, v8
	v_cmp_ne_u32_e64 s[0:1], s16, v6
                                        ; implicit-def: $vgpr24
	s_and_saveexec_b64 s[2:3], s[0:1]
	s_xor_b64 s[0:1], exec, s[2:3]
; %bb.53:                               ;   in Loop: Header=BB166_44 Depth=1
	v_bfe_u32 v6, v8, 16, 1
	v_add3_u32 v24, v8, v6, s17
; %bb.54:                               ;   in Loop: Header=BB166_44 Depth=1
	s_andn2_saveexec_b64 s[2:3], s[0:1]
; %bb.55:                               ;   in Loop: Header=BB166_44 Depth=1
	v_or_b32_e32 v6, 0x10000, v8
	v_cmp_eq_u32_sdwa s[0:1], v8, v20 src0_sel:WORD_0 src1_sel:DWORD
	v_cndmask_b32_e64 v24, v6, v8, s[0:1]
; %bb.56:                               ;   in Loop: Header=BB166_44 Depth=1
	s_or_b64 exec, exec, s[2:3]
	v_and_b32_e32 v6, 0x7f800000, v9
	v_cmp_ne_u32_e64 s[0:1], s16, v6
                                        ; implicit-def: $vgpr25
	s_and_saveexec_b64 s[2:3], s[0:1]
	s_xor_b64 s[0:1], exec, s[2:3]
; %bb.57:                               ;   in Loop: Header=BB166_44 Depth=1
	v_bfe_u32 v6, v9, 16, 1
	v_add3_u32 v25, v9, v6, s17
                                        ; implicit-def: $vgpr6_vgpr7_vgpr8_vgpr9
; %bb.58:                               ;   in Loop: Header=BB166_44 Depth=1
	s_andn2_saveexec_b64 s[2:3], s[0:1]
; %bb.59:                               ;   in Loop: Header=BB166_44 Depth=1
	v_or_b32_e32 v6, 0x10000, v9
	v_cmp_eq_u32_sdwa s[0:1], v9, v20 src0_sel:WORD_0 src1_sel:DWORD
	v_cndmask_b32_e64 v25, v6, v9, s[0:1]
; %bb.60:                               ;   in Loop: Header=BB166_44 Depth=1
	s_or_b64 exec, exec, s[2:3]
	s_waitcnt lgkmcnt(0)
	v_and_b32_e32 v6, 0x7f800000, v2
	v_cmp_ne_u32_e64 s[0:1], s16, v6
                                        ; implicit-def: $vgpr26
	s_and_saveexec_b64 s[2:3], s[0:1]
	s_xor_b64 s[0:1], exec, s[2:3]
; %bb.61:                               ;   in Loop: Header=BB166_44 Depth=1
	v_bfe_u32 v6, v2, 16, 1
	v_add3_u32 v26, v2, v6, s17
; %bb.62:                               ;   in Loop: Header=BB166_44 Depth=1
	s_andn2_saveexec_b64 s[2:3], s[0:1]
; %bb.63:                               ;   in Loop: Header=BB166_44 Depth=1
	v_or_b32_e32 v6, 0x10000, v2
	v_cmp_eq_u32_sdwa s[0:1], v2, v20 src0_sel:WORD_0 src1_sel:DWORD
	v_cndmask_b32_e64 v26, v6, v2, s[0:1]
; %bb.64:                               ;   in Loop: Header=BB166_44 Depth=1
	s_or_b64 exec, exec, s[2:3]
	v_and_b32_e32 v2, 0x7f800000, v3
	v_cmp_ne_u32_e64 s[0:1], s16, v2
                                        ; implicit-def: $vgpr27
	s_and_saveexec_b64 s[2:3], s[0:1]
	s_xor_b64 s[0:1], exec, s[2:3]
; %bb.65:                               ;   in Loop: Header=BB166_44 Depth=1
	v_bfe_u32 v2, v3, 16, 1
	v_add3_u32 v27, v3, v2, s17
; %bb.66:                               ;   in Loop: Header=BB166_44 Depth=1
	s_andn2_saveexec_b64 s[2:3], s[0:1]
; %bb.67:                               ;   in Loop: Header=BB166_44 Depth=1
	v_or_b32_e32 v2, 0x10000, v3
	v_cmp_eq_u32_sdwa s[0:1], v3, v20 src0_sel:WORD_0 src1_sel:DWORD
	v_cndmask_b32_e64 v27, v2, v3, s[0:1]
; %bb.68:                               ;   in Loop: Header=BB166_44 Depth=1
	s_or_b64 exec, exec, s[2:3]
	v_and_b32_e32 v2, 0x7f800000, v4
	v_cmp_ne_u32_e64 s[0:1], s16, v2
                                        ; implicit-def: $vgpr28
	s_and_saveexec_b64 s[2:3], s[0:1]
	s_xor_b64 s[0:1], exec, s[2:3]
; %bb.69:                               ;   in Loop: Header=BB166_44 Depth=1
	v_bfe_u32 v2, v4, 16, 1
	v_add3_u32 v28, v4, v2, s17
; %bb.70:                               ;   in Loop: Header=BB166_44 Depth=1
	s_andn2_saveexec_b64 s[2:3], s[0:1]
; %bb.71:                               ;   in Loop: Header=BB166_44 Depth=1
	v_or_b32_e32 v2, 0x10000, v4
	v_cmp_eq_u32_sdwa s[0:1], v4, v20 src0_sel:WORD_0 src1_sel:DWORD
	v_cndmask_b32_e64 v28, v2, v4, s[0:1]
; %bb.72:                               ;   in Loop: Header=BB166_44 Depth=1
	s_or_b64 exec, exec, s[2:3]
	v_and_b32_e32 v2, 0x7f800000, v5
	v_cmp_ne_u32_e64 s[0:1], s16, v2
                                        ; implicit-def: $vgpr29
	s_and_saveexec_b64 s[2:3], s[0:1]
	s_xor_b64 s[0:1], exec, s[2:3]
; %bb.73:                               ;   in Loop: Header=BB166_44 Depth=1
	v_bfe_u32 v2, v5, 16, 1
	v_add3_u32 v29, v5, v2, s17
                                        ; implicit-def: $vgpr2_vgpr3_vgpr4_vgpr5
; %bb.74:                               ;   in Loop: Header=BB166_44 Depth=1
	s_andn2_saveexec_b64 s[2:3], s[0:1]
; %bb.75:                               ;   in Loop: Header=BB166_44 Depth=1
	v_or_b32_e32 v2, 0x10000, v5
	v_cmp_eq_u32_sdwa s[0:1], v5, v20 src0_sel:WORD_0 src1_sel:DWORD
	v_cndmask_b32_e64 v29, v2, v5, s[0:1]
; %bb.76:                               ;   in Loop: Header=BB166_44 Depth=1
	s_or_b64 exec, exec, s[2:3]
	s_waitcnt vmcnt(0)
	v_mad_i64_i32 v[2:3], s[0:1], v30, s5, 0
	v_lshlrev_b64 v[2:3], 1, v[2:3]
	v_mov_b32_e32 v4, s14
	v_add_co_u32_e64 v31, s[0:1], s9, v2
	v_addc_co_u32_e64 v32, s[0:1], v4, v3, s[0:1]
	v_add_co_u32_e64 v6, s[0:1], v31, v11
	v_addc_co_u32_e64 v7, s[0:1], 0, v32, s[0:1]
	global_load_dwordx4 v[2:5], v[6:7], off
	v_add_u32_e32 v30, -7, v21
	v_cmp_eq_u32_e64 s[0:1], s15, v10
	s_waitcnt vmcnt(0)
	v_lshrrev_b32_e32 v9, 16, v2
	v_lshrrev_b32_e32 v37, 16, v3
	;; [unrolled: 1-line block ×4, first 2 shown]
	s_and_saveexec_b64 s[12:13], s[0:1]
	s_cbranch_execz .LBB166_78
; %bb.77:                               ;   in Loop: Header=BB166_44 Depth=1
	v_cmp_gt_i32_e64 s[2:3], s25, v30
	v_add_u32_e32 v8, -6, v21
	v_cndmask_b32_e64 v2, 0, v2, s[2:3]
	v_cmp_gt_i32_e64 s[2:3], s25, v8
	v_add_u32_e32 v8, -5, v21
	v_cndmask_b32_e64 v9, 0, v9, s[2:3]
	v_cmp_gt_i32_e64 s[2:3], s25, v8
	v_add_u32_e32 v8, -4, v21
	v_cndmask_b32_e64 v3, 0, v3, s[2:3]
	v_cmp_gt_i32_e64 s[2:3], s25, v8
	v_add_u32_e32 v8, -3, v21
	v_cndmask_b32_e64 v37, 0, v37, s[2:3]
	v_cmp_gt_i32_e64 s[2:3], s25, v8
	v_add_u32_e32 v8, -2, v21
	v_cndmask_b32_e64 v4, 0, v4, s[2:3]
	v_cmp_gt_i32_e64 s[2:3], s25, v8
	v_add_u32_e32 v8, -1, v21
	v_cndmask_b32_e64 v39, 0, v39, s[2:3]
	v_cmp_gt_i32_e64 s[2:3], s25, v8
	v_cndmask_b32_e64 v5, 0, v5, s[2:3]
	v_cmp_gt_i32_e64 s[2:3], s25, v21
	v_cndmask_b32_e64 v41, 0, v41, s[2:3]
.LBB166_78:                             ;   in Loop: Header=BB166_44 Depth=1
	s_or_b64 exec, exec, s[12:13]
	v_and_b32_e32 v33, 0xffff0000, v33
	v_lshlrev_b32_e32 v2, 16, v2
	v_mul_f32_e32 v2, v33, v2
	v_and_b32_e32 v8, 0x7f800000, v2
	v_cmp_ne_u32_e64 s[2:3], s16, v8
                                        ; implicit-def: $vgpr8
	s_and_saveexec_b64 s[12:13], s[2:3]
	s_xor_b64 s[2:3], exec, s[12:13]
; %bb.79:                               ;   in Loop: Header=BB166_44 Depth=1
	v_bfe_u32 v8, v2, 16, 1
	v_add3_u32 v8, v2, v8, s17
                                        ; implicit-def: $vgpr2
; %bb.80:                               ;   in Loop: Header=BB166_44 Depth=1
	s_andn2_saveexec_b64 s[12:13], s[2:3]
; %bb.81:                               ;   in Loop: Header=BB166_44 Depth=1
	v_or_b32_e32 v8, 0x10000, v2
	v_cmp_eq_u32_sdwa s[2:3], v2, v20 src0_sel:WORD_0 src1_sel:DWORD
	v_cndmask_b32_e64 v8, v8, v2, s[2:3]
; %bb.82:                               ;   in Loop: Header=BB166_44 Depth=1
	s_or_b64 exec, exec, s[12:13]
	v_and_b32_e32 v34, 0xffff0000, v34
	v_lshlrev_b32_e32 v2, 16, v9
	v_mul_f32_e32 v2, v34, v2
	v_and_b32_e32 v9, 0x7f800000, v2
	v_cmp_ne_u32_e64 s[2:3], s16, v9
                                        ; implicit-def: $vgpr9
	s_and_saveexec_b64 s[12:13], s[2:3]
	s_xor_b64 s[2:3], exec, s[12:13]
; %bb.83:                               ;   in Loop: Header=BB166_44 Depth=1
	v_bfe_u32 v9, v2, 16, 1
	v_add3_u32 v9, v2, v9, s17
                                        ; implicit-def: $vgpr2
; %bb.84:                               ;   in Loop: Header=BB166_44 Depth=1
	s_andn2_saveexec_b64 s[12:13], s[2:3]
; %bb.85:                               ;   in Loop: Header=BB166_44 Depth=1
	v_or_b32_e32 v9, 0x10000, v2
	v_cmp_eq_u32_sdwa s[2:3], v2, v20 src0_sel:WORD_0 src1_sel:DWORD
	v_cndmask_b32_e64 v9, v9, v2, s[2:3]
; %bb.86:                               ;   in Loop: Header=BB166_44 Depth=1
	s_or_b64 exec, exec, s[12:13]
	v_and_b32_e32 v35, 0xffff0000, v24
	v_lshlrev_b32_e32 v2, 16, v3
	v_mul_f32_e32 v2, v35, v2
	v_and_b32_e32 v3, 0x7f800000, v2
	v_cmp_ne_u32_e64 s[2:3], s16, v3
                                        ; implicit-def: $vgpr24
	s_and_saveexec_b64 s[12:13], s[2:3]
	s_xor_b64 s[2:3], exec, s[12:13]
; %bb.87:                               ;   in Loop: Header=BB166_44 Depth=1
	v_bfe_u32 v3, v2, 16, 1
	v_add3_u32 v24, v2, v3, s17
                                        ; implicit-def: $vgpr2
; %bb.88:                               ;   in Loop: Header=BB166_44 Depth=1
	s_andn2_saveexec_b64 s[12:13], s[2:3]
; %bb.89:                               ;   in Loop: Header=BB166_44 Depth=1
	v_or_b32_e32 v3, 0x10000, v2
	v_cmp_eq_u32_sdwa s[2:3], v2, v20 src0_sel:WORD_0 src1_sel:DWORD
	v_cndmask_b32_e64 v24, v3, v2, s[2:3]
; %bb.90:                               ;   in Loop: Header=BB166_44 Depth=1
	s_or_b64 exec, exec, s[12:13]
	v_and_b32_e32 v36, 0xffff0000, v25
	v_lshlrev_b32_e32 v2, 16, v37
	v_mul_f32_e32 v2, v36, v2
	v_and_b32_e32 v3, 0x7f800000, v2
	v_cmp_ne_u32_e64 s[2:3], s16, v3
                                        ; implicit-def: $vgpr25
	s_and_saveexec_b64 s[12:13], s[2:3]
	s_xor_b64 s[2:3], exec, s[12:13]
; %bb.91:                               ;   in Loop: Header=BB166_44 Depth=1
	v_bfe_u32 v3, v2, 16, 1
	v_add3_u32 v25, v2, v3, s17
                                        ; implicit-def: $vgpr2
; %bb.92:                               ;   in Loop: Header=BB166_44 Depth=1
	s_andn2_saveexec_b64 s[12:13], s[2:3]
; %bb.93:                               ;   in Loop: Header=BB166_44 Depth=1
	v_or_b32_e32 v3, 0x10000, v2
	v_cmp_eq_u32_sdwa s[2:3], v2, v20 src0_sel:WORD_0 src1_sel:DWORD
	v_cndmask_b32_e64 v25, v3, v2, s[2:3]
; %bb.94:                               ;   in Loop: Header=BB166_44 Depth=1
	s_or_b64 exec, exec, s[12:13]
	v_and_b32_e32 v37, 0xffff0000, v26
	v_lshlrev_b32_e32 v2, 16, v4
	v_mul_f32_e32 v2, v37, v2
	v_and_b32_e32 v3, 0x7f800000, v2
	v_cmp_ne_u32_e64 s[2:3], s16, v3
                                        ; implicit-def: $vgpr26
	s_and_saveexec_b64 s[12:13], s[2:3]
	s_xor_b64 s[2:3], exec, s[12:13]
; %bb.95:                               ;   in Loop: Header=BB166_44 Depth=1
	v_bfe_u32 v3, v2, 16, 1
	v_add3_u32 v26, v2, v3, s17
                                        ; implicit-def: $vgpr2
; %bb.96:                               ;   in Loop: Header=BB166_44 Depth=1
	s_andn2_saveexec_b64 s[12:13], s[2:3]
; %bb.97:                               ;   in Loop: Header=BB166_44 Depth=1
	v_or_b32_e32 v3, 0x10000, v2
	v_cmp_eq_u32_sdwa s[2:3], v2, v20 src0_sel:WORD_0 src1_sel:DWORD
	v_cndmask_b32_e64 v26, v3, v2, s[2:3]
; %bb.98:                               ;   in Loop: Header=BB166_44 Depth=1
	s_or_b64 exec, exec, s[12:13]
	v_and_b32_e32 v38, 0xffff0000, v27
	v_lshlrev_b32_e32 v2, 16, v39
	v_mul_f32_e32 v2, v38, v2
	v_and_b32_e32 v3, 0x7f800000, v2
	v_cmp_ne_u32_e64 s[2:3], s16, v3
                                        ; implicit-def: $vgpr27
	s_and_saveexec_b64 s[12:13], s[2:3]
	s_xor_b64 s[2:3], exec, s[12:13]
; %bb.99:                               ;   in Loop: Header=BB166_44 Depth=1
	v_bfe_u32 v3, v2, 16, 1
	v_add3_u32 v27, v2, v3, s17
                                        ; implicit-def: $vgpr2
; %bb.100:                              ;   in Loop: Header=BB166_44 Depth=1
	s_andn2_saveexec_b64 s[12:13], s[2:3]
; %bb.101:                              ;   in Loop: Header=BB166_44 Depth=1
	v_or_b32_e32 v3, 0x10000, v2
	v_cmp_eq_u32_sdwa s[2:3], v2, v20 src0_sel:WORD_0 src1_sel:DWORD
	v_cndmask_b32_e64 v27, v3, v2, s[2:3]
; %bb.102:                              ;   in Loop: Header=BB166_44 Depth=1
	s_or_b64 exec, exec, s[12:13]
	v_and_b32_e32 v39, 0xffff0000, v28
	v_lshlrev_b32_e32 v2, 16, v5
	v_mul_f32_e32 v2, v39, v2
	v_and_b32_e32 v3, 0x7f800000, v2
	v_cmp_ne_u32_e64 s[2:3], s16, v3
                                        ; implicit-def: $vgpr28
	s_and_saveexec_b64 s[12:13], s[2:3]
	s_xor_b64 s[2:3], exec, s[12:13]
; %bb.103:                              ;   in Loop: Header=BB166_44 Depth=1
	v_bfe_u32 v3, v2, 16, 1
	v_add3_u32 v28, v2, v3, s17
                                        ; implicit-def: $vgpr2
; %bb.104:                              ;   in Loop: Header=BB166_44 Depth=1
	s_andn2_saveexec_b64 s[12:13], s[2:3]
; %bb.105:                              ;   in Loop: Header=BB166_44 Depth=1
	v_or_b32_e32 v3, 0x10000, v2
	v_cmp_eq_u32_sdwa s[2:3], v2, v20 src0_sel:WORD_0 src1_sel:DWORD
	v_cndmask_b32_e64 v28, v3, v2, s[2:3]
; %bb.106:                              ;   in Loop: Header=BB166_44 Depth=1
	s_or_b64 exec, exec, s[12:13]
	v_and_b32_e32 v40, 0xffff0000, v29
	v_lshlrev_b32_e32 v2, 16, v41
	v_mul_f32_e32 v2, v40, v2
	v_and_b32_e32 v3, 0x7f800000, v2
	v_cmp_ne_u32_e64 s[2:3], s16, v3
                                        ; implicit-def: $vgpr29
	s_and_saveexec_b64 s[12:13], s[2:3]
	s_xor_b64 s[2:3], exec, s[12:13]
; %bb.107:                              ;   in Loop: Header=BB166_44 Depth=1
	v_bfe_u32 v3, v2, 16, 1
	v_add3_u32 v29, v2, v3, s17
                                        ; implicit-def: $vgpr2
; %bb.108:                              ;   in Loop: Header=BB166_44 Depth=1
	s_andn2_saveexec_b64 s[12:13], s[2:3]
; %bb.109:                              ;   in Loop: Header=BB166_44 Depth=1
	v_or_b32_e32 v3, 0x10000, v2
	v_cmp_eq_u32_sdwa s[2:3], v2, v20 src0_sel:WORD_0 src1_sel:DWORD
	v_cndmask_b32_e64 v29, v3, v2, s[2:3]
; %bb.110:                              ;   in Loop: Header=BB166_44 Depth=1
	s_or_b64 exec, exec, s[12:13]
	global_load_dwordx4 v[2:5], v[6:7], off offset:1024
	s_waitcnt vmcnt(0)
	v_lshrrev_b32_e32 v42, 16, v2
	v_lshrrev_b32_e32 v44, 16, v3
	;; [unrolled: 1-line block ×4, first 2 shown]
	s_and_saveexec_b64 s[12:13], s[0:1]
	s_cbranch_execz .LBB166_112
; %bb.111:                              ;   in Loop: Header=BB166_44 Depth=1
	v_cmp_gt_i32_e64 s[2:3], s25, v30
	v_add_u32_e32 v41, -6, v21
	v_cndmask_b32_e64 v2, 0, v2, s[2:3]
	v_cmp_gt_i32_e64 s[2:3], s25, v41
	v_add_u32_e32 v41, -5, v21
	v_cndmask_b32_e64 v42, 0, v42, s[2:3]
	;; [unrolled: 3-line block ×6, first 2 shown]
	v_cmp_gt_i32_e64 s[2:3], s25, v41
	v_cndmask_b32_e64 v5, 0, v5, s[2:3]
	v_cmp_gt_i32_e64 s[2:3], s25, v21
	v_cndmask_b32_e64 v48, 0, v48, s[2:3]
.LBB166_112:                            ;   in Loop: Header=BB166_44 Depth=1
	s_or_b64 exec, exec, s[12:13]
	v_lshlrev_b32_e32 v2, 16, v2
	v_mul_f32_e32 v2, v33, v2
	v_and_b32_e32 v41, 0x7f800000, v2
	v_cmp_ne_u32_e64 s[2:3], s16, v41
                                        ; implicit-def: $vgpr41
	s_and_saveexec_b64 s[12:13], s[2:3]
	s_xor_b64 s[2:3], exec, s[12:13]
; %bb.113:                              ;   in Loop: Header=BB166_44 Depth=1
	v_bfe_u32 v41, v2, 16, 1
	v_add3_u32 v41, v2, v41, s17
                                        ; implicit-def: $vgpr2
; %bb.114:                              ;   in Loop: Header=BB166_44 Depth=1
	s_andn2_saveexec_b64 s[12:13], s[2:3]
; %bb.115:                              ;   in Loop: Header=BB166_44 Depth=1
	v_or_b32_e32 v41, 0x10000, v2
	v_cmp_eq_u32_sdwa s[2:3], v2, v20 src0_sel:WORD_0 src1_sel:DWORD
	v_cndmask_b32_e64 v41, v41, v2, s[2:3]
; %bb.116:                              ;   in Loop: Header=BB166_44 Depth=1
	s_or_b64 exec, exec, s[12:13]
	v_lshlrev_b32_e32 v2, 16, v42
	v_mul_f32_e32 v2, v34, v2
	v_and_b32_e32 v42, 0x7f800000, v2
	v_cmp_ne_u32_e64 s[2:3], s16, v42
                                        ; implicit-def: $vgpr42
	s_and_saveexec_b64 s[12:13], s[2:3]
	s_xor_b64 s[2:3], exec, s[12:13]
; %bb.117:                              ;   in Loop: Header=BB166_44 Depth=1
	v_bfe_u32 v42, v2, 16, 1
	v_add3_u32 v42, v2, v42, s17
                                        ; implicit-def: $vgpr2
; %bb.118:                              ;   in Loop: Header=BB166_44 Depth=1
	s_andn2_saveexec_b64 s[12:13], s[2:3]
; %bb.119:                              ;   in Loop: Header=BB166_44 Depth=1
	v_or_b32_e32 v42, 0x10000, v2
	v_cmp_eq_u32_sdwa s[2:3], v2, v20 src0_sel:WORD_0 src1_sel:DWORD
	v_cndmask_b32_e64 v42, v42, v2, s[2:3]
; %bb.120:                              ;   in Loop: Header=BB166_44 Depth=1
	s_or_b64 exec, exec, s[12:13]
	v_lshlrev_b32_e32 v2, 16, v3
	v_mul_f32_e32 v2, v35, v2
	v_and_b32_e32 v3, 0x7f800000, v2
	v_cmp_ne_u32_e64 s[2:3], s16, v3
                                        ; implicit-def: $vgpr43
	s_and_saveexec_b64 s[12:13], s[2:3]
	s_xor_b64 s[2:3], exec, s[12:13]
; %bb.121:                              ;   in Loop: Header=BB166_44 Depth=1
	v_bfe_u32 v3, v2, 16, 1
	v_add3_u32 v43, v2, v3, s17
                                        ; implicit-def: $vgpr2
; %bb.122:                              ;   in Loop: Header=BB166_44 Depth=1
	s_andn2_saveexec_b64 s[12:13], s[2:3]
; %bb.123:                              ;   in Loop: Header=BB166_44 Depth=1
	v_or_b32_e32 v3, 0x10000, v2
	v_cmp_eq_u32_sdwa s[2:3], v2, v20 src0_sel:WORD_0 src1_sel:DWORD
	v_cndmask_b32_e64 v43, v3, v2, s[2:3]
; %bb.124:                              ;   in Loop: Header=BB166_44 Depth=1
	s_or_b64 exec, exec, s[12:13]
	v_lshlrev_b32_e32 v2, 16, v44
	v_mul_f32_e32 v2, v36, v2
	v_and_b32_e32 v3, 0x7f800000, v2
	v_cmp_ne_u32_e64 s[2:3], s16, v3
                                        ; implicit-def: $vgpr44
	s_and_saveexec_b64 s[12:13], s[2:3]
	s_xor_b64 s[2:3], exec, s[12:13]
; %bb.125:                              ;   in Loop: Header=BB166_44 Depth=1
	v_bfe_u32 v3, v2, 16, 1
	v_add3_u32 v44, v2, v3, s17
                                        ; implicit-def: $vgpr2
; %bb.126:                              ;   in Loop: Header=BB166_44 Depth=1
	s_andn2_saveexec_b64 s[12:13], s[2:3]
; %bb.127:                              ;   in Loop: Header=BB166_44 Depth=1
	v_or_b32_e32 v3, 0x10000, v2
	v_cmp_eq_u32_sdwa s[2:3], v2, v20 src0_sel:WORD_0 src1_sel:DWORD
	v_cndmask_b32_e64 v44, v3, v2, s[2:3]
; %bb.128:                              ;   in Loop: Header=BB166_44 Depth=1
	s_or_b64 exec, exec, s[12:13]
	v_lshlrev_b32_e32 v2, 16, v4
	v_mul_f32_e32 v2, v37, v2
	v_and_b32_e32 v3, 0x7f800000, v2
	v_cmp_ne_u32_e64 s[2:3], s16, v3
                                        ; implicit-def: $vgpr45
	s_and_saveexec_b64 s[12:13], s[2:3]
	s_xor_b64 s[2:3], exec, s[12:13]
; %bb.129:                              ;   in Loop: Header=BB166_44 Depth=1
	v_bfe_u32 v3, v2, 16, 1
	v_add3_u32 v45, v2, v3, s17
                                        ; implicit-def: $vgpr2
; %bb.130:                              ;   in Loop: Header=BB166_44 Depth=1
	s_andn2_saveexec_b64 s[12:13], s[2:3]
; %bb.131:                              ;   in Loop: Header=BB166_44 Depth=1
	v_or_b32_e32 v3, 0x10000, v2
	v_cmp_eq_u32_sdwa s[2:3], v2, v20 src0_sel:WORD_0 src1_sel:DWORD
	v_cndmask_b32_e64 v45, v3, v2, s[2:3]
; %bb.132:                              ;   in Loop: Header=BB166_44 Depth=1
	s_or_b64 exec, exec, s[12:13]
	v_lshlrev_b32_e32 v2, 16, v46
	v_mul_f32_e32 v2, v38, v2
	v_and_b32_e32 v3, 0x7f800000, v2
	v_cmp_ne_u32_e64 s[2:3], s16, v3
                                        ; implicit-def: $vgpr46
	s_and_saveexec_b64 s[12:13], s[2:3]
	s_xor_b64 s[2:3], exec, s[12:13]
; %bb.133:                              ;   in Loop: Header=BB166_44 Depth=1
	v_bfe_u32 v3, v2, 16, 1
	v_add3_u32 v46, v2, v3, s17
                                        ; implicit-def: $vgpr2
; %bb.134:                              ;   in Loop: Header=BB166_44 Depth=1
	s_andn2_saveexec_b64 s[12:13], s[2:3]
; %bb.135:                              ;   in Loop: Header=BB166_44 Depth=1
	v_or_b32_e32 v3, 0x10000, v2
	v_cmp_eq_u32_sdwa s[2:3], v2, v20 src0_sel:WORD_0 src1_sel:DWORD
	v_cndmask_b32_e64 v46, v3, v2, s[2:3]
; %bb.136:                              ;   in Loop: Header=BB166_44 Depth=1
	s_or_b64 exec, exec, s[12:13]
	v_lshlrev_b32_e32 v2, 16, v5
	v_mul_f32_e32 v2, v39, v2
	v_and_b32_e32 v3, 0x7f800000, v2
	v_cmp_ne_u32_e64 s[2:3], s16, v3
                                        ; implicit-def: $vgpr47
	s_and_saveexec_b64 s[12:13], s[2:3]
	s_xor_b64 s[2:3], exec, s[12:13]
; %bb.137:                              ;   in Loop: Header=BB166_44 Depth=1
	v_bfe_u32 v3, v2, 16, 1
	v_add3_u32 v47, v2, v3, s17
                                        ; implicit-def: $vgpr2
; %bb.138:                              ;   in Loop: Header=BB166_44 Depth=1
	s_andn2_saveexec_b64 s[12:13], s[2:3]
; %bb.139:                              ;   in Loop: Header=BB166_44 Depth=1
	v_or_b32_e32 v3, 0x10000, v2
	v_cmp_eq_u32_sdwa s[2:3], v2, v20 src0_sel:WORD_0 src1_sel:DWORD
	v_cndmask_b32_e64 v47, v3, v2, s[2:3]
; %bb.140:                              ;   in Loop: Header=BB166_44 Depth=1
	s_or_b64 exec, exec, s[12:13]
	v_lshlrev_b32_e32 v2, 16, v48
	v_mul_f32_e32 v2, v40, v2
	v_and_b32_e32 v3, 0x7f800000, v2
	v_cmp_ne_u32_e64 s[2:3], s16, v3
                                        ; implicit-def: $vgpr48
	s_and_saveexec_b64 s[12:13], s[2:3]
	s_xor_b64 s[2:3], exec, s[12:13]
; %bb.141:                              ;   in Loop: Header=BB166_44 Depth=1
	v_bfe_u32 v3, v2, 16, 1
	v_add3_u32 v48, v2, v3, s17
                                        ; implicit-def: $vgpr2
; %bb.142:                              ;   in Loop: Header=BB166_44 Depth=1
	s_andn2_saveexec_b64 s[12:13], s[2:3]
; %bb.143:                              ;   in Loop: Header=BB166_44 Depth=1
	v_or_b32_e32 v3, 0x10000, v2
	v_cmp_eq_u32_sdwa s[2:3], v2, v20 src0_sel:WORD_0 src1_sel:DWORD
	v_cndmask_b32_e64 v48, v3, v2, s[2:3]
; %bb.144:                              ;   in Loop: Header=BB166_44 Depth=1
	s_or_b64 exec, exec, s[12:13]
	global_load_dwordx4 v[2:5], v[6:7], off offset:2048
	s_waitcnt vmcnt(0)
	v_lshrrev_b32_e32 v7, 16, v2
	v_lshrrev_b32_e32 v50, 16, v3
	;; [unrolled: 1-line block ×4, first 2 shown]
	s_and_saveexec_b64 s[12:13], s[0:1]
	s_cbranch_execz .LBB166_146
; %bb.145:                              ;   in Loop: Header=BB166_44 Depth=1
	v_cmp_gt_i32_e64 s[2:3], s25, v30
	v_add_u32_e32 v6, -6, v21
	v_cndmask_b32_e64 v2, 0, v2, s[2:3]
	v_cmp_gt_i32_e64 s[2:3], s25, v6
	v_add_u32_e32 v6, -5, v21
	v_cndmask_b32_e64 v7, 0, v7, s[2:3]
	;; [unrolled: 3-line block ×6, first 2 shown]
	v_cmp_gt_i32_e64 s[2:3], s25, v6
	v_cndmask_b32_e64 v5, 0, v5, s[2:3]
	v_cmp_gt_i32_e64 s[2:3], s25, v21
	v_cndmask_b32_e64 v54, 0, v54, s[2:3]
.LBB166_146:                            ;   in Loop: Header=BB166_44 Depth=1
	s_or_b64 exec, exec, s[12:13]
	v_lshlrev_b32_e32 v2, 16, v2
	v_mul_f32_e32 v2, v33, v2
	v_and_b32_e32 v6, 0x7f800000, v2
	v_cmp_ne_u32_e64 s[2:3], s16, v6
                                        ; implicit-def: $vgpr6
	s_and_saveexec_b64 s[12:13], s[2:3]
	s_xor_b64 s[2:3], exec, s[12:13]
; %bb.147:                              ;   in Loop: Header=BB166_44 Depth=1
	v_bfe_u32 v6, v2, 16, 1
	v_add3_u32 v6, v2, v6, s17
                                        ; implicit-def: $vgpr2
; %bb.148:                              ;   in Loop: Header=BB166_44 Depth=1
	s_andn2_saveexec_b64 s[12:13], s[2:3]
; %bb.149:                              ;   in Loop: Header=BB166_44 Depth=1
	v_or_b32_e32 v6, 0x10000, v2
	v_cmp_eq_u32_sdwa s[2:3], v2, v20 src0_sel:WORD_0 src1_sel:DWORD
	v_cndmask_b32_e64 v6, v6, v2, s[2:3]
; %bb.150:                              ;   in Loop: Header=BB166_44 Depth=1
	s_or_b64 exec, exec, s[12:13]
	v_lshlrev_b32_e32 v2, 16, v7
	v_mul_f32_e32 v2, v34, v2
	v_and_b32_e32 v7, 0x7f800000, v2
	v_cmp_ne_u32_e64 s[2:3], s16, v7
                                        ; implicit-def: $vgpr7
	s_and_saveexec_b64 s[12:13], s[2:3]
	s_xor_b64 s[2:3], exec, s[12:13]
; %bb.151:                              ;   in Loop: Header=BB166_44 Depth=1
	v_bfe_u32 v7, v2, 16, 1
	v_add3_u32 v7, v2, v7, s17
                                        ; implicit-def: $vgpr2
; %bb.152:                              ;   in Loop: Header=BB166_44 Depth=1
	s_andn2_saveexec_b64 s[12:13], s[2:3]
; %bb.153:                              ;   in Loop: Header=BB166_44 Depth=1
	v_or_b32_e32 v7, 0x10000, v2
	v_cmp_eq_u32_sdwa s[2:3], v2, v20 src0_sel:WORD_0 src1_sel:DWORD
	v_cndmask_b32_e64 v7, v7, v2, s[2:3]
; %bb.154:                              ;   in Loop: Header=BB166_44 Depth=1
	s_or_b64 exec, exec, s[12:13]
	v_lshlrev_b32_e32 v2, 16, v3
	v_mul_f32_e32 v2, v35, v2
	v_and_b32_e32 v3, 0x7f800000, v2
	v_cmp_ne_u32_e64 s[2:3], s16, v3
                                        ; implicit-def: $vgpr49
	s_and_saveexec_b64 s[12:13], s[2:3]
	s_xor_b64 s[2:3], exec, s[12:13]
; %bb.155:                              ;   in Loop: Header=BB166_44 Depth=1
	v_bfe_u32 v3, v2, 16, 1
	v_add3_u32 v49, v2, v3, s17
                                        ; implicit-def: $vgpr2
; %bb.156:                              ;   in Loop: Header=BB166_44 Depth=1
	s_andn2_saveexec_b64 s[12:13], s[2:3]
; %bb.157:                              ;   in Loop: Header=BB166_44 Depth=1
	v_or_b32_e32 v3, 0x10000, v2
	v_cmp_eq_u32_sdwa s[2:3], v2, v20 src0_sel:WORD_0 src1_sel:DWORD
	v_cndmask_b32_e64 v49, v3, v2, s[2:3]
; %bb.158:                              ;   in Loop: Header=BB166_44 Depth=1
	s_or_b64 exec, exec, s[12:13]
	v_lshlrev_b32_e32 v2, 16, v50
	v_mul_f32_e32 v2, v36, v2
	v_and_b32_e32 v3, 0x7f800000, v2
	v_cmp_ne_u32_e64 s[2:3], s16, v3
                                        ; implicit-def: $vgpr50
	s_and_saveexec_b64 s[12:13], s[2:3]
	s_xor_b64 s[2:3], exec, s[12:13]
; %bb.159:                              ;   in Loop: Header=BB166_44 Depth=1
	v_bfe_u32 v3, v2, 16, 1
	v_add3_u32 v50, v2, v3, s17
                                        ; implicit-def: $vgpr2
; %bb.160:                              ;   in Loop: Header=BB166_44 Depth=1
	s_andn2_saveexec_b64 s[12:13], s[2:3]
; %bb.161:                              ;   in Loop: Header=BB166_44 Depth=1
	v_or_b32_e32 v3, 0x10000, v2
	v_cmp_eq_u32_sdwa s[2:3], v2, v20 src0_sel:WORD_0 src1_sel:DWORD
	v_cndmask_b32_e64 v50, v3, v2, s[2:3]
; %bb.162:                              ;   in Loop: Header=BB166_44 Depth=1
	s_or_b64 exec, exec, s[12:13]
	v_lshlrev_b32_e32 v2, 16, v4
	v_mul_f32_e32 v2, v37, v2
	v_and_b32_e32 v3, 0x7f800000, v2
	v_cmp_ne_u32_e64 s[2:3], s16, v3
                                        ; implicit-def: $vgpr51
	s_and_saveexec_b64 s[12:13], s[2:3]
	s_xor_b64 s[2:3], exec, s[12:13]
; %bb.163:                              ;   in Loop: Header=BB166_44 Depth=1
	v_bfe_u32 v3, v2, 16, 1
	v_add3_u32 v51, v2, v3, s17
                                        ; implicit-def: $vgpr2
; %bb.164:                              ;   in Loop: Header=BB166_44 Depth=1
	s_andn2_saveexec_b64 s[12:13], s[2:3]
; %bb.165:                              ;   in Loop: Header=BB166_44 Depth=1
	v_or_b32_e32 v3, 0x10000, v2
	v_cmp_eq_u32_sdwa s[2:3], v2, v20 src0_sel:WORD_0 src1_sel:DWORD
	v_cndmask_b32_e64 v51, v3, v2, s[2:3]
; %bb.166:                              ;   in Loop: Header=BB166_44 Depth=1
	s_or_b64 exec, exec, s[12:13]
	v_lshlrev_b32_e32 v2, 16, v52
	v_mul_f32_e32 v2, v38, v2
	v_and_b32_e32 v3, 0x7f800000, v2
	v_cmp_ne_u32_e64 s[2:3], s16, v3
                                        ; implicit-def: $vgpr52
	s_and_saveexec_b64 s[12:13], s[2:3]
	s_xor_b64 s[2:3], exec, s[12:13]
; %bb.167:                              ;   in Loop: Header=BB166_44 Depth=1
	v_bfe_u32 v3, v2, 16, 1
	v_add3_u32 v52, v2, v3, s17
                                        ; implicit-def: $vgpr2
; %bb.168:                              ;   in Loop: Header=BB166_44 Depth=1
	s_andn2_saveexec_b64 s[12:13], s[2:3]
; %bb.169:                              ;   in Loop: Header=BB166_44 Depth=1
	v_or_b32_e32 v3, 0x10000, v2
	v_cmp_eq_u32_sdwa s[2:3], v2, v20 src0_sel:WORD_0 src1_sel:DWORD
	v_cndmask_b32_e64 v52, v3, v2, s[2:3]
; %bb.170:                              ;   in Loop: Header=BB166_44 Depth=1
	s_or_b64 exec, exec, s[12:13]
	v_lshlrev_b32_e32 v2, 16, v5
	v_mul_f32_e32 v2, v39, v2
	v_and_b32_e32 v3, 0x7f800000, v2
	v_cmp_ne_u32_e64 s[2:3], s16, v3
                                        ; implicit-def: $vgpr53
	s_and_saveexec_b64 s[12:13], s[2:3]
	s_xor_b64 s[2:3], exec, s[12:13]
; %bb.171:                              ;   in Loop: Header=BB166_44 Depth=1
	v_bfe_u32 v3, v2, 16, 1
	v_add3_u32 v53, v2, v3, s17
                                        ; implicit-def: $vgpr2
; %bb.172:                              ;   in Loop: Header=BB166_44 Depth=1
	s_andn2_saveexec_b64 s[12:13], s[2:3]
; %bb.173:                              ;   in Loop: Header=BB166_44 Depth=1
	v_or_b32_e32 v3, 0x10000, v2
	v_cmp_eq_u32_sdwa s[2:3], v2, v20 src0_sel:WORD_0 src1_sel:DWORD
	v_cndmask_b32_e64 v53, v3, v2, s[2:3]
; %bb.174:                              ;   in Loop: Header=BB166_44 Depth=1
	s_or_b64 exec, exec, s[12:13]
	v_lshlrev_b32_e32 v2, 16, v54
	v_mul_f32_e32 v2, v40, v2
	v_and_b32_e32 v3, 0x7f800000, v2
	v_cmp_ne_u32_e64 s[2:3], s16, v3
                                        ; implicit-def: $vgpr54
	s_and_saveexec_b64 s[12:13], s[2:3]
	s_xor_b64 s[2:3], exec, s[12:13]
	s_cbranch_execnz .LBB166_177
; %bb.175:                              ;   in Loop: Header=BB166_44 Depth=1
	s_andn2_saveexec_b64 s[12:13], s[2:3]
	s_cbranch_execnz .LBB166_178
.LBB166_176:                            ;   in Loop: Header=BB166_44 Depth=1
	s_or_b64 exec, exec, s[12:13]
	s_and_saveexec_b64 s[12:13], vcc
	s_cbranch_execz .LBB166_43
	s_branch .LBB166_179
.LBB166_177:                            ;   in Loop: Header=BB166_44 Depth=1
	v_bfe_u32 v3, v2, 16, 1
	v_add3_u32 v54, v2, v3, s17
                                        ; implicit-def: $vgpr2
	s_andn2_saveexec_b64 s[12:13], s[2:3]
	s_cbranch_execz .LBB166_176
.LBB166_178:                            ;   in Loop: Header=BB166_44 Depth=1
	v_or_b32_e32 v3, 0x10000, v2
	v_cmp_eq_u32_sdwa s[2:3], v2, v20 src0_sel:WORD_0 src1_sel:DWORD
	v_cndmask_b32_e64 v54, v3, v2, s[2:3]
	s_or_b64 exec, exec, s[12:13]
	s_and_saveexec_b64 s[12:13], vcc
	s_cbranch_execz .LBB166_43
.LBB166_179:                            ;   in Loop: Header=BB166_44 Depth=1
	v_add_co_u32_e64 v2, s[2:3], v31, v23
	v_addc_co_u32_e64 v3, s[2:3], 0, v32, s[2:3]
	global_load_dwordx4 v[2:5], v[2:3], off
	s_waitcnt vmcnt(0)
	v_lshrrev_b32_e32 v56, 16, v2
	v_lshrrev_b32_e32 v55, 16, v3
	v_lshrrev_b32_e32 v32, 16, v4
	v_lshrrev_b32_e32 v31, 16, v5
	s_and_saveexec_b64 s[2:3], s[0:1]
	s_cbranch_execz .LBB166_181
; %bb.180:                              ;   in Loop: Header=BB166_44 Depth=1
	v_cmp_gt_i32_e64 s[0:1], s25, v30
	v_add_u32_e32 v30, -6, v21
	v_cndmask_b32_e64 v2, 0, v2, s[0:1]
	v_cmp_gt_i32_e64 s[0:1], s25, v30
	v_add_u32_e32 v30, -5, v21
	v_cndmask_b32_e64 v56, 0, v56, s[0:1]
	;; [unrolled: 3-line block ×6, first 2 shown]
	v_cmp_gt_i32_e64 s[0:1], s25, v30
	v_cndmask_b32_e64 v5, 0, v5, s[0:1]
	v_cmp_gt_i32_e64 s[0:1], s25, v21
	v_cndmask_b32_e64 v31, 0, v31, s[0:1]
.LBB166_181:                            ;   in Loop: Header=BB166_44 Depth=1
	s_or_b64 exec, exec, s[2:3]
	v_lshlrev_b32_e32 v2, 16, v2
	v_mul_f32_e32 v30, v33, v2
	v_and_b32_e32 v2, 0x7f800000, v30
	v_cmp_ne_u32_e64 s[0:1], s16, v2
                                        ; implicit-def: $vgpr2
	s_and_saveexec_b64 s[2:3], s[0:1]
	s_xor_b64 s[0:1], exec, s[2:3]
; %bb.182:                              ;   in Loop: Header=BB166_44 Depth=1
	v_bfe_u32 v2, v30, 16, 1
	v_add3_u32 v2, v30, v2, s17
                                        ; implicit-def: $vgpr30
; %bb.183:                              ;   in Loop: Header=BB166_44 Depth=1
	s_andn2_saveexec_b64 s[2:3], s[0:1]
; %bb.184:                              ;   in Loop: Header=BB166_44 Depth=1
	v_or_b32_e32 v2, 0x10000, v30
	v_cmp_eq_u32_sdwa s[0:1], v30, v20 src0_sel:WORD_0 src1_sel:DWORD
	v_cndmask_b32_e64 v2, v2, v30, s[0:1]
; %bb.185:                              ;   in Loop: Header=BB166_44 Depth=1
	s_or_b64 exec, exec, s[2:3]
	v_lshlrev_b32_e32 v30, 16, v56
	v_mul_f32_e32 v33, v34, v30
	v_and_b32_e32 v30, 0x7f800000, v33
	v_cmp_ne_u32_e64 s[0:1], s16, v30
                                        ; implicit-def: $vgpr30
	s_and_saveexec_b64 s[2:3], s[0:1]
	s_xor_b64 s[0:1], exec, s[2:3]
; %bb.186:                              ;   in Loop: Header=BB166_44 Depth=1
	v_bfe_u32 v30, v33, 16, 1
	v_add3_u32 v30, v33, v30, s17
                                        ; implicit-def: $vgpr33
; %bb.187:                              ;   in Loop: Header=BB166_44 Depth=1
	s_andn2_saveexec_b64 s[2:3], s[0:1]
; %bb.188:                              ;   in Loop: Header=BB166_44 Depth=1
	v_or_b32_e32 v30, 0x10000, v33
	v_cmp_eq_u32_sdwa s[0:1], v33, v20 src0_sel:WORD_0 src1_sel:DWORD
	v_cndmask_b32_e64 v30, v30, v33, s[0:1]
; %bb.189:                              ;   in Loop: Header=BB166_44 Depth=1
	s_or_b64 exec, exec, s[2:3]
	v_lshlrev_b32_e32 v3, 16, v3
	v_mul_f32_e32 v33, v35, v3
	v_and_b32_e32 v3, 0x7f800000, v33
	v_cmp_ne_u32_e64 s[0:1], s16, v3
                                        ; implicit-def: $vgpr3
	s_and_saveexec_b64 s[2:3], s[0:1]
	s_xor_b64 s[0:1], exec, s[2:3]
; %bb.190:                              ;   in Loop: Header=BB166_44 Depth=1
	v_bfe_u32 v3, v33, 16, 1
	v_add3_u32 v3, v33, v3, s17
                                        ; implicit-def: $vgpr33
; %bb.191:                              ;   in Loop: Header=BB166_44 Depth=1
	s_andn2_saveexec_b64 s[2:3], s[0:1]
; %bb.192:                              ;   in Loop: Header=BB166_44 Depth=1
	v_or_b32_e32 v3, 0x10000, v33
	v_cmp_eq_u32_sdwa s[0:1], v33, v20 src0_sel:WORD_0 src1_sel:DWORD
	v_cndmask_b32_e64 v3, v3, v33, s[0:1]
; %bb.193:                              ;   in Loop: Header=BB166_44 Depth=1
	s_or_b64 exec, exec, s[2:3]
	v_lshlrev_b32_e32 v33, 16, v55
	v_mul_f32_e32 v34, v36, v33
	v_and_b32_e32 v33, 0x7f800000, v34
	v_cmp_ne_u32_e64 s[0:1], s16, v33
                                        ; implicit-def: $vgpr33
	s_and_saveexec_b64 s[2:3], s[0:1]
	s_xor_b64 s[0:1], exec, s[2:3]
; %bb.194:                              ;   in Loop: Header=BB166_44 Depth=1
	v_bfe_u32 v33, v34, 16, 1
	v_add3_u32 v33, v34, v33, s17
                                        ; implicit-def: $vgpr34
; %bb.195:                              ;   in Loop: Header=BB166_44 Depth=1
	s_andn2_saveexec_b64 s[2:3], s[0:1]
; %bb.196:                              ;   in Loop: Header=BB166_44 Depth=1
	v_or_b32_e32 v33, 0x10000, v34
	v_cmp_eq_u32_sdwa s[0:1], v34, v20 src0_sel:WORD_0 src1_sel:DWORD
	v_cndmask_b32_e64 v33, v33, v34, s[0:1]
; %bb.197:                              ;   in Loop: Header=BB166_44 Depth=1
	s_or_b64 exec, exec, s[2:3]
	v_lshlrev_b32_e32 v4, 16, v4
	v_mul_f32_e32 v34, v37, v4
	v_and_b32_e32 v4, 0x7f800000, v34
	v_cmp_ne_u32_e64 s[0:1], s16, v4
                                        ; implicit-def: $vgpr4
	s_and_saveexec_b64 s[2:3], s[0:1]
	s_xor_b64 s[0:1], exec, s[2:3]
; %bb.198:                              ;   in Loop: Header=BB166_44 Depth=1
	v_bfe_u32 v4, v34, 16, 1
	v_add3_u32 v4, v34, v4, s17
                                        ; implicit-def: $vgpr34
; %bb.199:                              ;   in Loop: Header=BB166_44 Depth=1
	s_andn2_saveexec_b64 s[2:3], s[0:1]
; %bb.200:                              ;   in Loop: Header=BB166_44 Depth=1
	v_or_b32_e32 v4, 0x10000, v34
	v_cmp_eq_u32_sdwa s[0:1], v34, v20 src0_sel:WORD_0 src1_sel:DWORD
	v_cndmask_b32_e64 v4, v4, v34, s[0:1]
; %bb.201:                              ;   in Loop: Header=BB166_44 Depth=1
	s_or_b64 exec, exec, s[2:3]
	v_lshlrev_b32_e32 v32, 16, v32
	v_mul_f32_e32 v34, v38, v32
	v_and_b32_e32 v32, 0x7f800000, v34
	v_cmp_ne_u32_e64 s[0:1], s16, v32
                                        ; implicit-def: $vgpr32
	s_and_saveexec_b64 s[2:3], s[0:1]
	s_xor_b64 s[0:1], exec, s[2:3]
; %bb.202:                              ;   in Loop: Header=BB166_44 Depth=1
	v_bfe_u32 v32, v34, 16, 1
	v_add3_u32 v32, v34, v32, s17
                                        ; implicit-def: $vgpr34
; %bb.203:                              ;   in Loop: Header=BB166_44 Depth=1
	s_andn2_saveexec_b64 s[2:3], s[0:1]
; %bb.204:                              ;   in Loop: Header=BB166_44 Depth=1
	v_or_b32_e32 v32, 0x10000, v34
	v_cmp_eq_u32_sdwa s[0:1], v34, v20 src0_sel:WORD_0 src1_sel:DWORD
	v_cndmask_b32_e64 v32, v32, v34, s[0:1]
; %bb.205:                              ;   in Loop: Header=BB166_44 Depth=1
	s_or_b64 exec, exec, s[2:3]
	v_lshlrev_b32_e32 v5, 16, v5
	v_mul_f32_e32 v34, v39, v5
	v_and_b32_e32 v5, 0x7f800000, v34
	v_cmp_ne_u32_e64 s[0:1], s16, v5
                                        ; implicit-def: $vgpr5
	s_and_saveexec_b64 s[2:3], s[0:1]
	s_xor_b64 s[0:1], exec, s[2:3]
; %bb.206:                              ;   in Loop: Header=BB166_44 Depth=1
	v_bfe_u32 v5, v34, 16, 1
	v_add3_u32 v5, v34, v5, s17
                                        ; implicit-def: $vgpr34
; %bb.207:                              ;   in Loop: Header=BB166_44 Depth=1
	s_andn2_saveexec_b64 s[2:3], s[0:1]
; %bb.208:                              ;   in Loop: Header=BB166_44 Depth=1
	v_or_b32_e32 v5, 0x10000, v34
	v_cmp_eq_u32_sdwa s[0:1], v34, v20 src0_sel:WORD_0 src1_sel:DWORD
	v_cndmask_b32_e64 v5, v5, v34, s[0:1]
; %bb.209:                              ;   in Loop: Header=BB166_44 Depth=1
	s_or_b64 exec, exec, s[2:3]
	v_lshlrev_b32_e32 v31, 16, v31
	v_mul_f32_e32 v31, v40, v31
	v_and_b32_e32 v34, 0x7f800000, v31
	v_cmp_ne_u32_e64 s[0:1], s16, v34
                                        ; implicit-def: $vgpr34
	s_and_saveexec_b64 s[2:3], s[0:1]
	s_xor_b64 s[0:1], exec, s[2:3]
; %bb.210:                              ;   in Loop: Header=BB166_44 Depth=1
	v_bfe_u32 v34, v31, 16, 1
	v_add3_u32 v34, v31, v34, s17
                                        ; implicit-def: $vgpr31
; %bb.211:                              ;   in Loop: Header=BB166_44 Depth=1
	s_andn2_saveexec_b64 s[2:3], s[0:1]
	s_cbranch_execz .LBB166_42
; %bb.212:                              ;   in Loop: Header=BB166_44 Depth=1
	v_or_b32_e32 v34, 0x10000, v31
	v_cmp_eq_u32_sdwa s[0:1], v31, v20 src0_sel:WORD_0 src1_sel:DWORD
	v_cndmask_b32_e64 v34, v34, v31, s[0:1]
	s_branch .LBB166_42
.LBB166_213:
	s_or_b64 exec, exec, s[10:11]
.LBB166_214:
	s_or_b64 exec, exec, s[6:7]
	ds_bpermute_b32 v2, v1, v14
	ds_bpermute_b32 v3, v1, v15
	;; [unrolled: 1-line block ×4, first 2 shown]
	v_and_b32_e32 v1, 0x3c0, v0
	v_cmp_eq_u32_e32 vcc, 64, v1
	s_waitcnt lgkmcnt(2)
	v_pk_add_f32 v[4:5], v[14:15], v[2:3]
	s_waitcnt lgkmcnt(0)
	v_pk_add_f32 v[2:3], v[12:13], v[6:7]
	s_barrier
	s_and_saveexec_b64 s[2:3], vcc
	s_cbranch_execz .LBB166_219
; %bb.215:
	v_cmp_eq_u32_e32 vcc, 0, v18
	s_and_saveexec_b64 s[0:1], vcc
	s_cbranch_execz .LBB166_217
; %bb.216:
	v_mov_b32_e32 v1, 0xf0
	v_lshl_add_u32 v1, v19, 2, v1
	ds_write2_b32 v1, v4, v5 offset1:32
	ds_write_b32 v1, v2 offset:256
.LBB166_217:
	s_or_b64 exec, exec, s[0:1]
	v_or_b32_e32 v1, 0x60, v19
	s_movk_i32 s0, 0x70
	v_cmp_gt_u32_e64 s[0:1], s0, v1
	s_and_b64 s[0:1], vcc, s[0:1]
	s_and_b64 exec, exec, s[0:1]
	s_cbranch_execz .LBB166_219
; %bb.218:
	v_mov_b32_e32 v1, 0xf0
	v_lshl_add_u32 v1, v19, 2, v1
	ds_write_b32 v1, v3 offset:384
.LBB166_219:
	s_or_b64 exec, exec, s[2:3]
	v_cmp_gt_u32_e32 vcc, 64, v0
	v_lshrrev_b32_e32 v6, 1, v0
	s_waitcnt lgkmcnt(0)
	s_barrier
	s_and_saveexec_b64 s[6:7], vcc
	s_cbranch_execz .LBB166_227
; %bb.220:
	v_cmp_eq_u32_e64 s[0:1], 0, v18
	s_and_saveexec_b64 s[2:3], s[0:1]
	s_cbranch_execnz .LBB166_249
; %bb.221:
	s_or_b64 exec, exec, s[2:3]
	s_and_saveexec_b64 s[2:3], s[0:1]
	s_cbranch_execnz .LBB166_250
.LBB166_222:
	s_or_b64 exec, exec, s[2:3]
	s_and_saveexec_b64 s[2:3], s[0:1]
	s_cbranch_execz .LBB166_224
.LBB166_223:
	v_mov_b32_e32 v0, 0xf0
	v_lshl_add_u32 v0, v6, 2, v0
	ds_read_b32 v0, v0 offset:256
	s_waitcnt lgkmcnt(0)
	v_add_f32_e32 v2, v2, v0
.LBB166_224:
	s_or_b64 exec, exec, s[2:3]
	v_or_b32_e32 v0, 0x60, v6
	s_movk_i32 s2, 0x70
	v_cmp_gt_u32_e64 s[2:3], s2, v0
	s_and_b64 s[2:3], s[0:1], s[2:3]
	s_and_saveexec_b64 s[0:1], s[2:3]
	s_cbranch_execz .LBB166_226
; %bb.225:
	v_mov_b32_e32 v0, 0xf0
	v_lshl_add_u32 v0, v6, 2, v0
	ds_read_b32 v0, v0 offset:384
	s_waitcnt lgkmcnt(0)
	v_add_f32_e32 v3, v3, v0
.LBB166_226:
	s_or_b64 exec, exec, s[0:1]
.LBB166_227:
	s_or_b64 exec, exec, s[6:7]
	s_barrier
	s_and_saveexec_b64 s[0:1], vcc
	s_cbranch_execz .LBB166_248
; %bb.228:
	s_mul_i32 s0, s4, 0x70
	s_ashr_i32 s1, s0, 31
	s_lshl_b64 s[0:1], s[0:1], 1
	s_add_u32 s2, s22, s0
	s_mul_i32 s0, s21, s20
	s_addc_u32 s3, s23, s1
	s_ashr_i32 s1, s0, 31
	s_lshl_b64 s[0:1], s[0:1], 1
	s_add_u32 s2, s2, s0
	s_mul_i32 s0, s8, 0x70
	s_addc_u32 s3, s3, s1
	s_ashr_i32 s1, s0, 31
	s_lshl_b64 s[0:1], s[0:1], 1
	s_add_u32 s2, s2, s0
	s_addc_u32 s3, s3, s1
	v_cmp_eq_u32_e32 vcc, 0, v18
	s_and_saveexec_b64 s[4:5], vcc
	s_cbranch_execz .LBB166_242
; %bb.229:
	s_mov_b32 s0, 0x7f800000
	v_and_b32_e32 v0, 0x7f800000, v4
	v_cmp_ne_u32_e64 s[0:1], s0, v0
                                        ; implicit-def: $vgpr7
	s_and_saveexec_b64 s[6:7], s[0:1]
	s_xor_b64 s[0:1], exec, s[6:7]
; %bb.230:
	v_bfe_u32 v0, v4, 16, 1
	s_movk_i32 s6, 0x7fff
	v_add3_u32 v7, v4, v0, s6
; %bb.231:
	s_andn2_saveexec_b64 s[6:7], s[0:1]
; %bb.232:
	v_mov_b32_e32 v0, 0
	v_or_b32_e32 v1, 0x10000, v4
	v_cmp_eq_u32_sdwa s[0:1], v4, v0 src0_sel:WORD_0 src1_sel:DWORD
	v_cndmask_b32_e64 v7, v1, v4, s[0:1]
; %bb.233:
	s_or_b64 exec, exec, s[6:7]
	v_lshlrev_b32_e32 v4, 1, v6
	v_mov_b32_e32 v1, s3
	v_add_co_u32_e64 v0, s[0:1], s2, v4
	v_addc_co_u32_e64 v1, s[0:1], 0, v1, s[0:1]
	global_store_short_d16_hi v4, v7, s[2:3]
	s_mov_b32 s0, 0x7f800000
	v_and_b32_e32 v4, 0x7f800000, v5
	v_cmp_ne_u32_e64 s[0:1], s0, v4
                                        ; implicit-def: $vgpr4
	s_and_saveexec_b64 s[6:7], s[0:1]
	s_xor_b64 s[0:1], exec, s[6:7]
; %bb.234:
	v_bfe_u32 v4, v5, 16, 1
	s_movk_i32 s6, 0x7fff
	v_add3_u32 v4, v5, v4, s6
; %bb.235:
	s_andn2_saveexec_b64 s[6:7], s[0:1]
; %bb.236:
	v_mov_b32_e32 v4, 0
	v_or_b32_e32 v7, 0x10000, v5
	v_cmp_eq_u32_sdwa s[0:1], v5, v4 src0_sel:WORD_0 src1_sel:DWORD
	v_cndmask_b32_e64 v4, v7, v5, s[0:1]
; %bb.237:
	s_or_b64 exec, exec, s[6:7]
	global_store_short_d16_hi v[0:1], v4, off offset:64
	s_mov_b32 s0, 0x7f800000
	v_and_b32_e32 v4, 0x7f800000, v2
	v_cmp_ne_u32_e64 s[0:1], s0, v4
                                        ; implicit-def: $vgpr4
	s_and_saveexec_b64 s[6:7], s[0:1]
	s_xor_b64 s[0:1], exec, s[6:7]
; %bb.238:
	v_bfe_u32 v4, v2, 16, 1
	s_movk_i32 s6, 0x7fff
	v_add3_u32 v4, v2, v4, s6
; %bb.239:
	s_andn2_saveexec_b64 s[6:7], s[0:1]
; %bb.240:
	v_mov_b32_e32 v4, 0
	v_or_b32_e32 v5, 0x10000, v2
	v_cmp_eq_u32_sdwa s[0:1], v2, v4 src0_sel:WORD_0 src1_sel:DWORD
	v_cndmask_b32_e64 v4, v5, v2, s[0:1]
; %bb.241:
	s_or_b64 exec, exec, s[6:7]
	global_store_short_d16_hi v[0:1], v4, off offset:128
.LBB166_242:
	s_or_b64 exec, exec, s[4:5]
	v_or_b32_e32 v0, 0x60, v6
	s_movk_i32 s0, 0x70
	v_cmp_gt_u32_e64 s[0:1], s0, v0
	s_and_b64 s[0:1], vcc, s[0:1]
	s_and_b64 exec, exec, s[0:1]
	s_cbranch_execz .LBB166_248
; %bb.243:
	s_mov_b32 s0, 0x7f800000
	v_and_b32_e32 v0, 0x7f800000, v3
	v_cmp_ne_u32_e32 vcc, s0, v0
                                        ; implicit-def: $vgpr4
	s_and_saveexec_b64 s[0:1], vcc
	s_xor_b64 s[0:1], exec, s[0:1]
; %bb.244:
	v_bfe_u32 v0, v3, 16, 1
	s_movk_i32 s4, 0x7fff
	v_add3_u32 v4, v3, v0, s4
                                        ; implicit-def: $vgpr0_vgpr1_vgpr2_vgpr3
; %bb.245:
	s_andn2_saveexec_b64 s[0:1], s[0:1]
; %bb.246:
	v_mov_b32_e32 v0, 0
	v_or_b32_e32 v1, 0x10000, v3
	v_cmp_eq_u32_sdwa vcc, v3, v0 src0_sel:WORD_0 src1_sel:DWORD
	v_cndmask_b32_e32 v4, v1, v3, vcc
; %bb.247:
	s_or_b64 exec, exec, s[0:1]
	v_lshlrev_b32_e32 v0, 1, v6
	global_store_short_d16_hi v0, v4, s[2:3] offset:192
.LBB166_248:
	s_endpgm
.LBB166_249:
	v_mov_b32_e32 v0, 0xf0
	v_lshl_add_u32 v0, v6, 2, v0
	ds_read_b32 v0, v0
	s_waitcnt lgkmcnt(0)
	v_add_f32_e32 v4, v4, v0
	s_or_b64 exec, exec, s[2:3]
	s_and_saveexec_b64 s[2:3], s[0:1]
	s_cbranch_execz .LBB166_222
.LBB166_250:
	v_mov_b32_e32 v0, 0xf0
	v_lshl_add_u32 v0, v6, 2, v0
	ds_read_b32 v0, v0 offset:128
	s_waitcnt lgkmcnt(0)
	v_add_f32_e32 v5, v5, v0
	s_or_b64 exec, exec, s[2:3]
	s_and_saveexec_b64 s[2:3], s[0:1]
	s_cbranch_execnz .LBB166_223
	s_branch .LBB166_224
	.section	.rodata,"a",@progbits
	.p2align	6, 0x0
	.amdhsa_kernel _ZN4vllm25paged_attention_v2_kernelI14__hip_bfloat16S1_Li112ELi16ELi128ELNS_18Fp8KVCacheDataTypeE0ELb0ELi512EEEvPfS3_PT_PKS4_PKT0_SA_ifPKiSC_iPKfiiiSE_SE_iiiii
		.amdhsa_group_segment_fixed_size 240
		.amdhsa_private_segment_fixed_size 0
		.amdhsa_kernarg_size 400
		.amdhsa_user_sgpr_count 6
		.amdhsa_user_sgpr_private_segment_buffer 1
		.amdhsa_user_sgpr_dispatch_ptr 0
		.amdhsa_user_sgpr_queue_ptr 0
		.amdhsa_user_sgpr_kernarg_segment_ptr 1
		.amdhsa_user_sgpr_dispatch_id 0
		.amdhsa_user_sgpr_flat_scratch_init 0
		.amdhsa_user_sgpr_kernarg_preload_length 0
		.amdhsa_user_sgpr_kernarg_preload_offset 0
		.amdhsa_user_sgpr_private_segment_size 0
		.amdhsa_uses_dynamic_stack 0
		.amdhsa_system_sgpr_private_segment_wavefront_offset 0
		.amdhsa_system_sgpr_workgroup_id_x 1
		.amdhsa_system_sgpr_workgroup_id_y 1
		.amdhsa_system_sgpr_workgroup_id_z 1
		.amdhsa_system_sgpr_workgroup_info 0
		.amdhsa_system_vgpr_workitem_id 0
		.amdhsa_next_free_vgpr 63
		.amdhsa_next_free_sgpr 42
		.amdhsa_accum_offset 64
		.amdhsa_reserve_vcc 1
		.amdhsa_reserve_flat_scratch 0
		.amdhsa_float_round_mode_32 0
		.amdhsa_float_round_mode_16_64 0
		.amdhsa_float_denorm_mode_32 3
		.amdhsa_float_denorm_mode_16_64 3
		.amdhsa_dx10_clamp 1
		.amdhsa_ieee_mode 1
		.amdhsa_fp16_overflow 0
		.amdhsa_tg_split 0
		.amdhsa_exception_fp_ieee_invalid_op 0
		.amdhsa_exception_fp_denorm_src 0
		.amdhsa_exception_fp_ieee_div_zero 0
		.amdhsa_exception_fp_ieee_overflow 0
		.amdhsa_exception_fp_ieee_underflow 0
		.amdhsa_exception_fp_ieee_inexact 0
		.amdhsa_exception_int_div_zero 0
	.end_amdhsa_kernel
	.section	.text._ZN4vllm25paged_attention_v2_kernelI14__hip_bfloat16S1_Li112ELi16ELi128ELNS_18Fp8KVCacheDataTypeE0ELb0ELi512EEEvPfS3_PT_PKS4_PKT0_SA_ifPKiSC_iPKfiiiSE_SE_iiiii,"axG",@progbits,_ZN4vllm25paged_attention_v2_kernelI14__hip_bfloat16S1_Li112ELi16ELi128ELNS_18Fp8KVCacheDataTypeE0ELb0ELi512EEEvPfS3_PT_PKS4_PKT0_SA_ifPKiSC_iPKfiiiSE_SE_iiiii,comdat
.Lfunc_end166:
	.size	_ZN4vllm25paged_attention_v2_kernelI14__hip_bfloat16S1_Li112ELi16ELi128ELNS_18Fp8KVCacheDataTypeE0ELb0ELi512EEEvPfS3_PT_PKS4_PKT0_SA_ifPKiSC_iPKfiiiSE_SE_iiiii, .Lfunc_end166-_ZN4vllm25paged_attention_v2_kernelI14__hip_bfloat16S1_Li112ELi16ELi128ELNS_18Fp8KVCacheDataTypeE0ELb0ELi512EEEvPfS3_PT_PKS4_PKT0_SA_ifPKiSC_iPKfiiiSE_SE_iiiii
                                        ; -- End function
	.section	.AMDGPU.csdata,"",@progbits
; Kernel info:
; codeLenInByte = 9020
; NumSgprs: 46
; NumVgprs: 63
; NumAgprs: 0
; TotalNumVgprs: 63
; ScratchSize: 0
; MemoryBound: 0
; FloatMode: 240
; IeeeMode: 1
; LDSByteSize: 240 bytes/workgroup (compile time only)
; SGPRBlocks: 5
; VGPRBlocks: 7
; NumSGPRsForWavesPerEU: 46
; NumVGPRsForWavesPerEU: 63
; AccumOffset: 64
; Occupancy: 8
; WaveLimiterHint : 1
; COMPUTE_PGM_RSRC2:SCRATCH_EN: 0
; COMPUTE_PGM_RSRC2:USER_SGPR: 6
; COMPUTE_PGM_RSRC2:TRAP_HANDLER: 0
; COMPUTE_PGM_RSRC2:TGID_X_EN: 1
; COMPUTE_PGM_RSRC2:TGID_Y_EN: 1
; COMPUTE_PGM_RSRC2:TGID_Z_EN: 1
; COMPUTE_PGM_RSRC2:TIDIG_COMP_CNT: 0
; COMPUTE_PGM_RSRC3_GFX90A:ACCUM_OFFSET: 15
; COMPUTE_PGM_RSRC3_GFX90A:TG_SPLIT: 0
	.section	.text._ZN4vllm25paged_attention_v2_kernelI14__hip_bfloat16S1_Li120ELi16ELi128ELNS_18Fp8KVCacheDataTypeE0ELb0ELi512EEEvPfS3_PT_PKS4_PKT0_SA_ifPKiSC_iPKfiiiSE_SE_iiiii,"axG",@progbits,_ZN4vllm25paged_attention_v2_kernelI14__hip_bfloat16S1_Li120ELi16ELi128ELNS_18Fp8KVCacheDataTypeE0ELb0ELi512EEEvPfS3_PT_PKS4_PKT0_SA_ifPKiSC_iPKfiiiSE_SE_iiiii,comdat
	.protected	_ZN4vllm25paged_attention_v2_kernelI14__hip_bfloat16S1_Li120ELi16ELi128ELNS_18Fp8KVCacheDataTypeE0ELb0ELi512EEEvPfS3_PT_PKS4_PKT0_SA_ifPKiSC_iPKfiiiSE_SE_iiiii ; -- Begin function _ZN4vllm25paged_attention_v2_kernelI14__hip_bfloat16S1_Li120ELi16ELi128ELNS_18Fp8KVCacheDataTypeE0ELb0ELi512EEEvPfS3_PT_PKS4_PKT0_SA_ifPKiSC_iPKfiiiSE_SE_iiiii
	.globl	_ZN4vllm25paged_attention_v2_kernelI14__hip_bfloat16S1_Li120ELi16ELi128ELNS_18Fp8KVCacheDataTypeE0ELb0ELi512EEEvPfS3_PT_PKS4_PKT0_SA_ifPKiSC_iPKfiiiSE_SE_iiiii
	.p2align	8
	.type	_ZN4vllm25paged_attention_v2_kernelI14__hip_bfloat16S1_Li120ELi16ELi128ELNS_18Fp8KVCacheDataTypeE0ELb0ELi512EEEvPfS3_PT_PKS4_PKT0_SA_ifPKiSC_iPKfiiiSE_SE_iiiii,@function
_ZN4vllm25paged_attention_v2_kernelI14__hip_bfloat16S1_Li120ELi16ELi128ELNS_18Fp8KVCacheDataTypeE0ELb0ELi512EEEvPfS3_PT_PKS4_PKT0_SA_ifPKiSC_iPKfiiiSE_SE_iiiii: ; @_ZN4vllm25paged_attention_v2_kernelI14__hip_bfloat16S1_Li120ELi16ELi128ELNS_18Fp8KVCacheDataTypeE0ELb0ELi512EEEvPfS3_PT_PKS4_PKT0_SA_ifPKiSC_iPKfiiiSE_SE_iiiii
; %bb.0:
	s_load_dwordx2 s[0:1], s[4:5], 0x40
	s_mov_b32 s24, s7
	s_ashr_i32 s25, s7, 31
	s_lshl_b64 s[2:3], s[24:25], 2
	s_waitcnt lgkmcnt(0)
	s_add_u32 s0, s0, s2
	s_addc_u32 s1, s1, s3
	s_load_dword s25, s[0:1], 0x0
	s_lshl_b32 s40, s8, 9
	s_waitcnt lgkmcnt(0)
	s_cmp_ge_i32 s40, s25
	s_cbranch_scc1 .LBB167_248
; %bb.1:
	s_load_dword s9, s[4:5], 0x90
	s_load_dwordx2 s[10:11], s[4:5], 0x30
	s_waitcnt lgkmcnt(0)
	s_abs_i32 s2, s9
	s_abs_i32 s0, s10
	v_cvt_f32_u32_e32 v1, s0
	s_sub_i32 s3, 0, s0
	s_xor_b32 s1, s9, s10
	s_ashr_i32 s1, s1, 31
	v_rcp_iflag_f32_e32 v1, v1
	v_mul_f32_e32 v1, 0x4f7ffffe, v1
	v_cvt_u32_f32_e32 v1, v1
	v_readfirstlane_b32 s7, v1
	s_mul_i32 s3, s3, s7
	s_mul_hi_u32 s3, s7, s3
	s_add_i32 s7, s7, s3
	s_mul_hi_u32 s3, s2, s7
	s_mul_i32 s7, s3, s0
	s_sub_i32 s2, s2, s7
	s_add_i32 s10, s3, 1
	s_sub_i32 s7, s2, s0
	s_cmp_ge_u32 s2, s0
	s_cselect_b32 s3, s10, s3
	s_cselect_b32 s2, s7, s2
	s_add_i32 s7, s3, 1
	s_cmp_ge_u32 s2, s0
	s_cselect_b32 s0, s7, s3
	s_xor_b32 s0, s0, s1
	s_sub_i32 s18, s0, s1
	s_abs_i32 s2, s18
	v_cvt_f32_u32_e32 v1, s2
	s_load_dwordx2 s[0:1], s[4:5], 0x50
	s_sub_i32 s7, 0, s2
	s_abs_i32 s3, s6
	v_rcp_iflag_f32_e32 v1, v1
	s_mov_b32 s10, 0
	v_mul_f32_e32 v1, 0x4f7ffffe, v1
	v_cvt_u32_f32_e32 v1, v1
	v_readfirstlane_b32 s12, v1
	s_mul_i32 s7, s7, s12
	s_mul_hi_u32 s7, s12, s7
	s_add_i32 s12, s12, s7
	s_waitcnt lgkmcnt(0)
	s_cmp_eq_u64 s[0:1], 0
	s_mul_hi_u32 s16, s3, s12
	s_cbranch_scc1 .LBB167_3
; %bb.2:
	s_ashr_i32 s7, s6, 31
	s_lshl_b64 s[12:13], s[6:7], 2
	s_add_u32 s0, s0, s12
	s_addc_u32 s1, s1, s13
	s_load_dword s10, s[0:1], 0x0
.LBB167_3:
	s_load_dwordx4 s[12:15], s[4:5], 0x58
	s_ashr_i32 s17, s6, 31
	s_waitcnt lgkmcnt(0)
	s_ashr_i32 s15, s18, 31
	v_and_b32_e32 v2, 3, v0
	s_mul_i32 s20, s6, 0x78
	v_cmp_gt_u32_e32 vcc, 60, v0
	s_and_saveexec_b64 s[0:1], vcc
	s_cbranch_execz .LBB167_5
; %bb.4:
	s_load_dwordx2 s[18:19], s[4:5], 0x18
	s_mul_i32 s22, s24, s12
	s_ashr_i32 s23, s22, 31
	s_lshl_b64 s[22:23], s[22:23], 1
	v_lshlrev_b32_e32 v1, 2, v0
	s_waitcnt lgkmcnt(0)
	s_add_u32 s7, s18, s22
	s_addc_u32 s12, s19, s23
	s_ashr_i32 s21, s20, 31
	s_lshl_b64 s[18:19], s[20:21], 1
	s_add_u32 s18, s7, s18
	s_addc_u32 s19, s12, s19
	global_load_dword v1, v1, s[18:19]
	v_and_b32_e32 v3, 0x3fc, v0
	v_mad_u32_u24 v3, v2, 60, v3
	s_waitcnt vmcnt(0)
	ds_write_b32 v3, v1
.LBB167_5:
	s_or_b64 exec, exec, s[0:1]
	s_add_i32 s0, s25, 15
	s_ashr_i32 s1, s0, 31
	s_lshr_b32 s1, s1, 28
	s_add_i32 s0, s0, s1
	s_lshl_b32 s7, s8, 5
	s_mul_i32 s1, s16, s2
	s_ashr_i32 s12, s0, 4
	s_add_i32 s0, s7, 32
	s_sub_i32 s1, s3, s1
	s_min_i32 s33, s0, s12
	s_xor_b32 s0, s17, s15
	s_add_i32 s3, s16, 1
	s_sub_i32 s15, s1, s2
	s_cmp_ge_u32 s1, s2
	s_cselect_b32 s3, s3, s16
	s_cselect_b32 s1, s15, s1
	s_add_i32 s15, s3, 1
	s_cmp_ge_u32 s1, s2
	s_load_dwordx2 s[26:27], s[4:5], 0x38
	s_load_dword s2, s[4:5], 0x48
	v_lshrrev_b32_e32 v4, 6, v0
	s_cselect_b32 s1, s15, s3
	s_xor_b32 s1, s1, s0
	v_or_b32_e32 v10, s7, v4
	s_waitcnt lgkmcnt(0)
	s_mul_i32 s28, s24, s2
	s_sub_i32 s15, s1, s0
	s_ashr_i32 s29, s28, 31
	v_cmp_gt_i32_e64 s[0:1], s33, v10
	v_cmp_le_i32_e32 vcc, s33, v10
	v_mbcnt_lo_u32_b32 v3, -1, 0
	s_barrier
	s_waitcnt lgkmcnt(0)
                                        ; implicit-def: $sgpr36
                                        ; implicit-def: $vgpr5
                                        ; implicit-def: $vgpr6
	s_and_saveexec_b64 s[2:3], vcc
	s_xor_b64 s[2:3], exec, s[2:3]
; %bb.6:
	v_mbcnt_hi_u32_b32 v5, -1, v3
	v_and_b32_e32 v1, 64, v5
	v_add_u32_e32 v6, 64, v1
	s_mov_b32 s36, 0xff7fffff
                                        ; implicit-def: $vgpr2
                                        ; implicit-def: $vgpr3
; %bb.7:
	s_or_saveexec_b64 s[34:35], s[2:3]
	s_load_dwordx4 s[16:19], s[4:5], 0x0
	s_load_dwordx2 s[22:23], s[4:5], 0x10
	s_load_dwordx2 s[30:31], s[4:5], 0x28
	s_load_dword s21, s[4:5], 0x98
	v_mov_b32_e32 v40, s36
	s_mul_i32 s14, s15, s14
	v_ashrrev_i32_e32 v11, 31, v10
	s_xor_b64 exec, exec, s[34:35]
	s_cbranch_execz .LBB167_13
; %bb.8:
	s_load_dwordx2 s[2:3], s[4:5], 0x20
	s_ashr_i32 s15, s14, 31
	s_lshl_b64 s[4:5], s[14:15], 1
	v_bfe_u32 v40, v0, 2, 4
	v_lshlrev_b32_e32 v1, 4, v40
	s_waitcnt lgkmcnt(0)
	s_add_u32 s2, s2, s4
	s_addc_u32 s3, s3, s5
	v_mov_b32_e32 v5, s3
	v_add_co_u32_e32 v1, vcc, s2, v1
	v_lshlrev_b32_e32 v6, 2, v0
	v_addc_co_u32_e32 v5, vcc, 0, v5, vcc
	v_and_b32_e32 v6, 12, v6
	v_mul_u32_u24_e32 v26, 60, v2
	v_add_co_u32_e32 v1, vcc, v1, v6
	ds_read2_b32 v[12:13], v26 offset1:1
	v_addc_co_u32_e32 v7, vcc, 0, v5, vcc
	ds_read2_b32 v[16:17], v26 offset0:2 offset1:3
	ds_read2_b32 v[20:21], v26 offset0:4 offset1:5
	;; [unrolled: 1-line block ×6, first 2 shown]
	ds_read_b32 v5, v26 offset:56
	s_sub_i32 s15, 1, s25
	s_lshl_b64 s[4:5], s[28:29], 2
	s_add_u32 s4, s26, s4
	s_addc_u32 s5, s27, s5
	s_waitcnt lgkmcnt(0)
	v_lshlrev_b32_e32 v38, 16, v5
	v_and_b32_e32 v39, 0xffff0000, v5
	v_mbcnt_hi_u32_b32 v5, -1, v3
	v_and_b32_e32 v3, 64, v5
	v_add_u32_e32 v6, 64, v3
	v_xor_b32_e32 v3, 2, v5
	v_cmp_lt_i32_e32 vcc, v3, v6
	v_cndmask_b32_e32 v3, v5, v3, vcc
	v_lshlrev_b32_e32 v41, 2, v3
	v_xor_b32_e32 v3, 1, v5
	v_cmp_lt_i32_e32 vcc, v3, v6
	v_cndmask_b32_e32 v3, v5, v3, vcc
	v_cmp_eq_u32_e32 vcc, 0, v2
	v_lshlrev_b32_e32 v2, 4, v4
	v_add3_u32 v43, s40, v2, v40
	v_lshlrev_b32_e32 v2, 2, v40
	v_lshl_or_b32 v2, v4, 6, v2
	v_lshlrev_b32_e32 v42, 2, v3
	v_add_u32_e32 v44, 0x100, v2
	v_lshlrev_b64 v[2:3], 2, v[10:11]
	v_mov_b32_e32 v40, s5
	v_add_co_u32_e64 v2, s[4:5], s4, v2
	s_mov_b32 s41, s13
	v_lshlrev_b32_e32 v8, 16, v12
	v_and_b32_e32 v9, 0xffff0000, v12
	v_lshlrev_b32_e32 v12, 16, v13
	v_and_b32_e32 v13, 0xffff0000, v13
	;; [unrolled: 2-line block ×14, first 2 shown]
	v_cmp_neq_f32_e64 s[2:3], s10, 0
	v_addc_co_u32_e64 v3, s[4:5], v40, v3, s[4:5]
	s_mov_b64 s[36:37], 0
	v_mov_b32_e32 v40, 0xff7fffff
	v_mov_b32_e32 v45, v10
	s_branch .LBB167_10
.LBB167_9:                              ;   in Loop: Header=BB167_10 Depth=1
	s_or_b64 exec, exec, s[38:39]
	v_add_u32_e32 v45, 2, v45
	v_cmp_le_i32_e64 s[4:5], s33, v45
	s_or_b64 s[36:37], s[4:5], s[36:37]
	v_add_co_u32_e64 v2, s[4:5], 8, v2
	v_add_u32_e32 v43, 32, v43
	v_add_u32_e32 v44, 0x80, v44
	v_addc_co_u32_e64 v3, s[4:5], 0, v3, s[4:5]
	s_andn2_b64 exec, exec, s[36:37]
	s_cbranch_execz .LBB167_12
.LBB167_10:                             ; =>This Inner Loop Header: Depth=1
	global_load_dword v46, v[2:3], off
	s_waitcnt vmcnt(0) lgkmcnt(0)
	v_mad_i64_i32 v[46:47], s[4:5], v46, s41, 0
	v_lshlrev_b64 v[46:47], 1, v[46:47]
	v_add_co_u32_e64 v46, s[4:5], v1, v46
	v_addc_co_u32_e64 v47, s[4:5], v7, v47, s[4:5]
	global_load_dword v48, v[46:47], off
	global_load_dword v49, v[46:47], off offset:256
	global_load_dword v50, v[46:47], off offset:512
	;; [unrolled: 1-line block ×14, first 2 shown]
	s_waitcnt vmcnt(14)
	v_lshlrev_b32_e32 v46, 16, v48
	v_and_b32_e32 v47, 0xffff0000, v48
	s_waitcnt vmcnt(13)
	v_lshlrev_b32_e32 v48, 16, v49
	v_and_b32_e32 v49, 0xffff0000, v49
	v_mul_f32_e32 v48, v12, v48
	v_mul_f32_e32 v49, v13, v49
	v_fmac_f32_e32 v48, v8, v46
	s_waitcnt vmcnt(12)
	v_lshlrev_b32_e32 v46, 16, v50
	v_and_b32_e32 v50, 0xffff0000, v50
	v_fmac_f32_e32 v49, v9, v47
	s_waitcnt vmcnt(11)
	v_lshlrev_b32_e32 v47, 16, v51
	v_and_b32_e32 v51, 0xffff0000, v51
	v_fmac_f32_e32 v48, v14, v46
	v_fmac_f32_e32 v49, v15, v50
	s_waitcnt vmcnt(10)
	v_lshlrev_b32_e32 v46, 16, v52
	v_and_b32_e32 v52, 0xffff0000, v52
	v_fmac_f32_e32 v48, v16, v47
	;; [unrolled: 5-line block ×12, first 2 shown]
	v_fmac_f32_e32 v49, v37, v61
	v_fmac_f32_e32 v48, v38, v51
	;; [unrolled: 1-line block ×3, first 2 shown]
	v_add_f32_e32 v46, v48, v49
	ds_bpermute_b32 v47, v41, v46
	s_waitcnt lgkmcnt(0)
	v_add_f32_e32 v46, v46, v47
	ds_bpermute_b32 v47, v42, v46
	s_and_saveexec_b64 s[38:39], vcc
	s_cbranch_execz .LBB167_9
; %bb.11:                               ;   in Loop: Header=BB167_10 Depth=1
	v_add_u32_e32 v48, s15, v43
	v_cvt_f32_i32_e32 v48, v48
	s_waitcnt lgkmcnt(0)
	v_add_f32_e32 v46, v46, v47
	v_cmp_gt_i32_e64 s[4:5], s25, v43
	v_max_f32_e32 v47, v40, v40
	v_mul_f32_e32 v48, s10, v48
	v_cndmask_b32_e64 v48, 0, v48, s[2:3]
	v_fmac_f32_e32 v48, s11, v46
	v_cndmask_b32_e64 v46, 0, v48, s[4:5]
	ds_write_b32 v44, v46
	v_max_f32_e32 v46, v47, v48
	v_cndmask_b32_e64 v40, v40, v46, s[4:5]
	s_branch .LBB167_9
.LBB167_12:
	s_or_b64 exec, exec, s[36:37]
.LBB167_13:
	s_or_b64 exec, exec, s[34:35]
	v_xor_b32_e32 v1, 32, v5
	v_cmp_lt_i32_e32 vcc, v1, v6
	v_cndmask_b32_e32 v1, v5, v1, vcc
	v_lshlrev_b32_e32 v2, 2, v1
	ds_bpermute_b32 v1, v2, v40
	v_xor_b32_e32 v7, 16, v5
	v_max_f32_e32 v3, v40, v40
	v_cmp_lt_i32_e32 vcc, v7, v6
	v_xor_b32_e32 v8, 8, v5
	s_waitcnt lgkmcnt(0)
	v_max_f32_e32 v1, v1, v1
	v_max_f32_e32 v1, v3, v1
	v_cndmask_b32_e32 v3, v5, v7, vcc
	v_lshlrev_b32_e32 v3, 2, v3
	ds_bpermute_b32 v7, v3, v1
	v_cmp_lt_i32_e32 vcc, v8, v6
	v_lshlrev_b32_e32 v9, 2, v4
	s_waitcnt lgkmcnt(0)
	v_max_f32_e32 v7, v7, v7
	v_max_f32_e32 v1, v1, v7
	v_cndmask_b32_e32 v7, v5, v8, vcc
	v_lshlrev_b32_e32 v13, 2, v7
	ds_bpermute_b32 v7, v13, v1
	v_xor_b32_e32 v8, 4, v5
	v_cmp_lt_i32_e32 vcc, v8, v6
	s_waitcnt lgkmcnt(0)
	v_max_f32_e32 v7, v7, v7
	v_max_f32_e32 v1, v1, v7
	v_cndmask_b32_e32 v7, v5, v8, vcc
	v_lshlrev_b32_e32 v14, 2, v7
	ds_bpermute_b32 v8, v14, v1
	v_and_b32_e32 v7, 63, v0
	v_cmp_eq_u32_e32 vcc, 0, v7
	s_and_saveexec_b64 s[2:3], vcc
	s_cbranch_execz .LBB167_15
; %bb.14:
	s_waitcnt lgkmcnt(0)
	v_max_f32_e32 v8, v8, v8
	v_max_f32_e32 v1, v1, v1
	;; [unrolled: 1-line block ×3, first 2 shown]
	ds_write_b32 v9, v1 offset:240
.LBB167_15:
	s_or_b64 exec, exec, s[2:3]
	v_cmp_gt_u32_e64 s[2:3], 2, v7
	s_waitcnt lgkmcnt(0)
	v_mov_b32_e32 v8, 0xff7fffff
	v_lshlrev_b32_e32 v12, 2, v7
	s_barrier
	s_and_saveexec_b64 s[4:5], s[2:3]
	s_cbranch_execz .LBB167_17
; %bb.16:
	ds_read_b32 v8, v12 offset:240
.LBB167_17:
	s_or_b64 exec, exec, s[4:5]
	v_xor_b32_e32 v1, 1, v5
	v_cmp_lt_i32_e64 s[4:5], v1, v6
	v_cndmask_b32_e64 v1, v5, v1, s[4:5]
	v_lshlrev_b32_e32 v1, 2, v1
	s_waitcnt lgkmcnt(0)
	ds_bpermute_b32 v15, v1, v8
	v_max_f32_e32 v8, v8, v8
	s_sub_i32 s4, s33, s7
	s_lshl_b32 s4, s4, 4
	s_add_i32 s4, s4, s40
	s_waitcnt lgkmcnt(0)
	v_max_f32_e32 v15, v15, v15
	v_max_f32_e32 v8, v8, v15
	v_lshlrev_b32_e32 v15, 2, v5
	v_and_b32_e32 v15, 0xffffff00, v15
	ds_bpermute_b32 v8, v15, v8
	s_min_i32 s15, s4, s25
	s_sub_i32 s7, s15, s40
	v_cmp_gt_i32_e64 s[4:5], s7, v0
	v_mov_b32_e32 v16, 0
	s_and_saveexec_b64 s[34:35], s[4:5]
	s_cbranch_execz .LBB167_21
; %bb.18:
	v_mov_b32_e32 v16, 0x100
	v_lshl_add_u32 v17, v0, 2, v16
	s_mov_b64 s[36:37], 0
	v_mov_b32_e32 v16, 0
	v_mov_b32_e32 v18, v0
.LBB167_19:                             ; =>This Inner Loop Header: Depth=1
	ds_read_b32 v19, v17
	v_add_u32_e32 v18, 0x80, v18
	v_cmp_le_i32_e64 s[10:11], s7, v18
	s_or_b64 s[36:37], s[10:11], s[36:37]
	s_waitcnt lgkmcnt(0)
	v_sub_f32_e32 v19, v19, v8
	v_mul_f32_e32 v19, 0x3fb8aa3b, v19
	v_exp_f32_e32 v19, v19
	ds_write_b32 v17, v19
	v_add_f32_e32 v16, v16, v19
	v_add_u32_e32 v17, 0x200, v17
	s_andn2_b64 exec, exec, s[36:37]
	s_cbranch_execnz .LBB167_19
; %bb.20:
	s_or_b64 exec, exec, s[36:37]
.LBB167_21:
	s_or_b64 exec, exec, s[34:35]
	ds_bpermute_b32 v2, v2, v16
	s_waitcnt lgkmcnt(0)
	v_add_f32_e32 v2, v16, v2
	ds_bpermute_b32 v3, v3, v2
	s_waitcnt lgkmcnt(0)
	v_add_f32_e32 v2, v2, v3
	ds_bpermute_b32 v3, v13, v2
	v_xor_b32_e32 v13, 2, v5
	v_cmp_lt_i32_e64 s[10:11], v13, v6
	v_cndmask_b32_e64 v5, v5, v13, s[10:11]
	s_waitcnt lgkmcnt(0)
	v_add_f32_e32 v2, v2, v3
	ds_bpermute_b32 v3, v14, v2
	s_waitcnt lgkmcnt(0)
	v_add_f32_e32 v2, v2, v3
	v_lshlrev_b32_e32 v3, 2, v5
	ds_bpermute_b32 v3, v3, v2
	s_waitcnt lgkmcnt(0)
	v_add_f32_e32 v2, v2, v3
	ds_bpermute_b32 v3, v1, v2
	s_waitcnt lgkmcnt(0)
	v_add_f32_e32 v2, v2, v3
	s_and_saveexec_b64 s[10:11], vcc
	s_cbranch_execz .LBB167_23
; %bb.22:
	ds_write_b32 v9, v2 offset:248
.LBB167_23:
	s_or_b64 exec, exec, s[10:11]
	s_waitcnt lgkmcnt(0)
	s_barrier
	s_and_saveexec_b64 s[10:11], s[2:3]
	s_cbranch_execz .LBB167_25
; %bb.24:
	ds_read_b32 v2, v12 offset:248
.LBB167_25:
	s_or_b64 exec, exec, s[10:11]
	s_waitcnt lgkmcnt(0)
	ds_bpermute_b32 v3, v1, v2
	s_waitcnt lgkmcnt(0)
	v_add_f32_e32 v2, v2, v3
	ds_bpermute_b32 v5, v15, v2
	s_and_saveexec_b64 s[2:3], s[4:5]
	s_cbranch_execz .LBB167_38
; %bb.26:
	s_waitcnt lgkmcnt(0)
	v_add_f32_e32 v2, 0x358637bd, v5
	v_div_scale_f32 v3, s[4:5], v2, v2, 1.0
	v_rcp_f32_e32 v6, v3
	v_div_scale_f32 v9, vcc, 1.0, v2, 1.0
	s_movk_i32 s4, 0x7f
	v_fma_f32 v12, -v3, v6, 1.0
	v_fmac_f32_e32 v6, v12, v6
	v_mul_f32_e32 v12, v9, v6
	v_fma_f32 v13, -v3, v12, v9
	v_fmac_f32_e32 v12, v13, v6
	v_fma_f32 v3, -v3, v12, v9
	v_div_fmas_f32 v3, v3, v6, v12
	v_div_fixup_f32 v2, v3, v2, 1.0
	v_xad_u32 v3, v0, -1, s15
	v_subrev_u32_e32 v6, s40, v3
	v_cmp_lt_u32_e32 vcc, s4, v6
	s_mov_b64 s[10:11], -1
	v_mov_b32_e32 v3, v0
	s_and_saveexec_b64 s[4:5], vcc
	s_cbranch_execz .LBB167_35
; %bb.27:
	v_lshrrev_b32_e32 v6, 7, v6
	v_add_u32_e32 v12, -1, v6
	v_lshrrev_b32_e32 v9, 1, v12
	v_mov_b32_e32 v3, v2
	v_add_u32_e32 v9, 1, v9
	v_cmp_lt_u32_e32 vcc, 13, v12
	v_mov_b32_e32 v14, 0
	s_and_saveexec_b64 s[10:11], vcc
	s_cbranch_execz .LBB167_31
; %bb.28:
	v_mov_b32_e32 v13, 0x100
	v_and_b32_e32 v12, -8, v9
	v_lshl_add_u32 v13, v0, 2, v13
	s_mov_b32 s15, 0
	s_mov_b64 s[34:35], 0
.LBB167_29:                             ; =>This Inner Loop Header: Depth=1
	ds_read2st64_b32 v[14:15], v13 offset1:2
	ds_read2st64_b32 v[16:17], v13 offset0:4 offset1:6
	ds_read2st64_b32 v[18:19], v13 offset0:8 offset1:10
	;; [unrolled: 1-line block ×3, first 2 shown]
	v_add_u32_e32 v12, -8, v12
	s_waitcnt lgkmcnt(3)
	v_pk_mul_f32 v[14:15], v[2:3], v[14:15]
	s_waitcnt lgkmcnt(2)
	v_pk_mul_f32 v[16:17], v[2:3], v[16:17]
	ds_write2st64_b32 v13, v14, v15 offset1:2
	ds_write2st64_b32 v13, v16, v17 offset0:4 offset1:6
	ds_read2st64_b32 v[16:17], v13 offset0:16 offset1:18
	s_waitcnt lgkmcnt(4)
	v_pk_mul_f32 v[14:15], v[2:3], v[18:19]
	ds_write2st64_b32 v13, v14, v15 offset0:8 offset1:10
	s_waitcnt lgkmcnt(4)
	v_pk_mul_f32 v[14:15], v[2:3], v[20:21]
	ds_write2st64_b32 v13, v14, v15 offset0:12 offset1:14
	ds_read2st64_b32 v[14:15], v13 offset0:20 offset1:22
	s_waitcnt lgkmcnt(3)
	v_pk_mul_f32 v[16:17], v[2:3], v[16:17]
	ds_read2st64_b32 v[18:19], v13 offset0:24 offset1:26
	ds_write2st64_b32 v13, v16, v17 offset0:16 offset1:18
	ds_read2st64_b32 v[16:17], v13 offset0:28 offset1:30
	s_waitcnt lgkmcnt(3)
	v_pk_mul_f32 v[14:15], v[2:3], v[14:15]
	ds_write2st64_b32 v13, v14, v15 offset0:20 offset1:22
	s_waitcnt lgkmcnt(3)
	v_pk_mul_f32 v[14:15], v[2:3], v[18:19]
	ds_write2st64_b32 v13, v14, v15 offset0:24 offset1:26
	s_waitcnt lgkmcnt(2)
	v_pk_mul_f32 v[14:15], v[2:3], v[16:17]
	s_add_i32 s15, s15, 16
	v_cmp_eq_u32_e32 vcc, 0, v12
	ds_write2st64_b32 v13, v14, v15 offset0:28 offset1:30
	v_add_u32_e32 v13, 0x2000, v13
	s_or_b64 s[34:35], vcc, s[34:35]
	v_mov_b32_e32 v14, s15
	s_andn2_b64 exec, exec, s[34:35]
	s_cbranch_execnz .LBB167_29
; %bb.30:
	s_or_b64 exec, exec, s[34:35]
.LBB167_31:
	s_or_b64 exec, exec, s[10:11]
	v_and_b32_e32 v9, 7, v9
	v_cmp_ne_u32_e32 vcc, 0, v9
	s_and_saveexec_b64 s[10:11], vcc
	s_cbranch_execz .LBB167_34
; %bb.32:
	v_lshlrev_b32_e32 v12, 9, v14
	v_lshlrev_b32_e32 v13, 2, v0
	s_movk_i32 s15, 0x100
	v_add3_u32 v12, v12, v13, s15
	s_mov_b64 s[34:35], 0
.LBB167_33:                             ; =>This Inner Loop Header: Depth=1
	ds_read2st64_b32 v[14:15], v12 offset1:2
	v_add_u32_e32 v9, -1, v9
	v_cmp_eq_u32_e32 vcc, 0, v9
	s_or_b64 s[34:35], vcc, s[34:35]
	s_waitcnt lgkmcnt(0)
	v_pk_mul_f32 v[14:15], v[2:3], v[14:15]
	ds_write2st64_b32 v12, v14, v15 offset1:2
	v_add_u32_e32 v12, 0x400, v12
	s_andn2_b64 exec, exec, s[34:35]
	s_cbranch_execnz .LBB167_33
.LBB167_34:
	s_or_b64 exec, exec, s[10:11]
	v_add_u32_e32 v6, 1, v6
	v_and_b32_e32 v9, 0x3fffffe, v6
	v_cmp_ne_u32_e32 vcc, v6, v9
	v_lshl_add_u32 v3, v9, 7, v0
	s_orn2_b64 s[10:11], vcc, exec
.LBB167_35:
	s_or_b64 exec, exec, s[4:5]
	s_and_b64 exec, exec, s[10:11]
	s_cbranch_execz .LBB167_38
; %bb.36:
	v_mov_b32_e32 v6, 0x100
	v_lshl_add_u32 v6, v3, 2, v6
	s_mov_b64 s[4:5], 0
.LBB167_37:                             ; =>This Inner Loop Header: Depth=1
	ds_read_b32 v9, v6
	v_add_u32_e32 v3, 0x80, v3
	v_cmp_le_i32_e32 vcc, s7, v3
	s_or_b64 s[4:5], vcc, s[4:5]
	s_waitcnt lgkmcnt(0)
	v_mul_f32_e32 v9, v2, v9
	ds_write_b32 v6, v9
	v_add_u32_e32 v6, 0x200, v6
	s_andn2_b64 exec, exec, s[4:5]
	s_cbranch_execnz .LBB167_37
.LBB167_38:
	s_or_b64 exec, exec, s[2:3]
	s_mul_i32 s2, s21, s24
	v_cmp_eq_u32_e32 vcc, 0, v0
	s_mul_i32 s4, s2, s9
	s_waitcnt lgkmcnt(0)
	s_barrier
	s_and_saveexec_b64 s[2:3], vcc
	s_cbranch_execz .LBB167_40
; %bb.39:
	s_ashr_i32 s5, s4, 31
	s_lshl_b64 s[10:11], s[4:5], 2
	s_add_u32 s5, s18, s10
	s_mul_i32 s6, s21, s6
	s_addc_u32 s9, s19, s11
	s_ashr_i32 s7, s6, 31
	s_lshl_b64 s[6:7], s[6:7], 2
	s_add_u32 s5, s5, s6
	s_addc_u32 s15, s9, s7
	s_ashr_i32 s9, s8, 31
	s_lshl_b64 s[18:19], s[8:9], 2
	s_add_u32 s34, s5, s18
	s_addc_u32 s35, s15, s19
	s_add_u32 s5, s16, s10
	s_addc_u32 s9, s17, s11
	;; [unrolled: 2-line block ×3, first 2 shown]
	s_add_u32 s6, s5, s18
	v_mov_b32_e32 v2, 0
	s_addc_u32 s7, s7, s19
	global_store_dword v2, v8, s[34:35]
	global_store_dword v2, v5, s[6:7]
.LBB167_40:
	s_or_b64 exec, exec, s[2:3]
	v_mov_b32_e32 v13, 0
	v_lshrrev_b32_e32 v19, 1, v7
	v_and_b32_e32 v18, 1, v0
	v_mov_b32_e32 v12, 0
	v_mov_b32_e32 v15, 0
	;; [unrolled: 1-line block ×3, first 2 shown]
	s_and_saveexec_b64 s[6:7], s[0:1]
	s_cbranch_execz .LBB167_214
; %bb.41:
	s_ashr_i32 s15, s14, 31
	v_lshlrev_b32_e32 v2, 3, v0
	s_lshl_b64 s[0:1], s[14:15], 1
	v_and_b32_e32 v3, 8, v2
	s_add_u32 s9, s30, s0
	v_or_b32_e32 v5, 0x60, v19
	s_movk_i32 s0, 0x78
	s_addc_u32 s14, s31, s1
	s_add_i32 s15, s12, -1
	v_cmp_gt_u32_e32 vcc, s0, v5
	v_lshl_or_b32 v6, v5, 4, v3
	v_lshl_add_u32 v5, v4, 4, s40
	s_lshl_b64 s[0:1], s[28:29], 2
	v_lshl_or_b32 v2, v19, 4, v3
	v_add3_u32 v21, v5, v3, 7
	v_lshlrev_b32_e32 v3, 5, v18
	s_add_u32 s0, s26, s0
	v_lshl_or_b32 v3, v4, 6, v3
	v_lshlrev_b64 v[4:5], 2, v[10:11]
	s_addc_u32 s1, s27, s1
	v_add_u32_e32 v22, 0x100, v3
	v_mov_b32_e32 v3, s1
	v_add_co_u32_e64 v16, s[0:1], s0, v4
	s_mov_b32 s5, s13
	v_mov_b32_e32 v20, 0
	v_addc_co_u32_e64 v17, s[0:1], v3, v5, s[0:1]
	s_mov_b64 s[10:11], 0
	s_mov_b32 s16, 0x7f800000
	s_movk_i32 s17, 0x7fff
	v_lshlrev_b32_e32 v11, 1, v2
	v_lshlrev_b32_e32 v23, 1, v6
	v_mov_b32_e32 v14, 0
	v_mov_b32_e32 v15, 0
	;; [unrolled: 1-line block ×4, first 2 shown]
	s_branch .LBB167_44
.LBB167_42:                             ;   in Loop: Header=BB167_44 Depth=1
	s_or_b64 exec, exec, s[2:3]
	v_and_b32_e32 v31, 0xffff0000, v33
	v_and_b32_e32 v30, 0xffff0000, v30
	;; [unrolled: 1-line block ×8, first 2 shown]
	v_pk_add_f32 v[2:3], v[2:3], v[30:31]
	v_pk_add_f32 v[4:5], v[4:5], v[34:35]
	v_add_f32_e32 v2, v2, v3
	v_add_f32_e32 v2, v2, v4
	;; [unrolled: 1-line block ×4, first 2 shown]
.LBB167_43:                             ;   in Loop: Header=BB167_44 Depth=1
	s_or_b64 exec, exec, s[12:13]
	v_and_b32_e32 v2, 0xffff0000, v27
	v_and_b32_e32 v4, 0xffff0000, v26
	;; [unrolled: 1-line block ×8, first 2 shown]
	v_pk_add_f32 v[8:9], v[8:9], v[26:27]
	v_pk_add_f32 v[2:3], v[4:5], v[2:3]
	v_add_f32_e32 v4, v8, v9
	v_add_f32_e32 v2, v4, v2
	;; [unrolled: 1-line block ×3, first 2 shown]
	v_and_b32_e32 v9, 0xffff0000, v44
	v_and_b32_e32 v8, 0xffff0000, v42
	;; [unrolled: 1-line block ×4, first 2 shown]
	v_add_f32_e32 v14, v14, v2
	v_and_b32_e32 v3, 0xffff0000, v48
	v_and_b32_e32 v2, 0xffff0000, v46
	;; [unrolled: 1-line block ×4, first 2 shown]
	v_pk_add_f32 v[8:9], v[24:25], v[8:9]
	v_pk_add_f32 v[2:3], v[4:5], v[2:3]
	v_add_f32_e32 v4, v8, v9
	v_add_f32_e32 v2, v4, v2
	;; [unrolled: 1-line block ×3, first 2 shown]
	v_and_b32_e32 v9, 0xffff0000, v50
	v_and_b32_e32 v8, 0xffff0000, v7
	;; [unrolled: 1-line block ×4, first 2 shown]
	v_add_f32_e32 v15, v15, v2
	v_and_b32_e32 v3, 0xffff0000, v54
	v_and_b32_e32 v2, 0xffff0000, v52
	;; [unrolled: 1-line block ×4, first 2 shown]
	v_pk_add_f32 v[6:7], v[6:7], v[8:9]
	v_pk_add_f32 v[2:3], v[4:5], v[2:3]
	v_add_f32_e32 v4, v6, v7
	v_add_u32_e32 v10, 2, v10
	v_add_f32_e32 v2, v4, v2
	v_cmp_le_i32_e64 s[0:1], s33, v10
	v_add_f32_e32 v2, v2, v3
	s_or_b64 s[10:11], s[0:1], s[10:11]
	v_add_co_u32_e64 v16, s[0:1], 8, v16
	v_add_f32_e32 v12, v12, v2
	v_add_u32_e32 v21, 32, v21
	v_add_u32_e32 v22, 0x80, v22
	v_addc_co_u32_e64 v17, s[0:1], 0, v17, s[0:1]
	s_andn2_b64 exec, exec, s[10:11]
	s_cbranch_execz .LBB167_213
.LBB167_44:                             ; =>This Inner Loop Header: Depth=1
	global_load_dword v30, v[16:17], off
	ds_read2_b64 v[6:9], v22 offset1:1
	ds_read2_b64 v[2:5], v22 offset0:2 offset1:3
                                        ; implicit-def: $vgpr33
	s_waitcnt lgkmcnt(1)
	v_and_b32_e32 v24, 0x7f800000, v6
	v_cmp_ne_u32_e64 s[0:1], s16, v24
	s_and_saveexec_b64 s[2:3], s[0:1]
	s_xor_b64 s[0:1], exec, s[2:3]
; %bb.45:                               ;   in Loop: Header=BB167_44 Depth=1
	v_bfe_u32 v24, v6, 16, 1
	v_add3_u32 v33, v6, v24, s17
; %bb.46:                               ;   in Loop: Header=BB167_44 Depth=1
	s_andn2_saveexec_b64 s[2:3], s[0:1]
; %bb.47:                               ;   in Loop: Header=BB167_44 Depth=1
	v_or_b32_e32 v24, 0x10000, v6
	v_cmp_eq_u32_sdwa s[0:1], v6, v20 src0_sel:WORD_0 src1_sel:DWORD
	v_cndmask_b32_e64 v33, v24, v6, s[0:1]
; %bb.48:                               ;   in Loop: Header=BB167_44 Depth=1
	s_or_b64 exec, exec, s[2:3]
	v_and_b32_e32 v6, 0x7f800000, v7
	v_cmp_ne_u32_e64 s[0:1], s16, v6
                                        ; implicit-def: $vgpr34
	s_and_saveexec_b64 s[2:3], s[0:1]
	s_xor_b64 s[0:1], exec, s[2:3]
; %bb.49:                               ;   in Loop: Header=BB167_44 Depth=1
	v_bfe_u32 v6, v7, 16, 1
	v_add3_u32 v34, v7, v6, s17
; %bb.50:                               ;   in Loop: Header=BB167_44 Depth=1
	s_andn2_saveexec_b64 s[2:3], s[0:1]
; %bb.51:                               ;   in Loop: Header=BB167_44 Depth=1
	v_or_b32_e32 v6, 0x10000, v7
	v_cmp_eq_u32_sdwa s[0:1], v7, v20 src0_sel:WORD_0 src1_sel:DWORD
	v_cndmask_b32_e64 v34, v6, v7, s[0:1]
; %bb.52:                               ;   in Loop: Header=BB167_44 Depth=1
	s_or_b64 exec, exec, s[2:3]
	v_and_b32_e32 v6, 0x7f800000, v8
	v_cmp_ne_u32_e64 s[0:1], s16, v6
                                        ; implicit-def: $vgpr24
	s_and_saveexec_b64 s[2:3], s[0:1]
	s_xor_b64 s[0:1], exec, s[2:3]
; %bb.53:                               ;   in Loop: Header=BB167_44 Depth=1
	v_bfe_u32 v6, v8, 16, 1
	v_add3_u32 v24, v8, v6, s17
; %bb.54:                               ;   in Loop: Header=BB167_44 Depth=1
	s_andn2_saveexec_b64 s[2:3], s[0:1]
; %bb.55:                               ;   in Loop: Header=BB167_44 Depth=1
	v_or_b32_e32 v6, 0x10000, v8
	v_cmp_eq_u32_sdwa s[0:1], v8, v20 src0_sel:WORD_0 src1_sel:DWORD
	v_cndmask_b32_e64 v24, v6, v8, s[0:1]
; %bb.56:                               ;   in Loop: Header=BB167_44 Depth=1
	s_or_b64 exec, exec, s[2:3]
	v_and_b32_e32 v6, 0x7f800000, v9
	v_cmp_ne_u32_e64 s[0:1], s16, v6
                                        ; implicit-def: $vgpr25
	s_and_saveexec_b64 s[2:3], s[0:1]
	s_xor_b64 s[0:1], exec, s[2:3]
; %bb.57:                               ;   in Loop: Header=BB167_44 Depth=1
	v_bfe_u32 v6, v9, 16, 1
	v_add3_u32 v25, v9, v6, s17
                                        ; implicit-def: $vgpr6_vgpr7_vgpr8_vgpr9
; %bb.58:                               ;   in Loop: Header=BB167_44 Depth=1
	s_andn2_saveexec_b64 s[2:3], s[0:1]
; %bb.59:                               ;   in Loop: Header=BB167_44 Depth=1
	v_or_b32_e32 v6, 0x10000, v9
	v_cmp_eq_u32_sdwa s[0:1], v9, v20 src0_sel:WORD_0 src1_sel:DWORD
	v_cndmask_b32_e64 v25, v6, v9, s[0:1]
; %bb.60:                               ;   in Loop: Header=BB167_44 Depth=1
	s_or_b64 exec, exec, s[2:3]
	s_waitcnt lgkmcnt(0)
	v_and_b32_e32 v6, 0x7f800000, v2
	v_cmp_ne_u32_e64 s[0:1], s16, v6
                                        ; implicit-def: $vgpr26
	s_and_saveexec_b64 s[2:3], s[0:1]
	s_xor_b64 s[0:1], exec, s[2:3]
; %bb.61:                               ;   in Loop: Header=BB167_44 Depth=1
	v_bfe_u32 v6, v2, 16, 1
	v_add3_u32 v26, v2, v6, s17
; %bb.62:                               ;   in Loop: Header=BB167_44 Depth=1
	s_andn2_saveexec_b64 s[2:3], s[0:1]
; %bb.63:                               ;   in Loop: Header=BB167_44 Depth=1
	v_or_b32_e32 v6, 0x10000, v2
	v_cmp_eq_u32_sdwa s[0:1], v2, v20 src0_sel:WORD_0 src1_sel:DWORD
	v_cndmask_b32_e64 v26, v6, v2, s[0:1]
; %bb.64:                               ;   in Loop: Header=BB167_44 Depth=1
	s_or_b64 exec, exec, s[2:3]
	v_and_b32_e32 v2, 0x7f800000, v3
	v_cmp_ne_u32_e64 s[0:1], s16, v2
                                        ; implicit-def: $vgpr27
	s_and_saveexec_b64 s[2:3], s[0:1]
	s_xor_b64 s[0:1], exec, s[2:3]
; %bb.65:                               ;   in Loop: Header=BB167_44 Depth=1
	v_bfe_u32 v2, v3, 16, 1
	v_add3_u32 v27, v3, v2, s17
; %bb.66:                               ;   in Loop: Header=BB167_44 Depth=1
	s_andn2_saveexec_b64 s[2:3], s[0:1]
; %bb.67:                               ;   in Loop: Header=BB167_44 Depth=1
	v_or_b32_e32 v2, 0x10000, v3
	v_cmp_eq_u32_sdwa s[0:1], v3, v20 src0_sel:WORD_0 src1_sel:DWORD
	v_cndmask_b32_e64 v27, v2, v3, s[0:1]
; %bb.68:                               ;   in Loop: Header=BB167_44 Depth=1
	s_or_b64 exec, exec, s[2:3]
	v_and_b32_e32 v2, 0x7f800000, v4
	v_cmp_ne_u32_e64 s[0:1], s16, v2
                                        ; implicit-def: $vgpr28
	s_and_saveexec_b64 s[2:3], s[0:1]
	s_xor_b64 s[0:1], exec, s[2:3]
; %bb.69:                               ;   in Loop: Header=BB167_44 Depth=1
	v_bfe_u32 v2, v4, 16, 1
	v_add3_u32 v28, v4, v2, s17
; %bb.70:                               ;   in Loop: Header=BB167_44 Depth=1
	s_andn2_saveexec_b64 s[2:3], s[0:1]
; %bb.71:                               ;   in Loop: Header=BB167_44 Depth=1
	v_or_b32_e32 v2, 0x10000, v4
	v_cmp_eq_u32_sdwa s[0:1], v4, v20 src0_sel:WORD_0 src1_sel:DWORD
	v_cndmask_b32_e64 v28, v2, v4, s[0:1]
; %bb.72:                               ;   in Loop: Header=BB167_44 Depth=1
	s_or_b64 exec, exec, s[2:3]
	v_and_b32_e32 v2, 0x7f800000, v5
	v_cmp_ne_u32_e64 s[0:1], s16, v2
                                        ; implicit-def: $vgpr29
	s_and_saveexec_b64 s[2:3], s[0:1]
	s_xor_b64 s[0:1], exec, s[2:3]
; %bb.73:                               ;   in Loop: Header=BB167_44 Depth=1
	v_bfe_u32 v2, v5, 16, 1
	v_add3_u32 v29, v5, v2, s17
                                        ; implicit-def: $vgpr2_vgpr3_vgpr4_vgpr5
; %bb.74:                               ;   in Loop: Header=BB167_44 Depth=1
	s_andn2_saveexec_b64 s[2:3], s[0:1]
; %bb.75:                               ;   in Loop: Header=BB167_44 Depth=1
	v_or_b32_e32 v2, 0x10000, v5
	v_cmp_eq_u32_sdwa s[0:1], v5, v20 src0_sel:WORD_0 src1_sel:DWORD
	v_cndmask_b32_e64 v29, v2, v5, s[0:1]
; %bb.76:                               ;   in Loop: Header=BB167_44 Depth=1
	s_or_b64 exec, exec, s[2:3]
	s_waitcnt vmcnt(0)
	v_mad_i64_i32 v[2:3], s[0:1], v30, s5, 0
	v_lshlrev_b64 v[2:3], 1, v[2:3]
	v_mov_b32_e32 v4, s14
	v_add_co_u32_e64 v31, s[0:1], s9, v2
	v_addc_co_u32_e64 v32, s[0:1], v4, v3, s[0:1]
	v_add_co_u32_e64 v6, s[0:1], v31, v11
	v_addc_co_u32_e64 v7, s[0:1], 0, v32, s[0:1]
	global_load_dwordx4 v[2:5], v[6:7], off
	v_add_u32_e32 v30, -7, v21
	v_cmp_eq_u32_e64 s[0:1], s15, v10
	s_waitcnt vmcnt(0)
	v_lshrrev_b32_e32 v9, 16, v2
	v_lshrrev_b32_e32 v37, 16, v3
	;; [unrolled: 1-line block ×4, first 2 shown]
	s_and_saveexec_b64 s[12:13], s[0:1]
	s_cbranch_execz .LBB167_78
; %bb.77:                               ;   in Loop: Header=BB167_44 Depth=1
	v_cmp_gt_i32_e64 s[2:3], s25, v30
	v_add_u32_e32 v8, -6, v21
	v_cndmask_b32_e64 v2, 0, v2, s[2:3]
	v_cmp_gt_i32_e64 s[2:3], s25, v8
	v_add_u32_e32 v8, -5, v21
	v_cndmask_b32_e64 v9, 0, v9, s[2:3]
	;; [unrolled: 3-line block ×6, first 2 shown]
	v_cmp_gt_i32_e64 s[2:3], s25, v8
	v_cndmask_b32_e64 v5, 0, v5, s[2:3]
	v_cmp_gt_i32_e64 s[2:3], s25, v21
	v_cndmask_b32_e64 v41, 0, v41, s[2:3]
.LBB167_78:                             ;   in Loop: Header=BB167_44 Depth=1
	s_or_b64 exec, exec, s[12:13]
	v_and_b32_e32 v33, 0xffff0000, v33
	v_lshlrev_b32_e32 v2, 16, v2
	v_mul_f32_e32 v2, v33, v2
	v_and_b32_e32 v8, 0x7f800000, v2
	v_cmp_ne_u32_e64 s[2:3], s16, v8
                                        ; implicit-def: $vgpr8
	s_and_saveexec_b64 s[12:13], s[2:3]
	s_xor_b64 s[2:3], exec, s[12:13]
; %bb.79:                               ;   in Loop: Header=BB167_44 Depth=1
	v_bfe_u32 v8, v2, 16, 1
	v_add3_u32 v8, v2, v8, s17
                                        ; implicit-def: $vgpr2
; %bb.80:                               ;   in Loop: Header=BB167_44 Depth=1
	s_andn2_saveexec_b64 s[12:13], s[2:3]
; %bb.81:                               ;   in Loop: Header=BB167_44 Depth=1
	v_or_b32_e32 v8, 0x10000, v2
	v_cmp_eq_u32_sdwa s[2:3], v2, v20 src0_sel:WORD_0 src1_sel:DWORD
	v_cndmask_b32_e64 v8, v8, v2, s[2:3]
; %bb.82:                               ;   in Loop: Header=BB167_44 Depth=1
	s_or_b64 exec, exec, s[12:13]
	v_and_b32_e32 v34, 0xffff0000, v34
	v_lshlrev_b32_e32 v2, 16, v9
	v_mul_f32_e32 v2, v34, v2
	v_and_b32_e32 v9, 0x7f800000, v2
	v_cmp_ne_u32_e64 s[2:3], s16, v9
                                        ; implicit-def: $vgpr9
	s_and_saveexec_b64 s[12:13], s[2:3]
	s_xor_b64 s[2:3], exec, s[12:13]
; %bb.83:                               ;   in Loop: Header=BB167_44 Depth=1
	v_bfe_u32 v9, v2, 16, 1
	v_add3_u32 v9, v2, v9, s17
                                        ; implicit-def: $vgpr2
; %bb.84:                               ;   in Loop: Header=BB167_44 Depth=1
	s_andn2_saveexec_b64 s[12:13], s[2:3]
; %bb.85:                               ;   in Loop: Header=BB167_44 Depth=1
	v_or_b32_e32 v9, 0x10000, v2
	v_cmp_eq_u32_sdwa s[2:3], v2, v20 src0_sel:WORD_0 src1_sel:DWORD
	v_cndmask_b32_e64 v9, v9, v2, s[2:3]
; %bb.86:                               ;   in Loop: Header=BB167_44 Depth=1
	s_or_b64 exec, exec, s[12:13]
	v_and_b32_e32 v35, 0xffff0000, v24
	v_lshlrev_b32_e32 v2, 16, v3
	v_mul_f32_e32 v2, v35, v2
	v_and_b32_e32 v3, 0x7f800000, v2
	v_cmp_ne_u32_e64 s[2:3], s16, v3
                                        ; implicit-def: $vgpr24
	s_and_saveexec_b64 s[12:13], s[2:3]
	s_xor_b64 s[2:3], exec, s[12:13]
; %bb.87:                               ;   in Loop: Header=BB167_44 Depth=1
	v_bfe_u32 v3, v2, 16, 1
	v_add3_u32 v24, v2, v3, s17
                                        ; implicit-def: $vgpr2
; %bb.88:                               ;   in Loop: Header=BB167_44 Depth=1
	s_andn2_saveexec_b64 s[12:13], s[2:3]
; %bb.89:                               ;   in Loop: Header=BB167_44 Depth=1
	v_or_b32_e32 v3, 0x10000, v2
	v_cmp_eq_u32_sdwa s[2:3], v2, v20 src0_sel:WORD_0 src1_sel:DWORD
	v_cndmask_b32_e64 v24, v3, v2, s[2:3]
; %bb.90:                               ;   in Loop: Header=BB167_44 Depth=1
	s_or_b64 exec, exec, s[12:13]
	v_and_b32_e32 v36, 0xffff0000, v25
	v_lshlrev_b32_e32 v2, 16, v37
	v_mul_f32_e32 v2, v36, v2
	v_and_b32_e32 v3, 0x7f800000, v2
	v_cmp_ne_u32_e64 s[2:3], s16, v3
                                        ; implicit-def: $vgpr25
	s_and_saveexec_b64 s[12:13], s[2:3]
	s_xor_b64 s[2:3], exec, s[12:13]
; %bb.91:                               ;   in Loop: Header=BB167_44 Depth=1
	v_bfe_u32 v3, v2, 16, 1
	v_add3_u32 v25, v2, v3, s17
                                        ; implicit-def: $vgpr2
; %bb.92:                               ;   in Loop: Header=BB167_44 Depth=1
	s_andn2_saveexec_b64 s[12:13], s[2:3]
; %bb.93:                               ;   in Loop: Header=BB167_44 Depth=1
	v_or_b32_e32 v3, 0x10000, v2
	v_cmp_eq_u32_sdwa s[2:3], v2, v20 src0_sel:WORD_0 src1_sel:DWORD
	v_cndmask_b32_e64 v25, v3, v2, s[2:3]
; %bb.94:                               ;   in Loop: Header=BB167_44 Depth=1
	s_or_b64 exec, exec, s[12:13]
	v_and_b32_e32 v37, 0xffff0000, v26
	v_lshlrev_b32_e32 v2, 16, v4
	v_mul_f32_e32 v2, v37, v2
	v_and_b32_e32 v3, 0x7f800000, v2
	v_cmp_ne_u32_e64 s[2:3], s16, v3
                                        ; implicit-def: $vgpr26
	s_and_saveexec_b64 s[12:13], s[2:3]
	s_xor_b64 s[2:3], exec, s[12:13]
; %bb.95:                               ;   in Loop: Header=BB167_44 Depth=1
	v_bfe_u32 v3, v2, 16, 1
	v_add3_u32 v26, v2, v3, s17
                                        ; implicit-def: $vgpr2
; %bb.96:                               ;   in Loop: Header=BB167_44 Depth=1
	s_andn2_saveexec_b64 s[12:13], s[2:3]
; %bb.97:                               ;   in Loop: Header=BB167_44 Depth=1
	v_or_b32_e32 v3, 0x10000, v2
	v_cmp_eq_u32_sdwa s[2:3], v2, v20 src0_sel:WORD_0 src1_sel:DWORD
	v_cndmask_b32_e64 v26, v3, v2, s[2:3]
; %bb.98:                               ;   in Loop: Header=BB167_44 Depth=1
	s_or_b64 exec, exec, s[12:13]
	v_and_b32_e32 v38, 0xffff0000, v27
	v_lshlrev_b32_e32 v2, 16, v39
	v_mul_f32_e32 v2, v38, v2
	v_and_b32_e32 v3, 0x7f800000, v2
	v_cmp_ne_u32_e64 s[2:3], s16, v3
                                        ; implicit-def: $vgpr27
	s_and_saveexec_b64 s[12:13], s[2:3]
	s_xor_b64 s[2:3], exec, s[12:13]
; %bb.99:                               ;   in Loop: Header=BB167_44 Depth=1
	v_bfe_u32 v3, v2, 16, 1
	v_add3_u32 v27, v2, v3, s17
                                        ; implicit-def: $vgpr2
; %bb.100:                              ;   in Loop: Header=BB167_44 Depth=1
	s_andn2_saveexec_b64 s[12:13], s[2:3]
; %bb.101:                              ;   in Loop: Header=BB167_44 Depth=1
	v_or_b32_e32 v3, 0x10000, v2
	v_cmp_eq_u32_sdwa s[2:3], v2, v20 src0_sel:WORD_0 src1_sel:DWORD
	v_cndmask_b32_e64 v27, v3, v2, s[2:3]
; %bb.102:                              ;   in Loop: Header=BB167_44 Depth=1
	s_or_b64 exec, exec, s[12:13]
	v_and_b32_e32 v39, 0xffff0000, v28
	v_lshlrev_b32_e32 v2, 16, v5
	v_mul_f32_e32 v2, v39, v2
	v_and_b32_e32 v3, 0x7f800000, v2
	v_cmp_ne_u32_e64 s[2:3], s16, v3
                                        ; implicit-def: $vgpr28
	s_and_saveexec_b64 s[12:13], s[2:3]
	s_xor_b64 s[2:3], exec, s[12:13]
; %bb.103:                              ;   in Loop: Header=BB167_44 Depth=1
	v_bfe_u32 v3, v2, 16, 1
	v_add3_u32 v28, v2, v3, s17
                                        ; implicit-def: $vgpr2
; %bb.104:                              ;   in Loop: Header=BB167_44 Depth=1
	s_andn2_saveexec_b64 s[12:13], s[2:3]
; %bb.105:                              ;   in Loop: Header=BB167_44 Depth=1
	v_or_b32_e32 v3, 0x10000, v2
	v_cmp_eq_u32_sdwa s[2:3], v2, v20 src0_sel:WORD_0 src1_sel:DWORD
	v_cndmask_b32_e64 v28, v3, v2, s[2:3]
; %bb.106:                              ;   in Loop: Header=BB167_44 Depth=1
	s_or_b64 exec, exec, s[12:13]
	v_and_b32_e32 v40, 0xffff0000, v29
	v_lshlrev_b32_e32 v2, 16, v41
	v_mul_f32_e32 v2, v40, v2
	v_and_b32_e32 v3, 0x7f800000, v2
	v_cmp_ne_u32_e64 s[2:3], s16, v3
                                        ; implicit-def: $vgpr29
	s_and_saveexec_b64 s[12:13], s[2:3]
	s_xor_b64 s[2:3], exec, s[12:13]
; %bb.107:                              ;   in Loop: Header=BB167_44 Depth=1
	v_bfe_u32 v3, v2, 16, 1
	v_add3_u32 v29, v2, v3, s17
                                        ; implicit-def: $vgpr2
; %bb.108:                              ;   in Loop: Header=BB167_44 Depth=1
	s_andn2_saveexec_b64 s[12:13], s[2:3]
; %bb.109:                              ;   in Loop: Header=BB167_44 Depth=1
	v_or_b32_e32 v3, 0x10000, v2
	v_cmp_eq_u32_sdwa s[2:3], v2, v20 src0_sel:WORD_0 src1_sel:DWORD
	v_cndmask_b32_e64 v29, v3, v2, s[2:3]
; %bb.110:                              ;   in Loop: Header=BB167_44 Depth=1
	s_or_b64 exec, exec, s[12:13]
	global_load_dwordx4 v[2:5], v[6:7], off offset:1024
	s_waitcnt vmcnt(0)
	v_lshrrev_b32_e32 v42, 16, v2
	v_lshrrev_b32_e32 v44, 16, v3
	;; [unrolled: 1-line block ×4, first 2 shown]
	s_and_saveexec_b64 s[12:13], s[0:1]
	s_cbranch_execz .LBB167_112
; %bb.111:                              ;   in Loop: Header=BB167_44 Depth=1
	v_cmp_gt_i32_e64 s[2:3], s25, v30
	v_add_u32_e32 v41, -6, v21
	v_cndmask_b32_e64 v2, 0, v2, s[2:3]
	v_cmp_gt_i32_e64 s[2:3], s25, v41
	v_add_u32_e32 v41, -5, v21
	v_cndmask_b32_e64 v42, 0, v42, s[2:3]
	;; [unrolled: 3-line block ×6, first 2 shown]
	v_cmp_gt_i32_e64 s[2:3], s25, v41
	v_cndmask_b32_e64 v5, 0, v5, s[2:3]
	v_cmp_gt_i32_e64 s[2:3], s25, v21
	v_cndmask_b32_e64 v48, 0, v48, s[2:3]
.LBB167_112:                            ;   in Loop: Header=BB167_44 Depth=1
	s_or_b64 exec, exec, s[12:13]
	v_lshlrev_b32_e32 v2, 16, v2
	v_mul_f32_e32 v2, v33, v2
	v_and_b32_e32 v41, 0x7f800000, v2
	v_cmp_ne_u32_e64 s[2:3], s16, v41
                                        ; implicit-def: $vgpr41
	s_and_saveexec_b64 s[12:13], s[2:3]
	s_xor_b64 s[2:3], exec, s[12:13]
; %bb.113:                              ;   in Loop: Header=BB167_44 Depth=1
	v_bfe_u32 v41, v2, 16, 1
	v_add3_u32 v41, v2, v41, s17
                                        ; implicit-def: $vgpr2
; %bb.114:                              ;   in Loop: Header=BB167_44 Depth=1
	s_andn2_saveexec_b64 s[12:13], s[2:3]
; %bb.115:                              ;   in Loop: Header=BB167_44 Depth=1
	v_or_b32_e32 v41, 0x10000, v2
	v_cmp_eq_u32_sdwa s[2:3], v2, v20 src0_sel:WORD_0 src1_sel:DWORD
	v_cndmask_b32_e64 v41, v41, v2, s[2:3]
; %bb.116:                              ;   in Loop: Header=BB167_44 Depth=1
	s_or_b64 exec, exec, s[12:13]
	v_lshlrev_b32_e32 v2, 16, v42
	v_mul_f32_e32 v2, v34, v2
	v_and_b32_e32 v42, 0x7f800000, v2
	v_cmp_ne_u32_e64 s[2:3], s16, v42
                                        ; implicit-def: $vgpr42
	s_and_saveexec_b64 s[12:13], s[2:3]
	s_xor_b64 s[2:3], exec, s[12:13]
; %bb.117:                              ;   in Loop: Header=BB167_44 Depth=1
	v_bfe_u32 v42, v2, 16, 1
	v_add3_u32 v42, v2, v42, s17
                                        ; implicit-def: $vgpr2
; %bb.118:                              ;   in Loop: Header=BB167_44 Depth=1
	s_andn2_saveexec_b64 s[12:13], s[2:3]
; %bb.119:                              ;   in Loop: Header=BB167_44 Depth=1
	v_or_b32_e32 v42, 0x10000, v2
	v_cmp_eq_u32_sdwa s[2:3], v2, v20 src0_sel:WORD_0 src1_sel:DWORD
	v_cndmask_b32_e64 v42, v42, v2, s[2:3]
; %bb.120:                              ;   in Loop: Header=BB167_44 Depth=1
	s_or_b64 exec, exec, s[12:13]
	v_lshlrev_b32_e32 v2, 16, v3
	v_mul_f32_e32 v2, v35, v2
	v_and_b32_e32 v3, 0x7f800000, v2
	v_cmp_ne_u32_e64 s[2:3], s16, v3
                                        ; implicit-def: $vgpr43
	s_and_saveexec_b64 s[12:13], s[2:3]
	s_xor_b64 s[2:3], exec, s[12:13]
; %bb.121:                              ;   in Loop: Header=BB167_44 Depth=1
	v_bfe_u32 v3, v2, 16, 1
	v_add3_u32 v43, v2, v3, s17
                                        ; implicit-def: $vgpr2
; %bb.122:                              ;   in Loop: Header=BB167_44 Depth=1
	s_andn2_saveexec_b64 s[12:13], s[2:3]
; %bb.123:                              ;   in Loop: Header=BB167_44 Depth=1
	v_or_b32_e32 v3, 0x10000, v2
	v_cmp_eq_u32_sdwa s[2:3], v2, v20 src0_sel:WORD_0 src1_sel:DWORD
	v_cndmask_b32_e64 v43, v3, v2, s[2:3]
; %bb.124:                              ;   in Loop: Header=BB167_44 Depth=1
	s_or_b64 exec, exec, s[12:13]
	v_lshlrev_b32_e32 v2, 16, v44
	v_mul_f32_e32 v2, v36, v2
	v_and_b32_e32 v3, 0x7f800000, v2
	v_cmp_ne_u32_e64 s[2:3], s16, v3
                                        ; implicit-def: $vgpr44
	s_and_saveexec_b64 s[12:13], s[2:3]
	s_xor_b64 s[2:3], exec, s[12:13]
; %bb.125:                              ;   in Loop: Header=BB167_44 Depth=1
	v_bfe_u32 v3, v2, 16, 1
	v_add3_u32 v44, v2, v3, s17
                                        ; implicit-def: $vgpr2
; %bb.126:                              ;   in Loop: Header=BB167_44 Depth=1
	s_andn2_saveexec_b64 s[12:13], s[2:3]
; %bb.127:                              ;   in Loop: Header=BB167_44 Depth=1
	v_or_b32_e32 v3, 0x10000, v2
	v_cmp_eq_u32_sdwa s[2:3], v2, v20 src0_sel:WORD_0 src1_sel:DWORD
	v_cndmask_b32_e64 v44, v3, v2, s[2:3]
; %bb.128:                              ;   in Loop: Header=BB167_44 Depth=1
	s_or_b64 exec, exec, s[12:13]
	v_lshlrev_b32_e32 v2, 16, v4
	v_mul_f32_e32 v2, v37, v2
	v_and_b32_e32 v3, 0x7f800000, v2
	v_cmp_ne_u32_e64 s[2:3], s16, v3
                                        ; implicit-def: $vgpr45
	s_and_saveexec_b64 s[12:13], s[2:3]
	s_xor_b64 s[2:3], exec, s[12:13]
; %bb.129:                              ;   in Loop: Header=BB167_44 Depth=1
	v_bfe_u32 v3, v2, 16, 1
	v_add3_u32 v45, v2, v3, s17
                                        ; implicit-def: $vgpr2
; %bb.130:                              ;   in Loop: Header=BB167_44 Depth=1
	s_andn2_saveexec_b64 s[12:13], s[2:3]
; %bb.131:                              ;   in Loop: Header=BB167_44 Depth=1
	v_or_b32_e32 v3, 0x10000, v2
	v_cmp_eq_u32_sdwa s[2:3], v2, v20 src0_sel:WORD_0 src1_sel:DWORD
	v_cndmask_b32_e64 v45, v3, v2, s[2:3]
; %bb.132:                              ;   in Loop: Header=BB167_44 Depth=1
	s_or_b64 exec, exec, s[12:13]
	v_lshlrev_b32_e32 v2, 16, v46
	v_mul_f32_e32 v2, v38, v2
	v_and_b32_e32 v3, 0x7f800000, v2
	v_cmp_ne_u32_e64 s[2:3], s16, v3
                                        ; implicit-def: $vgpr46
	s_and_saveexec_b64 s[12:13], s[2:3]
	s_xor_b64 s[2:3], exec, s[12:13]
; %bb.133:                              ;   in Loop: Header=BB167_44 Depth=1
	v_bfe_u32 v3, v2, 16, 1
	v_add3_u32 v46, v2, v3, s17
                                        ; implicit-def: $vgpr2
; %bb.134:                              ;   in Loop: Header=BB167_44 Depth=1
	s_andn2_saveexec_b64 s[12:13], s[2:3]
; %bb.135:                              ;   in Loop: Header=BB167_44 Depth=1
	v_or_b32_e32 v3, 0x10000, v2
	v_cmp_eq_u32_sdwa s[2:3], v2, v20 src0_sel:WORD_0 src1_sel:DWORD
	v_cndmask_b32_e64 v46, v3, v2, s[2:3]
; %bb.136:                              ;   in Loop: Header=BB167_44 Depth=1
	s_or_b64 exec, exec, s[12:13]
	v_lshlrev_b32_e32 v2, 16, v5
	v_mul_f32_e32 v2, v39, v2
	v_and_b32_e32 v3, 0x7f800000, v2
	v_cmp_ne_u32_e64 s[2:3], s16, v3
                                        ; implicit-def: $vgpr47
	s_and_saveexec_b64 s[12:13], s[2:3]
	s_xor_b64 s[2:3], exec, s[12:13]
; %bb.137:                              ;   in Loop: Header=BB167_44 Depth=1
	v_bfe_u32 v3, v2, 16, 1
	v_add3_u32 v47, v2, v3, s17
                                        ; implicit-def: $vgpr2
; %bb.138:                              ;   in Loop: Header=BB167_44 Depth=1
	s_andn2_saveexec_b64 s[12:13], s[2:3]
; %bb.139:                              ;   in Loop: Header=BB167_44 Depth=1
	v_or_b32_e32 v3, 0x10000, v2
	v_cmp_eq_u32_sdwa s[2:3], v2, v20 src0_sel:WORD_0 src1_sel:DWORD
	v_cndmask_b32_e64 v47, v3, v2, s[2:3]
; %bb.140:                              ;   in Loop: Header=BB167_44 Depth=1
	s_or_b64 exec, exec, s[12:13]
	v_lshlrev_b32_e32 v2, 16, v48
	v_mul_f32_e32 v2, v40, v2
	v_and_b32_e32 v3, 0x7f800000, v2
	v_cmp_ne_u32_e64 s[2:3], s16, v3
                                        ; implicit-def: $vgpr48
	s_and_saveexec_b64 s[12:13], s[2:3]
	s_xor_b64 s[2:3], exec, s[12:13]
; %bb.141:                              ;   in Loop: Header=BB167_44 Depth=1
	v_bfe_u32 v3, v2, 16, 1
	v_add3_u32 v48, v2, v3, s17
                                        ; implicit-def: $vgpr2
; %bb.142:                              ;   in Loop: Header=BB167_44 Depth=1
	s_andn2_saveexec_b64 s[12:13], s[2:3]
; %bb.143:                              ;   in Loop: Header=BB167_44 Depth=1
	v_or_b32_e32 v3, 0x10000, v2
	v_cmp_eq_u32_sdwa s[2:3], v2, v20 src0_sel:WORD_0 src1_sel:DWORD
	v_cndmask_b32_e64 v48, v3, v2, s[2:3]
; %bb.144:                              ;   in Loop: Header=BB167_44 Depth=1
	s_or_b64 exec, exec, s[12:13]
	global_load_dwordx4 v[2:5], v[6:7], off offset:2048
	s_waitcnt vmcnt(0)
	v_lshrrev_b32_e32 v7, 16, v2
	v_lshrrev_b32_e32 v50, 16, v3
	;; [unrolled: 1-line block ×4, first 2 shown]
	s_and_saveexec_b64 s[12:13], s[0:1]
	s_cbranch_execz .LBB167_146
; %bb.145:                              ;   in Loop: Header=BB167_44 Depth=1
	v_cmp_gt_i32_e64 s[2:3], s25, v30
	v_add_u32_e32 v6, -6, v21
	v_cndmask_b32_e64 v2, 0, v2, s[2:3]
	v_cmp_gt_i32_e64 s[2:3], s25, v6
	v_add_u32_e32 v6, -5, v21
	v_cndmask_b32_e64 v7, 0, v7, s[2:3]
	;; [unrolled: 3-line block ×6, first 2 shown]
	v_cmp_gt_i32_e64 s[2:3], s25, v6
	v_cndmask_b32_e64 v5, 0, v5, s[2:3]
	v_cmp_gt_i32_e64 s[2:3], s25, v21
	v_cndmask_b32_e64 v54, 0, v54, s[2:3]
.LBB167_146:                            ;   in Loop: Header=BB167_44 Depth=1
	s_or_b64 exec, exec, s[12:13]
	v_lshlrev_b32_e32 v2, 16, v2
	v_mul_f32_e32 v2, v33, v2
	v_and_b32_e32 v6, 0x7f800000, v2
	v_cmp_ne_u32_e64 s[2:3], s16, v6
                                        ; implicit-def: $vgpr6
	s_and_saveexec_b64 s[12:13], s[2:3]
	s_xor_b64 s[2:3], exec, s[12:13]
; %bb.147:                              ;   in Loop: Header=BB167_44 Depth=1
	v_bfe_u32 v6, v2, 16, 1
	v_add3_u32 v6, v2, v6, s17
                                        ; implicit-def: $vgpr2
; %bb.148:                              ;   in Loop: Header=BB167_44 Depth=1
	s_andn2_saveexec_b64 s[12:13], s[2:3]
; %bb.149:                              ;   in Loop: Header=BB167_44 Depth=1
	v_or_b32_e32 v6, 0x10000, v2
	v_cmp_eq_u32_sdwa s[2:3], v2, v20 src0_sel:WORD_0 src1_sel:DWORD
	v_cndmask_b32_e64 v6, v6, v2, s[2:3]
; %bb.150:                              ;   in Loop: Header=BB167_44 Depth=1
	s_or_b64 exec, exec, s[12:13]
	v_lshlrev_b32_e32 v2, 16, v7
	v_mul_f32_e32 v2, v34, v2
	v_and_b32_e32 v7, 0x7f800000, v2
	v_cmp_ne_u32_e64 s[2:3], s16, v7
                                        ; implicit-def: $vgpr7
	s_and_saveexec_b64 s[12:13], s[2:3]
	s_xor_b64 s[2:3], exec, s[12:13]
; %bb.151:                              ;   in Loop: Header=BB167_44 Depth=1
	v_bfe_u32 v7, v2, 16, 1
	v_add3_u32 v7, v2, v7, s17
                                        ; implicit-def: $vgpr2
; %bb.152:                              ;   in Loop: Header=BB167_44 Depth=1
	s_andn2_saveexec_b64 s[12:13], s[2:3]
; %bb.153:                              ;   in Loop: Header=BB167_44 Depth=1
	v_or_b32_e32 v7, 0x10000, v2
	v_cmp_eq_u32_sdwa s[2:3], v2, v20 src0_sel:WORD_0 src1_sel:DWORD
	v_cndmask_b32_e64 v7, v7, v2, s[2:3]
; %bb.154:                              ;   in Loop: Header=BB167_44 Depth=1
	s_or_b64 exec, exec, s[12:13]
	v_lshlrev_b32_e32 v2, 16, v3
	v_mul_f32_e32 v2, v35, v2
	v_and_b32_e32 v3, 0x7f800000, v2
	v_cmp_ne_u32_e64 s[2:3], s16, v3
                                        ; implicit-def: $vgpr49
	s_and_saveexec_b64 s[12:13], s[2:3]
	s_xor_b64 s[2:3], exec, s[12:13]
; %bb.155:                              ;   in Loop: Header=BB167_44 Depth=1
	v_bfe_u32 v3, v2, 16, 1
	v_add3_u32 v49, v2, v3, s17
                                        ; implicit-def: $vgpr2
; %bb.156:                              ;   in Loop: Header=BB167_44 Depth=1
	s_andn2_saveexec_b64 s[12:13], s[2:3]
; %bb.157:                              ;   in Loop: Header=BB167_44 Depth=1
	v_or_b32_e32 v3, 0x10000, v2
	v_cmp_eq_u32_sdwa s[2:3], v2, v20 src0_sel:WORD_0 src1_sel:DWORD
	v_cndmask_b32_e64 v49, v3, v2, s[2:3]
; %bb.158:                              ;   in Loop: Header=BB167_44 Depth=1
	s_or_b64 exec, exec, s[12:13]
	v_lshlrev_b32_e32 v2, 16, v50
	v_mul_f32_e32 v2, v36, v2
	v_and_b32_e32 v3, 0x7f800000, v2
	v_cmp_ne_u32_e64 s[2:3], s16, v3
                                        ; implicit-def: $vgpr50
	s_and_saveexec_b64 s[12:13], s[2:3]
	s_xor_b64 s[2:3], exec, s[12:13]
; %bb.159:                              ;   in Loop: Header=BB167_44 Depth=1
	v_bfe_u32 v3, v2, 16, 1
	v_add3_u32 v50, v2, v3, s17
                                        ; implicit-def: $vgpr2
; %bb.160:                              ;   in Loop: Header=BB167_44 Depth=1
	s_andn2_saveexec_b64 s[12:13], s[2:3]
; %bb.161:                              ;   in Loop: Header=BB167_44 Depth=1
	v_or_b32_e32 v3, 0x10000, v2
	v_cmp_eq_u32_sdwa s[2:3], v2, v20 src0_sel:WORD_0 src1_sel:DWORD
	v_cndmask_b32_e64 v50, v3, v2, s[2:3]
; %bb.162:                              ;   in Loop: Header=BB167_44 Depth=1
	s_or_b64 exec, exec, s[12:13]
	v_lshlrev_b32_e32 v2, 16, v4
	v_mul_f32_e32 v2, v37, v2
	v_and_b32_e32 v3, 0x7f800000, v2
	v_cmp_ne_u32_e64 s[2:3], s16, v3
                                        ; implicit-def: $vgpr51
	s_and_saveexec_b64 s[12:13], s[2:3]
	s_xor_b64 s[2:3], exec, s[12:13]
; %bb.163:                              ;   in Loop: Header=BB167_44 Depth=1
	v_bfe_u32 v3, v2, 16, 1
	v_add3_u32 v51, v2, v3, s17
                                        ; implicit-def: $vgpr2
; %bb.164:                              ;   in Loop: Header=BB167_44 Depth=1
	s_andn2_saveexec_b64 s[12:13], s[2:3]
; %bb.165:                              ;   in Loop: Header=BB167_44 Depth=1
	v_or_b32_e32 v3, 0x10000, v2
	v_cmp_eq_u32_sdwa s[2:3], v2, v20 src0_sel:WORD_0 src1_sel:DWORD
	v_cndmask_b32_e64 v51, v3, v2, s[2:3]
; %bb.166:                              ;   in Loop: Header=BB167_44 Depth=1
	s_or_b64 exec, exec, s[12:13]
	v_lshlrev_b32_e32 v2, 16, v52
	v_mul_f32_e32 v2, v38, v2
	v_and_b32_e32 v3, 0x7f800000, v2
	v_cmp_ne_u32_e64 s[2:3], s16, v3
                                        ; implicit-def: $vgpr52
	s_and_saveexec_b64 s[12:13], s[2:3]
	s_xor_b64 s[2:3], exec, s[12:13]
; %bb.167:                              ;   in Loop: Header=BB167_44 Depth=1
	v_bfe_u32 v3, v2, 16, 1
	v_add3_u32 v52, v2, v3, s17
                                        ; implicit-def: $vgpr2
; %bb.168:                              ;   in Loop: Header=BB167_44 Depth=1
	s_andn2_saveexec_b64 s[12:13], s[2:3]
; %bb.169:                              ;   in Loop: Header=BB167_44 Depth=1
	v_or_b32_e32 v3, 0x10000, v2
	v_cmp_eq_u32_sdwa s[2:3], v2, v20 src0_sel:WORD_0 src1_sel:DWORD
	v_cndmask_b32_e64 v52, v3, v2, s[2:3]
; %bb.170:                              ;   in Loop: Header=BB167_44 Depth=1
	s_or_b64 exec, exec, s[12:13]
	v_lshlrev_b32_e32 v2, 16, v5
	v_mul_f32_e32 v2, v39, v2
	v_and_b32_e32 v3, 0x7f800000, v2
	v_cmp_ne_u32_e64 s[2:3], s16, v3
                                        ; implicit-def: $vgpr53
	s_and_saveexec_b64 s[12:13], s[2:3]
	s_xor_b64 s[2:3], exec, s[12:13]
; %bb.171:                              ;   in Loop: Header=BB167_44 Depth=1
	v_bfe_u32 v3, v2, 16, 1
	v_add3_u32 v53, v2, v3, s17
                                        ; implicit-def: $vgpr2
; %bb.172:                              ;   in Loop: Header=BB167_44 Depth=1
	s_andn2_saveexec_b64 s[12:13], s[2:3]
; %bb.173:                              ;   in Loop: Header=BB167_44 Depth=1
	v_or_b32_e32 v3, 0x10000, v2
	v_cmp_eq_u32_sdwa s[2:3], v2, v20 src0_sel:WORD_0 src1_sel:DWORD
	v_cndmask_b32_e64 v53, v3, v2, s[2:3]
; %bb.174:                              ;   in Loop: Header=BB167_44 Depth=1
	s_or_b64 exec, exec, s[12:13]
	v_lshlrev_b32_e32 v2, 16, v54
	v_mul_f32_e32 v2, v40, v2
	v_and_b32_e32 v3, 0x7f800000, v2
	v_cmp_ne_u32_e64 s[2:3], s16, v3
                                        ; implicit-def: $vgpr54
	s_and_saveexec_b64 s[12:13], s[2:3]
	s_xor_b64 s[2:3], exec, s[12:13]
	s_cbranch_execnz .LBB167_177
; %bb.175:                              ;   in Loop: Header=BB167_44 Depth=1
	s_andn2_saveexec_b64 s[12:13], s[2:3]
	s_cbranch_execnz .LBB167_178
.LBB167_176:                            ;   in Loop: Header=BB167_44 Depth=1
	s_or_b64 exec, exec, s[12:13]
	s_and_saveexec_b64 s[12:13], vcc
	s_cbranch_execz .LBB167_43
	s_branch .LBB167_179
.LBB167_177:                            ;   in Loop: Header=BB167_44 Depth=1
	v_bfe_u32 v3, v2, 16, 1
	v_add3_u32 v54, v2, v3, s17
                                        ; implicit-def: $vgpr2
	s_andn2_saveexec_b64 s[12:13], s[2:3]
	s_cbranch_execz .LBB167_176
.LBB167_178:                            ;   in Loop: Header=BB167_44 Depth=1
	v_or_b32_e32 v3, 0x10000, v2
	v_cmp_eq_u32_sdwa s[2:3], v2, v20 src0_sel:WORD_0 src1_sel:DWORD
	v_cndmask_b32_e64 v54, v3, v2, s[2:3]
	s_or_b64 exec, exec, s[12:13]
	s_and_saveexec_b64 s[12:13], vcc
	s_cbranch_execz .LBB167_43
.LBB167_179:                            ;   in Loop: Header=BB167_44 Depth=1
	v_add_co_u32_e64 v2, s[2:3], v31, v23
	v_addc_co_u32_e64 v3, s[2:3], 0, v32, s[2:3]
	global_load_dwordx4 v[2:5], v[2:3], off
	s_waitcnt vmcnt(0)
	v_lshrrev_b32_e32 v56, 16, v2
	v_lshrrev_b32_e32 v55, 16, v3
	v_lshrrev_b32_e32 v32, 16, v4
	v_lshrrev_b32_e32 v31, 16, v5
	s_and_saveexec_b64 s[2:3], s[0:1]
	s_cbranch_execz .LBB167_181
; %bb.180:                              ;   in Loop: Header=BB167_44 Depth=1
	v_cmp_gt_i32_e64 s[0:1], s25, v30
	v_add_u32_e32 v30, -6, v21
	v_cndmask_b32_e64 v2, 0, v2, s[0:1]
	v_cmp_gt_i32_e64 s[0:1], s25, v30
	v_add_u32_e32 v30, -5, v21
	v_cndmask_b32_e64 v56, 0, v56, s[0:1]
	;; [unrolled: 3-line block ×6, first 2 shown]
	v_cmp_gt_i32_e64 s[0:1], s25, v30
	v_cndmask_b32_e64 v5, 0, v5, s[0:1]
	v_cmp_gt_i32_e64 s[0:1], s25, v21
	v_cndmask_b32_e64 v31, 0, v31, s[0:1]
.LBB167_181:                            ;   in Loop: Header=BB167_44 Depth=1
	s_or_b64 exec, exec, s[2:3]
	v_lshlrev_b32_e32 v2, 16, v2
	v_mul_f32_e32 v30, v33, v2
	v_and_b32_e32 v2, 0x7f800000, v30
	v_cmp_ne_u32_e64 s[0:1], s16, v2
                                        ; implicit-def: $vgpr2
	s_and_saveexec_b64 s[2:3], s[0:1]
	s_xor_b64 s[0:1], exec, s[2:3]
; %bb.182:                              ;   in Loop: Header=BB167_44 Depth=1
	v_bfe_u32 v2, v30, 16, 1
	v_add3_u32 v2, v30, v2, s17
                                        ; implicit-def: $vgpr30
; %bb.183:                              ;   in Loop: Header=BB167_44 Depth=1
	s_andn2_saveexec_b64 s[2:3], s[0:1]
; %bb.184:                              ;   in Loop: Header=BB167_44 Depth=1
	v_or_b32_e32 v2, 0x10000, v30
	v_cmp_eq_u32_sdwa s[0:1], v30, v20 src0_sel:WORD_0 src1_sel:DWORD
	v_cndmask_b32_e64 v2, v2, v30, s[0:1]
; %bb.185:                              ;   in Loop: Header=BB167_44 Depth=1
	s_or_b64 exec, exec, s[2:3]
	v_lshlrev_b32_e32 v30, 16, v56
	v_mul_f32_e32 v33, v34, v30
	v_and_b32_e32 v30, 0x7f800000, v33
	v_cmp_ne_u32_e64 s[0:1], s16, v30
                                        ; implicit-def: $vgpr30
	s_and_saveexec_b64 s[2:3], s[0:1]
	s_xor_b64 s[0:1], exec, s[2:3]
; %bb.186:                              ;   in Loop: Header=BB167_44 Depth=1
	v_bfe_u32 v30, v33, 16, 1
	v_add3_u32 v30, v33, v30, s17
                                        ; implicit-def: $vgpr33
; %bb.187:                              ;   in Loop: Header=BB167_44 Depth=1
	s_andn2_saveexec_b64 s[2:3], s[0:1]
; %bb.188:                              ;   in Loop: Header=BB167_44 Depth=1
	v_or_b32_e32 v30, 0x10000, v33
	v_cmp_eq_u32_sdwa s[0:1], v33, v20 src0_sel:WORD_0 src1_sel:DWORD
	v_cndmask_b32_e64 v30, v30, v33, s[0:1]
; %bb.189:                              ;   in Loop: Header=BB167_44 Depth=1
	s_or_b64 exec, exec, s[2:3]
	v_lshlrev_b32_e32 v3, 16, v3
	v_mul_f32_e32 v33, v35, v3
	v_and_b32_e32 v3, 0x7f800000, v33
	v_cmp_ne_u32_e64 s[0:1], s16, v3
                                        ; implicit-def: $vgpr3
	s_and_saveexec_b64 s[2:3], s[0:1]
	s_xor_b64 s[0:1], exec, s[2:3]
; %bb.190:                              ;   in Loop: Header=BB167_44 Depth=1
	v_bfe_u32 v3, v33, 16, 1
	v_add3_u32 v3, v33, v3, s17
                                        ; implicit-def: $vgpr33
; %bb.191:                              ;   in Loop: Header=BB167_44 Depth=1
	s_andn2_saveexec_b64 s[2:3], s[0:1]
; %bb.192:                              ;   in Loop: Header=BB167_44 Depth=1
	v_or_b32_e32 v3, 0x10000, v33
	v_cmp_eq_u32_sdwa s[0:1], v33, v20 src0_sel:WORD_0 src1_sel:DWORD
	v_cndmask_b32_e64 v3, v3, v33, s[0:1]
; %bb.193:                              ;   in Loop: Header=BB167_44 Depth=1
	s_or_b64 exec, exec, s[2:3]
	v_lshlrev_b32_e32 v33, 16, v55
	v_mul_f32_e32 v34, v36, v33
	v_and_b32_e32 v33, 0x7f800000, v34
	v_cmp_ne_u32_e64 s[0:1], s16, v33
                                        ; implicit-def: $vgpr33
	s_and_saveexec_b64 s[2:3], s[0:1]
	s_xor_b64 s[0:1], exec, s[2:3]
; %bb.194:                              ;   in Loop: Header=BB167_44 Depth=1
	v_bfe_u32 v33, v34, 16, 1
	v_add3_u32 v33, v34, v33, s17
                                        ; implicit-def: $vgpr34
; %bb.195:                              ;   in Loop: Header=BB167_44 Depth=1
	s_andn2_saveexec_b64 s[2:3], s[0:1]
; %bb.196:                              ;   in Loop: Header=BB167_44 Depth=1
	v_or_b32_e32 v33, 0x10000, v34
	v_cmp_eq_u32_sdwa s[0:1], v34, v20 src0_sel:WORD_0 src1_sel:DWORD
	v_cndmask_b32_e64 v33, v33, v34, s[0:1]
; %bb.197:                              ;   in Loop: Header=BB167_44 Depth=1
	s_or_b64 exec, exec, s[2:3]
	v_lshlrev_b32_e32 v4, 16, v4
	v_mul_f32_e32 v34, v37, v4
	v_and_b32_e32 v4, 0x7f800000, v34
	v_cmp_ne_u32_e64 s[0:1], s16, v4
                                        ; implicit-def: $vgpr4
	s_and_saveexec_b64 s[2:3], s[0:1]
	s_xor_b64 s[0:1], exec, s[2:3]
; %bb.198:                              ;   in Loop: Header=BB167_44 Depth=1
	v_bfe_u32 v4, v34, 16, 1
	v_add3_u32 v4, v34, v4, s17
                                        ; implicit-def: $vgpr34
; %bb.199:                              ;   in Loop: Header=BB167_44 Depth=1
	s_andn2_saveexec_b64 s[2:3], s[0:1]
; %bb.200:                              ;   in Loop: Header=BB167_44 Depth=1
	v_or_b32_e32 v4, 0x10000, v34
	v_cmp_eq_u32_sdwa s[0:1], v34, v20 src0_sel:WORD_0 src1_sel:DWORD
	v_cndmask_b32_e64 v4, v4, v34, s[0:1]
; %bb.201:                              ;   in Loop: Header=BB167_44 Depth=1
	s_or_b64 exec, exec, s[2:3]
	v_lshlrev_b32_e32 v32, 16, v32
	v_mul_f32_e32 v34, v38, v32
	v_and_b32_e32 v32, 0x7f800000, v34
	v_cmp_ne_u32_e64 s[0:1], s16, v32
                                        ; implicit-def: $vgpr32
	s_and_saveexec_b64 s[2:3], s[0:1]
	s_xor_b64 s[0:1], exec, s[2:3]
; %bb.202:                              ;   in Loop: Header=BB167_44 Depth=1
	v_bfe_u32 v32, v34, 16, 1
	v_add3_u32 v32, v34, v32, s17
                                        ; implicit-def: $vgpr34
; %bb.203:                              ;   in Loop: Header=BB167_44 Depth=1
	s_andn2_saveexec_b64 s[2:3], s[0:1]
; %bb.204:                              ;   in Loop: Header=BB167_44 Depth=1
	v_or_b32_e32 v32, 0x10000, v34
	v_cmp_eq_u32_sdwa s[0:1], v34, v20 src0_sel:WORD_0 src1_sel:DWORD
	v_cndmask_b32_e64 v32, v32, v34, s[0:1]
; %bb.205:                              ;   in Loop: Header=BB167_44 Depth=1
	s_or_b64 exec, exec, s[2:3]
	v_lshlrev_b32_e32 v5, 16, v5
	v_mul_f32_e32 v34, v39, v5
	v_and_b32_e32 v5, 0x7f800000, v34
	v_cmp_ne_u32_e64 s[0:1], s16, v5
                                        ; implicit-def: $vgpr5
	s_and_saveexec_b64 s[2:3], s[0:1]
	s_xor_b64 s[0:1], exec, s[2:3]
; %bb.206:                              ;   in Loop: Header=BB167_44 Depth=1
	v_bfe_u32 v5, v34, 16, 1
	v_add3_u32 v5, v34, v5, s17
                                        ; implicit-def: $vgpr34
; %bb.207:                              ;   in Loop: Header=BB167_44 Depth=1
	s_andn2_saveexec_b64 s[2:3], s[0:1]
; %bb.208:                              ;   in Loop: Header=BB167_44 Depth=1
	v_or_b32_e32 v5, 0x10000, v34
	v_cmp_eq_u32_sdwa s[0:1], v34, v20 src0_sel:WORD_0 src1_sel:DWORD
	v_cndmask_b32_e64 v5, v5, v34, s[0:1]
; %bb.209:                              ;   in Loop: Header=BB167_44 Depth=1
	s_or_b64 exec, exec, s[2:3]
	v_lshlrev_b32_e32 v31, 16, v31
	v_mul_f32_e32 v31, v40, v31
	v_and_b32_e32 v34, 0x7f800000, v31
	v_cmp_ne_u32_e64 s[0:1], s16, v34
                                        ; implicit-def: $vgpr34
	s_and_saveexec_b64 s[2:3], s[0:1]
	s_xor_b64 s[0:1], exec, s[2:3]
; %bb.210:                              ;   in Loop: Header=BB167_44 Depth=1
	v_bfe_u32 v34, v31, 16, 1
	v_add3_u32 v34, v31, v34, s17
                                        ; implicit-def: $vgpr31
; %bb.211:                              ;   in Loop: Header=BB167_44 Depth=1
	s_andn2_saveexec_b64 s[2:3], s[0:1]
	s_cbranch_execz .LBB167_42
; %bb.212:                              ;   in Loop: Header=BB167_44 Depth=1
	v_or_b32_e32 v34, 0x10000, v31
	v_cmp_eq_u32_sdwa s[0:1], v31, v20 src0_sel:WORD_0 src1_sel:DWORD
	v_cndmask_b32_e64 v34, v34, v31, s[0:1]
	s_branch .LBB167_42
.LBB167_213:
	s_or_b64 exec, exec, s[10:11]
.LBB167_214:
	s_or_b64 exec, exec, s[6:7]
	ds_bpermute_b32 v2, v1, v14
	ds_bpermute_b32 v3, v1, v15
	ds_bpermute_b32 v6, v1, v12
	ds_bpermute_b32 v7, v1, v13
	v_and_b32_e32 v1, 0x3c0, v0
	v_cmp_eq_u32_e32 vcc, 64, v1
	s_waitcnt lgkmcnt(2)
	v_pk_add_f32 v[4:5], v[14:15], v[2:3]
	s_waitcnt lgkmcnt(0)
	v_pk_add_f32 v[2:3], v[12:13], v[6:7]
	s_barrier
	s_and_saveexec_b64 s[2:3], vcc
	s_cbranch_execz .LBB167_219
; %bb.215:
	v_cmp_eq_u32_e32 vcc, 0, v18
	s_and_saveexec_b64 s[0:1], vcc
	s_cbranch_execz .LBB167_217
; %bb.216:
	v_mov_b32_e32 v1, 0x100
	v_lshl_add_u32 v1, v19, 2, v1
	ds_write2_b32 v1, v4, v5 offset1:32
	ds_write_b32 v1, v2 offset:256
.LBB167_217:
	s_or_b64 exec, exec, s[0:1]
	v_or_b32_e32 v1, 0x60, v19
	s_movk_i32 s0, 0x78
	v_cmp_gt_u32_e64 s[0:1], s0, v1
	s_and_b64 s[0:1], vcc, s[0:1]
	s_and_b64 exec, exec, s[0:1]
	s_cbranch_execz .LBB167_219
; %bb.218:
	v_mov_b32_e32 v1, 0x100
	v_lshl_add_u32 v1, v19, 2, v1
	ds_write_b32 v1, v3 offset:384
.LBB167_219:
	s_or_b64 exec, exec, s[2:3]
	v_cmp_gt_u32_e32 vcc, 64, v0
	v_lshrrev_b32_e32 v6, 1, v0
	s_waitcnt lgkmcnt(0)
	s_barrier
	s_and_saveexec_b64 s[6:7], vcc
	s_cbranch_execz .LBB167_227
; %bb.220:
	v_cmp_eq_u32_e64 s[0:1], 0, v18
	s_and_saveexec_b64 s[2:3], s[0:1]
	s_cbranch_execnz .LBB167_249
; %bb.221:
	s_or_b64 exec, exec, s[2:3]
	s_and_saveexec_b64 s[2:3], s[0:1]
	s_cbranch_execnz .LBB167_250
.LBB167_222:
	s_or_b64 exec, exec, s[2:3]
	s_and_saveexec_b64 s[2:3], s[0:1]
	s_cbranch_execz .LBB167_224
.LBB167_223:
	v_mov_b32_e32 v0, 0x100
	v_lshl_add_u32 v0, v6, 2, v0
	ds_read_b32 v0, v0 offset:256
	s_waitcnt lgkmcnt(0)
	v_add_f32_e32 v2, v2, v0
.LBB167_224:
	s_or_b64 exec, exec, s[2:3]
	v_or_b32_e32 v0, 0x60, v6
	s_movk_i32 s2, 0x78
	v_cmp_gt_u32_e64 s[2:3], s2, v0
	s_and_b64 s[2:3], s[0:1], s[2:3]
	s_and_saveexec_b64 s[0:1], s[2:3]
	s_cbranch_execz .LBB167_226
; %bb.225:
	v_mov_b32_e32 v0, 0x100
	v_lshl_add_u32 v0, v6, 2, v0
	ds_read_b32 v0, v0 offset:384
	s_waitcnt lgkmcnt(0)
	v_add_f32_e32 v3, v3, v0
.LBB167_226:
	s_or_b64 exec, exec, s[0:1]
.LBB167_227:
	s_or_b64 exec, exec, s[6:7]
	s_barrier
	s_and_saveexec_b64 s[0:1], vcc
	s_cbranch_execz .LBB167_248
; %bb.228:
	s_mul_i32 s0, s4, 0x78
	s_ashr_i32 s1, s0, 31
	s_lshl_b64 s[0:1], s[0:1], 1
	s_add_u32 s2, s22, s0
	s_mul_i32 s0, s21, s20
	s_addc_u32 s3, s23, s1
	s_ashr_i32 s1, s0, 31
	s_lshl_b64 s[0:1], s[0:1], 1
	s_add_u32 s2, s2, s0
	s_mul_i32 s0, s8, 0x78
	s_addc_u32 s3, s3, s1
	s_ashr_i32 s1, s0, 31
	s_lshl_b64 s[0:1], s[0:1], 1
	s_add_u32 s2, s2, s0
	s_addc_u32 s3, s3, s1
	v_cmp_eq_u32_e32 vcc, 0, v18
	s_and_saveexec_b64 s[4:5], vcc
	s_cbranch_execz .LBB167_242
; %bb.229:
	s_mov_b32 s0, 0x7f800000
	v_and_b32_e32 v0, 0x7f800000, v4
	v_cmp_ne_u32_e64 s[0:1], s0, v0
                                        ; implicit-def: $vgpr7
	s_and_saveexec_b64 s[6:7], s[0:1]
	s_xor_b64 s[0:1], exec, s[6:7]
; %bb.230:
	v_bfe_u32 v0, v4, 16, 1
	s_movk_i32 s6, 0x7fff
	v_add3_u32 v7, v4, v0, s6
; %bb.231:
	s_andn2_saveexec_b64 s[6:7], s[0:1]
; %bb.232:
	v_mov_b32_e32 v0, 0
	v_or_b32_e32 v1, 0x10000, v4
	v_cmp_eq_u32_sdwa s[0:1], v4, v0 src0_sel:WORD_0 src1_sel:DWORD
	v_cndmask_b32_e64 v7, v1, v4, s[0:1]
; %bb.233:
	s_or_b64 exec, exec, s[6:7]
	v_lshlrev_b32_e32 v4, 1, v6
	v_mov_b32_e32 v1, s3
	v_add_co_u32_e64 v0, s[0:1], s2, v4
	v_addc_co_u32_e64 v1, s[0:1], 0, v1, s[0:1]
	global_store_short_d16_hi v4, v7, s[2:3]
	s_mov_b32 s0, 0x7f800000
	v_and_b32_e32 v4, 0x7f800000, v5
	v_cmp_ne_u32_e64 s[0:1], s0, v4
                                        ; implicit-def: $vgpr4
	s_and_saveexec_b64 s[6:7], s[0:1]
	s_xor_b64 s[0:1], exec, s[6:7]
; %bb.234:
	v_bfe_u32 v4, v5, 16, 1
	s_movk_i32 s6, 0x7fff
	v_add3_u32 v4, v5, v4, s6
; %bb.235:
	s_andn2_saveexec_b64 s[6:7], s[0:1]
; %bb.236:
	v_mov_b32_e32 v4, 0
	v_or_b32_e32 v7, 0x10000, v5
	v_cmp_eq_u32_sdwa s[0:1], v5, v4 src0_sel:WORD_0 src1_sel:DWORD
	v_cndmask_b32_e64 v4, v7, v5, s[0:1]
; %bb.237:
	s_or_b64 exec, exec, s[6:7]
	global_store_short_d16_hi v[0:1], v4, off offset:64
	s_mov_b32 s0, 0x7f800000
	v_and_b32_e32 v4, 0x7f800000, v2
	v_cmp_ne_u32_e64 s[0:1], s0, v4
                                        ; implicit-def: $vgpr4
	s_and_saveexec_b64 s[6:7], s[0:1]
	s_xor_b64 s[0:1], exec, s[6:7]
; %bb.238:
	v_bfe_u32 v4, v2, 16, 1
	s_movk_i32 s6, 0x7fff
	v_add3_u32 v4, v2, v4, s6
; %bb.239:
	s_andn2_saveexec_b64 s[6:7], s[0:1]
; %bb.240:
	v_mov_b32_e32 v4, 0
	v_or_b32_e32 v5, 0x10000, v2
	v_cmp_eq_u32_sdwa s[0:1], v2, v4 src0_sel:WORD_0 src1_sel:DWORD
	v_cndmask_b32_e64 v4, v5, v2, s[0:1]
; %bb.241:
	s_or_b64 exec, exec, s[6:7]
	global_store_short_d16_hi v[0:1], v4, off offset:128
.LBB167_242:
	s_or_b64 exec, exec, s[4:5]
	v_or_b32_e32 v0, 0x60, v6
	s_movk_i32 s0, 0x78
	v_cmp_gt_u32_e64 s[0:1], s0, v0
	s_and_b64 s[0:1], vcc, s[0:1]
	s_and_b64 exec, exec, s[0:1]
	s_cbranch_execz .LBB167_248
; %bb.243:
	s_mov_b32 s0, 0x7f800000
	v_and_b32_e32 v0, 0x7f800000, v3
	v_cmp_ne_u32_e32 vcc, s0, v0
                                        ; implicit-def: $vgpr4
	s_and_saveexec_b64 s[0:1], vcc
	s_xor_b64 s[0:1], exec, s[0:1]
; %bb.244:
	v_bfe_u32 v0, v3, 16, 1
	s_movk_i32 s4, 0x7fff
	v_add3_u32 v4, v3, v0, s4
                                        ; implicit-def: $vgpr0_vgpr1_vgpr2_vgpr3
; %bb.245:
	s_andn2_saveexec_b64 s[0:1], s[0:1]
; %bb.246:
	v_mov_b32_e32 v0, 0
	v_or_b32_e32 v1, 0x10000, v3
	v_cmp_eq_u32_sdwa vcc, v3, v0 src0_sel:WORD_0 src1_sel:DWORD
	v_cndmask_b32_e32 v4, v1, v3, vcc
; %bb.247:
	s_or_b64 exec, exec, s[0:1]
	v_lshlrev_b32_e32 v0, 1, v6
	global_store_short_d16_hi v0, v4, s[2:3] offset:192
.LBB167_248:
	s_endpgm
.LBB167_249:
	v_mov_b32_e32 v0, 0x100
	v_lshl_add_u32 v0, v6, 2, v0
	ds_read_b32 v0, v0
	s_waitcnt lgkmcnt(0)
	v_add_f32_e32 v4, v4, v0
	s_or_b64 exec, exec, s[2:3]
	s_and_saveexec_b64 s[2:3], s[0:1]
	s_cbranch_execz .LBB167_222
.LBB167_250:
	v_mov_b32_e32 v0, 0x100
	v_lshl_add_u32 v0, v6, 2, v0
	ds_read_b32 v0, v0 offset:128
	s_waitcnt lgkmcnt(0)
	v_add_f32_e32 v5, v5, v0
	s_or_b64 exec, exec, s[2:3]
	s_and_saveexec_b64 s[2:3], s[0:1]
	s_cbranch_execnz .LBB167_223
	s_branch .LBB167_224
	.section	.rodata,"a",@progbits
	.p2align	6, 0x0
	.amdhsa_kernel _ZN4vllm25paged_attention_v2_kernelI14__hip_bfloat16S1_Li120ELi16ELi128ELNS_18Fp8KVCacheDataTypeE0ELb0ELi512EEEvPfS3_PT_PKS4_PKT0_SA_ifPKiSC_iPKfiiiSE_SE_iiiii
		.amdhsa_group_segment_fixed_size 256
		.amdhsa_private_segment_fixed_size 0
		.amdhsa_kernarg_size 400
		.amdhsa_user_sgpr_count 6
		.amdhsa_user_sgpr_private_segment_buffer 1
		.amdhsa_user_sgpr_dispatch_ptr 0
		.amdhsa_user_sgpr_queue_ptr 0
		.amdhsa_user_sgpr_kernarg_segment_ptr 1
		.amdhsa_user_sgpr_dispatch_id 0
		.amdhsa_user_sgpr_flat_scratch_init 0
		.amdhsa_user_sgpr_kernarg_preload_length 0
		.amdhsa_user_sgpr_kernarg_preload_offset 0
		.amdhsa_user_sgpr_private_segment_size 0
		.amdhsa_uses_dynamic_stack 0
		.amdhsa_system_sgpr_private_segment_wavefront_offset 0
		.amdhsa_system_sgpr_workgroup_id_x 1
		.amdhsa_system_sgpr_workgroup_id_y 1
		.amdhsa_system_sgpr_workgroup_id_z 1
		.amdhsa_system_sgpr_workgroup_info 0
		.amdhsa_system_vgpr_workitem_id 0
		.amdhsa_next_free_vgpr 63
		.amdhsa_next_free_sgpr 42
		.amdhsa_accum_offset 64
		.amdhsa_reserve_vcc 1
		.amdhsa_reserve_flat_scratch 0
		.amdhsa_float_round_mode_32 0
		.amdhsa_float_round_mode_16_64 0
		.amdhsa_float_denorm_mode_32 3
		.amdhsa_float_denorm_mode_16_64 3
		.amdhsa_dx10_clamp 1
		.amdhsa_ieee_mode 1
		.amdhsa_fp16_overflow 0
		.amdhsa_tg_split 0
		.amdhsa_exception_fp_ieee_invalid_op 0
		.amdhsa_exception_fp_denorm_src 0
		.amdhsa_exception_fp_ieee_div_zero 0
		.amdhsa_exception_fp_ieee_overflow 0
		.amdhsa_exception_fp_ieee_underflow 0
		.amdhsa_exception_fp_ieee_inexact 0
		.amdhsa_exception_int_div_zero 0
	.end_amdhsa_kernel
	.section	.text._ZN4vllm25paged_attention_v2_kernelI14__hip_bfloat16S1_Li120ELi16ELi128ELNS_18Fp8KVCacheDataTypeE0ELb0ELi512EEEvPfS3_PT_PKS4_PKT0_SA_ifPKiSC_iPKfiiiSE_SE_iiiii,"axG",@progbits,_ZN4vllm25paged_attention_v2_kernelI14__hip_bfloat16S1_Li120ELi16ELi128ELNS_18Fp8KVCacheDataTypeE0ELb0ELi512EEEvPfS3_PT_PKS4_PKT0_SA_ifPKiSC_iPKfiiiSE_SE_iiiii,comdat
.Lfunc_end167:
	.size	_ZN4vllm25paged_attention_v2_kernelI14__hip_bfloat16S1_Li120ELi16ELi128ELNS_18Fp8KVCacheDataTypeE0ELb0ELi512EEEvPfS3_PT_PKS4_PKT0_SA_ifPKiSC_iPKfiiiSE_SE_iiiii, .Lfunc_end167-_ZN4vllm25paged_attention_v2_kernelI14__hip_bfloat16S1_Li120ELi16ELi128ELNS_18Fp8KVCacheDataTypeE0ELb0ELi512EEEvPfS3_PT_PKS4_PKT0_SA_ifPKiSC_iPKfiiiSE_SE_iiiii
                                        ; -- End function
	.section	.AMDGPU.csdata,"",@progbits
; Kernel info:
; codeLenInByte = 9084
; NumSgprs: 46
; NumVgprs: 63
; NumAgprs: 0
; TotalNumVgprs: 63
; ScratchSize: 0
; MemoryBound: 0
; FloatMode: 240
; IeeeMode: 1
; LDSByteSize: 256 bytes/workgroup (compile time only)
; SGPRBlocks: 5
; VGPRBlocks: 7
; NumSGPRsForWavesPerEU: 46
; NumVGPRsForWavesPerEU: 63
; AccumOffset: 64
; Occupancy: 8
; WaveLimiterHint : 1
; COMPUTE_PGM_RSRC2:SCRATCH_EN: 0
; COMPUTE_PGM_RSRC2:USER_SGPR: 6
; COMPUTE_PGM_RSRC2:TRAP_HANDLER: 0
; COMPUTE_PGM_RSRC2:TGID_X_EN: 1
; COMPUTE_PGM_RSRC2:TGID_Y_EN: 1
; COMPUTE_PGM_RSRC2:TGID_Z_EN: 1
; COMPUTE_PGM_RSRC2:TIDIG_COMP_CNT: 0
; COMPUTE_PGM_RSRC3_GFX90A:ACCUM_OFFSET: 15
; COMPUTE_PGM_RSRC3_GFX90A:TG_SPLIT: 0
	.section	.text._ZN4vllm25paged_attention_v2_kernelI14__hip_bfloat16S1_Li128ELi16ELi128ELNS_18Fp8KVCacheDataTypeE0ELb0ELi512EEEvPfS3_PT_PKS4_PKT0_SA_ifPKiSC_iPKfiiiSE_SE_iiiii,"axG",@progbits,_ZN4vllm25paged_attention_v2_kernelI14__hip_bfloat16S1_Li128ELi16ELi128ELNS_18Fp8KVCacheDataTypeE0ELb0ELi512EEEvPfS3_PT_PKS4_PKT0_SA_ifPKiSC_iPKfiiiSE_SE_iiiii,comdat
	.protected	_ZN4vllm25paged_attention_v2_kernelI14__hip_bfloat16S1_Li128ELi16ELi128ELNS_18Fp8KVCacheDataTypeE0ELb0ELi512EEEvPfS3_PT_PKS4_PKT0_SA_ifPKiSC_iPKfiiiSE_SE_iiiii ; -- Begin function _ZN4vllm25paged_attention_v2_kernelI14__hip_bfloat16S1_Li128ELi16ELi128ELNS_18Fp8KVCacheDataTypeE0ELb0ELi512EEEvPfS3_PT_PKS4_PKT0_SA_ifPKiSC_iPKfiiiSE_SE_iiiii
	.globl	_ZN4vllm25paged_attention_v2_kernelI14__hip_bfloat16S1_Li128ELi16ELi128ELNS_18Fp8KVCacheDataTypeE0ELb0ELi512EEEvPfS3_PT_PKS4_PKT0_SA_ifPKiSC_iPKfiiiSE_SE_iiiii
	.p2align	8
	.type	_ZN4vllm25paged_attention_v2_kernelI14__hip_bfloat16S1_Li128ELi16ELi128ELNS_18Fp8KVCacheDataTypeE0ELb0ELi512EEEvPfS3_PT_PKS4_PKT0_SA_ifPKiSC_iPKfiiiSE_SE_iiiii,@function
_ZN4vllm25paged_attention_v2_kernelI14__hip_bfloat16S1_Li128ELi16ELi128ELNS_18Fp8KVCacheDataTypeE0ELb0ELi512EEEvPfS3_PT_PKS4_PKT0_SA_ifPKiSC_iPKfiiiSE_SE_iiiii: ; @_ZN4vllm25paged_attention_v2_kernelI14__hip_bfloat16S1_Li128ELi16ELi128ELNS_18Fp8KVCacheDataTypeE0ELb0ELi512EEEvPfS3_PT_PKS4_PKT0_SA_ifPKiSC_iPKfiiiSE_SE_iiiii
; %bb.0:
	s_load_dwordx2 s[0:1], s[4:5], 0x40
	s_mov_b32 s14, s7
	s_ashr_i32 s15, s7, 31
	s_lshl_b64 s[2:3], s[14:15], 2
	s_waitcnt lgkmcnt(0)
	s_add_u32 s0, s0, s2
	s_addc_u32 s1, s1, s3
	s_load_dword s33, s[0:1], 0x0
	s_lshl_b32 s42, s8, 9
	s_waitcnt lgkmcnt(0)
	s_cmp_ge_i32 s42, s33
	s_cbranch_scc1 .LBB168_240
; %bb.1:
	s_load_dword s15, s[4:5], 0x90
	s_load_dwordx2 s[12:13], s[4:5], 0x30
	s_waitcnt lgkmcnt(0)
	s_abs_i32 s2, s15
	s_abs_i32 s0, s12
	v_cvt_f32_u32_e32 v1, s0
	s_sub_i32 s3, 0, s0
	s_xor_b32 s1, s15, s12
	s_ashr_i32 s1, s1, 31
	v_rcp_iflag_f32_e32 v1, v1
	s_mov_b32 s12, 0
	v_mul_f32_e32 v1, 0x4f7ffffe, v1
	v_cvt_u32_f32_e32 v1, v1
	v_readfirstlane_b32 s7, v1
	s_mul_i32 s3, s3, s7
	s_mul_hi_u32 s3, s7, s3
	s_add_i32 s7, s7, s3
	s_mul_hi_u32 s3, s2, s7
	s_mul_i32 s7, s3, s0
	s_sub_i32 s2, s2, s7
	s_add_i32 s9, s3, 1
	s_sub_i32 s7, s2, s0
	s_cmp_ge_u32 s2, s0
	s_cselect_b32 s3, s9, s3
	s_cselect_b32 s2, s7, s2
	s_add_i32 s7, s3, 1
	s_cmp_ge_u32 s2, s0
	s_cselect_b32 s0, s7, s3
	s_xor_b32 s0, s0, s1
	s_sub_i32 s2, s0, s1
	s_abs_i32 s10, s2
	v_cvt_f32_u32_e32 v1, s10
	s_load_dwordx2 s[0:1], s[4:5], 0x50
	s_sub_i32 s3, 0, s10
	s_abs_i32 s11, s6
	v_rcp_iflag_f32_e32 v1, v1
	v_mul_f32_e32 v1, 0x4f7ffffe, v1
	v_cvt_u32_f32_e32 v1, v1
	v_readfirstlane_b32 s7, v1
	s_mul_i32 s3, s3, s7
	s_mul_hi_u32 s3, s7, s3
	s_add_i32 s7, s7, s3
	s_waitcnt lgkmcnt(0)
	s_cmp_eq_u64 s[0:1], 0
	s_mul_hi_u32 s20, s11, s7
	s_cbranch_scc1 .LBB168_3
; %bb.2:
	s_ashr_i32 s7, s6, 31
	s_lshl_b64 s[16:17], s[6:7], 2
	s_add_u32 s0, s0, s16
	s_addc_u32 s1, s1, s17
	s_load_dword s12, s[0:1], 0x0
.LBB168_3:
	s_load_dwordx4 s[16:19], s[4:5], 0x58
	s_ashr_i32 s21, s6, 31
	s_waitcnt lgkmcnt(0)
	s_ashr_i32 s19, s2, 31
	v_and_b32_e32 v2, 3, v0
	s_lshl_b32 s24, s6, 7
	v_cmp_gt_u32_e64 s[0:1], 64, v0
	s_and_saveexec_b64 s[2:3], s[0:1]
	s_cbranch_execz .LBB168_5
; %bb.4:
	s_load_dwordx2 s[22:23], s[4:5], 0x18
	s_mul_i32 s26, s14, s16
	s_ashr_i32 s27, s26, 31
	s_lshl_b64 s[26:27], s[26:27], 1
	v_lshlrev_b32_e32 v1, 2, v0
	s_waitcnt lgkmcnt(0)
	s_add_u32 s7, s22, s26
	s_addc_u32 s9, s23, s27
	s_ashr_i32 s25, s24, 31
	s_lshl_b64 s[22:23], s[24:25], 1
	s_add_u32 s22, s7, s22
	s_addc_u32 s23, s9, s23
	global_load_dword v1, v1, s[22:23]
	v_and_b32_e32 v3, 0x3fc, v0
	v_lshl_add_u32 v3, v2, 6, v3
	s_waitcnt vmcnt(0)
	ds_write_b32 v3, v1
.LBB168_5:
	s_or_b64 exec, exec, s[2:3]
	s_add_i32 s2, s33, 15
	s_ashr_i32 s3, s2, 31
	s_lshr_b32 s3, s3, 28
	s_add_i32 s2, s2, s3
	s_lshl_b32 s9, s8, 5
	s_mul_i32 s3, s20, s10
	s_ashr_i32 s7, s2, 4
	s_add_i32 s2, s9, 32
	s_sub_i32 s3, s11, s3
	s_min_i32 s25, s2, s7
	s_xor_b32 s2, s21, s19
	s_add_i32 s11, s20, 1
	s_sub_i32 s16, s3, s10
	s_cmp_ge_u32 s3, s10
	s_cselect_b32 s11, s11, s20
	s_cselect_b32 s3, s16, s3
	s_add_i32 s16, s11, 1
	s_cmp_ge_u32 s3, s10
	s_load_dwordx2 s[28:29], s[4:5], 0x38
	s_load_dword s10, s[4:5], 0x48
	v_lshrrev_b32_e32 v4, 6, v0
	s_cselect_b32 s3, s16, s11
	s_xor_b32 s3, s3, s2
	v_or_b32_e32 v10, s9, v4
	s_waitcnt lgkmcnt(0)
	s_mul_i32 s30, s14, s10
	s_sub_i32 s19, s3, s2
	s_ashr_i32 s31, s30, 31
	v_cmp_gt_i32_e64 s[2:3], s25, v10
	v_cmp_le_i32_e32 vcc, s25, v10
	v_mbcnt_lo_u32_b32 v3, -1, 0
	s_barrier
	s_waitcnt lgkmcnt(0)
                                        ; implicit-def: $sgpr38
                                        ; implicit-def: $vgpr5
                                        ; implicit-def: $vgpr6
	s_and_saveexec_b64 s[10:11], vcc
	s_xor_b64 s[10:11], exec, s[10:11]
; %bb.6:
	v_mbcnt_hi_u32_b32 v5, -1, v3
	v_and_b32_e32 v1, 64, v5
	v_add_u32_e32 v6, 64, v1
	s_mov_b32 s38, 0xff7fffff
                                        ; implicit-def: $vgpr2
                                        ; implicit-def: $vgpr3
; %bb.7:
	s_or_saveexec_b64 s[36:37], s[10:11]
	s_load_dwordx4 s[20:23], s[4:5], 0x0
	s_load_dwordx2 s[26:27], s[4:5], 0x10
	s_load_dwordx2 s[34:35], s[4:5], 0x28
	s_load_dword s16, s[4:5], 0x98
	v_mov_b32_e32 v42, s38
	s_mul_i32 s18, s19, s18
	v_ashrrev_i32_e32 v11, 31, v10
	s_xor_b64 exec, exec, s[36:37]
	s_cbranch_execz .LBB168_13
; %bb.8:
	s_load_dwordx2 s[4:5], s[4:5], 0x20
	s_ashr_i32 s19, s18, 31
	s_lshl_b64 s[10:11], s[18:19], 1
	v_bfe_u32 v42, v0, 2, 4
	v_lshlrev_b32_e32 v1, 4, v42
	s_waitcnt lgkmcnt(0)
	s_add_u32 s4, s4, s10
	s_addc_u32 s5, s5, s11
	v_mov_b32_e32 v5, s5
	v_add_co_u32_e32 v1, vcc, s4, v1
	v_lshlrev_b32_e32 v6, 2, v0
	v_addc_co_u32_e32 v5, vcc, 0, v5, vcc
	v_and_b32_e32 v6, 12, v6
	v_add_co_u32_e32 v1, vcc, v1, v6
	v_addc_co_u32_e32 v7, vcc, 0, v5, vcc
	v_mbcnt_hi_u32_b32 v5, -1, v3
	v_and_b32_e32 v3, 64, v5
	v_add_u32_e32 v6, 64, v3
	v_xor_b32_e32 v3, 2, v5
	v_cmp_lt_i32_e32 vcc, v3, v6
	v_cndmask_b32_e32 v3, v5, v3, vcc
	v_lshlrev_b32_e32 v43, 2, v3
	v_xor_b32_e32 v3, 1, v5
	v_lshlrev_b32_e32 v8, 6, v2
	v_cmp_lt_i32_e32 vcc, v3, v6
	ds_read_b128 v[14:17], v8
	ds_read_b128 v[22:25], v8 offset:16
	ds_read_b128 v[30:33], v8 offset:32
	;; [unrolled: 1-line block ×3, first 2 shown]
	v_cndmask_b32_e32 v3, v5, v3, vcc
	v_cmp_eq_u32_e32 vcc, 0, v2
	v_lshlrev_b32_e32 v2, 4, v4
	s_sub_i32 s19, 1, s33
	v_add3_u32 v45, s42, v2, v42
	v_lshlrev_b32_e32 v2, 2, v42
	s_lshl_b64 s[10:11], s[30:31], 2
	v_lshl_or_b32 v2, v4, 6, v2
	s_add_u32 s10, s28, s10
	v_lshlrev_b32_e32 v44, 2, v3
	v_add_u32_e32 v46, 0x110, v2
	v_lshlrev_b64 v[2:3], 2, v[10:11]
	s_addc_u32 s11, s29, s11
	v_mov_b32_e32 v42, s11
	v_add_co_u32_e64 v2, s[10:11], s10, v2
	s_mov_b32 s43, s17
	s_waitcnt lgkmcnt(3)
	v_lshlrev_b32_e32 v8, 16, v14
	v_and_b32_e32 v9, 0xffff0000, v14
	v_lshlrev_b32_e32 v12, 16, v15
	v_and_b32_e32 v13, 0xffff0000, v15
	v_lshlrev_b32_e32 v14, 16, v16
	v_and_b32_e32 v15, 0xffff0000, v16
	v_lshlrev_b32_e32 v16, 16, v17
	v_and_b32_e32 v17, 0xffff0000, v17
	s_waitcnt lgkmcnt(2)
	v_lshlrev_b32_e32 v18, 16, v22
	v_and_b32_e32 v19, 0xffff0000, v22
	v_lshlrev_b32_e32 v20, 16, v23
	v_and_b32_e32 v21, 0xffff0000, v23
	v_lshlrev_b32_e32 v22, 16, v24
	v_and_b32_e32 v23, 0xffff0000, v24
	v_lshlrev_b32_e32 v24, 16, v25
	v_and_b32_e32 v25, 0xffff0000, v25
	;; [unrolled: 9-line block ×4, first 2 shown]
	v_cmp_neq_f32_e64 s[4:5], s12, 0
	v_addc_co_u32_e64 v3, s[10:11], v42, v3, s[10:11]
	s_mov_b64 s[38:39], 0
	v_mov_b32_e32 v42, 0xff7fffff
	v_mov_b32_e32 v47, v10
	s_branch .LBB168_10
.LBB168_9:                              ;   in Loop: Header=BB168_10 Depth=1
	s_or_b64 exec, exec, s[40:41]
	v_add_u32_e32 v47, 2, v47
	v_cmp_le_i32_e64 s[10:11], s25, v47
	s_or_b64 s[38:39], s[10:11], s[38:39]
	v_add_co_u32_e64 v2, s[10:11], 8, v2
	v_add_u32_e32 v45, 32, v45
	v_add_u32_e32 v46, 0x80, v46
	v_addc_co_u32_e64 v3, s[10:11], 0, v3, s[10:11]
	s_andn2_b64 exec, exec, s[38:39]
	s_cbranch_execz .LBB168_12
.LBB168_10:                             ; =>This Inner Loop Header: Depth=1
	global_load_dword v48, v[2:3], off
	s_waitcnt vmcnt(0) lgkmcnt(0)
	v_mad_i64_i32 v[48:49], s[10:11], v48, s43, 0
	v_lshlrev_b64 v[48:49], 1, v[48:49]
	v_add_co_u32_e64 v48, s[10:11], v1, v48
	v_addc_co_u32_e64 v49, s[10:11], v7, v49, s[10:11]
	global_load_dword v50, v[48:49], off offset:512
	global_load_dword v51, v[48:49], off offset:768
	;; [unrolled: 1-line block ×7, first 2 shown]
	global_load_dword v57, v[48:49], off
	global_load_dword v58, v[48:49], off offset:2048
	global_load_dword v59, v[48:49], off offset:2304
	global_load_dword v60, v[48:49], off offset:2560
	global_load_dword v61, v[48:49], off offset:2816
	global_load_dword v62, v[48:49], off offset:3072
	global_load_dword v63, v[48:49], off offset:3328
	global_load_dword v64, v[48:49], off offset:3584
	s_nop 0
	global_load_dword v48, v[48:49], off offset:3840
	s_waitcnt vmcnt(15)
	v_lshlrev_b32_e32 v66, 16, v50
	v_and_b32_e32 v50, 0xffff0000, v50
	s_waitcnt vmcnt(14)
	v_lshlrev_b32_e32 v67, 16, v51
	v_and_b32_e32 v51, 0xffff0000, v51
	s_waitcnt vmcnt(13)
	v_lshlrev_b32_e32 v68, 16, v52
	v_and_b32_e32 v52, 0xffff0000, v52
	s_waitcnt vmcnt(9)
	v_lshlrev_b32_e32 v49, 16, v56
	v_and_b32_e32 v56, 0xffff0000, v56
	s_waitcnt vmcnt(8)
	v_lshlrev_b32_e32 v65, 16, v57
	v_and_b32_e32 v57, 0xffff0000, v57
	v_mul_f32_e32 v49, v12, v49
	v_mul_f32_e32 v56, v13, v56
	v_fmac_f32_e32 v49, v8, v65
	v_fmac_f32_e32 v56, v9, v57
	;; [unrolled: 1-line block ×6, first 2 shown]
	v_lshlrev_b32_e32 v69, 16, v53
	v_and_b32_e32 v53, 0xffff0000, v53
	v_fmac_f32_e32 v49, v18, v68
	v_fmac_f32_e32 v56, v19, v52
	v_lshlrev_b32_e32 v70, 16, v54
	v_and_b32_e32 v54, 0xffff0000, v54
	v_fmac_f32_e32 v49, v20, v69
	v_fmac_f32_e32 v56, v21, v53
	;; [unrolled: 4-line block ×3, first 2 shown]
	s_waitcnt vmcnt(7)
	v_lshlrev_b32_e32 v72, 16, v58
	v_and_b32_e32 v58, 0xffff0000, v58
	v_fmac_f32_e32 v49, v24, v71
	v_fmac_f32_e32 v56, v25, v55
	s_waitcnt vmcnt(6)
	v_lshlrev_b32_e32 v73, 16, v59
	v_and_b32_e32 v59, 0xffff0000, v59
	v_fmac_f32_e32 v49, v26, v72
	v_fmac_f32_e32 v56, v27, v58
	;; [unrolled: 5-line block ×8, first 2 shown]
	v_fmac_f32_e32 v49, v40, v57
	v_fmac_f32_e32 v56, v41, v48
	v_add_f32_e32 v48, v49, v56
	ds_bpermute_b32 v49, v43, v48
	s_waitcnt lgkmcnt(0)
	v_add_f32_e32 v48, v48, v49
	ds_bpermute_b32 v49, v44, v48
	s_and_saveexec_b64 s[40:41], vcc
	s_cbranch_execz .LBB168_9
; %bb.11:                               ;   in Loop: Header=BB168_10 Depth=1
	v_add_u32_e32 v50, s19, v45
	v_cvt_f32_i32_e32 v50, v50
	s_waitcnt lgkmcnt(0)
	v_add_f32_e32 v48, v48, v49
	v_cmp_gt_i32_e64 s[10:11], s33, v45
	v_max_f32_e32 v49, v42, v42
	v_mul_f32_e32 v50, s12, v50
	v_cndmask_b32_e64 v50, 0, v50, s[4:5]
	v_fmac_f32_e32 v50, s13, v48
	v_cndmask_b32_e64 v48, 0, v50, s[10:11]
	ds_write_b32 v46, v48
	v_max_f32_e32 v48, v49, v50
	v_cndmask_b32_e64 v42, v42, v48, s[10:11]
	s_branch .LBB168_9
.LBB168_12:
	s_or_b64 exec, exec, s[38:39]
.LBB168_13:
	s_or_b64 exec, exec, s[36:37]
	v_xor_b32_e32 v1, 32, v5
	v_cmp_lt_i32_e32 vcc, v1, v6
	v_cndmask_b32_e32 v1, v5, v1, vcc
	v_lshlrev_b32_e32 v2, 2, v1
	ds_bpermute_b32 v1, v2, v42
	v_xor_b32_e32 v7, 16, v5
	v_max_f32_e32 v3, v42, v42
	v_cmp_lt_i32_e32 vcc, v7, v6
	v_xor_b32_e32 v8, 8, v5
	s_waitcnt lgkmcnt(0)
	v_max_f32_e32 v1, v1, v1
	v_max_f32_e32 v1, v3, v1
	v_cndmask_b32_e32 v3, v5, v7, vcc
	v_lshlrev_b32_e32 v3, 2, v3
	ds_bpermute_b32 v7, v3, v1
	v_cmp_lt_i32_e32 vcc, v8, v6
	s_waitcnt lgkmcnt(0)
	v_max_f32_e32 v7, v7, v7
	v_max_f32_e32 v1, v1, v7
	v_cndmask_b32_e32 v7, v5, v8, vcc
	v_lshlrev_b32_e32 v12, 2, v7
	ds_bpermute_b32 v7, v12, v1
	v_xor_b32_e32 v8, 4, v5
	v_cmp_lt_i32_e32 vcc, v8, v6
	s_waitcnt lgkmcnt(0)
	v_max_f32_e32 v7, v7, v7
	v_max_f32_e32 v7, v1, v7
	v_cndmask_b32_e32 v1, v5, v8, vcc
	v_lshlrev_b32_e32 v13, 2, v1
	ds_bpermute_b32 v9, v13, v7
	v_and_b32_e32 v1, 63, v0
	v_cmp_eq_u32_e32 vcc, 0, v1
	v_lshlrev_b32_e32 v8, 2, v4
	s_and_saveexec_b64 s[4:5], vcc
	s_cbranch_execz .LBB168_15
; %bb.14:
	s_waitcnt lgkmcnt(0)
	v_max_f32_e32 v9, v9, v9
	v_max_f32_e32 v7, v7, v7
	;; [unrolled: 1-line block ×3, first 2 shown]
	ds_write_b32 v8, v7 offset:256
.LBB168_15:
	s_or_b64 exec, exec, s[4:5]
	v_cmp_gt_u32_e64 s[4:5], 2, v1
	v_mov_b32_e32 v7, 0xff7fffff
	s_waitcnt lgkmcnt(0)
	v_lshlrev_b32_e32 v9, 2, v1
	s_barrier
	s_and_saveexec_b64 s[10:11], s[4:5]
	s_cbranch_execz .LBB168_17
; %bb.16:
	ds_read_b32 v7, v9 offset:256
.LBB168_17:
	s_or_b64 exec, exec, s[10:11]
	v_xor_b32_e32 v14, 1, v5
	v_cmp_lt_i32_e64 s[10:11], v14, v6
	v_cndmask_b32_e64 v14, v5, v14, s[10:11]
	v_lshlrev_b32_e32 v18, 2, v14
	s_waitcnt lgkmcnt(0)
	ds_bpermute_b32 v14, v18, v7
	v_max_f32_e32 v7, v7, v7
	s_sub_i32 s9, s25, s9
	s_lshl_b32 s9, s9, 4
	s_add_i32 s9, s9, s42
	s_waitcnt lgkmcnt(0)
	v_max_f32_e32 v14, v14, v14
	v_max_f32_e32 v7, v7, v14
	v_lshlrev_b32_e32 v14, 2, v5
	v_and_b32_e32 v14, 0xffffff00, v14
	ds_bpermute_b32 v7, v14, v7
	s_min_i32 s19, s9, s33
	s_sub_i32 s9, s19, s42
	v_cmp_gt_i32_e64 s[10:11], s9, v0
	v_mov_b32_e32 v15, 0
	s_and_saveexec_b64 s[36:37], s[10:11]
	s_cbranch_execz .LBB168_21
; %bb.18:
	v_mov_b32_e32 v15, 0x110
	v_lshl_add_u32 v16, v0, 2, v15
	s_mov_b64 s[38:39], 0
	v_mov_b32_e32 v15, 0
	v_mov_b32_e32 v17, v0
.LBB168_19:                             ; =>This Inner Loop Header: Depth=1
	ds_read_b32 v19, v16
	v_add_u32_e32 v17, 0x80, v17
	v_cmp_le_i32_e64 s[12:13], s9, v17
	s_or_b64 s[38:39], s[12:13], s[38:39]
	s_waitcnt lgkmcnt(0)
	v_sub_f32_e32 v19, v19, v7
	v_mul_f32_e32 v19, 0x3fb8aa3b, v19
	v_exp_f32_e32 v19, v19
	ds_write_b32 v16, v19
	v_add_f32_e32 v15, v15, v19
	v_add_u32_e32 v16, 0x200, v16
	s_andn2_b64 exec, exec, s[38:39]
	s_cbranch_execnz .LBB168_19
; %bb.20:
	s_or_b64 exec, exec, s[38:39]
.LBB168_21:
	s_or_b64 exec, exec, s[36:37]
	ds_bpermute_b32 v2, v2, v15
	s_waitcnt lgkmcnt(0)
	v_add_f32_e32 v2, v15, v2
	ds_bpermute_b32 v3, v3, v2
	s_waitcnt lgkmcnt(0)
	v_add_f32_e32 v2, v2, v3
	ds_bpermute_b32 v3, v12, v2
	v_xor_b32_e32 v12, 2, v5
	v_cmp_lt_i32_e64 s[12:13], v12, v6
	v_cndmask_b32_e64 v5, v5, v12, s[12:13]
	s_waitcnt lgkmcnt(0)
	v_add_f32_e32 v2, v2, v3
	ds_bpermute_b32 v3, v13, v2
	s_waitcnt lgkmcnt(0)
	v_add_f32_e32 v2, v2, v3
	v_lshlrev_b32_e32 v3, 2, v5
	ds_bpermute_b32 v3, v3, v2
	s_waitcnt lgkmcnt(0)
	v_add_f32_e32 v2, v2, v3
	ds_bpermute_b32 v3, v18, v2
	s_waitcnt lgkmcnt(0)
	v_add_f32_e32 v2, v2, v3
	s_and_saveexec_b64 s[12:13], vcc
	s_cbranch_execz .LBB168_23
; %bb.22:
	ds_write_b32 v8, v2 offset:264
.LBB168_23:
	s_or_b64 exec, exec, s[12:13]
	s_waitcnt lgkmcnt(0)
	s_barrier
	s_and_saveexec_b64 s[12:13], s[4:5]
	s_cbranch_execz .LBB168_25
; %bb.24:
	ds_read_b32 v2, v9 offset:264
.LBB168_25:
	s_or_b64 exec, exec, s[12:13]
	s_waitcnt lgkmcnt(0)
	ds_bpermute_b32 v3, v18, v2
	s_waitcnt lgkmcnt(0)
	v_add_f32_e32 v2, v2, v3
	ds_bpermute_b32 v5, v14, v2
	s_and_saveexec_b64 s[4:5], s[10:11]
	s_cbranch_execz .LBB168_38
; %bb.26:
	s_waitcnt lgkmcnt(0)
	v_add_f32_e32 v2, 0x358637bd, v5
	v_div_scale_f32 v3, s[10:11], v2, v2, 1.0
	v_rcp_f32_e32 v6, v3
	v_div_scale_f32 v8, vcc, 1.0, v2, 1.0
	s_movk_i32 s10, 0x7f
	v_fma_f32 v9, -v3, v6, 1.0
	v_fmac_f32_e32 v6, v9, v6
	v_mul_f32_e32 v9, v8, v6
	v_fma_f32 v12, -v3, v9, v8
	v_fmac_f32_e32 v9, v12, v6
	v_fma_f32 v3, -v3, v9, v8
	v_div_fmas_f32 v3, v3, v6, v9
	v_div_fixup_f32 v2, v3, v2, 1.0
	v_xad_u32 v3, v0, -1, s19
	v_subrev_u32_e32 v6, s42, v3
	v_cmp_lt_u32_e32 vcc, s10, v6
	s_mov_b64 s[12:13], -1
	v_mov_b32_e32 v3, v0
	s_and_saveexec_b64 s[10:11], vcc
	s_cbranch_execz .LBB168_35
; %bb.27:
	v_lshrrev_b32_e32 v6, 7, v6
	v_add_u32_e32 v9, -1, v6
	v_lshrrev_b32_e32 v8, 1, v9
	v_mov_b32_e32 v3, v2
	v_add_u32_e32 v8, 1, v8
	v_cmp_lt_u32_e32 vcc, 13, v9
	v_mov_b32_e32 v13, 0
	s_and_saveexec_b64 s[12:13], vcc
	s_cbranch_execz .LBB168_31
; %bb.28:
	v_mov_b32_e32 v12, 0x110
	v_and_b32_e32 v9, -8, v8
	v_lshl_add_u32 v12, v0, 2, v12
	s_mov_b32 s19, 0
	s_mov_b64 s[36:37], 0
.LBB168_29:                             ; =>This Inner Loop Header: Depth=1
	ds_read2st64_b32 v[14:15], v12 offset1:2
	ds_read2st64_b32 v[16:17], v12 offset0:4 offset1:6
	ds_read2st64_b32 v[20:21], v12 offset0:8 offset1:10
	;; [unrolled: 1-line block ×3, first 2 shown]
	v_add_u32_e32 v9, -8, v9
	s_waitcnt lgkmcnt(3)
	v_pk_mul_f32 v[14:15], v[2:3], v[14:15]
	s_waitcnt lgkmcnt(2)
	v_pk_mul_f32 v[16:17], v[2:3], v[16:17]
	ds_write2st64_b32 v12, v14, v15 offset1:2
	ds_write2st64_b32 v12, v16, v17 offset0:4 offset1:6
	ds_read2st64_b32 v[16:17], v12 offset0:16 offset1:18
	s_waitcnt lgkmcnt(4)
	v_pk_mul_f32 v[14:15], v[2:3], v[20:21]
	ds_write2st64_b32 v12, v14, v15 offset0:8 offset1:10
	s_waitcnt lgkmcnt(4)
	v_pk_mul_f32 v[14:15], v[2:3], v[22:23]
	ds_write2st64_b32 v12, v14, v15 offset0:12 offset1:14
	ds_read2st64_b32 v[14:15], v12 offset0:20 offset1:22
	s_waitcnt lgkmcnt(3)
	v_pk_mul_f32 v[16:17], v[2:3], v[16:17]
	ds_read2st64_b32 v[20:21], v12 offset0:24 offset1:26
	ds_write2st64_b32 v12, v16, v17 offset0:16 offset1:18
	ds_read2st64_b32 v[16:17], v12 offset0:28 offset1:30
	s_waitcnt lgkmcnt(3)
	v_pk_mul_f32 v[14:15], v[2:3], v[14:15]
	ds_write2st64_b32 v12, v14, v15 offset0:20 offset1:22
	s_waitcnt lgkmcnt(3)
	v_pk_mul_f32 v[14:15], v[2:3], v[20:21]
	ds_write2st64_b32 v12, v14, v15 offset0:24 offset1:26
	s_waitcnt lgkmcnt(2)
	v_pk_mul_f32 v[14:15], v[2:3], v[16:17]
	s_add_i32 s19, s19, 16
	v_cmp_eq_u32_e32 vcc, 0, v9
	ds_write2st64_b32 v12, v14, v15 offset0:28 offset1:30
	v_add_u32_e32 v12, 0x2000, v12
	s_or_b64 s[36:37], vcc, s[36:37]
	v_mov_b32_e32 v13, s19
	s_andn2_b64 exec, exec, s[36:37]
	s_cbranch_execnz .LBB168_29
; %bb.30:
	s_or_b64 exec, exec, s[36:37]
.LBB168_31:
	s_or_b64 exec, exec, s[12:13]
	v_and_b32_e32 v8, 7, v8
	v_cmp_ne_u32_e32 vcc, 0, v8
	s_and_saveexec_b64 s[12:13], vcc
	s_cbranch_execz .LBB168_34
; %bb.32:
	v_lshlrev_b32_e32 v9, 9, v13
	v_lshlrev_b32_e32 v12, 2, v0
	s_movk_i32 s19, 0x110
	v_add3_u32 v9, v9, v12, s19
	s_mov_b64 s[36:37], 0
.LBB168_33:                             ; =>This Inner Loop Header: Depth=1
	ds_read2st64_b32 v[12:13], v9 offset1:2
	v_add_u32_e32 v8, -1, v8
	v_cmp_eq_u32_e32 vcc, 0, v8
	s_or_b64 s[36:37], vcc, s[36:37]
	s_waitcnt lgkmcnt(0)
	v_pk_mul_f32 v[12:13], v[2:3], v[12:13]
	ds_write2st64_b32 v9, v12, v13 offset1:2
	v_add_u32_e32 v9, 0x400, v9
	s_andn2_b64 exec, exec, s[36:37]
	s_cbranch_execnz .LBB168_33
.LBB168_34:
	s_or_b64 exec, exec, s[12:13]
	v_add_u32_e32 v6, 1, v6
	v_and_b32_e32 v8, 0x3fffffe, v6
	v_cmp_ne_u32_e32 vcc, v6, v8
	v_lshl_add_u32 v3, v8, 7, v0
	s_orn2_b64 s[12:13], vcc, exec
.LBB168_35:
	s_or_b64 exec, exec, s[10:11]
	s_and_b64 exec, exec, s[12:13]
	s_cbranch_execz .LBB168_38
; %bb.36:
	v_mov_b32_e32 v6, 0x110
	v_lshl_add_u32 v6, v3, 2, v6
	s_mov_b64 s[10:11], 0
.LBB168_37:                             ; =>This Inner Loop Header: Depth=1
	ds_read_b32 v8, v6
	v_add_u32_e32 v3, 0x80, v3
	v_cmp_le_i32_e32 vcc, s9, v3
	s_or_b64 s[10:11], vcc, s[10:11]
	s_waitcnt lgkmcnt(0)
	v_mul_f32_e32 v8, v2, v8
	ds_write_b32 v6, v8
	v_add_u32_e32 v6, 0x200, v6
	s_andn2_b64 exec, exec, s[10:11]
	s_cbranch_execnz .LBB168_37
.LBB168_38:
	s_or_b64 exec, exec, s[4:5]
	v_cmp_eq_u32_e32 vcc, 0, v0
	s_waitcnt lgkmcnt(0)
	s_barrier
	s_and_saveexec_b64 s[4:5], vcc
	s_cbranch_execz .LBB168_40
; %bb.39:
	s_mul_i32 s9, s16, s14
	s_mul_i32 s10, s9, s15
	s_ashr_i32 s11, s10, 31
	s_lshl_b64 s[10:11], s[10:11], 2
	s_add_u32 s9, s22, s10
	s_mul_i32 s12, s16, s6
	s_addc_u32 s19, s23, s11
	s_ashr_i32 s13, s12, 31
	s_lshl_b64 s[12:13], s[12:13], 2
	s_add_u32 s6, s9, s12
	s_addc_u32 s19, s19, s13
	s_ashr_i32 s9, s8, 31
	s_lshl_b64 s[22:23], s[8:9], 2
	s_add_u32 s36, s6, s22
	s_addc_u32 s37, s19, s23
	s_add_u32 s6, s20, s10
	s_addc_u32 s9, s21, s11
	;; [unrolled: 2-line block ×3, first 2 shown]
	s_add_u32 s10, s6, s22
	v_mov_b32_e32 v2, 0
	s_addc_u32 s11, s9, s23
	global_store_dword v2, v7, s[36:37]
	global_store_dword v2, v5, s[10:11]
.LBB168_40:
	s_or_b64 exec, exec, s[4:5]
	v_mov_b32_e32 v13, 0
	v_and_b32_e32 v19, 1, v0
	v_mov_b32_e32 v12, 0
	v_mov_b32_e32 v15, 0
	;; [unrolled: 1-line block ×3, first 2 shown]
	s_and_saveexec_b64 s[4:5], s[2:3]
	s_cbranch_execz .LBB168_212
; %bb.41:
	s_ashr_i32 s19, s18, 31
	s_lshl_b64 s[2:3], s[18:19], 1
	v_lshlrev_b32_e32 v3, 4, v0
	v_lshlrev_b32_e32 v2, 3, v0
	s_add_u32 s2, s34, s2
	v_and_b32_e32 v3, 0x3f0, v3
	v_and_b32_e32 v2, 8, v2
	s_addc_u32 s3, s35, s3
	v_add_co_u32_e32 v20, vcc, s2, v3
	v_lshl_add_u32 v3, v4, 4, s42
	s_add_i32 s12, s7, -1
	v_mov_b32_e32 v5, s3
	v_add3_u32 v22, v3, v2, 7
	v_lshlrev_b32_e32 v2, 5, v19
	s_lshl_b64 s[2:3], s[30:31], 2
	v_lshl_or_b32 v2, v4, 6, v2
	s_add_u32 s2, s28, s2
	v_addc_co_u32_e32 v21, vcc, 0, v5, vcc
	v_add_u32_e32 v23, 0x110, v2
	v_lshlrev_b64 v[2:3], 2, v[10:11]
	s_addc_u32 s3, s29, s3
	v_mov_b32_e32 v4, s3
	v_add_co_u32_e32 v16, vcc, s2, v2
	s_mov_b32 s9, s17
	v_addc_co_u32_e32 v17, vcc, v4, v3, vcc
	s_mov_b64 s[6:7], 0
	v_mov_b32_e32 v11, 0
	s_mov_b32 s13, 0x7f800000
	s_movk_i32 s17, 0x7fff
	v_mov_b32_e32 v14, 0
	v_mov_b32_e32 v15, 0
	;; [unrolled: 1-line block ×4, first 2 shown]
	s_branch .LBB168_43
.LBB168_42:                             ;   in Loop: Header=BB168_43 Depth=1
	s_or_b64 exec, exec, s[2:3]
	v_and_b32_e32 v35, 0xffff0000, v25
	v_and_b32_e32 v34, 0xffff0000, v9
	;; [unrolled: 1-line block ×8, first 2 shown]
	v_pk_add_f32 v[8:9], v[8:9], v[34:35]
	v_pk_add_f32 v[24:25], v[26:27], v[32:33]
	v_add_f32_e32 v8, v8, v9
	v_add_f32_e32 v8, v8, v24
	;; [unrolled: 1-line block ×3, first 2 shown]
	v_and_b32_e32 v27, 0xffff0000, v48
	v_and_b32_e32 v26, 0xffff0000, v46
	;; [unrolled: 1-line block ×4, first 2 shown]
	v_add_f32_e32 v14, v14, v8
	v_and_b32_e32 v9, 0xffff0000, v52
	v_and_b32_e32 v8, 0xffff0000, v50
	;; [unrolled: 1-line block ×4, first 2 shown]
	v_pk_add_f32 v[26:27], v[32:33], v[26:27]
	v_pk_add_f32 v[8:9], v[24:25], v[8:9]
	v_add_f32_e32 v24, v26, v27
	v_add_f32_e32 v8, v24, v8
	;; [unrolled: 1-line block ×3, first 2 shown]
	v_and_b32_e32 v27, 0xffff0000, v56
	v_and_b32_e32 v26, 0xffff0000, v54
	;; [unrolled: 1-line block ×4, first 2 shown]
	v_add_f32_e32 v15, v15, v8
	v_and_b32_e32 v9, 0xffff0000, v60
	v_and_b32_e32 v8, 0xffff0000, v58
	;; [unrolled: 1-line block ×4, first 2 shown]
	v_pk_add_f32 v[26:27], v[32:33], v[26:27]
	v_pk_add_f32 v[8:9], v[24:25], v[8:9]
	v_add_f32_e32 v24, v26, v27
	v_add_f32_e32 v8, v24, v8
	;; [unrolled: 1-line block ×3, first 2 shown]
	v_and_b32_e32 v9, 0xffff0000, v7
	v_and_b32_e32 v7, 0xffff0000, v29
	;; [unrolled: 1-line block ×5, first 2 shown]
	v_add_f32_e32 v12, v12, v8
	v_and_b32_e32 v8, 0xffff0000, v30
	v_and_b32_e32 v5, 0xffff0000, v5
	;; [unrolled: 1-line block ×3, first 2 shown]
	v_pk_add_f32 v[2:3], v[2:3], v[6:7]
	v_pk_add_f32 v[4:5], v[4:5], v[8:9]
	v_add_f32_e32 v2, v2, v3
	v_add_u32_e32 v10, 2, v10
	v_add_f32_e32 v2, v2, v4
	v_cmp_le_i32_e32 vcc, s25, v10
	v_add_f32_e32 v2, v2, v5
	s_or_b64 s[6:7], vcc, s[6:7]
	v_add_co_u32_e32 v16, vcc, 8, v16
	v_add_f32_e32 v13, v13, v2
	v_add_u32_e32 v22, 32, v22
	v_add_u32_e32 v23, 0x80, v23
	v_addc_co_u32_e32 v17, vcc, 0, v17, vcc
	s_andn2_b64 exec, exec, s[6:7]
	s_cbranch_execz .LBB168_211
.LBB168_43:                             ; =>This Inner Loop Header: Depth=1
	global_load_dword v29, v[16:17], off
	ds_read2_b64 v[6:9], v23 offset1:1
	ds_read2_b64 v[2:5], v23 offset0:2 offset1:3
                                        ; implicit-def: $vgpr37
	s_waitcnt lgkmcnt(1)
	v_and_b32_e32 v24, 0x7f800000, v6
	v_cmp_ne_u32_e32 vcc, s13, v24
	s_and_saveexec_b64 s[2:3], vcc
	s_xor_b64 s[2:3], exec, s[2:3]
; %bb.44:                               ;   in Loop: Header=BB168_43 Depth=1
	v_bfe_u32 v24, v6, 16, 1
	v_add3_u32 v37, v6, v24, s17
; %bb.45:                               ;   in Loop: Header=BB168_43 Depth=1
	s_andn2_saveexec_b64 s[2:3], s[2:3]
; %bb.46:                               ;   in Loop: Header=BB168_43 Depth=1
	v_or_b32_e32 v24, 0x10000, v6
	v_cmp_eq_u32_sdwa vcc, v6, v11 src0_sel:WORD_0 src1_sel:DWORD
	v_cndmask_b32_e32 v37, v24, v6, vcc
; %bb.47:                               ;   in Loop: Header=BB168_43 Depth=1
	s_or_b64 exec, exec, s[2:3]
	v_and_b32_e32 v6, 0x7f800000, v7
	v_cmp_ne_u32_e32 vcc, s13, v6
                                        ; implicit-def: $vgpr38
	s_and_saveexec_b64 s[2:3], vcc
	s_xor_b64 s[2:3], exec, s[2:3]
; %bb.48:                               ;   in Loop: Header=BB168_43 Depth=1
	v_bfe_u32 v6, v7, 16, 1
	v_add3_u32 v38, v7, v6, s17
; %bb.49:                               ;   in Loop: Header=BB168_43 Depth=1
	s_andn2_saveexec_b64 s[2:3], s[2:3]
; %bb.50:                               ;   in Loop: Header=BB168_43 Depth=1
	v_or_b32_e32 v6, 0x10000, v7
	v_cmp_eq_u32_sdwa vcc, v7, v11 src0_sel:WORD_0 src1_sel:DWORD
	v_cndmask_b32_e32 v38, v6, v7, vcc
; %bb.51:                               ;   in Loop: Header=BB168_43 Depth=1
	s_or_b64 exec, exec, s[2:3]
	v_and_b32_e32 v6, 0x7f800000, v8
	v_cmp_ne_u32_e32 vcc, s13, v6
                                        ; implicit-def: $vgpr24
	s_and_saveexec_b64 s[2:3], vcc
	s_xor_b64 s[2:3], exec, s[2:3]
; %bb.52:                               ;   in Loop: Header=BB168_43 Depth=1
	v_bfe_u32 v6, v8, 16, 1
	v_add3_u32 v24, v8, v6, s17
; %bb.53:                               ;   in Loop: Header=BB168_43 Depth=1
	s_andn2_saveexec_b64 s[2:3], s[2:3]
; %bb.54:                               ;   in Loop: Header=BB168_43 Depth=1
	v_or_b32_e32 v6, 0x10000, v8
	v_cmp_eq_u32_sdwa vcc, v8, v11 src0_sel:WORD_0 src1_sel:DWORD
	v_cndmask_b32_e32 v24, v6, v8, vcc
; %bb.55:                               ;   in Loop: Header=BB168_43 Depth=1
	s_or_b64 exec, exec, s[2:3]
	v_and_b32_e32 v6, 0x7f800000, v9
	v_cmp_ne_u32_e32 vcc, s13, v6
                                        ; implicit-def: $vgpr25
	s_and_saveexec_b64 s[2:3], vcc
	s_xor_b64 s[2:3], exec, s[2:3]
; %bb.56:                               ;   in Loop: Header=BB168_43 Depth=1
	v_bfe_u32 v6, v9, 16, 1
	v_add3_u32 v25, v9, v6, s17
                                        ; implicit-def: $vgpr6_vgpr7_vgpr8_vgpr9
; %bb.57:                               ;   in Loop: Header=BB168_43 Depth=1
	s_andn2_saveexec_b64 s[2:3], s[2:3]
; %bb.58:                               ;   in Loop: Header=BB168_43 Depth=1
	v_or_b32_e32 v6, 0x10000, v9
	v_cmp_eq_u32_sdwa vcc, v9, v11 src0_sel:WORD_0 src1_sel:DWORD
	v_cndmask_b32_e32 v25, v6, v9, vcc
; %bb.59:                               ;   in Loop: Header=BB168_43 Depth=1
	s_or_b64 exec, exec, s[2:3]
	s_waitcnt lgkmcnt(0)
	v_and_b32_e32 v6, 0x7f800000, v2
	v_cmp_ne_u32_e32 vcc, s13, v6
                                        ; implicit-def: $vgpr26
	s_and_saveexec_b64 s[2:3], vcc
	s_xor_b64 s[2:3], exec, s[2:3]
; %bb.60:                               ;   in Loop: Header=BB168_43 Depth=1
	v_bfe_u32 v6, v2, 16, 1
	v_add3_u32 v26, v2, v6, s17
; %bb.61:                               ;   in Loop: Header=BB168_43 Depth=1
	s_andn2_saveexec_b64 s[2:3], s[2:3]
; %bb.62:                               ;   in Loop: Header=BB168_43 Depth=1
	v_or_b32_e32 v6, 0x10000, v2
	v_cmp_eq_u32_sdwa vcc, v2, v11 src0_sel:WORD_0 src1_sel:DWORD
	v_cndmask_b32_e32 v26, v6, v2, vcc
; %bb.63:                               ;   in Loop: Header=BB168_43 Depth=1
	s_or_b64 exec, exec, s[2:3]
	v_and_b32_e32 v2, 0x7f800000, v3
	v_cmp_ne_u32_e32 vcc, s13, v2
                                        ; implicit-def: $vgpr27
	s_and_saveexec_b64 s[2:3], vcc
	s_xor_b64 s[2:3], exec, s[2:3]
; %bb.64:                               ;   in Loop: Header=BB168_43 Depth=1
	v_bfe_u32 v2, v3, 16, 1
	v_add3_u32 v27, v3, v2, s17
; %bb.65:                               ;   in Loop: Header=BB168_43 Depth=1
	s_andn2_saveexec_b64 s[2:3], s[2:3]
; %bb.66:                               ;   in Loop: Header=BB168_43 Depth=1
	v_or_b32_e32 v2, 0x10000, v3
	v_cmp_eq_u32_sdwa vcc, v3, v11 src0_sel:WORD_0 src1_sel:DWORD
	v_cndmask_b32_e32 v27, v2, v3, vcc
; %bb.67:                               ;   in Loop: Header=BB168_43 Depth=1
	s_or_b64 exec, exec, s[2:3]
	v_and_b32_e32 v2, 0x7f800000, v4
	v_cmp_ne_u32_e32 vcc, s13, v2
                                        ; implicit-def: $vgpr28
	s_and_saveexec_b64 s[2:3], vcc
	s_xor_b64 s[2:3], exec, s[2:3]
; %bb.68:                               ;   in Loop: Header=BB168_43 Depth=1
	v_bfe_u32 v2, v4, 16, 1
	v_add3_u32 v28, v4, v2, s17
; %bb.69:                               ;   in Loop: Header=BB168_43 Depth=1
	s_andn2_saveexec_b64 s[2:3], s[2:3]
; %bb.70:                               ;   in Loop: Header=BB168_43 Depth=1
	v_or_b32_e32 v2, 0x10000, v4
	v_cmp_eq_u32_sdwa vcc, v4, v11 src0_sel:WORD_0 src1_sel:DWORD
	v_cndmask_b32_e32 v28, v2, v4, vcc
; %bb.71:                               ;   in Loop: Header=BB168_43 Depth=1
	s_or_b64 exec, exec, s[2:3]
	v_and_b32_e32 v2, 0x7f800000, v5
	v_cmp_ne_u32_e32 vcc, s13, v2
                                        ; implicit-def: $vgpr36
	s_and_saveexec_b64 s[2:3], vcc
	s_xor_b64 s[2:3], exec, s[2:3]
; %bb.72:                               ;   in Loop: Header=BB168_43 Depth=1
	v_bfe_u32 v2, v5, 16, 1
	v_add3_u32 v36, v5, v2, s17
                                        ; implicit-def: $vgpr2_vgpr3_vgpr4_vgpr5
; %bb.73:                               ;   in Loop: Header=BB168_43 Depth=1
	s_andn2_saveexec_b64 s[2:3], s[2:3]
; %bb.74:                               ;   in Loop: Header=BB168_43 Depth=1
	v_or_b32_e32 v2, 0x10000, v5
	v_cmp_eq_u32_sdwa vcc, v5, v11 src0_sel:WORD_0 src1_sel:DWORD
	v_cndmask_b32_e32 v36, v2, v5, vcc
; %bb.75:                               ;   in Loop: Header=BB168_43 Depth=1
	s_or_b64 exec, exec, s[2:3]
	s_waitcnt vmcnt(0)
	v_mad_i64_i32 v[2:3], s[2:3], v29, s9, 0
	v_lshlrev_b64 v[2:3], 1, v[2:3]
	v_add_co_u32_e32 v6, vcc, v20, v2
	v_addc_co_u32_e32 v7, vcc, v21, v3, vcc
	global_load_dwordx4 v[2:5], v[6:7], off
	v_add_u32_e32 v29, -7, v22
	v_cmp_eq_u32_e32 vcc, s12, v10
	v_add_u32_e32 v35, -6, v22
	v_add_u32_e32 v33, -5, v22
	;; [unrolled: 1-line block ×6, first 2 shown]
	s_waitcnt vmcnt(0)
	v_lshrrev_b32_e32 v9, 16, v2
	v_lshrrev_b32_e32 v41, 16, v3
	;; [unrolled: 1-line block ×4, first 2 shown]
	s_and_saveexec_b64 s[10:11], vcc
	s_cbranch_execz .LBB168_77
; %bb.76:                               ;   in Loop: Header=BB168_43 Depth=1
	v_cmp_gt_i32_e64 s[2:3], s33, v29
	v_cndmask_b32_e64 v2, 0, v2, s[2:3]
	v_cmp_gt_i32_e64 s[2:3], s33, v35
	v_cndmask_b32_e64 v9, 0, v9, s[2:3]
	;; [unrolled: 2-line block ×8, first 2 shown]
.LBB168_77:                             ;   in Loop: Header=BB168_43 Depth=1
	s_or_b64 exec, exec, s[10:11]
	v_and_b32_e32 v37, 0xffff0000, v37
	v_lshlrev_b32_e32 v2, 16, v2
	v_mul_f32_e32 v2, v37, v2
	v_and_b32_e32 v8, 0x7f800000, v2
	v_cmp_ne_u32_e64 s[2:3], s13, v8
                                        ; implicit-def: $vgpr8
	s_and_saveexec_b64 s[10:11], s[2:3]
	s_xor_b64 s[2:3], exec, s[10:11]
; %bb.78:                               ;   in Loop: Header=BB168_43 Depth=1
	v_bfe_u32 v8, v2, 16, 1
	v_add3_u32 v8, v2, v8, s17
                                        ; implicit-def: $vgpr2
; %bb.79:                               ;   in Loop: Header=BB168_43 Depth=1
	s_andn2_saveexec_b64 s[10:11], s[2:3]
; %bb.80:                               ;   in Loop: Header=BB168_43 Depth=1
	v_or_b32_e32 v8, 0x10000, v2
	v_cmp_eq_u32_sdwa s[2:3], v2, v11 src0_sel:WORD_0 src1_sel:DWORD
	v_cndmask_b32_e64 v8, v8, v2, s[2:3]
; %bb.81:                               ;   in Loop: Header=BB168_43 Depth=1
	s_or_b64 exec, exec, s[10:11]
	v_and_b32_e32 v38, 0xffff0000, v38
	v_lshlrev_b32_e32 v2, 16, v9
	v_mul_f32_e32 v2, v38, v2
	v_and_b32_e32 v9, 0x7f800000, v2
	v_cmp_ne_u32_e64 s[2:3], s13, v9
                                        ; implicit-def: $vgpr9
	s_and_saveexec_b64 s[10:11], s[2:3]
	s_xor_b64 s[2:3], exec, s[10:11]
; %bb.82:                               ;   in Loop: Header=BB168_43 Depth=1
	v_bfe_u32 v9, v2, 16, 1
	v_add3_u32 v9, v2, v9, s17
                                        ; implicit-def: $vgpr2
; %bb.83:                               ;   in Loop: Header=BB168_43 Depth=1
	s_andn2_saveexec_b64 s[10:11], s[2:3]
; %bb.84:                               ;   in Loop: Header=BB168_43 Depth=1
	v_or_b32_e32 v9, 0x10000, v2
	v_cmp_eq_u32_sdwa s[2:3], v2, v11 src0_sel:WORD_0 src1_sel:DWORD
	v_cndmask_b32_e64 v9, v9, v2, s[2:3]
; %bb.85:                               ;   in Loop: Header=BB168_43 Depth=1
	s_or_b64 exec, exec, s[10:11]
	v_and_b32_e32 v39, 0xffff0000, v24
	v_lshlrev_b32_e32 v2, 16, v3
	v_mul_f32_e32 v2, v39, v2
	v_and_b32_e32 v3, 0x7f800000, v2
	v_cmp_ne_u32_e64 s[2:3], s13, v3
                                        ; implicit-def: $vgpr24
	s_and_saveexec_b64 s[10:11], s[2:3]
	s_xor_b64 s[2:3], exec, s[10:11]
; %bb.86:                               ;   in Loop: Header=BB168_43 Depth=1
	v_bfe_u32 v3, v2, 16, 1
	v_add3_u32 v24, v2, v3, s17
                                        ; implicit-def: $vgpr2
; %bb.87:                               ;   in Loop: Header=BB168_43 Depth=1
	s_andn2_saveexec_b64 s[10:11], s[2:3]
; %bb.88:                               ;   in Loop: Header=BB168_43 Depth=1
	v_or_b32_e32 v3, 0x10000, v2
	v_cmp_eq_u32_sdwa s[2:3], v2, v11 src0_sel:WORD_0 src1_sel:DWORD
	v_cndmask_b32_e64 v24, v3, v2, s[2:3]
; %bb.89:                               ;   in Loop: Header=BB168_43 Depth=1
	s_or_b64 exec, exec, s[10:11]
	v_and_b32_e32 v40, 0xffff0000, v25
	v_lshlrev_b32_e32 v2, 16, v41
	v_mul_f32_e32 v2, v40, v2
	v_and_b32_e32 v3, 0x7f800000, v2
	v_cmp_ne_u32_e64 s[2:3], s13, v3
                                        ; implicit-def: $vgpr25
	s_and_saveexec_b64 s[10:11], s[2:3]
	s_xor_b64 s[2:3], exec, s[10:11]
; %bb.90:                               ;   in Loop: Header=BB168_43 Depth=1
	v_bfe_u32 v3, v2, 16, 1
	v_add3_u32 v25, v2, v3, s17
                                        ; implicit-def: $vgpr2
; %bb.91:                               ;   in Loop: Header=BB168_43 Depth=1
	s_andn2_saveexec_b64 s[10:11], s[2:3]
; %bb.92:                               ;   in Loop: Header=BB168_43 Depth=1
	v_or_b32_e32 v3, 0x10000, v2
	v_cmp_eq_u32_sdwa s[2:3], v2, v11 src0_sel:WORD_0 src1_sel:DWORD
	v_cndmask_b32_e64 v25, v3, v2, s[2:3]
; %bb.93:                               ;   in Loop: Header=BB168_43 Depth=1
	s_or_b64 exec, exec, s[10:11]
	v_and_b32_e32 v41, 0xffff0000, v26
	v_lshlrev_b32_e32 v2, 16, v4
	v_mul_f32_e32 v2, v41, v2
	v_and_b32_e32 v3, 0x7f800000, v2
	v_cmp_ne_u32_e64 s[2:3], s13, v3
                                        ; implicit-def: $vgpr26
	s_and_saveexec_b64 s[10:11], s[2:3]
	s_xor_b64 s[2:3], exec, s[10:11]
; %bb.94:                               ;   in Loop: Header=BB168_43 Depth=1
	v_bfe_u32 v3, v2, 16, 1
	v_add3_u32 v26, v2, v3, s17
                                        ; implicit-def: $vgpr2
; %bb.95:                               ;   in Loop: Header=BB168_43 Depth=1
	s_andn2_saveexec_b64 s[10:11], s[2:3]
; %bb.96:                               ;   in Loop: Header=BB168_43 Depth=1
	v_or_b32_e32 v3, 0x10000, v2
	v_cmp_eq_u32_sdwa s[2:3], v2, v11 src0_sel:WORD_0 src1_sel:DWORD
	v_cndmask_b32_e64 v26, v3, v2, s[2:3]
; %bb.97:                               ;   in Loop: Header=BB168_43 Depth=1
	s_or_b64 exec, exec, s[10:11]
	v_and_b32_e32 v42, 0xffff0000, v27
	v_lshlrev_b32_e32 v2, 16, v43
	v_mul_f32_e32 v2, v42, v2
	v_and_b32_e32 v3, 0x7f800000, v2
	v_cmp_ne_u32_e64 s[2:3], s13, v3
                                        ; implicit-def: $vgpr27
	s_and_saveexec_b64 s[10:11], s[2:3]
	s_xor_b64 s[2:3], exec, s[10:11]
; %bb.98:                               ;   in Loop: Header=BB168_43 Depth=1
	v_bfe_u32 v3, v2, 16, 1
	v_add3_u32 v27, v2, v3, s17
                                        ; implicit-def: $vgpr2
; %bb.99:                               ;   in Loop: Header=BB168_43 Depth=1
	s_andn2_saveexec_b64 s[10:11], s[2:3]
; %bb.100:                              ;   in Loop: Header=BB168_43 Depth=1
	v_or_b32_e32 v3, 0x10000, v2
	v_cmp_eq_u32_sdwa s[2:3], v2, v11 src0_sel:WORD_0 src1_sel:DWORD
	v_cndmask_b32_e64 v27, v3, v2, s[2:3]
; %bb.101:                              ;   in Loop: Header=BB168_43 Depth=1
	s_or_b64 exec, exec, s[10:11]
	v_and_b32_e32 v43, 0xffff0000, v28
	v_lshlrev_b32_e32 v2, 16, v5
	v_mul_f32_e32 v2, v43, v2
	v_and_b32_e32 v3, 0x7f800000, v2
	v_cmp_ne_u32_e64 s[2:3], s13, v3
                                        ; implicit-def: $vgpr28
	s_and_saveexec_b64 s[10:11], s[2:3]
	s_xor_b64 s[2:3], exec, s[10:11]
; %bb.102:                              ;   in Loop: Header=BB168_43 Depth=1
	v_bfe_u32 v3, v2, 16, 1
	v_add3_u32 v28, v2, v3, s17
                                        ; implicit-def: $vgpr2
; %bb.103:                              ;   in Loop: Header=BB168_43 Depth=1
	s_andn2_saveexec_b64 s[10:11], s[2:3]
; %bb.104:                              ;   in Loop: Header=BB168_43 Depth=1
	v_or_b32_e32 v3, 0x10000, v2
	v_cmp_eq_u32_sdwa s[2:3], v2, v11 src0_sel:WORD_0 src1_sel:DWORD
	v_cndmask_b32_e64 v28, v3, v2, s[2:3]
; %bb.105:                              ;   in Loop: Header=BB168_43 Depth=1
	s_or_b64 exec, exec, s[10:11]
	v_and_b32_e32 v44, 0xffff0000, v36
	v_lshlrev_b32_e32 v2, 16, v45
	v_mul_f32_e32 v2, v44, v2
	v_and_b32_e32 v3, 0x7f800000, v2
	v_cmp_ne_u32_e64 s[2:3], s13, v3
                                        ; implicit-def: $vgpr36
	s_and_saveexec_b64 s[10:11], s[2:3]
	s_xor_b64 s[2:3], exec, s[10:11]
; %bb.106:                              ;   in Loop: Header=BB168_43 Depth=1
	v_bfe_u32 v3, v2, 16, 1
	v_add3_u32 v36, v2, v3, s17
                                        ; implicit-def: $vgpr2
; %bb.107:                              ;   in Loop: Header=BB168_43 Depth=1
	s_andn2_saveexec_b64 s[10:11], s[2:3]
; %bb.108:                              ;   in Loop: Header=BB168_43 Depth=1
	v_or_b32_e32 v3, 0x10000, v2
	v_cmp_eq_u32_sdwa s[2:3], v2, v11 src0_sel:WORD_0 src1_sel:DWORD
	v_cndmask_b32_e64 v36, v3, v2, s[2:3]
; %bb.109:                              ;   in Loop: Header=BB168_43 Depth=1
	s_or_b64 exec, exec, s[10:11]
	global_load_dwordx4 v[2:5], v[6:7], off offset:1024
	s_waitcnt vmcnt(0)
	v_lshrrev_b32_e32 v46, 16, v2
	v_lshrrev_b32_e32 v48, 16, v3
	;; [unrolled: 1-line block ×4, first 2 shown]
	s_and_saveexec_b64 s[10:11], vcc
	s_cbranch_execz .LBB168_111
; %bb.110:                              ;   in Loop: Header=BB168_43 Depth=1
	v_cmp_gt_i32_e64 s[2:3], s33, v29
	v_cndmask_b32_e64 v2, 0, v2, s[2:3]
	v_cmp_gt_i32_e64 s[2:3], s33, v35
	v_cndmask_b32_e64 v46, 0, v46, s[2:3]
	;; [unrolled: 2-line block ×8, first 2 shown]
.LBB168_111:                            ;   in Loop: Header=BB168_43 Depth=1
	s_or_b64 exec, exec, s[10:11]
	v_lshlrev_b32_e32 v2, 16, v2
	v_mul_f32_e32 v2, v37, v2
	v_and_b32_e32 v45, 0x7f800000, v2
	v_cmp_ne_u32_e64 s[2:3], s13, v45
                                        ; implicit-def: $vgpr45
	s_and_saveexec_b64 s[10:11], s[2:3]
	s_xor_b64 s[2:3], exec, s[10:11]
; %bb.112:                              ;   in Loop: Header=BB168_43 Depth=1
	v_bfe_u32 v45, v2, 16, 1
	v_add3_u32 v45, v2, v45, s17
                                        ; implicit-def: $vgpr2
; %bb.113:                              ;   in Loop: Header=BB168_43 Depth=1
	s_andn2_saveexec_b64 s[10:11], s[2:3]
; %bb.114:                              ;   in Loop: Header=BB168_43 Depth=1
	v_or_b32_e32 v45, 0x10000, v2
	v_cmp_eq_u32_sdwa s[2:3], v2, v11 src0_sel:WORD_0 src1_sel:DWORD
	v_cndmask_b32_e64 v45, v45, v2, s[2:3]
; %bb.115:                              ;   in Loop: Header=BB168_43 Depth=1
	s_or_b64 exec, exec, s[10:11]
	v_lshlrev_b32_e32 v2, 16, v46
	v_mul_f32_e32 v2, v38, v2
	v_and_b32_e32 v46, 0x7f800000, v2
	v_cmp_ne_u32_e64 s[2:3], s13, v46
                                        ; implicit-def: $vgpr46
	s_and_saveexec_b64 s[10:11], s[2:3]
	s_xor_b64 s[2:3], exec, s[10:11]
; %bb.116:                              ;   in Loop: Header=BB168_43 Depth=1
	v_bfe_u32 v46, v2, 16, 1
	v_add3_u32 v46, v2, v46, s17
                                        ; implicit-def: $vgpr2
; %bb.117:                              ;   in Loop: Header=BB168_43 Depth=1
	s_andn2_saveexec_b64 s[10:11], s[2:3]
; %bb.118:                              ;   in Loop: Header=BB168_43 Depth=1
	v_or_b32_e32 v46, 0x10000, v2
	v_cmp_eq_u32_sdwa s[2:3], v2, v11 src0_sel:WORD_0 src1_sel:DWORD
	v_cndmask_b32_e64 v46, v46, v2, s[2:3]
; %bb.119:                              ;   in Loop: Header=BB168_43 Depth=1
	s_or_b64 exec, exec, s[10:11]
	v_lshlrev_b32_e32 v2, 16, v3
	v_mul_f32_e32 v2, v39, v2
	v_and_b32_e32 v3, 0x7f800000, v2
	v_cmp_ne_u32_e64 s[2:3], s13, v3
                                        ; implicit-def: $vgpr47
	s_and_saveexec_b64 s[10:11], s[2:3]
	s_xor_b64 s[2:3], exec, s[10:11]
; %bb.120:                              ;   in Loop: Header=BB168_43 Depth=1
	v_bfe_u32 v3, v2, 16, 1
	v_add3_u32 v47, v2, v3, s17
                                        ; implicit-def: $vgpr2
; %bb.121:                              ;   in Loop: Header=BB168_43 Depth=1
	s_andn2_saveexec_b64 s[10:11], s[2:3]
; %bb.122:                              ;   in Loop: Header=BB168_43 Depth=1
	v_or_b32_e32 v3, 0x10000, v2
	v_cmp_eq_u32_sdwa s[2:3], v2, v11 src0_sel:WORD_0 src1_sel:DWORD
	v_cndmask_b32_e64 v47, v3, v2, s[2:3]
; %bb.123:                              ;   in Loop: Header=BB168_43 Depth=1
	s_or_b64 exec, exec, s[10:11]
	v_lshlrev_b32_e32 v2, 16, v48
	v_mul_f32_e32 v2, v40, v2
	v_and_b32_e32 v3, 0x7f800000, v2
	v_cmp_ne_u32_e64 s[2:3], s13, v3
                                        ; implicit-def: $vgpr48
	s_and_saveexec_b64 s[10:11], s[2:3]
	s_xor_b64 s[2:3], exec, s[10:11]
; %bb.124:                              ;   in Loop: Header=BB168_43 Depth=1
	v_bfe_u32 v3, v2, 16, 1
	v_add3_u32 v48, v2, v3, s17
                                        ; implicit-def: $vgpr2
; %bb.125:                              ;   in Loop: Header=BB168_43 Depth=1
	s_andn2_saveexec_b64 s[10:11], s[2:3]
; %bb.126:                              ;   in Loop: Header=BB168_43 Depth=1
	v_or_b32_e32 v3, 0x10000, v2
	v_cmp_eq_u32_sdwa s[2:3], v2, v11 src0_sel:WORD_0 src1_sel:DWORD
	v_cndmask_b32_e64 v48, v3, v2, s[2:3]
; %bb.127:                              ;   in Loop: Header=BB168_43 Depth=1
	s_or_b64 exec, exec, s[10:11]
	v_lshlrev_b32_e32 v2, 16, v4
	v_mul_f32_e32 v2, v41, v2
	v_and_b32_e32 v3, 0x7f800000, v2
	v_cmp_ne_u32_e64 s[2:3], s13, v3
                                        ; implicit-def: $vgpr49
	s_and_saveexec_b64 s[10:11], s[2:3]
	s_xor_b64 s[2:3], exec, s[10:11]
; %bb.128:                              ;   in Loop: Header=BB168_43 Depth=1
	v_bfe_u32 v3, v2, 16, 1
	v_add3_u32 v49, v2, v3, s17
                                        ; implicit-def: $vgpr2
; %bb.129:                              ;   in Loop: Header=BB168_43 Depth=1
	s_andn2_saveexec_b64 s[10:11], s[2:3]
; %bb.130:                              ;   in Loop: Header=BB168_43 Depth=1
	v_or_b32_e32 v3, 0x10000, v2
	v_cmp_eq_u32_sdwa s[2:3], v2, v11 src0_sel:WORD_0 src1_sel:DWORD
	v_cndmask_b32_e64 v49, v3, v2, s[2:3]
; %bb.131:                              ;   in Loop: Header=BB168_43 Depth=1
	s_or_b64 exec, exec, s[10:11]
	v_lshlrev_b32_e32 v2, 16, v50
	v_mul_f32_e32 v2, v42, v2
	v_and_b32_e32 v3, 0x7f800000, v2
	v_cmp_ne_u32_e64 s[2:3], s13, v3
                                        ; implicit-def: $vgpr50
	s_and_saveexec_b64 s[10:11], s[2:3]
	s_xor_b64 s[2:3], exec, s[10:11]
; %bb.132:                              ;   in Loop: Header=BB168_43 Depth=1
	v_bfe_u32 v3, v2, 16, 1
	v_add3_u32 v50, v2, v3, s17
                                        ; implicit-def: $vgpr2
; %bb.133:                              ;   in Loop: Header=BB168_43 Depth=1
	s_andn2_saveexec_b64 s[10:11], s[2:3]
; %bb.134:                              ;   in Loop: Header=BB168_43 Depth=1
	v_or_b32_e32 v3, 0x10000, v2
	v_cmp_eq_u32_sdwa s[2:3], v2, v11 src0_sel:WORD_0 src1_sel:DWORD
	v_cndmask_b32_e64 v50, v3, v2, s[2:3]
; %bb.135:                              ;   in Loop: Header=BB168_43 Depth=1
	s_or_b64 exec, exec, s[10:11]
	v_lshlrev_b32_e32 v2, 16, v5
	v_mul_f32_e32 v2, v43, v2
	v_and_b32_e32 v3, 0x7f800000, v2
	v_cmp_ne_u32_e64 s[2:3], s13, v3
                                        ; implicit-def: $vgpr51
	s_and_saveexec_b64 s[10:11], s[2:3]
	s_xor_b64 s[2:3], exec, s[10:11]
; %bb.136:                              ;   in Loop: Header=BB168_43 Depth=1
	v_bfe_u32 v3, v2, 16, 1
	v_add3_u32 v51, v2, v3, s17
                                        ; implicit-def: $vgpr2
; %bb.137:                              ;   in Loop: Header=BB168_43 Depth=1
	s_andn2_saveexec_b64 s[10:11], s[2:3]
; %bb.138:                              ;   in Loop: Header=BB168_43 Depth=1
	v_or_b32_e32 v3, 0x10000, v2
	v_cmp_eq_u32_sdwa s[2:3], v2, v11 src0_sel:WORD_0 src1_sel:DWORD
	v_cndmask_b32_e64 v51, v3, v2, s[2:3]
; %bb.139:                              ;   in Loop: Header=BB168_43 Depth=1
	s_or_b64 exec, exec, s[10:11]
	v_lshlrev_b32_e32 v2, 16, v52
	v_mul_f32_e32 v2, v44, v2
	v_and_b32_e32 v3, 0x7f800000, v2
	v_cmp_ne_u32_e64 s[2:3], s13, v3
                                        ; implicit-def: $vgpr52
	s_and_saveexec_b64 s[10:11], s[2:3]
	s_xor_b64 s[2:3], exec, s[10:11]
; %bb.140:                              ;   in Loop: Header=BB168_43 Depth=1
	v_bfe_u32 v3, v2, 16, 1
	v_add3_u32 v52, v2, v3, s17
                                        ; implicit-def: $vgpr2
; %bb.141:                              ;   in Loop: Header=BB168_43 Depth=1
	s_andn2_saveexec_b64 s[10:11], s[2:3]
; %bb.142:                              ;   in Loop: Header=BB168_43 Depth=1
	v_or_b32_e32 v3, 0x10000, v2
	v_cmp_eq_u32_sdwa s[2:3], v2, v11 src0_sel:WORD_0 src1_sel:DWORD
	v_cndmask_b32_e64 v52, v3, v2, s[2:3]
; %bb.143:                              ;   in Loop: Header=BB168_43 Depth=1
	s_or_b64 exec, exec, s[10:11]
	global_load_dwordx4 v[2:5], v[6:7], off offset:2048
	s_waitcnt vmcnt(0)
	v_lshrrev_b32_e32 v54, 16, v2
	v_lshrrev_b32_e32 v56, 16, v3
	;; [unrolled: 1-line block ×4, first 2 shown]
	s_and_saveexec_b64 s[10:11], vcc
	s_cbranch_execz .LBB168_145
; %bb.144:                              ;   in Loop: Header=BB168_43 Depth=1
	v_cmp_gt_i32_e64 s[2:3], s33, v29
	v_cndmask_b32_e64 v2, 0, v2, s[2:3]
	v_cmp_gt_i32_e64 s[2:3], s33, v35
	v_cndmask_b32_e64 v54, 0, v54, s[2:3]
	;; [unrolled: 2-line block ×8, first 2 shown]
.LBB168_145:                            ;   in Loop: Header=BB168_43 Depth=1
	s_or_b64 exec, exec, s[10:11]
	v_lshlrev_b32_e32 v2, 16, v2
	v_mul_f32_e32 v2, v37, v2
	v_and_b32_e32 v53, 0x7f800000, v2
	v_cmp_ne_u32_e64 s[2:3], s13, v53
                                        ; implicit-def: $vgpr53
	s_and_saveexec_b64 s[10:11], s[2:3]
	s_xor_b64 s[2:3], exec, s[10:11]
; %bb.146:                              ;   in Loop: Header=BB168_43 Depth=1
	v_bfe_u32 v53, v2, 16, 1
	v_add3_u32 v53, v2, v53, s17
                                        ; implicit-def: $vgpr2
; %bb.147:                              ;   in Loop: Header=BB168_43 Depth=1
	s_andn2_saveexec_b64 s[10:11], s[2:3]
; %bb.148:                              ;   in Loop: Header=BB168_43 Depth=1
	v_or_b32_e32 v53, 0x10000, v2
	v_cmp_eq_u32_sdwa s[2:3], v2, v11 src0_sel:WORD_0 src1_sel:DWORD
	v_cndmask_b32_e64 v53, v53, v2, s[2:3]
; %bb.149:                              ;   in Loop: Header=BB168_43 Depth=1
	s_or_b64 exec, exec, s[10:11]
	v_lshlrev_b32_e32 v2, 16, v54
	v_mul_f32_e32 v2, v38, v2
	v_and_b32_e32 v54, 0x7f800000, v2
	v_cmp_ne_u32_e64 s[2:3], s13, v54
                                        ; implicit-def: $vgpr54
	s_and_saveexec_b64 s[10:11], s[2:3]
	s_xor_b64 s[2:3], exec, s[10:11]
; %bb.150:                              ;   in Loop: Header=BB168_43 Depth=1
	v_bfe_u32 v54, v2, 16, 1
	v_add3_u32 v54, v2, v54, s17
                                        ; implicit-def: $vgpr2
; %bb.151:                              ;   in Loop: Header=BB168_43 Depth=1
	s_andn2_saveexec_b64 s[10:11], s[2:3]
; %bb.152:                              ;   in Loop: Header=BB168_43 Depth=1
	v_or_b32_e32 v54, 0x10000, v2
	v_cmp_eq_u32_sdwa s[2:3], v2, v11 src0_sel:WORD_0 src1_sel:DWORD
	v_cndmask_b32_e64 v54, v54, v2, s[2:3]
; %bb.153:                              ;   in Loop: Header=BB168_43 Depth=1
	s_or_b64 exec, exec, s[10:11]
	v_lshlrev_b32_e32 v2, 16, v3
	v_mul_f32_e32 v2, v39, v2
	v_and_b32_e32 v3, 0x7f800000, v2
	v_cmp_ne_u32_e64 s[2:3], s13, v3
                                        ; implicit-def: $vgpr55
	s_and_saveexec_b64 s[10:11], s[2:3]
	s_xor_b64 s[2:3], exec, s[10:11]
; %bb.154:                              ;   in Loop: Header=BB168_43 Depth=1
	v_bfe_u32 v3, v2, 16, 1
	v_add3_u32 v55, v2, v3, s17
                                        ; implicit-def: $vgpr2
; %bb.155:                              ;   in Loop: Header=BB168_43 Depth=1
	s_andn2_saveexec_b64 s[10:11], s[2:3]
; %bb.156:                              ;   in Loop: Header=BB168_43 Depth=1
	v_or_b32_e32 v3, 0x10000, v2
	v_cmp_eq_u32_sdwa s[2:3], v2, v11 src0_sel:WORD_0 src1_sel:DWORD
	v_cndmask_b32_e64 v55, v3, v2, s[2:3]
; %bb.157:                              ;   in Loop: Header=BB168_43 Depth=1
	s_or_b64 exec, exec, s[10:11]
	v_lshlrev_b32_e32 v2, 16, v56
	v_mul_f32_e32 v2, v40, v2
	v_and_b32_e32 v3, 0x7f800000, v2
	v_cmp_ne_u32_e64 s[2:3], s13, v3
                                        ; implicit-def: $vgpr56
	s_and_saveexec_b64 s[10:11], s[2:3]
	s_xor_b64 s[2:3], exec, s[10:11]
; %bb.158:                              ;   in Loop: Header=BB168_43 Depth=1
	v_bfe_u32 v3, v2, 16, 1
	v_add3_u32 v56, v2, v3, s17
                                        ; implicit-def: $vgpr2
; %bb.159:                              ;   in Loop: Header=BB168_43 Depth=1
	s_andn2_saveexec_b64 s[10:11], s[2:3]
; %bb.160:                              ;   in Loop: Header=BB168_43 Depth=1
	v_or_b32_e32 v3, 0x10000, v2
	v_cmp_eq_u32_sdwa s[2:3], v2, v11 src0_sel:WORD_0 src1_sel:DWORD
	v_cndmask_b32_e64 v56, v3, v2, s[2:3]
; %bb.161:                              ;   in Loop: Header=BB168_43 Depth=1
	s_or_b64 exec, exec, s[10:11]
	v_lshlrev_b32_e32 v2, 16, v4
	v_mul_f32_e32 v2, v41, v2
	v_and_b32_e32 v3, 0x7f800000, v2
	v_cmp_ne_u32_e64 s[2:3], s13, v3
                                        ; implicit-def: $vgpr57
	s_and_saveexec_b64 s[10:11], s[2:3]
	s_xor_b64 s[2:3], exec, s[10:11]
; %bb.162:                              ;   in Loop: Header=BB168_43 Depth=1
	v_bfe_u32 v3, v2, 16, 1
	v_add3_u32 v57, v2, v3, s17
                                        ; implicit-def: $vgpr2
; %bb.163:                              ;   in Loop: Header=BB168_43 Depth=1
	s_andn2_saveexec_b64 s[10:11], s[2:3]
; %bb.164:                              ;   in Loop: Header=BB168_43 Depth=1
	v_or_b32_e32 v3, 0x10000, v2
	v_cmp_eq_u32_sdwa s[2:3], v2, v11 src0_sel:WORD_0 src1_sel:DWORD
	v_cndmask_b32_e64 v57, v3, v2, s[2:3]
; %bb.165:                              ;   in Loop: Header=BB168_43 Depth=1
	s_or_b64 exec, exec, s[10:11]
	v_lshlrev_b32_e32 v2, 16, v58
	v_mul_f32_e32 v2, v42, v2
	v_and_b32_e32 v3, 0x7f800000, v2
	v_cmp_ne_u32_e64 s[2:3], s13, v3
                                        ; implicit-def: $vgpr58
	s_and_saveexec_b64 s[10:11], s[2:3]
	s_xor_b64 s[2:3], exec, s[10:11]
; %bb.166:                              ;   in Loop: Header=BB168_43 Depth=1
	v_bfe_u32 v3, v2, 16, 1
	v_add3_u32 v58, v2, v3, s17
                                        ; implicit-def: $vgpr2
; %bb.167:                              ;   in Loop: Header=BB168_43 Depth=1
	s_andn2_saveexec_b64 s[10:11], s[2:3]
; %bb.168:                              ;   in Loop: Header=BB168_43 Depth=1
	v_or_b32_e32 v3, 0x10000, v2
	v_cmp_eq_u32_sdwa s[2:3], v2, v11 src0_sel:WORD_0 src1_sel:DWORD
	v_cndmask_b32_e64 v58, v3, v2, s[2:3]
; %bb.169:                              ;   in Loop: Header=BB168_43 Depth=1
	s_or_b64 exec, exec, s[10:11]
	v_lshlrev_b32_e32 v2, 16, v5
	v_mul_f32_e32 v2, v43, v2
	v_and_b32_e32 v3, 0x7f800000, v2
	v_cmp_ne_u32_e64 s[2:3], s13, v3
                                        ; implicit-def: $vgpr59
	s_and_saveexec_b64 s[10:11], s[2:3]
	s_xor_b64 s[2:3], exec, s[10:11]
; %bb.170:                              ;   in Loop: Header=BB168_43 Depth=1
	v_bfe_u32 v3, v2, 16, 1
	v_add3_u32 v59, v2, v3, s17
                                        ; implicit-def: $vgpr2
; %bb.171:                              ;   in Loop: Header=BB168_43 Depth=1
	s_andn2_saveexec_b64 s[10:11], s[2:3]
; %bb.172:                              ;   in Loop: Header=BB168_43 Depth=1
	v_or_b32_e32 v3, 0x10000, v2
	v_cmp_eq_u32_sdwa s[2:3], v2, v11 src0_sel:WORD_0 src1_sel:DWORD
	v_cndmask_b32_e64 v59, v3, v2, s[2:3]
; %bb.173:                              ;   in Loop: Header=BB168_43 Depth=1
	s_or_b64 exec, exec, s[10:11]
	v_lshlrev_b32_e32 v2, 16, v60
	v_mul_f32_e32 v2, v44, v2
	v_and_b32_e32 v3, 0x7f800000, v2
	v_cmp_ne_u32_e64 s[2:3], s13, v3
                                        ; implicit-def: $vgpr60
	s_and_saveexec_b64 s[10:11], s[2:3]
	s_xor_b64 s[2:3], exec, s[10:11]
; %bb.174:                              ;   in Loop: Header=BB168_43 Depth=1
	v_bfe_u32 v3, v2, 16, 1
	v_add3_u32 v60, v2, v3, s17
                                        ; implicit-def: $vgpr2
; %bb.175:                              ;   in Loop: Header=BB168_43 Depth=1
	s_andn2_saveexec_b64 s[10:11], s[2:3]
; %bb.176:                              ;   in Loop: Header=BB168_43 Depth=1
	v_or_b32_e32 v3, 0x10000, v2
	v_cmp_eq_u32_sdwa s[2:3], v2, v11 src0_sel:WORD_0 src1_sel:DWORD
	v_cndmask_b32_e64 v60, v3, v2, s[2:3]
; %bb.177:                              ;   in Loop: Header=BB168_43 Depth=1
	s_or_b64 exec, exec, s[10:11]
	global_load_dwordx4 v[2:5], v[6:7], off offset:3072
	s_waitcnt vmcnt(0)
	v_lshrrev_b32_e32 v6, 16, v2
	v_lshrrev_b32_e32 v62, 16, v3
	;; [unrolled: 1-line block ×4, first 2 shown]
	s_and_saveexec_b64 s[2:3], vcc
	s_cbranch_execz .LBB168_179
; %bb.178:                              ;   in Loop: Header=BB168_43 Depth=1
	v_cmp_gt_i32_e32 vcc, s33, v29
	v_cndmask_b32_e32 v2, 0, v2, vcc
	v_cmp_gt_i32_e32 vcc, s33, v35
	v_cndmask_b32_e32 v6, 0, v6, vcc
	;; [unrolled: 2-line block ×8, first 2 shown]
.LBB168_179:                            ;   in Loop: Header=BB168_43 Depth=1
	s_or_b64 exec, exec, s[2:3]
	v_lshlrev_b32_e32 v2, 16, v2
	v_mul_f32_e32 v29, v37, v2
	v_and_b32_e32 v2, 0x7f800000, v29
	v_cmp_ne_u32_e32 vcc, s13, v2
                                        ; implicit-def: $vgpr2
	s_and_saveexec_b64 s[2:3], vcc
	s_xor_b64 s[2:3], exec, s[2:3]
; %bb.180:                              ;   in Loop: Header=BB168_43 Depth=1
	v_bfe_u32 v2, v29, 16, 1
	v_add3_u32 v2, v29, v2, s17
                                        ; implicit-def: $vgpr29
; %bb.181:                              ;   in Loop: Header=BB168_43 Depth=1
	s_andn2_saveexec_b64 s[2:3], s[2:3]
; %bb.182:                              ;   in Loop: Header=BB168_43 Depth=1
	v_or_b32_e32 v2, 0x10000, v29
	v_cmp_eq_u32_sdwa vcc, v29, v11 src0_sel:WORD_0 src1_sel:DWORD
	v_cndmask_b32_e32 v2, v2, v29, vcc
; %bb.183:                              ;   in Loop: Header=BB168_43 Depth=1
	s_or_b64 exec, exec, s[2:3]
	v_lshlrev_b32_e32 v6, 16, v6
	v_mul_f32_e32 v29, v38, v6
	v_and_b32_e32 v6, 0x7f800000, v29
	v_cmp_ne_u32_e32 vcc, s13, v6
                                        ; implicit-def: $vgpr6
	s_and_saveexec_b64 s[2:3], vcc
	s_xor_b64 s[2:3], exec, s[2:3]
; %bb.184:                              ;   in Loop: Header=BB168_43 Depth=1
	v_bfe_u32 v6, v29, 16, 1
	v_add3_u32 v6, v29, v6, s17
                                        ; implicit-def: $vgpr29
; %bb.185:                              ;   in Loop: Header=BB168_43 Depth=1
	s_andn2_saveexec_b64 s[2:3], s[2:3]
; %bb.186:                              ;   in Loop: Header=BB168_43 Depth=1
	v_or_b32_e32 v6, 0x10000, v29
	v_cmp_eq_u32_sdwa vcc, v29, v11 src0_sel:WORD_0 src1_sel:DWORD
	v_cndmask_b32_e32 v6, v6, v29, vcc
; %bb.187:                              ;   in Loop: Header=BB168_43 Depth=1
	s_or_b64 exec, exec, s[2:3]
	v_lshlrev_b32_e32 v3, 16, v3
	v_mul_f32_e32 v29, v39, v3
	v_and_b32_e32 v3, 0x7f800000, v29
	v_cmp_ne_u32_e32 vcc, s13, v3
                                        ; implicit-def: $vgpr3
	s_and_saveexec_b64 s[2:3], vcc
	s_xor_b64 s[2:3], exec, s[2:3]
; %bb.188:                              ;   in Loop: Header=BB168_43 Depth=1
	v_bfe_u32 v3, v29, 16, 1
	v_add3_u32 v3, v29, v3, s17
                                        ; implicit-def: $vgpr29
; %bb.189:                              ;   in Loop: Header=BB168_43 Depth=1
	s_andn2_saveexec_b64 s[2:3], s[2:3]
; %bb.190:                              ;   in Loop: Header=BB168_43 Depth=1
	v_or_b32_e32 v3, 0x10000, v29
	v_cmp_eq_u32_sdwa vcc, v29, v11 src0_sel:WORD_0 src1_sel:DWORD
	v_cndmask_b32_e32 v3, v3, v29, vcc
; %bb.191:                              ;   in Loop: Header=BB168_43 Depth=1
	s_or_b64 exec, exec, s[2:3]
	v_lshlrev_b32_e32 v29, 16, v62
	v_mul_f32_e32 v30, v40, v29
	v_and_b32_e32 v29, 0x7f800000, v30
	v_cmp_ne_u32_e32 vcc, s13, v29
                                        ; implicit-def: $vgpr29
	s_and_saveexec_b64 s[2:3], vcc
	s_xor_b64 s[2:3], exec, s[2:3]
; %bb.192:                              ;   in Loop: Header=BB168_43 Depth=1
	v_bfe_u32 v29, v30, 16, 1
	v_add3_u32 v29, v30, v29, s17
                                        ; implicit-def: $vgpr30
; %bb.193:                              ;   in Loop: Header=BB168_43 Depth=1
	s_andn2_saveexec_b64 s[2:3], s[2:3]
; %bb.194:                              ;   in Loop: Header=BB168_43 Depth=1
	v_or_b32_e32 v29, 0x10000, v30
	v_cmp_eq_u32_sdwa vcc, v30, v11 src0_sel:WORD_0 src1_sel:DWORD
	v_cndmask_b32_e32 v29, v29, v30, vcc
; %bb.195:                              ;   in Loop: Header=BB168_43 Depth=1
	s_or_b64 exec, exec, s[2:3]
	v_lshlrev_b32_e32 v4, 16, v4
	v_mul_f32_e32 v30, v41, v4
	v_and_b32_e32 v4, 0x7f800000, v30
	v_cmp_ne_u32_e32 vcc, s13, v4
                                        ; implicit-def: $vgpr4
	s_and_saveexec_b64 s[2:3], vcc
	s_xor_b64 s[2:3], exec, s[2:3]
; %bb.196:                              ;   in Loop: Header=BB168_43 Depth=1
	v_bfe_u32 v4, v30, 16, 1
	v_add3_u32 v4, v30, v4, s17
                                        ; implicit-def: $vgpr30
; %bb.197:                              ;   in Loop: Header=BB168_43 Depth=1
	s_andn2_saveexec_b64 s[2:3], s[2:3]
; %bb.198:                              ;   in Loop: Header=BB168_43 Depth=1
	v_or_b32_e32 v4, 0x10000, v30
	v_cmp_eq_u32_sdwa vcc, v30, v11 src0_sel:WORD_0 src1_sel:DWORD
	v_cndmask_b32_e32 v4, v4, v30, vcc
; %bb.199:                              ;   in Loop: Header=BB168_43 Depth=1
	s_or_b64 exec, exec, s[2:3]
	v_lshlrev_b32_e32 v30, 16, v61
	v_mul_f32_e32 v31, v42, v30
	v_and_b32_e32 v30, 0x7f800000, v31
	v_cmp_ne_u32_e32 vcc, s13, v30
                                        ; implicit-def: $vgpr30
	s_and_saveexec_b64 s[2:3], vcc
	s_xor_b64 s[2:3], exec, s[2:3]
; %bb.200:                              ;   in Loop: Header=BB168_43 Depth=1
	v_bfe_u32 v30, v31, 16, 1
	v_add3_u32 v30, v31, v30, s17
                                        ; implicit-def: $vgpr31
; %bb.201:                              ;   in Loop: Header=BB168_43 Depth=1
	s_andn2_saveexec_b64 s[2:3], s[2:3]
; %bb.202:                              ;   in Loop: Header=BB168_43 Depth=1
	v_or_b32_e32 v30, 0x10000, v31
	v_cmp_eq_u32_sdwa vcc, v31, v11 src0_sel:WORD_0 src1_sel:DWORD
	v_cndmask_b32_e32 v30, v30, v31, vcc
; %bb.203:                              ;   in Loop: Header=BB168_43 Depth=1
	s_or_b64 exec, exec, s[2:3]
	v_lshlrev_b32_e32 v5, 16, v5
	v_mul_f32_e32 v31, v43, v5
	v_and_b32_e32 v5, 0x7f800000, v31
	v_cmp_ne_u32_e32 vcc, s13, v5
                                        ; implicit-def: $vgpr5
	s_and_saveexec_b64 s[2:3], vcc
	s_xor_b64 s[2:3], exec, s[2:3]
; %bb.204:                              ;   in Loop: Header=BB168_43 Depth=1
	v_bfe_u32 v5, v31, 16, 1
	v_add3_u32 v5, v31, v5, s17
                                        ; implicit-def: $vgpr31
; %bb.205:                              ;   in Loop: Header=BB168_43 Depth=1
	s_andn2_saveexec_b64 s[2:3], s[2:3]
; %bb.206:                              ;   in Loop: Header=BB168_43 Depth=1
	v_or_b32_e32 v5, 0x10000, v31
	v_cmp_eq_u32_sdwa vcc, v31, v11 src0_sel:WORD_0 src1_sel:DWORD
	v_cndmask_b32_e32 v5, v5, v31, vcc
; %bb.207:                              ;   in Loop: Header=BB168_43 Depth=1
	s_or_b64 exec, exec, s[2:3]
	v_lshlrev_b32_e32 v7, 16, v7
	v_mul_f32_e32 v31, v44, v7
	v_and_b32_e32 v7, 0x7f800000, v31
	v_cmp_ne_u32_e32 vcc, s13, v7
                                        ; implicit-def: $vgpr7
	s_and_saveexec_b64 s[2:3], vcc
	s_xor_b64 s[2:3], exec, s[2:3]
; %bb.208:                              ;   in Loop: Header=BB168_43 Depth=1
	v_bfe_u32 v7, v31, 16, 1
	v_add3_u32 v7, v31, v7, s17
                                        ; implicit-def: $vgpr31
; %bb.209:                              ;   in Loop: Header=BB168_43 Depth=1
	s_andn2_saveexec_b64 s[2:3], s[2:3]
	s_cbranch_execz .LBB168_42
; %bb.210:                              ;   in Loop: Header=BB168_43 Depth=1
	v_or_b32_e32 v7, 0x10000, v31
	v_cmp_eq_u32_sdwa vcc, v31, v11 src0_sel:WORD_0 src1_sel:DWORD
	v_cndmask_b32_e32 v7, v7, v31, vcc
	s_branch .LBB168_42
.LBB168_211:
	s_or_b64 exec, exec, s[6:7]
.LBB168_212:
	s_or_b64 exec, exec, s[4:5]
	ds_bpermute_b32 v2, v18, v14
	ds_bpermute_b32 v3, v18, v15
	;; [unrolled: 1-line block ×4, first 2 shown]
	s_waitcnt lgkmcnt(0)
	s_barrier
	v_pk_add_f32 v[4:5], v[14:15], v[2:3]
	v_pk_add_f32 v[2:3], v[12:13], v[6:7]
	v_and_b32_e32 v6, 0x3c1, v0
	v_cmp_eq_u32_e32 vcc, 64, v6
	s_and_saveexec_b64 s[2:3], vcc
	s_cbranch_execz .LBB168_214
; %bb.213:
	v_mov_b32_e32 v6, 0x110
	v_lshl_add_u32 v1, v1, 1, v6
	ds_write2_b32 v1, v4, v5 offset1:32
	ds_write2_b32 v1, v2, v3 offset0:64 offset1:96
.LBB168_214:
	s_or_b64 exec, exec, s[2:3]
	s_waitcnt lgkmcnt(0)
	s_barrier
	s_and_saveexec_b64 s[2:3], s[0:1]
	s_cbranch_execz .LBB168_221
; %bb.215:
	v_cmp_eq_u32_e32 vcc, 0, v19
	v_lshrrev_b32_e32 v1, 1, v0
	s_and_saveexec_b64 s[4:5], vcc
	s_cbranch_execnz .LBB168_241
; %bb.216:
	s_or_b64 exec, exec, s[4:5]
	s_and_saveexec_b64 s[4:5], vcc
	s_cbranch_execnz .LBB168_242
.LBB168_217:
	s_or_b64 exec, exec, s[4:5]
	s_and_saveexec_b64 s[4:5], vcc
	s_cbranch_execnz .LBB168_243
.LBB168_218:
	s_or_b64 exec, exec, s[4:5]
	s_and_saveexec_b64 s[4:5], vcc
	s_cbranch_execz .LBB168_220
.LBB168_219:
	v_mov_b32_e32 v6, 0x110
	v_lshl_add_u32 v1, v1, 2, v6
	ds_read_b32 v1, v1 offset:384
	s_waitcnt lgkmcnt(0)
	v_add_f32_e32 v3, v3, v1
.LBB168_220:
	s_or_b64 exec, exec, s[4:5]
.LBB168_221:
	s_or_b64 exec, exec, s[2:3]
	s_barrier
	s_and_saveexec_b64 s[2:3], s[0:1]
	s_cbranch_execz .LBB168_240
; %bb.222:
	v_cmp_eq_u32_e32 vcc, 0, v19
	s_and_b64 exec, exec, vcc
	s_cbranch_execz .LBB168_240
; %bb.223:
	s_mov_b32 s0, 0x7f800000
	v_and_b32_e32 v1, 0x7f800000, v4
	v_cmp_ne_u32_e32 vcc, s0, v1
                                        ; implicit-def: $vgpr1
	s_and_saveexec_b64 s[0:1], vcc
	s_xor_b64 s[0:1], exec, s[0:1]
; %bb.224:
	v_bfe_u32 v1, v4, 16, 1
	s_movk_i32 s2, 0x7fff
	v_add3_u32 v1, v4, v1, s2
; %bb.225:
	s_andn2_saveexec_b64 s[0:1], s[0:1]
; %bb.226:
	v_mov_b32_e32 v1, 0
	v_or_b32_e32 v6, 0x10000, v4
	v_cmp_eq_u32_sdwa vcc, v4, v1 src0_sel:WORD_0 src1_sel:DWORD
	v_cndmask_b32_e32 v1, v6, v4, vcc
; %bb.227:
	s_or_b64 exec, exec, s[0:1]
	s_mul_i32 s0, s16, s14
	s_mul_i32 s0, s0, s15
	s_lshl_b32 s0, s0, 7
	s_ashr_i32 s1, s0, 31
	s_lshl_b64 s[0:1], s[0:1], 1
	s_add_u32 s2, s26, s0
	s_mul_i32 s0, s16, s24
	s_addc_u32 s3, s27, s1
	s_ashr_i32 s1, s0, 31
	s_lshl_b64 s[0:1], s[0:1], 1
	s_add_u32 s2, s2, s0
	s_addc_u32 s3, s3, s1
	s_lshl_b32 s0, s8, 7
	s_ashr_i32 s1, s0, 31
	s_lshl_b64 s[0:1], s[0:1], 1
	s_add_u32 s0, s2, s0
	s_addc_u32 s1, s3, s1
	v_and_b32_e32 v0, 0x3fe, v0
	v_mov_b32_e32 v4, s1
	v_add_co_u32_e32 v6, vcc, s0, v0
	v_addc_co_u32_e32 v7, vcc, 0, v4, vcc
	global_store_short_d16_hi v0, v1, s[0:1]
	s_mov_b32 s0, 0x7f800000
	v_and_b32_e32 v0, 0x7f800000, v5
	v_cmp_ne_u32_e32 vcc, s0, v0
                                        ; implicit-def: $vgpr0
	s_and_saveexec_b64 s[0:1], vcc
	s_xor_b64 s[0:1], exec, s[0:1]
; %bb.228:
	v_bfe_u32 v0, v5, 16, 1
	s_movk_i32 s2, 0x7fff
	v_add3_u32 v0, v5, v0, s2
; %bb.229:
	s_andn2_saveexec_b64 s[0:1], s[0:1]
; %bb.230:
	v_mov_b32_e32 v0, 0
	v_or_b32_e32 v1, 0x10000, v5
	v_cmp_eq_u32_sdwa vcc, v5, v0 src0_sel:WORD_0 src1_sel:DWORD
	v_cndmask_b32_e32 v0, v1, v5, vcc
; %bb.231:
	s_or_b64 exec, exec, s[0:1]
	global_store_short_d16_hi v[6:7], v0, off offset:64
	s_mov_b32 s0, 0x7f800000
	v_and_b32_e32 v0, 0x7f800000, v2
	v_cmp_ne_u32_e32 vcc, s0, v0
                                        ; implicit-def: $vgpr0
	s_and_saveexec_b64 s[0:1], vcc
	s_xor_b64 s[0:1], exec, s[0:1]
; %bb.232:
	v_bfe_u32 v0, v2, 16, 1
	s_movk_i32 s2, 0x7fff
	v_add3_u32 v0, v2, v0, s2
; %bb.233:
	s_andn2_saveexec_b64 s[0:1], s[0:1]
; %bb.234:
	v_mov_b32_e32 v0, 0
	v_or_b32_e32 v1, 0x10000, v2
	v_cmp_eq_u32_sdwa vcc, v2, v0 src0_sel:WORD_0 src1_sel:DWORD
	v_cndmask_b32_e32 v0, v1, v2, vcc
; %bb.235:
	s_or_b64 exec, exec, s[0:1]
	global_store_short_d16_hi v[6:7], v0, off offset:128
	s_mov_b32 s0, 0x7f800000
	v_and_b32_e32 v0, 0x7f800000, v3
	v_cmp_ne_u32_e32 vcc, s0, v0
                                        ; implicit-def: $vgpr4
	s_and_saveexec_b64 s[0:1], vcc
	s_xor_b64 s[0:1], exec, s[0:1]
; %bb.236:
	v_bfe_u32 v0, v3, 16, 1
	s_movk_i32 s2, 0x7fff
	v_add3_u32 v4, v3, v0, s2
                                        ; implicit-def: $vgpr0_vgpr1_vgpr2_vgpr3
; %bb.237:
	s_andn2_saveexec_b64 s[0:1], s[0:1]
; %bb.238:
	v_mov_b32_e32 v0, 0
	v_or_b32_e32 v1, 0x10000, v3
	v_cmp_eq_u32_sdwa vcc, v3, v0 src0_sel:WORD_0 src1_sel:DWORD
	v_cndmask_b32_e32 v4, v1, v3, vcc
; %bb.239:
	s_or_b64 exec, exec, s[0:1]
	global_store_short_d16_hi v[6:7], v4, off offset:192
.LBB168_240:
	s_endpgm
.LBB168_241:
	v_mov_b32_e32 v6, 0x110
	v_lshl_add_u32 v6, v1, 2, v6
	ds_read_b32 v6, v6
	s_waitcnt lgkmcnt(0)
	v_add_f32_e32 v4, v4, v6
	s_or_b64 exec, exec, s[4:5]
	s_and_saveexec_b64 s[4:5], vcc
	s_cbranch_execz .LBB168_217
.LBB168_242:
	v_mov_b32_e32 v6, 0x110
	v_lshl_add_u32 v6, v1, 2, v6
	ds_read_b32 v6, v6 offset:128
	s_waitcnt lgkmcnt(0)
	v_add_f32_e32 v5, v5, v6
	s_or_b64 exec, exec, s[4:5]
	s_and_saveexec_b64 s[4:5], vcc
	s_cbranch_execz .LBB168_218
.LBB168_243:
	v_mov_b32_e32 v6, 0x110
	v_lshl_add_u32 v6, v1, 2, v6
	ds_read_b32 v6, v6 offset:256
	s_waitcnt lgkmcnt(0)
	v_add_f32_e32 v2, v2, v6
	s_or_b64 exec, exec, s[4:5]
	s_and_saveexec_b64 s[4:5], vcc
	s_cbranch_execnz .LBB168_219
	s_branch .LBB168_220
	.section	.rodata,"a",@progbits
	.p2align	6, 0x0
	.amdhsa_kernel _ZN4vllm25paged_attention_v2_kernelI14__hip_bfloat16S1_Li128ELi16ELi128ELNS_18Fp8KVCacheDataTypeE0ELb0ELi512EEEvPfS3_PT_PKS4_PKT0_SA_ifPKiSC_iPKfiiiSE_SE_iiiii
		.amdhsa_group_segment_fixed_size 272
		.amdhsa_private_segment_fixed_size 0
		.amdhsa_kernarg_size 400
		.amdhsa_user_sgpr_count 6
		.amdhsa_user_sgpr_private_segment_buffer 1
		.amdhsa_user_sgpr_dispatch_ptr 0
		.amdhsa_user_sgpr_queue_ptr 0
		.amdhsa_user_sgpr_kernarg_segment_ptr 1
		.amdhsa_user_sgpr_dispatch_id 0
		.amdhsa_user_sgpr_flat_scratch_init 0
		.amdhsa_user_sgpr_kernarg_preload_length 0
		.amdhsa_user_sgpr_kernarg_preload_offset 0
		.amdhsa_user_sgpr_private_segment_size 0
		.amdhsa_uses_dynamic_stack 0
		.amdhsa_system_sgpr_private_segment_wavefront_offset 0
		.amdhsa_system_sgpr_workgroup_id_x 1
		.amdhsa_system_sgpr_workgroup_id_y 1
		.amdhsa_system_sgpr_workgroup_id_z 1
		.amdhsa_system_sgpr_workgroup_info 0
		.amdhsa_system_vgpr_workitem_id 0
		.amdhsa_next_free_vgpr 78
		.amdhsa_next_free_sgpr 44
		.amdhsa_accum_offset 80
		.amdhsa_reserve_vcc 1
		.amdhsa_reserve_flat_scratch 0
		.amdhsa_float_round_mode_32 0
		.amdhsa_float_round_mode_16_64 0
		.amdhsa_float_denorm_mode_32 3
		.amdhsa_float_denorm_mode_16_64 3
		.amdhsa_dx10_clamp 1
		.amdhsa_ieee_mode 1
		.amdhsa_fp16_overflow 0
		.amdhsa_tg_split 0
		.amdhsa_exception_fp_ieee_invalid_op 0
		.amdhsa_exception_fp_denorm_src 0
		.amdhsa_exception_fp_ieee_div_zero 0
		.amdhsa_exception_fp_ieee_overflow 0
		.amdhsa_exception_fp_ieee_underflow 0
		.amdhsa_exception_fp_ieee_inexact 0
		.amdhsa_exception_int_div_zero 0
	.end_amdhsa_kernel
	.section	.text._ZN4vllm25paged_attention_v2_kernelI14__hip_bfloat16S1_Li128ELi16ELi128ELNS_18Fp8KVCacheDataTypeE0ELb0ELi512EEEvPfS3_PT_PKS4_PKT0_SA_ifPKiSC_iPKfiiiSE_SE_iiiii,"axG",@progbits,_ZN4vllm25paged_attention_v2_kernelI14__hip_bfloat16S1_Li128ELi16ELi128ELNS_18Fp8KVCacheDataTypeE0ELb0ELi512EEEvPfS3_PT_PKS4_PKT0_SA_ifPKiSC_iPKfiiiSE_SE_iiiii,comdat
.Lfunc_end168:
	.size	_ZN4vllm25paged_attention_v2_kernelI14__hip_bfloat16S1_Li128ELi16ELi128ELNS_18Fp8KVCacheDataTypeE0ELb0ELi512EEEvPfS3_PT_PKS4_PKT0_SA_ifPKiSC_iPKfiiiSE_SE_iiiii, .Lfunc_end168-_ZN4vllm25paged_attention_v2_kernelI14__hip_bfloat16S1_Li128ELi16ELi128ELNS_18Fp8KVCacheDataTypeE0ELb0ELi512EEEvPfS3_PT_PKS4_PKT0_SA_ifPKiSC_iPKfiiiSE_SE_iiiii
                                        ; -- End function
	.section	.AMDGPU.csdata,"",@progbits
; Kernel info:
; codeLenInByte = 8540
; NumSgprs: 48
; NumVgprs: 78
; NumAgprs: 0
; TotalNumVgprs: 78
; ScratchSize: 0
; MemoryBound: 0
; FloatMode: 240
; IeeeMode: 1
; LDSByteSize: 272 bytes/workgroup (compile time only)
; SGPRBlocks: 5
; VGPRBlocks: 9
; NumSGPRsForWavesPerEU: 48
; NumVGPRsForWavesPerEU: 78
; AccumOffset: 80
; Occupancy: 6
; WaveLimiterHint : 1
; COMPUTE_PGM_RSRC2:SCRATCH_EN: 0
; COMPUTE_PGM_RSRC2:USER_SGPR: 6
; COMPUTE_PGM_RSRC2:TRAP_HANDLER: 0
; COMPUTE_PGM_RSRC2:TGID_X_EN: 1
; COMPUTE_PGM_RSRC2:TGID_Y_EN: 1
; COMPUTE_PGM_RSRC2:TGID_Z_EN: 1
; COMPUTE_PGM_RSRC2:TIDIG_COMP_CNT: 0
; COMPUTE_PGM_RSRC3_GFX90A:ACCUM_OFFSET: 19
; COMPUTE_PGM_RSRC3_GFX90A:TG_SPLIT: 0
	.section	.text._ZN4vllm25paged_attention_v2_kernelI14__hip_bfloat16S1_Li192ELi16ELi128ELNS_18Fp8KVCacheDataTypeE0ELb0ELi512EEEvPfS3_PT_PKS4_PKT0_SA_ifPKiSC_iPKfiiiSE_SE_iiiii,"axG",@progbits,_ZN4vllm25paged_attention_v2_kernelI14__hip_bfloat16S1_Li192ELi16ELi128ELNS_18Fp8KVCacheDataTypeE0ELb0ELi512EEEvPfS3_PT_PKS4_PKT0_SA_ifPKiSC_iPKfiiiSE_SE_iiiii,comdat
	.protected	_ZN4vllm25paged_attention_v2_kernelI14__hip_bfloat16S1_Li192ELi16ELi128ELNS_18Fp8KVCacheDataTypeE0ELb0ELi512EEEvPfS3_PT_PKS4_PKT0_SA_ifPKiSC_iPKfiiiSE_SE_iiiii ; -- Begin function _ZN4vllm25paged_attention_v2_kernelI14__hip_bfloat16S1_Li192ELi16ELi128ELNS_18Fp8KVCacheDataTypeE0ELb0ELi512EEEvPfS3_PT_PKS4_PKT0_SA_ifPKiSC_iPKfiiiSE_SE_iiiii
	.globl	_ZN4vllm25paged_attention_v2_kernelI14__hip_bfloat16S1_Li192ELi16ELi128ELNS_18Fp8KVCacheDataTypeE0ELb0ELi512EEEvPfS3_PT_PKS4_PKT0_SA_ifPKiSC_iPKfiiiSE_SE_iiiii
	.p2align	8
	.type	_ZN4vllm25paged_attention_v2_kernelI14__hip_bfloat16S1_Li192ELi16ELi128ELNS_18Fp8KVCacheDataTypeE0ELb0ELi512EEEvPfS3_PT_PKS4_PKT0_SA_ifPKiSC_iPKfiiiSE_SE_iiiii,@function
_ZN4vllm25paged_attention_v2_kernelI14__hip_bfloat16S1_Li192ELi16ELi128ELNS_18Fp8KVCacheDataTypeE0ELb0ELi512EEEvPfS3_PT_PKS4_PKT0_SA_ifPKiSC_iPKfiiiSE_SE_iiiii: ; @_ZN4vllm25paged_attention_v2_kernelI14__hip_bfloat16S1_Li192ELi16ELi128ELNS_18Fp8KVCacheDataTypeE0ELb0ELi512EEEvPfS3_PT_PKS4_PKT0_SA_ifPKiSC_iPKfiiiSE_SE_iiiii
; %bb.0:
	s_load_dwordx2 s[0:1], s[4:5], 0x40
	s_mov_b32 s20, s7
	s_ashr_i32 s21, s7, 31
	s_lshl_b64 s[2:3], s[20:21], 2
	s_waitcnt lgkmcnt(0)
	s_add_u32 s0, s0, s2
	s_addc_u32 s1, s1, s3
	s_load_dword s33, s[0:1], 0x0
	s_lshl_b32 s40, s8, 9
	s_waitcnt lgkmcnt(0)
	s_cmp_ge_i32 s40, s33
	s_cbranch_scc1 .LBB169_318
; %bb.1:
	s_load_dword s21, s[4:5], 0x90
	s_load_dwordx2 s[10:11], s[4:5], 0x30
	s_waitcnt lgkmcnt(0)
	s_abs_i32 s2, s21
	s_abs_i32 s0, s10
	v_cvt_f32_u32_e32 v1, s0
	s_sub_i32 s3, 0, s0
	s_xor_b32 s1, s21, s10
	s_ashr_i32 s1, s1, 31
	v_rcp_iflag_f32_e32 v1, v1
	s_mov_b32 s10, 0
	v_mul_f32_e32 v1, 0x4f7ffffe, v1
	v_cvt_u32_f32_e32 v1, v1
	v_readfirstlane_b32 s7, v1
	s_mul_i32 s3, s3, s7
	s_mul_hi_u32 s3, s7, s3
	s_add_i32 s7, s7, s3
	s_mul_hi_u32 s3, s2, s7
	s_mul_i32 s7, s3, s0
	s_sub_i32 s2, s2, s7
	s_add_i32 s9, s3, 1
	s_sub_i32 s7, s2, s0
	s_cmp_ge_u32 s2, s0
	s_cselect_b32 s3, s9, s3
	s_cselect_b32 s2, s7, s2
	s_add_i32 s7, s3, 1
	s_cmp_ge_u32 s2, s0
	s_cselect_b32 s0, s7, s3
	s_xor_b32 s0, s0, s1
	s_sub_i32 s9, s0, s1
	s_abs_i32 s2, s9
	v_cvt_f32_u32_e32 v1, s2
	s_load_dwordx2 s[0:1], s[4:5], 0x50
	s_sub_i32 s7, 0, s2
	s_abs_i32 s3, s6
	v_rcp_iflag_f32_e32 v1, v1
	v_mul_f32_e32 v1, 0x4f7ffffe, v1
	v_cvt_u32_f32_e32 v1, v1
	v_readfirstlane_b32 s12, v1
	s_mul_i32 s7, s7, s12
	s_mul_hi_u32 s7, s12, s7
	s_add_i32 s12, s12, s7
	s_waitcnt lgkmcnt(0)
	s_cmp_eq_u64 s[0:1], 0
	s_mul_hi_u32 s16, s3, s12
	s_cbranch_scc1 .LBB169_3
; %bb.2:
	s_ashr_i32 s7, s6, 31
	s_lshl_b64 s[12:13], s[6:7], 2
	s_add_u32 s0, s0, s12
	s_addc_u32 s1, s1, s13
	s_load_dword s10, s[0:1], 0x0
.LBB169_3:
	s_load_dwordx4 s[12:15], s[4:5], 0x58
	s_movk_i32 s7, 0x60
	s_ashr_i32 s17, s6, 31
	s_ashr_i32 s18, s9, 31
	v_and_b32_e32 v59, 3, v0
	s_mul_i32 s22, s6, 0xc0
	v_cmp_gt_u32_e32 vcc, s7, v0
	s_and_saveexec_b64 s[0:1], vcc
	s_cbranch_execz .LBB169_5
; %bb.4:
	s_load_dwordx2 s[24:25], s[4:5], 0x18
	s_waitcnt lgkmcnt(0)
	s_mul_i32 s26, s20, s12
	s_ashr_i32 s27, s26, 31
	s_lshl_b64 s[26:27], s[26:27], 1
	v_lshlrev_b32_e32 v1, 2, v0
	s_add_u32 s9, s24, s26
	s_addc_u32 s12, s25, s27
	s_ashr_i32 s23, s22, 31
	s_lshl_b64 s[24:25], s[22:23], 1
	s_add_u32 s24, s9, s24
	s_addc_u32 s25, s12, s25
	global_load_dword v1, v1, s[24:25]
	v_and_b32_e32 v2, 0x3fc, v0
	v_mad_u32_u24 v2, v59, s7, v2
	s_waitcnt vmcnt(0)
	ds_write_b32 v2, v1
.LBB169_5:
	s_or_b64 exec, exec, s[0:1]
	s_add_i32 s0, s33, 15
	s_ashr_i32 s1, s0, 31
	s_lshr_b32 s1, s1, 28
	s_add_i32 s0, s0, s1
	s_lshl_b32 s9, s8, 5
	s_mul_i32 s1, s16, s2
	s_ashr_i32 s7, s0, 4
	s_add_i32 s0, s9, 32
	s_sub_i32 s1, s3, s1
	s_min_i32 s23, s0, s7
	s_xor_b32 s0, s17, s18
	s_add_i32 s3, s16, 1
	s_waitcnt lgkmcnt(0)
	s_sub_i32 s12, s1, s2
	s_cmp_ge_u32 s1, s2
	s_cselect_b32 s3, s3, s16
	s_cselect_b32 s1, s12, s1
	s_add_i32 s12, s3, 1
	s_cmp_ge_u32 s1, s2
	s_load_dwordx2 s[26:27], s[4:5], 0x38
	s_load_dword s2, s[4:5], 0x48
	v_lshrrev_b32_e32 v4, 6, v0
	s_cselect_b32 s1, s12, s3
	s_xor_b32 s1, s1, s0
	v_or_b32_e32 v10, s9, v4
	s_waitcnt lgkmcnt(0)
	s_mul_i32 s28, s20, s2
	s_sub_i32 s15, s1, s0
	s_ashr_i32 s29, s28, 31
	v_cmp_gt_i32_e64 s[0:1], s23, v10
	v_cmp_le_i32_e32 vcc, s23, v10
	v_mbcnt_lo_u32_b32 v60, -1, 0
	s_barrier
	s_waitcnt lgkmcnt(0)
                                        ; implicit-def: $sgpr36
                                        ; implicit-def: $vgpr5
                                        ; implicit-def: $vgpr6
	s_and_saveexec_b64 s[2:3], vcc
	s_xor_b64 s[2:3], exec, s[2:3]
; %bb.6:
	v_mbcnt_hi_u32_b32 v5, -1, v60
	v_and_b32_e32 v1, 64, v5
	v_add_u32_e32 v6, 64, v1
	s_mov_b32 s36, 0xff7fffff
                                        ; implicit-def: $vgpr59
                                        ; implicit-def: $vgpr60
; %bb.7:
	s_or_saveexec_b64 s[34:35], s[2:3]
	s_load_dwordx4 s[16:19], s[4:5], 0x0
	s_load_dwordx2 s[24:25], s[4:5], 0x10
	s_load_dwordx2 s[30:31], s[4:5], 0x28
	s_load_dword s12, s[4:5], 0x98
	v_mov_b32_e32 v56, s36
	s_mul_i32 s14, s15, s14
	v_ashrrev_i32_e32 v11, 31, v10
	s_xor_b64 exec, exec, s[34:35]
	s_cbranch_execz .LBB169_13
; %bb.8:
	s_load_dwordx2 s[2:3], s[4:5], 0x20
	s_ashr_i32 s15, s14, 31
	s_lshl_b64 s[4:5], s[14:15], 1
	v_mul_u32_u24_e32 v2, 0x60, v59
	ds_read_b128 v[12:15], v2
	s_waitcnt lgkmcnt(0)
	s_add_u32 s4, s2, s4
	s_addc_u32 s5, s3, s5
	s_sub_i32 s15, 1, s33
	s_lshl_b64 s[2:3], s[28:29], 2
	s_add_u32 s2, s26, s2
	ds_read_b128 v[20:23], v2 offset:16
	ds_read_b128 v[28:31], v2 offset:32
	;; [unrolled: 1-line block ×5, first 2 shown]
	v_lshlrev_b64 v[2:3], 2, v[10:11]
	s_addc_u32 s3, s27, s3
	v_bfe_u32 v56, v0, 2, 4
	v_mov_b32_e32 v5, s3
	v_add_co_u32_e32 v2, vcc, s2, v2
	v_addc_co_u32_e32 v3, vcc, v5, v3, vcc
	v_lshlrev_b32_e32 v5, 4, v56
	v_mov_b32_e32 v6, s5
	v_add_co_u32_e32 v5, vcc, s4, v5
	v_lshlrev_b32_e32 v57, 2, v0
	v_addc_co_u32_e32 v6, vcc, 0, v6, vcc
	v_and_b32_e32 v57, 12, v57
	v_add_co_u32_e32 v57, vcc, v5, v57
	v_mbcnt_hi_u32_b32 v5, -1, v60
	v_addc_co_u32_e32 v58, vcc, 0, v6, vcc
	v_and_b32_e32 v6, 64, v5
	v_add_u32_e32 v6, 64, v6
	v_cmp_eq_u32_e32 vcc, 0, v59
	v_xor_b32_e32 v59, 2, v5
	v_cmp_lt_i32_e64 s[2:3], v59, v6
	v_xor_b32_e32 v60, 1, v5
	v_lshlrev_b32_e32 v61, 4, v4
	v_cndmask_b32_e64 v59, v5, v59, s[2:3]
	v_cmp_lt_i32_e64 s[2:3], v60, v6
	v_add3_u32 v61, s40, v61, v56
	v_lshlrev_b32_e32 v56, 2, v56
	v_cndmask_b32_e64 v60, v5, v60, s[2:3]
	v_lshl_or_b32 v56, v4, 6, v56
	s_mov_b32 s41, s13
	v_lshlrev_b32_e32 v1, 16, v12
	v_and_b32_e32 v7, 0xffff0000, v12
	v_lshlrev_b32_e32 v8, 16, v13
	v_and_b32_e32 v9, 0xffff0000, v13
	v_lshlrev_b32_e32 v12, 16, v14
	v_and_b32_e32 v13, 0xffff0000, v14
	v_lshlrev_b32_e32 v14, 16, v15
	v_and_b32_e32 v15, 0xffff0000, v15
	s_waitcnt lgkmcnt(4)
	v_lshlrev_b32_e32 v16, 16, v20
	v_and_b32_e32 v17, 0xffff0000, v20
	v_lshlrev_b32_e32 v18, 16, v21
	v_and_b32_e32 v19, 0xffff0000, v21
	v_lshlrev_b32_e32 v20, 16, v22
	v_and_b32_e32 v21, 0xffff0000, v22
	v_lshlrev_b32_e32 v22, 16, v23
	v_and_b32_e32 v23, 0xffff0000, v23
	s_waitcnt lgkmcnt(3)
	;; [unrolled: 9-line block ×5, first 2 shown]
	v_lshlrev_b32_e32 v48, 16, v52
	v_and_b32_e32 v49, 0xffff0000, v52
	v_lshlrev_b32_e32 v50, 16, v53
	v_and_b32_e32 v51, 0xffff0000, v53
	;; [unrolled: 2-line block ×4, first 2 shown]
	v_lshlrev_b32_e32 v59, 2, v59
	v_lshlrev_b32_e32 v60, 2, v60
	v_cmp_neq_f32_e64 s[2:3], s10, 0
	v_add_u32_e32 v62, 0x190, v56
	s_mov_b64 s[36:37], 0
	s_movk_i32 s42, 0x1000
	v_mov_b32_e32 v56, 0xff7fffff
	v_mov_b32_e32 v63, v10
	s_branch .LBB169_10
.LBB169_9:                              ;   in Loop: Header=BB169_10 Depth=1
	s_or_b64 exec, exec, s[38:39]
	v_add_u32_e32 v63, 2, v63
	v_cmp_le_i32_e64 s[4:5], s23, v63
	s_or_b64 s[36:37], s[4:5], s[36:37]
	v_add_co_u32_e64 v2, s[4:5], 8, v2
	v_add_u32_e32 v61, 32, v61
	v_add_u32_e32 v62, 0x80, v62
	v_addc_co_u32_e64 v3, s[4:5], 0, v3, s[4:5]
	s_andn2_b64 exec, exec, s[36:37]
	s_cbranch_execz .LBB169_12
.LBB169_10:                             ; =>This Inner Loop Header: Depth=1
	global_load_dword v64, v[2:3], off
	s_waitcnt vmcnt(0) lgkmcnt(0)
	v_mad_i64_i32 v[64:65], s[4:5], v64, s41, 0
	v_lshlrev_b64 v[64:65], 1, v[64:65]
	v_add_co_u32_e64 v64, s[4:5], v57, v64
	v_addc_co_u32_e64 v65, s[4:5], v58, v65, s[4:5]
	global_load_dword v66, v[64:65], off offset:512
	global_load_dword v67, v[64:65], off offset:768
	;; [unrolled: 1-line block ×7, first 2 shown]
	global_load_dword v73, v[64:65], off
	global_load_dword v74, v[64:65], off offset:2048
	global_load_dword v75, v[64:65], off offset:2304
	;; [unrolled: 1-line block ×8, first 2 shown]
	v_add_co_u32_e64 v64, s[4:5], s42, v64
	v_addc_co_u32_e64 v65, s[4:5], 0, v65, s[4:5]
	global_load_dword v82, v[64:65], off
	global_load_dword v83, v[64:65], off offset:256
	global_load_dword v84, v[64:65], off offset:512
	;; [unrolled: 1-line block ×6, first 2 shown]
	s_nop 0
	global_load_dword v64, v[64:65], off offset:1792
	s_waitcnt vmcnt(23)
	v_lshlrev_b32_e32 v90, 16, v66
	v_and_b32_e32 v66, 0xffff0000, v66
	s_waitcnt vmcnt(22)
	v_lshlrev_b32_e32 v91, 16, v67
	v_and_b32_e32 v67, 0xffff0000, v67
	;; [unrolled: 3-line block ×5, first 2 shown]
	v_mul_f32_e32 v65, v8, v65
	v_mul_f32_e32 v72, v9, v72
	v_fmac_f32_e32 v65, v1, v89
	v_fmac_f32_e32 v72, v7, v73
	v_fmac_f32_e32 v65, v12, v90
	v_fmac_f32_e32 v72, v13, v66
	v_fmac_f32_e32 v65, v14, v91
	v_fmac_f32_e32 v72, v15, v67
	v_lshlrev_b32_e32 v93, 16, v69
	v_and_b32_e32 v69, 0xffff0000, v69
	v_fmac_f32_e32 v65, v16, v92
	v_fmac_f32_e32 v72, v17, v68
	v_lshlrev_b32_e32 v94, 16, v70
	v_and_b32_e32 v70, 0xffff0000, v70
	v_fmac_f32_e32 v65, v18, v93
	v_fmac_f32_e32 v72, v19, v69
	;; [unrolled: 4-line block ×3, first 2 shown]
	s_waitcnt vmcnt(15)
	v_lshlrev_b32_e32 v96, 16, v74
	v_and_b32_e32 v74, 0xffff0000, v74
	v_fmac_f32_e32 v65, v22, v95
	v_fmac_f32_e32 v72, v23, v71
	s_waitcnt vmcnt(14)
	v_lshlrev_b32_e32 v97, 16, v75
	v_and_b32_e32 v75, 0xffff0000, v75
	v_fmac_f32_e32 v65, v24, v96
	v_fmac_f32_e32 v72, v25, v74
	;; [unrolled: 5-line block ×16, first 2 shown]
	v_fmac_f32_e32 v65, v54, v69
	v_fmac_f32_e32 v72, v55, v64
	v_add_f32_e32 v64, v65, v72
	ds_bpermute_b32 v65, v59, v64
	s_waitcnt lgkmcnt(0)
	v_add_f32_e32 v64, v64, v65
	ds_bpermute_b32 v65, v60, v64
	s_and_saveexec_b64 s[38:39], vcc
	s_cbranch_execz .LBB169_9
; %bb.11:                               ;   in Loop: Header=BB169_10 Depth=1
	v_add_u32_e32 v66, s15, v61
	v_cvt_f32_i32_e32 v66, v66
	s_waitcnt lgkmcnt(0)
	v_add_f32_e32 v64, v64, v65
	v_cmp_gt_i32_e64 s[4:5], s33, v61
	v_max_f32_e32 v65, v56, v56
	v_mul_f32_e32 v66, s10, v66
	v_cndmask_b32_e64 v66, 0, v66, s[2:3]
	v_fmac_f32_e32 v66, s11, v64
	v_cndmask_b32_e64 v64, 0, v66, s[4:5]
	ds_write_b32 v62, v64
	v_max_f32_e32 v64, v65, v66
	v_cndmask_b32_e64 v56, v56, v64, s[4:5]
	s_branch .LBB169_9
.LBB169_12:
	s_or_b64 exec, exec, s[36:37]
.LBB169_13:
	s_or_b64 exec, exec, s[34:35]
	v_xor_b32_e32 v1, 32, v5
	v_cmp_lt_i32_e32 vcc, v1, v6
	v_cndmask_b32_e32 v1, v5, v1, vcc
	v_lshlrev_b32_e32 v2, 2, v1
	ds_bpermute_b32 v1, v2, v56
	v_xor_b32_e32 v7, 16, v5
	v_max_f32_e32 v3, v56, v56
	v_cmp_lt_i32_e32 vcc, v7, v6
	v_xor_b32_e32 v8, 8, v5
	s_waitcnt lgkmcnt(0)
	v_max_f32_e32 v1, v1, v1
	v_max_f32_e32 v1, v3, v1
	v_cndmask_b32_e32 v3, v5, v7, vcc
	v_lshlrev_b32_e32 v3, 2, v3
	ds_bpermute_b32 v7, v3, v1
	v_cmp_lt_i32_e32 vcc, v8, v6
	s_waitcnt lgkmcnt(0)
	v_max_f32_e32 v7, v7, v7
	v_max_f32_e32 v1, v1, v7
	v_cndmask_b32_e32 v7, v5, v8, vcc
	v_lshlrev_b32_e32 v12, 2, v7
	ds_bpermute_b32 v7, v12, v1
	v_xor_b32_e32 v8, 4, v5
	v_cmp_lt_i32_e32 vcc, v8, v6
	s_waitcnt lgkmcnt(0)
	v_max_f32_e32 v7, v7, v7
	v_max_f32_e32 v7, v1, v7
	v_cndmask_b32_e32 v1, v5, v8, vcc
	v_lshlrev_b32_e32 v13, 2, v1
	ds_bpermute_b32 v9, v13, v7
	v_and_b32_e32 v1, 63, v0
	v_cmp_eq_u32_e32 vcc, 0, v1
	v_lshlrev_b32_e32 v8, 2, v4
	s_and_saveexec_b64 s[2:3], vcc
	s_cbranch_execz .LBB169_15
; %bb.14:
	s_waitcnt lgkmcnt(0)
	v_max_f32_e32 v9, v9, v9
	v_max_f32_e32 v7, v7, v7
	;; [unrolled: 1-line block ×3, first 2 shown]
	ds_write_b32 v8, v7 offset:384
.LBB169_15:
	s_or_b64 exec, exec, s[2:3]
	v_cmp_gt_u32_e64 s[2:3], 2, v1
	v_mov_b32_e32 v7, 0xff7fffff
	s_waitcnt lgkmcnt(0)
	v_lshlrev_b32_e32 v9, 2, v1
	s_barrier
	s_and_saveexec_b64 s[4:5], s[2:3]
	s_cbranch_execz .LBB169_17
; %bb.16:
	ds_read_b32 v7, v9 offset:384
.LBB169_17:
	s_or_b64 exec, exec, s[4:5]
	v_xor_b32_e32 v14, 1, v5
	v_cmp_lt_i32_e64 s[4:5], v14, v6
	v_cndmask_b32_e64 v14, v5, v14, s[4:5]
	v_lshlrev_b32_e32 v20, 2, v14
	s_waitcnt lgkmcnt(0)
	ds_bpermute_b32 v14, v20, v7
	v_max_f32_e32 v7, v7, v7
	s_sub_i32 s4, s23, s9
	s_lshl_b32 s4, s4, 4
	s_add_i32 s4, s4, s40
	s_waitcnt lgkmcnt(0)
	v_max_f32_e32 v14, v14, v14
	v_max_f32_e32 v7, v7, v14
	v_lshlrev_b32_e32 v14, 2, v5
	v_and_b32_e32 v14, 0xffffff00, v14
	ds_bpermute_b32 v7, v14, v7
	s_min_i32 s15, s4, s33
	s_sub_i32 s9, s15, s40
	v_cmp_gt_i32_e64 s[4:5], s9, v0
	v_mov_b32_e32 v15, 0
	s_and_saveexec_b64 s[34:35], s[4:5]
	s_cbranch_execz .LBB169_21
; %bb.18:
	v_mov_b32_e32 v15, 0x190
	v_lshl_add_u32 v16, v0, 2, v15
	s_mov_b64 s[36:37], 0
	v_mov_b32_e32 v15, 0
	v_mov_b32_e32 v17, v0
.LBB169_19:                             ; =>This Inner Loop Header: Depth=1
	ds_read_b32 v18, v16
	v_add_u32_e32 v17, 0x80, v17
	v_cmp_le_i32_e64 s[10:11], s9, v17
	s_or_b64 s[36:37], s[10:11], s[36:37]
	s_waitcnt lgkmcnt(0)
	v_sub_f32_e32 v18, v18, v7
	v_mul_f32_e32 v18, 0x3fb8aa3b, v18
	v_exp_f32_e32 v18, v18
	ds_write_b32 v16, v18
	v_add_f32_e32 v15, v15, v18
	v_add_u32_e32 v16, 0x200, v16
	s_andn2_b64 exec, exec, s[36:37]
	s_cbranch_execnz .LBB169_19
; %bb.20:
	s_or_b64 exec, exec, s[36:37]
.LBB169_21:
	s_or_b64 exec, exec, s[34:35]
	ds_bpermute_b32 v2, v2, v15
	s_waitcnt lgkmcnt(0)
	v_add_f32_e32 v2, v15, v2
	ds_bpermute_b32 v3, v3, v2
	s_waitcnt lgkmcnt(0)
	v_add_f32_e32 v2, v2, v3
	ds_bpermute_b32 v3, v12, v2
	v_xor_b32_e32 v12, 2, v5
	v_cmp_lt_i32_e64 s[10:11], v12, v6
	v_cndmask_b32_e64 v5, v5, v12, s[10:11]
	s_waitcnt lgkmcnt(0)
	v_add_f32_e32 v2, v2, v3
	ds_bpermute_b32 v3, v13, v2
	s_waitcnt lgkmcnt(0)
	v_add_f32_e32 v2, v2, v3
	v_lshlrev_b32_e32 v3, 2, v5
	ds_bpermute_b32 v3, v3, v2
	s_waitcnt lgkmcnt(0)
	v_add_f32_e32 v2, v2, v3
	ds_bpermute_b32 v3, v20, v2
	s_waitcnt lgkmcnt(0)
	v_add_f32_e32 v2, v2, v3
	s_and_saveexec_b64 s[10:11], vcc
	s_cbranch_execz .LBB169_23
; %bb.22:
	ds_write_b32 v8, v2 offset:392
.LBB169_23:
	s_or_b64 exec, exec, s[10:11]
	s_waitcnt lgkmcnt(0)
	s_barrier
	s_and_saveexec_b64 s[10:11], s[2:3]
	s_cbranch_execz .LBB169_25
; %bb.24:
	ds_read_b32 v2, v9 offset:392
.LBB169_25:
	s_or_b64 exec, exec, s[10:11]
	s_waitcnt lgkmcnt(0)
	ds_bpermute_b32 v3, v20, v2
	s_waitcnt lgkmcnt(0)
	v_add_f32_e32 v2, v2, v3
	ds_bpermute_b32 v5, v14, v2
	s_and_saveexec_b64 s[2:3], s[4:5]
	s_cbranch_execz .LBB169_38
; %bb.26:
	s_waitcnt lgkmcnt(0)
	v_add_f32_e32 v2, 0x358637bd, v5
	v_div_scale_f32 v3, s[4:5], v2, v2, 1.0
	v_rcp_f32_e32 v6, v3
	v_div_scale_f32 v8, vcc, 1.0, v2, 1.0
	s_movk_i32 s4, 0x7f
	v_fma_f32 v9, -v3, v6, 1.0
	v_fmac_f32_e32 v6, v9, v6
	v_mul_f32_e32 v9, v8, v6
	v_fma_f32 v12, -v3, v9, v8
	v_fmac_f32_e32 v9, v12, v6
	v_fma_f32 v3, -v3, v9, v8
	v_div_fmas_f32 v3, v3, v6, v9
	v_div_fixup_f32 v2, v3, v2, 1.0
	v_xad_u32 v3, v0, -1, s15
	v_subrev_u32_e32 v6, s40, v3
	v_cmp_lt_u32_e32 vcc, s4, v6
	s_mov_b64 s[10:11], -1
	v_mov_b32_e32 v3, v0
	s_and_saveexec_b64 s[4:5], vcc
	s_cbranch_execz .LBB169_35
; %bb.27:
	v_lshrrev_b32_e32 v6, 7, v6
	v_add_u32_e32 v9, -1, v6
	v_lshrrev_b32_e32 v8, 1, v9
	v_mov_b32_e32 v3, v2
	v_add_u32_e32 v8, 1, v8
	v_cmp_lt_u32_e32 vcc, 13, v9
	v_mov_b32_e32 v13, 0
	s_and_saveexec_b64 s[10:11], vcc
	s_cbranch_execz .LBB169_31
; %bb.28:
	v_mov_b32_e32 v12, 0x190
	v_and_b32_e32 v9, -8, v8
	v_lshl_add_u32 v12, v0, 2, v12
	s_mov_b32 s15, 0
	s_mov_b64 s[34:35], 0
.LBB169_29:                             ; =>This Inner Loop Header: Depth=1
	ds_read2st64_b32 v[14:15], v12 offset1:2
	ds_read2st64_b32 v[16:17], v12 offset0:4 offset1:6
	ds_read2st64_b32 v[18:19], v12 offset0:8 offset1:10
	;; [unrolled: 1-line block ×3, first 2 shown]
	v_add_u32_e32 v9, -8, v9
	s_waitcnt lgkmcnt(3)
	v_pk_mul_f32 v[14:15], v[2:3], v[14:15]
	s_waitcnt lgkmcnt(2)
	v_pk_mul_f32 v[16:17], v[2:3], v[16:17]
	ds_write2st64_b32 v12, v14, v15 offset1:2
	ds_write2st64_b32 v12, v16, v17 offset0:4 offset1:6
	ds_read2st64_b32 v[16:17], v12 offset0:16 offset1:18
	s_waitcnt lgkmcnt(4)
	v_pk_mul_f32 v[14:15], v[2:3], v[18:19]
	ds_write2st64_b32 v12, v14, v15 offset0:8 offset1:10
	s_waitcnt lgkmcnt(4)
	v_pk_mul_f32 v[14:15], v[2:3], v[22:23]
	ds_write2st64_b32 v12, v14, v15 offset0:12 offset1:14
	ds_read2st64_b32 v[14:15], v12 offset0:20 offset1:22
	s_waitcnt lgkmcnt(3)
	v_pk_mul_f32 v[16:17], v[2:3], v[16:17]
	ds_read2st64_b32 v[18:19], v12 offset0:24 offset1:26
	ds_write2st64_b32 v12, v16, v17 offset0:16 offset1:18
	ds_read2st64_b32 v[16:17], v12 offset0:28 offset1:30
	s_waitcnt lgkmcnt(3)
	v_pk_mul_f32 v[14:15], v[2:3], v[14:15]
	ds_write2st64_b32 v12, v14, v15 offset0:20 offset1:22
	s_waitcnt lgkmcnt(3)
	v_pk_mul_f32 v[14:15], v[2:3], v[18:19]
	ds_write2st64_b32 v12, v14, v15 offset0:24 offset1:26
	s_waitcnt lgkmcnt(2)
	v_pk_mul_f32 v[14:15], v[2:3], v[16:17]
	s_add_i32 s15, s15, 16
	v_cmp_eq_u32_e32 vcc, 0, v9
	ds_write2st64_b32 v12, v14, v15 offset0:28 offset1:30
	v_add_u32_e32 v12, 0x2000, v12
	s_or_b64 s[34:35], vcc, s[34:35]
	v_mov_b32_e32 v13, s15
	s_andn2_b64 exec, exec, s[34:35]
	s_cbranch_execnz .LBB169_29
; %bb.30:
	s_or_b64 exec, exec, s[34:35]
.LBB169_31:
	s_or_b64 exec, exec, s[10:11]
	v_and_b32_e32 v8, 7, v8
	v_cmp_ne_u32_e32 vcc, 0, v8
	s_and_saveexec_b64 s[10:11], vcc
	s_cbranch_execz .LBB169_34
; %bb.32:
	v_lshlrev_b32_e32 v9, 9, v13
	v_lshlrev_b32_e32 v12, 2, v0
	s_movk_i32 s15, 0x190
	v_add3_u32 v9, v9, v12, s15
	s_mov_b64 s[34:35], 0
.LBB169_33:                             ; =>This Inner Loop Header: Depth=1
	ds_read2st64_b32 v[12:13], v9 offset1:2
	v_add_u32_e32 v8, -1, v8
	v_cmp_eq_u32_e32 vcc, 0, v8
	s_or_b64 s[34:35], vcc, s[34:35]
	s_waitcnt lgkmcnt(0)
	v_pk_mul_f32 v[12:13], v[2:3], v[12:13]
	ds_write2st64_b32 v9, v12, v13 offset1:2
	v_add_u32_e32 v9, 0x400, v9
	s_andn2_b64 exec, exec, s[34:35]
	s_cbranch_execnz .LBB169_33
.LBB169_34:
	s_or_b64 exec, exec, s[10:11]
	v_add_u32_e32 v6, 1, v6
	v_and_b32_e32 v8, 0x3fffffe, v6
	v_cmp_ne_u32_e32 vcc, v6, v8
	v_lshl_add_u32 v3, v8, 7, v0
	s_orn2_b64 s[10:11], vcc, exec
.LBB169_35:
	s_or_b64 exec, exec, s[4:5]
	s_and_b64 exec, exec, s[10:11]
	s_cbranch_execz .LBB169_38
; %bb.36:
	v_mov_b32_e32 v6, 0x190
	v_lshl_add_u32 v6, v3, 2, v6
	s_mov_b64 s[4:5], 0
.LBB169_37:                             ; =>This Inner Loop Header: Depth=1
	ds_read_b32 v8, v6
	v_add_u32_e32 v3, 0x80, v3
	v_cmp_le_i32_e32 vcc, s9, v3
	s_or_b64 s[4:5], vcc, s[4:5]
	s_waitcnt lgkmcnt(0)
	v_mul_f32_e32 v8, v2, v8
	ds_write_b32 v6, v8
	v_add_u32_e32 v6, 0x200, v6
	s_andn2_b64 exec, exec, s[4:5]
	s_cbranch_execnz .LBB169_37
.LBB169_38:
	s_or_b64 exec, exec, s[2:3]
	v_cmp_eq_u32_e32 vcc, 0, v0
	s_waitcnt lgkmcnt(0)
	s_barrier
	s_and_saveexec_b64 s[2:3], vcc
	s_cbranch_execz .LBB169_40
; %bb.39:
	s_mul_i32 s4, s12, s20
	s_mul_i32 s4, s4, s21
	s_ashr_i32 s5, s4, 31
	s_lshl_b64 s[4:5], s[4:5], 2
	s_add_u32 s9, s18, s4
	s_mul_i32 s10, s12, s6
	s_addc_u32 s15, s19, s5
	s_ashr_i32 s11, s10, 31
	s_lshl_b64 s[10:11], s[10:11], 2
	s_add_u32 s6, s9, s10
	s_addc_u32 s15, s15, s11
	s_ashr_i32 s9, s8, 31
	s_lshl_b64 s[18:19], s[8:9], 2
	s_add_u32 s34, s6, s18
	s_addc_u32 s35, s15, s19
	s_add_u32 s4, s16, s4
	s_addc_u32 s5, s17, s5
	s_add_u32 s4, s4, s10
	s_addc_u32 s5, s5, s11
	s_add_u32 s4, s4, s18
	v_mov_b32_e32 v2, 0
	s_addc_u32 s5, s5, s19
	global_store_dword v2, v7, s[34:35]
	global_store_dword v2, v5, s[4:5]
.LBB169_40:
	s_or_b64 exec, exec, s[2:3]
	v_mov_b32_e32 v13, 0
	v_and_b32_e32 v21, 1, v0
	v_mov_b32_e32 v12, 0
	v_mov_b32_e32 v15, 0
	;; [unrolled: 1-line block ×5, first 2 shown]
	s_and_saveexec_b64 s[2:3], s[0:1]
	s_cbranch_execz .LBB169_280
; %bb.41:
	s_ashr_i32 s15, s14, 31
	s_lshl_b64 s[0:1], s[14:15], 1
	v_lshlrev_b32_e32 v2, 3, v0
	s_add_u32 s10, s30, s0
	v_and_b32_e32 v3, 8, v2
	s_mov_b32 s9, s13
	s_addc_u32 s11, s31, s1
	s_add_i32 s13, s7, -1
	v_lshl_add_u32 v5, v4, 4, s40
	s_lshl_b64 s[0:1], s[28:29], 2
	v_add3_u32 v23, v5, v3, 7
	v_lshlrev_b32_e32 v3, 5, v21
	s_add_u32 s0, s26, s0
	v_and_b32_e32 v2, 0x1f8, v2
	v_lshl_or_b32 v3, v4, 6, v3
	v_lshlrev_b64 v[4:5], 2, v[10:11]
	s_addc_u32 s1, s27, s1
	v_or_b32_e32 v6, 0x800, v2
	v_or_b32_e32 v8, 0xa00, v2
	v_add_u32_e32 v24, 0x190, v3
	v_mov_b32_e32 v3, s1
	v_add_co_u32_e32 v18, vcc, s0, v4
	v_mov_b32_e32 v22, 0
	v_addc_co_u32_e32 v19, vcc, v3, v5, vcc
	s_mov_b64 s[4:5], 0
	s_mov_b32 s14, 0x7f800000
	s_movk_i32 s15, 0x7fff
	v_lshlrev_b32_e32 v11, 1, v2
	v_lshlrev_b32_e32 v25, 1, v6
	;; [unrolled: 1-line block ×3, first 2 shown]
	v_mov_b32_e32 v16, 0
	v_mov_b32_e32 v17, 0
	;; [unrolled: 1-line block ×6, first 2 shown]
	s_branch .LBB169_43
.LBB169_42:                             ;   in Loop: Header=BB169_43 Depth=1
	s_or_b64 exec, exec, s[0:1]
	v_and_b32_e32 v36, 0xffff0000, v30
	v_and_b32_e32 v30, 0xffff0000, v29
	v_and_b32_e32 v29, 0xffff0000, v28
	v_and_b32_e32 v28, 0xffff0000, v9
	v_and_b32_e32 v9, 0xffff0000, v27
	v_and_b32_e32 v8, 0xffff0000, v8
	v_and_b32_e32 v37, 0xffff0000, v39
	v_and_b32_e32 v31, 0xffff0000, v31
	v_pk_add_f32 v[8:9], v[8:9], v[28:29]
	v_pk_add_f32 v[28:29], v[30:31], v[36:37]
	v_add_f32_e32 v8, v8, v9
	v_add_f32_e32 v8, v8, v28
	v_add_f32_e32 v8, v8, v29
	v_and_b32_e32 v31, 0xffff0000, v53
	v_and_b32_e32 v30, 0xffff0000, v51
	v_and_b32_e32 v37, 0xffff0000, v52
	v_and_b32_e32 v36, 0xffff0000, v50
	v_add_f32_e32 v16, v16, v8
	v_and_b32_e32 v9, 0xffff0000, v57
	v_and_b32_e32 v8, 0xffff0000, v55
	v_and_b32_e32 v29, 0xffff0000, v56
	v_and_b32_e32 v28, 0xffff0000, v54
	v_pk_add_f32 v[30:31], v[36:37], v[30:31]
	v_pk_add_f32 v[8:9], v[28:29], v[8:9]
	v_add_f32_e32 v27, v30, v31
	v_add_f32_e32 v8, v27, v8
	v_add_f32_e32 v8, v8, v9
	v_and_b32_e32 v31, 0xffff0000, v61
	v_and_b32_e32 v30, 0xffff0000, v59
	v_and_b32_e32 v37, 0xffff0000, v60
	v_and_b32_e32 v36, 0xffff0000, v58
	v_add_f32_e32 v17, v17, v8
	v_and_b32_e32 v9, 0xffff0000, v65
	v_and_b32_e32 v8, 0xffff0000, v63
	v_and_b32_e32 v29, 0xffff0000, v64
	v_and_b32_e32 v28, 0xffff0000, v62
	;; [unrolled: 14-line block ×5, first 2 shown]
	v_pk_add_f32 v[2:3], v[2:3], v[8:9]
	v_pk_add_f32 v[4:5], v[4:5], v[6:7]
	v_add_f32_e32 v2, v2, v3
	v_add_u32_e32 v10, 2, v10
	v_add_f32_e32 v2, v2, v4
	v_cmp_le_i32_e32 vcc, s23, v10
	v_add_f32_e32 v2, v2, v5
	s_or_b64 s[4:5], vcc, s[4:5]
	v_add_co_u32_e32 v18, vcc, 8, v18
	v_add_f32_e32 v13, v13, v2
	v_add_u32_e32 v23, 32, v23
	v_add_u32_e32 v24, 0x80, v24
	v_addc_co_u32_e32 v19, vcc, 0, v19, vcc
	s_andn2_b64 exec, exec, s[4:5]
	s_cbranch_execz .LBB169_279
.LBB169_43:                             ; =>This Inner Loop Header: Depth=1
	global_load_dword v32, v[18:19], off
	ds_read2_b64 v[6:9], v24 offset1:1
	ds_read2_b64 v[2:5], v24 offset0:2 offset1:3
                                        ; implicit-def: $vgpr42
	s_waitcnt lgkmcnt(1)
	v_and_b32_e32 v27, 0x7f800000, v6
	v_cmp_ne_u32_e32 vcc, s14, v27
	s_and_saveexec_b64 s[0:1], vcc
	s_xor_b64 s[0:1], exec, s[0:1]
; %bb.44:                               ;   in Loop: Header=BB169_43 Depth=1
	v_bfe_u32 v27, v6, 16, 1
	v_add3_u32 v42, v6, v27, s15
; %bb.45:                               ;   in Loop: Header=BB169_43 Depth=1
	s_andn2_saveexec_b64 s[0:1], s[0:1]
; %bb.46:                               ;   in Loop: Header=BB169_43 Depth=1
	v_or_b32_e32 v27, 0x10000, v6
	v_cmp_eq_u32_sdwa vcc, v6, v22 src0_sel:WORD_0 src1_sel:DWORD
	v_cndmask_b32_e32 v42, v27, v6, vcc
; %bb.47:                               ;   in Loop: Header=BB169_43 Depth=1
	s_or_b64 exec, exec, s[0:1]
	v_and_b32_e32 v6, 0x7f800000, v7
	v_cmp_ne_u32_e32 vcc, s14, v6
                                        ; implicit-def: $vgpr43
	s_and_saveexec_b64 s[0:1], vcc
	s_xor_b64 s[0:1], exec, s[0:1]
; %bb.48:                               ;   in Loop: Header=BB169_43 Depth=1
	v_bfe_u32 v6, v7, 16, 1
	v_add3_u32 v43, v7, v6, s15
; %bb.49:                               ;   in Loop: Header=BB169_43 Depth=1
	s_andn2_saveexec_b64 s[0:1], s[0:1]
; %bb.50:                               ;   in Loop: Header=BB169_43 Depth=1
	v_or_b32_e32 v6, 0x10000, v7
	v_cmp_eq_u32_sdwa vcc, v7, v22 src0_sel:WORD_0 src1_sel:DWORD
	v_cndmask_b32_e32 v43, v6, v7, vcc
; %bb.51:                               ;   in Loop: Header=BB169_43 Depth=1
	s_or_b64 exec, exec, s[0:1]
	v_and_b32_e32 v6, 0x7f800000, v8
	v_cmp_ne_u32_e32 vcc, s14, v6
                                        ; implicit-def: $vgpr27
	s_and_saveexec_b64 s[0:1], vcc
	s_xor_b64 s[0:1], exec, s[0:1]
; %bb.52:                               ;   in Loop: Header=BB169_43 Depth=1
	v_bfe_u32 v6, v8, 16, 1
	v_add3_u32 v27, v8, v6, s15
; %bb.53:                               ;   in Loop: Header=BB169_43 Depth=1
	s_andn2_saveexec_b64 s[0:1], s[0:1]
; %bb.54:                               ;   in Loop: Header=BB169_43 Depth=1
	v_or_b32_e32 v6, 0x10000, v8
	v_cmp_eq_u32_sdwa vcc, v8, v22 src0_sel:WORD_0 src1_sel:DWORD
	v_cndmask_b32_e32 v27, v6, v8, vcc
; %bb.55:                               ;   in Loop: Header=BB169_43 Depth=1
	s_or_b64 exec, exec, s[0:1]
	v_and_b32_e32 v6, 0x7f800000, v9
	v_cmp_ne_u32_e32 vcc, s14, v6
                                        ; implicit-def: $vgpr28
	s_and_saveexec_b64 s[0:1], vcc
	s_xor_b64 s[0:1], exec, s[0:1]
; %bb.56:                               ;   in Loop: Header=BB169_43 Depth=1
	v_bfe_u32 v6, v9, 16, 1
	v_add3_u32 v28, v9, v6, s15
                                        ; implicit-def: $vgpr6_vgpr7_vgpr8_vgpr9
; %bb.57:                               ;   in Loop: Header=BB169_43 Depth=1
	s_andn2_saveexec_b64 s[0:1], s[0:1]
; %bb.58:                               ;   in Loop: Header=BB169_43 Depth=1
	v_or_b32_e32 v6, 0x10000, v9
	v_cmp_eq_u32_sdwa vcc, v9, v22 src0_sel:WORD_0 src1_sel:DWORD
	v_cndmask_b32_e32 v28, v6, v9, vcc
; %bb.59:                               ;   in Loop: Header=BB169_43 Depth=1
	s_or_b64 exec, exec, s[0:1]
	s_waitcnt lgkmcnt(0)
	v_and_b32_e32 v6, 0x7f800000, v2
	v_cmp_ne_u32_e32 vcc, s14, v6
                                        ; implicit-def: $vgpr29
	s_and_saveexec_b64 s[0:1], vcc
	s_xor_b64 s[0:1], exec, s[0:1]
; %bb.60:                               ;   in Loop: Header=BB169_43 Depth=1
	v_bfe_u32 v6, v2, 16, 1
	v_add3_u32 v29, v2, v6, s15
; %bb.61:                               ;   in Loop: Header=BB169_43 Depth=1
	s_andn2_saveexec_b64 s[0:1], s[0:1]
; %bb.62:                               ;   in Loop: Header=BB169_43 Depth=1
	v_or_b32_e32 v6, 0x10000, v2
	v_cmp_eq_u32_sdwa vcc, v2, v22 src0_sel:WORD_0 src1_sel:DWORD
	v_cndmask_b32_e32 v29, v6, v2, vcc
; %bb.63:                               ;   in Loop: Header=BB169_43 Depth=1
	s_or_b64 exec, exec, s[0:1]
	v_and_b32_e32 v2, 0x7f800000, v3
	v_cmp_ne_u32_e32 vcc, s14, v2
                                        ; implicit-def: $vgpr30
	s_and_saveexec_b64 s[0:1], vcc
	s_xor_b64 s[0:1], exec, s[0:1]
; %bb.64:                               ;   in Loop: Header=BB169_43 Depth=1
	v_bfe_u32 v2, v3, 16, 1
	v_add3_u32 v30, v3, v2, s15
; %bb.65:                               ;   in Loop: Header=BB169_43 Depth=1
	s_andn2_saveexec_b64 s[0:1], s[0:1]
; %bb.66:                               ;   in Loop: Header=BB169_43 Depth=1
	v_or_b32_e32 v2, 0x10000, v3
	v_cmp_eq_u32_sdwa vcc, v3, v22 src0_sel:WORD_0 src1_sel:DWORD
	v_cndmask_b32_e32 v30, v2, v3, vcc
; %bb.67:                               ;   in Loop: Header=BB169_43 Depth=1
	s_or_b64 exec, exec, s[0:1]
	v_and_b32_e32 v2, 0x7f800000, v4
	v_cmp_ne_u32_e32 vcc, s14, v2
                                        ; implicit-def: $vgpr31
	s_and_saveexec_b64 s[0:1], vcc
	s_xor_b64 s[0:1], exec, s[0:1]
; %bb.68:                               ;   in Loop: Header=BB169_43 Depth=1
	v_bfe_u32 v2, v4, 16, 1
	v_add3_u32 v31, v4, v2, s15
; %bb.69:                               ;   in Loop: Header=BB169_43 Depth=1
	s_andn2_saveexec_b64 s[0:1], s[0:1]
; %bb.70:                               ;   in Loop: Header=BB169_43 Depth=1
	v_or_b32_e32 v2, 0x10000, v4
	v_cmp_eq_u32_sdwa vcc, v4, v22 src0_sel:WORD_0 src1_sel:DWORD
	v_cndmask_b32_e32 v31, v2, v4, vcc
; %bb.71:                               ;   in Loop: Header=BB169_43 Depth=1
	s_or_b64 exec, exec, s[0:1]
	v_and_b32_e32 v2, 0x7f800000, v5
	v_cmp_ne_u32_e32 vcc, s14, v2
                                        ; implicit-def: $vgpr39
	s_and_saveexec_b64 s[0:1], vcc
	s_xor_b64 s[0:1], exec, s[0:1]
; %bb.72:                               ;   in Loop: Header=BB169_43 Depth=1
	v_bfe_u32 v2, v5, 16, 1
	v_add3_u32 v39, v5, v2, s15
                                        ; implicit-def: $vgpr2_vgpr3_vgpr4_vgpr5
; %bb.73:                               ;   in Loop: Header=BB169_43 Depth=1
	s_andn2_saveexec_b64 s[0:1], s[0:1]
; %bb.74:                               ;   in Loop: Header=BB169_43 Depth=1
	v_or_b32_e32 v2, 0x10000, v5
	v_cmp_eq_u32_sdwa vcc, v5, v22 src0_sel:WORD_0 src1_sel:DWORD
	v_cndmask_b32_e32 v39, v2, v5, vcc
; %bb.75:                               ;   in Loop: Header=BB169_43 Depth=1
	s_or_b64 exec, exec, s[0:1]
	s_waitcnt vmcnt(0)
	v_mad_i64_i32 v[2:3], s[0:1], v32, s9, 0
	v_lshlrev_b64 v[2:3], 1, v[2:3]
	v_mov_b32_e32 v4, s11
	v_add_co_u32_e32 v40, vcc, s10, v2
	v_addc_co_u32_e32 v41, vcc, v4, v3, vcc
	v_add_co_u32_e32 v6, vcc, v40, v11
	v_addc_co_u32_e32 v7, vcc, 0, v41, vcc
	global_load_dwordx4 v[2:5], v[6:7], off
	v_add_u32_e32 v32, -7, v23
	v_cmp_eq_u32_e32 vcc, s13, v10
	v_add_u32_e32 v38, -6, v23
	v_add_u32_e32 v36, -5, v23
	;; [unrolled: 1-line block ×6, first 2 shown]
	s_waitcnt vmcnt(0)
	v_lshrrev_b32_e32 v9, 16, v2
	v_lshrrev_b32_e32 v46, 16, v3
	;; [unrolled: 1-line block ×4, first 2 shown]
	s_and_saveexec_b64 s[6:7], vcc
	s_cbranch_execz .LBB169_77
; %bb.76:                               ;   in Loop: Header=BB169_43 Depth=1
	v_cmp_gt_i32_e64 s[0:1], s33, v32
	v_cndmask_b32_e64 v2, 0, v2, s[0:1]
	v_cmp_gt_i32_e64 s[0:1], s33, v38
	v_cndmask_b32_e64 v9, 0, v9, s[0:1]
	;; [unrolled: 2-line block ×8, first 2 shown]
.LBB169_77:                             ;   in Loop: Header=BB169_43 Depth=1
	s_or_b64 exec, exec, s[6:7]
	v_and_b32_e32 v42, 0xffff0000, v42
	v_lshlrev_b32_e32 v2, 16, v2
	v_mul_f32_e32 v2, v42, v2
	v_and_b32_e32 v8, 0x7f800000, v2
	v_cmp_ne_u32_e64 s[0:1], s14, v8
                                        ; implicit-def: $vgpr8
	s_and_saveexec_b64 s[6:7], s[0:1]
	s_xor_b64 s[0:1], exec, s[6:7]
; %bb.78:                               ;   in Loop: Header=BB169_43 Depth=1
	v_bfe_u32 v8, v2, 16, 1
	v_add3_u32 v8, v2, v8, s15
                                        ; implicit-def: $vgpr2
; %bb.79:                               ;   in Loop: Header=BB169_43 Depth=1
	s_andn2_saveexec_b64 s[6:7], s[0:1]
; %bb.80:                               ;   in Loop: Header=BB169_43 Depth=1
	v_or_b32_e32 v8, 0x10000, v2
	v_cmp_eq_u32_sdwa s[0:1], v2, v22 src0_sel:WORD_0 src1_sel:DWORD
	v_cndmask_b32_e64 v8, v8, v2, s[0:1]
; %bb.81:                               ;   in Loop: Header=BB169_43 Depth=1
	s_or_b64 exec, exec, s[6:7]
	v_and_b32_e32 v43, 0xffff0000, v43
	v_lshlrev_b32_e32 v2, 16, v9
	v_mul_f32_e32 v2, v43, v2
	v_and_b32_e32 v9, 0x7f800000, v2
	v_cmp_ne_u32_e64 s[0:1], s14, v9
                                        ; implicit-def: $vgpr9
	s_and_saveexec_b64 s[6:7], s[0:1]
	s_xor_b64 s[0:1], exec, s[6:7]
; %bb.82:                               ;   in Loop: Header=BB169_43 Depth=1
	v_bfe_u32 v9, v2, 16, 1
	v_add3_u32 v9, v2, v9, s15
                                        ; implicit-def: $vgpr2
; %bb.83:                               ;   in Loop: Header=BB169_43 Depth=1
	s_andn2_saveexec_b64 s[6:7], s[0:1]
; %bb.84:                               ;   in Loop: Header=BB169_43 Depth=1
	v_or_b32_e32 v9, 0x10000, v2
	v_cmp_eq_u32_sdwa s[0:1], v2, v22 src0_sel:WORD_0 src1_sel:DWORD
	v_cndmask_b32_e64 v9, v9, v2, s[0:1]
; %bb.85:                               ;   in Loop: Header=BB169_43 Depth=1
	s_or_b64 exec, exec, s[6:7]
	v_and_b32_e32 v44, 0xffff0000, v27
	v_lshlrev_b32_e32 v2, 16, v3
	v_mul_f32_e32 v2, v44, v2
	v_and_b32_e32 v3, 0x7f800000, v2
	v_cmp_ne_u32_e64 s[0:1], s14, v3
                                        ; implicit-def: $vgpr27
	s_and_saveexec_b64 s[6:7], s[0:1]
	s_xor_b64 s[0:1], exec, s[6:7]
; %bb.86:                               ;   in Loop: Header=BB169_43 Depth=1
	v_bfe_u32 v3, v2, 16, 1
	v_add3_u32 v27, v2, v3, s15
                                        ; implicit-def: $vgpr2
; %bb.87:                               ;   in Loop: Header=BB169_43 Depth=1
	s_andn2_saveexec_b64 s[6:7], s[0:1]
; %bb.88:                               ;   in Loop: Header=BB169_43 Depth=1
	v_or_b32_e32 v3, 0x10000, v2
	v_cmp_eq_u32_sdwa s[0:1], v2, v22 src0_sel:WORD_0 src1_sel:DWORD
	v_cndmask_b32_e64 v27, v3, v2, s[0:1]
; %bb.89:                               ;   in Loop: Header=BB169_43 Depth=1
	s_or_b64 exec, exec, s[6:7]
	v_and_b32_e32 v45, 0xffff0000, v28
	v_lshlrev_b32_e32 v2, 16, v46
	v_mul_f32_e32 v2, v45, v2
	v_and_b32_e32 v3, 0x7f800000, v2
	v_cmp_ne_u32_e64 s[0:1], s14, v3
                                        ; implicit-def: $vgpr28
	s_and_saveexec_b64 s[6:7], s[0:1]
	s_xor_b64 s[0:1], exec, s[6:7]
; %bb.90:                               ;   in Loop: Header=BB169_43 Depth=1
	v_bfe_u32 v3, v2, 16, 1
	v_add3_u32 v28, v2, v3, s15
                                        ; implicit-def: $vgpr2
; %bb.91:                               ;   in Loop: Header=BB169_43 Depth=1
	s_andn2_saveexec_b64 s[6:7], s[0:1]
; %bb.92:                               ;   in Loop: Header=BB169_43 Depth=1
	v_or_b32_e32 v3, 0x10000, v2
	v_cmp_eq_u32_sdwa s[0:1], v2, v22 src0_sel:WORD_0 src1_sel:DWORD
	v_cndmask_b32_e64 v28, v3, v2, s[0:1]
; %bb.93:                               ;   in Loop: Header=BB169_43 Depth=1
	s_or_b64 exec, exec, s[6:7]
	v_and_b32_e32 v46, 0xffff0000, v29
	v_lshlrev_b32_e32 v2, 16, v4
	v_mul_f32_e32 v2, v46, v2
	v_and_b32_e32 v3, 0x7f800000, v2
	v_cmp_ne_u32_e64 s[0:1], s14, v3
                                        ; implicit-def: $vgpr29
	s_and_saveexec_b64 s[6:7], s[0:1]
	s_xor_b64 s[0:1], exec, s[6:7]
; %bb.94:                               ;   in Loop: Header=BB169_43 Depth=1
	v_bfe_u32 v3, v2, 16, 1
	v_add3_u32 v29, v2, v3, s15
                                        ; implicit-def: $vgpr2
; %bb.95:                               ;   in Loop: Header=BB169_43 Depth=1
	s_andn2_saveexec_b64 s[6:7], s[0:1]
; %bb.96:                               ;   in Loop: Header=BB169_43 Depth=1
	v_or_b32_e32 v3, 0x10000, v2
	v_cmp_eq_u32_sdwa s[0:1], v2, v22 src0_sel:WORD_0 src1_sel:DWORD
	v_cndmask_b32_e64 v29, v3, v2, s[0:1]
; %bb.97:                               ;   in Loop: Header=BB169_43 Depth=1
	s_or_b64 exec, exec, s[6:7]
	v_and_b32_e32 v47, 0xffff0000, v30
	v_lshlrev_b32_e32 v2, 16, v48
	v_mul_f32_e32 v2, v47, v2
	v_and_b32_e32 v3, 0x7f800000, v2
	v_cmp_ne_u32_e64 s[0:1], s14, v3
                                        ; implicit-def: $vgpr30
	s_and_saveexec_b64 s[6:7], s[0:1]
	s_xor_b64 s[0:1], exec, s[6:7]
; %bb.98:                               ;   in Loop: Header=BB169_43 Depth=1
	v_bfe_u32 v3, v2, 16, 1
	v_add3_u32 v30, v2, v3, s15
                                        ; implicit-def: $vgpr2
; %bb.99:                               ;   in Loop: Header=BB169_43 Depth=1
	s_andn2_saveexec_b64 s[6:7], s[0:1]
; %bb.100:                              ;   in Loop: Header=BB169_43 Depth=1
	v_or_b32_e32 v3, 0x10000, v2
	v_cmp_eq_u32_sdwa s[0:1], v2, v22 src0_sel:WORD_0 src1_sel:DWORD
	v_cndmask_b32_e64 v30, v3, v2, s[0:1]
; %bb.101:                              ;   in Loop: Header=BB169_43 Depth=1
	s_or_b64 exec, exec, s[6:7]
	v_and_b32_e32 v48, 0xffff0000, v31
	v_lshlrev_b32_e32 v2, 16, v5
	v_mul_f32_e32 v2, v48, v2
	v_and_b32_e32 v3, 0x7f800000, v2
	v_cmp_ne_u32_e64 s[0:1], s14, v3
                                        ; implicit-def: $vgpr31
	s_and_saveexec_b64 s[6:7], s[0:1]
	s_xor_b64 s[0:1], exec, s[6:7]
; %bb.102:                              ;   in Loop: Header=BB169_43 Depth=1
	v_bfe_u32 v3, v2, 16, 1
	v_add3_u32 v31, v2, v3, s15
                                        ; implicit-def: $vgpr2
; %bb.103:                              ;   in Loop: Header=BB169_43 Depth=1
	s_andn2_saveexec_b64 s[6:7], s[0:1]
; %bb.104:                              ;   in Loop: Header=BB169_43 Depth=1
	v_or_b32_e32 v3, 0x10000, v2
	v_cmp_eq_u32_sdwa s[0:1], v2, v22 src0_sel:WORD_0 src1_sel:DWORD
	v_cndmask_b32_e64 v31, v3, v2, s[0:1]
; %bb.105:                              ;   in Loop: Header=BB169_43 Depth=1
	s_or_b64 exec, exec, s[6:7]
	v_and_b32_e32 v49, 0xffff0000, v39
	v_lshlrev_b32_e32 v2, 16, v50
	v_mul_f32_e32 v2, v49, v2
	v_and_b32_e32 v3, 0x7f800000, v2
	v_cmp_ne_u32_e64 s[0:1], s14, v3
                                        ; implicit-def: $vgpr39
	s_and_saveexec_b64 s[6:7], s[0:1]
	s_xor_b64 s[0:1], exec, s[6:7]
; %bb.106:                              ;   in Loop: Header=BB169_43 Depth=1
	v_bfe_u32 v3, v2, 16, 1
	v_add3_u32 v39, v2, v3, s15
                                        ; implicit-def: $vgpr2
; %bb.107:                              ;   in Loop: Header=BB169_43 Depth=1
	s_andn2_saveexec_b64 s[6:7], s[0:1]
; %bb.108:                              ;   in Loop: Header=BB169_43 Depth=1
	v_or_b32_e32 v3, 0x10000, v2
	v_cmp_eq_u32_sdwa s[0:1], v2, v22 src0_sel:WORD_0 src1_sel:DWORD
	v_cndmask_b32_e64 v39, v3, v2, s[0:1]
; %bb.109:                              ;   in Loop: Header=BB169_43 Depth=1
	s_or_b64 exec, exec, s[6:7]
	global_load_dwordx4 v[2:5], v[6:7], off offset:1024
	s_waitcnt vmcnt(0)
	v_lshrrev_b32_e32 v51, 16, v2
	v_lshrrev_b32_e32 v53, 16, v3
	;; [unrolled: 1-line block ×4, first 2 shown]
	s_and_saveexec_b64 s[6:7], vcc
	s_cbranch_execz .LBB169_111
; %bb.110:                              ;   in Loop: Header=BB169_43 Depth=1
	v_cmp_gt_i32_e64 s[0:1], s33, v32
	v_cndmask_b32_e64 v2, 0, v2, s[0:1]
	v_cmp_gt_i32_e64 s[0:1], s33, v38
	v_cndmask_b32_e64 v51, 0, v51, s[0:1]
	;; [unrolled: 2-line block ×8, first 2 shown]
.LBB169_111:                            ;   in Loop: Header=BB169_43 Depth=1
	s_or_b64 exec, exec, s[6:7]
	v_lshlrev_b32_e32 v2, 16, v2
	v_mul_f32_e32 v2, v42, v2
	v_and_b32_e32 v50, 0x7f800000, v2
	v_cmp_ne_u32_e64 s[0:1], s14, v50
                                        ; implicit-def: $vgpr50
	s_and_saveexec_b64 s[6:7], s[0:1]
	s_xor_b64 s[0:1], exec, s[6:7]
; %bb.112:                              ;   in Loop: Header=BB169_43 Depth=1
	v_bfe_u32 v50, v2, 16, 1
	v_add3_u32 v50, v2, v50, s15
                                        ; implicit-def: $vgpr2
; %bb.113:                              ;   in Loop: Header=BB169_43 Depth=1
	s_andn2_saveexec_b64 s[6:7], s[0:1]
; %bb.114:                              ;   in Loop: Header=BB169_43 Depth=1
	v_or_b32_e32 v50, 0x10000, v2
	v_cmp_eq_u32_sdwa s[0:1], v2, v22 src0_sel:WORD_0 src1_sel:DWORD
	v_cndmask_b32_e64 v50, v50, v2, s[0:1]
; %bb.115:                              ;   in Loop: Header=BB169_43 Depth=1
	s_or_b64 exec, exec, s[6:7]
	v_lshlrev_b32_e32 v2, 16, v51
	v_mul_f32_e32 v2, v43, v2
	v_and_b32_e32 v51, 0x7f800000, v2
	v_cmp_ne_u32_e64 s[0:1], s14, v51
                                        ; implicit-def: $vgpr51
	s_and_saveexec_b64 s[6:7], s[0:1]
	s_xor_b64 s[0:1], exec, s[6:7]
; %bb.116:                              ;   in Loop: Header=BB169_43 Depth=1
	v_bfe_u32 v51, v2, 16, 1
	v_add3_u32 v51, v2, v51, s15
                                        ; implicit-def: $vgpr2
; %bb.117:                              ;   in Loop: Header=BB169_43 Depth=1
	s_andn2_saveexec_b64 s[6:7], s[0:1]
; %bb.118:                              ;   in Loop: Header=BB169_43 Depth=1
	v_or_b32_e32 v51, 0x10000, v2
	v_cmp_eq_u32_sdwa s[0:1], v2, v22 src0_sel:WORD_0 src1_sel:DWORD
	v_cndmask_b32_e64 v51, v51, v2, s[0:1]
; %bb.119:                              ;   in Loop: Header=BB169_43 Depth=1
	s_or_b64 exec, exec, s[6:7]
	v_lshlrev_b32_e32 v2, 16, v3
	v_mul_f32_e32 v2, v44, v2
	v_and_b32_e32 v3, 0x7f800000, v2
	v_cmp_ne_u32_e64 s[0:1], s14, v3
                                        ; implicit-def: $vgpr52
	s_and_saveexec_b64 s[6:7], s[0:1]
	s_xor_b64 s[0:1], exec, s[6:7]
; %bb.120:                              ;   in Loop: Header=BB169_43 Depth=1
	v_bfe_u32 v3, v2, 16, 1
	v_add3_u32 v52, v2, v3, s15
                                        ; implicit-def: $vgpr2
; %bb.121:                              ;   in Loop: Header=BB169_43 Depth=1
	s_andn2_saveexec_b64 s[6:7], s[0:1]
; %bb.122:                              ;   in Loop: Header=BB169_43 Depth=1
	v_or_b32_e32 v3, 0x10000, v2
	v_cmp_eq_u32_sdwa s[0:1], v2, v22 src0_sel:WORD_0 src1_sel:DWORD
	v_cndmask_b32_e64 v52, v3, v2, s[0:1]
; %bb.123:                              ;   in Loop: Header=BB169_43 Depth=1
	s_or_b64 exec, exec, s[6:7]
	v_lshlrev_b32_e32 v2, 16, v53
	v_mul_f32_e32 v2, v45, v2
	v_and_b32_e32 v3, 0x7f800000, v2
	v_cmp_ne_u32_e64 s[0:1], s14, v3
                                        ; implicit-def: $vgpr53
	s_and_saveexec_b64 s[6:7], s[0:1]
	s_xor_b64 s[0:1], exec, s[6:7]
; %bb.124:                              ;   in Loop: Header=BB169_43 Depth=1
	v_bfe_u32 v3, v2, 16, 1
	v_add3_u32 v53, v2, v3, s15
                                        ; implicit-def: $vgpr2
; %bb.125:                              ;   in Loop: Header=BB169_43 Depth=1
	s_andn2_saveexec_b64 s[6:7], s[0:1]
; %bb.126:                              ;   in Loop: Header=BB169_43 Depth=1
	v_or_b32_e32 v3, 0x10000, v2
	v_cmp_eq_u32_sdwa s[0:1], v2, v22 src0_sel:WORD_0 src1_sel:DWORD
	v_cndmask_b32_e64 v53, v3, v2, s[0:1]
; %bb.127:                              ;   in Loop: Header=BB169_43 Depth=1
	s_or_b64 exec, exec, s[6:7]
	v_lshlrev_b32_e32 v2, 16, v4
	v_mul_f32_e32 v2, v46, v2
	v_and_b32_e32 v3, 0x7f800000, v2
	v_cmp_ne_u32_e64 s[0:1], s14, v3
                                        ; implicit-def: $vgpr54
	s_and_saveexec_b64 s[6:7], s[0:1]
	s_xor_b64 s[0:1], exec, s[6:7]
; %bb.128:                              ;   in Loop: Header=BB169_43 Depth=1
	v_bfe_u32 v3, v2, 16, 1
	v_add3_u32 v54, v2, v3, s15
                                        ; implicit-def: $vgpr2
; %bb.129:                              ;   in Loop: Header=BB169_43 Depth=1
	s_andn2_saveexec_b64 s[6:7], s[0:1]
; %bb.130:                              ;   in Loop: Header=BB169_43 Depth=1
	v_or_b32_e32 v3, 0x10000, v2
	v_cmp_eq_u32_sdwa s[0:1], v2, v22 src0_sel:WORD_0 src1_sel:DWORD
	v_cndmask_b32_e64 v54, v3, v2, s[0:1]
; %bb.131:                              ;   in Loop: Header=BB169_43 Depth=1
	s_or_b64 exec, exec, s[6:7]
	v_lshlrev_b32_e32 v2, 16, v55
	v_mul_f32_e32 v2, v47, v2
	v_and_b32_e32 v3, 0x7f800000, v2
	v_cmp_ne_u32_e64 s[0:1], s14, v3
                                        ; implicit-def: $vgpr55
	s_and_saveexec_b64 s[6:7], s[0:1]
	s_xor_b64 s[0:1], exec, s[6:7]
; %bb.132:                              ;   in Loop: Header=BB169_43 Depth=1
	v_bfe_u32 v3, v2, 16, 1
	v_add3_u32 v55, v2, v3, s15
                                        ; implicit-def: $vgpr2
; %bb.133:                              ;   in Loop: Header=BB169_43 Depth=1
	s_andn2_saveexec_b64 s[6:7], s[0:1]
; %bb.134:                              ;   in Loop: Header=BB169_43 Depth=1
	v_or_b32_e32 v3, 0x10000, v2
	v_cmp_eq_u32_sdwa s[0:1], v2, v22 src0_sel:WORD_0 src1_sel:DWORD
	v_cndmask_b32_e64 v55, v3, v2, s[0:1]
; %bb.135:                              ;   in Loop: Header=BB169_43 Depth=1
	s_or_b64 exec, exec, s[6:7]
	v_lshlrev_b32_e32 v2, 16, v5
	v_mul_f32_e32 v2, v48, v2
	v_and_b32_e32 v3, 0x7f800000, v2
	v_cmp_ne_u32_e64 s[0:1], s14, v3
                                        ; implicit-def: $vgpr56
	s_and_saveexec_b64 s[6:7], s[0:1]
	s_xor_b64 s[0:1], exec, s[6:7]
; %bb.136:                              ;   in Loop: Header=BB169_43 Depth=1
	v_bfe_u32 v3, v2, 16, 1
	v_add3_u32 v56, v2, v3, s15
                                        ; implicit-def: $vgpr2
; %bb.137:                              ;   in Loop: Header=BB169_43 Depth=1
	s_andn2_saveexec_b64 s[6:7], s[0:1]
; %bb.138:                              ;   in Loop: Header=BB169_43 Depth=1
	v_or_b32_e32 v3, 0x10000, v2
	v_cmp_eq_u32_sdwa s[0:1], v2, v22 src0_sel:WORD_0 src1_sel:DWORD
	v_cndmask_b32_e64 v56, v3, v2, s[0:1]
; %bb.139:                              ;   in Loop: Header=BB169_43 Depth=1
	s_or_b64 exec, exec, s[6:7]
	v_lshlrev_b32_e32 v2, 16, v57
	v_mul_f32_e32 v2, v49, v2
	v_and_b32_e32 v3, 0x7f800000, v2
	v_cmp_ne_u32_e64 s[0:1], s14, v3
                                        ; implicit-def: $vgpr57
	s_and_saveexec_b64 s[6:7], s[0:1]
	s_xor_b64 s[0:1], exec, s[6:7]
; %bb.140:                              ;   in Loop: Header=BB169_43 Depth=1
	v_bfe_u32 v3, v2, 16, 1
	v_add3_u32 v57, v2, v3, s15
                                        ; implicit-def: $vgpr2
; %bb.141:                              ;   in Loop: Header=BB169_43 Depth=1
	s_andn2_saveexec_b64 s[6:7], s[0:1]
; %bb.142:                              ;   in Loop: Header=BB169_43 Depth=1
	v_or_b32_e32 v3, 0x10000, v2
	v_cmp_eq_u32_sdwa s[0:1], v2, v22 src0_sel:WORD_0 src1_sel:DWORD
	v_cndmask_b32_e64 v57, v3, v2, s[0:1]
; %bb.143:                              ;   in Loop: Header=BB169_43 Depth=1
	s_or_b64 exec, exec, s[6:7]
	global_load_dwordx4 v[2:5], v[6:7], off offset:2048
	s_waitcnt vmcnt(0)
	v_lshrrev_b32_e32 v59, 16, v2
	v_lshrrev_b32_e32 v61, 16, v3
	;; [unrolled: 1-line block ×4, first 2 shown]
	s_and_saveexec_b64 s[6:7], vcc
	s_cbranch_execz .LBB169_145
; %bb.144:                              ;   in Loop: Header=BB169_43 Depth=1
	v_cmp_gt_i32_e64 s[0:1], s33, v32
	v_cndmask_b32_e64 v2, 0, v2, s[0:1]
	v_cmp_gt_i32_e64 s[0:1], s33, v38
	v_cndmask_b32_e64 v59, 0, v59, s[0:1]
	v_cmp_gt_i32_e64 s[0:1], s33, v36
	v_cndmask_b32_e64 v3, 0, v3, s[0:1]
	v_cmp_gt_i32_e64 s[0:1], s33, v35
	v_cndmask_b32_e64 v61, 0, v61, s[0:1]
	v_cmp_gt_i32_e64 s[0:1], s33, v34
	v_cndmask_b32_e64 v4, 0, v4, s[0:1]
	v_cmp_gt_i32_e64 s[0:1], s33, v33
	v_cndmask_b32_e64 v63, 0, v63, s[0:1]
	v_cmp_gt_i32_e64 s[0:1], s33, v37
	v_cndmask_b32_e64 v5, 0, v5, s[0:1]
	v_cmp_gt_i32_e64 s[0:1], s33, v23
	v_cndmask_b32_e64 v65, 0, v65, s[0:1]
.LBB169_145:                            ;   in Loop: Header=BB169_43 Depth=1
	s_or_b64 exec, exec, s[6:7]
	v_lshlrev_b32_e32 v2, 16, v2
	v_mul_f32_e32 v2, v42, v2
	v_and_b32_e32 v58, 0x7f800000, v2
	v_cmp_ne_u32_e64 s[0:1], s14, v58
                                        ; implicit-def: $vgpr58
	s_and_saveexec_b64 s[6:7], s[0:1]
	s_xor_b64 s[0:1], exec, s[6:7]
; %bb.146:                              ;   in Loop: Header=BB169_43 Depth=1
	v_bfe_u32 v58, v2, 16, 1
	v_add3_u32 v58, v2, v58, s15
                                        ; implicit-def: $vgpr2
; %bb.147:                              ;   in Loop: Header=BB169_43 Depth=1
	s_andn2_saveexec_b64 s[6:7], s[0:1]
; %bb.148:                              ;   in Loop: Header=BB169_43 Depth=1
	v_or_b32_e32 v58, 0x10000, v2
	v_cmp_eq_u32_sdwa s[0:1], v2, v22 src0_sel:WORD_0 src1_sel:DWORD
	v_cndmask_b32_e64 v58, v58, v2, s[0:1]
; %bb.149:                              ;   in Loop: Header=BB169_43 Depth=1
	s_or_b64 exec, exec, s[6:7]
	v_lshlrev_b32_e32 v2, 16, v59
	v_mul_f32_e32 v2, v43, v2
	v_and_b32_e32 v59, 0x7f800000, v2
	v_cmp_ne_u32_e64 s[0:1], s14, v59
                                        ; implicit-def: $vgpr59
	s_and_saveexec_b64 s[6:7], s[0:1]
	s_xor_b64 s[0:1], exec, s[6:7]
; %bb.150:                              ;   in Loop: Header=BB169_43 Depth=1
	v_bfe_u32 v59, v2, 16, 1
	v_add3_u32 v59, v2, v59, s15
                                        ; implicit-def: $vgpr2
; %bb.151:                              ;   in Loop: Header=BB169_43 Depth=1
	s_andn2_saveexec_b64 s[6:7], s[0:1]
; %bb.152:                              ;   in Loop: Header=BB169_43 Depth=1
	v_or_b32_e32 v59, 0x10000, v2
	v_cmp_eq_u32_sdwa s[0:1], v2, v22 src0_sel:WORD_0 src1_sel:DWORD
	v_cndmask_b32_e64 v59, v59, v2, s[0:1]
; %bb.153:                              ;   in Loop: Header=BB169_43 Depth=1
	s_or_b64 exec, exec, s[6:7]
	v_lshlrev_b32_e32 v2, 16, v3
	v_mul_f32_e32 v2, v44, v2
	v_and_b32_e32 v3, 0x7f800000, v2
	v_cmp_ne_u32_e64 s[0:1], s14, v3
                                        ; implicit-def: $vgpr60
	s_and_saveexec_b64 s[6:7], s[0:1]
	s_xor_b64 s[0:1], exec, s[6:7]
; %bb.154:                              ;   in Loop: Header=BB169_43 Depth=1
	v_bfe_u32 v3, v2, 16, 1
	v_add3_u32 v60, v2, v3, s15
                                        ; implicit-def: $vgpr2
; %bb.155:                              ;   in Loop: Header=BB169_43 Depth=1
	s_andn2_saveexec_b64 s[6:7], s[0:1]
; %bb.156:                              ;   in Loop: Header=BB169_43 Depth=1
	v_or_b32_e32 v3, 0x10000, v2
	v_cmp_eq_u32_sdwa s[0:1], v2, v22 src0_sel:WORD_0 src1_sel:DWORD
	v_cndmask_b32_e64 v60, v3, v2, s[0:1]
; %bb.157:                              ;   in Loop: Header=BB169_43 Depth=1
	s_or_b64 exec, exec, s[6:7]
	v_lshlrev_b32_e32 v2, 16, v61
	v_mul_f32_e32 v2, v45, v2
	v_and_b32_e32 v3, 0x7f800000, v2
	v_cmp_ne_u32_e64 s[0:1], s14, v3
                                        ; implicit-def: $vgpr61
	s_and_saveexec_b64 s[6:7], s[0:1]
	s_xor_b64 s[0:1], exec, s[6:7]
; %bb.158:                              ;   in Loop: Header=BB169_43 Depth=1
	v_bfe_u32 v3, v2, 16, 1
	v_add3_u32 v61, v2, v3, s15
                                        ; implicit-def: $vgpr2
; %bb.159:                              ;   in Loop: Header=BB169_43 Depth=1
	s_andn2_saveexec_b64 s[6:7], s[0:1]
; %bb.160:                              ;   in Loop: Header=BB169_43 Depth=1
	v_or_b32_e32 v3, 0x10000, v2
	v_cmp_eq_u32_sdwa s[0:1], v2, v22 src0_sel:WORD_0 src1_sel:DWORD
	v_cndmask_b32_e64 v61, v3, v2, s[0:1]
; %bb.161:                              ;   in Loop: Header=BB169_43 Depth=1
	s_or_b64 exec, exec, s[6:7]
	v_lshlrev_b32_e32 v2, 16, v4
	v_mul_f32_e32 v2, v46, v2
	v_and_b32_e32 v3, 0x7f800000, v2
	v_cmp_ne_u32_e64 s[0:1], s14, v3
                                        ; implicit-def: $vgpr62
	s_and_saveexec_b64 s[6:7], s[0:1]
	s_xor_b64 s[0:1], exec, s[6:7]
; %bb.162:                              ;   in Loop: Header=BB169_43 Depth=1
	v_bfe_u32 v3, v2, 16, 1
	v_add3_u32 v62, v2, v3, s15
                                        ; implicit-def: $vgpr2
; %bb.163:                              ;   in Loop: Header=BB169_43 Depth=1
	s_andn2_saveexec_b64 s[6:7], s[0:1]
; %bb.164:                              ;   in Loop: Header=BB169_43 Depth=1
	v_or_b32_e32 v3, 0x10000, v2
	v_cmp_eq_u32_sdwa s[0:1], v2, v22 src0_sel:WORD_0 src1_sel:DWORD
	v_cndmask_b32_e64 v62, v3, v2, s[0:1]
; %bb.165:                              ;   in Loop: Header=BB169_43 Depth=1
	s_or_b64 exec, exec, s[6:7]
	v_lshlrev_b32_e32 v2, 16, v63
	v_mul_f32_e32 v2, v47, v2
	v_and_b32_e32 v3, 0x7f800000, v2
	v_cmp_ne_u32_e64 s[0:1], s14, v3
                                        ; implicit-def: $vgpr63
	s_and_saveexec_b64 s[6:7], s[0:1]
	s_xor_b64 s[0:1], exec, s[6:7]
; %bb.166:                              ;   in Loop: Header=BB169_43 Depth=1
	v_bfe_u32 v3, v2, 16, 1
	v_add3_u32 v63, v2, v3, s15
                                        ; implicit-def: $vgpr2
; %bb.167:                              ;   in Loop: Header=BB169_43 Depth=1
	s_andn2_saveexec_b64 s[6:7], s[0:1]
; %bb.168:                              ;   in Loop: Header=BB169_43 Depth=1
	v_or_b32_e32 v3, 0x10000, v2
	v_cmp_eq_u32_sdwa s[0:1], v2, v22 src0_sel:WORD_0 src1_sel:DWORD
	v_cndmask_b32_e64 v63, v3, v2, s[0:1]
; %bb.169:                              ;   in Loop: Header=BB169_43 Depth=1
	s_or_b64 exec, exec, s[6:7]
	v_lshlrev_b32_e32 v2, 16, v5
	v_mul_f32_e32 v2, v48, v2
	v_and_b32_e32 v3, 0x7f800000, v2
	v_cmp_ne_u32_e64 s[0:1], s14, v3
                                        ; implicit-def: $vgpr64
	s_and_saveexec_b64 s[6:7], s[0:1]
	s_xor_b64 s[0:1], exec, s[6:7]
; %bb.170:                              ;   in Loop: Header=BB169_43 Depth=1
	v_bfe_u32 v3, v2, 16, 1
	v_add3_u32 v64, v2, v3, s15
                                        ; implicit-def: $vgpr2
; %bb.171:                              ;   in Loop: Header=BB169_43 Depth=1
	s_andn2_saveexec_b64 s[6:7], s[0:1]
; %bb.172:                              ;   in Loop: Header=BB169_43 Depth=1
	v_or_b32_e32 v3, 0x10000, v2
	v_cmp_eq_u32_sdwa s[0:1], v2, v22 src0_sel:WORD_0 src1_sel:DWORD
	v_cndmask_b32_e64 v64, v3, v2, s[0:1]
; %bb.173:                              ;   in Loop: Header=BB169_43 Depth=1
	s_or_b64 exec, exec, s[6:7]
	v_lshlrev_b32_e32 v2, 16, v65
	v_mul_f32_e32 v2, v49, v2
	v_and_b32_e32 v3, 0x7f800000, v2
	v_cmp_ne_u32_e64 s[0:1], s14, v3
                                        ; implicit-def: $vgpr65
	s_and_saveexec_b64 s[6:7], s[0:1]
	s_xor_b64 s[0:1], exec, s[6:7]
; %bb.174:                              ;   in Loop: Header=BB169_43 Depth=1
	v_bfe_u32 v3, v2, 16, 1
	v_add3_u32 v65, v2, v3, s15
                                        ; implicit-def: $vgpr2
; %bb.175:                              ;   in Loop: Header=BB169_43 Depth=1
	s_andn2_saveexec_b64 s[6:7], s[0:1]
; %bb.176:                              ;   in Loop: Header=BB169_43 Depth=1
	v_or_b32_e32 v3, 0x10000, v2
	v_cmp_eq_u32_sdwa s[0:1], v2, v22 src0_sel:WORD_0 src1_sel:DWORD
	v_cndmask_b32_e64 v65, v3, v2, s[0:1]
; %bb.177:                              ;   in Loop: Header=BB169_43 Depth=1
	s_or_b64 exec, exec, s[6:7]
	global_load_dwordx4 v[2:5], v[6:7], off offset:3072
	s_waitcnt vmcnt(0)
	v_lshrrev_b32_e32 v7, 16, v2
	v_lshrrev_b32_e32 v67, 16, v3
	;; [unrolled: 1-line block ×4, first 2 shown]
	s_and_saveexec_b64 s[6:7], vcc
	s_cbranch_execz .LBB169_179
; %bb.178:                              ;   in Loop: Header=BB169_43 Depth=1
	v_cmp_gt_i32_e64 s[0:1], s33, v32
	v_cndmask_b32_e64 v2, 0, v2, s[0:1]
	v_cmp_gt_i32_e64 s[0:1], s33, v38
	v_cndmask_b32_e64 v7, 0, v7, s[0:1]
	;; [unrolled: 2-line block ×8, first 2 shown]
.LBB169_179:                            ;   in Loop: Header=BB169_43 Depth=1
	s_or_b64 exec, exec, s[6:7]
	v_lshlrev_b32_e32 v2, 16, v2
	v_mul_f32_e32 v2, v42, v2
	v_and_b32_e32 v6, 0x7f800000, v2
	v_cmp_ne_u32_e64 s[0:1], s14, v6
                                        ; implicit-def: $vgpr6
	s_and_saveexec_b64 s[6:7], s[0:1]
	s_xor_b64 s[0:1], exec, s[6:7]
; %bb.180:                              ;   in Loop: Header=BB169_43 Depth=1
	v_bfe_u32 v6, v2, 16, 1
	v_add3_u32 v6, v2, v6, s15
                                        ; implicit-def: $vgpr2
; %bb.181:                              ;   in Loop: Header=BB169_43 Depth=1
	s_andn2_saveexec_b64 s[6:7], s[0:1]
; %bb.182:                              ;   in Loop: Header=BB169_43 Depth=1
	v_or_b32_e32 v6, 0x10000, v2
	v_cmp_eq_u32_sdwa s[0:1], v2, v22 src0_sel:WORD_0 src1_sel:DWORD
	v_cndmask_b32_e64 v6, v6, v2, s[0:1]
; %bb.183:                              ;   in Loop: Header=BB169_43 Depth=1
	s_or_b64 exec, exec, s[6:7]
	v_lshlrev_b32_e32 v2, 16, v7
	v_mul_f32_e32 v2, v43, v2
	v_and_b32_e32 v7, 0x7f800000, v2
	v_cmp_ne_u32_e64 s[0:1], s14, v7
                                        ; implicit-def: $vgpr7
	s_and_saveexec_b64 s[6:7], s[0:1]
	s_xor_b64 s[0:1], exec, s[6:7]
; %bb.184:                              ;   in Loop: Header=BB169_43 Depth=1
	v_bfe_u32 v7, v2, 16, 1
	v_add3_u32 v7, v2, v7, s15
                                        ; implicit-def: $vgpr2
; %bb.185:                              ;   in Loop: Header=BB169_43 Depth=1
	s_andn2_saveexec_b64 s[6:7], s[0:1]
; %bb.186:                              ;   in Loop: Header=BB169_43 Depth=1
	v_or_b32_e32 v7, 0x10000, v2
	v_cmp_eq_u32_sdwa s[0:1], v2, v22 src0_sel:WORD_0 src1_sel:DWORD
	v_cndmask_b32_e64 v7, v7, v2, s[0:1]
; %bb.187:                              ;   in Loop: Header=BB169_43 Depth=1
	s_or_b64 exec, exec, s[6:7]
	v_lshlrev_b32_e32 v2, 16, v3
	v_mul_f32_e32 v2, v44, v2
	v_and_b32_e32 v3, 0x7f800000, v2
	v_cmp_ne_u32_e64 s[0:1], s14, v3
                                        ; implicit-def: $vgpr66
	s_and_saveexec_b64 s[6:7], s[0:1]
	s_xor_b64 s[0:1], exec, s[6:7]
; %bb.188:                              ;   in Loop: Header=BB169_43 Depth=1
	v_bfe_u32 v3, v2, 16, 1
	v_add3_u32 v66, v2, v3, s15
                                        ; implicit-def: $vgpr2
; %bb.189:                              ;   in Loop: Header=BB169_43 Depth=1
	s_andn2_saveexec_b64 s[6:7], s[0:1]
; %bb.190:                              ;   in Loop: Header=BB169_43 Depth=1
	v_or_b32_e32 v3, 0x10000, v2
	v_cmp_eq_u32_sdwa s[0:1], v2, v22 src0_sel:WORD_0 src1_sel:DWORD
	v_cndmask_b32_e64 v66, v3, v2, s[0:1]
; %bb.191:                              ;   in Loop: Header=BB169_43 Depth=1
	s_or_b64 exec, exec, s[6:7]
	v_lshlrev_b32_e32 v2, 16, v67
	v_mul_f32_e32 v2, v45, v2
	v_and_b32_e32 v3, 0x7f800000, v2
	v_cmp_ne_u32_e64 s[0:1], s14, v3
                                        ; implicit-def: $vgpr67
	s_and_saveexec_b64 s[6:7], s[0:1]
	s_xor_b64 s[0:1], exec, s[6:7]
; %bb.192:                              ;   in Loop: Header=BB169_43 Depth=1
	v_bfe_u32 v3, v2, 16, 1
	v_add3_u32 v67, v2, v3, s15
                                        ; implicit-def: $vgpr2
; %bb.193:                              ;   in Loop: Header=BB169_43 Depth=1
	s_andn2_saveexec_b64 s[6:7], s[0:1]
; %bb.194:                              ;   in Loop: Header=BB169_43 Depth=1
	v_or_b32_e32 v3, 0x10000, v2
	v_cmp_eq_u32_sdwa s[0:1], v2, v22 src0_sel:WORD_0 src1_sel:DWORD
	v_cndmask_b32_e64 v67, v3, v2, s[0:1]
; %bb.195:                              ;   in Loop: Header=BB169_43 Depth=1
	s_or_b64 exec, exec, s[6:7]
	v_lshlrev_b32_e32 v2, 16, v4
	v_mul_f32_e32 v2, v46, v2
	v_and_b32_e32 v3, 0x7f800000, v2
	v_cmp_ne_u32_e64 s[0:1], s14, v3
                                        ; implicit-def: $vgpr68
	s_and_saveexec_b64 s[6:7], s[0:1]
	s_xor_b64 s[0:1], exec, s[6:7]
; %bb.196:                              ;   in Loop: Header=BB169_43 Depth=1
	v_bfe_u32 v3, v2, 16, 1
	v_add3_u32 v68, v2, v3, s15
                                        ; implicit-def: $vgpr2
; %bb.197:                              ;   in Loop: Header=BB169_43 Depth=1
	s_andn2_saveexec_b64 s[6:7], s[0:1]
; %bb.198:                              ;   in Loop: Header=BB169_43 Depth=1
	v_or_b32_e32 v3, 0x10000, v2
	v_cmp_eq_u32_sdwa s[0:1], v2, v22 src0_sel:WORD_0 src1_sel:DWORD
	v_cndmask_b32_e64 v68, v3, v2, s[0:1]
; %bb.199:                              ;   in Loop: Header=BB169_43 Depth=1
	s_or_b64 exec, exec, s[6:7]
	v_lshlrev_b32_e32 v2, 16, v69
	v_mul_f32_e32 v2, v47, v2
	v_and_b32_e32 v3, 0x7f800000, v2
	v_cmp_ne_u32_e64 s[0:1], s14, v3
                                        ; implicit-def: $vgpr69
	s_and_saveexec_b64 s[6:7], s[0:1]
	s_xor_b64 s[0:1], exec, s[6:7]
; %bb.200:                              ;   in Loop: Header=BB169_43 Depth=1
	v_bfe_u32 v3, v2, 16, 1
	v_add3_u32 v69, v2, v3, s15
                                        ; implicit-def: $vgpr2
; %bb.201:                              ;   in Loop: Header=BB169_43 Depth=1
	s_andn2_saveexec_b64 s[6:7], s[0:1]
; %bb.202:                              ;   in Loop: Header=BB169_43 Depth=1
	v_or_b32_e32 v3, 0x10000, v2
	v_cmp_eq_u32_sdwa s[0:1], v2, v22 src0_sel:WORD_0 src1_sel:DWORD
	v_cndmask_b32_e64 v69, v3, v2, s[0:1]
; %bb.203:                              ;   in Loop: Header=BB169_43 Depth=1
	s_or_b64 exec, exec, s[6:7]
	v_lshlrev_b32_e32 v2, 16, v5
	v_mul_f32_e32 v2, v48, v2
	v_and_b32_e32 v3, 0x7f800000, v2
	v_cmp_ne_u32_e64 s[0:1], s14, v3
                                        ; implicit-def: $vgpr70
	s_and_saveexec_b64 s[6:7], s[0:1]
	s_xor_b64 s[0:1], exec, s[6:7]
; %bb.204:                              ;   in Loop: Header=BB169_43 Depth=1
	v_bfe_u32 v3, v2, 16, 1
	v_add3_u32 v70, v2, v3, s15
                                        ; implicit-def: $vgpr2
; %bb.205:                              ;   in Loop: Header=BB169_43 Depth=1
	s_andn2_saveexec_b64 s[6:7], s[0:1]
; %bb.206:                              ;   in Loop: Header=BB169_43 Depth=1
	v_or_b32_e32 v3, 0x10000, v2
	v_cmp_eq_u32_sdwa s[0:1], v2, v22 src0_sel:WORD_0 src1_sel:DWORD
	v_cndmask_b32_e64 v70, v3, v2, s[0:1]
; %bb.207:                              ;   in Loop: Header=BB169_43 Depth=1
	s_or_b64 exec, exec, s[6:7]
	v_lshlrev_b32_e32 v2, 16, v71
	v_mul_f32_e32 v2, v49, v2
	v_and_b32_e32 v3, 0x7f800000, v2
	v_cmp_ne_u32_e64 s[0:1], s14, v3
                                        ; implicit-def: $vgpr71
	s_and_saveexec_b64 s[6:7], s[0:1]
	s_xor_b64 s[0:1], exec, s[6:7]
; %bb.208:                              ;   in Loop: Header=BB169_43 Depth=1
	v_bfe_u32 v3, v2, 16, 1
	v_add3_u32 v71, v2, v3, s15
                                        ; implicit-def: $vgpr2
; %bb.209:                              ;   in Loop: Header=BB169_43 Depth=1
	s_andn2_saveexec_b64 s[6:7], s[0:1]
; %bb.210:                              ;   in Loop: Header=BB169_43 Depth=1
	v_or_b32_e32 v3, 0x10000, v2
	v_cmp_eq_u32_sdwa s[0:1], v2, v22 src0_sel:WORD_0 src1_sel:DWORD
	v_cndmask_b32_e64 v71, v3, v2, s[0:1]
; %bb.211:                              ;   in Loop: Header=BB169_43 Depth=1
	s_or_b64 exec, exec, s[6:7]
	v_add_co_u32_e64 v2, s[0:1], v40, v25
	v_addc_co_u32_e64 v3, s[0:1], 0, v41, s[0:1]
	global_load_dwordx4 v[2:5], v[2:3], off
	s_waitcnt vmcnt(0)
	v_lshrrev_b32_e32 v73, 16, v2
	v_lshrrev_b32_e32 v75, 16, v3
	;; [unrolled: 1-line block ×4, first 2 shown]
	s_and_saveexec_b64 s[6:7], vcc
	s_cbranch_execz .LBB169_213
; %bb.212:                              ;   in Loop: Header=BB169_43 Depth=1
	v_cmp_gt_i32_e64 s[0:1], s33, v32
	v_cndmask_b32_e64 v2, 0, v2, s[0:1]
	v_cmp_gt_i32_e64 s[0:1], s33, v38
	v_cndmask_b32_e64 v73, 0, v73, s[0:1]
	;; [unrolled: 2-line block ×8, first 2 shown]
.LBB169_213:                            ;   in Loop: Header=BB169_43 Depth=1
	s_or_b64 exec, exec, s[6:7]
	v_lshlrev_b32_e32 v2, 16, v2
	v_mul_f32_e32 v2, v42, v2
	v_and_b32_e32 v72, 0x7f800000, v2
	v_cmp_ne_u32_e64 s[0:1], s14, v72
                                        ; implicit-def: $vgpr72
	s_and_saveexec_b64 s[6:7], s[0:1]
	s_xor_b64 s[0:1], exec, s[6:7]
; %bb.214:                              ;   in Loop: Header=BB169_43 Depth=1
	v_bfe_u32 v72, v2, 16, 1
	v_add3_u32 v72, v2, v72, s15
                                        ; implicit-def: $vgpr2
; %bb.215:                              ;   in Loop: Header=BB169_43 Depth=1
	s_andn2_saveexec_b64 s[6:7], s[0:1]
; %bb.216:                              ;   in Loop: Header=BB169_43 Depth=1
	v_or_b32_e32 v72, 0x10000, v2
	v_cmp_eq_u32_sdwa s[0:1], v2, v22 src0_sel:WORD_0 src1_sel:DWORD
	v_cndmask_b32_e64 v72, v72, v2, s[0:1]
; %bb.217:                              ;   in Loop: Header=BB169_43 Depth=1
	s_or_b64 exec, exec, s[6:7]
	v_lshlrev_b32_e32 v2, 16, v73
	v_mul_f32_e32 v2, v43, v2
	v_and_b32_e32 v73, 0x7f800000, v2
	v_cmp_ne_u32_e64 s[0:1], s14, v73
                                        ; implicit-def: $vgpr73
	s_and_saveexec_b64 s[6:7], s[0:1]
	s_xor_b64 s[0:1], exec, s[6:7]
; %bb.218:                              ;   in Loop: Header=BB169_43 Depth=1
	v_bfe_u32 v73, v2, 16, 1
	v_add3_u32 v73, v2, v73, s15
                                        ; implicit-def: $vgpr2
; %bb.219:                              ;   in Loop: Header=BB169_43 Depth=1
	s_andn2_saveexec_b64 s[6:7], s[0:1]
; %bb.220:                              ;   in Loop: Header=BB169_43 Depth=1
	v_or_b32_e32 v73, 0x10000, v2
	v_cmp_eq_u32_sdwa s[0:1], v2, v22 src0_sel:WORD_0 src1_sel:DWORD
	v_cndmask_b32_e64 v73, v73, v2, s[0:1]
; %bb.221:                              ;   in Loop: Header=BB169_43 Depth=1
	s_or_b64 exec, exec, s[6:7]
	v_lshlrev_b32_e32 v2, 16, v3
	v_mul_f32_e32 v2, v44, v2
	v_and_b32_e32 v3, 0x7f800000, v2
	v_cmp_ne_u32_e64 s[0:1], s14, v3
                                        ; implicit-def: $vgpr74
	s_and_saveexec_b64 s[6:7], s[0:1]
	s_xor_b64 s[0:1], exec, s[6:7]
; %bb.222:                              ;   in Loop: Header=BB169_43 Depth=1
	v_bfe_u32 v3, v2, 16, 1
	v_add3_u32 v74, v2, v3, s15
                                        ; implicit-def: $vgpr2
; %bb.223:                              ;   in Loop: Header=BB169_43 Depth=1
	s_andn2_saveexec_b64 s[6:7], s[0:1]
; %bb.224:                              ;   in Loop: Header=BB169_43 Depth=1
	v_or_b32_e32 v3, 0x10000, v2
	v_cmp_eq_u32_sdwa s[0:1], v2, v22 src0_sel:WORD_0 src1_sel:DWORD
	v_cndmask_b32_e64 v74, v3, v2, s[0:1]
; %bb.225:                              ;   in Loop: Header=BB169_43 Depth=1
	s_or_b64 exec, exec, s[6:7]
	v_lshlrev_b32_e32 v2, 16, v75
	v_mul_f32_e32 v2, v45, v2
	v_and_b32_e32 v3, 0x7f800000, v2
	v_cmp_ne_u32_e64 s[0:1], s14, v3
                                        ; implicit-def: $vgpr75
	s_and_saveexec_b64 s[6:7], s[0:1]
	s_xor_b64 s[0:1], exec, s[6:7]
; %bb.226:                              ;   in Loop: Header=BB169_43 Depth=1
	v_bfe_u32 v3, v2, 16, 1
	v_add3_u32 v75, v2, v3, s15
                                        ; implicit-def: $vgpr2
; %bb.227:                              ;   in Loop: Header=BB169_43 Depth=1
	s_andn2_saveexec_b64 s[6:7], s[0:1]
; %bb.228:                              ;   in Loop: Header=BB169_43 Depth=1
	v_or_b32_e32 v3, 0x10000, v2
	v_cmp_eq_u32_sdwa s[0:1], v2, v22 src0_sel:WORD_0 src1_sel:DWORD
	v_cndmask_b32_e64 v75, v3, v2, s[0:1]
; %bb.229:                              ;   in Loop: Header=BB169_43 Depth=1
	s_or_b64 exec, exec, s[6:7]
	v_lshlrev_b32_e32 v2, 16, v4
	v_mul_f32_e32 v2, v46, v2
	v_and_b32_e32 v3, 0x7f800000, v2
	v_cmp_ne_u32_e64 s[0:1], s14, v3
                                        ; implicit-def: $vgpr76
	s_and_saveexec_b64 s[6:7], s[0:1]
	s_xor_b64 s[0:1], exec, s[6:7]
; %bb.230:                              ;   in Loop: Header=BB169_43 Depth=1
	v_bfe_u32 v3, v2, 16, 1
	v_add3_u32 v76, v2, v3, s15
                                        ; implicit-def: $vgpr2
; %bb.231:                              ;   in Loop: Header=BB169_43 Depth=1
	s_andn2_saveexec_b64 s[6:7], s[0:1]
; %bb.232:                              ;   in Loop: Header=BB169_43 Depth=1
	v_or_b32_e32 v3, 0x10000, v2
	v_cmp_eq_u32_sdwa s[0:1], v2, v22 src0_sel:WORD_0 src1_sel:DWORD
	v_cndmask_b32_e64 v76, v3, v2, s[0:1]
; %bb.233:                              ;   in Loop: Header=BB169_43 Depth=1
	s_or_b64 exec, exec, s[6:7]
	v_lshlrev_b32_e32 v2, 16, v77
	v_mul_f32_e32 v2, v47, v2
	v_and_b32_e32 v3, 0x7f800000, v2
	v_cmp_ne_u32_e64 s[0:1], s14, v3
                                        ; implicit-def: $vgpr77
	s_and_saveexec_b64 s[6:7], s[0:1]
	s_xor_b64 s[0:1], exec, s[6:7]
; %bb.234:                              ;   in Loop: Header=BB169_43 Depth=1
	v_bfe_u32 v3, v2, 16, 1
	v_add3_u32 v77, v2, v3, s15
                                        ; implicit-def: $vgpr2
; %bb.235:                              ;   in Loop: Header=BB169_43 Depth=1
	s_andn2_saveexec_b64 s[6:7], s[0:1]
; %bb.236:                              ;   in Loop: Header=BB169_43 Depth=1
	v_or_b32_e32 v3, 0x10000, v2
	v_cmp_eq_u32_sdwa s[0:1], v2, v22 src0_sel:WORD_0 src1_sel:DWORD
	v_cndmask_b32_e64 v77, v3, v2, s[0:1]
; %bb.237:                              ;   in Loop: Header=BB169_43 Depth=1
	s_or_b64 exec, exec, s[6:7]
	v_lshlrev_b32_e32 v2, 16, v5
	v_mul_f32_e32 v2, v48, v2
	v_and_b32_e32 v3, 0x7f800000, v2
	v_cmp_ne_u32_e64 s[0:1], s14, v3
                                        ; implicit-def: $vgpr78
	s_and_saveexec_b64 s[6:7], s[0:1]
	s_xor_b64 s[0:1], exec, s[6:7]
; %bb.238:                              ;   in Loop: Header=BB169_43 Depth=1
	v_bfe_u32 v3, v2, 16, 1
	v_add3_u32 v78, v2, v3, s15
                                        ; implicit-def: $vgpr2
; %bb.239:                              ;   in Loop: Header=BB169_43 Depth=1
	s_andn2_saveexec_b64 s[6:7], s[0:1]
; %bb.240:                              ;   in Loop: Header=BB169_43 Depth=1
	v_or_b32_e32 v3, 0x10000, v2
	v_cmp_eq_u32_sdwa s[0:1], v2, v22 src0_sel:WORD_0 src1_sel:DWORD
	v_cndmask_b32_e64 v78, v3, v2, s[0:1]
; %bb.241:                              ;   in Loop: Header=BB169_43 Depth=1
	s_or_b64 exec, exec, s[6:7]
	v_lshlrev_b32_e32 v2, 16, v79
	v_mul_f32_e32 v2, v49, v2
	v_and_b32_e32 v3, 0x7f800000, v2
	v_cmp_ne_u32_e64 s[0:1], s14, v3
                                        ; implicit-def: $vgpr79
	s_and_saveexec_b64 s[6:7], s[0:1]
	s_xor_b64 s[0:1], exec, s[6:7]
; %bb.242:                              ;   in Loop: Header=BB169_43 Depth=1
	v_bfe_u32 v3, v2, 16, 1
	v_add3_u32 v79, v2, v3, s15
                                        ; implicit-def: $vgpr2
; %bb.243:                              ;   in Loop: Header=BB169_43 Depth=1
	s_andn2_saveexec_b64 s[6:7], s[0:1]
; %bb.244:                              ;   in Loop: Header=BB169_43 Depth=1
	v_or_b32_e32 v3, 0x10000, v2
	v_cmp_eq_u32_sdwa s[0:1], v2, v22 src0_sel:WORD_0 src1_sel:DWORD
	v_cndmask_b32_e64 v79, v3, v2, s[0:1]
; %bb.245:                              ;   in Loop: Header=BB169_43 Depth=1
	s_or_b64 exec, exec, s[6:7]
	v_add_co_u32_e64 v2, s[0:1], v40, v26
	v_addc_co_u32_e64 v3, s[0:1], 0, v41, s[0:1]
	global_load_dwordx4 v[2:5], v[2:3], off
	s_waitcnt vmcnt(0)
	v_lshrrev_b32_e32 v81, 16, v2
	v_lshrrev_b32_e32 v80, 16, v3
	v_lshrrev_b32_e32 v41, 16, v4
	v_lshrrev_b32_e32 v40, 16, v5
	s_and_saveexec_b64 s[0:1], vcc
	s_cbranch_execz .LBB169_247
; %bb.246:                              ;   in Loop: Header=BB169_43 Depth=1
	v_cmp_gt_i32_e32 vcc, s33, v32
	v_cndmask_b32_e32 v2, 0, v2, vcc
	v_cmp_gt_i32_e32 vcc, s33, v38
	v_cndmask_b32_e32 v81, 0, v81, vcc
	;; [unrolled: 2-line block ×8, first 2 shown]
.LBB169_247:                            ;   in Loop: Header=BB169_43 Depth=1
	s_or_b64 exec, exec, s[0:1]
	v_lshlrev_b32_e32 v2, 16, v2
	v_mul_f32_e32 v32, v42, v2
	v_and_b32_e32 v2, 0x7f800000, v32
	v_cmp_ne_u32_e32 vcc, s14, v2
                                        ; implicit-def: $vgpr2
	s_and_saveexec_b64 s[0:1], vcc
	s_xor_b64 s[0:1], exec, s[0:1]
; %bb.248:                              ;   in Loop: Header=BB169_43 Depth=1
	v_bfe_u32 v2, v32, 16, 1
	v_add3_u32 v2, v32, v2, s15
                                        ; implicit-def: $vgpr32
; %bb.249:                              ;   in Loop: Header=BB169_43 Depth=1
	s_andn2_saveexec_b64 s[0:1], s[0:1]
; %bb.250:                              ;   in Loop: Header=BB169_43 Depth=1
	v_or_b32_e32 v2, 0x10000, v32
	v_cmp_eq_u32_sdwa vcc, v32, v22 src0_sel:WORD_0 src1_sel:DWORD
	v_cndmask_b32_e32 v2, v2, v32, vcc
; %bb.251:                              ;   in Loop: Header=BB169_43 Depth=1
	s_or_b64 exec, exec, s[0:1]
	v_lshlrev_b32_e32 v32, 16, v81
	v_mul_f32_e32 v33, v43, v32
	v_and_b32_e32 v32, 0x7f800000, v33
	v_cmp_ne_u32_e32 vcc, s14, v32
                                        ; implicit-def: $vgpr32
	s_and_saveexec_b64 s[0:1], vcc
	s_xor_b64 s[0:1], exec, s[0:1]
; %bb.252:                              ;   in Loop: Header=BB169_43 Depth=1
	v_bfe_u32 v32, v33, 16, 1
	v_add3_u32 v32, v33, v32, s15
                                        ; implicit-def: $vgpr33
; %bb.253:                              ;   in Loop: Header=BB169_43 Depth=1
	s_andn2_saveexec_b64 s[0:1], s[0:1]
; %bb.254:                              ;   in Loop: Header=BB169_43 Depth=1
	v_or_b32_e32 v32, 0x10000, v33
	v_cmp_eq_u32_sdwa vcc, v33, v22 src0_sel:WORD_0 src1_sel:DWORD
	v_cndmask_b32_e32 v32, v32, v33, vcc
; %bb.255:                              ;   in Loop: Header=BB169_43 Depth=1
	s_or_b64 exec, exec, s[0:1]
	v_lshlrev_b32_e32 v3, 16, v3
	v_mul_f32_e32 v33, v44, v3
	v_and_b32_e32 v3, 0x7f800000, v33
	v_cmp_ne_u32_e32 vcc, s14, v3
                                        ; implicit-def: $vgpr3
	s_and_saveexec_b64 s[0:1], vcc
	s_xor_b64 s[0:1], exec, s[0:1]
; %bb.256:                              ;   in Loop: Header=BB169_43 Depth=1
	v_bfe_u32 v3, v33, 16, 1
	v_add3_u32 v3, v33, v3, s15
                                        ; implicit-def: $vgpr33
; %bb.257:                              ;   in Loop: Header=BB169_43 Depth=1
	s_andn2_saveexec_b64 s[0:1], s[0:1]
; %bb.258:                              ;   in Loop: Header=BB169_43 Depth=1
	v_or_b32_e32 v3, 0x10000, v33
	v_cmp_eq_u32_sdwa vcc, v33, v22 src0_sel:WORD_0 src1_sel:DWORD
	v_cndmask_b32_e32 v3, v3, v33, vcc
; %bb.259:                              ;   in Loop: Header=BB169_43 Depth=1
	s_or_b64 exec, exec, s[0:1]
	v_lshlrev_b32_e32 v33, 16, v80
	v_mul_f32_e32 v34, v45, v33
	v_and_b32_e32 v33, 0x7f800000, v34
	v_cmp_ne_u32_e32 vcc, s14, v33
                                        ; implicit-def: $vgpr33
	s_and_saveexec_b64 s[0:1], vcc
	s_xor_b64 s[0:1], exec, s[0:1]
; %bb.260:                              ;   in Loop: Header=BB169_43 Depth=1
	v_bfe_u32 v33, v34, 16, 1
	v_add3_u32 v33, v34, v33, s15
                                        ; implicit-def: $vgpr34
; %bb.261:                              ;   in Loop: Header=BB169_43 Depth=1
	s_andn2_saveexec_b64 s[0:1], s[0:1]
; %bb.262:                              ;   in Loop: Header=BB169_43 Depth=1
	v_or_b32_e32 v33, 0x10000, v34
	v_cmp_eq_u32_sdwa vcc, v34, v22 src0_sel:WORD_0 src1_sel:DWORD
	v_cndmask_b32_e32 v33, v33, v34, vcc
; %bb.263:                              ;   in Loop: Header=BB169_43 Depth=1
	s_or_b64 exec, exec, s[0:1]
	v_lshlrev_b32_e32 v4, 16, v4
	v_mul_f32_e32 v34, v46, v4
	v_and_b32_e32 v4, 0x7f800000, v34
	v_cmp_ne_u32_e32 vcc, s14, v4
                                        ; implicit-def: $vgpr4
	s_and_saveexec_b64 s[0:1], vcc
	s_xor_b64 s[0:1], exec, s[0:1]
; %bb.264:                              ;   in Loop: Header=BB169_43 Depth=1
	v_bfe_u32 v4, v34, 16, 1
	v_add3_u32 v4, v34, v4, s15
                                        ; implicit-def: $vgpr34
; %bb.265:                              ;   in Loop: Header=BB169_43 Depth=1
	s_andn2_saveexec_b64 s[0:1], s[0:1]
; %bb.266:                              ;   in Loop: Header=BB169_43 Depth=1
	v_or_b32_e32 v4, 0x10000, v34
	v_cmp_eq_u32_sdwa vcc, v34, v22 src0_sel:WORD_0 src1_sel:DWORD
	v_cndmask_b32_e32 v4, v4, v34, vcc
; %bb.267:                              ;   in Loop: Header=BB169_43 Depth=1
	s_or_b64 exec, exec, s[0:1]
	v_lshlrev_b32_e32 v34, 16, v41
	v_mul_f32_e32 v35, v47, v34
	v_and_b32_e32 v34, 0x7f800000, v35
	v_cmp_ne_u32_e32 vcc, s14, v34
                                        ; implicit-def: $vgpr34
	s_and_saveexec_b64 s[0:1], vcc
	s_xor_b64 s[0:1], exec, s[0:1]
; %bb.268:                              ;   in Loop: Header=BB169_43 Depth=1
	v_bfe_u32 v34, v35, 16, 1
	v_add3_u32 v34, v35, v34, s15
                                        ; implicit-def: $vgpr35
; %bb.269:                              ;   in Loop: Header=BB169_43 Depth=1
	s_andn2_saveexec_b64 s[0:1], s[0:1]
; %bb.270:                              ;   in Loop: Header=BB169_43 Depth=1
	v_or_b32_e32 v34, 0x10000, v35
	v_cmp_eq_u32_sdwa vcc, v35, v22 src0_sel:WORD_0 src1_sel:DWORD
	v_cndmask_b32_e32 v34, v34, v35, vcc
; %bb.271:                              ;   in Loop: Header=BB169_43 Depth=1
	s_or_b64 exec, exec, s[0:1]
	v_lshlrev_b32_e32 v5, 16, v5
	v_mul_f32_e32 v35, v48, v5
	v_and_b32_e32 v5, 0x7f800000, v35
	v_cmp_ne_u32_e32 vcc, s14, v5
                                        ; implicit-def: $vgpr5
	s_and_saveexec_b64 s[0:1], vcc
	s_xor_b64 s[0:1], exec, s[0:1]
; %bb.272:                              ;   in Loop: Header=BB169_43 Depth=1
	v_bfe_u32 v5, v35, 16, 1
	v_add3_u32 v5, v35, v5, s15
                                        ; implicit-def: $vgpr35
; %bb.273:                              ;   in Loop: Header=BB169_43 Depth=1
	s_andn2_saveexec_b64 s[0:1], s[0:1]
; %bb.274:                              ;   in Loop: Header=BB169_43 Depth=1
	v_or_b32_e32 v5, 0x10000, v35
	v_cmp_eq_u32_sdwa vcc, v35, v22 src0_sel:WORD_0 src1_sel:DWORD
	v_cndmask_b32_e32 v5, v5, v35, vcc
; %bb.275:                              ;   in Loop: Header=BB169_43 Depth=1
	s_or_b64 exec, exec, s[0:1]
	v_lshlrev_b32_e32 v35, 16, v40
	v_mul_f32_e32 v36, v49, v35
	v_and_b32_e32 v35, 0x7f800000, v36
	v_cmp_ne_u32_e32 vcc, s14, v35
                                        ; implicit-def: $vgpr35
	s_and_saveexec_b64 s[0:1], vcc
	s_xor_b64 s[0:1], exec, s[0:1]
; %bb.276:                              ;   in Loop: Header=BB169_43 Depth=1
	v_bfe_u32 v35, v36, 16, 1
	v_add3_u32 v35, v36, v35, s15
                                        ; implicit-def: $vgpr36
; %bb.277:                              ;   in Loop: Header=BB169_43 Depth=1
	s_andn2_saveexec_b64 s[0:1], s[0:1]
	s_cbranch_execz .LBB169_42
; %bb.278:                              ;   in Loop: Header=BB169_43 Depth=1
	v_or_b32_e32 v35, 0x10000, v36
	v_cmp_eq_u32_sdwa vcc, v36, v22 src0_sel:WORD_0 src1_sel:DWORD
	v_cndmask_b32_e32 v35, v35, v36, vcc
	s_branch .LBB169_42
.LBB169_279:
	s_or_b64 exec, exec, s[4:5]
.LBB169_280:
	s_or_b64 exec, exec, s[2:3]
	ds_bpermute_b32 v2, v20, v16
	ds_bpermute_b32 v3, v20, v17
	;; [unrolled: 1-line block ×6, first 2 shown]
	s_waitcnt lgkmcnt(4)
	v_pk_add_f32 v[6:7], v[16:17], v[2:3]
	s_waitcnt lgkmcnt(0)
	v_pk_add_f32 v[2:3], v[14:15], v[4:5]
	s_barrier
	v_pk_add_f32 v[4:5], v[12:13], v[8:9]
	v_and_b32_e32 v8, 0x3c1, v0
	v_cmp_eq_u32_e32 vcc, 64, v8
	s_and_saveexec_b64 s[0:1], vcc
	s_cbranch_execz .LBB169_282
; %bb.281:
	v_mov_b32_e32 v8, 0x190
	v_lshl_add_u32 v1, v1, 1, v8
	ds_write2_b32 v1, v6, v7 offset1:32
	ds_write2_b32 v1, v2, v3 offset0:64 offset1:96
	ds_write2_b32 v1, v4, v5 offset0:128 offset1:160
.LBB169_282:
	s_or_b64 exec, exec, s[0:1]
	v_cmp_gt_u32_e32 vcc, 64, v0
	s_waitcnt lgkmcnt(0)
	s_barrier
	s_and_saveexec_b64 s[2:3], vcc
	s_cbranch_execz .LBB169_291
; %bb.283:
	v_cmp_eq_u32_e64 s[0:1], 0, v21
	v_lshrrev_b32_e32 v1, 1, v0
	s_and_saveexec_b64 s[4:5], s[0:1]
	s_cbranch_execnz .LBB169_319
; %bb.284:
	s_or_b64 exec, exec, s[4:5]
	s_and_saveexec_b64 s[4:5], s[0:1]
	s_cbranch_execnz .LBB169_320
.LBB169_285:
	s_or_b64 exec, exec, s[4:5]
	s_and_saveexec_b64 s[4:5], s[0:1]
	s_cbranch_execnz .LBB169_321
.LBB169_286:
	s_or_b64 exec, exec, s[4:5]
	s_and_saveexec_b64 s[4:5], s[0:1]
	s_cbranch_execnz .LBB169_322
.LBB169_287:
	s_or_b64 exec, exec, s[4:5]
	s_and_saveexec_b64 s[4:5], s[0:1]
	s_cbranch_execnz .LBB169_323
.LBB169_288:
	s_or_b64 exec, exec, s[4:5]
	s_and_saveexec_b64 s[4:5], s[0:1]
	s_cbranch_execz .LBB169_290
.LBB169_289:
	v_mov_b32_e32 v8, 0x190
	v_lshl_add_u32 v1, v1, 2, v8
	ds_read_b32 v1, v1 offset:640
	s_waitcnt lgkmcnt(0)
	v_add_f32_e32 v5, v5, v1
.LBB169_290:
	s_or_b64 exec, exec, s[4:5]
.LBB169_291:
	s_or_b64 exec, exec, s[2:3]
	s_barrier
	s_and_saveexec_b64 s[0:1], vcc
	s_cbranch_execz .LBB169_318
; %bb.292:
	v_cmp_eq_u32_e32 vcc, 0, v21
	s_and_b64 exec, exec, vcc
	s_cbranch_execz .LBB169_318
; %bb.293:
	s_mov_b32 s0, 0x7f800000
	v_and_b32_e32 v1, 0x7f800000, v6
	v_cmp_ne_u32_e32 vcc, s0, v1
                                        ; implicit-def: $vgpr1
	s_and_saveexec_b64 s[0:1], vcc
	s_xor_b64 s[0:1], exec, s[0:1]
; %bb.294:
	v_bfe_u32 v1, v6, 16, 1
	s_movk_i32 s2, 0x7fff
	v_add3_u32 v1, v6, v1, s2
; %bb.295:
	s_andn2_saveexec_b64 s[0:1], s[0:1]
; %bb.296:
	v_mov_b32_e32 v1, 0
	v_or_b32_e32 v8, 0x10000, v6
	v_cmp_eq_u32_sdwa vcc, v6, v1 src0_sel:WORD_0 src1_sel:DWORD
	v_cndmask_b32_e32 v1, v8, v6, vcc
; %bb.297:
	s_or_b64 exec, exec, s[0:1]
	s_mul_i32 s0, s12, s20
	s_mul_i32 s0, s0, s21
	s_mulk_i32 s0, 0xc0
	s_ashr_i32 s1, s0, 31
	s_lshl_b64 s[0:1], s[0:1], 1
	s_add_u32 s2, s24, s0
	s_mul_i32 s0, s12, s22
	s_addc_u32 s3, s25, s1
	s_ashr_i32 s1, s0, 31
	s_lshl_b64 s[0:1], s[0:1], 1
	s_add_u32 s2, s2, s0
	s_mul_i32 s0, s8, 0xc0
	s_addc_u32 s3, s3, s1
	s_ashr_i32 s1, s0, 31
	s_lshl_b64 s[0:1], s[0:1], 1
	s_add_u32 s0, s2, s0
	s_addc_u32 s1, s3, s1
	v_and_b32_e32 v0, 0x3fe, v0
	v_mov_b32_e32 v6, s1
	v_add_co_u32_e32 v8, vcc, s0, v0
	v_addc_co_u32_e32 v9, vcc, 0, v6, vcc
	global_store_short_d16_hi v0, v1, s[0:1]
	s_mov_b32 s0, 0x7f800000
	v_and_b32_e32 v0, 0x7f800000, v7
	v_cmp_ne_u32_e32 vcc, s0, v0
                                        ; implicit-def: $vgpr0
	s_and_saveexec_b64 s[0:1], vcc
	s_xor_b64 s[0:1], exec, s[0:1]
; %bb.298:
	v_bfe_u32 v0, v7, 16, 1
	s_movk_i32 s2, 0x7fff
	v_add3_u32 v0, v7, v0, s2
; %bb.299:
	s_andn2_saveexec_b64 s[0:1], s[0:1]
; %bb.300:
	v_mov_b32_e32 v0, 0
	v_or_b32_e32 v1, 0x10000, v7
	v_cmp_eq_u32_sdwa vcc, v7, v0 src0_sel:WORD_0 src1_sel:DWORD
	v_cndmask_b32_e32 v0, v1, v7, vcc
; %bb.301:
	s_or_b64 exec, exec, s[0:1]
	global_store_short_d16_hi v[8:9], v0, off offset:64
	s_mov_b32 s0, 0x7f800000
	v_and_b32_e32 v0, 0x7f800000, v2
	v_cmp_ne_u32_e32 vcc, s0, v0
                                        ; implicit-def: $vgpr0
	s_and_saveexec_b64 s[0:1], vcc
	s_xor_b64 s[0:1], exec, s[0:1]
; %bb.302:
	v_bfe_u32 v0, v2, 16, 1
	s_movk_i32 s2, 0x7fff
	v_add3_u32 v0, v2, v0, s2
; %bb.303:
	s_andn2_saveexec_b64 s[0:1], s[0:1]
; %bb.304:
	v_mov_b32_e32 v0, 0
	v_or_b32_e32 v1, 0x10000, v2
	v_cmp_eq_u32_sdwa vcc, v2, v0 src0_sel:WORD_0 src1_sel:DWORD
	v_cndmask_b32_e32 v0, v1, v2, vcc
; %bb.305:
	s_or_b64 exec, exec, s[0:1]
	global_store_short_d16_hi v[8:9], v0, off offset:128
	;; [unrolled: 20-line block ×4, first 2 shown]
	s_mov_b32 s0, 0x7f800000
	v_and_b32_e32 v0, 0x7f800000, v5
	v_cmp_ne_u32_e32 vcc, s0, v0
                                        ; implicit-def: $vgpr6
	s_and_saveexec_b64 s[0:1], vcc
	s_xor_b64 s[0:1], exec, s[0:1]
; %bb.314:
	v_bfe_u32 v0, v5, 16, 1
	s_movk_i32 s2, 0x7fff
	v_add3_u32 v6, v5, v0, s2
                                        ; implicit-def: $vgpr0_vgpr1_vgpr2_vgpr3_vgpr4_vgpr5
; %bb.315:
	s_andn2_saveexec_b64 s[0:1], s[0:1]
; %bb.316:
	v_mov_b32_e32 v0, 0
	v_or_b32_e32 v1, 0x10000, v5
	v_cmp_eq_u32_sdwa vcc, v5, v0 src0_sel:WORD_0 src1_sel:DWORD
	v_cndmask_b32_e32 v6, v1, v5, vcc
; %bb.317:
	s_or_b64 exec, exec, s[0:1]
	global_store_short_d16_hi v[8:9], v6, off offset:320
.LBB169_318:
	s_endpgm
.LBB169_319:
	v_mov_b32_e32 v8, 0x190
	v_lshl_add_u32 v8, v1, 2, v8
	ds_read_b32 v8, v8
	s_waitcnt lgkmcnt(0)
	v_add_f32_e32 v6, v6, v8
	s_or_b64 exec, exec, s[4:5]
	s_and_saveexec_b64 s[4:5], s[0:1]
	s_cbranch_execz .LBB169_285
.LBB169_320:
	v_mov_b32_e32 v8, 0x190
	v_lshl_add_u32 v8, v1, 2, v8
	ds_read_b32 v8, v8 offset:128
	s_waitcnt lgkmcnt(0)
	v_add_f32_e32 v7, v7, v8
	s_or_b64 exec, exec, s[4:5]
	s_and_saveexec_b64 s[4:5], s[0:1]
	s_cbranch_execz .LBB169_286
.LBB169_321:
	v_mov_b32_e32 v8, 0x190
	v_lshl_add_u32 v8, v1, 2, v8
	ds_read_b32 v8, v8 offset:256
	s_waitcnt lgkmcnt(0)
	v_add_f32_e32 v2, v2, v8
	s_or_b64 exec, exec, s[4:5]
	s_and_saveexec_b64 s[4:5], s[0:1]
	s_cbranch_execz .LBB169_287
.LBB169_322:
	v_mov_b32_e32 v8, 0x190
	v_lshl_add_u32 v8, v1, 2, v8
	ds_read_b32 v8, v8 offset:384
	s_waitcnt lgkmcnt(0)
	v_add_f32_e32 v3, v3, v8
	s_or_b64 exec, exec, s[4:5]
	s_and_saveexec_b64 s[4:5], s[0:1]
	s_cbranch_execz .LBB169_288
.LBB169_323:
	v_mov_b32_e32 v8, 0x190
	v_lshl_add_u32 v8, v1, 2, v8
	ds_read_b32 v8, v8 offset:512
	s_waitcnt lgkmcnt(0)
	v_add_f32_e32 v4, v4, v8
	s_or_b64 exec, exec, s[4:5]
	s_and_saveexec_b64 s[4:5], s[0:1]
	s_cbranch_execnz .LBB169_289
	s_branch .LBB169_290
	.section	.rodata,"a",@progbits
	.p2align	6, 0x0
	.amdhsa_kernel _ZN4vllm25paged_attention_v2_kernelI14__hip_bfloat16S1_Li192ELi16ELi128ELNS_18Fp8KVCacheDataTypeE0ELb0ELi512EEEvPfS3_PT_PKS4_PKT0_SA_ifPKiSC_iPKfiiiSE_SE_iiiii
		.amdhsa_group_segment_fixed_size 400
		.amdhsa_private_segment_fixed_size 0
		.amdhsa_kernarg_size 400
		.amdhsa_user_sgpr_count 6
		.amdhsa_user_sgpr_private_segment_buffer 1
		.amdhsa_user_sgpr_dispatch_ptr 0
		.amdhsa_user_sgpr_queue_ptr 0
		.amdhsa_user_sgpr_kernarg_segment_ptr 1
		.amdhsa_user_sgpr_dispatch_id 0
		.amdhsa_user_sgpr_flat_scratch_init 0
		.amdhsa_user_sgpr_kernarg_preload_length 0
		.amdhsa_user_sgpr_kernarg_preload_offset 0
		.amdhsa_user_sgpr_private_segment_size 0
		.amdhsa_uses_dynamic_stack 0
		.amdhsa_system_sgpr_private_segment_wavefront_offset 0
		.amdhsa_system_sgpr_workgroup_id_x 1
		.amdhsa_system_sgpr_workgroup_id_y 1
		.amdhsa_system_sgpr_workgroup_id_z 1
		.amdhsa_system_sgpr_workgroup_info 0
		.amdhsa_system_vgpr_workitem_id 0
		.amdhsa_next_free_vgpr 102
		.amdhsa_next_free_sgpr 43
		.amdhsa_accum_offset 104
		.amdhsa_reserve_vcc 1
		.amdhsa_reserve_flat_scratch 0
		.amdhsa_float_round_mode_32 0
		.amdhsa_float_round_mode_16_64 0
		.amdhsa_float_denorm_mode_32 3
		.amdhsa_float_denorm_mode_16_64 3
		.amdhsa_dx10_clamp 1
		.amdhsa_ieee_mode 1
		.amdhsa_fp16_overflow 0
		.amdhsa_tg_split 0
		.amdhsa_exception_fp_ieee_invalid_op 0
		.amdhsa_exception_fp_denorm_src 0
		.amdhsa_exception_fp_ieee_div_zero 0
		.amdhsa_exception_fp_ieee_overflow 0
		.amdhsa_exception_fp_ieee_underflow 0
		.amdhsa_exception_fp_ieee_inexact 0
		.amdhsa_exception_int_div_zero 0
	.end_amdhsa_kernel
	.section	.text._ZN4vllm25paged_attention_v2_kernelI14__hip_bfloat16S1_Li192ELi16ELi128ELNS_18Fp8KVCacheDataTypeE0ELb0ELi512EEEvPfS3_PT_PKS4_PKT0_SA_ifPKiSC_iPKfiiiSE_SE_iiiii,"axG",@progbits,_ZN4vllm25paged_attention_v2_kernelI14__hip_bfloat16S1_Li192ELi16ELi128ELNS_18Fp8KVCacheDataTypeE0ELb0ELi512EEEvPfS3_PT_PKS4_PKT0_SA_ifPKiSC_iPKfiiiSE_SE_iiiii,comdat
.Lfunc_end169:
	.size	_ZN4vllm25paged_attention_v2_kernelI14__hip_bfloat16S1_Li192ELi16ELi128ELNS_18Fp8KVCacheDataTypeE0ELb0ELi512EEEvPfS3_PT_PKS4_PKT0_SA_ifPKiSC_iPKfiiiSE_SE_iiiii, .Lfunc_end169-_ZN4vllm25paged_attention_v2_kernelI14__hip_bfloat16S1_Li192ELi16ELi128ELNS_18Fp8KVCacheDataTypeE0ELb0ELi512EEEvPfS3_PT_PKS4_PKT0_SA_ifPKiSC_iPKfiiiSE_SE_iiiii
                                        ; -- End function
	.section	.AMDGPU.csdata,"",@progbits
; Kernel info:
; codeLenInByte = 11164
; NumSgprs: 47
; NumVgprs: 102
; NumAgprs: 0
; TotalNumVgprs: 102
; ScratchSize: 0
; MemoryBound: 0
; FloatMode: 240
; IeeeMode: 1
; LDSByteSize: 400 bytes/workgroup (compile time only)
; SGPRBlocks: 5
; VGPRBlocks: 12
; NumSGPRsForWavesPerEU: 47
; NumVGPRsForWavesPerEU: 102
; AccumOffset: 104
; Occupancy: 4
; WaveLimiterHint : 1
; COMPUTE_PGM_RSRC2:SCRATCH_EN: 0
; COMPUTE_PGM_RSRC2:USER_SGPR: 6
; COMPUTE_PGM_RSRC2:TRAP_HANDLER: 0
; COMPUTE_PGM_RSRC2:TGID_X_EN: 1
; COMPUTE_PGM_RSRC2:TGID_Y_EN: 1
; COMPUTE_PGM_RSRC2:TGID_Z_EN: 1
; COMPUTE_PGM_RSRC2:TIDIG_COMP_CNT: 0
; COMPUTE_PGM_RSRC3_GFX90A:ACCUM_OFFSET: 25
; COMPUTE_PGM_RSRC3_GFX90A:TG_SPLIT: 0
	.section	.text._ZN4vllm25paged_attention_v2_kernelI14__hip_bfloat16S1_Li256ELi16ELi128ELNS_18Fp8KVCacheDataTypeE0ELb0ELi512EEEvPfS3_PT_PKS4_PKT0_SA_ifPKiSC_iPKfiiiSE_SE_iiiii,"axG",@progbits,_ZN4vllm25paged_attention_v2_kernelI14__hip_bfloat16S1_Li256ELi16ELi128ELNS_18Fp8KVCacheDataTypeE0ELb0ELi512EEEvPfS3_PT_PKS4_PKT0_SA_ifPKiSC_iPKfiiiSE_SE_iiiii,comdat
	.protected	_ZN4vllm25paged_attention_v2_kernelI14__hip_bfloat16S1_Li256ELi16ELi128ELNS_18Fp8KVCacheDataTypeE0ELb0ELi512EEEvPfS3_PT_PKS4_PKT0_SA_ifPKiSC_iPKfiiiSE_SE_iiiii ; -- Begin function _ZN4vllm25paged_attention_v2_kernelI14__hip_bfloat16S1_Li256ELi16ELi128ELNS_18Fp8KVCacheDataTypeE0ELb0ELi512EEEvPfS3_PT_PKS4_PKT0_SA_ifPKiSC_iPKfiiiSE_SE_iiiii
	.globl	_ZN4vllm25paged_attention_v2_kernelI14__hip_bfloat16S1_Li256ELi16ELi128ELNS_18Fp8KVCacheDataTypeE0ELb0ELi512EEEvPfS3_PT_PKS4_PKT0_SA_ifPKiSC_iPKfiiiSE_SE_iiiii
	.p2align	8
	.type	_ZN4vllm25paged_attention_v2_kernelI14__hip_bfloat16S1_Li256ELi16ELi128ELNS_18Fp8KVCacheDataTypeE0ELb0ELi512EEEvPfS3_PT_PKS4_PKT0_SA_ifPKiSC_iPKfiiiSE_SE_iiiii,@function
_ZN4vllm25paged_attention_v2_kernelI14__hip_bfloat16S1_Li256ELi16ELi128ELNS_18Fp8KVCacheDataTypeE0ELb0ELi512EEEvPfS3_PT_PKS4_PKT0_SA_ifPKiSC_iPKfiiiSE_SE_iiiii: ; @_ZN4vllm25paged_attention_v2_kernelI14__hip_bfloat16S1_Li256ELi16ELi128ELNS_18Fp8KVCacheDataTypeE0ELb0ELi512EEEvPfS3_PT_PKS4_PKT0_SA_ifPKiSC_iPKfiiiSE_SE_iiiii
; %bb.0:
	s_load_dwordx2 s[0:1], s[4:5], 0x40
	s_mov_b32 s20, s7
	s_ashr_i32 s21, s7, 31
	s_lshl_b64 s[2:3], s[20:21], 2
	s_waitcnt lgkmcnt(0)
	s_add_u32 s0, s0, s2
	s_addc_u32 s1, s1, s3
	s_load_dword s33, s[0:1], 0x0
	s_lshl_b32 s40, s8, 9
	s_waitcnt lgkmcnt(0)
	s_cmp_ge_i32 s40, s33
	s_cbranch_scc1 .LBB170_396
; %bb.1:
	s_load_dword s21, s[4:5], 0x90
	s_load_dwordx2 s[10:11], s[4:5], 0x30
	s_waitcnt lgkmcnt(0)
	s_abs_i32 s2, s21
	s_abs_i32 s0, s10
	v_cvt_f32_u32_e32 v1, s0
	s_sub_i32 s3, 0, s0
	s_xor_b32 s1, s21, s10
	s_ashr_i32 s1, s1, 31
	v_rcp_iflag_f32_e32 v1, v1
	s_mov_b32 s10, 0
	v_mul_f32_e32 v1, 0x4f7ffffe, v1
	v_cvt_u32_f32_e32 v1, v1
	v_readfirstlane_b32 s7, v1
	s_mul_i32 s3, s3, s7
	s_mul_hi_u32 s3, s7, s3
	s_add_i32 s7, s7, s3
	s_mul_hi_u32 s3, s2, s7
	s_mul_i32 s7, s3, s0
	s_sub_i32 s2, s2, s7
	s_add_i32 s9, s3, 1
	s_sub_i32 s7, s2, s0
	s_cmp_ge_u32 s2, s0
	s_cselect_b32 s3, s9, s3
	s_cselect_b32 s2, s7, s2
	s_add_i32 s7, s3, 1
	s_cmp_ge_u32 s2, s0
	s_cselect_b32 s0, s7, s3
	s_xor_b32 s0, s0, s1
	s_sub_i32 s9, s0, s1
	s_abs_i32 s2, s9
	v_cvt_f32_u32_e32 v1, s2
	s_load_dwordx2 s[0:1], s[4:5], 0x50
	s_sub_i32 s7, 0, s2
	s_abs_i32 s3, s6
	v_rcp_iflag_f32_e32 v1, v1
	v_mul_f32_e32 v1, 0x4f7ffffe, v1
	v_cvt_u32_f32_e32 v1, v1
	v_readfirstlane_b32 s12, v1
	s_mul_i32 s7, s7, s12
	s_mul_hi_u32 s7, s12, s7
	s_add_i32 s12, s12, s7
	s_waitcnt lgkmcnt(0)
	s_cmp_eq_u64 s[0:1], 0
	s_mul_hi_u32 s16, s3, s12
	s_cbranch_scc1 .LBB170_3
; %bb.2:
	s_ashr_i32 s7, s6, 31
	s_lshl_b64 s[12:13], s[6:7], 2
	s_add_u32 s0, s0, s12
	s_addc_u32 s1, s1, s13
	s_load_dword s10, s[0:1], 0x0
.LBB170_3:
	s_load_dwordx4 s[12:15], s[4:5], 0x58
	s_movk_i32 s0, 0x80
	s_ashr_i32 s17, s6, 31
	s_ashr_i32 s18, s9, 31
	v_and_b32_e32 v73, 3, v0
	s_lshl_b32 s22, s6, 8
	v_cmp_gt_u32_e32 vcc, s0, v0
	s_and_saveexec_b64 s[0:1], vcc
	s_cbranch_execz .LBB170_5
; %bb.4:
	s_load_dwordx2 s[24:25], s[4:5], 0x18
	s_waitcnt lgkmcnt(0)
	s_mul_i32 s26, s20, s12
	s_ashr_i32 s27, s26, 31
	s_lshl_b64 s[26:27], s[26:27], 1
	v_lshlrev_b32_e32 v1, 2, v0
	s_add_u32 s7, s24, s26
	s_addc_u32 s9, s25, s27
	s_ashr_i32 s23, s22, 31
	s_lshl_b64 s[24:25], s[22:23], 1
	s_add_u32 s24, s7, s24
	s_addc_u32 s25, s9, s25
	global_load_dword v1, v1, s[24:25]
	v_and_b32_e32 v2, 0x3fc, v0
	v_lshl_add_u32 v2, v73, 7, v2
	s_waitcnt vmcnt(0)
	ds_write_b32 v2, v1
.LBB170_5:
	s_or_b64 exec, exec, s[0:1]
	s_add_i32 s0, s33, 15
	s_ashr_i32 s1, s0, 31
	s_lshr_b32 s1, s1, 28
	s_add_i32 s0, s0, s1
	s_lshl_b32 s9, s8, 5
	s_mul_i32 s1, s16, s2
	s_ashr_i32 s7, s0, 4
	s_add_i32 s0, s9, 32
	s_sub_i32 s1, s3, s1
	s_min_i32 s23, s0, s7
	s_xor_b32 s0, s17, s18
	s_add_i32 s3, s16, 1
	s_waitcnt lgkmcnt(0)
	s_sub_i32 s12, s1, s2
	s_cmp_ge_u32 s1, s2
	s_cselect_b32 s3, s3, s16
	s_cselect_b32 s1, s12, s1
	s_add_i32 s12, s3, 1
	s_cmp_ge_u32 s1, s2
	s_load_dwordx2 s[26:27], s[4:5], 0x38
	s_load_dword s2, s[4:5], 0x48
	v_lshrrev_b32_e32 v4, 6, v0
	s_cselect_b32 s1, s12, s3
	s_xor_b32 s1, s1, s0
	v_or_b32_e32 v10, s9, v4
	s_waitcnt lgkmcnt(0)
	s_mul_i32 s28, s20, s2
	s_sub_i32 s15, s1, s0
	s_ashr_i32 s29, s28, 31
	v_cmp_gt_i32_e64 s[0:1], s23, v10
	v_cmp_le_i32_e32 vcc, s23, v10
	v_mbcnt_lo_u32_b32 v75, -1, 0
	s_barrier
	s_waitcnt lgkmcnt(0)
                                        ; implicit-def: $sgpr36
                                        ; implicit-def: $vgpr5
                                        ; implicit-def: $vgpr6
	s_and_saveexec_b64 s[2:3], vcc
	s_xor_b64 s[2:3], exec, s[2:3]
; %bb.6:
	v_mbcnt_hi_u32_b32 v5, -1, v75
	v_and_b32_e32 v1, 64, v5
	v_add_u32_e32 v6, 64, v1
	s_mov_b32 s36, 0xff7fffff
                                        ; implicit-def: $vgpr73
                                        ; implicit-def: $vgpr75
; %bb.7:
	s_or_saveexec_b64 s[34:35], s[2:3]
	s_load_dwordx4 s[16:19], s[4:5], 0x0
	s_load_dwordx2 s[24:25], s[4:5], 0x10
	s_load_dwordx2 s[30:31], s[4:5], 0x28
	s_load_dword s12, s[4:5], 0x98
	v_mov_b32_e32 v72, s36
	s_mul_i32 s14, s15, s14
	v_ashrrev_i32_e32 v11, 31, v10
	s_xor_b64 exec, exec, s[34:35]
	s_cbranch_execz .LBB170_13
; %bb.8:
	s_load_dwordx2 s[2:3], s[4:5], 0x20
	s_ashr_i32 s15, s14, 31
	s_lshl_b64 s[4:5], s[14:15], 1
	v_lshlrev_b32_e32 v2, 7, v73
	ds_read_b128 v[12:15], v2
	ds_read_b128 v[20:23], v2 offset:16
	ds_read_b128 v[28:31], v2 offset:32
	;; [unrolled: 1-line block ×3, first 2 shown]
	s_waitcnt lgkmcnt(0)
	s_add_u32 s4, s2, s4
	s_addc_u32 s5, s3, s5
	s_sub_i32 s15, 1, s33
	s_lshl_b64 s[2:3], s[28:29], 2
	s_add_u32 s2, s26, s2
	ds_read_b128 v[44:47], v2 offset:64
	ds_read_b128 v[52:55], v2 offset:80
	;; [unrolled: 1-line block ×4, first 2 shown]
	s_addc_u32 s3, s27, s3
	v_lshlrev_b64 v[2:3], 2, v[10:11]
	v_mov_b32_e32 v5, s3
	v_add_co_u32_e32 v2, vcc, s2, v2
	v_bfe_u32 v72, v0, 2, 4
	v_addc_co_u32_e32 v3, vcc, v5, v3, vcc
	v_lshlrev_b32_e32 v5, 4, v72
	v_cmp_eq_u32_e32 vcc, 0, v73
	v_mov_b32_e32 v6, s5
	v_add_co_u32_e64 v5, s[2:3], s4, v5
	v_lshlrev_b32_e32 v73, 2, v0
	v_addc_co_u32_e64 v6, s[2:3], 0, v6, s[2:3]
	v_and_b32_e32 v73, 12, v73
	v_add_co_u32_e64 v73, s[2:3], v5, v73
	v_mbcnt_hi_u32_b32 v5, -1, v75
	v_addc_co_u32_e64 v74, s[2:3], 0, v6, s[2:3]
	v_and_b32_e32 v6, 64, v5
	v_add_u32_e32 v6, 64, v6
	v_xor_b32_e32 v75, 2, v5
	v_cmp_lt_i32_e64 s[2:3], v75, v6
	v_xor_b32_e32 v76, 1, v5
	v_lshlrev_b32_e32 v77, 4, v4
	v_cndmask_b32_e64 v75, v5, v75, s[2:3]
	v_cmp_lt_i32_e64 s[2:3], v76, v6
	v_add3_u32 v77, s40, v77, v72
	v_lshlrev_b32_e32 v72, 2, v72
	v_cndmask_b32_e64 v76, v5, v76, s[2:3]
	v_lshl_or_b32 v72, v4, 6, v72
	v_lshlrev_b32_e32 v1, 16, v12
	v_and_b32_e32 v7, 0xffff0000, v12
	v_lshlrev_b32_e32 v8, 16, v13
	v_and_b32_e32 v9, 0xffff0000, v13
	;; [unrolled: 2-line block ×16, first 2 shown]
	s_waitcnt lgkmcnt(3)
	v_lshlrev_b32_e32 v40, 16, v44
	v_and_b32_e32 v41, 0xffff0000, v44
	v_lshlrev_b32_e32 v42, 16, v45
	v_and_b32_e32 v43, 0xffff0000, v45
	v_lshlrev_b32_e32 v44, 16, v46
	v_and_b32_e32 v45, 0xffff0000, v46
	v_lshlrev_b32_e32 v46, 16, v47
	v_and_b32_e32 v47, 0xffff0000, v47
	s_waitcnt lgkmcnt(2)
	v_lshlrev_b32_e32 v48, 16, v52
	v_and_b32_e32 v49, 0xffff0000, v52
	v_lshlrev_b32_e32 v50, 16, v53
	v_and_b32_e32 v51, 0xffff0000, v53
	v_lshlrev_b32_e32 v52, 16, v54
	v_and_b32_e32 v53, 0xffff0000, v54
	v_lshlrev_b32_e32 v54, 16, v55
	v_and_b32_e32 v55, 0xffff0000, v55
	;; [unrolled: 9-line block ×4, first 2 shown]
	s_mov_b32 s41, s13
	v_lshlrev_b32_e32 v75, 2, v75
	v_lshlrev_b32_e32 v76, 2, v76
	v_cmp_neq_f32_e64 s[2:3], s10, 0
	v_add_u32_e32 v78, 0x210, v72
	s_mov_b64 s[36:37], 0
	s_movk_i32 s42, 0x1000
	v_mov_b32_e32 v72, 0xff7fffff
	v_mov_b32_e32 v79, v10
	s_branch .LBB170_10
.LBB170_9:                              ;   in Loop: Header=BB170_10 Depth=1
	s_or_b64 exec, exec, s[38:39]
	v_add_u32_e32 v79, 2, v79
	v_cmp_le_i32_e64 s[4:5], s23, v79
	s_or_b64 s[36:37], s[4:5], s[36:37]
	v_add_co_u32_e64 v2, s[4:5], 8, v2
	v_add_u32_e32 v77, 32, v77
	v_add_u32_e32 v78, 0x80, v78
	v_addc_co_u32_e64 v3, s[4:5], 0, v3, s[4:5]
	s_andn2_b64 exec, exec, s[36:37]
	s_cbranch_execz .LBB170_12
.LBB170_10:                             ; =>This Inner Loop Header: Depth=1
	global_load_dword v80, v[2:3], off
	s_waitcnt vmcnt(0) lgkmcnt(0)
	v_mad_i64_i32 v[80:81], s[4:5], v80, s41, 0
	v_lshlrev_b64 v[80:81], 1, v[80:81]
	v_add_co_u32_e64 v80, s[4:5], v73, v80
	v_addc_co_u32_e64 v81, s[4:5], v74, v81, s[4:5]
	global_load_dword v87, v[80:81], off offset:256
	global_load_dword v90, v[80:81], off
	global_load_dword v91, v[80:81], off offset:512
	global_load_dword v92, v[80:81], off offset:768
	;; [unrolled: 1-line block ×9, first 2 shown]
	v_add_co_u32_e64 v88, s[4:5], s42, v80
	v_addc_co_u32_e64 v89, s[4:5], 0, v81, s[4:5]
	global_load_dword v100, v[80:81], off offset:2816
	global_load_dword v101, v[80:81], off offset:3072
	;; [unrolled: 1-line block ×5, first 2 shown]
	global_load_dword v105, v[88:89], off
	global_load_dword v106, v[88:89], off offset:256
	global_load_dword v107, v[88:89], off offset:512
	;; [unrolled: 1-line block ×15, first 2 shown]
	s_waitcnt vmcnt(31)
	v_lshlrev_b32_e32 v80, 16, v87
	v_mul_f32_e32 v80, v8, v80
	s_waitcnt vmcnt(30)
	v_lshlrev_b32_e32 v81, 16, v90
	v_fmac_f32_e32 v80, v1, v81
	v_and_b32_e32 v81, 0xffff0000, v87
	v_and_b32_e32 v88, 0xffff0000, v90
	v_mul_f32_e32 v81, v9, v81
	s_waitcnt vmcnt(29)
	v_lshlrev_b32_e32 v87, 16, v91
	v_fmac_f32_e32 v81, v7, v88
	v_fmac_f32_e32 v80, v12, v87
	v_and_b32_e32 v87, 0xffff0000, v91
	v_fmac_f32_e32 v81, v13, v87
	s_waitcnt vmcnt(28)
	v_lshlrev_b32_e32 v87, 16, v92
	v_fmac_f32_e32 v80, v14, v87
	v_and_b32_e32 v87, 0xffff0000, v92
	v_fmac_f32_e32 v81, v15, v87
	s_waitcnt vmcnt(27)
	v_lshlrev_b32_e32 v87, 16, v93
	;; [unrolled: 5-line block ×18, first 2 shown]
	v_and_b32_e32 v88, 0xffff0000, v109
	v_fmac_f32_e32 v80, v48, v87
	s_waitcnt vmcnt(10)
	v_lshlrev_b32_e32 v87, 16, v110
	v_and_b32_e32 v89, 0xffff0000, v110
	v_fmac_f32_e32 v81, v49, v88
	s_waitcnt vmcnt(9)
	v_lshlrev_b32_e32 v88, 16, v111
	v_and_b32_e32 v90, 0xffff0000, v111
	v_fmac_f32_e32 v80, v50, v87
	v_fmac_f32_e32 v81, v51, v89
	s_waitcnt vmcnt(8)
	v_lshlrev_b32_e32 v87, 16, v112
	v_and_b32_e32 v91, 0xffff0000, v112
	v_fmac_f32_e32 v80, v52, v88
	;; [unrolled: 5-line block ×10, first 2 shown]
	v_fmac_f32_e32 v81, v69, v83
	v_fmac_f32_e32 v80, v70, v88
	;; [unrolled: 1-line block ×3, first 2 shown]
	v_add_f32_e32 v80, v80, v81
	ds_bpermute_b32 v81, v75, v80
	s_waitcnt lgkmcnt(0)
	v_add_f32_e32 v80, v80, v81
	ds_bpermute_b32 v81, v76, v80
	s_and_saveexec_b64 s[38:39], vcc
	s_cbranch_execz .LBB170_9
; %bb.11:                               ;   in Loop: Header=BB170_10 Depth=1
	v_add_u32_e32 v82, s15, v77
	v_cvt_f32_i32_e32 v82, v82
	s_waitcnt lgkmcnt(0)
	v_add_f32_e32 v80, v80, v81
	v_cmp_gt_i32_e64 s[4:5], s33, v77
	v_max_f32_e32 v81, v72, v72
	v_mul_f32_e32 v82, s10, v82
	v_cndmask_b32_e64 v82, 0, v82, s[2:3]
	v_fmac_f32_e32 v82, s11, v80
	v_cndmask_b32_e64 v80, 0, v82, s[4:5]
	ds_write_b32 v78, v80
	v_max_f32_e32 v80, v81, v82
	v_cndmask_b32_e64 v72, v72, v80, s[4:5]
	s_branch .LBB170_9
.LBB170_12:
	s_or_b64 exec, exec, s[36:37]
.LBB170_13:
	s_or_b64 exec, exec, s[34:35]
	v_xor_b32_e32 v1, 32, v5
	v_cmp_lt_i32_e32 vcc, v1, v6
	v_cndmask_b32_e32 v1, v5, v1, vcc
	v_lshlrev_b32_e32 v2, 2, v1
	ds_bpermute_b32 v1, v2, v72
	v_xor_b32_e32 v7, 16, v5
	v_max_f32_e32 v3, v72, v72
	v_cmp_lt_i32_e32 vcc, v7, v6
	v_xor_b32_e32 v8, 8, v5
	s_waitcnt lgkmcnt(0)
	v_max_f32_e32 v1, v1, v1
	v_max_f32_e32 v1, v3, v1
	v_cndmask_b32_e32 v3, v5, v7, vcc
	v_lshlrev_b32_e32 v3, 2, v3
	ds_bpermute_b32 v7, v3, v1
	v_cmp_lt_i32_e32 vcc, v8, v6
	s_waitcnt lgkmcnt(0)
	v_max_f32_e32 v7, v7, v7
	v_max_f32_e32 v1, v1, v7
	v_cndmask_b32_e32 v7, v5, v8, vcc
	v_lshlrev_b32_e32 v12, 2, v7
	ds_bpermute_b32 v7, v12, v1
	v_xor_b32_e32 v8, 4, v5
	v_cmp_lt_i32_e32 vcc, v8, v6
	s_waitcnt lgkmcnt(0)
	v_max_f32_e32 v7, v7, v7
	v_max_f32_e32 v7, v1, v7
	v_cndmask_b32_e32 v1, v5, v8, vcc
	v_lshlrev_b32_e32 v13, 2, v1
	ds_bpermute_b32 v9, v13, v7
	v_and_b32_e32 v1, 63, v0
	v_cmp_eq_u32_e32 vcc, 0, v1
	v_lshlrev_b32_e32 v8, 2, v4
	s_and_saveexec_b64 s[2:3], vcc
	s_cbranch_execz .LBB170_15
; %bb.14:
	s_waitcnt lgkmcnt(0)
	v_max_f32_e32 v9, v9, v9
	v_max_f32_e32 v7, v7, v7
	v_max_f32_e32 v7, v7, v9
	ds_write_b32 v8, v7 offset:512
.LBB170_15:
	s_or_b64 exec, exec, s[2:3]
	v_cmp_gt_u32_e64 s[2:3], 2, v1
	v_mov_b32_e32 v7, 0xff7fffff
	s_waitcnt lgkmcnt(0)
	v_lshlrev_b32_e32 v9, 2, v1
	s_barrier
	s_and_saveexec_b64 s[4:5], s[2:3]
	s_cbranch_execz .LBB170_17
; %bb.16:
	ds_read_b32 v7, v9 offset:512
.LBB170_17:
	s_or_b64 exec, exec, s[4:5]
	v_xor_b32_e32 v14, 1, v5
	v_cmp_lt_i32_e64 s[4:5], v14, v6
	v_cndmask_b32_e64 v14, v5, v14, s[4:5]
	v_lshlrev_b32_e32 v22, 2, v14
	s_waitcnt lgkmcnt(0)
	ds_bpermute_b32 v14, v22, v7
	v_max_f32_e32 v7, v7, v7
	s_sub_i32 s4, s23, s9
	s_lshl_b32 s4, s4, 4
	s_add_i32 s4, s4, s40
	s_waitcnt lgkmcnt(0)
	v_max_f32_e32 v14, v14, v14
	v_max_f32_e32 v7, v7, v14
	v_lshlrev_b32_e32 v14, 2, v5
	v_and_b32_e32 v14, 0xffffff00, v14
	ds_bpermute_b32 v7, v14, v7
	s_min_i32 s15, s4, s33
	s_sub_i32 s9, s15, s40
	v_cmp_gt_i32_e64 s[4:5], s9, v0
	v_mov_b32_e32 v15, 0
	s_and_saveexec_b64 s[34:35], s[4:5]
	s_cbranch_execz .LBB170_21
; %bb.18:
	v_mov_b32_e32 v15, 0x210
	v_lshl_add_u32 v16, v0, 2, v15
	s_mov_b64 s[36:37], 0
	v_mov_b32_e32 v15, 0
	v_mov_b32_e32 v17, v0
.LBB170_19:                             ; =>This Inner Loop Header: Depth=1
	ds_read_b32 v18, v16
	v_add_u32_e32 v17, 0x80, v17
	v_cmp_le_i32_e64 s[10:11], s9, v17
	s_or_b64 s[36:37], s[10:11], s[36:37]
	s_waitcnt lgkmcnt(0)
	v_sub_f32_e32 v18, v18, v7
	v_mul_f32_e32 v18, 0x3fb8aa3b, v18
	v_exp_f32_e32 v18, v18
	ds_write_b32 v16, v18
	v_add_f32_e32 v15, v15, v18
	v_add_u32_e32 v16, 0x200, v16
	s_andn2_b64 exec, exec, s[36:37]
	s_cbranch_execnz .LBB170_19
; %bb.20:
	s_or_b64 exec, exec, s[36:37]
.LBB170_21:
	s_or_b64 exec, exec, s[34:35]
	ds_bpermute_b32 v2, v2, v15
	s_waitcnt lgkmcnt(0)
	v_add_f32_e32 v2, v15, v2
	ds_bpermute_b32 v3, v3, v2
	s_waitcnt lgkmcnt(0)
	v_add_f32_e32 v2, v2, v3
	ds_bpermute_b32 v3, v12, v2
	v_xor_b32_e32 v12, 2, v5
	v_cmp_lt_i32_e64 s[10:11], v12, v6
	v_cndmask_b32_e64 v5, v5, v12, s[10:11]
	s_waitcnt lgkmcnt(0)
	v_add_f32_e32 v2, v2, v3
	ds_bpermute_b32 v3, v13, v2
	s_waitcnt lgkmcnt(0)
	v_add_f32_e32 v2, v2, v3
	v_lshlrev_b32_e32 v3, 2, v5
	ds_bpermute_b32 v3, v3, v2
	s_waitcnt lgkmcnt(0)
	v_add_f32_e32 v2, v2, v3
	ds_bpermute_b32 v3, v22, v2
	s_waitcnt lgkmcnt(0)
	v_add_f32_e32 v2, v2, v3
	s_and_saveexec_b64 s[10:11], vcc
	s_cbranch_execz .LBB170_23
; %bb.22:
	ds_write_b32 v8, v2 offset:520
.LBB170_23:
	s_or_b64 exec, exec, s[10:11]
	s_waitcnt lgkmcnt(0)
	s_barrier
	s_and_saveexec_b64 s[10:11], s[2:3]
	s_cbranch_execz .LBB170_25
; %bb.24:
	ds_read_b32 v2, v9 offset:520
.LBB170_25:
	s_or_b64 exec, exec, s[10:11]
	s_waitcnt lgkmcnt(0)
	ds_bpermute_b32 v3, v22, v2
	s_waitcnt lgkmcnt(0)
	v_add_f32_e32 v2, v2, v3
	ds_bpermute_b32 v5, v14, v2
	s_and_saveexec_b64 s[2:3], s[4:5]
	s_cbranch_execz .LBB170_38
; %bb.26:
	s_waitcnt lgkmcnt(0)
	v_add_f32_e32 v2, 0x358637bd, v5
	v_div_scale_f32 v3, s[4:5], v2, v2, 1.0
	v_rcp_f32_e32 v6, v3
	v_div_scale_f32 v8, vcc, 1.0, v2, 1.0
	s_movk_i32 s4, 0x7f
	v_fma_f32 v9, -v3, v6, 1.0
	v_fmac_f32_e32 v6, v9, v6
	v_mul_f32_e32 v9, v8, v6
	v_fma_f32 v12, -v3, v9, v8
	v_fmac_f32_e32 v9, v12, v6
	v_fma_f32 v3, -v3, v9, v8
	v_div_fmas_f32 v3, v3, v6, v9
	v_div_fixup_f32 v2, v3, v2, 1.0
	v_xad_u32 v3, v0, -1, s15
	v_subrev_u32_e32 v6, s40, v3
	v_cmp_lt_u32_e32 vcc, s4, v6
	s_mov_b64 s[10:11], -1
	v_mov_b32_e32 v3, v0
	s_and_saveexec_b64 s[4:5], vcc
	s_cbranch_execz .LBB170_35
; %bb.27:
	v_lshrrev_b32_e32 v6, 7, v6
	v_add_u32_e32 v9, -1, v6
	v_lshrrev_b32_e32 v8, 1, v9
	v_mov_b32_e32 v3, v2
	v_add_u32_e32 v8, 1, v8
	v_cmp_lt_u32_e32 vcc, 13, v9
	v_mov_b32_e32 v13, 0
	s_and_saveexec_b64 s[10:11], vcc
	s_cbranch_execz .LBB170_31
; %bb.28:
	v_mov_b32_e32 v12, 0x210
	v_and_b32_e32 v9, -8, v8
	v_lshl_add_u32 v12, v0, 2, v12
	s_mov_b32 s15, 0
	s_mov_b64 s[34:35], 0
.LBB170_29:                             ; =>This Inner Loop Header: Depth=1
	ds_read2st64_b32 v[14:15], v12 offset1:2
	ds_read2st64_b32 v[16:17], v12 offset0:4 offset1:6
	ds_read2st64_b32 v[18:19], v12 offset0:8 offset1:10
	;; [unrolled: 1-line block ×3, first 2 shown]
	v_add_u32_e32 v9, -8, v9
	s_waitcnt lgkmcnt(3)
	v_pk_mul_f32 v[14:15], v[2:3], v[14:15]
	s_waitcnt lgkmcnt(2)
	v_pk_mul_f32 v[16:17], v[2:3], v[16:17]
	ds_write2st64_b32 v12, v14, v15 offset1:2
	ds_write2st64_b32 v12, v16, v17 offset0:4 offset1:6
	ds_read2st64_b32 v[16:17], v12 offset0:16 offset1:18
	s_waitcnt lgkmcnt(4)
	v_pk_mul_f32 v[14:15], v[2:3], v[18:19]
	ds_write2st64_b32 v12, v14, v15 offset0:8 offset1:10
	s_waitcnt lgkmcnt(4)
	v_pk_mul_f32 v[14:15], v[2:3], v[20:21]
	ds_write2st64_b32 v12, v14, v15 offset0:12 offset1:14
	ds_read2st64_b32 v[14:15], v12 offset0:20 offset1:22
	s_waitcnt lgkmcnt(3)
	v_pk_mul_f32 v[16:17], v[2:3], v[16:17]
	ds_read2st64_b32 v[18:19], v12 offset0:24 offset1:26
	ds_write2st64_b32 v12, v16, v17 offset0:16 offset1:18
	ds_read2st64_b32 v[16:17], v12 offset0:28 offset1:30
	s_waitcnt lgkmcnt(3)
	v_pk_mul_f32 v[14:15], v[2:3], v[14:15]
	ds_write2st64_b32 v12, v14, v15 offset0:20 offset1:22
	s_waitcnt lgkmcnt(3)
	v_pk_mul_f32 v[14:15], v[2:3], v[18:19]
	ds_write2st64_b32 v12, v14, v15 offset0:24 offset1:26
	s_waitcnt lgkmcnt(2)
	v_pk_mul_f32 v[14:15], v[2:3], v[16:17]
	s_add_i32 s15, s15, 16
	v_cmp_eq_u32_e32 vcc, 0, v9
	ds_write2st64_b32 v12, v14, v15 offset0:28 offset1:30
	v_add_u32_e32 v12, 0x2000, v12
	s_or_b64 s[34:35], vcc, s[34:35]
	v_mov_b32_e32 v13, s15
	s_andn2_b64 exec, exec, s[34:35]
	s_cbranch_execnz .LBB170_29
; %bb.30:
	s_or_b64 exec, exec, s[34:35]
.LBB170_31:
	s_or_b64 exec, exec, s[10:11]
	v_and_b32_e32 v8, 7, v8
	v_cmp_ne_u32_e32 vcc, 0, v8
	s_and_saveexec_b64 s[10:11], vcc
	s_cbranch_execz .LBB170_34
; %bb.32:
	v_lshlrev_b32_e32 v9, 9, v13
	v_lshlrev_b32_e32 v12, 2, v0
	s_movk_i32 s15, 0x210
	v_add3_u32 v9, v9, v12, s15
	s_mov_b64 s[34:35], 0
.LBB170_33:                             ; =>This Inner Loop Header: Depth=1
	ds_read2st64_b32 v[12:13], v9 offset1:2
	v_add_u32_e32 v8, -1, v8
	v_cmp_eq_u32_e32 vcc, 0, v8
	s_or_b64 s[34:35], vcc, s[34:35]
	s_waitcnt lgkmcnt(0)
	v_pk_mul_f32 v[12:13], v[2:3], v[12:13]
	ds_write2st64_b32 v9, v12, v13 offset1:2
	v_add_u32_e32 v9, 0x400, v9
	s_andn2_b64 exec, exec, s[34:35]
	s_cbranch_execnz .LBB170_33
.LBB170_34:
	s_or_b64 exec, exec, s[10:11]
	v_add_u32_e32 v6, 1, v6
	v_and_b32_e32 v8, 0x3fffffe, v6
	v_cmp_ne_u32_e32 vcc, v6, v8
	v_lshl_add_u32 v3, v8, 7, v0
	s_orn2_b64 s[10:11], vcc, exec
.LBB170_35:
	s_or_b64 exec, exec, s[4:5]
	s_and_b64 exec, exec, s[10:11]
	s_cbranch_execz .LBB170_38
; %bb.36:
	v_mov_b32_e32 v6, 0x210
	v_lshl_add_u32 v6, v3, 2, v6
	s_mov_b64 s[4:5], 0
.LBB170_37:                             ; =>This Inner Loop Header: Depth=1
	ds_read_b32 v8, v6
	v_add_u32_e32 v3, 0x80, v3
	v_cmp_le_i32_e32 vcc, s9, v3
	s_or_b64 s[4:5], vcc, s[4:5]
	s_waitcnt lgkmcnt(0)
	v_mul_f32_e32 v8, v2, v8
	ds_write_b32 v6, v8
	v_add_u32_e32 v6, 0x200, v6
	s_andn2_b64 exec, exec, s[4:5]
	s_cbranch_execnz .LBB170_37
.LBB170_38:
	s_or_b64 exec, exec, s[2:3]
	v_cmp_eq_u32_e32 vcc, 0, v0
	s_waitcnt lgkmcnt(0)
	s_barrier
	s_and_saveexec_b64 s[2:3], vcc
	s_cbranch_execz .LBB170_40
; %bb.39:
	s_mul_i32 s4, s12, s20
	s_mul_i32 s4, s4, s21
	s_ashr_i32 s5, s4, 31
	s_lshl_b64 s[4:5], s[4:5], 2
	s_add_u32 s9, s18, s4
	s_mul_i32 s10, s12, s6
	s_addc_u32 s15, s19, s5
	s_ashr_i32 s11, s10, 31
	s_lshl_b64 s[10:11], s[10:11], 2
	s_add_u32 s6, s9, s10
	s_addc_u32 s15, s15, s11
	s_ashr_i32 s9, s8, 31
	s_lshl_b64 s[18:19], s[8:9], 2
	s_add_u32 s34, s6, s18
	s_addc_u32 s35, s15, s19
	s_add_u32 s4, s16, s4
	s_addc_u32 s5, s17, s5
	;; [unrolled: 2-line block ×3, first 2 shown]
	s_add_u32 s4, s4, s18
	v_mov_b32_e32 v2, 0
	s_addc_u32 s5, s5, s19
	global_store_dword v2, v7, s[34:35]
	global_store_dword v2, v5, s[4:5]
.LBB170_40:
	s_or_b64 exec, exec, s[2:3]
	v_mov_b32_e32 v13, 0
	v_and_b32_e32 v23, 1, v0
	v_mov_b32_e32 v12, 0
	v_mov_b32_e32 v15, 0
	;; [unrolled: 1-line block ×7, first 2 shown]
	s_and_saveexec_b64 s[2:3], s[0:1]
	s_cbranch_execz .LBB170_348
; %bb.41:
	s_ashr_i32 s15, s14, 31
	s_lshl_b64 s[0:1], s[14:15], 1
	v_lshlrev_b32_e32 v2, 3, v0
	s_add_u32 s10, s30, s0
	v_and_b32_e32 v3, 8, v2
	s_mov_b32 s9, s13
	s_addc_u32 s11, s31, s1
	s_add_i32 s13, s7, -1
	v_lshl_add_u32 v5, v4, 4, s40
	s_lshl_b64 s[0:1], s[28:29], 2
	v_add3_u32 v25, v5, v3, 7
	v_lshlrev_b32_e32 v3, 5, v23
	s_add_u32 s0, s26, s0
	v_and_b32_e32 v2, 0x1f8, v2
	v_lshl_or_b32 v3, v4, 6, v3
	v_lshlrev_b64 v[4:5], 2, v[10:11]
	s_addc_u32 s1, s27, s1
	v_or_b32_e32 v6, 0x800, v2
	v_or_b32_e32 v8, 0xa00, v2
	;; [unrolled: 1-line block ×4, first 2 shown]
	v_add_u32_e32 v26, 0x210, v3
	v_mov_b32_e32 v3, s1
	v_add_co_u32_e32 v20, vcc, s0, v4
	v_mov_b32_e32 v24, 0
	v_addc_co_u32_e32 v21, vcc, v3, v5, vcc
	s_mov_b64 s[4:5], 0
	s_mov_b32 s14, 0x7f800000
	s_movk_i32 s15, 0x7fff
	v_lshlrev_b32_e32 v11, 1, v2
	v_lshlrev_b32_e32 v27, 1, v6
	;; [unrolled: 1-line block ×5, first 2 shown]
	v_mov_b32_e32 v18, 0
	v_mov_b32_e32 v19, 0
	;; [unrolled: 1-line block ×8, first 2 shown]
	s_branch .LBB170_43
.LBB170_42:                             ;   in Loop: Header=BB170_43 Depth=1
	s_or_b64 exec, exec, s[0:1]
	v_and_b32_e32 v40, 0xffff0000, v34
	v_and_b32_e32 v34, 0xffff0000, v33
	;; [unrolled: 1-line block ×8, first 2 shown]
	v_pk_add_f32 v[8:9], v[8:9], v[32:33]
	v_pk_add_f32 v[32:33], v[34:35], v[40:41]
	v_add_f32_e32 v8, v8, v9
	v_add_f32_e32 v8, v8, v32
	v_add_f32_e32 v8, v8, v33
	v_and_b32_e32 v35, 0xffff0000, v57
	v_and_b32_e32 v34, 0xffff0000, v55
	v_and_b32_e32 v41, 0xffff0000, v56
	v_and_b32_e32 v40, 0xffff0000, v54
	v_add_f32_e32 v18, v18, v8
	v_and_b32_e32 v9, 0xffff0000, v61
	v_and_b32_e32 v8, 0xffff0000, v59
	v_and_b32_e32 v33, 0xffff0000, v60
	v_and_b32_e32 v32, 0xffff0000, v58
	v_pk_add_f32 v[34:35], v[40:41], v[34:35]
	v_pk_add_f32 v[8:9], v[32:33], v[8:9]
	v_add_f32_e32 v31, v34, v35
	v_add_f32_e32 v8, v31, v8
	v_add_f32_e32 v8, v8, v9
	v_and_b32_e32 v35, 0xffff0000, v65
	v_and_b32_e32 v34, 0xffff0000, v63
	v_and_b32_e32 v41, 0xffff0000, v64
	v_and_b32_e32 v40, 0xffff0000, v62
	v_add_f32_e32 v19, v19, v8
	v_and_b32_e32 v9, 0xffff0000, v69
	v_and_b32_e32 v8, 0xffff0000, v67
	v_and_b32_e32 v33, 0xffff0000, v68
	v_and_b32_e32 v32, 0xffff0000, v66
	;; [unrolled: 14-line block ×7, first 2 shown]
	v_pk_add_f32 v[2:3], v[2:3], v[8:9]
	v_pk_add_f32 v[4:5], v[4:5], v[6:7]
	v_add_f32_e32 v2, v2, v3
	v_add_u32_e32 v10, 2, v10
	v_add_f32_e32 v2, v2, v4
	v_cmp_le_i32_e32 vcc, s23, v10
	v_add_f32_e32 v2, v2, v5
	s_or_b64 s[4:5], vcc, s[4:5]
	v_add_co_u32_e32 v20, vcc, 8, v20
	v_add_f32_e32 v13, v13, v2
	v_add_u32_e32 v25, 32, v25
	v_add_u32_e32 v26, 0x80, v26
	v_addc_co_u32_e32 v21, vcc, 0, v21, vcc
	s_andn2_b64 exec, exec, s[4:5]
	s_cbranch_execz .LBB170_347
.LBB170_43:                             ; =>This Inner Loop Header: Depth=1
	global_load_dword v36, v[20:21], off
	ds_read2_b64 v[6:9], v26 offset1:1
	ds_read2_b64 v[2:5], v26 offset0:2 offset1:3
                                        ; implicit-def: $vgpr46
	s_waitcnt lgkmcnt(1)
	v_and_b32_e32 v31, 0x7f800000, v6
	v_cmp_ne_u32_e32 vcc, s14, v31
	s_and_saveexec_b64 s[0:1], vcc
	s_xor_b64 s[0:1], exec, s[0:1]
; %bb.44:                               ;   in Loop: Header=BB170_43 Depth=1
	v_bfe_u32 v31, v6, 16, 1
	v_add3_u32 v46, v6, v31, s15
; %bb.45:                               ;   in Loop: Header=BB170_43 Depth=1
	s_andn2_saveexec_b64 s[0:1], s[0:1]
; %bb.46:                               ;   in Loop: Header=BB170_43 Depth=1
	v_or_b32_e32 v31, 0x10000, v6
	v_cmp_eq_u32_sdwa vcc, v6, v24 src0_sel:WORD_0 src1_sel:DWORD
	v_cndmask_b32_e32 v46, v31, v6, vcc
; %bb.47:                               ;   in Loop: Header=BB170_43 Depth=1
	s_or_b64 exec, exec, s[0:1]
	v_and_b32_e32 v6, 0x7f800000, v7
	v_cmp_ne_u32_e32 vcc, s14, v6
                                        ; implicit-def: $vgpr47
	s_and_saveexec_b64 s[0:1], vcc
	s_xor_b64 s[0:1], exec, s[0:1]
; %bb.48:                               ;   in Loop: Header=BB170_43 Depth=1
	v_bfe_u32 v6, v7, 16, 1
	v_add3_u32 v47, v7, v6, s15
; %bb.49:                               ;   in Loop: Header=BB170_43 Depth=1
	s_andn2_saveexec_b64 s[0:1], s[0:1]
; %bb.50:                               ;   in Loop: Header=BB170_43 Depth=1
	v_or_b32_e32 v6, 0x10000, v7
	v_cmp_eq_u32_sdwa vcc, v7, v24 src0_sel:WORD_0 src1_sel:DWORD
	v_cndmask_b32_e32 v47, v6, v7, vcc
; %bb.51:                               ;   in Loop: Header=BB170_43 Depth=1
	s_or_b64 exec, exec, s[0:1]
	v_and_b32_e32 v6, 0x7f800000, v8
	v_cmp_ne_u32_e32 vcc, s14, v6
                                        ; implicit-def: $vgpr31
	s_and_saveexec_b64 s[0:1], vcc
	s_xor_b64 s[0:1], exec, s[0:1]
; %bb.52:                               ;   in Loop: Header=BB170_43 Depth=1
	v_bfe_u32 v6, v8, 16, 1
	v_add3_u32 v31, v8, v6, s15
; %bb.53:                               ;   in Loop: Header=BB170_43 Depth=1
	s_andn2_saveexec_b64 s[0:1], s[0:1]
; %bb.54:                               ;   in Loop: Header=BB170_43 Depth=1
	v_or_b32_e32 v6, 0x10000, v8
	v_cmp_eq_u32_sdwa vcc, v8, v24 src0_sel:WORD_0 src1_sel:DWORD
	v_cndmask_b32_e32 v31, v6, v8, vcc
; %bb.55:                               ;   in Loop: Header=BB170_43 Depth=1
	s_or_b64 exec, exec, s[0:1]
	v_and_b32_e32 v6, 0x7f800000, v9
	v_cmp_ne_u32_e32 vcc, s14, v6
                                        ; implicit-def: $vgpr32
	s_and_saveexec_b64 s[0:1], vcc
	s_xor_b64 s[0:1], exec, s[0:1]
; %bb.56:                               ;   in Loop: Header=BB170_43 Depth=1
	v_bfe_u32 v6, v9, 16, 1
	v_add3_u32 v32, v9, v6, s15
                                        ; implicit-def: $vgpr6_vgpr7_vgpr8_vgpr9
; %bb.57:                               ;   in Loop: Header=BB170_43 Depth=1
	s_andn2_saveexec_b64 s[0:1], s[0:1]
; %bb.58:                               ;   in Loop: Header=BB170_43 Depth=1
	v_or_b32_e32 v6, 0x10000, v9
	v_cmp_eq_u32_sdwa vcc, v9, v24 src0_sel:WORD_0 src1_sel:DWORD
	v_cndmask_b32_e32 v32, v6, v9, vcc
; %bb.59:                               ;   in Loop: Header=BB170_43 Depth=1
	s_or_b64 exec, exec, s[0:1]
	s_waitcnt lgkmcnt(0)
	v_and_b32_e32 v6, 0x7f800000, v2
	v_cmp_ne_u32_e32 vcc, s14, v6
                                        ; implicit-def: $vgpr33
	s_and_saveexec_b64 s[0:1], vcc
	s_xor_b64 s[0:1], exec, s[0:1]
; %bb.60:                               ;   in Loop: Header=BB170_43 Depth=1
	v_bfe_u32 v6, v2, 16, 1
	v_add3_u32 v33, v2, v6, s15
; %bb.61:                               ;   in Loop: Header=BB170_43 Depth=1
	s_andn2_saveexec_b64 s[0:1], s[0:1]
; %bb.62:                               ;   in Loop: Header=BB170_43 Depth=1
	v_or_b32_e32 v6, 0x10000, v2
	v_cmp_eq_u32_sdwa vcc, v2, v24 src0_sel:WORD_0 src1_sel:DWORD
	v_cndmask_b32_e32 v33, v6, v2, vcc
; %bb.63:                               ;   in Loop: Header=BB170_43 Depth=1
	s_or_b64 exec, exec, s[0:1]
	v_and_b32_e32 v2, 0x7f800000, v3
	v_cmp_ne_u32_e32 vcc, s14, v2
                                        ; implicit-def: $vgpr34
	s_and_saveexec_b64 s[0:1], vcc
	s_xor_b64 s[0:1], exec, s[0:1]
; %bb.64:                               ;   in Loop: Header=BB170_43 Depth=1
	v_bfe_u32 v2, v3, 16, 1
	v_add3_u32 v34, v3, v2, s15
; %bb.65:                               ;   in Loop: Header=BB170_43 Depth=1
	s_andn2_saveexec_b64 s[0:1], s[0:1]
; %bb.66:                               ;   in Loop: Header=BB170_43 Depth=1
	v_or_b32_e32 v2, 0x10000, v3
	v_cmp_eq_u32_sdwa vcc, v3, v24 src0_sel:WORD_0 src1_sel:DWORD
	v_cndmask_b32_e32 v34, v2, v3, vcc
; %bb.67:                               ;   in Loop: Header=BB170_43 Depth=1
	s_or_b64 exec, exec, s[0:1]
	v_and_b32_e32 v2, 0x7f800000, v4
	v_cmp_ne_u32_e32 vcc, s14, v2
                                        ; implicit-def: $vgpr35
	s_and_saveexec_b64 s[0:1], vcc
	s_xor_b64 s[0:1], exec, s[0:1]
; %bb.68:                               ;   in Loop: Header=BB170_43 Depth=1
	v_bfe_u32 v2, v4, 16, 1
	v_add3_u32 v35, v4, v2, s15
; %bb.69:                               ;   in Loop: Header=BB170_43 Depth=1
	s_andn2_saveexec_b64 s[0:1], s[0:1]
; %bb.70:                               ;   in Loop: Header=BB170_43 Depth=1
	v_or_b32_e32 v2, 0x10000, v4
	v_cmp_eq_u32_sdwa vcc, v4, v24 src0_sel:WORD_0 src1_sel:DWORD
	v_cndmask_b32_e32 v35, v2, v4, vcc
; %bb.71:                               ;   in Loop: Header=BB170_43 Depth=1
	s_or_b64 exec, exec, s[0:1]
	v_and_b32_e32 v2, 0x7f800000, v5
	v_cmp_ne_u32_e32 vcc, s14, v2
                                        ; implicit-def: $vgpr43
	s_and_saveexec_b64 s[0:1], vcc
	s_xor_b64 s[0:1], exec, s[0:1]
; %bb.72:                               ;   in Loop: Header=BB170_43 Depth=1
	v_bfe_u32 v2, v5, 16, 1
	v_add3_u32 v43, v5, v2, s15
                                        ; implicit-def: $vgpr2_vgpr3_vgpr4_vgpr5
; %bb.73:                               ;   in Loop: Header=BB170_43 Depth=1
	s_andn2_saveexec_b64 s[0:1], s[0:1]
; %bb.74:                               ;   in Loop: Header=BB170_43 Depth=1
	v_or_b32_e32 v2, 0x10000, v5
	v_cmp_eq_u32_sdwa vcc, v5, v24 src0_sel:WORD_0 src1_sel:DWORD
	v_cndmask_b32_e32 v43, v2, v5, vcc
; %bb.75:                               ;   in Loop: Header=BB170_43 Depth=1
	s_or_b64 exec, exec, s[0:1]
	s_waitcnt vmcnt(0)
	v_mad_i64_i32 v[2:3], s[0:1], v36, s9, 0
	v_lshlrev_b64 v[2:3], 1, v[2:3]
	v_mov_b32_e32 v4, s11
	v_add_co_u32_e32 v44, vcc, s10, v2
	v_addc_co_u32_e32 v45, vcc, v4, v3, vcc
	v_add_co_u32_e32 v6, vcc, v44, v11
	v_addc_co_u32_e32 v7, vcc, 0, v45, vcc
	global_load_dwordx4 v[2:5], v[6:7], off
	v_add_u32_e32 v36, -7, v25
	v_cmp_eq_u32_e32 vcc, s13, v10
	v_add_u32_e32 v42, -6, v25
	v_add_u32_e32 v40, -5, v25
	;; [unrolled: 1-line block ×6, first 2 shown]
	s_waitcnt vmcnt(0)
	v_lshrrev_b32_e32 v9, 16, v2
	v_lshrrev_b32_e32 v50, 16, v3
	;; [unrolled: 1-line block ×4, first 2 shown]
	s_and_saveexec_b64 s[6:7], vcc
	s_cbranch_execz .LBB170_77
; %bb.76:                               ;   in Loop: Header=BB170_43 Depth=1
	v_cmp_gt_i32_e64 s[0:1], s33, v36
	v_cndmask_b32_e64 v2, 0, v2, s[0:1]
	v_cmp_gt_i32_e64 s[0:1], s33, v42
	v_cndmask_b32_e64 v9, 0, v9, s[0:1]
	;; [unrolled: 2-line block ×8, first 2 shown]
.LBB170_77:                             ;   in Loop: Header=BB170_43 Depth=1
	s_or_b64 exec, exec, s[6:7]
	v_and_b32_e32 v46, 0xffff0000, v46
	v_lshlrev_b32_e32 v2, 16, v2
	v_mul_f32_e32 v2, v46, v2
	v_and_b32_e32 v8, 0x7f800000, v2
	v_cmp_ne_u32_e64 s[0:1], s14, v8
                                        ; implicit-def: $vgpr8
	s_and_saveexec_b64 s[6:7], s[0:1]
	s_xor_b64 s[0:1], exec, s[6:7]
; %bb.78:                               ;   in Loop: Header=BB170_43 Depth=1
	v_bfe_u32 v8, v2, 16, 1
	v_add3_u32 v8, v2, v8, s15
                                        ; implicit-def: $vgpr2
; %bb.79:                               ;   in Loop: Header=BB170_43 Depth=1
	s_andn2_saveexec_b64 s[6:7], s[0:1]
; %bb.80:                               ;   in Loop: Header=BB170_43 Depth=1
	v_or_b32_e32 v8, 0x10000, v2
	v_cmp_eq_u32_sdwa s[0:1], v2, v24 src0_sel:WORD_0 src1_sel:DWORD
	v_cndmask_b32_e64 v8, v8, v2, s[0:1]
; %bb.81:                               ;   in Loop: Header=BB170_43 Depth=1
	s_or_b64 exec, exec, s[6:7]
	v_and_b32_e32 v47, 0xffff0000, v47
	v_lshlrev_b32_e32 v2, 16, v9
	v_mul_f32_e32 v2, v47, v2
	v_and_b32_e32 v9, 0x7f800000, v2
	v_cmp_ne_u32_e64 s[0:1], s14, v9
                                        ; implicit-def: $vgpr9
	s_and_saveexec_b64 s[6:7], s[0:1]
	s_xor_b64 s[0:1], exec, s[6:7]
; %bb.82:                               ;   in Loop: Header=BB170_43 Depth=1
	v_bfe_u32 v9, v2, 16, 1
	v_add3_u32 v9, v2, v9, s15
                                        ; implicit-def: $vgpr2
; %bb.83:                               ;   in Loop: Header=BB170_43 Depth=1
	s_andn2_saveexec_b64 s[6:7], s[0:1]
; %bb.84:                               ;   in Loop: Header=BB170_43 Depth=1
	v_or_b32_e32 v9, 0x10000, v2
	v_cmp_eq_u32_sdwa s[0:1], v2, v24 src0_sel:WORD_0 src1_sel:DWORD
	v_cndmask_b32_e64 v9, v9, v2, s[0:1]
; %bb.85:                               ;   in Loop: Header=BB170_43 Depth=1
	s_or_b64 exec, exec, s[6:7]
	v_and_b32_e32 v48, 0xffff0000, v31
	v_lshlrev_b32_e32 v2, 16, v3
	v_mul_f32_e32 v2, v48, v2
	v_and_b32_e32 v3, 0x7f800000, v2
	v_cmp_ne_u32_e64 s[0:1], s14, v3
                                        ; implicit-def: $vgpr31
	s_and_saveexec_b64 s[6:7], s[0:1]
	s_xor_b64 s[0:1], exec, s[6:7]
; %bb.86:                               ;   in Loop: Header=BB170_43 Depth=1
	v_bfe_u32 v3, v2, 16, 1
	v_add3_u32 v31, v2, v3, s15
                                        ; implicit-def: $vgpr2
; %bb.87:                               ;   in Loop: Header=BB170_43 Depth=1
	s_andn2_saveexec_b64 s[6:7], s[0:1]
; %bb.88:                               ;   in Loop: Header=BB170_43 Depth=1
	v_or_b32_e32 v3, 0x10000, v2
	v_cmp_eq_u32_sdwa s[0:1], v2, v24 src0_sel:WORD_0 src1_sel:DWORD
	v_cndmask_b32_e64 v31, v3, v2, s[0:1]
; %bb.89:                               ;   in Loop: Header=BB170_43 Depth=1
	s_or_b64 exec, exec, s[6:7]
	v_and_b32_e32 v49, 0xffff0000, v32
	v_lshlrev_b32_e32 v2, 16, v50
	v_mul_f32_e32 v2, v49, v2
	v_and_b32_e32 v3, 0x7f800000, v2
	v_cmp_ne_u32_e64 s[0:1], s14, v3
                                        ; implicit-def: $vgpr32
	s_and_saveexec_b64 s[6:7], s[0:1]
	s_xor_b64 s[0:1], exec, s[6:7]
; %bb.90:                               ;   in Loop: Header=BB170_43 Depth=1
	v_bfe_u32 v3, v2, 16, 1
	v_add3_u32 v32, v2, v3, s15
                                        ; implicit-def: $vgpr2
; %bb.91:                               ;   in Loop: Header=BB170_43 Depth=1
	s_andn2_saveexec_b64 s[6:7], s[0:1]
; %bb.92:                               ;   in Loop: Header=BB170_43 Depth=1
	v_or_b32_e32 v3, 0x10000, v2
	v_cmp_eq_u32_sdwa s[0:1], v2, v24 src0_sel:WORD_0 src1_sel:DWORD
	v_cndmask_b32_e64 v32, v3, v2, s[0:1]
; %bb.93:                               ;   in Loop: Header=BB170_43 Depth=1
	s_or_b64 exec, exec, s[6:7]
	v_and_b32_e32 v50, 0xffff0000, v33
	v_lshlrev_b32_e32 v2, 16, v4
	v_mul_f32_e32 v2, v50, v2
	v_and_b32_e32 v3, 0x7f800000, v2
	v_cmp_ne_u32_e64 s[0:1], s14, v3
                                        ; implicit-def: $vgpr33
	s_and_saveexec_b64 s[6:7], s[0:1]
	s_xor_b64 s[0:1], exec, s[6:7]
; %bb.94:                               ;   in Loop: Header=BB170_43 Depth=1
	v_bfe_u32 v3, v2, 16, 1
	v_add3_u32 v33, v2, v3, s15
                                        ; implicit-def: $vgpr2
; %bb.95:                               ;   in Loop: Header=BB170_43 Depth=1
	s_andn2_saveexec_b64 s[6:7], s[0:1]
; %bb.96:                               ;   in Loop: Header=BB170_43 Depth=1
	v_or_b32_e32 v3, 0x10000, v2
	v_cmp_eq_u32_sdwa s[0:1], v2, v24 src0_sel:WORD_0 src1_sel:DWORD
	v_cndmask_b32_e64 v33, v3, v2, s[0:1]
; %bb.97:                               ;   in Loop: Header=BB170_43 Depth=1
	s_or_b64 exec, exec, s[6:7]
	v_and_b32_e32 v51, 0xffff0000, v34
	v_lshlrev_b32_e32 v2, 16, v52
	v_mul_f32_e32 v2, v51, v2
	v_and_b32_e32 v3, 0x7f800000, v2
	v_cmp_ne_u32_e64 s[0:1], s14, v3
                                        ; implicit-def: $vgpr34
	s_and_saveexec_b64 s[6:7], s[0:1]
	s_xor_b64 s[0:1], exec, s[6:7]
; %bb.98:                               ;   in Loop: Header=BB170_43 Depth=1
	v_bfe_u32 v3, v2, 16, 1
	v_add3_u32 v34, v2, v3, s15
                                        ; implicit-def: $vgpr2
; %bb.99:                               ;   in Loop: Header=BB170_43 Depth=1
	s_andn2_saveexec_b64 s[6:7], s[0:1]
; %bb.100:                              ;   in Loop: Header=BB170_43 Depth=1
	v_or_b32_e32 v3, 0x10000, v2
	v_cmp_eq_u32_sdwa s[0:1], v2, v24 src0_sel:WORD_0 src1_sel:DWORD
	v_cndmask_b32_e64 v34, v3, v2, s[0:1]
; %bb.101:                              ;   in Loop: Header=BB170_43 Depth=1
	s_or_b64 exec, exec, s[6:7]
	v_and_b32_e32 v52, 0xffff0000, v35
	v_lshlrev_b32_e32 v2, 16, v5
	v_mul_f32_e32 v2, v52, v2
	v_and_b32_e32 v3, 0x7f800000, v2
	v_cmp_ne_u32_e64 s[0:1], s14, v3
                                        ; implicit-def: $vgpr35
	s_and_saveexec_b64 s[6:7], s[0:1]
	s_xor_b64 s[0:1], exec, s[6:7]
; %bb.102:                              ;   in Loop: Header=BB170_43 Depth=1
	v_bfe_u32 v3, v2, 16, 1
	v_add3_u32 v35, v2, v3, s15
                                        ; implicit-def: $vgpr2
; %bb.103:                              ;   in Loop: Header=BB170_43 Depth=1
	s_andn2_saveexec_b64 s[6:7], s[0:1]
; %bb.104:                              ;   in Loop: Header=BB170_43 Depth=1
	v_or_b32_e32 v3, 0x10000, v2
	v_cmp_eq_u32_sdwa s[0:1], v2, v24 src0_sel:WORD_0 src1_sel:DWORD
	v_cndmask_b32_e64 v35, v3, v2, s[0:1]
; %bb.105:                              ;   in Loop: Header=BB170_43 Depth=1
	s_or_b64 exec, exec, s[6:7]
	v_and_b32_e32 v53, 0xffff0000, v43
	v_lshlrev_b32_e32 v2, 16, v54
	v_mul_f32_e32 v2, v53, v2
	v_and_b32_e32 v3, 0x7f800000, v2
	v_cmp_ne_u32_e64 s[0:1], s14, v3
                                        ; implicit-def: $vgpr43
	s_and_saveexec_b64 s[6:7], s[0:1]
	s_xor_b64 s[0:1], exec, s[6:7]
; %bb.106:                              ;   in Loop: Header=BB170_43 Depth=1
	v_bfe_u32 v3, v2, 16, 1
	v_add3_u32 v43, v2, v3, s15
                                        ; implicit-def: $vgpr2
; %bb.107:                              ;   in Loop: Header=BB170_43 Depth=1
	s_andn2_saveexec_b64 s[6:7], s[0:1]
; %bb.108:                              ;   in Loop: Header=BB170_43 Depth=1
	v_or_b32_e32 v3, 0x10000, v2
	v_cmp_eq_u32_sdwa s[0:1], v2, v24 src0_sel:WORD_0 src1_sel:DWORD
	v_cndmask_b32_e64 v43, v3, v2, s[0:1]
; %bb.109:                              ;   in Loop: Header=BB170_43 Depth=1
	s_or_b64 exec, exec, s[6:7]
	global_load_dwordx4 v[2:5], v[6:7], off offset:1024
	s_waitcnt vmcnt(0)
	v_lshrrev_b32_e32 v55, 16, v2
	v_lshrrev_b32_e32 v57, 16, v3
	;; [unrolled: 1-line block ×4, first 2 shown]
	s_and_saveexec_b64 s[6:7], vcc
	s_cbranch_execz .LBB170_111
; %bb.110:                              ;   in Loop: Header=BB170_43 Depth=1
	v_cmp_gt_i32_e64 s[0:1], s33, v36
	v_cndmask_b32_e64 v2, 0, v2, s[0:1]
	v_cmp_gt_i32_e64 s[0:1], s33, v42
	v_cndmask_b32_e64 v55, 0, v55, s[0:1]
	;; [unrolled: 2-line block ×8, first 2 shown]
.LBB170_111:                            ;   in Loop: Header=BB170_43 Depth=1
	s_or_b64 exec, exec, s[6:7]
	v_lshlrev_b32_e32 v2, 16, v2
	v_mul_f32_e32 v2, v46, v2
	v_and_b32_e32 v54, 0x7f800000, v2
	v_cmp_ne_u32_e64 s[0:1], s14, v54
                                        ; implicit-def: $vgpr54
	s_and_saveexec_b64 s[6:7], s[0:1]
	s_xor_b64 s[0:1], exec, s[6:7]
; %bb.112:                              ;   in Loop: Header=BB170_43 Depth=1
	v_bfe_u32 v54, v2, 16, 1
	v_add3_u32 v54, v2, v54, s15
                                        ; implicit-def: $vgpr2
; %bb.113:                              ;   in Loop: Header=BB170_43 Depth=1
	s_andn2_saveexec_b64 s[6:7], s[0:1]
; %bb.114:                              ;   in Loop: Header=BB170_43 Depth=1
	v_or_b32_e32 v54, 0x10000, v2
	v_cmp_eq_u32_sdwa s[0:1], v2, v24 src0_sel:WORD_0 src1_sel:DWORD
	v_cndmask_b32_e64 v54, v54, v2, s[0:1]
; %bb.115:                              ;   in Loop: Header=BB170_43 Depth=1
	s_or_b64 exec, exec, s[6:7]
	v_lshlrev_b32_e32 v2, 16, v55
	v_mul_f32_e32 v2, v47, v2
	v_and_b32_e32 v55, 0x7f800000, v2
	v_cmp_ne_u32_e64 s[0:1], s14, v55
                                        ; implicit-def: $vgpr55
	s_and_saveexec_b64 s[6:7], s[0:1]
	s_xor_b64 s[0:1], exec, s[6:7]
; %bb.116:                              ;   in Loop: Header=BB170_43 Depth=1
	v_bfe_u32 v55, v2, 16, 1
	v_add3_u32 v55, v2, v55, s15
                                        ; implicit-def: $vgpr2
; %bb.117:                              ;   in Loop: Header=BB170_43 Depth=1
	s_andn2_saveexec_b64 s[6:7], s[0:1]
; %bb.118:                              ;   in Loop: Header=BB170_43 Depth=1
	v_or_b32_e32 v55, 0x10000, v2
	v_cmp_eq_u32_sdwa s[0:1], v2, v24 src0_sel:WORD_0 src1_sel:DWORD
	v_cndmask_b32_e64 v55, v55, v2, s[0:1]
; %bb.119:                              ;   in Loop: Header=BB170_43 Depth=1
	s_or_b64 exec, exec, s[6:7]
	v_lshlrev_b32_e32 v2, 16, v3
	v_mul_f32_e32 v2, v48, v2
	v_and_b32_e32 v3, 0x7f800000, v2
	v_cmp_ne_u32_e64 s[0:1], s14, v3
                                        ; implicit-def: $vgpr56
	s_and_saveexec_b64 s[6:7], s[0:1]
	s_xor_b64 s[0:1], exec, s[6:7]
; %bb.120:                              ;   in Loop: Header=BB170_43 Depth=1
	v_bfe_u32 v3, v2, 16, 1
	v_add3_u32 v56, v2, v3, s15
                                        ; implicit-def: $vgpr2
; %bb.121:                              ;   in Loop: Header=BB170_43 Depth=1
	s_andn2_saveexec_b64 s[6:7], s[0:1]
; %bb.122:                              ;   in Loop: Header=BB170_43 Depth=1
	v_or_b32_e32 v3, 0x10000, v2
	v_cmp_eq_u32_sdwa s[0:1], v2, v24 src0_sel:WORD_0 src1_sel:DWORD
	v_cndmask_b32_e64 v56, v3, v2, s[0:1]
; %bb.123:                              ;   in Loop: Header=BB170_43 Depth=1
	s_or_b64 exec, exec, s[6:7]
	v_lshlrev_b32_e32 v2, 16, v57
	v_mul_f32_e32 v2, v49, v2
	v_and_b32_e32 v3, 0x7f800000, v2
	v_cmp_ne_u32_e64 s[0:1], s14, v3
                                        ; implicit-def: $vgpr57
	s_and_saveexec_b64 s[6:7], s[0:1]
	s_xor_b64 s[0:1], exec, s[6:7]
; %bb.124:                              ;   in Loop: Header=BB170_43 Depth=1
	v_bfe_u32 v3, v2, 16, 1
	v_add3_u32 v57, v2, v3, s15
                                        ; implicit-def: $vgpr2
; %bb.125:                              ;   in Loop: Header=BB170_43 Depth=1
	s_andn2_saveexec_b64 s[6:7], s[0:1]
; %bb.126:                              ;   in Loop: Header=BB170_43 Depth=1
	v_or_b32_e32 v3, 0x10000, v2
	v_cmp_eq_u32_sdwa s[0:1], v2, v24 src0_sel:WORD_0 src1_sel:DWORD
	v_cndmask_b32_e64 v57, v3, v2, s[0:1]
; %bb.127:                              ;   in Loop: Header=BB170_43 Depth=1
	s_or_b64 exec, exec, s[6:7]
	v_lshlrev_b32_e32 v2, 16, v4
	v_mul_f32_e32 v2, v50, v2
	v_and_b32_e32 v3, 0x7f800000, v2
	v_cmp_ne_u32_e64 s[0:1], s14, v3
                                        ; implicit-def: $vgpr58
	s_and_saveexec_b64 s[6:7], s[0:1]
	s_xor_b64 s[0:1], exec, s[6:7]
; %bb.128:                              ;   in Loop: Header=BB170_43 Depth=1
	v_bfe_u32 v3, v2, 16, 1
	v_add3_u32 v58, v2, v3, s15
                                        ; implicit-def: $vgpr2
; %bb.129:                              ;   in Loop: Header=BB170_43 Depth=1
	s_andn2_saveexec_b64 s[6:7], s[0:1]
; %bb.130:                              ;   in Loop: Header=BB170_43 Depth=1
	v_or_b32_e32 v3, 0x10000, v2
	v_cmp_eq_u32_sdwa s[0:1], v2, v24 src0_sel:WORD_0 src1_sel:DWORD
	v_cndmask_b32_e64 v58, v3, v2, s[0:1]
; %bb.131:                              ;   in Loop: Header=BB170_43 Depth=1
	s_or_b64 exec, exec, s[6:7]
	v_lshlrev_b32_e32 v2, 16, v59
	v_mul_f32_e32 v2, v51, v2
	v_and_b32_e32 v3, 0x7f800000, v2
	v_cmp_ne_u32_e64 s[0:1], s14, v3
                                        ; implicit-def: $vgpr59
	s_and_saveexec_b64 s[6:7], s[0:1]
	s_xor_b64 s[0:1], exec, s[6:7]
; %bb.132:                              ;   in Loop: Header=BB170_43 Depth=1
	v_bfe_u32 v3, v2, 16, 1
	v_add3_u32 v59, v2, v3, s15
                                        ; implicit-def: $vgpr2
; %bb.133:                              ;   in Loop: Header=BB170_43 Depth=1
	s_andn2_saveexec_b64 s[6:7], s[0:1]
; %bb.134:                              ;   in Loop: Header=BB170_43 Depth=1
	v_or_b32_e32 v3, 0x10000, v2
	v_cmp_eq_u32_sdwa s[0:1], v2, v24 src0_sel:WORD_0 src1_sel:DWORD
	v_cndmask_b32_e64 v59, v3, v2, s[0:1]
; %bb.135:                              ;   in Loop: Header=BB170_43 Depth=1
	s_or_b64 exec, exec, s[6:7]
	v_lshlrev_b32_e32 v2, 16, v5
	v_mul_f32_e32 v2, v52, v2
	v_and_b32_e32 v3, 0x7f800000, v2
	v_cmp_ne_u32_e64 s[0:1], s14, v3
                                        ; implicit-def: $vgpr60
	s_and_saveexec_b64 s[6:7], s[0:1]
	s_xor_b64 s[0:1], exec, s[6:7]
; %bb.136:                              ;   in Loop: Header=BB170_43 Depth=1
	v_bfe_u32 v3, v2, 16, 1
	v_add3_u32 v60, v2, v3, s15
                                        ; implicit-def: $vgpr2
; %bb.137:                              ;   in Loop: Header=BB170_43 Depth=1
	s_andn2_saveexec_b64 s[6:7], s[0:1]
; %bb.138:                              ;   in Loop: Header=BB170_43 Depth=1
	v_or_b32_e32 v3, 0x10000, v2
	v_cmp_eq_u32_sdwa s[0:1], v2, v24 src0_sel:WORD_0 src1_sel:DWORD
	v_cndmask_b32_e64 v60, v3, v2, s[0:1]
; %bb.139:                              ;   in Loop: Header=BB170_43 Depth=1
	s_or_b64 exec, exec, s[6:7]
	v_lshlrev_b32_e32 v2, 16, v61
	v_mul_f32_e32 v2, v53, v2
	v_and_b32_e32 v3, 0x7f800000, v2
	v_cmp_ne_u32_e64 s[0:1], s14, v3
                                        ; implicit-def: $vgpr61
	s_and_saveexec_b64 s[6:7], s[0:1]
	s_xor_b64 s[0:1], exec, s[6:7]
; %bb.140:                              ;   in Loop: Header=BB170_43 Depth=1
	v_bfe_u32 v3, v2, 16, 1
	v_add3_u32 v61, v2, v3, s15
                                        ; implicit-def: $vgpr2
; %bb.141:                              ;   in Loop: Header=BB170_43 Depth=1
	s_andn2_saveexec_b64 s[6:7], s[0:1]
; %bb.142:                              ;   in Loop: Header=BB170_43 Depth=1
	v_or_b32_e32 v3, 0x10000, v2
	v_cmp_eq_u32_sdwa s[0:1], v2, v24 src0_sel:WORD_0 src1_sel:DWORD
	v_cndmask_b32_e64 v61, v3, v2, s[0:1]
; %bb.143:                              ;   in Loop: Header=BB170_43 Depth=1
	s_or_b64 exec, exec, s[6:7]
	global_load_dwordx4 v[2:5], v[6:7], off offset:2048
	s_waitcnt vmcnt(0)
	v_lshrrev_b32_e32 v63, 16, v2
	v_lshrrev_b32_e32 v65, 16, v3
	;; [unrolled: 1-line block ×4, first 2 shown]
	s_and_saveexec_b64 s[6:7], vcc
	s_cbranch_execz .LBB170_145
; %bb.144:                              ;   in Loop: Header=BB170_43 Depth=1
	v_cmp_gt_i32_e64 s[0:1], s33, v36
	v_cndmask_b32_e64 v2, 0, v2, s[0:1]
	v_cmp_gt_i32_e64 s[0:1], s33, v42
	v_cndmask_b32_e64 v63, 0, v63, s[0:1]
	;; [unrolled: 2-line block ×8, first 2 shown]
.LBB170_145:                            ;   in Loop: Header=BB170_43 Depth=1
	s_or_b64 exec, exec, s[6:7]
	v_lshlrev_b32_e32 v2, 16, v2
	v_mul_f32_e32 v2, v46, v2
	v_and_b32_e32 v62, 0x7f800000, v2
	v_cmp_ne_u32_e64 s[0:1], s14, v62
                                        ; implicit-def: $vgpr62
	s_and_saveexec_b64 s[6:7], s[0:1]
	s_xor_b64 s[0:1], exec, s[6:7]
; %bb.146:                              ;   in Loop: Header=BB170_43 Depth=1
	v_bfe_u32 v62, v2, 16, 1
	v_add3_u32 v62, v2, v62, s15
                                        ; implicit-def: $vgpr2
; %bb.147:                              ;   in Loop: Header=BB170_43 Depth=1
	s_andn2_saveexec_b64 s[6:7], s[0:1]
; %bb.148:                              ;   in Loop: Header=BB170_43 Depth=1
	v_or_b32_e32 v62, 0x10000, v2
	v_cmp_eq_u32_sdwa s[0:1], v2, v24 src0_sel:WORD_0 src1_sel:DWORD
	v_cndmask_b32_e64 v62, v62, v2, s[0:1]
; %bb.149:                              ;   in Loop: Header=BB170_43 Depth=1
	s_or_b64 exec, exec, s[6:7]
	v_lshlrev_b32_e32 v2, 16, v63
	v_mul_f32_e32 v2, v47, v2
	v_and_b32_e32 v63, 0x7f800000, v2
	v_cmp_ne_u32_e64 s[0:1], s14, v63
                                        ; implicit-def: $vgpr63
	s_and_saveexec_b64 s[6:7], s[0:1]
	s_xor_b64 s[0:1], exec, s[6:7]
; %bb.150:                              ;   in Loop: Header=BB170_43 Depth=1
	v_bfe_u32 v63, v2, 16, 1
	v_add3_u32 v63, v2, v63, s15
                                        ; implicit-def: $vgpr2
; %bb.151:                              ;   in Loop: Header=BB170_43 Depth=1
	s_andn2_saveexec_b64 s[6:7], s[0:1]
; %bb.152:                              ;   in Loop: Header=BB170_43 Depth=1
	v_or_b32_e32 v63, 0x10000, v2
	v_cmp_eq_u32_sdwa s[0:1], v2, v24 src0_sel:WORD_0 src1_sel:DWORD
	v_cndmask_b32_e64 v63, v63, v2, s[0:1]
; %bb.153:                              ;   in Loop: Header=BB170_43 Depth=1
	s_or_b64 exec, exec, s[6:7]
	v_lshlrev_b32_e32 v2, 16, v3
	v_mul_f32_e32 v2, v48, v2
	v_and_b32_e32 v3, 0x7f800000, v2
	v_cmp_ne_u32_e64 s[0:1], s14, v3
                                        ; implicit-def: $vgpr64
	s_and_saveexec_b64 s[6:7], s[0:1]
	s_xor_b64 s[0:1], exec, s[6:7]
; %bb.154:                              ;   in Loop: Header=BB170_43 Depth=1
	v_bfe_u32 v3, v2, 16, 1
	v_add3_u32 v64, v2, v3, s15
                                        ; implicit-def: $vgpr2
; %bb.155:                              ;   in Loop: Header=BB170_43 Depth=1
	s_andn2_saveexec_b64 s[6:7], s[0:1]
; %bb.156:                              ;   in Loop: Header=BB170_43 Depth=1
	v_or_b32_e32 v3, 0x10000, v2
	v_cmp_eq_u32_sdwa s[0:1], v2, v24 src0_sel:WORD_0 src1_sel:DWORD
	v_cndmask_b32_e64 v64, v3, v2, s[0:1]
; %bb.157:                              ;   in Loop: Header=BB170_43 Depth=1
	s_or_b64 exec, exec, s[6:7]
	v_lshlrev_b32_e32 v2, 16, v65
	v_mul_f32_e32 v2, v49, v2
	v_and_b32_e32 v3, 0x7f800000, v2
	v_cmp_ne_u32_e64 s[0:1], s14, v3
                                        ; implicit-def: $vgpr65
	s_and_saveexec_b64 s[6:7], s[0:1]
	s_xor_b64 s[0:1], exec, s[6:7]
; %bb.158:                              ;   in Loop: Header=BB170_43 Depth=1
	v_bfe_u32 v3, v2, 16, 1
	v_add3_u32 v65, v2, v3, s15
                                        ; implicit-def: $vgpr2
; %bb.159:                              ;   in Loop: Header=BB170_43 Depth=1
	s_andn2_saveexec_b64 s[6:7], s[0:1]
; %bb.160:                              ;   in Loop: Header=BB170_43 Depth=1
	v_or_b32_e32 v3, 0x10000, v2
	v_cmp_eq_u32_sdwa s[0:1], v2, v24 src0_sel:WORD_0 src1_sel:DWORD
	v_cndmask_b32_e64 v65, v3, v2, s[0:1]
; %bb.161:                              ;   in Loop: Header=BB170_43 Depth=1
	s_or_b64 exec, exec, s[6:7]
	v_lshlrev_b32_e32 v2, 16, v4
	v_mul_f32_e32 v2, v50, v2
	v_and_b32_e32 v3, 0x7f800000, v2
	v_cmp_ne_u32_e64 s[0:1], s14, v3
                                        ; implicit-def: $vgpr66
	s_and_saveexec_b64 s[6:7], s[0:1]
	s_xor_b64 s[0:1], exec, s[6:7]
; %bb.162:                              ;   in Loop: Header=BB170_43 Depth=1
	v_bfe_u32 v3, v2, 16, 1
	v_add3_u32 v66, v2, v3, s15
                                        ; implicit-def: $vgpr2
; %bb.163:                              ;   in Loop: Header=BB170_43 Depth=1
	s_andn2_saveexec_b64 s[6:7], s[0:1]
; %bb.164:                              ;   in Loop: Header=BB170_43 Depth=1
	v_or_b32_e32 v3, 0x10000, v2
	v_cmp_eq_u32_sdwa s[0:1], v2, v24 src0_sel:WORD_0 src1_sel:DWORD
	v_cndmask_b32_e64 v66, v3, v2, s[0:1]
; %bb.165:                              ;   in Loop: Header=BB170_43 Depth=1
	s_or_b64 exec, exec, s[6:7]
	v_lshlrev_b32_e32 v2, 16, v67
	v_mul_f32_e32 v2, v51, v2
	v_and_b32_e32 v3, 0x7f800000, v2
	v_cmp_ne_u32_e64 s[0:1], s14, v3
                                        ; implicit-def: $vgpr67
	s_and_saveexec_b64 s[6:7], s[0:1]
	s_xor_b64 s[0:1], exec, s[6:7]
; %bb.166:                              ;   in Loop: Header=BB170_43 Depth=1
	v_bfe_u32 v3, v2, 16, 1
	v_add3_u32 v67, v2, v3, s15
                                        ; implicit-def: $vgpr2
; %bb.167:                              ;   in Loop: Header=BB170_43 Depth=1
	s_andn2_saveexec_b64 s[6:7], s[0:1]
; %bb.168:                              ;   in Loop: Header=BB170_43 Depth=1
	v_or_b32_e32 v3, 0x10000, v2
	v_cmp_eq_u32_sdwa s[0:1], v2, v24 src0_sel:WORD_0 src1_sel:DWORD
	v_cndmask_b32_e64 v67, v3, v2, s[0:1]
; %bb.169:                              ;   in Loop: Header=BB170_43 Depth=1
	s_or_b64 exec, exec, s[6:7]
	v_lshlrev_b32_e32 v2, 16, v5
	v_mul_f32_e32 v2, v52, v2
	v_and_b32_e32 v3, 0x7f800000, v2
	v_cmp_ne_u32_e64 s[0:1], s14, v3
                                        ; implicit-def: $vgpr68
	s_and_saveexec_b64 s[6:7], s[0:1]
	s_xor_b64 s[0:1], exec, s[6:7]
; %bb.170:                              ;   in Loop: Header=BB170_43 Depth=1
	v_bfe_u32 v3, v2, 16, 1
	v_add3_u32 v68, v2, v3, s15
                                        ; implicit-def: $vgpr2
; %bb.171:                              ;   in Loop: Header=BB170_43 Depth=1
	s_andn2_saveexec_b64 s[6:7], s[0:1]
; %bb.172:                              ;   in Loop: Header=BB170_43 Depth=1
	v_or_b32_e32 v3, 0x10000, v2
	v_cmp_eq_u32_sdwa s[0:1], v2, v24 src0_sel:WORD_0 src1_sel:DWORD
	v_cndmask_b32_e64 v68, v3, v2, s[0:1]
; %bb.173:                              ;   in Loop: Header=BB170_43 Depth=1
	s_or_b64 exec, exec, s[6:7]
	v_lshlrev_b32_e32 v2, 16, v69
	v_mul_f32_e32 v2, v53, v2
	v_and_b32_e32 v3, 0x7f800000, v2
	v_cmp_ne_u32_e64 s[0:1], s14, v3
                                        ; implicit-def: $vgpr69
	s_and_saveexec_b64 s[6:7], s[0:1]
	s_xor_b64 s[0:1], exec, s[6:7]
; %bb.174:                              ;   in Loop: Header=BB170_43 Depth=1
	v_bfe_u32 v3, v2, 16, 1
	v_add3_u32 v69, v2, v3, s15
                                        ; implicit-def: $vgpr2
; %bb.175:                              ;   in Loop: Header=BB170_43 Depth=1
	s_andn2_saveexec_b64 s[6:7], s[0:1]
; %bb.176:                              ;   in Loop: Header=BB170_43 Depth=1
	v_or_b32_e32 v3, 0x10000, v2
	v_cmp_eq_u32_sdwa s[0:1], v2, v24 src0_sel:WORD_0 src1_sel:DWORD
	v_cndmask_b32_e64 v69, v3, v2, s[0:1]
; %bb.177:                              ;   in Loop: Header=BB170_43 Depth=1
	s_or_b64 exec, exec, s[6:7]
	global_load_dwordx4 v[2:5], v[6:7], off offset:3072
	s_waitcnt vmcnt(0)
	v_lshrrev_b32_e32 v7, 16, v2
	v_lshrrev_b32_e32 v71, 16, v3
	;; [unrolled: 1-line block ×4, first 2 shown]
	s_and_saveexec_b64 s[6:7], vcc
	s_cbranch_execz .LBB170_179
; %bb.178:                              ;   in Loop: Header=BB170_43 Depth=1
	v_cmp_gt_i32_e64 s[0:1], s33, v36
	v_cndmask_b32_e64 v2, 0, v2, s[0:1]
	v_cmp_gt_i32_e64 s[0:1], s33, v42
	v_cndmask_b32_e64 v7, 0, v7, s[0:1]
	;; [unrolled: 2-line block ×8, first 2 shown]
.LBB170_179:                            ;   in Loop: Header=BB170_43 Depth=1
	s_or_b64 exec, exec, s[6:7]
	v_lshlrev_b32_e32 v2, 16, v2
	v_mul_f32_e32 v2, v46, v2
	v_and_b32_e32 v6, 0x7f800000, v2
	v_cmp_ne_u32_e64 s[0:1], s14, v6
                                        ; implicit-def: $vgpr6
	s_and_saveexec_b64 s[6:7], s[0:1]
	s_xor_b64 s[0:1], exec, s[6:7]
; %bb.180:                              ;   in Loop: Header=BB170_43 Depth=1
	v_bfe_u32 v6, v2, 16, 1
	v_add3_u32 v6, v2, v6, s15
                                        ; implicit-def: $vgpr2
; %bb.181:                              ;   in Loop: Header=BB170_43 Depth=1
	s_andn2_saveexec_b64 s[6:7], s[0:1]
; %bb.182:                              ;   in Loop: Header=BB170_43 Depth=1
	v_or_b32_e32 v6, 0x10000, v2
	v_cmp_eq_u32_sdwa s[0:1], v2, v24 src0_sel:WORD_0 src1_sel:DWORD
	v_cndmask_b32_e64 v6, v6, v2, s[0:1]
; %bb.183:                              ;   in Loop: Header=BB170_43 Depth=1
	s_or_b64 exec, exec, s[6:7]
	v_lshlrev_b32_e32 v2, 16, v7
	v_mul_f32_e32 v2, v47, v2
	v_and_b32_e32 v7, 0x7f800000, v2
	v_cmp_ne_u32_e64 s[0:1], s14, v7
                                        ; implicit-def: $vgpr7
	s_and_saveexec_b64 s[6:7], s[0:1]
	s_xor_b64 s[0:1], exec, s[6:7]
; %bb.184:                              ;   in Loop: Header=BB170_43 Depth=1
	v_bfe_u32 v7, v2, 16, 1
	v_add3_u32 v7, v2, v7, s15
                                        ; implicit-def: $vgpr2
; %bb.185:                              ;   in Loop: Header=BB170_43 Depth=1
	s_andn2_saveexec_b64 s[6:7], s[0:1]
; %bb.186:                              ;   in Loop: Header=BB170_43 Depth=1
	v_or_b32_e32 v7, 0x10000, v2
	v_cmp_eq_u32_sdwa s[0:1], v2, v24 src0_sel:WORD_0 src1_sel:DWORD
	v_cndmask_b32_e64 v7, v7, v2, s[0:1]
; %bb.187:                              ;   in Loop: Header=BB170_43 Depth=1
	s_or_b64 exec, exec, s[6:7]
	v_lshlrev_b32_e32 v2, 16, v3
	v_mul_f32_e32 v2, v48, v2
	v_and_b32_e32 v3, 0x7f800000, v2
	v_cmp_ne_u32_e64 s[0:1], s14, v3
                                        ; implicit-def: $vgpr70
	s_and_saveexec_b64 s[6:7], s[0:1]
	s_xor_b64 s[0:1], exec, s[6:7]
; %bb.188:                              ;   in Loop: Header=BB170_43 Depth=1
	v_bfe_u32 v3, v2, 16, 1
	v_add3_u32 v70, v2, v3, s15
                                        ; implicit-def: $vgpr2
; %bb.189:                              ;   in Loop: Header=BB170_43 Depth=1
	s_andn2_saveexec_b64 s[6:7], s[0:1]
; %bb.190:                              ;   in Loop: Header=BB170_43 Depth=1
	v_or_b32_e32 v3, 0x10000, v2
	v_cmp_eq_u32_sdwa s[0:1], v2, v24 src0_sel:WORD_0 src1_sel:DWORD
	v_cndmask_b32_e64 v70, v3, v2, s[0:1]
; %bb.191:                              ;   in Loop: Header=BB170_43 Depth=1
	s_or_b64 exec, exec, s[6:7]
	v_lshlrev_b32_e32 v2, 16, v71
	v_mul_f32_e32 v2, v49, v2
	v_and_b32_e32 v3, 0x7f800000, v2
	v_cmp_ne_u32_e64 s[0:1], s14, v3
                                        ; implicit-def: $vgpr71
	s_and_saveexec_b64 s[6:7], s[0:1]
	s_xor_b64 s[0:1], exec, s[6:7]
; %bb.192:                              ;   in Loop: Header=BB170_43 Depth=1
	v_bfe_u32 v3, v2, 16, 1
	v_add3_u32 v71, v2, v3, s15
                                        ; implicit-def: $vgpr2
; %bb.193:                              ;   in Loop: Header=BB170_43 Depth=1
	s_andn2_saveexec_b64 s[6:7], s[0:1]
; %bb.194:                              ;   in Loop: Header=BB170_43 Depth=1
	v_or_b32_e32 v3, 0x10000, v2
	v_cmp_eq_u32_sdwa s[0:1], v2, v24 src0_sel:WORD_0 src1_sel:DWORD
	v_cndmask_b32_e64 v71, v3, v2, s[0:1]
; %bb.195:                              ;   in Loop: Header=BB170_43 Depth=1
	s_or_b64 exec, exec, s[6:7]
	v_lshlrev_b32_e32 v2, 16, v4
	v_mul_f32_e32 v2, v50, v2
	v_and_b32_e32 v3, 0x7f800000, v2
	v_cmp_ne_u32_e64 s[0:1], s14, v3
                                        ; implicit-def: $vgpr72
	s_and_saveexec_b64 s[6:7], s[0:1]
	s_xor_b64 s[0:1], exec, s[6:7]
; %bb.196:                              ;   in Loop: Header=BB170_43 Depth=1
	v_bfe_u32 v3, v2, 16, 1
	v_add3_u32 v72, v2, v3, s15
                                        ; implicit-def: $vgpr2
; %bb.197:                              ;   in Loop: Header=BB170_43 Depth=1
	s_andn2_saveexec_b64 s[6:7], s[0:1]
; %bb.198:                              ;   in Loop: Header=BB170_43 Depth=1
	v_or_b32_e32 v3, 0x10000, v2
	v_cmp_eq_u32_sdwa s[0:1], v2, v24 src0_sel:WORD_0 src1_sel:DWORD
	v_cndmask_b32_e64 v72, v3, v2, s[0:1]
; %bb.199:                              ;   in Loop: Header=BB170_43 Depth=1
	s_or_b64 exec, exec, s[6:7]
	v_lshlrev_b32_e32 v2, 16, v73
	v_mul_f32_e32 v2, v51, v2
	v_and_b32_e32 v3, 0x7f800000, v2
	v_cmp_ne_u32_e64 s[0:1], s14, v3
                                        ; implicit-def: $vgpr73
	s_and_saveexec_b64 s[6:7], s[0:1]
	s_xor_b64 s[0:1], exec, s[6:7]
; %bb.200:                              ;   in Loop: Header=BB170_43 Depth=1
	v_bfe_u32 v3, v2, 16, 1
	v_add3_u32 v73, v2, v3, s15
                                        ; implicit-def: $vgpr2
; %bb.201:                              ;   in Loop: Header=BB170_43 Depth=1
	s_andn2_saveexec_b64 s[6:7], s[0:1]
; %bb.202:                              ;   in Loop: Header=BB170_43 Depth=1
	v_or_b32_e32 v3, 0x10000, v2
	v_cmp_eq_u32_sdwa s[0:1], v2, v24 src0_sel:WORD_0 src1_sel:DWORD
	v_cndmask_b32_e64 v73, v3, v2, s[0:1]
; %bb.203:                              ;   in Loop: Header=BB170_43 Depth=1
	s_or_b64 exec, exec, s[6:7]
	v_lshlrev_b32_e32 v2, 16, v5
	v_mul_f32_e32 v2, v52, v2
	v_and_b32_e32 v3, 0x7f800000, v2
	v_cmp_ne_u32_e64 s[0:1], s14, v3
                                        ; implicit-def: $vgpr74
	s_and_saveexec_b64 s[6:7], s[0:1]
	s_xor_b64 s[0:1], exec, s[6:7]
; %bb.204:                              ;   in Loop: Header=BB170_43 Depth=1
	v_bfe_u32 v3, v2, 16, 1
	v_add3_u32 v74, v2, v3, s15
                                        ; implicit-def: $vgpr2
; %bb.205:                              ;   in Loop: Header=BB170_43 Depth=1
	s_andn2_saveexec_b64 s[6:7], s[0:1]
; %bb.206:                              ;   in Loop: Header=BB170_43 Depth=1
	v_or_b32_e32 v3, 0x10000, v2
	v_cmp_eq_u32_sdwa s[0:1], v2, v24 src0_sel:WORD_0 src1_sel:DWORD
	v_cndmask_b32_e64 v74, v3, v2, s[0:1]
; %bb.207:                              ;   in Loop: Header=BB170_43 Depth=1
	s_or_b64 exec, exec, s[6:7]
	v_lshlrev_b32_e32 v2, 16, v75
	v_mul_f32_e32 v2, v53, v2
	v_and_b32_e32 v3, 0x7f800000, v2
	v_cmp_ne_u32_e64 s[0:1], s14, v3
                                        ; implicit-def: $vgpr75
	s_and_saveexec_b64 s[6:7], s[0:1]
	s_xor_b64 s[0:1], exec, s[6:7]
; %bb.208:                              ;   in Loop: Header=BB170_43 Depth=1
	v_bfe_u32 v3, v2, 16, 1
	v_add3_u32 v75, v2, v3, s15
                                        ; implicit-def: $vgpr2
; %bb.209:                              ;   in Loop: Header=BB170_43 Depth=1
	s_andn2_saveexec_b64 s[6:7], s[0:1]
; %bb.210:                              ;   in Loop: Header=BB170_43 Depth=1
	v_or_b32_e32 v3, 0x10000, v2
	v_cmp_eq_u32_sdwa s[0:1], v2, v24 src0_sel:WORD_0 src1_sel:DWORD
	v_cndmask_b32_e64 v75, v3, v2, s[0:1]
; %bb.211:                              ;   in Loop: Header=BB170_43 Depth=1
	s_or_b64 exec, exec, s[6:7]
	v_add_co_u32_e64 v2, s[0:1], v44, v27
	v_addc_co_u32_e64 v3, s[0:1], 0, v45, s[0:1]
	global_load_dwordx4 v[2:5], v[2:3], off
	s_waitcnt vmcnt(0)
	v_lshrrev_b32_e32 v77, 16, v2
	v_lshrrev_b32_e32 v79, 16, v3
	;; [unrolled: 1-line block ×4, first 2 shown]
	s_and_saveexec_b64 s[6:7], vcc
	s_cbranch_execz .LBB170_213
; %bb.212:                              ;   in Loop: Header=BB170_43 Depth=1
	v_cmp_gt_i32_e64 s[0:1], s33, v36
	v_cndmask_b32_e64 v2, 0, v2, s[0:1]
	v_cmp_gt_i32_e64 s[0:1], s33, v42
	v_cndmask_b32_e64 v77, 0, v77, s[0:1]
	;; [unrolled: 2-line block ×8, first 2 shown]
.LBB170_213:                            ;   in Loop: Header=BB170_43 Depth=1
	s_or_b64 exec, exec, s[6:7]
	v_lshlrev_b32_e32 v2, 16, v2
	v_mul_f32_e32 v2, v46, v2
	v_and_b32_e32 v76, 0x7f800000, v2
	v_cmp_ne_u32_e64 s[0:1], s14, v76
                                        ; implicit-def: $vgpr76
	s_and_saveexec_b64 s[6:7], s[0:1]
	s_xor_b64 s[0:1], exec, s[6:7]
; %bb.214:                              ;   in Loop: Header=BB170_43 Depth=1
	v_bfe_u32 v76, v2, 16, 1
	v_add3_u32 v76, v2, v76, s15
                                        ; implicit-def: $vgpr2
; %bb.215:                              ;   in Loop: Header=BB170_43 Depth=1
	s_andn2_saveexec_b64 s[6:7], s[0:1]
; %bb.216:                              ;   in Loop: Header=BB170_43 Depth=1
	v_or_b32_e32 v76, 0x10000, v2
	v_cmp_eq_u32_sdwa s[0:1], v2, v24 src0_sel:WORD_0 src1_sel:DWORD
	v_cndmask_b32_e64 v76, v76, v2, s[0:1]
; %bb.217:                              ;   in Loop: Header=BB170_43 Depth=1
	s_or_b64 exec, exec, s[6:7]
	v_lshlrev_b32_e32 v2, 16, v77
	v_mul_f32_e32 v2, v47, v2
	v_and_b32_e32 v77, 0x7f800000, v2
	v_cmp_ne_u32_e64 s[0:1], s14, v77
                                        ; implicit-def: $vgpr77
	s_and_saveexec_b64 s[6:7], s[0:1]
	s_xor_b64 s[0:1], exec, s[6:7]
; %bb.218:                              ;   in Loop: Header=BB170_43 Depth=1
	v_bfe_u32 v77, v2, 16, 1
	v_add3_u32 v77, v2, v77, s15
                                        ; implicit-def: $vgpr2
; %bb.219:                              ;   in Loop: Header=BB170_43 Depth=1
	s_andn2_saveexec_b64 s[6:7], s[0:1]
; %bb.220:                              ;   in Loop: Header=BB170_43 Depth=1
	v_or_b32_e32 v77, 0x10000, v2
	v_cmp_eq_u32_sdwa s[0:1], v2, v24 src0_sel:WORD_0 src1_sel:DWORD
	v_cndmask_b32_e64 v77, v77, v2, s[0:1]
; %bb.221:                              ;   in Loop: Header=BB170_43 Depth=1
	s_or_b64 exec, exec, s[6:7]
	v_lshlrev_b32_e32 v2, 16, v3
	v_mul_f32_e32 v2, v48, v2
	v_and_b32_e32 v3, 0x7f800000, v2
	v_cmp_ne_u32_e64 s[0:1], s14, v3
                                        ; implicit-def: $vgpr78
	s_and_saveexec_b64 s[6:7], s[0:1]
	s_xor_b64 s[0:1], exec, s[6:7]
; %bb.222:                              ;   in Loop: Header=BB170_43 Depth=1
	v_bfe_u32 v3, v2, 16, 1
	v_add3_u32 v78, v2, v3, s15
                                        ; implicit-def: $vgpr2
; %bb.223:                              ;   in Loop: Header=BB170_43 Depth=1
	s_andn2_saveexec_b64 s[6:7], s[0:1]
; %bb.224:                              ;   in Loop: Header=BB170_43 Depth=1
	v_or_b32_e32 v3, 0x10000, v2
	v_cmp_eq_u32_sdwa s[0:1], v2, v24 src0_sel:WORD_0 src1_sel:DWORD
	v_cndmask_b32_e64 v78, v3, v2, s[0:1]
; %bb.225:                              ;   in Loop: Header=BB170_43 Depth=1
	s_or_b64 exec, exec, s[6:7]
	v_lshlrev_b32_e32 v2, 16, v79
	v_mul_f32_e32 v2, v49, v2
	v_and_b32_e32 v3, 0x7f800000, v2
	v_cmp_ne_u32_e64 s[0:1], s14, v3
                                        ; implicit-def: $vgpr79
	s_and_saveexec_b64 s[6:7], s[0:1]
	s_xor_b64 s[0:1], exec, s[6:7]
; %bb.226:                              ;   in Loop: Header=BB170_43 Depth=1
	v_bfe_u32 v3, v2, 16, 1
	v_add3_u32 v79, v2, v3, s15
                                        ; implicit-def: $vgpr2
; %bb.227:                              ;   in Loop: Header=BB170_43 Depth=1
	s_andn2_saveexec_b64 s[6:7], s[0:1]
; %bb.228:                              ;   in Loop: Header=BB170_43 Depth=1
	v_or_b32_e32 v3, 0x10000, v2
	v_cmp_eq_u32_sdwa s[0:1], v2, v24 src0_sel:WORD_0 src1_sel:DWORD
	v_cndmask_b32_e64 v79, v3, v2, s[0:1]
; %bb.229:                              ;   in Loop: Header=BB170_43 Depth=1
	s_or_b64 exec, exec, s[6:7]
	v_lshlrev_b32_e32 v2, 16, v4
	v_mul_f32_e32 v2, v50, v2
	v_and_b32_e32 v3, 0x7f800000, v2
	v_cmp_ne_u32_e64 s[0:1], s14, v3
                                        ; implicit-def: $vgpr80
	s_and_saveexec_b64 s[6:7], s[0:1]
	s_xor_b64 s[0:1], exec, s[6:7]
; %bb.230:                              ;   in Loop: Header=BB170_43 Depth=1
	v_bfe_u32 v3, v2, 16, 1
	v_add3_u32 v80, v2, v3, s15
                                        ; implicit-def: $vgpr2
; %bb.231:                              ;   in Loop: Header=BB170_43 Depth=1
	s_andn2_saveexec_b64 s[6:7], s[0:1]
; %bb.232:                              ;   in Loop: Header=BB170_43 Depth=1
	v_or_b32_e32 v3, 0x10000, v2
	v_cmp_eq_u32_sdwa s[0:1], v2, v24 src0_sel:WORD_0 src1_sel:DWORD
	v_cndmask_b32_e64 v80, v3, v2, s[0:1]
; %bb.233:                              ;   in Loop: Header=BB170_43 Depth=1
	s_or_b64 exec, exec, s[6:7]
	v_lshlrev_b32_e32 v2, 16, v81
	v_mul_f32_e32 v2, v51, v2
	v_and_b32_e32 v3, 0x7f800000, v2
	v_cmp_ne_u32_e64 s[0:1], s14, v3
                                        ; implicit-def: $vgpr81
	s_and_saveexec_b64 s[6:7], s[0:1]
	s_xor_b64 s[0:1], exec, s[6:7]
; %bb.234:                              ;   in Loop: Header=BB170_43 Depth=1
	v_bfe_u32 v3, v2, 16, 1
	v_add3_u32 v81, v2, v3, s15
                                        ; implicit-def: $vgpr2
; %bb.235:                              ;   in Loop: Header=BB170_43 Depth=1
	s_andn2_saveexec_b64 s[6:7], s[0:1]
; %bb.236:                              ;   in Loop: Header=BB170_43 Depth=1
	v_or_b32_e32 v3, 0x10000, v2
	v_cmp_eq_u32_sdwa s[0:1], v2, v24 src0_sel:WORD_0 src1_sel:DWORD
	v_cndmask_b32_e64 v81, v3, v2, s[0:1]
; %bb.237:                              ;   in Loop: Header=BB170_43 Depth=1
	s_or_b64 exec, exec, s[6:7]
	v_lshlrev_b32_e32 v2, 16, v5
	v_mul_f32_e32 v2, v52, v2
	v_and_b32_e32 v3, 0x7f800000, v2
	v_cmp_ne_u32_e64 s[0:1], s14, v3
                                        ; implicit-def: $vgpr82
	s_and_saveexec_b64 s[6:7], s[0:1]
	s_xor_b64 s[0:1], exec, s[6:7]
; %bb.238:                              ;   in Loop: Header=BB170_43 Depth=1
	v_bfe_u32 v3, v2, 16, 1
	v_add3_u32 v82, v2, v3, s15
                                        ; implicit-def: $vgpr2
; %bb.239:                              ;   in Loop: Header=BB170_43 Depth=1
	s_andn2_saveexec_b64 s[6:7], s[0:1]
; %bb.240:                              ;   in Loop: Header=BB170_43 Depth=1
	v_or_b32_e32 v3, 0x10000, v2
	v_cmp_eq_u32_sdwa s[0:1], v2, v24 src0_sel:WORD_0 src1_sel:DWORD
	v_cndmask_b32_e64 v82, v3, v2, s[0:1]
; %bb.241:                              ;   in Loop: Header=BB170_43 Depth=1
	s_or_b64 exec, exec, s[6:7]
	v_lshlrev_b32_e32 v2, 16, v83
	v_mul_f32_e32 v2, v53, v2
	v_and_b32_e32 v3, 0x7f800000, v2
	v_cmp_ne_u32_e64 s[0:1], s14, v3
                                        ; implicit-def: $vgpr83
	s_and_saveexec_b64 s[6:7], s[0:1]
	s_xor_b64 s[0:1], exec, s[6:7]
; %bb.242:                              ;   in Loop: Header=BB170_43 Depth=1
	v_bfe_u32 v3, v2, 16, 1
	v_add3_u32 v83, v2, v3, s15
                                        ; implicit-def: $vgpr2
; %bb.243:                              ;   in Loop: Header=BB170_43 Depth=1
	s_andn2_saveexec_b64 s[6:7], s[0:1]
; %bb.244:                              ;   in Loop: Header=BB170_43 Depth=1
	v_or_b32_e32 v3, 0x10000, v2
	v_cmp_eq_u32_sdwa s[0:1], v2, v24 src0_sel:WORD_0 src1_sel:DWORD
	v_cndmask_b32_e64 v83, v3, v2, s[0:1]
; %bb.245:                              ;   in Loop: Header=BB170_43 Depth=1
	s_or_b64 exec, exec, s[6:7]
	v_add_co_u32_e64 v2, s[0:1], v44, v28
	v_addc_co_u32_e64 v3, s[0:1], 0, v45, s[0:1]
	global_load_dwordx4 v[2:5], v[2:3], off
	s_waitcnt vmcnt(0)
	v_lshrrev_b32_e32 v85, 16, v2
	v_lshrrev_b32_e32 v87, 16, v3
	v_lshrrev_b32_e32 v89, 16, v4
	v_lshrrev_b32_e32 v91, 16, v5
	s_and_saveexec_b64 s[6:7], vcc
	s_cbranch_execz .LBB170_247
; %bb.246:                              ;   in Loop: Header=BB170_43 Depth=1
	v_cmp_gt_i32_e64 s[0:1], s33, v36
	v_cndmask_b32_e64 v2, 0, v2, s[0:1]
	v_cmp_gt_i32_e64 s[0:1], s33, v42
	v_cndmask_b32_e64 v85, 0, v85, s[0:1]
	;; [unrolled: 2-line block ×8, first 2 shown]
.LBB170_247:                            ;   in Loop: Header=BB170_43 Depth=1
	s_or_b64 exec, exec, s[6:7]
	v_lshlrev_b32_e32 v2, 16, v2
	v_mul_f32_e32 v2, v46, v2
	v_and_b32_e32 v84, 0x7f800000, v2
	v_cmp_ne_u32_e64 s[0:1], s14, v84
                                        ; implicit-def: $vgpr84
	s_and_saveexec_b64 s[6:7], s[0:1]
	s_xor_b64 s[0:1], exec, s[6:7]
; %bb.248:                              ;   in Loop: Header=BB170_43 Depth=1
	v_bfe_u32 v84, v2, 16, 1
	v_add3_u32 v84, v2, v84, s15
                                        ; implicit-def: $vgpr2
; %bb.249:                              ;   in Loop: Header=BB170_43 Depth=1
	s_andn2_saveexec_b64 s[6:7], s[0:1]
; %bb.250:                              ;   in Loop: Header=BB170_43 Depth=1
	v_or_b32_e32 v84, 0x10000, v2
	v_cmp_eq_u32_sdwa s[0:1], v2, v24 src0_sel:WORD_0 src1_sel:DWORD
	v_cndmask_b32_e64 v84, v84, v2, s[0:1]
; %bb.251:                              ;   in Loop: Header=BB170_43 Depth=1
	s_or_b64 exec, exec, s[6:7]
	v_lshlrev_b32_e32 v2, 16, v85
	v_mul_f32_e32 v2, v47, v2
	v_and_b32_e32 v85, 0x7f800000, v2
	v_cmp_ne_u32_e64 s[0:1], s14, v85
                                        ; implicit-def: $vgpr85
	s_and_saveexec_b64 s[6:7], s[0:1]
	s_xor_b64 s[0:1], exec, s[6:7]
; %bb.252:                              ;   in Loop: Header=BB170_43 Depth=1
	v_bfe_u32 v85, v2, 16, 1
	v_add3_u32 v85, v2, v85, s15
                                        ; implicit-def: $vgpr2
; %bb.253:                              ;   in Loop: Header=BB170_43 Depth=1
	s_andn2_saveexec_b64 s[6:7], s[0:1]
; %bb.254:                              ;   in Loop: Header=BB170_43 Depth=1
	v_or_b32_e32 v85, 0x10000, v2
	v_cmp_eq_u32_sdwa s[0:1], v2, v24 src0_sel:WORD_0 src1_sel:DWORD
	v_cndmask_b32_e64 v85, v85, v2, s[0:1]
; %bb.255:                              ;   in Loop: Header=BB170_43 Depth=1
	s_or_b64 exec, exec, s[6:7]
	v_lshlrev_b32_e32 v2, 16, v3
	v_mul_f32_e32 v2, v48, v2
	v_and_b32_e32 v3, 0x7f800000, v2
	v_cmp_ne_u32_e64 s[0:1], s14, v3
                                        ; implicit-def: $vgpr86
	s_and_saveexec_b64 s[6:7], s[0:1]
	s_xor_b64 s[0:1], exec, s[6:7]
; %bb.256:                              ;   in Loop: Header=BB170_43 Depth=1
	v_bfe_u32 v3, v2, 16, 1
	v_add3_u32 v86, v2, v3, s15
                                        ; implicit-def: $vgpr2
; %bb.257:                              ;   in Loop: Header=BB170_43 Depth=1
	s_andn2_saveexec_b64 s[6:7], s[0:1]
; %bb.258:                              ;   in Loop: Header=BB170_43 Depth=1
	v_or_b32_e32 v3, 0x10000, v2
	v_cmp_eq_u32_sdwa s[0:1], v2, v24 src0_sel:WORD_0 src1_sel:DWORD
	v_cndmask_b32_e64 v86, v3, v2, s[0:1]
; %bb.259:                              ;   in Loop: Header=BB170_43 Depth=1
	s_or_b64 exec, exec, s[6:7]
	v_lshlrev_b32_e32 v2, 16, v87
	v_mul_f32_e32 v2, v49, v2
	v_and_b32_e32 v3, 0x7f800000, v2
	v_cmp_ne_u32_e64 s[0:1], s14, v3
                                        ; implicit-def: $vgpr87
	s_and_saveexec_b64 s[6:7], s[0:1]
	s_xor_b64 s[0:1], exec, s[6:7]
; %bb.260:                              ;   in Loop: Header=BB170_43 Depth=1
	v_bfe_u32 v3, v2, 16, 1
	v_add3_u32 v87, v2, v3, s15
                                        ; implicit-def: $vgpr2
; %bb.261:                              ;   in Loop: Header=BB170_43 Depth=1
	s_andn2_saveexec_b64 s[6:7], s[0:1]
; %bb.262:                              ;   in Loop: Header=BB170_43 Depth=1
	v_or_b32_e32 v3, 0x10000, v2
	v_cmp_eq_u32_sdwa s[0:1], v2, v24 src0_sel:WORD_0 src1_sel:DWORD
	v_cndmask_b32_e64 v87, v3, v2, s[0:1]
; %bb.263:                              ;   in Loop: Header=BB170_43 Depth=1
	s_or_b64 exec, exec, s[6:7]
	v_lshlrev_b32_e32 v2, 16, v4
	v_mul_f32_e32 v2, v50, v2
	v_and_b32_e32 v3, 0x7f800000, v2
	v_cmp_ne_u32_e64 s[0:1], s14, v3
                                        ; implicit-def: $vgpr88
	s_and_saveexec_b64 s[6:7], s[0:1]
	s_xor_b64 s[0:1], exec, s[6:7]
; %bb.264:                              ;   in Loop: Header=BB170_43 Depth=1
	v_bfe_u32 v3, v2, 16, 1
	v_add3_u32 v88, v2, v3, s15
                                        ; implicit-def: $vgpr2
; %bb.265:                              ;   in Loop: Header=BB170_43 Depth=1
	s_andn2_saveexec_b64 s[6:7], s[0:1]
; %bb.266:                              ;   in Loop: Header=BB170_43 Depth=1
	v_or_b32_e32 v3, 0x10000, v2
	v_cmp_eq_u32_sdwa s[0:1], v2, v24 src0_sel:WORD_0 src1_sel:DWORD
	v_cndmask_b32_e64 v88, v3, v2, s[0:1]
; %bb.267:                              ;   in Loop: Header=BB170_43 Depth=1
	s_or_b64 exec, exec, s[6:7]
	v_lshlrev_b32_e32 v2, 16, v89
	v_mul_f32_e32 v2, v51, v2
	v_and_b32_e32 v3, 0x7f800000, v2
	v_cmp_ne_u32_e64 s[0:1], s14, v3
                                        ; implicit-def: $vgpr89
	s_and_saveexec_b64 s[6:7], s[0:1]
	s_xor_b64 s[0:1], exec, s[6:7]
; %bb.268:                              ;   in Loop: Header=BB170_43 Depth=1
	v_bfe_u32 v3, v2, 16, 1
	v_add3_u32 v89, v2, v3, s15
                                        ; implicit-def: $vgpr2
; %bb.269:                              ;   in Loop: Header=BB170_43 Depth=1
	s_andn2_saveexec_b64 s[6:7], s[0:1]
; %bb.270:                              ;   in Loop: Header=BB170_43 Depth=1
	v_or_b32_e32 v3, 0x10000, v2
	v_cmp_eq_u32_sdwa s[0:1], v2, v24 src0_sel:WORD_0 src1_sel:DWORD
	v_cndmask_b32_e64 v89, v3, v2, s[0:1]
; %bb.271:                              ;   in Loop: Header=BB170_43 Depth=1
	s_or_b64 exec, exec, s[6:7]
	v_lshlrev_b32_e32 v2, 16, v5
	v_mul_f32_e32 v2, v52, v2
	v_and_b32_e32 v3, 0x7f800000, v2
	v_cmp_ne_u32_e64 s[0:1], s14, v3
                                        ; implicit-def: $vgpr90
	s_and_saveexec_b64 s[6:7], s[0:1]
	s_xor_b64 s[0:1], exec, s[6:7]
; %bb.272:                              ;   in Loop: Header=BB170_43 Depth=1
	v_bfe_u32 v3, v2, 16, 1
	v_add3_u32 v90, v2, v3, s15
                                        ; implicit-def: $vgpr2
; %bb.273:                              ;   in Loop: Header=BB170_43 Depth=1
	s_andn2_saveexec_b64 s[6:7], s[0:1]
; %bb.274:                              ;   in Loop: Header=BB170_43 Depth=1
	v_or_b32_e32 v3, 0x10000, v2
	v_cmp_eq_u32_sdwa s[0:1], v2, v24 src0_sel:WORD_0 src1_sel:DWORD
	v_cndmask_b32_e64 v90, v3, v2, s[0:1]
; %bb.275:                              ;   in Loop: Header=BB170_43 Depth=1
	s_or_b64 exec, exec, s[6:7]
	v_lshlrev_b32_e32 v2, 16, v91
	v_mul_f32_e32 v2, v53, v2
	v_and_b32_e32 v3, 0x7f800000, v2
	v_cmp_ne_u32_e64 s[0:1], s14, v3
                                        ; implicit-def: $vgpr91
	s_and_saveexec_b64 s[6:7], s[0:1]
	s_xor_b64 s[0:1], exec, s[6:7]
; %bb.276:                              ;   in Loop: Header=BB170_43 Depth=1
	v_bfe_u32 v3, v2, 16, 1
	v_add3_u32 v91, v2, v3, s15
                                        ; implicit-def: $vgpr2
; %bb.277:                              ;   in Loop: Header=BB170_43 Depth=1
	s_andn2_saveexec_b64 s[6:7], s[0:1]
; %bb.278:                              ;   in Loop: Header=BB170_43 Depth=1
	v_or_b32_e32 v3, 0x10000, v2
	v_cmp_eq_u32_sdwa s[0:1], v2, v24 src0_sel:WORD_0 src1_sel:DWORD
	v_cndmask_b32_e64 v91, v3, v2, s[0:1]
; %bb.279:                              ;   in Loop: Header=BB170_43 Depth=1
	s_or_b64 exec, exec, s[6:7]
	v_add_co_u32_e64 v2, s[0:1], v44, v29
	v_addc_co_u32_e64 v3, s[0:1], 0, v45, s[0:1]
	global_load_dwordx4 v[2:5], v[2:3], off
	s_waitcnt vmcnt(0)
	v_lshrrev_b32_e32 v93, 16, v2
	v_lshrrev_b32_e32 v95, 16, v3
	;; [unrolled: 1-line block ×4, first 2 shown]
	s_and_saveexec_b64 s[6:7], vcc
	s_cbranch_execz .LBB170_281
; %bb.280:                              ;   in Loop: Header=BB170_43 Depth=1
	v_cmp_gt_i32_e64 s[0:1], s33, v36
	v_cndmask_b32_e64 v2, 0, v2, s[0:1]
	v_cmp_gt_i32_e64 s[0:1], s33, v42
	v_cndmask_b32_e64 v93, 0, v93, s[0:1]
	;; [unrolled: 2-line block ×8, first 2 shown]
.LBB170_281:                            ;   in Loop: Header=BB170_43 Depth=1
	s_or_b64 exec, exec, s[6:7]
	v_lshlrev_b32_e32 v2, 16, v2
	v_mul_f32_e32 v2, v46, v2
	v_and_b32_e32 v92, 0x7f800000, v2
	v_cmp_ne_u32_e64 s[0:1], s14, v92
                                        ; implicit-def: $vgpr92
	s_and_saveexec_b64 s[6:7], s[0:1]
	s_xor_b64 s[0:1], exec, s[6:7]
; %bb.282:                              ;   in Loop: Header=BB170_43 Depth=1
	v_bfe_u32 v92, v2, 16, 1
	v_add3_u32 v92, v2, v92, s15
                                        ; implicit-def: $vgpr2
; %bb.283:                              ;   in Loop: Header=BB170_43 Depth=1
	s_andn2_saveexec_b64 s[6:7], s[0:1]
; %bb.284:                              ;   in Loop: Header=BB170_43 Depth=1
	v_or_b32_e32 v92, 0x10000, v2
	v_cmp_eq_u32_sdwa s[0:1], v2, v24 src0_sel:WORD_0 src1_sel:DWORD
	v_cndmask_b32_e64 v92, v92, v2, s[0:1]
; %bb.285:                              ;   in Loop: Header=BB170_43 Depth=1
	s_or_b64 exec, exec, s[6:7]
	v_lshlrev_b32_e32 v2, 16, v93
	v_mul_f32_e32 v2, v47, v2
	v_and_b32_e32 v93, 0x7f800000, v2
	v_cmp_ne_u32_e64 s[0:1], s14, v93
                                        ; implicit-def: $vgpr93
	s_and_saveexec_b64 s[6:7], s[0:1]
	s_xor_b64 s[0:1], exec, s[6:7]
; %bb.286:                              ;   in Loop: Header=BB170_43 Depth=1
	v_bfe_u32 v93, v2, 16, 1
	v_add3_u32 v93, v2, v93, s15
                                        ; implicit-def: $vgpr2
; %bb.287:                              ;   in Loop: Header=BB170_43 Depth=1
	s_andn2_saveexec_b64 s[6:7], s[0:1]
; %bb.288:                              ;   in Loop: Header=BB170_43 Depth=1
	v_or_b32_e32 v93, 0x10000, v2
	v_cmp_eq_u32_sdwa s[0:1], v2, v24 src0_sel:WORD_0 src1_sel:DWORD
	v_cndmask_b32_e64 v93, v93, v2, s[0:1]
; %bb.289:                              ;   in Loop: Header=BB170_43 Depth=1
	s_or_b64 exec, exec, s[6:7]
	v_lshlrev_b32_e32 v2, 16, v3
	v_mul_f32_e32 v2, v48, v2
	v_and_b32_e32 v3, 0x7f800000, v2
	v_cmp_ne_u32_e64 s[0:1], s14, v3
                                        ; implicit-def: $vgpr94
	s_and_saveexec_b64 s[6:7], s[0:1]
	s_xor_b64 s[0:1], exec, s[6:7]
; %bb.290:                              ;   in Loop: Header=BB170_43 Depth=1
	v_bfe_u32 v3, v2, 16, 1
	v_add3_u32 v94, v2, v3, s15
                                        ; implicit-def: $vgpr2
; %bb.291:                              ;   in Loop: Header=BB170_43 Depth=1
	s_andn2_saveexec_b64 s[6:7], s[0:1]
; %bb.292:                              ;   in Loop: Header=BB170_43 Depth=1
	v_or_b32_e32 v3, 0x10000, v2
	v_cmp_eq_u32_sdwa s[0:1], v2, v24 src0_sel:WORD_0 src1_sel:DWORD
	v_cndmask_b32_e64 v94, v3, v2, s[0:1]
; %bb.293:                              ;   in Loop: Header=BB170_43 Depth=1
	s_or_b64 exec, exec, s[6:7]
	v_lshlrev_b32_e32 v2, 16, v95
	v_mul_f32_e32 v2, v49, v2
	v_and_b32_e32 v3, 0x7f800000, v2
	v_cmp_ne_u32_e64 s[0:1], s14, v3
                                        ; implicit-def: $vgpr95
	s_and_saveexec_b64 s[6:7], s[0:1]
	s_xor_b64 s[0:1], exec, s[6:7]
; %bb.294:                              ;   in Loop: Header=BB170_43 Depth=1
	v_bfe_u32 v3, v2, 16, 1
	v_add3_u32 v95, v2, v3, s15
                                        ; implicit-def: $vgpr2
; %bb.295:                              ;   in Loop: Header=BB170_43 Depth=1
	s_andn2_saveexec_b64 s[6:7], s[0:1]
; %bb.296:                              ;   in Loop: Header=BB170_43 Depth=1
	v_or_b32_e32 v3, 0x10000, v2
	v_cmp_eq_u32_sdwa s[0:1], v2, v24 src0_sel:WORD_0 src1_sel:DWORD
	v_cndmask_b32_e64 v95, v3, v2, s[0:1]
; %bb.297:                              ;   in Loop: Header=BB170_43 Depth=1
	s_or_b64 exec, exec, s[6:7]
	v_lshlrev_b32_e32 v2, 16, v4
	v_mul_f32_e32 v2, v50, v2
	v_and_b32_e32 v3, 0x7f800000, v2
	v_cmp_ne_u32_e64 s[0:1], s14, v3
                                        ; implicit-def: $vgpr96
	s_and_saveexec_b64 s[6:7], s[0:1]
	s_xor_b64 s[0:1], exec, s[6:7]
; %bb.298:                              ;   in Loop: Header=BB170_43 Depth=1
	v_bfe_u32 v3, v2, 16, 1
	v_add3_u32 v96, v2, v3, s15
                                        ; implicit-def: $vgpr2
; %bb.299:                              ;   in Loop: Header=BB170_43 Depth=1
	s_andn2_saveexec_b64 s[6:7], s[0:1]
; %bb.300:                              ;   in Loop: Header=BB170_43 Depth=1
	v_or_b32_e32 v3, 0x10000, v2
	v_cmp_eq_u32_sdwa s[0:1], v2, v24 src0_sel:WORD_0 src1_sel:DWORD
	v_cndmask_b32_e64 v96, v3, v2, s[0:1]
; %bb.301:                              ;   in Loop: Header=BB170_43 Depth=1
	s_or_b64 exec, exec, s[6:7]
	v_lshlrev_b32_e32 v2, 16, v97
	v_mul_f32_e32 v2, v51, v2
	v_and_b32_e32 v3, 0x7f800000, v2
	v_cmp_ne_u32_e64 s[0:1], s14, v3
                                        ; implicit-def: $vgpr97
	s_and_saveexec_b64 s[6:7], s[0:1]
	s_xor_b64 s[0:1], exec, s[6:7]
; %bb.302:                              ;   in Loop: Header=BB170_43 Depth=1
	v_bfe_u32 v3, v2, 16, 1
	v_add3_u32 v97, v2, v3, s15
                                        ; implicit-def: $vgpr2
; %bb.303:                              ;   in Loop: Header=BB170_43 Depth=1
	s_andn2_saveexec_b64 s[6:7], s[0:1]
; %bb.304:                              ;   in Loop: Header=BB170_43 Depth=1
	v_or_b32_e32 v3, 0x10000, v2
	v_cmp_eq_u32_sdwa s[0:1], v2, v24 src0_sel:WORD_0 src1_sel:DWORD
	v_cndmask_b32_e64 v97, v3, v2, s[0:1]
; %bb.305:                              ;   in Loop: Header=BB170_43 Depth=1
	s_or_b64 exec, exec, s[6:7]
	v_lshlrev_b32_e32 v2, 16, v5
	v_mul_f32_e32 v2, v52, v2
	v_and_b32_e32 v3, 0x7f800000, v2
	v_cmp_ne_u32_e64 s[0:1], s14, v3
                                        ; implicit-def: $vgpr98
	s_and_saveexec_b64 s[6:7], s[0:1]
	s_xor_b64 s[0:1], exec, s[6:7]
; %bb.306:                              ;   in Loop: Header=BB170_43 Depth=1
	v_bfe_u32 v3, v2, 16, 1
	v_add3_u32 v98, v2, v3, s15
                                        ; implicit-def: $vgpr2
; %bb.307:                              ;   in Loop: Header=BB170_43 Depth=1
	s_andn2_saveexec_b64 s[6:7], s[0:1]
; %bb.308:                              ;   in Loop: Header=BB170_43 Depth=1
	v_or_b32_e32 v3, 0x10000, v2
	v_cmp_eq_u32_sdwa s[0:1], v2, v24 src0_sel:WORD_0 src1_sel:DWORD
	v_cndmask_b32_e64 v98, v3, v2, s[0:1]
; %bb.309:                              ;   in Loop: Header=BB170_43 Depth=1
	s_or_b64 exec, exec, s[6:7]
	v_lshlrev_b32_e32 v2, 16, v99
	v_mul_f32_e32 v2, v53, v2
	v_and_b32_e32 v3, 0x7f800000, v2
	v_cmp_ne_u32_e64 s[0:1], s14, v3
                                        ; implicit-def: $vgpr99
	s_and_saveexec_b64 s[6:7], s[0:1]
	s_xor_b64 s[0:1], exec, s[6:7]
; %bb.310:                              ;   in Loop: Header=BB170_43 Depth=1
	v_bfe_u32 v3, v2, 16, 1
	v_add3_u32 v99, v2, v3, s15
                                        ; implicit-def: $vgpr2
; %bb.311:                              ;   in Loop: Header=BB170_43 Depth=1
	s_andn2_saveexec_b64 s[6:7], s[0:1]
; %bb.312:                              ;   in Loop: Header=BB170_43 Depth=1
	v_or_b32_e32 v3, 0x10000, v2
	v_cmp_eq_u32_sdwa s[0:1], v2, v24 src0_sel:WORD_0 src1_sel:DWORD
	v_cndmask_b32_e64 v99, v3, v2, s[0:1]
; %bb.313:                              ;   in Loop: Header=BB170_43 Depth=1
	s_or_b64 exec, exec, s[6:7]
	v_add_co_u32_e64 v2, s[0:1], v44, v30
	v_addc_co_u32_e64 v3, s[0:1], 0, v45, s[0:1]
	global_load_dwordx4 v[2:5], v[2:3], off
	s_waitcnt vmcnt(0)
	v_lshrrev_b32_e32 v101, 16, v2
	v_lshrrev_b32_e32 v100, 16, v3
	;; [unrolled: 1-line block ×4, first 2 shown]
	s_and_saveexec_b64 s[0:1], vcc
	s_cbranch_execz .LBB170_315
; %bb.314:                              ;   in Loop: Header=BB170_43 Depth=1
	v_cmp_gt_i32_e32 vcc, s33, v36
	v_cndmask_b32_e32 v2, 0, v2, vcc
	v_cmp_gt_i32_e32 vcc, s33, v42
	v_cndmask_b32_e32 v101, 0, v101, vcc
	;; [unrolled: 2-line block ×8, first 2 shown]
.LBB170_315:                            ;   in Loop: Header=BB170_43 Depth=1
	s_or_b64 exec, exec, s[0:1]
	v_lshlrev_b32_e32 v2, 16, v2
	v_mul_f32_e32 v36, v46, v2
	v_and_b32_e32 v2, 0x7f800000, v36
	v_cmp_ne_u32_e32 vcc, s14, v2
                                        ; implicit-def: $vgpr2
	s_and_saveexec_b64 s[0:1], vcc
	s_xor_b64 s[0:1], exec, s[0:1]
; %bb.316:                              ;   in Loop: Header=BB170_43 Depth=1
	v_bfe_u32 v2, v36, 16, 1
	v_add3_u32 v2, v36, v2, s15
                                        ; implicit-def: $vgpr36
; %bb.317:                              ;   in Loop: Header=BB170_43 Depth=1
	s_andn2_saveexec_b64 s[0:1], s[0:1]
; %bb.318:                              ;   in Loop: Header=BB170_43 Depth=1
	v_or_b32_e32 v2, 0x10000, v36
	v_cmp_eq_u32_sdwa vcc, v36, v24 src0_sel:WORD_0 src1_sel:DWORD
	v_cndmask_b32_e32 v2, v2, v36, vcc
; %bb.319:                              ;   in Loop: Header=BB170_43 Depth=1
	s_or_b64 exec, exec, s[0:1]
	v_lshlrev_b32_e32 v36, 16, v101
	v_mul_f32_e32 v37, v47, v36
	v_and_b32_e32 v36, 0x7f800000, v37
	v_cmp_ne_u32_e32 vcc, s14, v36
                                        ; implicit-def: $vgpr36
	s_and_saveexec_b64 s[0:1], vcc
	s_xor_b64 s[0:1], exec, s[0:1]
; %bb.320:                              ;   in Loop: Header=BB170_43 Depth=1
	v_bfe_u32 v36, v37, 16, 1
	v_add3_u32 v36, v37, v36, s15
                                        ; implicit-def: $vgpr37
; %bb.321:                              ;   in Loop: Header=BB170_43 Depth=1
	s_andn2_saveexec_b64 s[0:1], s[0:1]
; %bb.322:                              ;   in Loop: Header=BB170_43 Depth=1
	v_or_b32_e32 v36, 0x10000, v37
	v_cmp_eq_u32_sdwa vcc, v37, v24 src0_sel:WORD_0 src1_sel:DWORD
	v_cndmask_b32_e32 v36, v36, v37, vcc
; %bb.323:                              ;   in Loop: Header=BB170_43 Depth=1
	s_or_b64 exec, exec, s[0:1]
	v_lshlrev_b32_e32 v3, 16, v3
	v_mul_f32_e32 v37, v48, v3
	v_and_b32_e32 v3, 0x7f800000, v37
	v_cmp_ne_u32_e32 vcc, s14, v3
                                        ; implicit-def: $vgpr3
	s_and_saveexec_b64 s[0:1], vcc
	s_xor_b64 s[0:1], exec, s[0:1]
; %bb.324:                              ;   in Loop: Header=BB170_43 Depth=1
	v_bfe_u32 v3, v37, 16, 1
	v_add3_u32 v3, v37, v3, s15
                                        ; implicit-def: $vgpr37
; %bb.325:                              ;   in Loop: Header=BB170_43 Depth=1
	s_andn2_saveexec_b64 s[0:1], s[0:1]
; %bb.326:                              ;   in Loop: Header=BB170_43 Depth=1
	v_or_b32_e32 v3, 0x10000, v37
	v_cmp_eq_u32_sdwa vcc, v37, v24 src0_sel:WORD_0 src1_sel:DWORD
	v_cndmask_b32_e32 v3, v3, v37, vcc
; %bb.327:                              ;   in Loop: Header=BB170_43 Depth=1
	s_or_b64 exec, exec, s[0:1]
	v_lshlrev_b32_e32 v37, 16, v100
	v_mul_f32_e32 v38, v49, v37
	v_and_b32_e32 v37, 0x7f800000, v38
	v_cmp_ne_u32_e32 vcc, s14, v37
                                        ; implicit-def: $vgpr37
	s_and_saveexec_b64 s[0:1], vcc
	s_xor_b64 s[0:1], exec, s[0:1]
; %bb.328:                              ;   in Loop: Header=BB170_43 Depth=1
	v_bfe_u32 v37, v38, 16, 1
	v_add3_u32 v37, v38, v37, s15
                                        ; implicit-def: $vgpr38
; %bb.329:                              ;   in Loop: Header=BB170_43 Depth=1
	s_andn2_saveexec_b64 s[0:1], s[0:1]
; %bb.330:                              ;   in Loop: Header=BB170_43 Depth=1
	v_or_b32_e32 v37, 0x10000, v38
	v_cmp_eq_u32_sdwa vcc, v38, v24 src0_sel:WORD_0 src1_sel:DWORD
	v_cndmask_b32_e32 v37, v37, v38, vcc
; %bb.331:                              ;   in Loop: Header=BB170_43 Depth=1
	s_or_b64 exec, exec, s[0:1]
	v_lshlrev_b32_e32 v4, 16, v4
	v_mul_f32_e32 v38, v50, v4
	v_and_b32_e32 v4, 0x7f800000, v38
	v_cmp_ne_u32_e32 vcc, s14, v4
                                        ; implicit-def: $vgpr4
	s_and_saveexec_b64 s[0:1], vcc
	s_xor_b64 s[0:1], exec, s[0:1]
; %bb.332:                              ;   in Loop: Header=BB170_43 Depth=1
	v_bfe_u32 v4, v38, 16, 1
	v_add3_u32 v4, v38, v4, s15
                                        ; implicit-def: $vgpr38
; %bb.333:                              ;   in Loop: Header=BB170_43 Depth=1
	s_andn2_saveexec_b64 s[0:1], s[0:1]
; %bb.334:                              ;   in Loop: Header=BB170_43 Depth=1
	v_or_b32_e32 v4, 0x10000, v38
	v_cmp_eq_u32_sdwa vcc, v38, v24 src0_sel:WORD_0 src1_sel:DWORD
	v_cndmask_b32_e32 v4, v4, v38, vcc
; %bb.335:                              ;   in Loop: Header=BB170_43 Depth=1
	s_or_b64 exec, exec, s[0:1]
	v_lshlrev_b32_e32 v38, 16, v45
	v_mul_f32_e32 v39, v51, v38
	v_and_b32_e32 v38, 0x7f800000, v39
	v_cmp_ne_u32_e32 vcc, s14, v38
                                        ; implicit-def: $vgpr38
	s_and_saveexec_b64 s[0:1], vcc
	s_xor_b64 s[0:1], exec, s[0:1]
; %bb.336:                              ;   in Loop: Header=BB170_43 Depth=1
	v_bfe_u32 v38, v39, 16, 1
	v_add3_u32 v38, v39, v38, s15
                                        ; implicit-def: $vgpr39
; %bb.337:                              ;   in Loop: Header=BB170_43 Depth=1
	s_andn2_saveexec_b64 s[0:1], s[0:1]
; %bb.338:                              ;   in Loop: Header=BB170_43 Depth=1
	v_or_b32_e32 v38, 0x10000, v39
	v_cmp_eq_u32_sdwa vcc, v39, v24 src0_sel:WORD_0 src1_sel:DWORD
	v_cndmask_b32_e32 v38, v38, v39, vcc
; %bb.339:                              ;   in Loop: Header=BB170_43 Depth=1
	s_or_b64 exec, exec, s[0:1]
	v_lshlrev_b32_e32 v5, 16, v5
	v_mul_f32_e32 v39, v52, v5
	v_and_b32_e32 v5, 0x7f800000, v39
	v_cmp_ne_u32_e32 vcc, s14, v5
                                        ; implicit-def: $vgpr5
	s_and_saveexec_b64 s[0:1], vcc
	s_xor_b64 s[0:1], exec, s[0:1]
; %bb.340:                              ;   in Loop: Header=BB170_43 Depth=1
	v_bfe_u32 v5, v39, 16, 1
	v_add3_u32 v5, v39, v5, s15
                                        ; implicit-def: $vgpr39
; %bb.341:                              ;   in Loop: Header=BB170_43 Depth=1
	s_andn2_saveexec_b64 s[0:1], s[0:1]
; %bb.342:                              ;   in Loop: Header=BB170_43 Depth=1
	v_or_b32_e32 v5, 0x10000, v39
	v_cmp_eq_u32_sdwa vcc, v39, v24 src0_sel:WORD_0 src1_sel:DWORD
	v_cndmask_b32_e32 v5, v5, v39, vcc
; %bb.343:                              ;   in Loop: Header=BB170_43 Depth=1
	s_or_b64 exec, exec, s[0:1]
	v_lshlrev_b32_e32 v39, 16, v44
	v_mul_f32_e32 v40, v53, v39
	v_and_b32_e32 v39, 0x7f800000, v40
	v_cmp_ne_u32_e32 vcc, s14, v39
                                        ; implicit-def: $vgpr39
	s_and_saveexec_b64 s[0:1], vcc
	s_xor_b64 s[0:1], exec, s[0:1]
; %bb.344:                              ;   in Loop: Header=BB170_43 Depth=1
	v_bfe_u32 v39, v40, 16, 1
	v_add3_u32 v39, v40, v39, s15
                                        ; implicit-def: $vgpr40
; %bb.345:                              ;   in Loop: Header=BB170_43 Depth=1
	s_andn2_saveexec_b64 s[0:1], s[0:1]
	s_cbranch_execz .LBB170_42
; %bb.346:                              ;   in Loop: Header=BB170_43 Depth=1
	v_or_b32_e32 v39, 0x10000, v40
	v_cmp_eq_u32_sdwa vcc, v40, v24 src0_sel:WORD_0 src1_sel:DWORD
	v_cndmask_b32_e32 v39, v39, v40, vcc
	s_branch .LBB170_42
.LBB170_347:
	s_or_b64 exec, exec, s[4:5]
.LBB170_348:
	s_or_b64 exec, exec, s[2:3]
	ds_bpermute_b32 v2, v22, v18
	ds_bpermute_b32 v3, v22, v19
	;; [unrolled: 1-line block ×8, first 2 shown]
	s_waitcnt lgkmcnt(6)
	v_pk_add_f32 v[8:9], v[18:19], v[2:3]
	s_waitcnt lgkmcnt(4)
	v_pk_add_f32 v[2:3], v[14:15], v[6:7]
	;; [unrolled: 2-line block ×3, first 2 shown]
	v_and_b32_e32 v10, 0x3c1, v0
	s_waitcnt lgkmcnt(0)
	v_pk_add_f32 v[4:5], v[16:17], v[4:5]
	v_cmp_eq_u32_e32 vcc, 64, v10
	s_barrier
	s_and_saveexec_b64 s[0:1], vcc
	s_cbranch_execz .LBB170_350
; %bb.349:
	v_mov_b32_e32 v10, 0x210
	v_lshl_add_u32 v1, v1, 1, v10
	ds_write2_b32 v1, v8, v9 offset1:32
	ds_write2_b32 v1, v4, v5 offset0:64 offset1:96
	ds_write2_b32 v1, v2, v3 offset0:128 offset1:160
	;; [unrolled: 1-line block ×3, first 2 shown]
.LBB170_350:
	s_or_b64 exec, exec, s[0:1]
	v_cmp_gt_u32_e32 vcc, 64, v0
	s_waitcnt lgkmcnt(0)
	s_barrier
	s_and_saveexec_b64 s[2:3], vcc
	s_cbranch_execz .LBB170_361
; %bb.351:
	v_cmp_eq_u32_e64 s[0:1], 0, v23
	v_lshrrev_b32_e32 v1, 1, v0
	s_and_saveexec_b64 s[4:5], s[0:1]
	s_cbranch_execnz .LBB170_397
; %bb.352:
	s_or_b64 exec, exec, s[4:5]
	s_and_saveexec_b64 s[4:5], s[0:1]
	s_cbranch_execnz .LBB170_398
.LBB170_353:
	s_or_b64 exec, exec, s[4:5]
	s_and_saveexec_b64 s[4:5], s[0:1]
	s_cbranch_execnz .LBB170_399
.LBB170_354:
	s_or_b64 exec, exec, s[4:5]
	s_and_saveexec_b64 s[4:5], s[0:1]
	s_cbranch_execnz .LBB170_400
.LBB170_355:
	s_or_b64 exec, exec, s[4:5]
	s_and_saveexec_b64 s[4:5], s[0:1]
	s_cbranch_execnz .LBB170_401
.LBB170_356:
	s_or_b64 exec, exec, s[4:5]
	s_and_saveexec_b64 s[4:5], s[0:1]
	s_cbranch_execnz .LBB170_402
.LBB170_357:
	s_or_b64 exec, exec, s[4:5]
	s_and_saveexec_b64 s[4:5], s[0:1]
	s_cbranch_execnz .LBB170_403
.LBB170_358:
	s_or_b64 exec, exec, s[4:5]
	s_and_saveexec_b64 s[4:5], s[0:1]
	s_cbranch_execz .LBB170_360
.LBB170_359:
	v_mov_b32_e32 v10, 0x210
	v_lshl_add_u32 v1, v1, 2, v10
	ds_read_b32 v1, v1 offset:896
	s_waitcnt lgkmcnt(0)
	v_add_f32_e32 v7, v7, v1
.LBB170_360:
	s_or_b64 exec, exec, s[4:5]
.LBB170_361:
	s_or_b64 exec, exec, s[2:3]
	s_barrier
	s_and_saveexec_b64 s[0:1], vcc
	s_cbranch_execz .LBB170_396
; %bb.362:
	v_cmp_eq_u32_e32 vcc, 0, v23
	s_and_b64 exec, exec, vcc
	s_cbranch_execz .LBB170_396
; %bb.363:
	s_mov_b32 s0, 0x7f800000
	v_and_b32_e32 v1, 0x7f800000, v8
	v_cmp_ne_u32_e32 vcc, s0, v1
                                        ; implicit-def: $vgpr1
	s_and_saveexec_b64 s[0:1], vcc
	s_xor_b64 s[0:1], exec, s[0:1]
; %bb.364:
	v_bfe_u32 v1, v8, 16, 1
	s_movk_i32 s2, 0x7fff
	v_add3_u32 v1, v8, v1, s2
; %bb.365:
	s_andn2_saveexec_b64 s[0:1], s[0:1]
; %bb.366:
	v_mov_b32_e32 v1, 0
	v_or_b32_e32 v10, 0x10000, v8
	v_cmp_eq_u32_sdwa vcc, v8, v1 src0_sel:WORD_0 src1_sel:DWORD
	v_cndmask_b32_e32 v1, v10, v8, vcc
; %bb.367:
	s_or_b64 exec, exec, s[0:1]
	s_mul_i32 s0, s12, s20
	s_mul_i32 s0, s0, s21
	s_lshl_b32 s0, s0, 8
	s_ashr_i32 s1, s0, 31
	s_lshl_b64 s[0:1], s[0:1], 1
	s_add_u32 s2, s24, s0
	s_mul_i32 s0, s12, s22
	s_addc_u32 s3, s25, s1
	s_ashr_i32 s1, s0, 31
	s_lshl_b64 s[0:1], s[0:1], 1
	s_add_u32 s2, s2, s0
	s_addc_u32 s3, s3, s1
	s_lshl_b32 s0, s8, 8
	s_ashr_i32 s1, s0, 31
	s_lshl_b64 s[0:1], s[0:1], 1
	s_add_u32 s0, s2, s0
	s_addc_u32 s1, s3, s1
	v_and_b32_e32 v0, 0x3fe, v0
	v_mov_b32_e32 v8, s1
	v_add_co_u32_e32 v10, vcc, s0, v0
	v_addc_co_u32_e32 v11, vcc, 0, v8, vcc
	global_store_short_d16_hi v0, v1, s[0:1]
	s_mov_b32 s0, 0x7f800000
	v_and_b32_e32 v0, 0x7f800000, v9
	v_cmp_ne_u32_e32 vcc, s0, v0
                                        ; implicit-def: $vgpr0
	s_and_saveexec_b64 s[0:1], vcc
	s_xor_b64 s[0:1], exec, s[0:1]
; %bb.368:
	v_bfe_u32 v0, v9, 16, 1
	s_movk_i32 s2, 0x7fff
	v_add3_u32 v0, v9, v0, s2
; %bb.369:
	s_andn2_saveexec_b64 s[0:1], s[0:1]
; %bb.370:
	v_mov_b32_e32 v0, 0
	v_or_b32_e32 v1, 0x10000, v9
	v_cmp_eq_u32_sdwa vcc, v9, v0 src0_sel:WORD_0 src1_sel:DWORD
	v_cndmask_b32_e32 v0, v1, v9, vcc
; %bb.371:
	s_or_b64 exec, exec, s[0:1]
	global_store_short_d16_hi v[10:11], v0, off offset:64
	s_mov_b32 s0, 0x7f800000
	v_and_b32_e32 v0, 0x7f800000, v4
	v_cmp_ne_u32_e32 vcc, s0, v0
                                        ; implicit-def: $vgpr0
	s_and_saveexec_b64 s[0:1], vcc
	s_xor_b64 s[0:1], exec, s[0:1]
; %bb.372:
	v_bfe_u32 v0, v4, 16, 1
	s_movk_i32 s2, 0x7fff
	v_add3_u32 v0, v4, v0, s2
; %bb.373:
	s_andn2_saveexec_b64 s[0:1], s[0:1]
; %bb.374:
	v_mov_b32_e32 v0, 0
	v_or_b32_e32 v1, 0x10000, v4
	v_cmp_eq_u32_sdwa vcc, v4, v0 src0_sel:WORD_0 src1_sel:DWORD
	v_cndmask_b32_e32 v0, v1, v4, vcc
; %bb.375:
	s_or_b64 exec, exec, s[0:1]
	global_store_short_d16_hi v[10:11], v0, off offset:128
	s_mov_b32 s0, 0x7f800000
	v_and_b32_e32 v0, 0x7f800000, v5
	v_cmp_ne_u32_e32 vcc, s0, v0
                                        ; implicit-def: $vgpr0
	s_and_saveexec_b64 s[0:1], vcc
	s_xor_b64 s[0:1], exec, s[0:1]
; %bb.376:
	v_bfe_u32 v0, v5, 16, 1
	s_movk_i32 s2, 0x7fff
	v_add3_u32 v0, v5, v0, s2
; %bb.377:
	s_andn2_saveexec_b64 s[0:1], s[0:1]
; %bb.378:
	v_mov_b32_e32 v0, 0
	v_or_b32_e32 v1, 0x10000, v5
	v_cmp_eq_u32_sdwa vcc, v5, v0 src0_sel:WORD_0 src1_sel:DWORD
	v_cndmask_b32_e32 v0, v1, v5, vcc
; %bb.379:
	s_or_b64 exec, exec, s[0:1]
	global_store_short_d16_hi v[10:11], v0, off offset:192
	s_mov_b32 s0, 0x7f800000
	v_and_b32_e32 v0, 0x7f800000, v2
	v_cmp_ne_u32_e32 vcc, s0, v0
                                        ; implicit-def: $vgpr0
	s_and_saveexec_b64 s[0:1], vcc
	s_xor_b64 s[0:1], exec, s[0:1]
; %bb.380:
	v_bfe_u32 v0, v2, 16, 1
	s_movk_i32 s2, 0x7fff
	v_add3_u32 v0, v2, v0, s2
; %bb.381:
	s_andn2_saveexec_b64 s[0:1], s[0:1]
; %bb.382:
	v_mov_b32_e32 v0, 0
	v_or_b32_e32 v1, 0x10000, v2
	v_cmp_eq_u32_sdwa vcc, v2, v0 src0_sel:WORD_0 src1_sel:DWORD
	v_cndmask_b32_e32 v0, v1, v2, vcc
; %bb.383:
	s_or_b64 exec, exec, s[0:1]
	global_store_short_d16_hi v[10:11], v0, off offset:256
	s_mov_b32 s0, 0x7f800000
	v_and_b32_e32 v0, 0x7f800000, v3
	v_cmp_ne_u32_e32 vcc, s0, v0
                                        ; implicit-def: $vgpr0
	s_and_saveexec_b64 s[0:1], vcc
	s_xor_b64 s[0:1], exec, s[0:1]
; %bb.384:
	v_bfe_u32 v0, v3, 16, 1
	s_movk_i32 s2, 0x7fff
	v_add3_u32 v0, v3, v0, s2
; %bb.385:
	s_andn2_saveexec_b64 s[0:1], s[0:1]
; %bb.386:
	v_mov_b32_e32 v0, 0
	v_or_b32_e32 v1, 0x10000, v3
	v_cmp_eq_u32_sdwa vcc, v3, v0 src0_sel:WORD_0 src1_sel:DWORD
	v_cndmask_b32_e32 v0, v1, v3, vcc
; %bb.387:
	s_or_b64 exec, exec, s[0:1]
	global_store_short_d16_hi v[10:11], v0, off offset:320
	s_mov_b32 s0, 0x7f800000
	v_and_b32_e32 v0, 0x7f800000, v6
	v_cmp_ne_u32_e32 vcc, s0, v0
                                        ; implicit-def: $vgpr0
	s_and_saveexec_b64 s[0:1], vcc
	s_xor_b64 s[0:1], exec, s[0:1]
; %bb.388:
	v_bfe_u32 v0, v6, 16, 1
	s_movk_i32 s2, 0x7fff
	v_add3_u32 v0, v6, v0, s2
; %bb.389:
	s_andn2_saveexec_b64 s[0:1], s[0:1]
; %bb.390:
	v_mov_b32_e32 v0, 0
	v_or_b32_e32 v1, 0x10000, v6
	v_cmp_eq_u32_sdwa vcc, v6, v0 src0_sel:WORD_0 src1_sel:DWORD
	v_cndmask_b32_e32 v0, v1, v6, vcc
; %bb.391:
	s_or_b64 exec, exec, s[0:1]
	global_store_short_d16_hi v[10:11], v0, off offset:384
	s_mov_b32 s0, 0x7f800000
	v_and_b32_e32 v0, 0x7f800000, v7
	v_cmp_ne_u32_e32 vcc, s0, v0
                                        ; implicit-def: $vgpr8
	s_and_saveexec_b64 s[0:1], vcc
	s_xor_b64 s[0:1], exec, s[0:1]
; %bb.392:
	v_bfe_u32 v0, v7, 16, 1
	s_movk_i32 s2, 0x7fff
	v_add3_u32 v8, v7, v0, s2
                                        ; implicit-def: $vgpr0_vgpr1_vgpr2_vgpr3_vgpr4_vgpr5_vgpr6_vgpr7
; %bb.393:
	s_andn2_saveexec_b64 s[0:1], s[0:1]
; %bb.394:
	v_mov_b32_e32 v0, 0
	v_or_b32_e32 v1, 0x10000, v7
	v_cmp_eq_u32_sdwa vcc, v7, v0 src0_sel:WORD_0 src1_sel:DWORD
	v_cndmask_b32_e32 v8, v1, v7, vcc
; %bb.395:
	s_or_b64 exec, exec, s[0:1]
	global_store_short_d16_hi v[10:11], v8, off offset:448
.LBB170_396:
	s_endpgm
.LBB170_397:
	v_mov_b32_e32 v10, 0x210
	v_lshl_add_u32 v10, v1, 2, v10
	ds_read_b32 v10, v10
	s_waitcnt lgkmcnt(0)
	v_add_f32_e32 v8, v8, v10
	s_or_b64 exec, exec, s[4:5]
	s_and_saveexec_b64 s[4:5], s[0:1]
	s_cbranch_execz .LBB170_353
.LBB170_398:
	v_mov_b32_e32 v10, 0x210
	v_lshl_add_u32 v10, v1, 2, v10
	ds_read_b32 v10, v10 offset:128
	s_waitcnt lgkmcnt(0)
	v_add_f32_e32 v9, v9, v10
	s_or_b64 exec, exec, s[4:5]
	s_and_saveexec_b64 s[4:5], s[0:1]
	s_cbranch_execz .LBB170_354
.LBB170_399:
	v_mov_b32_e32 v10, 0x210
	v_lshl_add_u32 v10, v1, 2, v10
	ds_read_b32 v10, v10 offset:256
	s_waitcnt lgkmcnt(0)
	v_add_f32_e32 v4, v4, v10
	s_or_b64 exec, exec, s[4:5]
	s_and_saveexec_b64 s[4:5], s[0:1]
	s_cbranch_execz .LBB170_355
.LBB170_400:
	v_mov_b32_e32 v10, 0x210
	v_lshl_add_u32 v10, v1, 2, v10
	ds_read_b32 v10, v10 offset:384
	s_waitcnt lgkmcnt(0)
	v_add_f32_e32 v5, v5, v10
	s_or_b64 exec, exec, s[4:5]
	s_and_saveexec_b64 s[4:5], s[0:1]
	s_cbranch_execz .LBB170_356
.LBB170_401:
	v_mov_b32_e32 v10, 0x210
	v_lshl_add_u32 v10, v1, 2, v10
	ds_read_b32 v10, v10 offset:512
	s_waitcnt lgkmcnt(0)
	v_add_f32_e32 v2, v2, v10
	s_or_b64 exec, exec, s[4:5]
	s_and_saveexec_b64 s[4:5], s[0:1]
	s_cbranch_execz .LBB170_357
.LBB170_402:
	v_mov_b32_e32 v10, 0x210
	v_lshl_add_u32 v10, v1, 2, v10
	ds_read_b32 v10, v10 offset:640
	s_waitcnt lgkmcnt(0)
	v_add_f32_e32 v3, v3, v10
	s_or_b64 exec, exec, s[4:5]
	s_and_saveexec_b64 s[4:5], s[0:1]
	s_cbranch_execz .LBB170_358
.LBB170_403:
	v_mov_b32_e32 v10, 0x210
	v_lshl_add_u32 v10, v1, 2, v10
	ds_read_b32 v10, v10 offset:768
	s_waitcnt lgkmcnt(0)
	v_add_f32_e32 v6, v6, v10
	s_or_b64 exec, exec, s[4:5]
	s_and_saveexec_b64 s[4:5], s[0:1]
	s_cbranch_execnz .LBB170_359
	s_branch .LBB170_360
	.section	.rodata,"a",@progbits
	.p2align	6, 0x0
	.amdhsa_kernel _ZN4vllm25paged_attention_v2_kernelI14__hip_bfloat16S1_Li256ELi16ELi128ELNS_18Fp8KVCacheDataTypeE0ELb0ELi512EEEvPfS3_PT_PKS4_PKT0_SA_ifPKiSC_iPKfiiiSE_SE_iiiii
		.amdhsa_group_segment_fixed_size 528
		.amdhsa_private_segment_fixed_size 0
		.amdhsa_kernarg_size 400
		.amdhsa_user_sgpr_count 6
		.amdhsa_user_sgpr_private_segment_buffer 1
		.amdhsa_user_sgpr_dispatch_ptr 0
		.amdhsa_user_sgpr_queue_ptr 0
		.amdhsa_user_sgpr_kernarg_segment_ptr 1
		.amdhsa_user_sgpr_dispatch_id 0
		.amdhsa_user_sgpr_flat_scratch_init 0
		.amdhsa_user_sgpr_kernarg_preload_length 0
		.amdhsa_user_sgpr_kernarg_preload_offset 0
		.amdhsa_user_sgpr_private_segment_size 0
		.amdhsa_uses_dynamic_stack 0
		.amdhsa_system_sgpr_private_segment_wavefront_offset 0
		.amdhsa_system_sgpr_workgroup_id_x 1
		.amdhsa_system_sgpr_workgroup_id_y 1
		.amdhsa_system_sgpr_workgroup_id_z 1
		.amdhsa_system_sgpr_workgroup_info 0
		.amdhsa_system_vgpr_workitem_id 0
		.amdhsa_next_free_vgpr 116
		.amdhsa_next_free_sgpr 43
		.amdhsa_accum_offset 116
		.amdhsa_reserve_vcc 1
		.amdhsa_reserve_flat_scratch 0
		.amdhsa_float_round_mode_32 0
		.amdhsa_float_round_mode_16_64 0
		.amdhsa_float_denorm_mode_32 3
		.amdhsa_float_denorm_mode_16_64 3
		.amdhsa_dx10_clamp 1
		.amdhsa_ieee_mode 1
		.amdhsa_fp16_overflow 0
		.amdhsa_tg_split 0
		.amdhsa_exception_fp_ieee_invalid_op 0
		.amdhsa_exception_fp_denorm_src 0
		.amdhsa_exception_fp_ieee_div_zero 0
		.amdhsa_exception_fp_ieee_overflow 0
		.amdhsa_exception_fp_ieee_underflow 0
		.amdhsa_exception_fp_ieee_inexact 0
		.amdhsa_exception_int_div_zero 0
	.end_amdhsa_kernel
	.section	.text._ZN4vllm25paged_attention_v2_kernelI14__hip_bfloat16S1_Li256ELi16ELi128ELNS_18Fp8KVCacheDataTypeE0ELb0ELi512EEEvPfS3_PT_PKS4_PKT0_SA_ifPKiSC_iPKfiiiSE_SE_iiiii,"axG",@progbits,_ZN4vllm25paged_attention_v2_kernelI14__hip_bfloat16S1_Li256ELi16ELi128ELNS_18Fp8KVCacheDataTypeE0ELb0ELi512EEEvPfS3_PT_PKS4_PKT0_SA_ifPKiSC_iPKfiiiSE_SE_iiiii,comdat
.Lfunc_end170:
	.size	_ZN4vllm25paged_attention_v2_kernelI14__hip_bfloat16S1_Li256ELi16ELi128ELNS_18Fp8KVCacheDataTypeE0ELb0ELi512EEEvPfS3_PT_PKS4_PKT0_SA_ifPKiSC_iPKfiiiSE_SE_iiiii, .Lfunc_end170-_ZN4vllm25paged_attention_v2_kernelI14__hip_bfloat16S1_Li256ELi16ELi128ELNS_18Fp8KVCacheDataTypeE0ELb0ELi512EEEvPfS3_PT_PKS4_PKT0_SA_ifPKiSC_iPKfiiiSE_SE_iiiii
                                        ; -- End function
	.section	.AMDGPU.csdata,"",@progbits
; Kernel info:
; codeLenInByte = 13748
; NumSgprs: 47
; NumVgprs: 116
; NumAgprs: 0
; TotalNumVgprs: 116
; ScratchSize: 0
; MemoryBound: 0
; FloatMode: 240
; IeeeMode: 1
; LDSByteSize: 528 bytes/workgroup (compile time only)
; SGPRBlocks: 5
; VGPRBlocks: 14
; NumSGPRsForWavesPerEU: 47
; NumVGPRsForWavesPerEU: 116
; AccumOffset: 116
; Occupancy: 4
; WaveLimiterHint : 1
; COMPUTE_PGM_RSRC2:SCRATCH_EN: 0
; COMPUTE_PGM_RSRC2:USER_SGPR: 6
; COMPUTE_PGM_RSRC2:TRAP_HANDLER: 0
; COMPUTE_PGM_RSRC2:TGID_X_EN: 1
; COMPUTE_PGM_RSRC2:TGID_Y_EN: 1
; COMPUTE_PGM_RSRC2:TGID_Z_EN: 1
; COMPUTE_PGM_RSRC2:TIDIG_COMP_CNT: 0
; COMPUTE_PGM_RSRC3_GFX90A:ACCUM_OFFSET: 28
; COMPUTE_PGM_RSRC3_GFX90A:TG_SPLIT: 0
	.section	.text._ZN4vllm25paged_attention_v2_kernelI14__hip_bfloat16S1_Li32ELi32ELi128ELNS_18Fp8KVCacheDataTypeE0ELb1ELi512EEEvPfS3_PT_PKS4_PKT0_SA_ifPKiSC_iPKfiiiSE_SE_iiiii,"axG",@progbits,_ZN4vllm25paged_attention_v2_kernelI14__hip_bfloat16S1_Li32ELi32ELi128ELNS_18Fp8KVCacheDataTypeE0ELb1ELi512EEEvPfS3_PT_PKS4_PKT0_SA_ifPKiSC_iPKfiiiSE_SE_iiiii,comdat
	.protected	_ZN4vllm25paged_attention_v2_kernelI14__hip_bfloat16S1_Li32ELi32ELi128ELNS_18Fp8KVCacheDataTypeE0ELb1ELi512EEEvPfS3_PT_PKS4_PKT0_SA_ifPKiSC_iPKfiiiSE_SE_iiiii ; -- Begin function _ZN4vllm25paged_attention_v2_kernelI14__hip_bfloat16S1_Li32ELi32ELi128ELNS_18Fp8KVCacheDataTypeE0ELb1ELi512EEEvPfS3_PT_PKS4_PKT0_SA_ifPKiSC_iPKfiiiSE_SE_iiiii
	.globl	_ZN4vllm25paged_attention_v2_kernelI14__hip_bfloat16S1_Li32ELi32ELi128ELNS_18Fp8KVCacheDataTypeE0ELb1ELi512EEEvPfS3_PT_PKS4_PKT0_SA_ifPKiSC_iPKfiiiSE_SE_iiiii
	.p2align	8
	.type	_ZN4vllm25paged_attention_v2_kernelI14__hip_bfloat16S1_Li32ELi32ELi128ELNS_18Fp8KVCacheDataTypeE0ELb1ELi512EEEvPfS3_PT_PKS4_PKT0_SA_ifPKiSC_iPKfiiiSE_SE_iiiii,@function
_ZN4vllm25paged_attention_v2_kernelI14__hip_bfloat16S1_Li32ELi32ELi128ELNS_18Fp8KVCacheDataTypeE0ELb1ELi512EEEvPfS3_PT_PKS4_PKT0_SA_ifPKiSC_iPKfiiiSE_SE_iiiii: ; @_ZN4vllm25paged_attention_v2_kernelI14__hip_bfloat16S1_Li32ELi32ELi128ELNS_18Fp8KVCacheDataTypeE0ELb1ELi512EEEvPfS3_PT_PKS4_PKT0_SA_ifPKiSC_iPKfiiiSE_SE_iiiii
; %bb.0:
	s_load_dwordx2 s[0:1], s[4:5], 0x40
	s_mov_b32 s24, s7
	s_ashr_i32 s25, s7, 31
	s_lshl_b64 s[2:3], s[24:25], 2
	s_waitcnt lgkmcnt(0)
	s_add_u32 s0, s0, s2
	s_addc_u32 s1, s1, s3
	s_load_dword s33, s[0:1], 0x0
	s_lshl_b32 s9, s8, 9
	s_waitcnt lgkmcnt(0)
	s_cmp_ge_i32 s9, s33
	s_cbranch_scc1 .LBB171_172
; %bb.1:
	s_load_dword s25, s[4:5], 0x90
	s_load_dwordx2 s[38:39], s[4:5], 0x30
	s_mov_b32 s49, 0
	s_waitcnt lgkmcnt(0)
	s_abs_i32 s2, s25
	s_abs_i32 s0, s38
	v_cvt_f32_u32_e32 v1, s0
	s_sub_i32 s3, 0, s0
	s_xor_b32 s1, s25, s38
	s_ashr_i32 s1, s1, 31
	v_rcp_iflag_f32_e32 v1, v1
	v_mul_f32_e32 v1, 0x4f7ffffe, v1
	v_cvt_u32_f32_e32 v1, v1
	v_readfirstlane_b32 s7, v1
	s_mul_i32 s3, s3, s7
	s_mul_hi_u32 s3, s7, s3
	s_add_i32 s7, s7, s3
	s_mul_hi_u32 s3, s2, s7
	s_mul_i32 s7, s3, s0
	s_sub_i32 s2, s2, s7
	s_add_i32 s10, s3, 1
	s_sub_i32 s7, s2, s0
	s_cmp_ge_u32 s2, s0
	s_cselect_b32 s3, s10, s3
	s_cselect_b32 s2, s7, s2
	s_add_i32 s7, s3, 1
	s_cmp_ge_u32 s2, s0
	s_cselect_b32 s0, s7, s3
	s_xor_b32 s0, s0, s1
	s_sub_i32 s11, s0, s1
	s_abs_i32 s2, s11
	v_cvt_f32_u32_e32 v1, s2
	s_load_dwordx2 s[0:1], s[4:5], 0x50
	s_sub_i32 s7, 0, s2
	s_abs_i32 s3, s6
	v_rcp_iflag_f32_e32 v1, v1
	v_mul_f32_e32 v1, 0x4f7ffffe, v1
	v_cvt_u32_f32_e32 v1, v1
	v_readfirstlane_b32 s10, v1
	s_mul_i32 s7, s7, s10
	s_mul_hi_u32 s7, s10, s7
	s_add_i32 s10, s10, s7
	s_waitcnt lgkmcnt(0)
	s_cmp_eq_u64 s[0:1], 0
	s_mul_hi_u32 s10, s3, s10
	s_cbranch_scc1 .LBB171_3
; %bb.2:
	s_ashr_i32 s7, s6, 31
	s_lshl_b64 s[12:13], s[6:7], 2
	s_add_u32 s0, s0, s12
	s_addc_u32 s1, s1, s13
	s_load_dword s49, s[0:1], 0x0
.LBB171_3:
	s_load_dwordx4 s[12:15], s[4:5], 0x58
	s_ashr_i32 s7, s6, 31
	s_ashr_i32 s11, s11, 31
	v_and_b32_e32 v2, 1, v0
	s_lshl_b32 s26, s6, 5
	v_cmp_gt_u32_e32 vcc, 8, v0
	v_lshlrev_b32_e32 v4, 3, v0
	s_and_saveexec_b64 s[0:1], vcc
	s_cbranch_execz .LBB171_5
; %bb.4:
	s_load_dwordx2 s[16:17], s[4:5], 0x18
	s_waitcnt lgkmcnt(0)
	s_mul_i32 s18, s24, s12
	s_ashr_i32 s19, s18, 31
	s_lshl_b64 s[18:19], s[18:19], 1
	v_lshlrev_b32_e32 v1, 2, v0
	s_add_u32 s12, s16, s18
	s_addc_u32 s15, s17, s19
	s_ashr_i32 s27, s26, 31
	s_lshl_b64 s[16:17], s[26:27], 1
	s_add_u32 s16, s12, s16
	s_addc_u32 s17, s15, s17
	global_load_dwordx2 v[6:7], v4, s[16:17]
	v_and_b32_e32 v1, 0xff8, v1
	v_lshl_add_u32 v1, v2, 5, v1
	s_waitcnt vmcnt(0)
	ds_write_b64 v1, v[6:7]
.LBB171_5:
	s_or_b64 exec, exec, s[0:1]
	s_mul_i32 s1, s10, s2
	s_sub_i32 s1, s3, s1
	s_xor_b32 s0, s7, s11
	s_add_i32 s3, s10, 1
	s_sub_i32 s7, s1, s2
	s_load_dwordx4 s[16:19], s[4:5], 0x78
	s_cmp_ge_u32 s1, s2
	s_cselect_b32 s3, s3, s10
	s_load_dword s10, s[4:5], 0x88
	s_cselect_b32 s1, s7, s1
	s_add_i32 s7, s3, 1
	s_cmp_ge_u32 s1, s2
	s_cselect_b32 s1, s7, s3
	s_waitcnt lgkmcnt(0)
	s_abs_i32 s27, s19
	v_cvt_f32_u32_e32 v1, s27
	s_xor_b32 s1, s1, s0
	s_sub_i32 s2, s1, s0
	s_sub_i32 s0, 0, s27
	v_rcp_iflag_f32_e32 v1, v1
	s_add_i32 s11, s33, -1
	s_abs_i32 s3, s11
	v_mul_f32_e32 v1, 0x4f7ffffe, v1
	v_cvt_u32_f32_e32 v1, v1
	s_barrier
	v_readfirstlane_b32 s46, v1
	s_mul_i32 s0, s0, s46
	s_mul_hi_u32 s0, s46, s0
	s_add_i32 s46, s46, s0
	s_cmp_lt_i32 s10, 0
	s_mul_hi_u32 s7, s3, s46
	s_cbranch_scc0 .LBB171_7
; %bb.6:
	s_mul_i32 s0, s16, s38
	s_add_i32 s0, s2, s0
	s_mul_i32 s0, s0, s10
	s_sub_i32 s47, 1, s0
	s_mov_b64 s[0:1], 0
	s_branch .LBB171_8
.LBB171_7:
	s_mov_b64 s[0:1], -1
                                        ; implicit-def: $sgpr47
.LBB171_8:
	s_load_dwordx2 s[30:31], s[4:5], 0x38
	s_ashr_i32 s11, s11, 31
	s_andn2_b64 vcc, exec, s[0:1]
	s_ashr_i32 s19, s19, 31
	s_cbranch_vccnz .LBB171_10
; %bb.9:
	s_mul_i32 s0, s25, s16
	s_add_i32 s0, s0, s6
	s_mul_i32 s0, s0, s10
	s_add_i32 s47, s0, 1
.LBB171_10:
	s_load_dword s0, s[4:5], 0x48
	s_load_dwordx2 s[36:37], s[4:5], 0x28
	s_load_dword s12, s[4:5], 0x98
	s_load_dwordx4 s[20:23], s[4:5], 0x0
	s_load_dwordx2 s[28:29], s[4:5], 0x10
	s_mul_i32 s1, s7, s27
	s_waitcnt lgkmcnt(0)
	s_mul_i32 s34, s24, s0
	s_sub_i32 s1, s3, s1
	s_ashr_i32 s35, s34, 31
	s_xor_b32 s0, s11, s19
	s_add_i32 s3, s7, 1
	s_sub_i32 s10, s1, s27
	s_cmp_ge_u32 s1, s27
	s_cselect_b32 s3, s3, s7
	s_cselect_b32 s1, s10, s1
	s_add_i32 s7, s3, 1
	s_cmp_ge_u32 s1, s27
	s_cselect_b32 s1, s7, s3
	s_xor_b32 s1, s1, s0
	s_sub_i32 s48, s1, s0
	s_add_i32 s0, s33, 31
	s_ashr_i32 s1, s0, 31
	s_lshr_b32 s1, s1, 27
	s_add_i32 s0, s0, s1
	s_lshl_b32 s38, s8, 4
	s_ashr_i32 s7, s0, 5
	s_add_i32 s0, s38, 16
	v_lshrrev_b32_e32 v5, 6, v0
	s_min_i32 s16, s0, s7
	v_or_b32_e32 v10, s38, v5
	v_cmp_gt_i32_e64 s[0:1], s16, v10
	v_mov_b32_e32 v13, 0xff7fffff
	s_mul_i32 s14, s2, s14
	v_ashrrev_i32_e32 v11, 31, v10
	v_lshl_add_u32 v1, v5, 5, s9
	v_mbcnt_lo_u32_b32 v6, -1, 0
	s_and_saveexec_b64 s[40:41], s[0:1]
	s_cbranch_execz .LBB171_20
; %bb.11:
	s_load_dwordx2 s[2:3], s[4:5], 0x20
	s_ashr_i32 s15, s14, 31
	s_sub_i32 s50, s48, s17
	s_lshl_b64 s[4:5], s[14:15], 1
	v_bfe_u32 v7, v0, 1, 5
	s_waitcnt lgkmcnt(0)
	s_add_u32 s2, s2, s4
	s_addc_u32 s3, s3, s5
	s_abs_i32 s15, s18
	v_cvt_f32_u32_e32 v9, s15
	v_lshlrev_b32_e32 v3, 4, v7
	v_mov_b32_e32 v8, s3
	v_add_co_u32_e64 v3, s[2:3], s2, v3
	v_rcp_iflag_f32_e32 v13, v9
	v_addc_co_u32_e64 v12, s[2:3], 0, v8, s[2:3]
	v_and_b32_e32 v8, 8, v4
	v_add_co_u32_e64 v8, s[2:3], v3, v8
	v_mul_f32_e32 v3, 0x4f7ffffe, v13
	v_cvt_u32_f32_e32 v3, v3
	s_sub_i32 s4, 0, s15
	v_cmp_eq_u32_e32 vcc, 0, v2
	v_addc_co_u32_e64 v9, s[2:3], 0, v12, s[2:3]
	v_lshlrev_b32_e32 v12, 5, v2
	v_mul_lo_u32 v2, s4, v3
	s_lshl_b64 s[4:5], s[34:35], 2
	v_mul_hi_u32 v2, v3, v2
	s_add_u32 s4, s30, s4
	v_add_u32_e32 v14, v3, v2
	v_lshlrev_b64 v[2:3], 2, v[10:11]
	s_addc_u32 s5, s31, s5
	v_mov_b32_e32 v13, s5
	v_add_co_u32_e64 v2, s[4:5], s4, v2
	v_addc_co_u32_e64 v3, s[4:5], v13, v3, s[4:5]
	v_lshlrev_b32_e32 v13, 2, v7
	v_lshl_or_b32 v13, v5, 7, v13
	v_add_u32_e32 v16, 0x50, v13
	v_subrev_u32_e32 v13, s33, v7
	v_mbcnt_hi_u32_b32 v19, -1, v6
	v_add_u32_e32 v17, 1, v13
	v_and_b32_e32 v13, 64, v19
	s_mov_b32 s51, s13
	v_cmp_neq_f32_e64 s[2:3], s49, 0
	v_lshl_add_u32 v15, v5, 5, s9
	s_mov_b64 s[42:43], 0
	v_mov_b32_e32 v18, 0xff7fffff
	v_xor_b32_e32 v20, 1, v19
	v_add_u32_e32 v21, 64, v13
	v_mov_b32_e32 v13, 0xff7fffff
	v_mov_b32_e32 v22, v10
	s_branch .LBB171_14
.LBB171_12:                             ;   in Loop: Header=BB171_14 Depth=1
	s_or_b64 exec, exec, s[44:45]
.LBB171_13:                             ;   in Loop: Header=BB171_14 Depth=1
	s_or_b64 exec, exec, s[10:11]
	v_add_co_u32_e64 v2, s[4:5], 8, v2
	v_add_u32_e32 v22, 2, v22
	v_addc_co_u32_e64 v3, s[4:5], 0, v3, s[4:5]
	v_cmp_le_i32_e64 s[4:5], s16, v22
	v_add_u32_e32 v15, 64, v15
	s_or_b64 s[42:43], s[4:5], s[42:43]
	v_add_u32_e32 v16, 0x100, v16
	s_andn2_b64 exec, exec, s[42:43]
	s_cbranch_execz .LBB171_19
.LBB171_14:                             ; =>This Inner Loop Header: Depth=1
	s_waitcnt lgkmcnt(0)
	v_sub_u32_e32 v24, 0, v15
	v_max_i32_e32 v24, v15, v24
	v_mul_hi_u32 v25, v24, s46
	v_mul_lo_u32 v26, v25, s27
	v_sub_u32_e32 v24, v24, v26
	v_add_u32_e32 v26, 1, v25
	v_cmp_le_u32_e64 s[4:5], s27, v24
	v_cndmask_b32_e64 v25, v25, v26, s[4:5]
	v_subrev_u32_e32 v26, s27, v24
	v_cndmask_b32_e64 v24, v24, v26, s[4:5]
	v_ashrrev_i32_e32 v23, 31, v15
	v_add_u32_e32 v26, 1, v25
	v_cmp_le_u32_e64 s[4:5], s27, v24
	v_xor_b32_e32 v23, s19, v23
	v_cndmask_b32_e64 v24, v25, v26, s[4:5]
	v_xor_b32_e32 v24, v24, v23
	v_sub_u32_e32 v23, v24, v23
	v_add_u32_e32 v24, s47, v23
	v_sub_u32_e32 v26, 0, v24
	v_ashrrev_i32_e32 v25, 31, v24
	v_max_i32_e32 v24, v24, v26
	v_mul_hi_u32 v26, v24, v14
	v_mul_lo_u32 v26, v26, s15
	v_sub_u32_e32 v24, v24, v26
	v_subrev_u32_e32 v26, s15, v24
	v_cmp_le_u32_e64 s[4:5], s15, v24
	v_cndmask_b32_e64 v24, v24, v26, s[4:5]
	v_subrev_u32_e32 v26, s15, v24
	v_cmp_le_u32_e64 s[4:5], s15, v24
	v_cndmask_b32_e64 v24, v24, v26, s[4:5]
	v_xor_b32_e32 v24, v24, v25
	v_sub_u32_e32 v24, v24, v25
	v_cmp_ne_u32_e64 s[4:5], 0, v24
	v_cmp_ge_i32_e64 s[10:11], s50, v23
	s_and_b64 s[4:5], s[4:5], s[10:11]
	s_and_b64 s[44:45], vcc, s[4:5]
	s_and_saveexec_b64 s[10:11], s[44:45]
	s_cbranch_execz .LBB171_16
; %bb.15:                               ;   in Loop: Header=BB171_14 Depth=1
	ds_write_b32 v16, v18
.LBB171_16:                             ;   in Loop: Header=BB171_14 Depth=1
	s_or_b64 exec, exec, s[10:11]
	s_xor_b64 s[4:5], s[4:5], -1
	s_and_saveexec_b64 s[10:11], s[4:5]
	s_cbranch_execz .LBB171_13
; %bb.17:                               ;   in Loop: Header=BB171_14 Depth=1
	global_load_dword v23, v[2:3], off
	s_waitcnt vmcnt(0)
	v_mad_i64_i32 v[24:25], s[4:5], v23, s51, 0
	v_lshlrev_b64 v[24:25], 1, v[24:25]
	v_add_co_u32_e64 v24, s[4:5], v8, v24
	v_addc_co_u32_e64 v25, s[4:5], v9, v25, s[4:5]
	global_load_dwordx2 v[32:33], v[24:25], off
	global_load_dwordx2 v[34:35], v[24:25], off offset:512
	global_load_dwordx2 v[36:37], v[24:25], off offset:1024
	;; [unrolled: 1-line block ×3, first 2 shown]
	ds_read_b128 v[24:27], v12
	ds_read_b128 v[28:31], v12 offset:16
	v_cmp_lt_i32_e64 s[4:5], v20, v21
	v_cndmask_b32_e64 v23, v19, v20, s[4:5]
	v_lshlrev_b32_e32 v40, 2, v23
	s_waitcnt lgkmcnt(1)
	v_lshlrev_b32_e32 v42, 16, v26
	v_and_b32_e32 v26, 0xffff0000, v26
	v_lshlrev_b32_e32 v23, 16, v24
	v_lshlrev_b32_e32 v43, 16, v27
	v_and_b32_e32 v24, 0xffff0000, v24
	v_lshlrev_b32_e32 v41, 16, v25
	s_waitcnt lgkmcnt(0)
	v_lshlrev_b32_e32 v44, 16, v28
	v_and_b32_e32 v27, 0xffff0000, v27
	v_and_b32_e32 v28, 0xffff0000, v28
	v_lshlrev_b32_e32 v45, 16, v29
	v_lshlrev_b32_e32 v46, 16, v30
	v_and_b32_e32 v25, 0xffff0000, v25
	v_and_b32_e32 v30, 0xffff0000, v30
	v_lshlrev_b32_e32 v47, 16, v31
	v_and_b32_e32 v29, 0xffff0000, v29
	v_and_b32_e32 v31, 0xffff0000, v31
	s_waitcnt vmcnt(3)
	v_lshlrev_b32_e32 v48, 16, v32
	s_waitcnt vmcnt(2)
	v_lshlrev_b32_e32 v50, 16, v34
	v_and_b32_e32 v34, 0xffff0000, v34
	v_and_b32_e32 v32, 0xffff0000, v32
	v_lshlrev_b32_e32 v51, 16, v35
	v_mul_f32_e32 v42, v42, v50
	v_mul_f32_e32 v26, v26, v34
	v_lshlrev_b32_e32 v49, 16, v33
	v_and_b32_e32 v35, 0xffff0000, v35
	s_waitcnt vmcnt(1)
	v_lshlrev_b32_e32 v52, 16, v36
	v_and_b32_e32 v36, 0xffff0000, v36
	v_mul_f32_e32 v34, v43, v51
	v_fmac_f32_e32 v42, v23, v48
	v_fmac_f32_e32 v26, v24, v32
	v_and_b32_e32 v33, 0xffff0000, v33
	v_lshlrev_b32_e32 v53, 16, v37
	s_waitcnt vmcnt(0)
	v_lshlrev_b32_e32 v54, 16, v38
	v_and_b32_e32 v38, 0xffff0000, v38
	v_mul_f32_e32 v27, v27, v35
	v_fmac_f32_e32 v34, v41, v49
	v_fmac_f32_e32 v42, v44, v52
	;; [unrolled: 1-line block ×3, first 2 shown]
	v_and_b32_e32 v37, 0xffff0000, v37
	v_lshlrev_b32_e32 v55, 16, v39
	v_fmac_f32_e32 v27, v25, v33
	v_fmac_f32_e32 v34, v45, v53
	;; [unrolled: 1-line block ×4, first 2 shown]
	v_and_b32_e32 v39, 0xffff0000, v39
	v_fmac_f32_e32 v27, v29, v37
	v_fmac_f32_e32 v34, v47, v55
	v_add_f32_e32 v23, v42, v26
	v_fmac_f32_e32 v27, v31, v39
	v_add_f32_e32 v23, v23, v34
	v_add_f32_e32 v23, v27, v23
	ds_bpermute_b32 v24, v40, v23
	s_and_saveexec_b64 s[44:45], vcc
	s_cbranch_execz .LBB171_12
; %bb.18:                               ;   in Loop: Header=BB171_14 Depth=1
	v_add_u32_e32 v25, v17, v15
	v_cvt_f32_i32_e32 v25, v25
	s_waitcnt lgkmcnt(0)
	v_add_f32_e32 v23, v23, v24
	v_add_u32_e32 v26, v7, v15
	v_cmp_gt_i32_e64 s[4:5], s33, v26
	v_mul_f32_e32 v24, s49, v25
	v_cndmask_b32_e64 v24, 0, v24, s[2:3]
	v_fmac_f32_e32 v24, s39, v23
	v_cndmask_b32_e64 v23, 0, v24, s[4:5]
	ds_write_b32 v16, v23
	v_max_f32_e32 v23, v13, v13
	v_max_f32_e32 v23, v23, v24
	v_cndmask_b32_e64 v13, v13, v23, s[4:5]
	s_branch .LBB171_12
.LBB171_19:
	s_or_b64 exec, exec, s[42:43]
.LBB171_20:
	s_or_b64 exec, exec, s[40:41]
	v_mbcnt_hi_u32_b32 v6, -1, v6
	v_and_b32_e32 v2, 64, v6
	v_add_u32_e32 v14, 64, v2
	v_xor_b32_e32 v2, 32, v6
	v_cmp_lt_i32_e32 vcc, v2, v14
	v_cndmask_b32_e32 v2, v6, v2, vcc
	v_lshlrev_b32_e32 v2, 2, v2
	ds_bpermute_b32 v3, v2, v13
	v_xor_b32_e32 v8, 16, v6
	v_max_f32_e32 v7, v13, v13
	v_cmp_lt_i32_e32 vcc, v8, v14
	v_xor_b32_e32 v9, 8, v6
	s_waitcnt lgkmcnt(0)
	v_max_f32_e32 v3, v3, v3
	v_max_f32_e32 v7, v7, v3
	v_cndmask_b32_e32 v3, v6, v8, vcc
	v_lshlrev_b32_e32 v3, 2, v3
	ds_bpermute_b32 v8, v3, v7
	v_cmp_lt_i32_e32 vcc, v9, v14
	v_xor_b32_e32 v12, 4, v6
	v_xor_b32_e32 v13, 2, v6
	v_and_b32_e32 v16, 63, v0
	s_waitcnt lgkmcnt(0)
	v_max_f32_e32 v8, v8, v8
	v_max_f32_e32 v8, v7, v8
	v_cndmask_b32_e32 v7, v6, v9, vcc
	v_lshlrev_b32_e32 v7, 2, v7
	ds_bpermute_b32 v9, v7, v8
	v_cmp_lt_i32_e32 vcc, v12, v14
	s_waitcnt lgkmcnt(0)
	v_max_f32_e32 v9, v9, v9
	v_max_f32_e32 v9, v8, v9
	v_cndmask_b32_e32 v8, v6, v12, vcc
	v_lshlrev_b32_e32 v8, 2, v8
	ds_bpermute_b32 v12, v8, v9
	v_cmp_lt_i32_e32 vcc, v13, v14
	s_waitcnt lgkmcnt(0)
	v_max_f32_e32 v12, v12, v12
	v_max_f32_e32 v12, v9, v12
	v_cndmask_b32_e32 v9, v6, v13, vcc
	v_lshlrev_b32_e32 v17, 2, v9
	ds_bpermute_b32 v13, v17, v12
	v_cmp_eq_u32_e32 vcc, 0, v16
	v_lshlrev_b32_e32 v9, 2, v5
	s_and_saveexec_b64 s[2:3], vcc
	s_cbranch_execz .LBB171_22
; %bb.21:
	s_waitcnt lgkmcnt(0)
	v_max_f32_e32 v13, v13, v13
	v_max_f32_e32 v12, v12, v12
	;; [unrolled: 1-line block ×3, first 2 shown]
	ds_write_b32 v9, v12 offset:64
.LBB171_22:
	s_or_b64 exec, exec, s[2:3]
	v_cmp_gt_u32_e64 s[2:3], 2, v16
	s_waitcnt lgkmcnt(0)
	v_mov_b32_e32 v13, 0xff7fffff
	v_lshlrev_b32_e32 v12, 2, v16
	s_barrier
	s_and_saveexec_b64 s[4:5], s[2:3]
	s_cbranch_execz .LBB171_24
; %bb.23:
	ds_read_b32 v13, v12 offset:64
.LBB171_24:
	s_or_b64 exec, exec, s[4:5]
	v_xor_b32_e32 v15, 1, v6
	v_cmp_lt_i32_e64 s[4:5], v15, v14
	v_cndmask_b32_e64 v14, v6, v15, s[4:5]
	v_lshlrev_b32_e32 v18, 2, v14
	s_waitcnt lgkmcnt(0)
	ds_bpermute_b32 v14, v18, v13
	v_max_f32_e32 v13, v13, v13
	v_lshlrev_b32_e32 v6, 2, v6
	s_sub_i32 s4, s16, s38
	s_lshl_b32 s4, s4, 5
	s_waitcnt lgkmcnt(0)
	v_max_f32_e32 v14, v14, v14
	v_max_f32_e32 v14, v13, v14
	v_and_b32_e32 v13, 0x100, v6
	ds_bpermute_b32 v6, v13, v14
	s_add_i32 s4, s4, s9
	s_min_i32 s42, s4, s33
	s_sub_i32 s15, s42, s9
	v_cmp_gt_i32_e64 s[4:5], s15, v0
	v_mov_b32_e32 v14, 0
	s_and_saveexec_b64 s[38:39], s[4:5]
	s_cbranch_execz .LBB171_28
; %bb.25:
	v_mov_b32_e32 v14, 0x50
	v_lshl_add_u32 v15, v0, 2, v14
	s_mov_b64 s[40:41], 0
	v_mov_b32_e32 v14, 0
	v_mov_b32_e32 v19, v0
.LBB171_26:                             ; =>This Inner Loop Header: Depth=1
	ds_read_b32 v20, v15
	v_add_u32_e32 v19, 0x80, v19
	v_cmp_le_i32_e64 s[10:11], s15, v19
	s_or_b64 s[40:41], s[10:11], s[40:41]
	s_waitcnt lgkmcnt(0)
	v_sub_f32_e32 v20, v20, v6
	v_mul_f32_e32 v20, 0x3fb8aa3b, v20
	v_exp_f32_e32 v20, v20
	ds_write_b32 v15, v20
	v_add_f32_e32 v14, v14, v20
	v_add_u32_e32 v15, 0x200, v15
	s_andn2_b64 exec, exec, s[40:41]
	s_cbranch_execnz .LBB171_26
; %bb.27:
	s_or_b64 exec, exec, s[40:41]
.LBB171_28:
	s_or_b64 exec, exec, s[38:39]
	ds_bpermute_b32 v2, v2, v14
	s_waitcnt lgkmcnt(0)
	v_add_f32_e32 v2, v14, v2
	ds_bpermute_b32 v3, v3, v2
	s_waitcnt lgkmcnt(0)
	v_add_f32_e32 v2, v2, v3
	;; [unrolled: 3-line block ×6, first 2 shown]
	s_and_saveexec_b64 s[10:11], vcc
	s_cbranch_execz .LBB171_30
; %bb.29:
	ds_write_b32 v9, v2 offset:72
.LBB171_30:
	s_or_b64 exec, exec, s[10:11]
	s_waitcnt lgkmcnt(0)
	s_barrier
	s_and_saveexec_b64 s[10:11], s[2:3]
	s_cbranch_execz .LBB171_32
; %bb.31:
	ds_read_b32 v2, v12 offset:72
.LBB171_32:
	s_or_b64 exec, exec, s[10:11]
	s_waitcnt lgkmcnt(0)
	ds_bpermute_b32 v3, v18, v2
	s_waitcnt lgkmcnt(0)
	v_add_f32_e32 v2, v2, v3
	ds_bpermute_b32 v7, v13, v2
	s_and_saveexec_b64 s[2:3], s[4:5]
	s_cbranch_execz .LBB171_45
; %bb.33:
	s_waitcnt lgkmcnt(0)
	v_add_f32_e32 v2, 0x358637bd, v7
	v_div_scale_f32 v3, s[4:5], v2, v2, 1.0
	v_rcp_f32_e32 v8, v3
	v_div_scale_f32 v9, vcc, 1.0, v2, 1.0
	s_movk_i32 s4, 0x7f
	v_fma_f32 v12, -v3, v8, 1.0
	v_fmac_f32_e32 v8, v12, v8
	v_mul_f32_e32 v12, v9, v8
	v_fma_f32 v13, -v3, v12, v9
	v_fmac_f32_e32 v12, v13, v8
	v_fma_f32 v3, -v3, v12, v9
	v_div_fmas_f32 v3, v3, v8, v12
	v_div_fixup_f32 v2, v3, v2, 1.0
	v_xad_u32 v3, v0, -1, s42
	v_subrev_u32_e32 v8, s9, v3
	v_cmp_lt_u32_e32 vcc, s4, v8
	s_mov_b64 s[10:11], -1
	v_mov_b32_e32 v3, v0
	s_and_saveexec_b64 s[4:5], vcc
	s_cbranch_execz .LBB171_42
; %bb.34:
	v_lshrrev_b32_e32 v8, 7, v8
	v_add_u32_e32 v12, -1, v8
	v_lshrrev_b32_e32 v9, 1, v12
	v_mov_b32_e32 v3, v2
	v_add_u32_e32 v9, 1, v9
	v_cmp_lt_u32_e32 vcc, 13, v12
	v_mov_b32_e32 v14, 0
	s_and_saveexec_b64 s[10:11], vcc
	s_cbranch_execz .LBB171_38
; %bb.35:
	v_mov_b32_e32 v13, 0x50
	v_and_b32_e32 v12, -8, v9
	v_lshl_add_u32 v13, v0, 2, v13
	s_mov_b32 s9, 0
	s_mov_b64 s[38:39], 0
.LBB171_36:                             ; =>This Inner Loop Header: Depth=1
	ds_read2st64_b32 v[14:15], v13 offset1:2
	ds_read2st64_b32 v[20:21], v13 offset0:4 offset1:6
	ds_read2st64_b32 v[22:23], v13 offset0:8 offset1:10
	;; [unrolled: 1-line block ×3, first 2 shown]
	v_add_u32_e32 v12, -8, v12
	s_waitcnt lgkmcnt(3)
	v_pk_mul_f32 v[14:15], v[2:3], v[14:15]
	s_waitcnt lgkmcnt(2)
	v_pk_mul_f32 v[20:21], v[2:3], v[20:21]
	ds_write2st64_b32 v13, v14, v15 offset1:2
	ds_write2st64_b32 v13, v20, v21 offset0:4 offset1:6
	ds_read2st64_b32 v[20:21], v13 offset0:16 offset1:18
	s_waitcnt lgkmcnt(4)
	v_pk_mul_f32 v[14:15], v[2:3], v[22:23]
	ds_write2st64_b32 v13, v14, v15 offset0:8 offset1:10
	s_waitcnt lgkmcnt(4)
	v_pk_mul_f32 v[14:15], v[2:3], v[24:25]
	ds_write2st64_b32 v13, v14, v15 offset0:12 offset1:14
	ds_read2st64_b32 v[14:15], v13 offset0:20 offset1:22
	s_waitcnt lgkmcnt(3)
	v_pk_mul_f32 v[20:21], v[2:3], v[20:21]
	ds_read2st64_b32 v[22:23], v13 offset0:24 offset1:26
	ds_write2st64_b32 v13, v20, v21 offset0:16 offset1:18
	ds_read2st64_b32 v[20:21], v13 offset0:28 offset1:30
	s_waitcnt lgkmcnt(3)
	v_pk_mul_f32 v[14:15], v[2:3], v[14:15]
	ds_write2st64_b32 v13, v14, v15 offset0:20 offset1:22
	s_waitcnt lgkmcnt(3)
	v_pk_mul_f32 v[14:15], v[2:3], v[22:23]
	ds_write2st64_b32 v13, v14, v15 offset0:24 offset1:26
	s_waitcnt lgkmcnt(2)
	v_pk_mul_f32 v[14:15], v[2:3], v[20:21]
	s_add_i32 s9, s9, 16
	v_cmp_eq_u32_e32 vcc, 0, v12
	ds_write2st64_b32 v13, v14, v15 offset0:28 offset1:30
	v_add_u32_e32 v13, 0x2000, v13
	s_or_b64 s[38:39], vcc, s[38:39]
	v_mov_b32_e32 v14, s9
	s_andn2_b64 exec, exec, s[38:39]
	s_cbranch_execnz .LBB171_36
; %bb.37:
	s_or_b64 exec, exec, s[38:39]
.LBB171_38:
	s_or_b64 exec, exec, s[10:11]
	v_and_b32_e32 v9, 7, v9
	v_cmp_ne_u32_e32 vcc, 0, v9
	s_and_saveexec_b64 s[10:11], vcc
	s_cbranch_execz .LBB171_41
; %bb.39:
	v_lshlrev_b32_e32 v12, 9, v14
	v_lshlrev_b32_e32 v13, 2, v0
	s_movk_i32 s9, 0x50
	v_add3_u32 v12, v12, v13, s9
	s_mov_b64 s[38:39], 0
.LBB171_40:                             ; =>This Inner Loop Header: Depth=1
	ds_read2st64_b32 v[14:15], v12 offset1:2
	v_add_u32_e32 v9, -1, v9
	v_cmp_eq_u32_e32 vcc, 0, v9
	s_or_b64 s[38:39], vcc, s[38:39]
	s_waitcnt lgkmcnt(0)
	v_pk_mul_f32 v[14:15], v[2:3], v[14:15]
	ds_write2st64_b32 v12, v14, v15 offset1:2
	v_add_u32_e32 v12, 0x400, v12
	s_andn2_b64 exec, exec, s[38:39]
	s_cbranch_execnz .LBB171_40
.LBB171_41:
	s_or_b64 exec, exec, s[10:11]
	v_add_u32_e32 v8, 1, v8
	v_and_b32_e32 v9, 0x3fffffe, v8
	v_cmp_ne_u32_e32 vcc, v8, v9
	v_lshl_add_u32 v3, v9, 7, v0
	s_orn2_b64 s[10:11], vcc, exec
.LBB171_42:
	s_or_b64 exec, exec, s[4:5]
	s_and_b64 exec, exec, s[10:11]
	s_cbranch_execz .LBB171_45
; %bb.43:
	v_mov_b32_e32 v8, 0x50
	v_lshl_add_u32 v8, v3, 2, v8
	s_mov_b64 s[4:5], 0
.LBB171_44:                             ; =>This Inner Loop Header: Depth=1
	ds_read_b32 v9, v8
	v_add_u32_e32 v3, 0x80, v3
	v_cmp_le_i32_e32 vcc, s15, v3
	s_or_b64 s[4:5], vcc, s[4:5]
	s_waitcnt lgkmcnt(0)
	v_mul_f32_e32 v9, v2, v9
	ds_write_b32 v8, v9
	v_add_u32_e32 v8, 0x200, v8
	s_andn2_b64 exec, exec, s[4:5]
	s_cbranch_execnz .LBB171_44
.LBB171_45:
	s_or_b64 exec, exec, s[2:3]
	v_cmp_eq_u32_e32 vcc, 0, v0
	s_waitcnt lgkmcnt(0)
	s_barrier
	s_and_saveexec_b64 s[2:3], vcc
	s_cbranch_execz .LBB171_47
; %bb.46:
	s_mul_i32 s4, s12, s24
	s_mul_i32 s4, s4, s25
	s_ashr_i32 s5, s4, 31
	s_lshl_b64 s[4:5], s[4:5], 2
	s_add_u32 s9, s22, s4
	s_mul_i32 s10, s12, s6
	s_addc_u32 s15, s23, s5
	s_ashr_i32 s11, s10, 31
	s_lshl_b64 s[10:11], s[10:11], 2
	s_add_u32 s6, s9, s10
	s_addc_u32 s15, s15, s11
	s_ashr_i32 s9, s8, 31
	s_lshl_b64 s[22:23], s[8:9], 2
	s_add_u32 s38, s6, s22
	s_addc_u32 s39, s15, s23
	s_add_u32 s4, s20, s4
	s_addc_u32 s5, s21, s5
	;; [unrolled: 2-line block ×3, first 2 shown]
	s_add_u32 s4, s4, s22
	v_mov_b32_e32 v2, 0
	s_addc_u32 s5, s5, s23
	global_store_dword v2, v6, s[38:39]
	global_store_dword v2, v7, s[4:5]
.LBB171_47:
	s_or_b64 exec, exec, s[2:3]
	v_mov_b32_e32 v13, 0
	v_and_b32_e32 v19, 3, v0
	v_mov_b32_e32 v12, v13
	s_and_saveexec_b64 s[2:3], s[0:1]
	s_cbranch_execz .LBB171_153
; %bb.48:
	s_ashr_i32 s15, s14, 31
	s_sub_i32 s9, s48, s17
	s_lshl_b64 s[0:1], s[14:15], 1
	s_add_u32 s0, s36, s0
	s_addc_u32 s1, s37, s1
	s_abs_i32 s14, s18
	v_cvt_f32_u32_e32 v2, s14
	v_lshlrev_b32_e32 v3, 4, v0
	s_sub_i32 s4, 0, s14
	v_and_b32_e32 v3, 0x3f0, v3
	v_rcp_iflag_f32_e32 v2, v2
	v_and_b32_e32 v20, 24, v4
	s_add_i32 s15, s7, -1
	v_mov_b32_e32 v4, s1
	v_mul_f32_e32 v2, 0x4f7ffffe, v2
	v_cvt_u32_f32_e32 v2, v2
	v_add_co_u32_e32 v22, vcc, s0, v3
	s_lshl_b64 s[0:1], s[34:35], 2
	v_mul_lo_u32 v6, s4, v2
	v_mul_hi_u32 v6, v2, v6
	v_add_u32_e32 v21, v2, v6
	v_addc_co_u32_e32 v23, vcc, 0, v4, vcc
	v_lshlrev_b64 v[2:3], 2, v[10:11]
	s_add_u32 s0, s30, s0
	s_addc_u32 s1, s31, s1
	v_add_co_u32_e32 v14, vcc, s0, v2
	v_lshlrev_b32_e32 v2, 5, v19
	v_mov_b32_e32 v4, s1
	v_lshl_or_b32 v2, v5, 7, v2
	v_mov_b32_e32 v24, 0
	v_addc_co_u32_e32 v15, vcc, v4, v3, vcc
	v_add_u32_e32 v11, 0x50, v2
	s_mov_b64 s[4:5], 0
	s_mov_b32 s17, 0x7f800000
	s_movk_i32 s18, 0x7fff
	v_mov_b32_e32 v12, 0
	v_mov_b32_e32 v13, v24
	s_branch .LBB171_51
.LBB171_49:                             ;   in Loop: Header=BB171_51 Depth=1
	s_or_b64 exec, exec, s[0:1]
	v_and_b32_e32 v32, 0xffff0000, v28
	v_and_b32_e32 v28, 0xffff0000, v27
	;; [unrolled: 1-line block ×6, first 2 shown]
	v_pk_add_f32 v[8:9], v[8:9], v[26:27]
	v_and_b32_e32 v33, 0xffff0000, v38
	v_and_b32_e32 v29, 0xffff0000, v29
	v_mov_b32_e32 v26, v9
	v_pk_add_f32 v[8:9], v[8:9], v[26:27]
	v_pk_add_f32 v[26:27], v[28:29], v[32:33]
	v_and_b32_e32 v29, 0xffff0000, v30
	v_and_b32_e32 v28, 0xffff0000, v7
	;; [unrolled: 1-line block ×4, first 2 shown]
	v_pk_add_f32 v[8:9], v[8:9], v[26:27]
	v_mov_b32_e32 v26, v27
	v_pk_add_f32 v[2:3], v[2:3], v[28:29]
	v_pk_add_f32 v[8:9], v[8:9], v[26:27]
	v_and_b32_e32 v27, 0xffff0000, v6
	v_and_b32_e32 v26, 0xffff0000, v31
	;; [unrolled: 1-line block ×4, first 2 shown]
	v_mov_b32_e32 v6, v3
	v_pk_add_f32 v[2:3], v[2:3], v[6:7]
	v_pk_add_f32 v[4:5], v[4:5], v[26:27]
	;; [unrolled: 1-line block ×3, first 2 shown]
	v_mov_b32_e32 v4, v5
	v_pk_add_f32 v[2:3], v[2:3], v[4:5]
	v_mov_b32_e32 v3, v2
	v_pk_add_f32 v[8:9], v[12:13], v[8:9]
	v_pk_add_f32 v[2:3], v[12:13], v[2:3]
	v_mov_b32_e32 v9, v3
	v_pk_mov_b32 v[12:13], v[8:9], v[8:9] op_sel:[0,1]
.LBB171_50:                             ;   in Loop: Header=BB171_51 Depth=1
	s_or_b64 exec, exec, s[6:7]
	v_add_co_u32_e32 v14, vcc, 8, v14
	v_add_u32_e32 v10, 2, v10
	v_addc_co_u32_e32 v15, vcc, 0, v15, vcc
	v_cmp_le_i32_e32 vcc, s16, v10
	v_add_u32_e32 v1, 64, v1
	s_or_b64 s[4:5], vcc, s[4:5]
	v_add_u32_e32 v11, 0x100, v11
	s_andn2_b64 exec, exec, s[4:5]
	s_cbranch_execz .LBB171_152
.LBB171_51:                             ; =>This Inner Loop Header: Depth=1
	v_sub_u32_e32 v3, 0, v1
	v_max_i32_e32 v3, v1, v3
	v_mul_hi_u32 v4, v3, s46
	v_mul_lo_u32 v5, v4, s27
	v_sub_u32_e32 v3, v3, v5
	v_add_u32_e32 v5, 1, v4
	v_cmp_le_u32_e32 vcc, s27, v3
	v_cndmask_b32_e32 v4, v4, v5, vcc
	v_subrev_u32_e32 v5, s27, v3
	v_cndmask_b32_e32 v3, v3, v5, vcc
	v_ashrrev_i32_e32 v2, 31, v1
	v_add_u32_e32 v5, 1, v4
	v_cmp_le_u32_e32 vcc, s27, v3
	v_xor_b32_e32 v2, s19, v2
	v_cndmask_b32_e32 v3, v4, v5, vcc
	v_xor_b32_e32 v3, v3, v2
	v_sub_u32_e32 v2, v3, v2
	v_add_u32_e32 v3, s47, v2
	v_sub_u32_e32 v5, 0, v3
	v_ashrrev_i32_e32 v4, 31, v3
	v_max_i32_e32 v3, v3, v5
	v_mul_hi_u32 v5, v3, v21
	v_mul_lo_u32 v5, v5, s14
	v_sub_u32_e32 v3, v3, v5
	v_subrev_u32_e32 v5, s14, v3
	v_cmp_le_u32_e32 vcc, s14, v3
	v_cndmask_b32_e32 v3, v3, v5, vcc
	v_subrev_u32_e32 v5, s14, v3
	v_cmp_le_u32_e32 vcc, s14, v3
	v_cndmask_b32_e32 v3, v3, v5, vcc
	v_xor_b32_e32 v3, v3, v4
	v_sub_u32_e32 v3, v3, v4
	v_cmp_eq_u32_e32 vcc, 0, v3
	v_cmp_lt_i32_e64 s[0:1], s9, v2
	s_or_b64 s[0:1], vcc, s[0:1]
	s_and_saveexec_b64 s[6:7], s[0:1]
	s_cbranch_execz .LBB171_50
; %bb.52:                               ;   in Loop: Header=BB171_51 Depth=1
	global_load_dword v30, v[14:15], off
	ds_read2_b64 v[6:9], v11 offset1:1
	ds_read2_b64 v[2:5], v11 offset0:2 offset1:3
                                        ; implicit-def: $vgpr39
	s_waitcnt lgkmcnt(1)
	v_and_b32_e32 v25, 0x7f800000, v6
	v_cmp_ne_u32_e32 vcc, s17, v25
	s_and_saveexec_b64 s[0:1], vcc
	s_xor_b64 s[0:1], exec, s[0:1]
; %bb.53:                               ;   in Loop: Header=BB171_51 Depth=1
	v_bfe_u32 v25, v6, 16, 1
	v_add3_u32 v39, v6, v25, s18
; %bb.54:                               ;   in Loop: Header=BB171_51 Depth=1
	s_andn2_saveexec_b64 s[0:1], s[0:1]
; %bb.55:                               ;   in Loop: Header=BB171_51 Depth=1
	v_or_b32_e32 v25, 0x10000, v6
	v_cmp_eq_u32_sdwa vcc, v6, v24 src0_sel:WORD_0 src1_sel:DWORD
	v_cndmask_b32_e32 v39, v25, v6, vcc
; %bb.56:                               ;   in Loop: Header=BB171_51 Depth=1
	s_or_b64 exec, exec, s[0:1]
	v_and_b32_e32 v6, 0x7f800000, v7
	v_cmp_ne_u32_e32 vcc, s17, v6
                                        ; implicit-def: $vgpr40
	s_and_saveexec_b64 s[0:1], vcc
	s_xor_b64 s[0:1], exec, s[0:1]
; %bb.57:                               ;   in Loop: Header=BB171_51 Depth=1
	v_bfe_u32 v6, v7, 16, 1
	v_add3_u32 v40, v7, v6, s18
; %bb.58:                               ;   in Loop: Header=BB171_51 Depth=1
	s_andn2_saveexec_b64 s[0:1], s[0:1]
; %bb.59:                               ;   in Loop: Header=BB171_51 Depth=1
	v_or_b32_e32 v6, 0x10000, v7
	v_cmp_eq_u32_sdwa vcc, v7, v24 src0_sel:WORD_0 src1_sel:DWORD
	v_cndmask_b32_e32 v40, v6, v7, vcc
; %bb.60:                               ;   in Loop: Header=BB171_51 Depth=1
	s_or_b64 exec, exec, s[0:1]
	v_and_b32_e32 v6, 0x7f800000, v8
	v_cmp_ne_u32_e32 vcc, s17, v6
                                        ; implicit-def: $vgpr25
	s_and_saveexec_b64 s[0:1], vcc
	s_xor_b64 s[0:1], exec, s[0:1]
; %bb.61:                               ;   in Loop: Header=BB171_51 Depth=1
	v_bfe_u32 v6, v8, 16, 1
	v_add3_u32 v25, v8, v6, s18
; %bb.62:                               ;   in Loop: Header=BB171_51 Depth=1
	s_andn2_saveexec_b64 s[0:1], s[0:1]
; %bb.63:                               ;   in Loop: Header=BB171_51 Depth=1
	v_or_b32_e32 v6, 0x10000, v8
	v_cmp_eq_u32_sdwa vcc, v8, v24 src0_sel:WORD_0 src1_sel:DWORD
	v_cndmask_b32_e32 v25, v6, v8, vcc
; %bb.64:                               ;   in Loop: Header=BB171_51 Depth=1
	s_or_b64 exec, exec, s[0:1]
	v_and_b32_e32 v6, 0x7f800000, v9
	v_cmp_ne_u32_e32 vcc, s17, v6
                                        ; implicit-def: $vgpr26
	s_and_saveexec_b64 s[0:1], vcc
	s_xor_b64 s[0:1], exec, s[0:1]
; %bb.65:                               ;   in Loop: Header=BB171_51 Depth=1
	v_bfe_u32 v6, v9, 16, 1
	v_add3_u32 v26, v9, v6, s18
                                        ; implicit-def: $vgpr6_vgpr7_vgpr8_vgpr9
; %bb.66:                               ;   in Loop: Header=BB171_51 Depth=1
	s_andn2_saveexec_b64 s[0:1], s[0:1]
; %bb.67:                               ;   in Loop: Header=BB171_51 Depth=1
	v_or_b32_e32 v6, 0x10000, v9
	v_cmp_eq_u32_sdwa vcc, v9, v24 src0_sel:WORD_0 src1_sel:DWORD
	v_cndmask_b32_e32 v26, v6, v9, vcc
; %bb.68:                               ;   in Loop: Header=BB171_51 Depth=1
	s_or_b64 exec, exec, s[0:1]
	s_waitcnt lgkmcnt(0)
	v_and_b32_e32 v6, 0x7f800000, v2
	v_cmp_ne_u32_e32 vcc, s17, v6
                                        ; implicit-def: $vgpr27
	s_and_saveexec_b64 s[0:1], vcc
	s_xor_b64 s[0:1], exec, s[0:1]
; %bb.69:                               ;   in Loop: Header=BB171_51 Depth=1
	v_bfe_u32 v6, v2, 16, 1
	v_add3_u32 v27, v2, v6, s18
; %bb.70:                               ;   in Loop: Header=BB171_51 Depth=1
	s_andn2_saveexec_b64 s[0:1], s[0:1]
; %bb.71:                               ;   in Loop: Header=BB171_51 Depth=1
	v_or_b32_e32 v6, 0x10000, v2
	v_cmp_eq_u32_sdwa vcc, v2, v24 src0_sel:WORD_0 src1_sel:DWORD
	v_cndmask_b32_e32 v27, v6, v2, vcc
; %bb.72:                               ;   in Loop: Header=BB171_51 Depth=1
	s_or_b64 exec, exec, s[0:1]
	v_and_b32_e32 v2, 0x7f800000, v3
	v_cmp_ne_u32_e32 vcc, s17, v2
                                        ; implicit-def: $vgpr28
	s_and_saveexec_b64 s[0:1], vcc
	s_xor_b64 s[0:1], exec, s[0:1]
; %bb.73:                               ;   in Loop: Header=BB171_51 Depth=1
	v_bfe_u32 v2, v3, 16, 1
	v_add3_u32 v28, v3, v2, s18
; %bb.74:                               ;   in Loop: Header=BB171_51 Depth=1
	s_andn2_saveexec_b64 s[0:1], s[0:1]
; %bb.75:                               ;   in Loop: Header=BB171_51 Depth=1
	v_or_b32_e32 v2, 0x10000, v3
	v_cmp_eq_u32_sdwa vcc, v3, v24 src0_sel:WORD_0 src1_sel:DWORD
	v_cndmask_b32_e32 v28, v2, v3, vcc
; %bb.76:                               ;   in Loop: Header=BB171_51 Depth=1
	s_or_b64 exec, exec, s[0:1]
	v_and_b32_e32 v2, 0x7f800000, v4
	v_cmp_ne_u32_e32 vcc, s17, v2
                                        ; implicit-def: $vgpr29
	s_and_saveexec_b64 s[0:1], vcc
	s_xor_b64 s[0:1], exec, s[0:1]
; %bb.77:                               ;   in Loop: Header=BB171_51 Depth=1
	v_bfe_u32 v2, v4, 16, 1
	v_add3_u32 v29, v4, v2, s18
; %bb.78:                               ;   in Loop: Header=BB171_51 Depth=1
	s_andn2_saveexec_b64 s[0:1], s[0:1]
; %bb.79:                               ;   in Loop: Header=BB171_51 Depth=1
	v_or_b32_e32 v2, 0x10000, v4
	v_cmp_eq_u32_sdwa vcc, v4, v24 src0_sel:WORD_0 src1_sel:DWORD
	v_cndmask_b32_e32 v29, v2, v4, vcc
; %bb.80:                               ;   in Loop: Header=BB171_51 Depth=1
	s_or_b64 exec, exec, s[0:1]
	v_and_b32_e32 v2, 0x7f800000, v5
	v_cmp_ne_u32_e32 vcc, s17, v2
                                        ; implicit-def: $vgpr38
	s_and_saveexec_b64 s[0:1], vcc
	s_xor_b64 s[0:1], exec, s[0:1]
; %bb.81:                               ;   in Loop: Header=BB171_51 Depth=1
	v_bfe_u32 v2, v5, 16, 1
	v_add3_u32 v38, v5, v2, s18
                                        ; implicit-def: $vgpr2_vgpr3_vgpr4_vgpr5
; %bb.82:                               ;   in Loop: Header=BB171_51 Depth=1
	s_andn2_saveexec_b64 s[0:1], s[0:1]
; %bb.83:                               ;   in Loop: Header=BB171_51 Depth=1
	v_or_b32_e32 v2, 0x10000, v5
	v_cmp_eq_u32_sdwa vcc, v5, v24 src0_sel:WORD_0 src1_sel:DWORD
	v_cndmask_b32_e32 v38, v2, v5, vcc
; %bb.84:                               ;   in Loop: Header=BB171_51 Depth=1
	s_or_b64 exec, exec, s[0:1]
	s_waitcnt vmcnt(0)
	v_mad_i64_i32 v[2:3], s[0:1], v30, s13, 0
	v_lshlrev_b64 v[2:3], 1, v[2:3]
	v_add_co_u32_e32 v6, vcc, v22, v2
	v_addc_co_u32_e32 v7, vcc, v23, v3, vcc
	global_load_dwordx4 v[2:5], v[6:7], off
	v_add_u32_e32 v30, v20, v1
	v_cmp_eq_u32_e32 vcc, s15, v10
	v_add_u32_e32 v37, 1, v30
	v_add_u32_e32 v36, 2, v30
	;; [unrolled: 1-line block ×7, first 2 shown]
	s_waitcnt vmcnt(0)
	v_lshrrev_b32_e32 v9, 16, v2
	v_lshrrev_b32_e32 v43, 16, v3
	;; [unrolled: 1-line block ×4, first 2 shown]
	s_and_saveexec_b64 s[10:11], vcc
	s_cbranch_execz .LBB171_86
; %bb.85:                               ;   in Loop: Header=BB171_51 Depth=1
	v_cmp_gt_i32_e64 s[0:1], s33, v30
	v_cndmask_b32_e64 v2, 0, v2, s[0:1]
	v_cmp_gt_i32_e64 s[0:1], s33, v37
	v_cndmask_b32_e64 v9, 0, v9, s[0:1]
	;; [unrolled: 2-line block ×8, first 2 shown]
.LBB171_86:                             ;   in Loop: Header=BB171_51 Depth=1
	s_or_b64 exec, exec, s[10:11]
	v_and_b32_e32 v39, 0xffff0000, v39
	v_lshlrev_b32_e32 v2, 16, v2
	v_mul_f32_e32 v2, v39, v2
	v_and_b32_e32 v8, 0x7f800000, v2
	v_cmp_ne_u32_e64 s[0:1], s17, v8
                                        ; implicit-def: $vgpr8
	s_and_saveexec_b64 s[10:11], s[0:1]
	s_xor_b64 s[0:1], exec, s[10:11]
; %bb.87:                               ;   in Loop: Header=BB171_51 Depth=1
	v_bfe_u32 v8, v2, 16, 1
	v_add3_u32 v8, v2, v8, s18
                                        ; implicit-def: $vgpr2
; %bb.88:                               ;   in Loop: Header=BB171_51 Depth=1
	s_andn2_saveexec_b64 s[10:11], s[0:1]
; %bb.89:                               ;   in Loop: Header=BB171_51 Depth=1
	v_or_b32_e32 v8, 0x10000, v2
	v_cmp_eq_u32_sdwa s[0:1], v2, v24 src0_sel:WORD_0 src1_sel:DWORD
	v_cndmask_b32_e64 v8, v8, v2, s[0:1]
; %bb.90:                               ;   in Loop: Header=BB171_51 Depth=1
	s_or_b64 exec, exec, s[10:11]
	v_and_b32_e32 v40, 0xffff0000, v40
	v_lshlrev_b32_e32 v2, 16, v9
	v_mul_f32_e32 v2, v40, v2
	v_and_b32_e32 v9, 0x7f800000, v2
	v_cmp_ne_u32_e64 s[0:1], s17, v9
                                        ; implicit-def: $vgpr9
	s_and_saveexec_b64 s[10:11], s[0:1]
	s_xor_b64 s[0:1], exec, s[10:11]
; %bb.91:                               ;   in Loop: Header=BB171_51 Depth=1
	v_bfe_u32 v9, v2, 16, 1
	v_add3_u32 v9, v2, v9, s18
                                        ; implicit-def: $vgpr2
; %bb.92:                               ;   in Loop: Header=BB171_51 Depth=1
	s_andn2_saveexec_b64 s[10:11], s[0:1]
; %bb.93:                               ;   in Loop: Header=BB171_51 Depth=1
	v_or_b32_e32 v9, 0x10000, v2
	v_cmp_eq_u32_sdwa s[0:1], v2, v24 src0_sel:WORD_0 src1_sel:DWORD
	v_cndmask_b32_e64 v9, v9, v2, s[0:1]
; %bb.94:                               ;   in Loop: Header=BB171_51 Depth=1
	s_or_b64 exec, exec, s[10:11]
	v_and_b32_e32 v41, 0xffff0000, v25
	v_lshlrev_b32_e32 v2, 16, v3
	v_mul_f32_e32 v2, v41, v2
	v_and_b32_e32 v3, 0x7f800000, v2
	v_cmp_ne_u32_e64 s[0:1], s17, v3
                                        ; implicit-def: $vgpr25
	s_and_saveexec_b64 s[10:11], s[0:1]
	s_xor_b64 s[0:1], exec, s[10:11]
; %bb.95:                               ;   in Loop: Header=BB171_51 Depth=1
	v_bfe_u32 v3, v2, 16, 1
	v_add3_u32 v25, v2, v3, s18
                                        ; implicit-def: $vgpr2
; %bb.96:                               ;   in Loop: Header=BB171_51 Depth=1
	s_andn2_saveexec_b64 s[10:11], s[0:1]
; %bb.97:                               ;   in Loop: Header=BB171_51 Depth=1
	v_or_b32_e32 v3, 0x10000, v2
	v_cmp_eq_u32_sdwa s[0:1], v2, v24 src0_sel:WORD_0 src1_sel:DWORD
	v_cndmask_b32_e64 v25, v3, v2, s[0:1]
; %bb.98:                               ;   in Loop: Header=BB171_51 Depth=1
	s_or_b64 exec, exec, s[10:11]
	v_and_b32_e32 v42, 0xffff0000, v26
	v_lshlrev_b32_e32 v2, 16, v43
	v_mul_f32_e32 v2, v42, v2
	v_and_b32_e32 v3, 0x7f800000, v2
	v_cmp_ne_u32_e64 s[0:1], s17, v3
                                        ; implicit-def: $vgpr26
	s_and_saveexec_b64 s[10:11], s[0:1]
	s_xor_b64 s[0:1], exec, s[10:11]
; %bb.99:                               ;   in Loop: Header=BB171_51 Depth=1
	v_bfe_u32 v3, v2, 16, 1
	v_add3_u32 v26, v2, v3, s18
                                        ; implicit-def: $vgpr2
; %bb.100:                              ;   in Loop: Header=BB171_51 Depth=1
	s_andn2_saveexec_b64 s[10:11], s[0:1]
; %bb.101:                              ;   in Loop: Header=BB171_51 Depth=1
	v_or_b32_e32 v3, 0x10000, v2
	v_cmp_eq_u32_sdwa s[0:1], v2, v24 src0_sel:WORD_0 src1_sel:DWORD
	v_cndmask_b32_e64 v26, v3, v2, s[0:1]
; %bb.102:                              ;   in Loop: Header=BB171_51 Depth=1
	s_or_b64 exec, exec, s[10:11]
	v_and_b32_e32 v43, 0xffff0000, v27
	v_lshlrev_b32_e32 v2, 16, v4
	v_mul_f32_e32 v2, v43, v2
	v_and_b32_e32 v3, 0x7f800000, v2
	v_cmp_ne_u32_e64 s[0:1], s17, v3
                                        ; implicit-def: $vgpr27
	s_and_saveexec_b64 s[10:11], s[0:1]
	s_xor_b64 s[0:1], exec, s[10:11]
; %bb.103:                              ;   in Loop: Header=BB171_51 Depth=1
	v_bfe_u32 v3, v2, 16, 1
	v_add3_u32 v27, v2, v3, s18
                                        ; implicit-def: $vgpr2
; %bb.104:                              ;   in Loop: Header=BB171_51 Depth=1
	s_andn2_saveexec_b64 s[10:11], s[0:1]
; %bb.105:                              ;   in Loop: Header=BB171_51 Depth=1
	v_or_b32_e32 v3, 0x10000, v2
	v_cmp_eq_u32_sdwa s[0:1], v2, v24 src0_sel:WORD_0 src1_sel:DWORD
	v_cndmask_b32_e64 v27, v3, v2, s[0:1]
; %bb.106:                              ;   in Loop: Header=BB171_51 Depth=1
	s_or_b64 exec, exec, s[10:11]
	v_and_b32_e32 v44, 0xffff0000, v28
	v_lshlrev_b32_e32 v2, 16, v45
	v_mul_f32_e32 v2, v44, v2
	v_and_b32_e32 v3, 0x7f800000, v2
	v_cmp_ne_u32_e64 s[0:1], s17, v3
                                        ; implicit-def: $vgpr28
	s_and_saveexec_b64 s[10:11], s[0:1]
	s_xor_b64 s[0:1], exec, s[10:11]
; %bb.107:                              ;   in Loop: Header=BB171_51 Depth=1
	v_bfe_u32 v3, v2, 16, 1
	v_add3_u32 v28, v2, v3, s18
                                        ; implicit-def: $vgpr2
; %bb.108:                              ;   in Loop: Header=BB171_51 Depth=1
	s_andn2_saveexec_b64 s[10:11], s[0:1]
; %bb.109:                              ;   in Loop: Header=BB171_51 Depth=1
	v_or_b32_e32 v3, 0x10000, v2
	v_cmp_eq_u32_sdwa s[0:1], v2, v24 src0_sel:WORD_0 src1_sel:DWORD
	v_cndmask_b32_e64 v28, v3, v2, s[0:1]
; %bb.110:                              ;   in Loop: Header=BB171_51 Depth=1
	s_or_b64 exec, exec, s[10:11]
	v_and_b32_e32 v45, 0xffff0000, v29
	v_lshlrev_b32_e32 v2, 16, v5
	v_mul_f32_e32 v2, v45, v2
	v_and_b32_e32 v3, 0x7f800000, v2
	v_cmp_ne_u32_e64 s[0:1], s17, v3
                                        ; implicit-def: $vgpr29
	s_and_saveexec_b64 s[10:11], s[0:1]
	s_xor_b64 s[0:1], exec, s[10:11]
; %bb.111:                              ;   in Loop: Header=BB171_51 Depth=1
	v_bfe_u32 v3, v2, 16, 1
	v_add3_u32 v29, v2, v3, s18
                                        ; implicit-def: $vgpr2
; %bb.112:                              ;   in Loop: Header=BB171_51 Depth=1
	s_andn2_saveexec_b64 s[10:11], s[0:1]
; %bb.113:                              ;   in Loop: Header=BB171_51 Depth=1
	v_or_b32_e32 v3, 0x10000, v2
	v_cmp_eq_u32_sdwa s[0:1], v2, v24 src0_sel:WORD_0 src1_sel:DWORD
	v_cndmask_b32_e64 v29, v3, v2, s[0:1]
; %bb.114:                              ;   in Loop: Header=BB171_51 Depth=1
	s_or_b64 exec, exec, s[10:11]
	v_and_b32_e32 v46, 0xffff0000, v38
	v_lshlrev_b32_e32 v2, 16, v47
	v_mul_f32_e32 v2, v46, v2
	v_and_b32_e32 v3, 0x7f800000, v2
	v_cmp_ne_u32_e64 s[0:1], s17, v3
                                        ; implicit-def: $vgpr38
	s_and_saveexec_b64 s[10:11], s[0:1]
	s_xor_b64 s[0:1], exec, s[10:11]
; %bb.115:                              ;   in Loop: Header=BB171_51 Depth=1
	v_bfe_u32 v3, v2, 16, 1
	v_add3_u32 v38, v2, v3, s18
                                        ; implicit-def: $vgpr2
; %bb.116:                              ;   in Loop: Header=BB171_51 Depth=1
	s_andn2_saveexec_b64 s[10:11], s[0:1]
; %bb.117:                              ;   in Loop: Header=BB171_51 Depth=1
	v_or_b32_e32 v3, 0x10000, v2
	v_cmp_eq_u32_sdwa s[0:1], v2, v24 src0_sel:WORD_0 src1_sel:DWORD
	v_cndmask_b32_e64 v38, v3, v2, s[0:1]
; %bb.118:                              ;   in Loop: Header=BB171_51 Depth=1
	s_or_b64 exec, exec, s[10:11]
	global_load_dwordx4 v[2:5], v[6:7], off offset:1024
	s_waitcnt vmcnt(0)
	v_lshrrev_b32_e32 v7, 16, v2
	v_lshrrev_b32_e32 v48, 16, v3
	v_lshrrev_b32_e32 v47, 16, v4
	v_lshrrev_b32_e32 v6, 16, v5
	s_and_saveexec_b64 s[0:1], vcc
	s_cbranch_execz .LBB171_120
; %bb.119:                              ;   in Loop: Header=BB171_51 Depth=1
	v_cmp_gt_i32_e32 vcc, s33, v30
	v_cndmask_b32_e32 v2, 0, v2, vcc
	v_cmp_gt_i32_e32 vcc, s33, v37
	v_cndmask_b32_e32 v7, 0, v7, vcc
	;; [unrolled: 2-line block ×8, first 2 shown]
.LBB171_120:                            ;   in Loop: Header=BB171_51 Depth=1
	s_or_b64 exec, exec, s[0:1]
	v_lshlrev_b32_e32 v2, 16, v2
	v_mul_f32_e32 v30, v39, v2
	v_and_b32_e32 v2, 0x7f800000, v30
	v_cmp_ne_u32_e32 vcc, s17, v2
                                        ; implicit-def: $vgpr2
	s_and_saveexec_b64 s[0:1], vcc
	s_xor_b64 s[0:1], exec, s[0:1]
; %bb.121:                              ;   in Loop: Header=BB171_51 Depth=1
	v_bfe_u32 v2, v30, 16, 1
	v_add3_u32 v2, v30, v2, s18
                                        ; implicit-def: $vgpr30
; %bb.122:                              ;   in Loop: Header=BB171_51 Depth=1
	s_andn2_saveexec_b64 s[0:1], s[0:1]
; %bb.123:                              ;   in Loop: Header=BB171_51 Depth=1
	v_or_b32_e32 v2, 0x10000, v30
	v_cmp_eq_u32_sdwa vcc, v30, v24 src0_sel:WORD_0 src1_sel:DWORD
	v_cndmask_b32_e32 v2, v2, v30, vcc
; %bb.124:                              ;   in Loop: Header=BB171_51 Depth=1
	s_or_b64 exec, exec, s[0:1]
	v_lshlrev_b32_e32 v7, 16, v7
	v_mul_f32_e32 v30, v40, v7
	v_and_b32_e32 v7, 0x7f800000, v30
	v_cmp_ne_u32_e32 vcc, s17, v7
                                        ; implicit-def: $vgpr7
	s_and_saveexec_b64 s[0:1], vcc
	s_xor_b64 s[0:1], exec, s[0:1]
; %bb.125:                              ;   in Loop: Header=BB171_51 Depth=1
	v_bfe_u32 v7, v30, 16, 1
	v_add3_u32 v7, v30, v7, s18
                                        ; implicit-def: $vgpr30
; %bb.126:                              ;   in Loop: Header=BB171_51 Depth=1
	s_andn2_saveexec_b64 s[0:1], s[0:1]
; %bb.127:                              ;   in Loop: Header=BB171_51 Depth=1
	v_or_b32_e32 v7, 0x10000, v30
	v_cmp_eq_u32_sdwa vcc, v30, v24 src0_sel:WORD_0 src1_sel:DWORD
	v_cndmask_b32_e32 v7, v7, v30, vcc
; %bb.128:                              ;   in Loop: Header=BB171_51 Depth=1
	s_or_b64 exec, exec, s[0:1]
	v_lshlrev_b32_e32 v3, 16, v3
	v_mul_f32_e32 v30, v41, v3
	v_and_b32_e32 v3, 0x7f800000, v30
	v_cmp_ne_u32_e32 vcc, s17, v3
                                        ; implicit-def: $vgpr3
	s_and_saveexec_b64 s[0:1], vcc
	s_xor_b64 s[0:1], exec, s[0:1]
; %bb.129:                              ;   in Loop: Header=BB171_51 Depth=1
	v_bfe_u32 v3, v30, 16, 1
	v_add3_u32 v3, v30, v3, s18
                                        ; implicit-def: $vgpr30
; %bb.130:                              ;   in Loop: Header=BB171_51 Depth=1
	s_andn2_saveexec_b64 s[0:1], s[0:1]
; %bb.131:                              ;   in Loop: Header=BB171_51 Depth=1
	v_or_b32_e32 v3, 0x10000, v30
	v_cmp_eq_u32_sdwa vcc, v30, v24 src0_sel:WORD_0 src1_sel:DWORD
	v_cndmask_b32_e32 v3, v3, v30, vcc
; %bb.132:                              ;   in Loop: Header=BB171_51 Depth=1
	s_or_b64 exec, exec, s[0:1]
	v_lshlrev_b32_e32 v30, 16, v48
	v_mul_f32_e32 v31, v42, v30
	v_and_b32_e32 v30, 0x7f800000, v31
	v_cmp_ne_u32_e32 vcc, s17, v30
                                        ; implicit-def: $vgpr30
	s_and_saveexec_b64 s[0:1], vcc
	s_xor_b64 s[0:1], exec, s[0:1]
; %bb.133:                              ;   in Loop: Header=BB171_51 Depth=1
	v_bfe_u32 v30, v31, 16, 1
	v_add3_u32 v30, v31, v30, s18
                                        ; implicit-def: $vgpr31
; %bb.134:                              ;   in Loop: Header=BB171_51 Depth=1
	s_andn2_saveexec_b64 s[0:1], s[0:1]
; %bb.135:                              ;   in Loop: Header=BB171_51 Depth=1
	v_or_b32_e32 v30, 0x10000, v31
	v_cmp_eq_u32_sdwa vcc, v31, v24 src0_sel:WORD_0 src1_sel:DWORD
	v_cndmask_b32_e32 v30, v30, v31, vcc
; %bb.136:                              ;   in Loop: Header=BB171_51 Depth=1
	s_or_b64 exec, exec, s[0:1]
	v_lshlrev_b32_e32 v4, 16, v4
	v_mul_f32_e32 v31, v43, v4
	v_and_b32_e32 v4, 0x7f800000, v31
	v_cmp_ne_u32_e32 vcc, s17, v4
                                        ; implicit-def: $vgpr4
	s_and_saveexec_b64 s[0:1], vcc
	s_xor_b64 s[0:1], exec, s[0:1]
; %bb.137:                              ;   in Loop: Header=BB171_51 Depth=1
	v_bfe_u32 v4, v31, 16, 1
	v_add3_u32 v4, v31, v4, s18
                                        ; implicit-def: $vgpr31
; %bb.138:                              ;   in Loop: Header=BB171_51 Depth=1
	s_andn2_saveexec_b64 s[0:1], s[0:1]
; %bb.139:                              ;   in Loop: Header=BB171_51 Depth=1
	v_or_b32_e32 v4, 0x10000, v31
	v_cmp_eq_u32_sdwa vcc, v31, v24 src0_sel:WORD_0 src1_sel:DWORD
	v_cndmask_b32_e32 v4, v4, v31, vcc
; %bb.140:                              ;   in Loop: Header=BB171_51 Depth=1
	s_or_b64 exec, exec, s[0:1]
	v_lshlrev_b32_e32 v31, 16, v47
	v_mul_f32_e32 v32, v44, v31
	v_and_b32_e32 v31, 0x7f800000, v32
	v_cmp_ne_u32_e32 vcc, s17, v31
                                        ; implicit-def: $vgpr31
	s_and_saveexec_b64 s[0:1], vcc
	s_xor_b64 s[0:1], exec, s[0:1]
; %bb.141:                              ;   in Loop: Header=BB171_51 Depth=1
	v_bfe_u32 v31, v32, 16, 1
	v_add3_u32 v31, v32, v31, s18
                                        ; implicit-def: $vgpr32
; %bb.142:                              ;   in Loop: Header=BB171_51 Depth=1
	s_andn2_saveexec_b64 s[0:1], s[0:1]
; %bb.143:                              ;   in Loop: Header=BB171_51 Depth=1
	v_or_b32_e32 v31, 0x10000, v32
	v_cmp_eq_u32_sdwa vcc, v32, v24 src0_sel:WORD_0 src1_sel:DWORD
	v_cndmask_b32_e32 v31, v31, v32, vcc
; %bb.144:                              ;   in Loop: Header=BB171_51 Depth=1
	s_or_b64 exec, exec, s[0:1]
	v_lshlrev_b32_e32 v5, 16, v5
	v_mul_f32_e32 v32, v45, v5
	v_and_b32_e32 v5, 0x7f800000, v32
	v_cmp_ne_u32_e32 vcc, s17, v5
                                        ; implicit-def: $vgpr5
	s_and_saveexec_b64 s[0:1], vcc
	s_xor_b64 s[0:1], exec, s[0:1]
; %bb.145:                              ;   in Loop: Header=BB171_51 Depth=1
	v_bfe_u32 v5, v32, 16, 1
	v_add3_u32 v5, v32, v5, s18
                                        ; implicit-def: $vgpr32
; %bb.146:                              ;   in Loop: Header=BB171_51 Depth=1
	s_andn2_saveexec_b64 s[0:1], s[0:1]
; %bb.147:                              ;   in Loop: Header=BB171_51 Depth=1
	v_or_b32_e32 v5, 0x10000, v32
	v_cmp_eq_u32_sdwa vcc, v32, v24 src0_sel:WORD_0 src1_sel:DWORD
	v_cndmask_b32_e32 v5, v5, v32, vcc
; %bb.148:                              ;   in Loop: Header=BB171_51 Depth=1
	s_or_b64 exec, exec, s[0:1]
	v_lshlrev_b32_e32 v6, 16, v6
	v_mul_f32_e32 v32, v46, v6
	v_and_b32_e32 v6, 0x7f800000, v32
	v_cmp_ne_u32_e32 vcc, s17, v6
                                        ; implicit-def: $vgpr6
	s_and_saveexec_b64 s[0:1], vcc
	s_xor_b64 s[0:1], exec, s[0:1]
; %bb.149:                              ;   in Loop: Header=BB171_51 Depth=1
	v_bfe_u32 v6, v32, 16, 1
	v_add3_u32 v6, v32, v6, s18
                                        ; implicit-def: $vgpr32
; %bb.150:                              ;   in Loop: Header=BB171_51 Depth=1
	s_andn2_saveexec_b64 s[0:1], s[0:1]
	s_cbranch_execz .LBB171_49
; %bb.151:                              ;   in Loop: Header=BB171_51 Depth=1
	v_or_b32_e32 v6, 0x10000, v32
	v_cmp_eq_u32_sdwa vcc, v32, v24 src0_sel:WORD_0 src1_sel:DWORD
	v_cndmask_b32_e32 v6, v6, v32, vcc
	s_branch .LBB171_49
.LBB171_152:
	s_or_b64 exec, exec, s[4:5]
.LBB171_153:
	s_or_b64 exec, exec, s[2:3]
	ds_bpermute_b32 v2, v17, v12
	ds_bpermute_b32 v3, v17, v13
	v_and_b32_e32 v1, 0x3c3, v0
	v_cmp_eq_u32_e32 vcc, 64, v1
	s_waitcnt lgkmcnt(0)
	s_barrier
	v_pk_add_f32 v[2:3], v[12:13], v[2:3]
	ds_bpermute_b32 v4, v18, v2
	ds_bpermute_b32 v5, v18, v3
	s_waitcnt lgkmcnt(0)
	v_pk_add_f32 v[2:3], v[2:3], v[4:5]
	s_and_saveexec_b64 s[0:1], vcc
	s_cbranch_execz .LBB171_155
; %bb.154:
	v_add_u32_e32 v4, 0x50, v16
	v_add_u32_e32 v1, 0x50, v0
	ds_write_b32 v4, v2
	ds_write_b32 v1, v3
.LBB171_155:
	s_or_b64 exec, exec, s[0:1]
	v_cmp_gt_u32_e32 vcc, 64, v0
	s_waitcnt lgkmcnt(0)
	s_barrier
	s_and_saveexec_b64 s[2:3], vcc
	s_cbranch_execz .LBB171_161
; %bb.156:
	v_cmp_eq_u32_e64 s[0:1], 0, v19
	v_lshrrev_b32_e32 v1, 2, v0
	s_and_saveexec_b64 s[4:5], s[0:1]
	s_cbranch_execz .LBB171_158
; %bb.157:
	v_mov_b32_e32 v4, 0x50
	v_lshl_add_u32 v4, v1, 2, v4
	ds_read_b32 v4, v4
	s_waitcnt lgkmcnt(0)
	v_add_f32_e32 v2, v2, v4
.LBB171_158:
	s_or_b64 exec, exec, s[4:5]
	s_and_saveexec_b64 s[4:5], s[0:1]
	s_cbranch_execz .LBB171_160
; %bb.159:
	v_mov_b32_e32 v4, 0x50
	v_lshl_add_u32 v1, v1, 2, v4
	ds_read_b32 v1, v1 offset:64
	s_waitcnt lgkmcnt(0)
	v_add_f32_e32 v3, v3, v1
.LBB171_160:
	s_or_b64 exec, exec, s[4:5]
.LBB171_161:
	s_or_b64 exec, exec, s[2:3]
	s_barrier
	s_and_saveexec_b64 s[0:1], vcc
	s_cbranch_execz .LBB171_172
; %bb.162:
	v_cmp_eq_u32_e32 vcc, 0, v19
	s_and_b64 exec, exec, vcc
	s_cbranch_execz .LBB171_172
; %bb.163:
	s_mov_b32 s0, 0x7f800000
	v_and_b32_e32 v1, 0x7f800000, v2
	v_cmp_ne_u32_e32 vcc, s0, v1
                                        ; implicit-def: $vgpr4
	s_and_saveexec_b64 s[0:1], vcc
	s_xor_b64 s[0:1], exec, s[0:1]
; %bb.164:
	v_bfe_u32 v1, v2, 16, 1
	s_movk_i32 s2, 0x7fff
	v_add3_u32 v4, v2, v1, s2
; %bb.165:
	s_andn2_saveexec_b64 s[0:1], s[0:1]
; %bb.166:
	v_mov_b32_e32 v1, 0
	v_or_b32_e32 v4, 0x10000, v2
	v_cmp_eq_u32_sdwa vcc, v2, v1 src0_sel:WORD_0 src1_sel:DWORD
	v_cndmask_b32_e32 v4, v4, v2, vcc
; %bb.167:
	s_or_b64 exec, exec, s[0:1]
	s_mul_i32 s0, s12, s24
	s_mul_i32 s0, s0, s25
	s_lshl_b32 s0, s0, 5
	s_ashr_i32 s1, s0, 31
	s_lshl_b64 s[0:1], s[0:1], 1
	s_add_u32 s2, s28, s0
	s_mul_i32 s0, s12, s26
	s_addc_u32 s3, s29, s1
	s_ashr_i32 s1, s0, 31
	s_lshl_b64 s[0:1], s[0:1], 1
	s_add_u32 s2, s2, s0
	s_addc_u32 s3, s3, s1
	s_lshl_b32 s0, s8, 5
	s_ashr_i32 s1, s0, 31
	s_lshl_b64 s[0:1], s[0:1], 1
	s_add_u32 s0, s2, s0
	v_lshrrev_b32_e32 v0, 1, v0
	s_addc_u32 s1, s3, s1
	v_and_b32_e32 v2, 0x1fe, v0
	v_mov_b32_e32 v1, s1
	v_add_co_u32_e32 v0, vcc, s0, v2
	v_addc_co_u32_e32 v1, vcc, 0, v1, vcc
	global_store_short_d16_hi v2, v4, s[0:1]
	s_mov_b32 s0, 0x7f800000
	v_and_b32_e32 v2, 0x7f800000, v3
	v_cmp_ne_u32_e32 vcc, s0, v2
                                        ; implicit-def: $vgpr4
	s_and_saveexec_b64 s[0:1], vcc
	s_xor_b64 s[0:1], exec, s[0:1]
; %bb.168:
	v_bfe_u32 v2, v3, 16, 1
	s_movk_i32 s2, 0x7fff
	v_add3_u32 v4, v3, v2, s2
                                        ; implicit-def: $vgpr2_vgpr3
; %bb.169:
	s_andn2_saveexec_b64 s[0:1], s[0:1]
; %bb.170:
	v_mov_b32_e32 v2, 0
	v_or_b32_e32 v4, 0x10000, v3
	v_cmp_eq_u32_sdwa vcc, v3, v2 src0_sel:WORD_0 src1_sel:DWORD
	v_cndmask_b32_e32 v4, v4, v3, vcc
; %bb.171:
	s_or_b64 exec, exec, s[0:1]
	global_store_short_d16_hi v[0:1], v4, off offset:32
.LBB171_172:
	s_endpgm
	.section	.rodata,"a",@progbits
	.p2align	6, 0x0
	.amdhsa_kernel _ZN4vllm25paged_attention_v2_kernelI14__hip_bfloat16S1_Li32ELi32ELi128ELNS_18Fp8KVCacheDataTypeE0ELb1ELi512EEEvPfS3_PT_PKS4_PKT0_SA_ifPKiSC_iPKfiiiSE_SE_iiiii
		.amdhsa_group_segment_fixed_size 80
		.amdhsa_private_segment_fixed_size 0
		.amdhsa_kernarg_size 400
		.amdhsa_user_sgpr_count 6
		.amdhsa_user_sgpr_private_segment_buffer 1
		.amdhsa_user_sgpr_dispatch_ptr 0
		.amdhsa_user_sgpr_queue_ptr 0
		.amdhsa_user_sgpr_kernarg_segment_ptr 1
		.amdhsa_user_sgpr_dispatch_id 0
		.amdhsa_user_sgpr_flat_scratch_init 0
		.amdhsa_user_sgpr_kernarg_preload_length 0
		.amdhsa_user_sgpr_kernarg_preload_offset 0
		.amdhsa_user_sgpr_private_segment_size 0
		.amdhsa_uses_dynamic_stack 0
		.amdhsa_system_sgpr_private_segment_wavefront_offset 0
		.amdhsa_system_sgpr_workgroup_id_x 1
		.amdhsa_system_sgpr_workgroup_id_y 1
		.amdhsa_system_sgpr_workgroup_id_z 1
		.amdhsa_system_sgpr_workgroup_info 0
		.amdhsa_system_vgpr_workitem_id 0
		.amdhsa_next_free_vgpr 56
		.amdhsa_next_free_sgpr 52
		.amdhsa_accum_offset 56
		.amdhsa_reserve_vcc 1
		.amdhsa_reserve_flat_scratch 0
		.amdhsa_float_round_mode_32 0
		.amdhsa_float_round_mode_16_64 0
		.amdhsa_float_denorm_mode_32 3
		.amdhsa_float_denorm_mode_16_64 3
		.amdhsa_dx10_clamp 1
		.amdhsa_ieee_mode 1
		.amdhsa_fp16_overflow 0
		.amdhsa_tg_split 0
		.amdhsa_exception_fp_ieee_invalid_op 0
		.amdhsa_exception_fp_denorm_src 0
		.amdhsa_exception_fp_ieee_div_zero 0
		.amdhsa_exception_fp_ieee_overflow 0
		.amdhsa_exception_fp_ieee_underflow 0
		.amdhsa_exception_fp_ieee_inexact 0
		.amdhsa_exception_int_div_zero 0
	.end_amdhsa_kernel
	.section	.text._ZN4vllm25paged_attention_v2_kernelI14__hip_bfloat16S1_Li32ELi32ELi128ELNS_18Fp8KVCacheDataTypeE0ELb1ELi512EEEvPfS3_PT_PKS4_PKT0_SA_ifPKiSC_iPKfiiiSE_SE_iiiii,"axG",@progbits,_ZN4vllm25paged_attention_v2_kernelI14__hip_bfloat16S1_Li32ELi32ELi128ELNS_18Fp8KVCacheDataTypeE0ELb1ELi512EEEvPfS3_PT_PKS4_PKT0_SA_ifPKiSC_iPKfiiiSE_SE_iiiii,comdat
.Lfunc_end171:
	.size	_ZN4vllm25paged_attention_v2_kernelI14__hip_bfloat16S1_Li32ELi32ELi128ELNS_18Fp8KVCacheDataTypeE0ELb1ELi512EEEvPfS3_PT_PKS4_PKT0_SA_ifPKiSC_iPKfiiiSE_SE_iiiii, .Lfunc_end171-_ZN4vllm25paged_attention_v2_kernelI14__hip_bfloat16S1_Li32ELi32ELi128ELNS_18Fp8KVCacheDataTypeE0ELb1ELi512EEEvPfS3_PT_PKS4_PKT0_SA_ifPKiSC_iPKfiiiSE_SE_iiiii
                                        ; -- End function
	.section	.AMDGPU.csdata,"",@progbits
; Kernel info:
; codeLenInByte = 6772
; NumSgprs: 56
; NumVgprs: 56
; NumAgprs: 0
; TotalNumVgprs: 56
; ScratchSize: 0
; MemoryBound: 0
; FloatMode: 240
; IeeeMode: 1
; LDSByteSize: 80 bytes/workgroup (compile time only)
; SGPRBlocks: 6
; VGPRBlocks: 6
; NumSGPRsForWavesPerEU: 56
; NumVGPRsForWavesPerEU: 56
; AccumOffset: 56
; Occupancy: 8
; WaveLimiterHint : 1
; COMPUTE_PGM_RSRC2:SCRATCH_EN: 0
; COMPUTE_PGM_RSRC2:USER_SGPR: 6
; COMPUTE_PGM_RSRC2:TRAP_HANDLER: 0
; COMPUTE_PGM_RSRC2:TGID_X_EN: 1
; COMPUTE_PGM_RSRC2:TGID_Y_EN: 1
; COMPUTE_PGM_RSRC2:TGID_Z_EN: 1
; COMPUTE_PGM_RSRC2:TIDIG_COMP_CNT: 0
; COMPUTE_PGM_RSRC3_GFX90A:ACCUM_OFFSET: 13
; COMPUTE_PGM_RSRC3_GFX90A:TG_SPLIT: 0
	.section	.text._ZN4vllm25paged_attention_v2_kernelI14__hip_bfloat16S1_Li64ELi32ELi128ELNS_18Fp8KVCacheDataTypeE0ELb1ELi512EEEvPfS3_PT_PKS4_PKT0_SA_ifPKiSC_iPKfiiiSE_SE_iiiii,"axG",@progbits,_ZN4vllm25paged_attention_v2_kernelI14__hip_bfloat16S1_Li64ELi32ELi128ELNS_18Fp8KVCacheDataTypeE0ELb1ELi512EEEvPfS3_PT_PKS4_PKT0_SA_ifPKiSC_iPKfiiiSE_SE_iiiii,comdat
	.protected	_ZN4vllm25paged_attention_v2_kernelI14__hip_bfloat16S1_Li64ELi32ELi128ELNS_18Fp8KVCacheDataTypeE0ELb1ELi512EEEvPfS3_PT_PKS4_PKT0_SA_ifPKiSC_iPKfiiiSE_SE_iiiii ; -- Begin function _ZN4vllm25paged_attention_v2_kernelI14__hip_bfloat16S1_Li64ELi32ELi128ELNS_18Fp8KVCacheDataTypeE0ELb1ELi512EEEvPfS3_PT_PKS4_PKT0_SA_ifPKiSC_iPKfiiiSE_SE_iiiii
	.globl	_ZN4vllm25paged_attention_v2_kernelI14__hip_bfloat16S1_Li64ELi32ELi128ELNS_18Fp8KVCacheDataTypeE0ELb1ELi512EEEvPfS3_PT_PKS4_PKT0_SA_ifPKiSC_iPKfiiiSE_SE_iiiii
	.p2align	8
	.type	_ZN4vllm25paged_attention_v2_kernelI14__hip_bfloat16S1_Li64ELi32ELi128ELNS_18Fp8KVCacheDataTypeE0ELb1ELi512EEEvPfS3_PT_PKS4_PKT0_SA_ifPKiSC_iPKfiiiSE_SE_iiiii,@function
_ZN4vllm25paged_attention_v2_kernelI14__hip_bfloat16S1_Li64ELi32ELi128ELNS_18Fp8KVCacheDataTypeE0ELb1ELi512EEEvPfS3_PT_PKS4_PKT0_SA_ifPKiSC_iPKfiiiSE_SE_iiiii: ; @_ZN4vllm25paged_attention_v2_kernelI14__hip_bfloat16S1_Li64ELi32ELi128ELNS_18Fp8KVCacheDataTypeE0ELb1ELi512EEEvPfS3_PT_PKS4_PKT0_SA_ifPKiSC_iPKfiiiSE_SE_iiiii
; %bb.0:
	s_load_dwordx2 s[0:1], s[4:5], 0x40
	s_mov_b32 s24, s7
	s_ashr_i32 s25, s7, 31
	s_lshl_b64 s[2:3], s[24:25], 2
	s_waitcnt lgkmcnt(0)
	s_add_u32 s0, s0, s2
	s_addc_u32 s1, s1, s3
	s_load_dword s33, s[0:1], 0x0
	s_lshl_b32 s9, s8, 9
	s_waitcnt lgkmcnt(0)
	s_cmp_ge_i32 s9, s33
	s_cbranch_scc1 .LBB172_249
; %bb.1:
	s_load_dword s25, s[4:5], 0x90
	s_load_dwordx2 s[38:39], s[4:5], 0x30
	s_mov_b32 s49, 0
	s_waitcnt lgkmcnt(0)
	s_abs_i32 s2, s25
	s_abs_i32 s0, s38
	v_cvt_f32_u32_e32 v1, s0
	s_sub_i32 s3, 0, s0
	s_xor_b32 s1, s25, s38
	s_ashr_i32 s1, s1, 31
	v_rcp_iflag_f32_e32 v1, v1
	v_mul_f32_e32 v1, 0x4f7ffffe, v1
	v_cvt_u32_f32_e32 v1, v1
	v_readfirstlane_b32 s7, v1
	s_mul_i32 s3, s3, s7
	s_mul_hi_u32 s3, s7, s3
	s_add_i32 s7, s7, s3
	s_mul_hi_u32 s3, s2, s7
	s_mul_i32 s7, s3, s0
	s_sub_i32 s2, s2, s7
	s_add_i32 s10, s3, 1
	s_sub_i32 s7, s2, s0
	s_cmp_ge_u32 s2, s0
	s_cselect_b32 s3, s10, s3
	s_cselect_b32 s2, s7, s2
	s_add_i32 s7, s3, 1
	s_cmp_ge_u32 s2, s0
	s_cselect_b32 s0, s7, s3
	s_xor_b32 s0, s0, s1
	s_sub_i32 s11, s0, s1
	s_abs_i32 s2, s11
	v_cvt_f32_u32_e32 v1, s2
	s_load_dwordx2 s[0:1], s[4:5], 0x50
	s_sub_i32 s7, 0, s2
	s_abs_i32 s3, s6
	v_rcp_iflag_f32_e32 v1, v1
	v_mul_f32_e32 v1, 0x4f7ffffe, v1
	v_cvt_u32_f32_e32 v1, v1
	v_readfirstlane_b32 s10, v1
	s_mul_i32 s7, s7, s10
	s_mul_hi_u32 s7, s10, s7
	s_add_i32 s10, s10, s7
	s_waitcnt lgkmcnt(0)
	s_cmp_eq_u64 s[0:1], 0
	s_mul_hi_u32 s10, s3, s10
	s_cbranch_scc1 .LBB172_3
; %bb.2:
	s_ashr_i32 s7, s6, 31
	s_lshl_b64 s[12:13], s[6:7], 2
	s_add_u32 s0, s0, s12
	s_addc_u32 s1, s1, s13
	s_load_dword s49, s[0:1], 0x0
.LBB172_3:
	s_load_dwordx4 s[12:15], s[4:5], 0x58
	s_ashr_i32 s7, s6, 31
	s_ashr_i32 s11, s11, 31
	v_and_b32_e32 v2, 1, v0
	s_lshl_b32 s26, s6, 6
	v_cmp_gt_u32_e32 vcc, 16, v0
	v_lshlrev_b32_e32 v22, 3, v0
	s_and_saveexec_b64 s[0:1], vcc
	s_cbranch_execz .LBB172_5
; %bb.4:
	s_load_dwordx2 s[16:17], s[4:5], 0x18
	s_waitcnt lgkmcnt(0)
	s_mul_i32 s18, s24, s12
	s_ashr_i32 s19, s18, 31
	s_lshl_b64 s[18:19], s[18:19], 1
	v_lshlrev_b32_e32 v1, 2, v0
	s_add_u32 s12, s16, s18
	s_addc_u32 s15, s17, s19
	s_ashr_i32 s27, s26, 31
	s_lshl_b64 s[16:17], s[26:27], 1
	s_add_u32 s16, s12, s16
	s_addc_u32 s17, s15, s17
	global_load_dwordx2 v[4:5], v22, s[16:17]
	v_and_b32_e32 v1, 0xff8, v1
	v_lshl_add_u32 v1, v2, 6, v1
	s_waitcnt vmcnt(0)
	ds_write_b64 v1, v[4:5]
.LBB172_5:
	s_or_b64 exec, exec, s[0:1]
	s_mul_i32 s1, s10, s2
	s_sub_i32 s1, s3, s1
	s_xor_b32 s0, s7, s11
	s_add_i32 s3, s10, 1
	s_sub_i32 s7, s1, s2
	s_load_dwordx4 s[16:19], s[4:5], 0x78
	s_cmp_ge_u32 s1, s2
	s_cselect_b32 s3, s3, s10
	s_load_dword s10, s[4:5], 0x88
	s_cselect_b32 s1, s7, s1
	s_add_i32 s7, s3, 1
	s_cmp_ge_u32 s1, s2
	s_cselect_b32 s1, s7, s3
	s_waitcnt lgkmcnt(0)
	s_abs_i32 s27, s19
	v_cvt_f32_u32_e32 v1, s27
	s_xor_b32 s1, s1, s0
	s_sub_i32 s2, s1, s0
	s_sub_i32 s0, 0, s27
	v_rcp_iflag_f32_e32 v1, v1
	s_add_i32 s11, s33, -1
	s_abs_i32 s3, s11
	v_mul_f32_e32 v1, 0x4f7ffffe, v1
	v_cvt_u32_f32_e32 v1, v1
	s_barrier
	v_readfirstlane_b32 s46, v1
	s_mul_i32 s0, s0, s46
	s_mul_hi_u32 s0, s46, s0
	s_add_i32 s46, s46, s0
	s_cmp_lt_i32 s10, 0
	s_mul_hi_u32 s7, s3, s46
	s_cbranch_scc0 .LBB172_7
; %bb.6:
	s_mul_i32 s0, s16, s38
	s_add_i32 s0, s2, s0
	s_mul_i32 s0, s0, s10
	s_sub_i32 s47, 1, s0
	s_mov_b64 s[0:1], 0
	s_branch .LBB172_8
.LBB172_7:
	s_mov_b64 s[0:1], -1
                                        ; implicit-def: $sgpr47
.LBB172_8:
	s_load_dwordx2 s[30:31], s[4:5], 0x38
	s_ashr_i32 s11, s11, 31
	s_andn2_b64 vcc, exec, s[0:1]
	s_ashr_i32 s19, s19, 31
	s_cbranch_vccnz .LBB172_10
; %bb.9:
	s_mul_i32 s0, s25, s16
	s_add_i32 s0, s0, s6
	s_mul_i32 s0, s0, s10
	s_add_i32 s47, s0, 1
.LBB172_10:
	s_load_dword s0, s[4:5], 0x48
	s_load_dwordx2 s[36:37], s[4:5], 0x28
	s_load_dword s12, s[4:5], 0x98
	s_load_dwordx4 s[20:23], s[4:5], 0x0
	s_load_dwordx2 s[28:29], s[4:5], 0x10
	s_mul_i32 s1, s7, s27
	s_waitcnt lgkmcnt(0)
	s_mul_i32 s34, s24, s0
	s_sub_i32 s1, s3, s1
	s_ashr_i32 s35, s34, 31
	s_xor_b32 s0, s11, s19
	s_add_i32 s3, s7, 1
	s_sub_i32 s10, s1, s27
	s_cmp_ge_u32 s1, s27
	s_cselect_b32 s3, s3, s7
	s_cselect_b32 s1, s10, s1
	s_add_i32 s7, s3, 1
	s_cmp_ge_u32 s1, s27
	s_cselect_b32 s1, s7, s3
	s_xor_b32 s1, s1, s0
	s_sub_i32 s48, s1, s0
	s_add_i32 s0, s33, 31
	s_ashr_i32 s1, s0, 31
	s_lshr_b32 s1, s1, 27
	s_add_i32 s0, s0, s1
	s_lshl_b32 s38, s8, 4
	s_ashr_i32 s7, s0, 5
	s_add_i32 s0, s38, 16
	v_lshrrev_b32_e32 v26, 6, v0
	s_min_i32 s16, s0, s7
	v_or_b32_e32 v14, s38, v26
	v_cmp_gt_i32_e64 s[0:1], s16, v14
	v_mov_b32_e32 v29, 0xff7fffff
	s_mul_i32 s14, s2, s14
	v_ashrrev_i32_e32 v15, 31, v14
	v_lshl_add_u32 v1, v26, 5, s9
	v_mbcnt_lo_u32_b32 v23, -1, 0
	s_and_saveexec_b64 s[40:41], s[0:1]
	s_cbranch_execz .LBB172_20
; %bb.11:
	s_load_dwordx2 s[2:3], s[4:5], 0x20
	s_ashr_i32 s15, s14, 31
	s_sub_i32 s50, s48, s17
	s_lshl_b64 s[4:5], s[14:15], 1
	v_bfe_u32 v24, v0, 1, 5
	s_waitcnt lgkmcnt(0)
	s_add_u32 s2, s2, s4
	s_addc_u32 s3, s3, s5
	s_abs_i32 s15, s18
	v_cvt_f32_u32_e32 v5, s15
	v_lshlrev_b32_e32 v3, 4, v24
	v_mov_b32_e32 v4, s3
	v_add_co_u32_e64 v3, s[2:3], s2, v3
	v_rcp_iflag_f32_e32 v5, v5
	v_addc_co_u32_e64 v4, s[2:3], 0, v4, s[2:3]
	v_and_b32_e32 v6, 8, v22
	v_add_co_u32_e64 v25, s[2:3], v3, v6
	v_mul_f32_e32 v3, 0x4f7ffffe, v5
	v_cvt_u32_f32_e32 v3, v3
	s_sub_i32 s4, 0, s15
	v_cmp_eq_u32_e32 vcc, 0, v2
	v_lshlrev_b32_e32 v28, 6, v2
	v_mul_lo_u32 v2, s4, v3
	s_lshl_b64 s[4:5], s[34:35], 2
	v_mul_hi_u32 v2, v3, v2
	s_add_u32 s4, s30, s4
	v_add_u32_e32 v30, v3, v2
	v_lshlrev_b64 v[2:3], 2, v[14:15]
	s_addc_u32 s5, s31, s5
	v_addc_co_u32_e64 v27, s[2:3], 0, v4, s[2:3]
	v_mov_b32_e32 v4, s5
	v_add_co_u32_e64 v2, s[4:5], s4, v2
	v_addc_co_u32_e64 v3, s[4:5], v4, v3, s[4:5]
	v_lshlrev_b32_e32 v4, 2, v24
	v_lshl_or_b32 v4, v26, 7, v4
	v_add_u32_e32 v32, 0x90, v4
	v_subrev_u32_e32 v4, s33, v24
	v_mbcnt_hi_u32_b32 v35, -1, v23
	v_add_u32_e32 v33, 1, v4
	v_and_b32_e32 v4, 64, v35
	s_mov_b32 s51, s13
	v_cmp_neq_f32_e64 s[2:3], s49, 0
	v_lshl_add_u32 v31, v26, 5, s9
	s_mov_b64 s[42:43], 0
	v_mov_b32_e32 v34, 0xff7fffff
	v_xor_b32_e32 v36, 1, v35
	v_add_u32_e32 v37, 64, v4
	v_mov_b32_e32 v29, 0xff7fffff
	v_mov_b32_e32 v38, v14
	s_branch .LBB172_14
.LBB172_12:                             ;   in Loop: Header=BB172_14 Depth=1
	s_or_b64 exec, exec, s[44:45]
.LBB172_13:                             ;   in Loop: Header=BB172_14 Depth=1
	s_or_b64 exec, exec, s[10:11]
	v_add_co_u32_e64 v2, s[4:5], 8, v2
	v_add_u32_e32 v38, 2, v38
	v_addc_co_u32_e64 v3, s[4:5], 0, v3, s[4:5]
	v_cmp_le_i32_e64 s[4:5], s16, v38
	v_add_u32_e32 v31, 64, v31
	s_or_b64 s[42:43], s[4:5], s[42:43]
	v_add_u32_e32 v32, 0x100, v32
	s_andn2_b64 exec, exec, s[42:43]
	s_cbranch_execz .LBB172_19
.LBB172_14:                             ; =>This Inner Loop Header: Depth=1
	s_waitcnt lgkmcnt(0)
	v_sub_u32_e32 v5, 0, v31
	v_max_i32_e32 v5, v31, v5
	v_mul_hi_u32 v6, v5, s46
	v_mul_lo_u32 v7, v6, s27
	v_sub_u32_e32 v5, v5, v7
	v_add_u32_e32 v7, 1, v6
	v_cmp_le_u32_e64 s[4:5], s27, v5
	v_cndmask_b32_e64 v6, v6, v7, s[4:5]
	v_subrev_u32_e32 v7, s27, v5
	v_cndmask_b32_e64 v5, v5, v7, s[4:5]
	v_ashrrev_i32_e32 v4, 31, v31
	v_add_u32_e32 v7, 1, v6
	v_cmp_le_u32_e64 s[4:5], s27, v5
	v_xor_b32_e32 v4, s19, v4
	v_cndmask_b32_e64 v5, v6, v7, s[4:5]
	v_xor_b32_e32 v5, v5, v4
	v_sub_u32_e32 v4, v5, v4
	v_add_u32_e32 v5, s47, v4
	v_sub_u32_e32 v7, 0, v5
	v_ashrrev_i32_e32 v6, 31, v5
	v_max_i32_e32 v5, v5, v7
	v_mul_hi_u32 v7, v5, v30
	v_mul_lo_u32 v7, v7, s15
	v_sub_u32_e32 v5, v5, v7
	v_subrev_u32_e32 v7, s15, v5
	v_cmp_le_u32_e64 s[4:5], s15, v5
	v_cndmask_b32_e64 v5, v5, v7, s[4:5]
	v_subrev_u32_e32 v7, s15, v5
	v_cmp_le_u32_e64 s[4:5], s15, v5
	v_cndmask_b32_e64 v5, v5, v7, s[4:5]
	v_xor_b32_e32 v5, v5, v6
	v_sub_u32_e32 v5, v5, v6
	v_cmp_ne_u32_e64 s[4:5], 0, v5
	v_cmp_ge_i32_e64 s[10:11], s50, v4
	s_and_b64 s[4:5], s[4:5], s[10:11]
	s_and_b64 s[44:45], vcc, s[4:5]
	s_and_saveexec_b64 s[10:11], s[44:45]
	s_cbranch_execz .LBB172_16
; %bb.15:                               ;   in Loop: Header=BB172_14 Depth=1
	ds_write_b32 v32, v34
.LBB172_16:                             ;   in Loop: Header=BB172_14 Depth=1
	s_or_b64 exec, exec, s[10:11]
	s_xor_b64 s[4:5], s[4:5], -1
	s_and_saveexec_b64 s[10:11], s[4:5]
	s_cbranch_execz .LBB172_13
; %bb.17:                               ;   in Loop: Header=BB172_14 Depth=1
	global_load_dword v4, v[2:3], off
	s_waitcnt vmcnt(0)
	v_mad_i64_i32 v[4:5], s[4:5], v4, s51, 0
	v_lshlrev_b64 v[4:5], 1, v[4:5]
	v_add_co_u32_e64 v12, s[4:5], v25, v4
	v_addc_co_u32_e64 v13, s[4:5], v27, v5, s[4:5]
	global_load_dwordx2 v[10:11], v[12:13], off
	global_load_dwordx2 v[8:9], v[12:13], off offset:512
	global_load_dwordx2 v[6:7], v[12:13], off offset:1024
	;; [unrolled: 1-line block ×6, first 2 shown]
	s_nop 0
	global_load_dwordx2 v[12:13], v[12:13], off offset:3584
	ds_read_b128 v[40:43], v28
	ds_read_b128 v[44:47], v28 offset:16
	ds_read_b128 v[48:51], v28 offset:32
	;; [unrolled: 1-line block ×3, first 2 shown]
	v_cmp_lt_i32_e64 s[4:5], v36, v37
	s_waitcnt lgkmcnt(3)
	v_lshlrev_b32_e32 v58, 16, v42
	v_and_b32_e32 v42, 0xffff0000, v42
	v_lshlrev_b32_e32 v56, 16, v40
	v_lshlrev_b32_e32 v59, 16, v43
	v_and_b32_e32 v40, 0xffff0000, v40
	v_lshlrev_b32_e32 v57, 16, v41
	s_waitcnt lgkmcnt(2)
	v_lshlrev_b32_e32 v60, 16, v44
	v_and_b32_e32 v43, 0xffff0000, v43
	v_and_b32_e32 v44, 0xffff0000, v44
	v_lshlrev_b32_e32 v61, 16, v45
	v_lshlrev_b32_e32 v62, 16, v46
	v_and_b32_e32 v41, 0xffff0000, v41
	v_and_b32_e32 v46, 0xffff0000, v46
	v_lshlrev_b32_e32 v63, 16, v47
	s_waitcnt lgkmcnt(1)
	v_lshlrev_b32_e32 v64, 16, v48
	v_and_b32_e32 v45, 0xffff0000, v45
	v_and_b32_e32 v48, 0xffff0000, v48
	v_lshlrev_b32_e32 v65, 16, v49
	v_lshlrev_b32_e32 v66, 16, v50
	v_and_b32_e32 v47, 0xffff0000, v47
	;; [unrolled: 9-line block ×3, first 2 shown]
	v_and_b32_e32 v54, 0xffff0000, v54
	v_lshlrev_b32_e32 v71, 16, v55
	v_and_b32_e32 v53, 0xffff0000, v53
	v_and_b32_e32 v55, 0xffff0000, v55
	v_cndmask_b32_e64 v39, v35, v36, s[4:5]
	v_lshlrev_b32_e32 v39, 2, v39
	s_waitcnt vmcnt(7)
	v_lshlrev_b32_e32 v72, 16, v10
	s_waitcnt vmcnt(6)
	v_lshlrev_b32_e32 v74, 16, v8
	v_and_b32_e32 v8, 0xffff0000, v8
	v_and_b32_e32 v10, 0xffff0000, v10
	v_lshlrev_b32_e32 v75, 16, v9
	v_mul_f32_e32 v58, v58, v74
	v_mul_f32_e32 v8, v42, v8
	v_lshlrev_b32_e32 v73, 16, v11
	v_and_b32_e32 v9, 0xffff0000, v9
	s_waitcnt vmcnt(5)
	v_lshlrev_b32_e32 v76, 16, v6
	v_and_b32_e32 v6, 0xffff0000, v6
	v_mul_f32_e32 v42, v59, v75
	v_fmac_f32_e32 v58, v56, v72
	v_fmac_f32_e32 v8, v40, v10
	v_and_b32_e32 v11, 0xffff0000, v11
	v_lshlrev_b32_e32 v77, 16, v7
	s_waitcnt vmcnt(4)
	v_lshlrev_b32_e32 v78, 16, v4
	v_and_b32_e32 v4, 0xffff0000, v4
	v_mul_f32_e32 v9, v43, v9
	v_fmac_f32_e32 v42, v57, v73
	v_fmac_f32_e32 v58, v60, v76
	v_fmac_f32_e32 v8, v44, v6
	v_and_b32_e32 v7, 0xffff0000, v7
	v_lshlrev_b32_e32 v79, 16, v5
	s_waitcnt vmcnt(3)
	v_lshlrev_b32_e32 v80, 16, v20
	v_and_b32_e32 v20, 0xffff0000, v20
	v_fmac_f32_e32 v9, v41, v11
	v_fmac_f32_e32 v42, v61, v77
	v_fmac_f32_e32 v58, v62, v78
	v_fmac_f32_e32 v8, v46, v4
	v_and_b32_e32 v5, 0xffff0000, v5
	v_lshlrev_b32_e32 v81, 16, v21
	s_waitcnt vmcnt(2)
	v_lshlrev_b32_e32 v82, 16, v18
	v_and_b32_e32 v18, 0xffff0000, v18
	v_fmac_f32_e32 v9, v45, v7
	;; [unrolled: 9-line block ×4, first 2 shown]
	v_fmac_f32_e32 v42, v67, v83
	v_fmac_f32_e32 v58, v68, v84
	;; [unrolled: 1-line block ×3, first 2 shown]
	v_and_b32_e32 v17, 0xffff0000, v17
	v_lshlrev_b32_e32 v87, 16, v13
	v_fmac_f32_e32 v9, v51, v19
	v_fmac_f32_e32 v42, v69, v85
	;; [unrolled: 1-line block ×4, first 2 shown]
	v_and_b32_e32 v13, 0xffff0000, v13
	v_fmac_f32_e32 v9, v53, v17
	v_fmac_f32_e32 v42, v71, v87
	v_add_f32_e32 v4, v58, v8
	v_fmac_f32_e32 v9, v55, v13
	v_add_f32_e32 v4, v4, v42
	v_add_f32_e32 v4, v9, v4
	ds_bpermute_b32 v5, v39, v4
	s_and_saveexec_b64 s[44:45], vcc
	s_cbranch_execz .LBB172_12
; %bb.18:                               ;   in Loop: Header=BB172_14 Depth=1
	v_add_u32_e32 v6, v33, v31
	v_cvt_f32_i32_e32 v6, v6
	s_waitcnt lgkmcnt(0)
	v_add_f32_e32 v4, v4, v5
	v_add_u32_e32 v7, v24, v31
	v_cmp_gt_i32_e64 s[4:5], s33, v7
	v_mul_f32_e32 v5, s49, v6
	v_cndmask_b32_e64 v5, 0, v5, s[2:3]
	v_fmac_f32_e32 v5, s39, v4
	v_cndmask_b32_e64 v4, 0, v5, s[4:5]
	ds_write_b32 v32, v4
	v_max_f32_e32 v4, v29, v29
	v_max_f32_e32 v4, v4, v5
	v_cndmask_b32_e64 v29, v29, v4, s[4:5]
	s_branch .LBB172_12
.LBB172_19:
	s_or_b64 exec, exec, s[42:43]
.LBB172_20:
	s_or_b64 exec, exec, s[40:41]
	v_mbcnt_hi_u32_b32 v4, -1, v23
	v_and_b32_e32 v2, 64, v4
	v_add_u32_e32 v9, 64, v2
	v_xor_b32_e32 v2, 32, v4
	v_cmp_lt_i32_e32 vcc, v2, v9
	v_cndmask_b32_e32 v2, v4, v2, vcc
	v_lshlrev_b32_e32 v2, 2, v2
	ds_bpermute_b32 v3, v2, v29
	v_xor_b32_e32 v6, 16, v4
	s_waitcnt lgkmcnt(1)
	v_max_f32_e32 v5, v29, v29
	v_cmp_lt_i32_e32 vcc, v6, v9
	v_xor_b32_e32 v7, 8, v4
	s_waitcnt lgkmcnt(0)
	v_max_f32_e32 v3, v3, v3
	v_max_f32_e32 v5, v5, v3
	v_cndmask_b32_e32 v3, v4, v6, vcc
	v_lshlrev_b32_e32 v3, 2, v3
	ds_bpermute_b32 v6, v3, v5
	v_cmp_lt_i32_e32 vcc, v7, v9
	v_xor_b32_e32 v8, 4, v4
	v_xor_b32_e32 v10, 2, v4
	v_and_b32_e32 v18, 63, v0
	s_waitcnt lgkmcnt(0)
	v_max_f32_e32 v6, v6, v6
	v_max_f32_e32 v6, v5, v6
	v_cndmask_b32_e32 v5, v4, v7, vcc
	v_lshlrev_b32_e32 v5, 2, v5
	ds_bpermute_b32 v7, v5, v6
	v_cmp_lt_i32_e32 vcc, v8, v9
	s_waitcnt lgkmcnt(0)
	v_max_f32_e32 v7, v7, v7
	v_max_f32_e32 v7, v6, v7
	v_cndmask_b32_e32 v6, v4, v8, vcc
	v_lshlrev_b32_e32 v6, 2, v6
	ds_bpermute_b32 v8, v6, v7
	v_cmp_lt_i32_e32 vcc, v10, v9
	s_waitcnt lgkmcnt(0)
	v_max_f32_e32 v8, v8, v8
	v_max_f32_e32 v8, v7, v8
	v_cndmask_b32_e32 v7, v4, v10, vcc
	v_lshlrev_b32_e32 v19, 2, v7
	ds_bpermute_b32 v10, v19, v8
	v_cmp_eq_u32_e32 vcc, 0, v18
	v_lshlrev_b32_e32 v7, 2, v26
	s_and_saveexec_b64 s[2:3], vcc
	s_cbranch_execz .LBB172_22
; %bb.21:
	s_waitcnt lgkmcnt(0)
	v_max_f32_e32 v10, v10, v10
	v_max_f32_e32 v8, v8, v8
	;; [unrolled: 1-line block ×3, first 2 shown]
	ds_write_b32 v7, v8 offset:128
.LBB172_22:
	s_or_b64 exec, exec, s[2:3]
	v_cmp_gt_u32_e64 s[2:3], 2, v18
	s_waitcnt lgkmcnt(0)
	v_mov_b32_e32 v10, 0xff7fffff
	v_lshlrev_b32_e32 v8, 2, v18
	s_barrier
	s_and_saveexec_b64 s[4:5], s[2:3]
	s_cbranch_execz .LBB172_24
; %bb.23:
	ds_read_b32 v10, v8 offset:128
.LBB172_24:
	s_or_b64 exec, exec, s[4:5]
	v_xor_b32_e32 v11, 1, v4
	v_cmp_lt_i32_e64 s[4:5], v11, v9
	v_cndmask_b32_e64 v9, v4, v11, s[4:5]
	v_lshlrev_b32_e32 v20, 2, v9
	s_waitcnt lgkmcnt(0)
	ds_bpermute_b32 v9, v20, v10
	v_max_f32_e32 v10, v10, v10
	v_lshlrev_b32_e32 v4, 2, v4
	s_sub_i32 s4, s16, s38
	s_lshl_b32 s4, s4, 5
	s_waitcnt lgkmcnt(0)
	v_max_f32_e32 v9, v9, v9
	v_max_f32_e32 v10, v10, v9
	v_and_b32_e32 v9, 0x100, v4
	ds_bpermute_b32 v4, v9, v10
	s_add_i32 s4, s4, s9
	s_min_i32 s42, s4, s33
	s_sub_i32 s15, s42, s9
	v_cmp_gt_i32_e64 s[4:5], s15, v0
	v_mov_b32_e32 v10, 0
	s_and_saveexec_b64 s[38:39], s[4:5]
	s_cbranch_execz .LBB172_28
; %bb.25:
	v_mov_b32_e32 v10, 0x90
	v_lshl_add_u32 v11, v0, 2, v10
	s_mov_b64 s[40:41], 0
	v_mov_b32_e32 v10, 0
	v_mov_b32_e32 v12, v0
.LBB172_26:                             ; =>This Inner Loop Header: Depth=1
	ds_read_b32 v13, v11
	v_add_u32_e32 v12, 0x80, v12
	v_cmp_le_i32_e64 s[10:11], s15, v12
	s_or_b64 s[40:41], s[10:11], s[40:41]
	s_waitcnt lgkmcnt(0)
	v_sub_f32_e32 v13, v13, v4
	v_mul_f32_e32 v13, 0x3fb8aa3b, v13
	v_exp_f32_e32 v13, v13
	ds_write_b32 v11, v13
	v_add_f32_e32 v10, v10, v13
	v_add_u32_e32 v11, 0x200, v11
	s_andn2_b64 exec, exec, s[40:41]
	s_cbranch_execnz .LBB172_26
; %bb.27:
	s_or_b64 exec, exec, s[40:41]
.LBB172_28:
	s_or_b64 exec, exec, s[38:39]
	ds_bpermute_b32 v2, v2, v10
	s_waitcnt lgkmcnt(0)
	v_add_f32_e32 v2, v10, v2
	ds_bpermute_b32 v3, v3, v2
	s_waitcnt lgkmcnt(0)
	v_add_f32_e32 v2, v2, v3
	;; [unrolled: 3-line block ×6, first 2 shown]
	s_and_saveexec_b64 s[10:11], vcc
	s_cbranch_execz .LBB172_30
; %bb.29:
	ds_write_b32 v7, v2 offset:136
.LBB172_30:
	s_or_b64 exec, exec, s[10:11]
	s_waitcnt lgkmcnt(0)
	s_barrier
	s_and_saveexec_b64 s[10:11], s[2:3]
	s_cbranch_execz .LBB172_32
; %bb.31:
	ds_read_b32 v2, v8 offset:136
.LBB172_32:
	s_or_b64 exec, exec, s[10:11]
	s_waitcnt lgkmcnt(0)
	ds_bpermute_b32 v3, v20, v2
	s_waitcnt lgkmcnt(0)
	v_add_f32_e32 v2, v2, v3
	ds_bpermute_b32 v5, v9, v2
	s_and_saveexec_b64 s[2:3], s[4:5]
	s_cbranch_execz .LBB172_45
; %bb.33:
	s_waitcnt lgkmcnt(0)
	v_add_f32_e32 v2, 0x358637bd, v5
	v_div_scale_f32 v3, s[4:5], v2, v2, 1.0
	v_rcp_f32_e32 v6, v3
	v_div_scale_f32 v7, vcc, 1.0, v2, 1.0
	s_movk_i32 s4, 0x7f
	v_fma_f32 v8, -v3, v6, 1.0
	v_fmac_f32_e32 v6, v8, v6
	v_mul_f32_e32 v8, v7, v6
	v_fma_f32 v9, -v3, v8, v7
	v_fmac_f32_e32 v8, v9, v6
	v_fma_f32 v3, -v3, v8, v7
	v_div_fmas_f32 v3, v3, v6, v8
	v_div_fixup_f32 v2, v3, v2, 1.0
	v_xad_u32 v3, v0, -1, s42
	v_subrev_u32_e32 v6, s9, v3
	v_cmp_lt_u32_e32 vcc, s4, v6
	s_mov_b64 s[10:11], -1
	v_mov_b32_e32 v3, v0
	s_and_saveexec_b64 s[4:5], vcc
	s_cbranch_execz .LBB172_42
; %bb.34:
	v_lshrrev_b32_e32 v6, 7, v6
	v_add_u32_e32 v8, -1, v6
	v_lshrrev_b32_e32 v7, 1, v8
	v_mov_b32_e32 v3, v2
	v_add_u32_e32 v7, 1, v7
	v_cmp_lt_u32_e32 vcc, 13, v8
	v_mov_b32_e32 v10, 0
	s_and_saveexec_b64 s[10:11], vcc
	s_cbranch_execz .LBB172_38
; %bb.35:
	v_mov_b32_e32 v9, 0x90
	v_and_b32_e32 v8, -8, v7
	v_lshl_add_u32 v9, v0, 2, v9
	s_mov_b32 s9, 0
	s_mov_b64 s[38:39], 0
.LBB172_36:                             ; =>This Inner Loop Header: Depth=1
	ds_read2st64_b32 v[10:11], v9 offset1:2
	ds_read2st64_b32 v[12:13], v9 offset0:4 offset1:6
	ds_read2st64_b32 v[16:17], v9 offset0:8 offset1:10
	;; [unrolled: 1-line block ×3, first 2 shown]
	v_add_u32_e32 v8, -8, v8
	s_waitcnt lgkmcnt(3)
	v_pk_mul_f32 v[10:11], v[2:3], v[10:11]
	s_waitcnt lgkmcnt(2)
	v_pk_mul_f32 v[12:13], v[2:3], v[12:13]
	ds_write2st64_b32 v9, v10, v11 offset1:2
	ds_write2st64_b32 v9, v12, v13 offset0:4 offset1:6
	ds_read2st64_b32 v[12:13], v9 offset0:16 offset1:18
	s_waitcnt lgkmcnt(4)
	v_pk_mul_f32 v[10:11], v[2:3], v[16:17]
	ds_write2st64_b32 v9, v10, v11 offset0:8 offset1:10
	s_waitcnt lgkmcnt(4)
	v_pk_mul_f32 v[10:11], v[2:3], v[24:25]
	ds_write2st64_b32 v9, v10, v11 offset0:12 offset1:14
	ds_read2st64_b32 v[10:11], v9 offset0:20 offset1:22
	s_waitcnt lgkmcnt(3)
	v_pk_mul_f32 v[12:13], v[2:3], v[12:13]
	ds_read2st64_b32 v[16:17], v9 offset0:24 offset1:26
	ds_write2st64_b32 v9, v12, v13 offset0:16 offset1:18
	ds_read2st64_b32 v[12:13], v9 offset0:28 offset1:30
	s_waitcnt lgkmcnt(3)
	v_pk_mul_f32 v[10:11], v[2:3], v[10:11]
	ds_write2st64_b32 v9, v10, v11 offset0:20 offset1:22
	s_waitcnt lgkmcnt(3)
	v_pk_mul_f32 v[10:11], v[2:3], v[16:17]
	ds_write2st64_b32 v9, v10, v11 offset0:24 offset1:26
	s_waitcnt lgkmcnt(2)
	v_pk_mul_f32 v[10:11], v[2:3], v[12:13]
	s_add_i32 s9, s9, 16
	v_cmp_eq_u32_e32 vcc, 0, v8
	ds_write2st64_b32 v9, v10, v11 offset0:28 offset1:30
	v_add_u32_e32 v9, 0x2000, v9
	s_or_b64 s[38:39], vcc, s[38:39]
	v_mov_b32_e32 v10, s9
	s_andn2_b64 exec, exec, s[38:39]
	s_cbranch_execnz .LBB172_36
; %bb.37:
	s_or_b64 exec, exec, s[38:39]
.LBB172_38:
	s_or_b64 exec, exec, s[10:11]
	v_and_b32_e32 v7, 7, v7
	v_cmp_ne_u32_e32 vcc, 0, v7
	s_and_saveexec_b64 s[10:11], vcc
	s_cbranch_execz .LBB172_41
; %bb.39:
	v_lshlrev_b32_e32 v8, 9, v10
	v_lshlrev_b32_e32 v9, 2, v0
	s_movk_i32 s9, 0x90
	v_add3_u32 v8, v8, v9, s9
	s_mov_b64 s[38:39], 0
.LBB172_40:                             ; =>This Inner Loop Header: Depth=1
	ds_read2st64_b32 v[10:11], v8 offset1:2
	v_add_u32_e32 v7, -1, v7
	v_cmp_eq_u32_e32 vcc, 0, v7
	s_or_b64 s[38:39], vcc, s[38:39]
	s_waitcnt lgkmcnt(0)
	v_pk_mul_f32 v[10:11], v[2:3], v[10:11]
	ds_write2st64_b32 v8, v10, v11 offset1:2
	v_add_u32_e32 v8, 0x400, v8
	s_andn2_b64 exec, exec, s[38:39]
	s_cbranch_execnz .LBB172_40
.LBB172_41:
	s_or_b64 exec, exec, s[10:11]
	v_add_u32_e32 v6, 1, v6
	v_and_b32_e32 v7, 0x3fffffe, v6
	v_cmp_ne_u32_e32 vcc, v6, v7
	v_lshl_add_u32 v3, v7, 7, v0
	s_orn2_b64 s[10:11], vcc, exec
.LBB172_42:
	s_or_b64 exec, exec, s[4:5]
	s_and_b64 exec, exec, s[10:11]
	s_cbranch_execz .LBB172_45
; %bb.43:
	v_mov_b32_e32 v6, 0x90
	v_lshl_add_u32 v6, v3, 2, v6
	s_mov_b64 s[4:5], 0
.LBB172_44:                             ; =>This Inner Loop Header: Depth=1
	ds_read_b32 v7, v6
	v_add_u32_e32 v3, 0x80, v3
	v_cmp_le_i32_e32 vcc, s15, v3
	s_or_b64 s[4:5], vcc, s[4:5]
	s_waitcnt lgkmcnt(0)
	v_mul_f32_e32 v7, v2, v7
	ds_write_b32 v6, v7
	v_add_u32_e32 v6, 0x200, v6
	s_andn2_b64 exec, exec, s[4:5]
	s_cbranch_execnz .LBB172_44
.LBB172_45:
	s_or_b64 exec, exec, s[2:3]
	v_cmp_eq_u32_e32 vcc, 0, v0
	s_waitcnt lgkmcnt(0)
	s_barrier
	s_and_saveexec_b64 s[2:3], vcc
	s_cbranch_execz .LBB172_47
; %bb.46:
	s_mul_i32 s4, s12, s24
	s_mul_i32 s4, s4, s25
	s_ashr_i32 s5, s4, 31
	s_lshl_b64 s[4:5], s[4:5], 2
	s_add_u32 s9, s22, s4
	s_mul_i32 s10, s12, s6
	s_addc_u32 s15, s23, s5
	s_ashr_i32 s11, s10, 31
	s_lshl_b64 s[10:11], s[10:11], 2
	s_add_u32 s6, s9, s10
	s_addc_u32 s15, s15, s11
	s_ashr_i32 s9, s8, 31
	s_lshl_b64 s[22:23], s[8:9], 2
	s_add_u32 s38, s6, s22
	s_addc_u32 s39, s15, s23
	s_add_u32 s4, s20, s4
	s_addc_u32 s5, s21, s5
	;; [unrolled: 2-line block ×3, first 2 shown]
	s_add_u32 s4, s4, s22
	v_mov_b32_e32 v2, 0
	s_addc_u32 s5, s5, s23
	global_store_dword v2, v4, s[38:39]
	global_store_dword v2, v5, s[4:5]
.LBB172_47:
	s_or_b64 exec, exec, s[2:3]
	v_mov_b32_e32 v5, 0
	v_and_b32_e32 v21, 3, v0
	v_mov_b32_e32 v4, 0
	v_mov_b32_e32 v3, 0
	;; [unrolled: 1-line block ×3, first 2 shown]
	s_and_saveexec_b64 s[2:3], s[0:1]
	s_cbranch_execz .LBB172_221
; %bb.48:
	s_ashr_i32 s15, s14, 31
	s_sub_i32 s9, s48, s17
	s_lshl_b64 s[0:1], s[14:15], 1
	s_add_u32 s0, s36, s0
	s_addc_u32 s1, s37, s1
	s_abs_i32 s14, s18
	v_cvt_f32_u32_e32 v2, s14
	s_sub_i32 s4, 0, s14
	v_lshlrev_b32_e32 v3, 4, v0
	v_and_b32_e32 v3, 0x3f0, v3
	v_rcp_iflag_f32_e32 v2, v2
	s_add_i32 s15, s7, -1
	v_add_co_u32_e32 v24, vcc, s0, v3
	v_mul_f32_e32 v2, 0x4f7ffffe, v2
	v_cvt_u32_f32_e32 v2, v2
	s_mov_b32 s20, 0
	s_mov_b32 s21, s20
	;; [unrolled: 1-line block ×3, first 2 shown]
	v_mul_lo_u32 v4, s4, v2
	v_mul_hi_u32 v4, v2, v4
	v_add_u32_e32 v23, v2, v4
	v_mov_b32_e32 v2, s1
	s_lshl_b64 s[0:1], s[34:35], 2
	v_addc_co_u32_e32 v25, vcc, 0, v2, vcc
	v_lshlrev_b64 v[2:3], 2, v[14:15]
	s_add_u32 s0, s30, s0
	s_addc_u32 s1, s31, s1
	v_add_co_u32_e32 v16, vcc, s0, v2
	v_lshlrev_b32_e32 v2, 5, v21
	v_mov_b32_e32 v4, s1
	v_lshl_or_b32 v2, v26, 7, v2
	v_addc_co_u32_e32 v17, vcc, v4, v3, vcc
	v_add_u32_e32 v15, 0x90, v2
	s_mov_b32 s23, s20
	v_pk_mov_b32 v[2:3], s[20:21], s[20:21] op_sel:[0,1]
	v_and_b32_e32 v22, 24, v22
	s_mov_b64 s[4:5], 0
	v_pk_mov_b32 v[4:5], s[22:23], s[22:23] op_sel:[0,1]
	s_mov_b32 s17, 0x7f800000
	s_movk_i32 s18, 0x7fff
	v_mov_b32_e32 v26, 0
	s_branch .LBB172_51
.LBB172_49:                             ;   in Loop: Header=BB172_51 Depth=1
	s_or_b64 exec, exec, s[0:1]
	v_and_b32_e32 v34, 0xffff0000, v30
	v_and_b32_e32 v30, 0xffff0000, v29
	;; [unrolled: 1-line block ×8, first 2 shown]
	v_pk_add_f32 v[12:13], v[12:13], v[28:29]
	v_pk_add_f32 v[28:29], v[30:31], v[34:35]
	v_add_f32_e32 v12, v12, v13
	v_add_f32_e32 v12, v12, v28
	;; [unrolled: 1-line block ×3, first 2 shown]
	v_and_b32_e32 v31, 0xffff0000, v52
	v_and_b32_e32 v30, 0xffff0000, v50
	;; [unrolled: 1-line block ×4, first 2 shown]
	v_add_f32_e32 v2, v2, v12
	v_and_b32_e32 v13, 0xffff0000, v56
	v_and_b32_e32 v12, 0xffff0000, v54
	;; [unrolled: 1-line block ×4, first 2 shown]
	v_pk_add_f32 v[30:31], v[34:35], v[30:31]
	v_pk_add_f32 v[12:13], v[28:29], v[12:13]
	v_add_f32_e32 v27, v30, v31
	v_add_f32_e32 v12, v27, v12
	v_add_f32_e32 v12, v12, v13
	v_and_b32_e32 v31, 0xffff0000, v60
	v_and_b32_e32 v30, 0xffff0000, v58
	;; [unrolled: 1-line block ×4, first 2 shown]
	v_add_f32_e32 v3, v3, v12
	v_and_b32_e32 v13, 0xffff0000, v64
	v_and_b32_e32 v12, 0xffff0000, v62
	;; [unrolled: 1-line block ×4, first 2 shown]
	v_pk_add_f32 v[30:31], v[34:35], v[30:31]
	v_pk_add_f32 v[12:13], v[28:29], v[12:13]
	v_add_f32_e32 v27, v30, v31
	v_add_f32_e32 v12, v27, v12
	;; [unrolled: 1-line block ×3, first 2 shown]
	v_and_b32_e32 v13, 0xffff0000, v11
	v_and_b32_e32 v11, 0xffff0000, v32
	;; [unrolled: 1-line block ×5, first 2 shown]
	v_add_f32_e32 v4, v4, v12
	v_and_b32_e32 v12, 0xffff0000, v33
	v_and_b32_e32 v9, 0xffff0000, v9
	v_and_b32_e32 v8, 0xffff0000, v8
	v_pk_add_f32 v[6:7], v[6:7], v[10:11]
	v_pk_add_f32 v[8:9], v[8:9], v[12:13]
	v_add_f32_e32 v6, v6, v7
	v_add_f32_e32 v6, v6, v8
	v_add_f32_e32 v6, v6, v9
	v_add_f32_e32 v5, v5, v6
.LBB172_50:                             ;   in Loop: Header=BB172_51 Depth=1
	s_or_b64 exec, exec, s[6:7]
	v_add_co_u32_e32 v16, vcc, 8, v16
	v_add_u32_e32 v14, 2, v14
	v_addc_co_u32_e32 v17, vcc, 0, v17, vcc
	v_cmp_le_i32_e32 vcc, s16, v14
	v_add_u32_e32 v1, 64, v1
	s_or_b64 s[4:5], vcc, s[4:5]
	v_add_u32_e32 v15, 0x100, v15
	s_andn2_b64 exec, exec, s[4:5]
	s_cbranch_execz .LBB172_220
.LBB172_51:                             ; =>This Inner Loop Header: Depth=1
	v_sub_u32_e32 v7, 0, v1
	v_max_i32_e32 v7, v1, v7
	v_mul_hi_u32 v8, v7, s46
	v_mul_lo_u32 v9, v8, s27
	v_sub_u32_e32 v7, v7, v9
	v_add_u32_e32 v9, 1, v8
	v_cmp_le_u32_e32 vcc, s27, v7
	v_cndmask_b32_e32 v8, v8, v9, vcc
	v_subrev_u32_e32 v9, s27, v7
	v_cndmask_b32_e32 v7, v7, v9, vcc
	v_ashrrev_i32_e32 v6, 31, v1
	v_add_u32_e32 v9, 1, v8
	v_cmp_le_u32_e32 vcc, s27, v7
	v_xor_b32_e32 v6, s19, v6
	v_cndmask_b32_e32 v7, v8, v9, vcc
	v_xor_b32_e32 v7, v7, v6
	v_sub_u32_e32 v6, v7, v6
	v_add_u32_e32 v7, s47, v6
	v_sub_u32_e32 v9, 0, v7
	v_ashrrev_i32_e32 v8, 31, v7
	v_max_i32_e32 v7, v7, v9
	v_mul_hi_u32 v9, v7, v23
	v_mul_lo_u32 v9, v9, s14
	v_sub_u32_e32 v7, v7, v9
	v_subrev_u32_e32 v9, s14, v7
	v_cmp_le_u32_e32 vcc, s14, v7
	v_cndmask_b32_e32 v7, v7, v9, vcc
	v_subrev_u32_e32 v9, s14, v7
	v_cmp_le_u32_e32 vcc, s14, v7
	v_cndmask_b32_e32 v7, v7, v9, vcc
	v_xor_b32_e32 v7, v7, v8
	v_sub_u32_e32 v7, v7, v8
	v_cmp_eq_u32_e32 vcc, 0, v7
	v_cmp_lt_i32_e64 s[0:1], s9, v6
	s_or_b64 s[0:1], vcc, s[0:1]
	s_and_saveexec_b64 s[6:7], s[0:1]
	s_cbranch_execz .LBB172_50
; %bb.52:                               ;   in Loop: Header=BB172_51 Depth=1
	global_load_dword v32, v[16:17], off
	ds_read2_b64 v[10:13], v15 offset1:1
	ds_read2_b64 v[6:9], v15 offset0:2 offset1:3
                                        ; implicit-def: $vgpr41
	s_waitcnt lgkmcnt(1)
	v_and_b32_e32 v27, 0x7f800000, v10
	v_cmp_ne_u32_e32 vcc, s17, v27
	s_and_saveexec_b64 s[0:1], vcc
	s_xor_b64 s[0:1], exec, s[0:1]
; %bb.53:                               ;   in Loop: Header=BB172_51 Depth=1
	v_bfe_u32 v27, v10, 16, 1
	v_add3_u32 v41, v10, v27, s18
; %bb.54:                               ;   in Loop: Header=BB172_51 Depth=1
	s_andn2_saveexec_b64 s[0:1], s[0:1]
; %bb.55:                               ;   in Loop: Header=BB172_51 Depth=1
	v_or_b32_e32 v27, 0x10000, v10
	v_cmp_eq_u32_sdwa vcc, v10, v26 src0_sel:WORD_0 src1_sel:DWORD
	v_cndmask_b32_e32 v41, v27, v10, vcc
; %bb.56:                               ;   in Loop: Header=BB172_51 Depth=1
	s_or_b64 exec, exec, s[0:1]
	v_and_b32_e32 v10, 0x7f800000, v11
	v_cmp_ne_u32_e32 vcc, s17, v10
                                        ; implicit-def: $vgpr42
	s_and_saveexec_b64 s[0:1], vcc
	s_xor_b64 s[0:1], exec, s[0:1]
; %bb.57:                               ;   in Loop: Header=BB172_51 Depth=1
	v_bfe_u32 v10, v11, 16, 1
	v_add3_u32 v42, v11, v10, s18
; %bb.58:                               ;   in Loop: Header=BB172_51 Depth=1
	s_andn2_saveexec_b64 s[0:1], s[0:1]
; %bb.59:                               ;   in Loop: Header=BB172_51 Depth=1
	v_or_b32_e32 v10, 0x10000, v11
	v_cmp_eq_u32_sdwa vcc, v11, v26 src0_sel:WORD_0 src1_sel:DWORD
	v_cndmask_b32_e32 v42, v10, v11, vcc
; %bb.60:                               ;   in Loop: Header=BB172_51 Depth=1
	s_or_b64 exec, exec, s[0:1]
	v_and_b32_e32 v10, 0x7f800000, v12
	v_cmp_ne_u32_e32 vcc, s17, v10
                                        ; implicit-def: $vgpr27
	s_and_saveexec_b64 s[0:1], vcc
	s_xor_b64 s[0:1], exec, s[0:1]
; %bb.61:                               ;   in Loop: Header=BB172_51 Depth=1
	v_bfe_u32 v10, v12, 16, 1
	v_add3_u32 v27, v12, v10, s18
; %bb.62:                               ;   in Loop: Header=BB172_51 Depth=1
	s_andn2_saveexec_b64 s[0:1], s[0:1]
; %bb.63:                               ;   in Loop: Header=BB172_51 Depth=1
	v_or_b32_e32 v10, 0x10000, v12
	v_cmp_eq_u32_sdwa vcc, v12, v26 src0_sel:WORD_0 src1_sel:DWORD
	v_cndmask_b32_e32 v27, v10, v12, vcc
; %bb.64:                               ;   in Loop: Header=BB172_51 Depth=1
	s_or_b64 exec, exec, s[0:1]
	v_and_b32_e32 v10, 0x7f800000, v13
	v_cmp_ne_u32_e32 vcc, s17, v10
                                        ; implicit-def: $vgpr28
	s_and_saveexec_b64 s[0:1], vcc
	s_xor_b64 s[0:1], exec, s[0:1]
; %bb.65:                               ;   in Loop: Header=BB172_51 Depth=1
	v_bfe_u32 v10, v13, 16, 1
	v_add3_u32 v28, v13, v10, s18
                                        ; implicit-def: $vgpr10_vgpr11_vgpr12_vgpr13
; %bb.66:                               ;   in Loop: Header=BB172_51 Depth=1
	s_andn2_saveexec_b64 s[0:1], s[0:1]
; %bb.67:                               ;   in Loop: Header=BB172_51 Depth=1
	v_or_b32_e32 v10, 0x10000, v13
	v_cmp_eq_u32_sdwa vcc, v13, v26 src0_sel:WORD_0 src1_sel:DWORD
	v_cndmask_b32_e32 v28, v10, v13, vcc
; %bb.68:                               ;   in Loop: Header=BB172_51 Depth=1
	s_or_b64 exec, exec, s[0:1]
	s_waitcnt lgkmcnt(0)
	v_and_b32_e32 v10, 0x7f800000, v6
	v_cmp_ne_u32_e32 vcc, s17, v10
                                        ; implicit-def: $vgpr29
	s_and_saveexec_b64 s[0:1], vcc
	s_xor_b64 s[0:1], exec, s[0:1]
; %bb.69:                               ;   in Loop: Header=BB172_51 Depth=1
	v_bfe_u32 v10, v6, 16, 1
	v_add3_u32 v29, v6, v10, s18
; %bb.70:                               ;   in Loop: Header=BB172_51 Depth=1
	s_andn2_saveexec_b64 s[0:1], s[0:1]
; %bb.71:                               ;   in Loop: Header=BB172_51 Depth=1
	v_or_b32_e32 v10, 0x10000, v6
	v_cmp_eq_u32_sdwa vcc, v6, v26 src0_sel:WORD_0 src1_sel:DWORD
	v_cndmask_b32_e32 v29, v10, v6, vcc
; %bb.72:                               ;   in Loop: Header=BB172_51 Depth=1
	s_or_b64 exec, exec, s[0:1]
	v_and_b32_e32 v6, 0x7f800000, v7
	v_cmp_ne_u32_e32 vcc, s17, v6
                                        ; implicit-def: $vgpr30
	s_and_saveexec_b64 s[0:1], vcc
	s_xor_b64 s[0:1], exec, s[0:1]
; %bb.73:                               ;   in Loop: Header=BB172_51 Depth=1
	v_bfe_u32 v6, v7, 16, 1
	v_add3_u32 v30, v7, v6, s18
; %bb.74:                               ;   in Loop: Header=BB172_51 Depth=1
	s_andn2_saveexec_b64 s[0:1], s[0:1]
; %bb.75:                               ;   in Loop: Header=BB172_51 Depth=1
	v_or_b32_e32 v6, 0x10000, v7
	v_cmp_eq_u32_sdwa vcc, v7, v26 src0_sel:WORD_0 src1_sel:DWORD
	v_cndmask_b32_e32 v30, v6, v7, vcc
; %bb.76:                               ;   in Loop: Header=BB172_51 Depth=1
	s_or_b64 exec, exec, s[0:1]
	v_and_b32_e32 v6, 0x7f800000, v8
	v_cmp_ne_u32_e32 vcc, s17, v6
                                        ; implicit-def: $vgpr31
	s_and_saveexec_b64 s[0:1], vcc
	s_xor_b64 s[0:1], exec, s[0:1]
; %bb.77:                               ;   in Loop: Header=BB172_51 Depth=1
	v_bfe_u32 v6, v8, 16, 1
	v_add3_u32 v31, v8, v6, s18
; %bb.78:                               ;   in Loop: Header=BB172_51 Depth=1
	s_andn2_saveexec_b64 s[0:1], s[0:1]
; %bb.79:                               ;   in Loop: Header=BB172_51 Depth=1
	v_or_b32_e32 v6, 0x10000, v8
	v_cmp_eq_u32_sdwa vcc, v8, v26 src0_sel:WORD_0 src1_sel:DWORD
	v_cndmask_b32_e32 v31, v6, v8, vcc
; %bb.80:                               ;   in Loop: Header=BB172_51 Depth=1
	s_or_b64 exec, exec, s[0:1]
	v_and_b32_e32 v6, 0x7f800000, v9
	v_cmp_ne_u32_e32 vcc, s17, v6
                                        ; implicit-def: $vgpr40
	s_and_saveexec_b64 s[0:1], vcc
	s_xor_b64 s[0:1], exec, s[0:1]
; %bb.81:                               ;   in Loop: Header=BB172_51 Depth=1
	v_bfe_u32 v6, v9, 16, 1
	v_add3_u32 v40, v9, v6, s18
                                        ; implicit-def: $vgpr6_vgpr7_vgpr8_vgpr9
; %bb.82:                               ;   in Loop: Header=BB172_51 Depth=1
	s_andn2_saveexec_b64 s[0:1], s[0:1]
; %bb.83:                               ;   in Loop: Header=BB172_51 Depth=1
	v_or_b32_e32 v6, 0x10000, v9
	v_cmp_eq_u32_sdwa vcc, v9, v26 src0_sel:WORD_0 src1_sel:DWORD
	v_cndmask_b32_e32 v40, v6, v9, vcc
; %bb.84:                               ;   in Loop: Header=BB172_51 Depth=1
	s_or_b64 exec, exec, s[0:1]
	s_waitcnt vmcnt(0)
	v_mad_i64_i32 v[6:7], s[0:1], v32, s13, 0
	v_lshlrev_b64 v[6:7], 1, v[6:7]
	v_add_co_u32_e32 v10, vcc, v24, v6
	v_addc_co_u32_e32 v11, vcc, v25, v7, vcc
	global_load_dwordx4 v[6:9], v[10:11], off
	v_add_u32_e32 v32, v22, v1
	v_cmp_eq_u32_e32 vcc, s15, v14
	v_add_u32_e32 v39, 1, v32
	v_add_u32_e32 v38, 2, v32
	;; [unrolled: 1-line block ×7, first 2 shown]
	s_waitcnt vmcnt(0)
	v_lshrrev_b32_e32 v13, 16, v6
	v_lshrrev_b32_e32 v45, 16, v7
	;; [unrolled: 1-line block ×4, first 2 shown]
	s_and_saveexec_b64 s[10:11], vcc
	s_cbranch_execz .LBB172_86
; %bb.85:                               ;   in Loop: Header=BB172_51 Depth=1
	v_cmp_gt_i32_e64 s[0:1], s33, v32
	v_cndmask_b32_e64 v6, 0, v6, s[0:1]
	v_cmp_gt_i32_e64 s[0:1], s33, v39
	v_cndmask_b32_e64 v13, 0, v13, s[0:1]
	;; [unrolled: 2-line block ×8, first 2 shown]
.LBB172_86:                             ;   in Loop: Header=BB172_51 Depth=1
	s_or_b64 exec, exec, s[10:11]
	v_and_b32_e32 v41, 0xffff0000, v41
	v_lshlrev_b32_e32 v6, 16, v6
	v_mul_f32_e32 v6, v41, v6
	v_and_b32_e32 v12, 0x7f800000, v6
	v_cmp_ne_u32_e64 s[0:1], s17, v12
                                        ; implicit-def: $vgpr12
	s_and_saveexec_b64 s[10:11], s[0:1]
	s_xor_b64 s[0:1], exec, s[10:11]
; %bb.87:                               ;   in Loop: Header=BB172_51 Depth=1
	v_bfe_u32 v12, v6, 16, 1
	v_add3_u32 v12, v6, v12, s18
                                        ; implicit-def: $vgpr6
; %bb.88:                               ;   in Loop: Header=BB172_51 Depth=1
	s_andn2_saveexec_b64 s[10:11], s[0:1]
; %bb.89:                               ;   in Loop: Header=BB172_51 Depth=1
	v_or_b32_e32 v12, 0x10000, v6
	v_cmp_eq_u32_sdwa s[0:1], v6, v26 src0_sel:WORD_0 src1_sel:DWORD
	v_cndmask_b32_e64 v12, v12, v6, s[0:1]
; %bb.90:                               ;   in Loop: Header=BB172_51 Depth=1
	s_or_b64 exec, exec, s[10:11]
	v_and_b32_e32 v42, 0xffff0000, v42
	v_lshlrev_b32_e32 v6, 16, v13
	v_mul_f32_e32 v6, v42, v6
	v_and_b32_e32 v13, 0x7f800000, v6
	v_cmp_ne_u32_e64 s[0:1], s17, v13
                                        ; implicit-def: $vgpr13
	s_and_saveexec_b64 s[10:11], s[0:1]
	s_xor_b64 s[0:1], exec, s[10:11]
; %bb.91:                               ;   in Loop: Header=BB172_51 Depth=1
	v_bfe_u32 v13, v6, 16, 1
	v_add3_u32 v13, v6, v13, s18
                                        ; implicit-def: $vgpr6
; %bb.92:                               ;   in Loop: Header=BB172_51 Depth=1
	s_andn2_saveexec_b64 s[10:11], s[0:1]
; %bb.93:                               ;   in Loop: Header=BB172_51 Depth=1
	v_or_b32_e32 v13, 0x10000, v6
	v_cmp_eq_u32_sdwa s[0:1], v6, v26 src0_sel:WORD_0 src1_sel:DWORD
	v_cndmask_b32_e64 v13, v13, v6, s[0:1]
; %bb.94:                               ;   in Loop: Header=BB172_51 Depth=1
	s_or_b64 exec, exec, s[10:11]
	v_and_b32_e32 v43, 0xffff0000, v27
	v_lshlrev_b32_e32 v6, 16, v7
	v_mul_f32_e32 v6, v43, v6
	v_and_b32_e32 v7, 0x7f800000, v6
	v_cmp_ne_u32_e64 s[0:1], s17, v7
                                        ; implicit-def: $vgpr27
	s_and_saveexec_b64 s[10:11], s[0:1]
	s_xor_b64 s[0:1], exec, s[10:11]
; %bb.95:                               ;   in Loop: Header=BB172_51 Depth=1
	v_bfe_u32 v7, v6, 16, 1
	v_add3_u32 v27, v6, v7, s18
                                        ; implicit-def: $vgpr6
; %bb.96:                               ;   in Loop: Header=BB172_51 Depth=1
	s_andn2_saveexec_b64 s[10:11], s[0:1]
; %bb.97:                               ;   in Loop: Header=BB172_51 Depth=1
	v_or_b32_e32 v7, 0x10000, v6
	v_cmp_eq_u32_sdwa s[0:1], v6, v26 src0_sel:WORD_0 src1_sel:DWORD
	v_cndmask_b32_e64 v27, v7, v6, s[0:1]
; %bb.98:                               ;   in Loop: Header=BB172_51 Depth=1
	s_or_b64 exec, exec, s[10:11]
	v_and_b32_e32 v44, 0xffff0000, v28
	v_lshlrev_b32_e32 v6, 16, v45
	v_mul_f32_e32 v6, v44, v6
	v_and_b32_e32 v7, 0x7f800000, v6
	v_cmp_ne_u32_e64 s[0:1], s17, v7
                                        ; implicit-def: $vgpr28
	s_and_saveexec_b64 s[10:11], s[0:1]
	s_xor_b64 s[0:1], exec, s[10:11]
; %bb.99:                               ;   in Loop: Header=BB172_51 Depth=1
	v_bfe_u32 v7, v6, 16, 1
	v_add3_u32 v28, v6, v7, s18
                                        ; implicit-def: $vgpr6
; %bb.100:                              ;   in Loop: Header=BB172_51 Depth=1
	s_andn2_saveexec_b64 s[10:11], s[0:1]
; %bb.101:                              ;   in Loop: Header=BB172_51 Depth=1
	v_or_b32_e32 v7, 0x10000, v6
	v_cmp_eq_u32_sdwa s[0:1], v6, v26 src0_sel:WORD_0 src1_sel:DWORD
	v_cndmask_b32_e64 v28, v7, v6, s[0:1]
; %bb.102:                              ;   in Loop: Header=BB172_51 Depth=1
	s_or_b64 exec, exec, s[10:11]
	v_and_b32_e32 v45, 0xffff0000, v29
	v_lshlrev_b32_e32 v6, 16, v8
	v_mul_f32_e32 v6, v45, v6
	v_and_b32_e32 v7, 0x7f800000, v6
	v_cmp_ne_u32_e64 s[0:1], s17, v7
                                        ; implicit-def: $vgpr29
	s_and_saveexec_b64 s[10:11], s[0:1]
	s_xor_b64 s[0:1], exec, s[10:11]
; %bb.103:                              ;   in Loop: Header=BB172_51 Depth=1
	v_bfe_u32 v7, v6, 16, 1
	v_add3_u32 v29, v6, v7, s18
                                        ; implicit-def: $vgpr6
; %bb.104:                              ;   in Loop: Header=BB172_51 Depth=1
	s_andn2_saveexec_b64 s[10:11], s[0:1]
; %bb.105:                              ;   in Loop: Header=BB172_51 Depth=1
	v_or_b32_e32 v7, 0x10000, v6
	v_cmp_eq_u32_sdwa s[0:1], v6, v26 src0_sel:WORD_0 src1_sel:DWORD
	v_cndmask_b32_e64 v29, v7, v6, s[0:1]
; %bb.106:                              ;   in Loop: Header=BB172_51 Depth=1
	s_or_b64 exec, exec, s[10:11]
	v_and_b32_e32 v46, 0xffff0000, v30
	v_lshlrev_b32_e32 v6, 16, v47
	v_mul_f32_e32 v6, v46, v6
	v_and_b32_e32 v7, 0x7f800000, v6
	v_cmp_ne_u32_e64 s[0:1], s17, v7
                                        ; implicit-def: $vgpr30
	s_and_saveexec_b64 s[10:11], s[0:1]
	s_xor_b64 s[0:1], exec, s[10:11]
; %bb.107:                              ;   in Loop: Header=BB172_51 Depth=1
	v_bfe_u32 v7, v6, 16, 1
	v_add3_u32 v30, v6, v7, s18
                                        ; implicit-def: $vgpr6
; %bb.108:                              ;   in Loop: Header=BB172_51 Depth=1
	s_andn2_saveexec_b64 s[10:11], s[0:1]
; %bb.109:                              ;   in Loop: Header=BB172_51 Depth=1
	v_or_b32_e32 v7, 0x10000, v6
	v_cmp_eq_u32_sdwa s[0:1], v6, v26 src0_sel:WORD_0 src1_sel:DWORD
	v_cndmask_b32_e64 v30, v7, v6, s[0:1]
; %bb.110:                              ;   in Loop: Header=BB172_51 Depth=1
	s_or_b64 exec, exec, s[10:11]
	v_and_b32_e32 v47, 0xffff0000, v31
	v_lshlrev_b32_e32 v6, 16, v9
	v_mul_f32_e32 v6, v47, v6
	v_and_b32_e32 v7, 0x7f800000, v6
	v_cmp_ne_u32_e64 s[0:1], s17, v7
                                        ; implicit-def: $vgpr31
	s_and_saveexec_b64 s[10:11], s[0:1]
	s_xor_b64 s[0:1], exec, s[10:11]
; %bb.111:                              ;   in Loop: Header=BB172_51 Depth=1
	v_bfe_u32 v7, v6, 16, 1
	v_add3_u32 v31, v6, v7, s18
                                        ; implicit-def: $vgpr6
; %bb.112:                              ;   in Loop: Header=BB172_51 Depth=1
	s_andn2_saveexec_b64 s[10:11], s[0:1]
; %bb.113:                              ;   in Loop: Header=BB172_51 Depth=1
	v_or_b32_e32 v7, 0x10000, v6
	v_cmp_eq_u32_sdwa s[0:1], v6, v26 src0_sel:WORD_0 src1_sel:DWORD
	v_cndmask_b32_e64 v31, v7, v6, s[0:1]
; %bb.114:                              ;   in Loop: Header=BB172_51 Depth=1
	s_or_b64 exec, exec, s[10:11]
	v_and_b32_e32 v48, 0xffff0000, v40
	v_lshlrev_b32_e32 v6, 16, v49
	v_mul_f32_e32 v6, v48, v6
	v_and_b32_e32 v7, 0x7f800000, v6
	v_cmp_ne_u32_e64 s[0:1], s17, v7
                                        ; implicit-def: $vgpr40
	s_and_saveexec_b64 s[10:11], s[0:1]
	s_xor_b64 s[0:1], exec, s[10:11]
; %bb.115:                              ;   in Loop: Header=BB172_51 Depth=1
	v_bfe_u32 v7, v6, 16, 1
	v_add3_u32 v40, v6, v7, s18
                                        ; implicit-def: $vgpr6
; %bb.116:                              ;   in Loop: Header=BB172_51 Depth=1
	s_andn2_saveexec_b64 s[10:11], s[0:1]
; %bb.117:                              ;   in Loop: Header=BB172_51 Depth=1
	v_or_b32_e32 v7, 0x10000, v6
	v_cmp_eq_u32_sdwa s[0:1], v6, v26 src0_sel:WORD_0 src1_sel:DWORD
	v_cndmask_b32_e64 v40, v7, v6, s[0:1]
; %bb.118:                              ;   in Loop: Header=BB172_51 Depth=1
	s_or_b64 exec, exec, s[10:11]
	global_load_dwordx4 v[6:9], v[10:11], off offset:1024
	s_waitcnt vmcnt(0)
	v_lshrrev_b32_e32 v50, 16, v6
	v_lshrrev_b32_e32 v52, 16, v7
	;; [unrolled: 1-line block ×4, first 2 shown]
	s_and_saveexec_b64 s[10:11], vcc
	s_cbranch_execz .LBB172_120
; %bb.119:                              ;   in Loop: Header=BB172_51 Depth=1
	v_cmp_gt_i32_e64 s[0:1], s33, v32
	v_cndmask_b32_e64 v6, 0, v6, s[0:1]
	v_cmp_gt_i32_e64 s[0:1], s33, v39
	v_cndmask_b32_e64 v50, 0, v50, s[0:1]
	;; [unrolled: 2-line block ×8, first 2 shown]
.LBB172_120:                            ;   in Loop: Header=BB172_51 Depth=1
	s_or_b64 exec, exec, s[10:11]
	v_lshlrev_b32_e32 v6, 16, v6
	v_mul_f32_e32 v6, v41, v6
	v_and_b32_e32 v49, 0x7f800000, v6
	v_cmp_ne_u32_e64 s[0:1], s17, v49
                                        ; implicit-def: $vgpr49
	s_and_saveexec_b64 s[10:11], s[0:1]
	s_xor_b64 s[0:1], exec, s[10:11]
; %bb.121:                              ;   in Loop: Header=BB172_51 Depth=1
	v_bfe_u32 v49, v6, 16, 1
	v_add3_u32 v49, v6, v49, s18
                                        ; implicit-def: $vgpr6
; %bb.122:                              ;   in Loop: Header=BB172_51 Depth=1
	s_andn2_saveexec_b64 s[10:11], s[0:1]
; %bb.123:                              ;   in Loop: Header=BB172_51 Depth=1
	v_or_b32_e32 v49, 0x10000, v6
	v_cmp_eq_u32_sdwa s[0:1], v6, v26 src0_sel:WORD_0 src1_sel:DWORD
	v_cndmask_b32_e64 v49, v49, v6, s[0:1]
; %bb.124:                              ;   in Loop: Header=BB172_51 Depth=1
	s_or_b64 exec, exec, s[10:11]
	v_lshlrev_b32_e32 v6, 16, v50
	v_mul_f32_e32 v6, v42, v6
	v_and_b32_e32 v50, 0x7f800000, v6
	v_cmp_ne_u32_e64 s[0:1], s17, v50
                                        ; implicit-def: $vgpr50
	s_and_saveexec_b64 s[10:11], s[0:1]
	s_xor_b64 s[0:1], exec, s[10:11]
; %bb.125:                              ;   in Loop: Header=BB172_51 Depth=1
	v_bfe_u32 v50, v6, 16, 1
	v_add3_u32 v50, v6, v50, s18
                                        ; implicit-def: $vgpr6
; %bb.126:                              ;   in Loop: Header=BB172_51 Depth=1
	s_andn2_saveexec_b64 s[10:11], s[0:1]
; %bb.127:                              ;   in Loop: Header=BB172_51 Depth=1
	v_or_b32_e32 v50, 0x10000, v6
	v_cmp_eq_u32_sdwa s[0:1], v6, v26 src0_sel:WORD_0 src1_sel:DWORD
	v_cndmask_b32_e64 v50, v50, v6, s[0:1]
; %bb.128:                              ;   in Loop: Header=BB172_51 Depth=1
	s_or_b64 exec, exec, s[10:11]
	v_lshlrev_b32_e32 v6, 16, v7
	v_mul_f32_e32 v6, v43, v6
	v_and_b32_e32 v7, 0x7f800000, v6
	v_cmp_ne_u32_e64 s[0:1], s17, v7
                                        ; implicit-def: $vgpr51
	s_and_saveexec_b64 s[10:11], s[0:1]
	s_xor_b64 s[0:1], exec, s[10:11]
; %bb.129:                              ;   in Loop: Header=BB172_51 Depth=1
	v_bfe_u32 v7, v6, 16, 1
	v_add3_u32 v51, v6, v7, s18
                                        ; implicit-def: $vgpr6
; %bb.130:                              ;   in Loop: Header=BB172_51 Depth=1
	s_andn2_saveexec_b64 s[10:11], s[0:1]
; %bb.131:                              ;   in Loop: Header=BB172_51 Depth=1
	v_or_b32_e32 v7, 0x10000, v6
	v_cmp_eq_u32_sdwa s[0:1], v6, v26 src0_sel:WORD_0 src1_sel:DWORD
	v_cndmask_b32_e64 v51, v7, v6, s[0:1]
; %bb.132:                              ;   in Loop: Header=BB172_51 Depth=1
	s_or_b64 exec, exec, s[10:11]
	v_lshlrev_b32_e32 v6, 16, v52
	v_mul_f32_e32 v6, v44, v6
	v_and_b32_e32 v7, 0x7f800000, v6
	v_cmp_ne_u32_e64 s[0:1], s17, v7
                                        ; implicit-def: $vgpr52
	s_and_saveexec_b64 s[10:11], s[0:1]
	s_xor_b64 s[0:1], exec, s[10:11]
; %bb.133:                              ;   in Loop: Header=BB172_51 Depth=1
	v_bfe_u32 v7, v6, 16, 1
	v_add3_u32 v52, v6, v7, s18
                                        ; implicit-def: $vgpr6
; %bb.134:                              ;   in Loop: Header=BB172_51 Depth=1
	s_andn2_saveexec_b64 s[10:11], s[0:1]
; %bb.135:                              ;   in Loop: Header=BB172_51 Depth=1
	v_or_b32_e32 v7, 0x10000, v6
	v_cmp_eq_u32_sdwa s[0:1], v6, v26 src0_sel:WORD_0 src1_sel:DWORD
	v_cndmask_b32_e64 v52, v7, v6, s[0:1]
; %bb.136:                              ;   in Loop: Header=BB172_51 Depth=1
	s_or_b64 exec, exec, s[10:11]
	v_lshlrev_b32_e32 v6, 16, v8
	v_mul_f32_e32 v6, v45, v6
	v_and_b32_e32 v7, 0x7f800000, v6
	v_cmp_ne_u32_e64 s[0:1], s17, v7
                                        ; implicit-def: $vgpr53
	s_and_saveexec_b64 s[10:11], s[0:1]
	s_xor_b64 s[0:1], exec, s[10:11]
; %bb.137:                              ;   in Loop: Header=BB172_51 Depth=1
	v_bfe_u32 v7, v6, 16, 1
	v_add3_u32 v53, v6, v7, s18
                                        ; implicit-def: $vgpr6
; %bb.138:                              ;   in Loop: Header=BB172_51 Depth=1
	s_andn2_saveexec_b64 s[10:11], s[0:1]
; %bb.139:                              ;   in Loop: Header=BB172_51 Depth=1
	v_or_b32_e32 v7, 0x10000, v6
	v_cmp_eq_u32_sdwa s[0:1], v6, v26 src0_sel:WORD_0 src1_sel:DWORD
	v_cndmask_b32_e64 v53, v7, v6, s[0:1]
; %bb.140:                              ;   in Loop: Header=BB172_51 Depth=1
	s_or_b64 exec, exec, s[10:11]
	v_lshlrev_b32_e32 v6, 16, v54
	v_mul_f32_e32 v6, v46, v6
	v_and_b32_e32 v7, 0x7f800000, v6
	v_cmp_ne_u32_e64 s[0:1], s17, v7
                                        ; implicit-def: $vgpr54
	s_and_saveexec_b64 s[10:11], s[0:1]
	s_xor_b64 s[0:1], exec, s[10:11]
; %bb.141:                              ;   in Loop: Header=BB172_51 Depth=1
	v_bfe_u32 v7, v6, 16, 1
	v_add3_u32 v54, v6, v7, s18
                                        ; implicit-def: $vgpr6
; %bb.142:                              ;   in Loop: Header=BB172_51 Depth=1
	s_andn2_saveexec_b64 s[10:11], s[0:1]
; %bb.143:                              ;   in Loop: Header=BB172_51 Depth=1
	v_or_b32_e32 v7, 0x10000, v6
	v_cmp_eq_u32_sdwa s[0:1], v6, v26 src0_sel:WORD_0 src1_sel:DWORD
	v_cndmask_b32_e64 v54, v7, v6, s[0:1]
; %bb.144:                              ;   in Loop: Header=BB172_51 Depth=1
	s_or_b64 exec, exec, s[10:11]
	v_lshlrev_b32_e32 v6, 16, v9
	v_mul_f32_e32 v6, v47, v6
	v_and_b32_e32 v7, 0x7f800000, v6
	v_cmp_ne_u32_e64 s[0:1], s17, v7
                                        ; implicit-def: $vgpr55
	s_and_saveexec_b64 s[10:11], s[0:1]
	s_xor_b64 s[0:1], exec, s[10:11]
; %bb.145:                              ;   in Loop: Header=BB172_51 Depth=1
	v_bfe_u32 v7, v6, 16, 1
	v_add3_u32 v55, v6, v7, s18
                                        ; implicit-def: $vgpr6
; %bb.146:                              ;   in Loop: Header=BB172_51 Depth=1
	s_andn2_saveexec_b64 s[10:11], s[0:1]
; %bb.147:                              ;   in Loop: Header=BB172_51 Depth=1
	v_or_b32_e32 v7, 0x10000, v6
	v_cmp_eq_u32_sdwa s[0:1], v6, v26 src0_sel:WORD_0 src1_sel:DWORD
	v_cndmask_b32_e64 v55, v7, v6, s[0:1]
; %bb.148:                              ;   in Loop: Header=BB172_51 Depth=1
	s_or_b64 exec, exec, s[10:11]
	v_lshlrev_b32_e32 v6, 16, v56
	v_mul_f32_e32 v6, v48, v6
	v_and_b32_e32 v7, 0x7f800000, v6
	v_cmp_ne_u32_e64 s[0:1], s17, v7
                                        ; implicit-def: $vgpr56
	s_and_saveexec_b64 s[10:11], s[0:1]
	s_xor_b64 s[0:1], exec, s[10:11]
; %bb.149:                              ;   in Loop: Header=BB172_51 Depth=1
	v_bfe_u32 v7, v6, 16, 1
	v_add3_u32 v56, v6, v7, s18
                                        ; implicit-def: $vgpr6
; %bb.150:                              ;   in Loop: Header=BB172_51 Depth=1
	s_andn2_saveexec_b64 s[10:11], s[0:1]
; %bb.151:                              ;   in Loop: Header=BB172_51 Depth=1
	v_or_b32_e32 v7, 0x10000, v6
	v_cmp_eq_u32_sdwa s[0:1], v6, v26 src0_sel:WORD_0 src1_sel:DWORD
	v_cndmask_b32_e64 v56, v7, v6, s[0:1]
; %bb.152:                              ;   in Loop: Header=BB172_51 Depth=1
	s_or_b64 exec, exec, s[10:11]
	global_load_dwordx4 v[6:9], v[10:11], off offset:2048
	s_waitcnt vmcnt(0)
	v_lshrrev_b32_e32 v58, 16, v6
	v_lshrrev_b32_e32 v60, 16, v7
	;; [unrolled: 1-line block ×4, first 2 shown]
	s_and_saveexec_b64 s[10:11], vcc
	s_cbranch_execz .LBB172_154
; %bb.153:                              ;   in Loop: Header=BB172_51 Depth=1
	v_cmp_gt_i32_e64 s[0:1], s33, v32
	v_cndmask_b32_e64 v6, 0, v6, s[0:1]
	v_cmp_gt_i32_e64 s[0:1], s33, v39
	v_cndmask_b32_e64 v58, 0, v58, s[0:1]
	;; [unrolled: 2-line block ×8, first 2 shown]
.LBB172_154:                            ;   in Loop: Header=BB172_51 Depth=1
	s_or_b64 exec, exec, s[10:11]
	v_lshlrev_b32_e32 v6, 16, v6
	v_mul_f32_e32 v6, v41, v6
	v_and_b32_e32 v57, 0x7f800000, v6
	v_cmp_ne_u32_e64 s[0:1], s17, v57
                                        ; implicit-def: $vgpr57
	s_and_saveexec_b64 s[10:11], s[0:1]
	s_xor_b64 s[0:1], exec, s[10:11]
; %bb.155:                              ;   in Loop: Header=BB172_51 Depth=1
	v_bfe_u32 v57, v6, 16, 1
	v_add3_u32 v57, v6, v57, s18
                                        ; implicit-def: $vgpr6
; %bb.156:                              ;   in Loop: Header=BB172_51 Depth=1
	s_andn2_saveexec_b64 s[10:11], s[0:1]
; %bb.157:                              ;   in Loop: Header=BB172_51 Depth=1
	v_or_b32_e32 v57, 0x10000, v6
	v_cmp_eq_u32_sdwa s[0:1], v6, v26 src0_sel:WORD_0 src1_sel:DWORD
	v_cndmask_b32_e64 v57, v57, v6, s[0:1]
; %bb.158:                              ;   in Loop: Header=BB172_51 Depth=1
	s_or_b64 exec, exec, s[10:11]
	v_lshlrev_b32_e32 v6, 16, v58
	v_mul_f32_e32 v6, v42, v6
	v_and_b32_e32 v58, 0x7f800000, v6
	v_cmp_ne_u32_e64 s[0:1], s17, v58
                                        ; implicit-def: $vgpr58
	s_and_saveexec_b64 s[10:11], s[0:1]
	s_xor_b64 s[0:1], exec, s[10:11]
; %bb.159:                              ;   in Loop: Header=BB172_51 Depth=1
	v_bfe_u32 v58, v6, 16, 1
	v_add3_u32 v58, v6, v58, s18
                                        ; implicit-def: $vgpr6
; %bb.160:                              ;   in Loop: Header=BB172_51 Depth=1
	s_andn2_saveexec_b64 s[10:11], s[0:1]
; %bb.161:                              ;   in Loop: Header=BB172_51 Depth=1
	v_or_b32_e32 v58, 0x10000, v6
	v_cmp_eq_u32_sdwa s[0:1], v6, v26 src0_sel:WORD_0 src1_sel:DWORD
	v_cndmask_b32_e64 v58, v58, v6, s[0:1]
; %bb.162:                              ;   in Loop: Header=BB172_51 Depth=1
	s_or_b64 exec, exec, s[10:11]
	v_lshlrev_b32_e32 v6, 16, v7
	v_mul_f32_e32 v6, v43, v6
	v_and_b32_e32 v7, 0x7f800000, v6
	v_cmp_ne_u32_e64 s[0:1], s17, v7
                                        ; implicit-def: $vgpr59
	s_and_saveexec_b64 s[10:11], s[0:1]
	s_xor_b64 s[0:1], exec, s[10:11]
; %bb.163:                              ;   in Loop: Header=BB172_51 Depth=1
	v_bfe_u32 v7, v6, 16, 1
	v_add3_u32 v59, v6, v7, s18
                                        ; implicit-def: $vgpr6
; %bb.164:                              ;   in Loop: Header=BB172_51 Depth=1
	s_andn2_saveexec_b64 s[10:11], s[0:1]
; %bb.165:                              ;   in Loop: Header=BB172_51 Depth=1
	v_or_b32_e32 v7, 0x10000, v6
	v_cmp_eq_u32_sdwa s[0:1], v6, v26 src0_sel:WORD_0 src1_sel:DWORD
	v_cndmask_b32_e64 v59, v7, v6, s[0:1]
; %bb.166:                              ;   in Loop: Header=BB172_51 Depth=1
	s_or_b64 exec, exec, s[10:11]
	v_lshlrev_b32_e32 v6, 16, v60
	v_mul_f32_e32 v6, v44, v6
	v_and_b32_e32 v7, 0x7f800000, v6
	v_cmp_ne_u32_e64 s[0:1], s17, v7
                                        ; implicit-def: $vgpr60
	s_and_saveexec_b64 s[10:11], s[0:1]
	s_xor_b64 s[0:1], exec, s[10:11]
; %bb.167:                              ;   in Loop: Header=BB172_51 Depth=1
	v_bfe_u32 v7, v6, 16, 1
	v_add3_u32 v60, v6, v7, s18
                                        ; implicit-def: $vgpr6
; %bb.168:                              ;   in Loop: Header=BB172_51 Depth=1
	s_andn2_saveexec_b64 s[10:11], s[0:1]
; %bb.169:                              ;   in Loop: Header=BB172_51 Depth=1
	v_or_b32_e32 v7, 0x10000, v6
	v_cmp_eq_u32_sdwa s[0:1], v6, v26 src0_sel:WORD_0 src1_sel:DWORD
	v_cndmask_b32_e64 v60, v7, v6, s[0:1]
; %bb.170:                              ;   in Loop: Header=BB172_51 Depth=1
	s_or_b64 exec, exec, s[10:11]
	v_lshlrev_b32_e32 v6, 16, v8
	v_mul_f32_e32 v6, v45, v6
	v_and_b32_e32 v7, 0x7f800000, v6
	v_cmp_ne_u32_e64 s[0:1], s17, v7
                                        ; implicit-def: $vgpr61
	s_and_saveexec_b64 s[10:11], s[0:1]
	s_xor_b64 s[0:1], exec, s[10:11]
; %bb.171:                              ;   in Loop: Header=BB172_51 Depth=1
	v_bfe_u32 v7, v6, 16, 1
	v_add3_u32 v61, v6, v7, s18
                                        ; implicit-def: $vgpr6
; %bb.172:                              ;   in Loop: Header=BB172_51 Depth=1
	s_andn2_saveexec_b64 s[10:11], s[0:1]
; %bb.173:                              ;   in Loop: Header=BB172_51 Depth=1
	v_or_b32_e32 v7, 0x10000, v6
	v_cmp_eq_u32_sdwa s[0:1], v6, v26 src0_sel:WORD_0 src1_sel:DWORD
	v_cndmask_b32_e64 v61, v7, v6, s[0:1]
; %bb.174:                              ;   in Loop: Header=BB172_51 Depth=1
	s_or_b64 exec, exec, s[10:11]
	v_lshlrev_b32_e32 v6, 16, v62
	v_mul_f32_e32 v6, v46, v6
	v_and_b32_e32 v7, 0x7f800000, v6
	v_cmp_ne_u32_e64 s[0:1], s17, v7
                                        ; implicit-def: $vgpr62
	s_and_saveexec_b64 s[10:11], s[0:1]
	s_xor_b64 s[0:1], exec, s[10:11]
; %bb.175:                              ;   in Loop: Header=BB172_51 Depth=1
	v_bfe_u32 v7, v6, 16, 1
	v_add3_u32 v62, v6, v7, s18
                                        ; implicit-def: $vgpr6
; %bb.176:                              ;   in Loop: Header=BB172_51 Depth=1
	s_andn2_saveexec_b64 s[10:11], s[0:1]
; %bb.177:                              ;   in Loop: Header=BB172_51 Depth=1
	v_or_b32_e32 v7, 0x10000, v6
	v_cmp_eq_u32_sdwa s[0:1], v6, v26 src0_sel:WORD_0 src1_sel:DWORD
	v_cndmask_b32_e64 v62, v7, v6, s[0:1]
; %bb.178:                              ;   in Loop: Header=BB172_51 Depth=1
	s_or_b64 exec, exec, s[10:11]
	v_lshlrev_b32_e32 v6, 16, v9
	v_mul_f32_e32 v6, v47, v6
	v_and_b32_e32 v7, 0x7f800000, v6
	v_cmp_ne_u32_e64 s[0:1], s17, v7
                                        ; implicit-def: $vgpr63
	s_and_saveexec_b64 s[10:11], s[0:1]
	s_xor_b64 s[0:1], exec, s[10:11]
; %bb.179:                              ;   in Loop: Header=BB172_51 Depth=1
	v_bfe_u32 v7, v6, 16, 1
	v_add3_u32 v63, v6, v7, s18
                                        ; implicit-def: $vgpr6
; %bb.180:                              ;   in Loop: Header=BB172_51 Depth=1
	s_andn2_saveexec_b64 s[10:11], s[0:1]
; %bb.181:                              ;   in Loop: Header=BB172_51 Depth=1
	v_or_b32_e32 v7, 0x10000, v6
	v_cmp_eq_u32_sdwa s[0:1], v6, v26 src0_sel:WORD_0 src1_sel:DWORD
	v_cndmask_b32_e64 v63, v7, v6, s[0:1]
; %bb.182:                              ;   in Loop: Header=BB172_51 Depth=1
	s_or_b64 exec, exec, s[10:11]
	v_lshlrev_b32_e32 v6, 16, v64
	v_mul_f32_e32 v6, v48, v6
	v_and_b32_e32 v7, 0x7f800000, v6
	v_cmp_ne_u32_e64 s[0:1], s17, v7
                                        ; implicit-def: $vgpr64
	s_and_saveexec_b64 s[10:11], s[0:1]
	s_xor_b64 s[0:1], exec, s[10:11]
; %bb.183:                              ;   in Loop: Header=BB172_51 Depth=1
	v_bfe_u32 v7, v6, 16, 1
	v_add3_u32 v64, v6, v7, s18
                                        ; implicit-def: $vgpr6
; %bb.184:                              ;   in Loop: Header=BB172_51 Depth=1
	s_andn2_saveexec_b64 s[10:11], s[0:1]
; %bb.185:                              ;   in Loop: Header=BB172_51 Depth=1
	v_or_b32_e32 v7, 0x10000, v6
	v_cmp_eq_u32_sdwa s[0:1], v6, v26 src0_sel:WORD_0 src1_sel:DWORD
	v_cndmask_b32_e64 v64, v7, v6, s[0:1]
; %bb.186:                              ;   in Loop: Header=BB172_51 Depth=1
	s_or_b64 exec, exec, s[10:11]
	global_load_dwordx4 v[6:9], v[10:11], off offset:3072
	s_waitcnt vmcnt(0)
	v_lshrrev_b32_e32 v10, 16, v6
	v_lshrrev_b32_e32 v66, 16, v7
	;; [unrolled: 1-line block ×4, first 2 shown]
	s_and_saveexec_b64 s[0:1], vcc
	s_cbranch_execz .LBB172_188
; %bb.187:                              ;   in Loop: Header=BB172_51 Depth=1
	v_cmp_gt_i32_e32 vcc, s33, v32
	v_cndmask_b32_e32 v6, 0, v6, vcc
	v_cmp_gt_i32_e32 vcc, s33, v39
	v_cndmask_b32_e32 v10, 0, v10, vcc
	;; [unrolled: 2-line block ×8, first 2 shown]
.LBB172_188:                            ;   in Loop: Header=BB172_51 Depth=1
	s_or_b64 exec, exec, s[0:1]
	v_lshlrev_b32_e32 v6, 16, v6
	v_mul_f32_e32 v32, v41, v6
	v_and_b32_e32 v6, 0x7f800000, v32
	v_cmp_ne_u32_e32 vcc, s17, v6
                                        ; implicit-def: $vgpr6
	s_and_saveexec_b64 s[0:1], vcc
	s_xor_b64 s[0:1], exec, s[0:1]
; %bb.189:                              ;   in Loop: Header=BB172_51 Depth=1
	v_bfe_u32 v6, v32, 16, 1
	v_add3_u32 v6, v32, v6, s18
                                        ; implicit-def: $vgpr32
; %bb.190:                              ;   in Loop: Header=BB172_51 Depth=1
	s_andn2_saveexec_b64 s[0:1], s[0:1]
; %bb.191:                              ;   in Loop: Header=BB172_51 Depth=1
	v_or_b32_e32 v6, 0x10000, v32
	v_cmp_eq_u32_sdwa vcc, v32, v26 src0_sel:WORD_0 src1_sel:DWORD
	v_cndmask_b32_e32 v6, v6, v32, vcc
; %bb.192:                              ;   in Loop: Header=BB172_51 Depth=1
	s_or_b64 exec, exec, s[0:1]
	v_lshlrev_b32_e32 v10, 16, v10
	v_mul_f32_e32 v32, v42, v10
	v_and_b32_e32 v10, 0x7f800000, v32
	v_cmp_ne_u32_e32 vcc, s17, v10
                                        ; implicit-def: $vgpr10
	s_and_saveexec_b64 s[0:1], vcc
	s_xor_b64 s[0:1], exec, s[0:1]
; %bb.193:                              ;   in Loop: Header=BB172_51 Depth=1
	v_bfe_u32 v10, v32, 16, 1
	v_add3_u32 v10, v32, v10, s18
                                        ; implicit-def: $vgpr32
; %bb.194:                              ;   in Loop: Header=BB172_51 Depth=1
	s_andn2_saveexec_b64 s[0:1], s[0:1]
; %bb.195:                              ;   in Loop: Header=BB172_51 Depth=1
	v_or_b32_e32 v10, 0x10000, v32
	v_cmp_eq_u32_sdwa vcc, v32, v26 src0_sel:WORD_0 src1_sel:DWORD
	v_cndmask_b32_e32 v10, v10, v32, vcc
; %bb.196:                              ;   in Loop: Header=BB172_51 Depth=1
	s_or_b64 exec, exec, s[0:1]
	v_lshlrev_b32_e32 v7, 16, v7
	v_mul_f32_e32 v32, v43, v7
	v_and_b32_e32 v7, 0x7f800000, v32
	v_cmp_ne_u32_e32 vcc, s17, v7
                                        ; implicit-def: $vgpr7
	s_and_saveexec_b64 s[0:1], vcc
	s_xor_b64 s[0:1], exec, s[0:1]
; %bb.197:                              ;   in Loop: Header=BB172_51 Depth=1
	v_bfe_u32 v7, v32, 16, 1
	v_add3_u32 v7, v32, v7, s18
                                        ; implicit-def: $vgpr32
; %bb.198:                              ;   in Loop: Header=BB172_51 Depth=1
	s_andn2_saveexec_b64 s[0:1], s[0:1]
; %bb.199:                              ;   in Loop: Header=BB172_51 Depth=1
	v_or_b32_e32 v7, 0x10000, v32
	v_cmp_eq_u32_sdwa vcc, v32, v26 src0_sel:WORD_0 src1_sel:DWORD
	v_cndmask_b32_e32 v7, v7, v32, vcc
; %bb.200:                              ;   in Loop: Header=BB172_51 Depth=1
	s_or_b64 exec, exec, s[0:1]
	v_lshlrev_b32_e32 v32, 16, v66
	v_mul_f32_e32 v33, v44, v32
	v_and_b32_e32 v32, 0x7f800000, v33
	v_cmp_ne_u32_e32 vcc, s17, v32
                                        ; implicit-def: $vgpr32
	s_and_saveexec_b64 s[0:1], vcc
	s_xor_b64 s[0:1], exec, s[0:1]
; %bb.201:                              ;   in Loop: Header=BB172_51 Depth=1
	v_bfe_u32 v32, v33, 16, 1
	v_add3_u32 v32, v33, v32, s18
                                        ; implicit-def: $vgpr33
; %bb.202:                              ;   in Loop: Header=BB172_51 Depth=1
	s_andn2_saveexec_b64 s[0:1], s[0:1]
; %bb.203:                              ;   in Loop: Header=BB172_51 Depth=1
	v_or_b32_e32 v32, 0x10000, v33
	v_cmp_eq_u32_sdwa vcc, v33, v26 src0_sel:WORD_0 src1_sel:DWORD
	v_cndmask_b32_e32 v32, v32, v33, vcc
; %bb.204:                              ;   in Loop: Header=BB172_51 Depth=1
	s_or_b64 exec, exec, s[0:1]
	v_lshlrev_b32_e32 v8, 16, v8
	v_mul_f32_e32 v33, v45, v8
	v_and_b32_e32 v8, 0x7f800000, v33
	v_cmp_ne_u32_e32 vcc, s17, v8
                                        ; implicit-def: $vgpr8
	s_and_saveexec_b64 s[0:1], vcc
	s_xor_b64 s[0:1], exec, s[0:1]
; %bb.205:                              ;   in Loop: Header=BB172_51 Depth=1
	v_bfe_u32 v8, v33, 16, 1
	v_add3_u32 v8, v33, v8, s18
                                        ; implicit-def: $vgpr33
; %bb.206:                              ;   in Loop: Header=BB172_51 Depth=1
	s_andn2_saveexec_b64 s[0:1], s[0:1]
; %bb.207:                              ;   in Loop: Header=BB172_51 Depth=1
	v_or_b32_e32 v8, 0x10000, v33
	v_cmp_eq_u32_sdwa vcc, v33, v26 src0_sel:WORD_0 src1_sel:DWORD
	v_cndmask_b32_e32 v8, v8, v33, vcc
; %bb.208:                              ;   in Loop: Header=BB172_51 Depth=1
	s_or_b64 exec, exec, s[0:1]
	v_lshlrev_b32_e32 v33, 16, v65
	v_mul_f32_e32 v34, v46, v33
	v_and_b32_e32 v33, 0x7f800000, v34
	v_cmp_ne_u32_e32 vcc, s17, v33
                                        ; implicit-def: $vgpr33
	s_and_saveexec_b64 s[0:1], vcc
	s_xor_b64 s[0:1], exec, s[0:1]
; %bb.209:                              ;   in Loop: Header=BB172_51 Depth=1
	v_bfe_u32 v33, v34, 16, 1
	v_add3_u32 v33, v34, v33, s18
                                        ; implicit-def: $vgpr34
; %bb.210:                              ;   in Loop: Header=BB172_51 Depth=1
	s_andn2_saveexec_b64 s[0:1], s[0:1]
; %bb.211:                              ;   in Loop: Header=BB172_51 Depth=1
	v_or_b32_e32 v33, 0x10000, v34
	v_cmp_eq_u32_sdwa vcc, v34, v26 src0_sel:WORD_0 src1_sel:DWORD
	v_cndmask_b32_e32 v33, v33, v34, vcc
; %bb.212:                              ;   in Loop: Header=BB172_51 Depth=1
	s_or_b64 exec, exec, s[0:1]
	v_lshlrev_b32_e32 v9, 16, v9
	v_mul_f32_e32 v34, v47, v9
	v_and_b32_e32 v9, 0x7f800000, v34
	v_cmp_ne_u32_e32 vcc, s17, v9
                                        ; implicit-def: $vgpr9
	s_and_saveexec_b64 s[0:1], vcc
	s_xor_b64 s[0:1], exec, s[0:1]
; %bb.213:                              ;   in Loop: Header=BB172_51 Depth=1
	v_bfe_u32 v9, v34, 16, 1
	v_add3_u32 v9, v34, v9, s18
                                        ; implicit-def: $vgpr34
; %bb.214:                              ;   in Loop: Header=BB172_51 Depth=1
	s_andn2_saveexec_b64 s[0:1], s[0:1]
; %bb.215:                              ;   in Loop: Header=BB172_51 Depth=1
	v_or_b32_e32 v9, 0x10000, v34
	v_cmp_eq_u32_sdwa vcc, v34, v26 src0_sel:WORD_0 src1_sel:DWORD
	v_cndmask_b32_e32 v9, v9, v34, vcc
; %bb.216:                              ;   in Loop: Header=BB172_51 Depth=1
	s_or_b64 exec, exec, s[0:1]
	v_lshlrev_b32_e32 v11, 16, v11
	v_mul_f32_e32 v34, v48, v11
	v_and_b32_e32 v11, 0x7f800000, v34
	v_cmp_ne_u32_e32 vcc, s17, v11
                                        ; implicit-def: $vgpr11
	s_and_saveexec_b64 s[0:1], vcc
	s_xor_b64 s[0:1], exec, s[0:1]
; %bb.217:                              ;   in Loop: Header=BB172_51 Depth=1
	v_bfe_u32 v11, v34, 16, 1
	v_add3_u32 v11, v34, v11, s18
                                        ; implicit-def: $vgpr34
; %bb.218:                              ;   in Loop: Header=BB172_51 Depth=1
	s_andn2_saveexec_b64 s[0:1], s[0:1]
	s_cbranch_execz .LBB172_49
; %bb.219:                              ;   in Loop: Header=BB172_51 Depth=1
	v_or_b32_e32 v11, 0x10000, v34
	v_cmp_eq_u32_sdwa vcc, v34, v26 src0_sel:WORD_0 src1_sel:DWORD
	v_cndmask_b32_e32 v11, v11, v34, vcc
	s_branch .LBB172_49
.LBB172_220:
	s_or_b64 exec, exec, s[4:5]
.LBB172_221:
	s_or_b64 exec, exec, s[2:3]
	ds_bpermute_b32 v6, v19, v2
	ds_bpermute_b32 v7, v19, v3
	;; [unrolled: 1-line block ×4, first 2 shown]
	v_and_b32_e32 v1, 0x3c3, v0
	v_cmp_eq_u32_e32 vcc, 64, v1
	s_waitcnt lgkmcnt(2)
	v_pk_add_f32 v[2:3], v[2:3], v[6:7]
	ds_bpermute_b32 v6, v20, v2
	s_waitcnt lgkmcnt(1)
	v_pk_add_f32 v[8:9], v[4:5], v[8:9]
	ds_bpermute_b32 v7, v20, v3
	ds_bpermute_b32 v10, v20, v8
	;; [unrolled: 1-line block ×3, first 2 shown]
	s_waitcnt lgkmcnt(0)
	s_barrier
	v_pk_add_f32 v[4:5], v[2:3], v[6:7]
	v_pk_add_f32 v[2:3], v[8:9], v[10:11]
	s_and_saveexec_b64 s[0:1], vcc
	s_cbranch_execz .LBB172_223
; %bb.222:
	v_add_u32_e32 v1, 0x90, v18
	ds_write2_b32 v1, v4, v5 offset1:16
	ds_write2_b32 v1, v2, v3 offset0:32 offset1:48
.LBB172_223:
	s_or_b64 exec, exec, s[0:1]
	v_cmp_gt_u32_e32 vcc, 64, v0
	s_waitcnt lgkmcnt(0)
	s_barrier
	s_and_saveexec_b64 s[2:3], vcc
	s_cbranch_execz .LBB172_230
; %bb.224:
	v_cmp_eq_u32_e64 s[0:1], 0, v21
	v_lshrrev_b32_e32 v1, 2, v0
	s_and_saveexec_b64 s[4:5], s[0:1]
	s_cbranch_execnz .LBB172_250
; %bb.225:
	s_or_b64 exec, exec, s[4:5]
	s_and_saveexec_b64 s[4:5], s[0:1]
	s_cbranch_execnz .LBB172_251
.LBB172_226:
	s_or_b64 exec, exec, s[4:5]
	s_and_saveexec_b64 s[4:5], s[0:1]
	s_cbranch_execnz .LBB172_252
.LBB172_227:
	s_or_b64 exec, exec, s[4:5]
	s_and_saveexec_b64 s[4:5], s[0:1]
	s_cbranch_execz .LBB172_229
.LBB172_228:
	v_mov_b32_e32 v6, 0x90
	v_lshl_add_u32 v1, v1, 2, v6
	ds_read_b32 v1, v1 offset:192
	s_waitcnt lgkmcnt(0)
	v_add_f32_e32 v3, v3, v1
.LBB172_229:
	s_or_b64 exec, exec, s[4:5]
.LBB172_230:
	s_or_b64 exec, exec, s[2:3]
	s_barrier
	s_and_saveexec_b64 s[0:1], vcc
	s_cbranch_execz .LBB172_249
; %bb.231:
	v_cmp_eq_u32_e32 vcc, 0, v21
	s_and_b64 exec, exec, vcc
	s_cbranch_execz .LBB172_249
; %bb.232:
	s_mov_b32 s0, 0x7f800000
	v_and_b32_e32 v1, 0x7f800000, v4
	v_cmp_ne_u32_e32 vcc, s0, v1
                                        ; implicit-def: $vgpr1
	s_and_saveexec_b64 s[0:1], vcc
	s_xor_b64 s[0:1], exec, s[0:1]
; %bb.233:
	v_bfe_u32 v1, v4, 16, 1
	s_movk_i32 s2, 0x7fff
	v_add3_u32 v1, v4, v1, s2
; %bb.234:
	s_andn2_saveexec_b64 s[0:1], s[0:1]
; %bb.235:
	v_mov_b32_e32 v1, 0
	v_or_b32_e32 v6, 0x10000, v4
	v_cmp_eq_u32_sdwa vcc, v4, v1 src0_sel:WORD_0 src1_sel:DWORD
	v_cndmask_b32_e32 v1, v6, v4, vcc
; %bb.236:
	s_or_b64 exec, exec, s[0:1]
	s_mul_i32 s0, s12, s24
	s_mul_i32 s0, s0, s25
	s_lshl_b32 s0, s0, 6
	s_ashr_i32 s1, s0, 31
	s_lshl_b64 s[0:1], s[0:1], 1
	s_add_u32 s2, s28, s0
	s_mul_i32 s0, s12, s26
	s_addc_u32 s3, s29, s1
	s_ashr_i32 s1, s0, 31
	s_lshl_b64 s[0:1], s[0:1], 1
	s_add_u32 s2, s2, s0
	s_addc_u32 s3, s3, s1
	s_lshl_b32 s0, s8, 6
	s_ashr_i32 s1, s0, 31
	s_lshl_b64 s[0:1], s[0:1], 1
	s_add_u32 s0, s2, s0
	v_lshrrev_b32_e32 v0, 1, v0
	s_addc_u32 s1, s3, s1
	v_and_b32_e32 v0, 0x1fe, v0
	v_mov_b32_e32 v4, s1
	v_add_co_u32_e32 v6, vcc, s0, v0
	v_addc_co_u32_e32 v7, vcc, 0, v4, vcc
	global_store_short_d16_hi v0, v1, s[0:1]
	s_mov_b32 s0, 0x7f800000
	v_and_b32_e32 v0, 0x7f800000, v5
	v_cmp_ne_u32_e32 vcc, s0, v0
                                        ; implicit-def: $vgpr0
	s_and_saveexec_b64 s[0:1], vcc
	s_xor_b64 s[0:1], exec, s[0:1]
; %bb.237:
	v_bfe_u32 v0, v5, 16, 1
	s_movk_i32 s2, 0x7fff
	v_add3_u32 v0, v5, v0, s2
; %bb.238:
	s_andn2_saveexec_b64 s[0:1], s[0:1]
; %bb.239:
	v_mov_b32_e32 v0, 0
	v_or_b32_e32 v1, 0x10000, v5
	v_cmp_eq_u32_sdwa vcc, v5, v0 src0_sel:WORD_0 src1_sel:DWORD
	v_cndmask_b32_e32 v0, v1, v5, vcc
; %bb.240:
	s_or_b64 exec, exec, s[0:1]
	global_store_short_d16_hi v[6:7], v0, off offset:32
	s_mov_b32 s0, 0x7f800000
	v_and_b32_e32 v0, 0x7f800000, v2
	v_cmp_ne_u32_e32 vcc, s0, v0
                                        ; implicit-def: $vgpr0
	s_and_saveexec_b64 s[0:1], vcc
	s_xor_b64 s[0:1], exec, s[0:1]
; %bb.241:
	v_bfe_u32 v0, v2, 16, 1
	s_movk_i32 s2, 0x7fff
	v_add3_u32 v0, v2, v0, s2
; %bb.242:
	s_andn2_saveexec_b64 s[0:1], s[0:1]
; %bb.243:
	v_mov_b32_e32 v0, 0
	v_or_b32_e32 v1, 0x10000, v2
	v_cmp_eq_u32_sdwa vcc, v2, v0 src0_sel:WORD_0 src1_sel:DWORD
	v_cndmask_b32_e32 v0, v1, v2, vcc
; %bb.244:
	s_or_b64 exec, exec, s[0:1]
	global_store_short_d16_hi v[6:7], v0, off offset:64
	s_mov_b32 s0, 0x7f800000
	v_and_b32_e32 v0, 0x7f800000, v3
	v_cmp_ne_u32_e32 vcc, s0, v0
                                        ; implicit-def: $vgpr4
	s_and_saveexec_b64 s[0:1], vcc
	s_xor_b64 s[0:1], exec, s[0:1]
; %bb.245:
	v_bfe_u32 v0, v3, 16, 1
	s_movk_i32 s2, 0x7fff
	v_add3_u32 v4, v3, v0, s2
                                        ; implicit-def: $vgpr0_vgpr1_vgpr2_vgpr3
; %bb.246:
	s_andn2_saveexec_b64 s[0:1], s[0:1]
; %bb.247:
	v_mov_b32_e32 v0, 0
	v_or_b32_e32 v1, 0x10000, v3
	v_cmp_eq_u32_sdwa vcc, v3, v0 src0_sel:WORD_0 src1_sel:DWORD
	v_cndmask_b32_e32 v4, v1, v3, vcc
; %bb.248:
	s_or_b64 exec, exec, s[0:1]
	global_store_short_d16_hi v[6:7], v4, off offset:96
.LBB172_249:
	s_endpgm
.LBB172_250:
	v_mov_b32_e32 v6, 0x90
	v_lshl_add_u32 v6, v1, 2, v6
	ds_read_b32 v6, v6
	s_waitcnt lgkmcnt(0)
	v_add_f32_e32 v4, v4, v6
	s_or_b64 exec, exec, s[4:5]
	s_and_saveexec_b64 s[4:5], s[0:1]
	s_cbranch_execz .LBB172_226
.LBB172_251:
	v_mov_b32_e32 v6, 0x90
	v_lshl_add_u32 v6, v1, 2, v6
	ds_read_b32 v6, v6 offset:64
	s_waitcnt lgkmcnt(0)
	v_add_f32_e32 v5, v5, v6
	s_or_b64 exec, exec, s[4:5]
	s_and_saveexec_b64 s[4:5], s[0:1]
	s_cbranch_execz .LBB172_227
.LBB172_252:
	v_mov_b32_e32 v6, 0x90
	v_lshl_add_u32 v6, v1, 2, v6
	ds_read_b32 v6, v6 offset:128
	s_waitcnt lgkmcnt(0)
	v_add_f32_e32 v2, v2, v6
	s_or_b64 exec, exec, s[4:5]
	s_and_saveexec_b64 s[4:5], s[0:1]
	s_cbranch_execnz .LBB172_228
	s_branch .LBB172_229
	.section	.rodata,"a",@progbits
	.p2align	6, 0x0
	.amdhsa_kernel _ZN4vllm25paged_attention_v2_kernelI14__hip_bfloat16S1_Li64ELi32ELi128ELNS_18Fp8KVCacheDataTypeE0ELb1ELi512EEEvPfS3_PT_PKS4_PKT0_SA_ifPKiSC_iPKfiiiSE_SE_iiiii
		.amdhsa_group_segment_fixed_size 144
		.amdhsa_private_segment_fixed_size 0
		.amdhsa_kernarg_size 400
		.amdhsa_user_sgpr_count 6
		.amdhsa_user_sgpr_private_segment_buffer 1
		.amdhsa_user_sgpr_dispatch_ptr 0
		.amdhsa_user_sgpr_queue_ptr 0
		.amdhsa_user_sgpr_kernarg_segment_ptr 1
		.amdhsa_user_sgpr_dispatch_id 0
		.amdhsa_user_sgpr_flat_scratch_init 0
		.amdhsa_user_sgpr_kernarg_preload_length 0
		.amdhsa_user_sgpr_kernarg_preload_offset 0
		.amdhsa_user_sgpr_private_segment_size 0
		.amdhsa_uses_dynamic_stack 0
		.amdhsa_system_sgpr_private_segment_wavefront_offset 0
		.amdhsa_system_sgpr_workgroup_id_x 1
		.amdhsa_system_sgpr_workgroup_id_y 1
		.amdhsa_system_sgpr_workgroup_id_z 1
		.amdhsa_system_sgpr_workgroup_info 0
		.amdhsa_system_vgpr_workitem_id 0
		.amdhsa_next_free_vgpr 88
		.amdhsa_next_free_sgpr 52
		.amdhsa_accum_offset 88
		.amdhsa_reserve_vcc 1
		.amdhsa_reserve_flat_scratch 0
		.amdhsa_float_round_mode_32 0
		.amdhsa_float_round_mode_16_64 0
		.amdhsa_float_denorm_mode_32 3
		.amdhsa_float_denorm_mode_16_64 3
		.amdhsa_dx10_clamp 1
		.amdhsa_ieee_mode 1
		.amdhsa_fp16_overflow 0
		.amdhsa_tg_split 0
		.amdhsa_exception_fp_ieee_invalid_op 0
		.amdhsa_exception_fp_denorm_src 0
		.amdhsa_exception_fp_ieee_div_zero 0
		.amdhsa_exception_fp_ieee_overflow 0
		.amdhsa_exception_fp_ieee_underflow 0
		.amdhsa_exception_fp_ieee_inexact 0
		.amdhsa_exception_int_div_zero 0
	.end_amdhsa_kernel
	.section	.text._ZN4vllm25paged_attention_v2_kernelI14__hip_bfloat16S1_Li64ELi32ELi128ELNS_18Fp8KVCacheDataTypeE0ELb1ELi512EEEvPfS3_PT_PKS4_PKT0_SA_ifPKiSC_iPKfiiiSE_SE_iiiii,"axG",@progbits,_ZN4vllm25paged_attention_v2_kernelI14__hip_bfloat16S1_Li64ELi32ELi128ELNS_18Fp8KVCacheDataTypeE0ELb1ELi512EEEvPfS3_PT_PKS4_PKT0_SA_ifPKiSC_iPKfiiiSE_SE_iiiii,comdat
.Lfunc_end172:
	.size	_ZN4vllm25paged_attention_v2_kernelI14__hip_bfloat16S1_Li64ELi32ELi128ELNS_18Fp8KVCacheDataTypeE0ELb1ELi512EEEvPfS3_PT_PKS4_PKT0_SA_ifPKiSC_iPKfiiiSE_SE_iiiii, .Lfunc_end172-_ZN4vllm25paged_attention_v2_kernelI14__hip_bfloat16S1_Li64ELi32ELi128ELNS_18Fp8KVCacheDataTypeE0ELb1ELi512EEEvPfS3_PT_PKS4_PKT0_SA_ifPKiSC_iPKfiiiSE_SE_iiiii
                                        ; -- End function
	.section	.AMDGPU.csdata,"",@progbits
; Kernel info:
; codeLenInByte = 9232
; NumSgprs: 56
; NumVgprs: 88
; NumAgprs: 0
; TotalNumVgprs: 88
; ScratchSize: 0
; MemoryBound: 0
; FloatMode: 240
; IeeeMode: 1
; LDSByteSize: 144 bytes/workgroup (compile time only)
; SGPRBlocks: 6
; VGPRBlocks: 10
; NumSGPRsForWavesPerEU: 56
; NumVGPRsForWavesPerEU: 88
; AccumOffset: 88
; Occupancy: 5
; WaveLimiterHint : 1
; COMPUTE_PGM_RSRC2:SCRATCH_EN: 0
; COMPUTE_PGM_RSRC2:USER_SGPR: 6
; COMPUTE_PGM_RSRC2:TRAP_HANDLER: 0
; COMPUTE_PGM_RSRC2:TGID_X_EN: 1
; COMPUTE_PGM_RSRC2:TGID_Y_EN: 1
; COMPUTE_PGM_RSRC2:TGID_Z_EN: 1
; COMPUTE_PGM_RSRC2:TIDIG_COMP_CNT: 0
; COMPUTE_PGM_RSRC3_GFX90A:ACCUM_OFFSET: 21
; COMPUTE_PGM_RSRC3_GFX90A:TG_SPLIT: 0
	.section	.text._ZN4vllm25paged_attention_v2_kernelI14__hip_bfloat16S1_Li80ELi32ELi128ELNS_18Fp8KVCacheDataTypeE0ELb1ELi512EEEvPfS3_PT_PKS4_PKT0_SA_ifPKiSC_iPKfiiiSE_SE_iiiii,"axG",@progbits,_ZN4vllm25paged_attention_v2_kernelI14__hip_bfloat16S1_Li80ELi32ELi128ELNS_18Fp8KVCacheDataTypeE0ELb1ELi512EEEvPfS3_PT_PKS4_PKT0_SA_ifPKiSC_iPKfiiiSE_SE_iiiii,comdat
	.protected	_ZN4vllm25paged_attention_v2_kernelI14__hip_bfloat16S1_Li80ELi32ELi128ELNS_18Fp8KVCacheDataTypeE0ELb1ELi512EEEvPfS3_PT_PKS4_PKT0_SA_ifPKiSC_iPKfiiiSE_SE_iiiii ; -- Begin function _ZN4vllm25paged_attention_v2_kernelI14__hip_bfloat16S1_Li80ELi32ELi128ELNS_18Fp8KVCacheDataTypeE0ELb1ELi512EEEvPfS3_PT_PKS4_PKT0_SA_ifPKiSC_iPKfiiiSE_SE_iiiii
	.globl	_ZN4vllm25paged_attention_v2_kernelI14__hip_bfloat16S1_Li80ELi32ELi128ELNS_18Fp8KVCacheDataTypeE0ELb1ELi512EEEvPfS3_PT_PKS4_PKT0_SA_ifPKiSC_iPKfiiiSE_SE_iiiii
	.p2align	8
	.type	_ZN4vllm25paged_attention_v2_kernelI14__hip_bfloat16S1_Li80ELi32ELi128ELNS_18Fp8KVCacheDataTypeE0ELb1ELi512EEEvPfS3_PT_PKS4_PKT0_SA_ifPKiSC_iPKfiiiSE_SE_iiiii,@function
_ZN4vllm25paged_attention_v2_kernelI14__hip_bfloat16S1_Li80ELi32ELi128ELNS_18Fp8KVCacheDataTypeE0ELb1ELi512EEEvPfS3_PT_PKS4_PKT0_SA_ifPKiSC_iPKfiiiSE_SE_iiiii: ; @_ZN4vllm25paged_attention_v2_kernelI14__hip_bfloat16S1_Li80ELi32ELi128ELNS_18Fp8KVCacheDataTypeE0ELb1ELi512EEEvPfS3_PT_PKS4_PKT0_SA_ifPKiSC_iPKfiiiSE_SE_iiiii
; %bb.0:
	s_load_dwordx2 s[0:1], s[4:5], 0x40
	s_mov_b32 s24, s7
	s_ashr_i32 s25, s7, 31
	s_lshl_b64 s[2:3], s[24:25], 2
	s_waitcnt lgkmcnt(0)
	s_add_u32 s0, s0, s2
	s_addc_u32 s1, s1, s3
	s_load_dword s33, s[0:1], 0x0
	s_lshl_b32 s9, s8, 9
	s_waitcnt lgkmcnt(0)
	s_cmp_ge_i32 s9, s33
	s_cbranch_scc1 .LBB173_288
; %bb.1:
	s_load_dword s25, s[4:5], 0x90
	s_load_dwordx2 s[38:39], s[4:5], 0x30
	s_mov_b32 s49, 0
	s_waitcnt lgkmcnt(0)
	s_abs_i32 s2, s25
	s_abs_i32 s0, s38
	v_cvt_f32_u32_e32 v1, s0
	s_sub_i32 s3, 0, s0
	s_xor_b32 s1, s25, s38
	s_ashr_i32 s1, s1, 31
	v_rcp_iflag_f32_e32 v1, v1
	v_mul_f32_e32 v1, 0x4f7ffffe, v1
	v_cvt_u32_f32_e32 v1, v1
	v_readfirstlane_b32 s7, v1
	s_mul_i32 s3, s3, s7
	s_mul_hi_u32 s3, s7, s3
	s_add_i32 s7, s7, s3
	s_mul_hi_u32 s3, s2, s7
	s_mul_i32 s7, s3, s0
	s_sub_i32 s2, s2, s7
	s_add_i32 s10, s3, 1
	s_sub_i32 s7, s2, s0
	s_cmp_ge_u32 s2, s0
	s_cselect_b32 s3, s10, s3
	s_cselect_b32 s2, s7, s2
	s_add_i32 s7, s3, 1
	s_cmp_ge_u32 s2, s0
	s_cselect_b32 s0, s7, s3
	s_xor_b32 s0, s0, s1
	s_sub_i32 s11, s0, s1
	s_abs_i32 s2, s11
	v_cvt_f32_u32_e32 v1, s2
	s_load_dwordx2 s[0:1], s[4:5], 0x50
	s_sub_i32 s7, 0, s2
	s_abs_i32 s3, s6
	v_rcp_iflag_f32_e32 v1, v1
	v_mul_f32_e32 v1, 0x4f7ffffe, v1
	v_cvt_u32_f32_e32 v1, v1
	v_readfirstlane_b32 s10, v1
	s_mul_i32 s7, s7, s10
	s_mul_hi_u32 s7, s10, s7
	s_add_i32 s10, s10, s7
	s_waitcnt lgkmcnt(0)
	s_cmp_eq_u64 s[0:1], 0
	s_mul_hi_u32 s10, s3, s10
	s_cbranch_scc1 .LBB173_3
; %bb.2:
	s_ashr_i32 s7, s6, 31
	s_lshl_b64 s[12:13], s[6:7], 2
	s_add_u32 s0, s0, s12
	s_addc_u32 s1, s1, s13
	s_load_dword s49, s[0:1], 0x0
.LBB173_3:
	s_load_dwordx4 s[12:15], s[4:5], 0x58
	s_ashr_i32 s7, s6, 31
	s_ashr_i32 s11, s11, 31
	v_and_b32_e32 v2, 1, v0
	s_waitcnt lgkmcnt(0)
	s_movk_i32 s15, 0x50
	s_mul_i32 s26, s6, 0x50
	v_cmp_gt_u32_e32 vcc, 20, v0
	v_lshlrev_b32_e32 v16, 3, v0
	s_and_saveexec_b64 s[0:1], vcc
	s_cbranch_execz .LBB173_5
; %bb.4:
	s_load_dwordx2 s[16:17], s[4:5], 0x18
	s_mul_i32 s18, s24, s12
	s_ashr_i32 s19, s18, 31
	s_lshl_b64 s[18:19], s[18:19], 1
	v_lshlrev_b32_e32 v1, 2, v0
	s_waitcnt lgkmcnt(0)
	s_add_u32 s12, s16, s18
	s_addc_u32 s18, s17, s19
	s_ashr_i32 s27, s26, 31
	s_lshl_b64 s[16:17], s[26:27], 1
	s_add_u32 s16, s12, s16
	s_addc_u32 s17, s18, s17
	global_load_dwordx2 v[4:5], v16, s[16:17]
	v_and_b32_e32 v1, 0xff8, v1
	v_mad_u32_u24 v1, v2, s15, v1
	s_waitcnt vmcnt(0)
	ds_write_b64 v1, v[4:5]
.LBB173_5:
	s_or_b64 exec, exec, s[0:1]
	s_mul_i32 s1, s10, s2
	s_sub_i32 s1, s3, s1
	s_xor_b32 s0, s7, s11
	s_add_i32 s3, s10, 1
	s_sub_i32 s7, s1, s2
	s_load_dwordx4 s[16:19], s[4:5], 0x78
	s_cmp_ge_u32 s1, s2
	s_cselect_b32 s3, s3, s10
	s_load_dword s10, s[4:5], 0x88
	s_cselect_b32 s1, s7, s1
	s_add_i32 s7, s3, 1
	s_cmp_ge_u32 s1, s2
	s_cselect_b32 s1, s7, s3
	s_waitcnt lgkmcnt(0)
	s_abs_i32 s27, s19
	v_cvt_f32_u32_e32 v1, s27
	s_xor_b32 s1, s1, s0
	s_sub_i32 s2, s1, s0
	s_sub_i32 s0, 0, s27
	v_rcp_iflag_f32_e32 v1, v1
	s_add_i32 s11, s33, -1
	s_abs_i32 s3, s11
	v_mul_f32_e32 v1, 0x4f7ffffe, v1
	v_cvt_u32_f32_e32 v1, v1
	s_barrier
	v_readfirstlane_b32 s46, v1
	s_mul_i32 s0, s0, s46
	s_mul_hi_u32 s0, s46, s0
	s_add_i32 s46, s46, s0
	s_cmp_lt_i32 s10, 0
	s_mul_hi_u32 s7, s3, s46
	s_cbranch_scc0 .LBB173_7
; %bb.6:
	s_mul_i32 s0, s16, s38
	s_add_i32 s0, s2, s0
	s_mul_i32 s0, s0, s10
	s_sub_i32 s47, 1, s0
	s_mov_b64 s[0:1], 0
	s_branch .LBB173_8
.LBB173_7:
	s_mov_b64 s[0:1], -1
                                        ; implicit-def: $sgpr47
.LBB173_8:
	s_load_dwordx2 s[30:31], s[4:5], 0x38
	s_ashr_i32 s11, s11, 31
	s_andn2_b64 vcc, exec, s[0:1]
	s_ashr_i32 s19, s19, 31
	s_cbranch_vccnz .LBB173_10
; %bb.9:
	s_mul_i32 s0, s25, s16
	s_add_i32 s0, s0, s6
	s_mul_i32 s0, s0, s10
	s_add_i32 s47, s0, 1
.LBB173_10:
	s_load_dword s0, s[4:5], 0x48
	s_load_dwordx2 s[36:37], s[4:5], 0x28
	s_load_dword s12, s[4:5], 0x98
	s_load_dwordx4 s[20:23], s[4:5], 0x0
	s_load_dwordx2 s[28:29], s[4:5], 0x10
	s_mul_i32 s1, s7, s27
	s_waitcnt lgkmcnt(0)
	s_mul_i32 s34, s24, s0
	s_sub_i32 s1, s3, s1
	s_ashr_i32 s35, s34, 31
	s_xor_b32 s0, s11, s19
	s_add_i32 s3, s7, 1
	s_sub_i32 s10, s1, s27
	s_cmp_ge_u32 s1, s27
	s_cselect_b32 s3, s3, s7
	s_cselect_b32 s1, s10, s1
	s_add_i32 s7, s3, 1
	s_cmp_ge_u32 s1, s27
	s_cselect_b32 s1, s7, s3
	s_xor_b32 s1, s1, s0
	s_sub_i32 s48, s1, s0
	s_add_i32 s0, s33, 31
	s_ashr_i32 s1, s0, 31
	s_lshr_b32 s1, s1, 27
	s_add_i32 s0, s0, s1
	s_lshl_b32 s38, s8, 4
	s_ashr_i32 s7, s0, 5
	s_add_i32 s0, s38, 16
	v_lshrrev_b32_e32 v26, 6, v0
	s_min_i32 s16, s0, s7
	v_or_b32_e32 v10, s38, v26
	v_cmp_gt_i32_e64 s[0:1], s16, v10
	v_mov_b32_e32 v20, 0xff7fffff
	s_mul_i32 s14, s2, s14
	v_ashrrev_i32_e32 v11, 31, v10
	v_lshl_add_u32 v1, v26, 5, s9
	v_mbcnt_lo_u32_b32 v14, -1, 0
	s_and_saveexec_b64 s[40:41], s[0:1]
	s_cbranch_execz .LBB173_20
; %bb.11:
	s_load_dwordx2 s[2:3], s[4:5], 0x20
	s_ashr_i32 s15, s14, 31
	s_sub_i32 s50, s48, s17
	s_lshl_b64 s[4:5], s[14:15], 1
	v_bfe_u32 v15, v0, 1, 5
	s_waitcnt lgkmcnt(0)
	s_add_u32 s2, s2, s4
	s_addc_u32 s3, s3, s5
	s_abs_i32 s15, s18
	v_cvt_f32_u32_e32 v5, s15
	v_lshlrev_b32_e32 v3, 4, v15
	v_mov_b32_e32 v4, s3
	v_add_co_u32_e64 v3, s[2:3], s2, v3
	v_rcp_iflag_f32_e32 v5, v5
	v_addc_co_u32_e64 v4, s[2:3], 0, v4, s[2:3]
	v_and_b32_e32 v6, 8, v16
	v_add_co_u32_e64 v17, s[2:3], v3, v6
	v_mul_f32_e32 v3, 0x4f7ffffe, v5
	v_cvt_u32_f32_e32 v3, v3
	s_sub_i32 s4, 0, s15
	v_cmp_eq_u32_e32 vcc, 0, v2
	v_mul_u32_u24_e32 v19, 0x50, v2
	v_mul_lo_u32 v2, s4, v3
	s_lshl_b64 s[4:5], s[34:35], 2
	v_mul_hi_u32 v2, v3, v2
	s_add_u32 s4, s30, s4
	v_add_u32_e32 v21, v3, v2
	v_lshlrev_b64 v[2:3], 2, v[10:11]
	s_addc_u32 s5, s31, s5
	v_addc_co_u32_e64 v18, s[2:3], 0, v4, s[2:3]
	v_mov_b32_e32 v4, s5
	v_add_co_u32_e64 v2, s[4:5], s4, v2
	v_addc_co_u32_e64 v3, s[4:5], v4, v3, s[4:5]
	v_lshlrev_b32_e32 v4, 2, v15
	v_lshl_or_b32 v4, v26, 7, v4
	v_add_u32_e32 v23, 0xb0, v4
	v_subrev_u32_e32 v4, s33, v15
	v_mbcnt_hi_u32_b32 v27, -1, v14
	v_add_u32_e32 v24, 1, v4
	v_and_b32_e32 v4, 64, v27
	s_mov_b32 s51, s13
	v_cmp_neq_f32_e64 s[2:3], s49, 0
	v_lshl_add_u32 v22, v26, 5, s9
	s_mov_b64 s[42:43], 0
	v_mov_b32_e32 v25, 0xff7fffff
	s_movk_i32 s52, 0x1000
	v_xor_b32_e32 v28, 1, v27
	v_add_u32_e32 v29, 64, v4
	v_mov_b32_e32 v20, 0xff7fffff
	v_mov_b32_e32 v30, v10
	s_branch .LBB173_14
.LBB173_12:                             ;   in Loop: Header=BB173_14 Depth=1
	s_or_b64 exec, exec, s[44:45]
.LBB173_13:                             ;   in Loop: Header=BB173_14 Depth=1
	s_or_b64 exec, exec, s[10:11]
	v_add_co_u32_e64 v2, s[4:5], 8, v2
	v_add_u32_e32 v30, 2, v30
	v_addc_co_u32_e64 v3, s[4:5], 0, v3, s[4:5]
	v_cmp_le_i32_e64 s[4:5], s16, v30
	v_add_u32_e32 v22, 64, v22
	s_or_b64 s[42:43], s[4:5], s[42:43]
	v_add_u32_e32 v23, 0x100, v23
	s_andn2_b64 exec, exec, s[42:43]
	s_cbranch_execz .LBB173_19
.LBB173_14:                             ; =>This Inner Loop Header: Depth=1
	s_waitcnt lgkmcnt(0)
	v_sub_u32_e32 v5, 0, v22
	v_max_i32_e32 v5, v22, v5
	v_mul_hi_u32 v6, v5, s46
	v_mul_lo_u32 v7, v6, s27
	v_sub_u32_e32 v5, v5, v7
	v_add_u32_e32 v7, 1, v6
	v_cmp_le_u32_e64 s[4:5], s27, v5
	v_cndmask_b32_e64 v6, v6, v7, s[4:5]
	v_subrev_u32_e32 v7, s27, v5
	v_cndmask_b32_e64 v5, v5, v7, s[4:5]
	v_ashrrev_i32_e32 v4, 31, v22
	v_add_u32_e32 v7, 1, v6
	v_cmp_le_u32_e64 s[4:5], s27, v5
	v_xor_b32_e32 v4, s19, v4
	v_cndmask_b32_e64 v5, v6, v7, s[4:5]
	v_xor_b32_e32 v5, v5, v4
	v_sub_u32_e32 v4, v5, v4
	v_add_u32_e32 v5, s47, v4
	v_sub_u32_e32 v7, 0, v5
	v_ashrrev_i32_e32 v6, 31, v5
	v_max_i32_e32 v5, v5, v7
	v_mul_hi_u32 v7, v5, v21
	v_mul_lo_u32 v7, v7, s15
	v_sub_u32_e32 v5, v5, v7
	v_subrev_u32_e32 v7, s15, v5
	v_cmp_le_u32_e64 s[4:5], s15, v5
	v_cndmask_b32_e64 v5, v5, v7, s[4:5]
	v_subrev_u32_e32 v7, s15, v5
	v_cmp_le_u32_e64 s[4:5], s15, v5
	v_cndmask_b32_e64 v5, v5, v7, s[4:5]
	v_xor_b32_e32 v5, v5, v6
	v_sub_u32_e32 v5, v5, v6
	v_cmp_ne_u32_e64 s[4:5], 0, v5
	v_cmp_ge_i32_e64 s[10:11], s50, v4
	s_and_b64 s[4:5], s[4:5], s[10:11]
	s_and_b64 s[44:45], vcc, s[4:5]
	s_and_saveexec_b64 s[10:11], s[44:45]
	s_cbranch_execz .LBB173_16
; %bb.15:                               ;   in Loop: Header=BB173_14 Depth=1
	ds_write_b32 v23, v25
.LBB173_16:                             ;   in Loop: Header=BB173_14 Depth=1
	s_or_b64 exec, exec, s[10:11]
	s_xor_b64 s[4:5], s[4:5], -1
	s_and_saveexec_b64 s[10:11], s[4:5]
	s_cbranch_execz .LBB173_13
; %bb.17:                               ;   in Loop: Header=BB173_14 Depth=1
	global_load_dword v4, v[2:3], off
	s_waitcnt vmcnt(0)
	v_mad_i64_i32 v[4:5], s[4:5], v4, s51, 0
	v_lshlrev_b64 v[4:5], 1, v[4:5]
	v_add_co_u32_e64 v4, s[4:5], v17, v4
	v_addc_co_u32_e64 v5, s[4:5], v18, v5, s[4:5]
	global_load_dwordx2 v[8:9], v[4:5], off
	global_load_dwordx2 v[6:7], v[4:5], off offset:512
	global_load_dwordx2 v[52:53], v[4:5], off offset:1024
	;; [unrolled: 1-line block ×6, first 2 shown]
	ds_read_b128 v[32:35], v19
	ds_read_b128 v[36:39], v19 offset:16
	ds_read_b128 v[40:43], v19 offset:32
	;; [unrolled: 1-line block ×4, first 2 shown]
	s_waitcnt lgkmcnt(4)
	v_lshlrev_b32_e32 v31, 16, v32
	v_and_b32_e32 v79, 0xffff0000, v32
	v_add_co_u32_e64 v32, s[4:5], s52, v4
	v_lshlrev_b32_e32 v60, 16, v33
	v_lshlrev_b32_e32 v61, 16, v34
	v_and_b32_e32 v80, 0xffff0000, v33
	v_and_b32_e32 v34, 0xffff0000, v34
	v_addc_co_u32_e64 v33, s[4:5], 0, v5, s[4:5]
	global_load_dwordx2 v[4:5], v[4:5], off offset:3584
	v_lshlrev_b32_e32 v62, 16, v35
	s_waitcnt lgkmcnt(3)
	v_lshlrev_b32_e32 v63, 16, v36
	v_and_b32_e32 v35, 0xffff0000, v35
	v_and_b32_e32 v36, 0xffff0000, v36
	v_lshlrev_b32_e32 v64, 16, v37
	v_lshlrev_b32_e32 v65, 16, v38
	v_and_b32_e32 v38, 0xffff0000, v38
	v_lshlrev_b32_e32 v66, 16, v39
	s_waitcnt lgkmcnt(2)
	v_lshlrev_b32_e32 v67, 16, v40
	v_and_b32_e32 v37, 0xffff0000, v37
	v_and_b32_e32 v40, 0xffff0000, v40
	v_lshlrev_b32_e32 v68, 16, v41
	v_lshlrev_b32_e32 v69, 16, v42
	v_and_b32_e32 v39, 0xffff0000, v39
	v_and_b32_e32 v42, 0xffff0000, v42
	v_lshlrev_b32_e32 v70, 16, v43
	s_waitcnt lgkmcnt(1)
	v_lshlrev_b32_e32 v71, 16, v44
	v_and_b32_e32 v41, 0xffff0000, v41
	v_and_b32_e32 v44, 0xffff0000, v44
	v_lshlrev_b32_e32 v72, 16, v45
	v_lshlrev_b32_e32 v73, 16, v46
	v_and_b32_e32 v43, 0xffff0000, v43
	;; [unrolled: 9-line block ×3, first 2 shown]
	v_and_b32_e32 v50, 0xffff0000, v50
	v_lshlrev_b32_e32 v78, 16, v51
	v_and_b32_e32 v49, 0xffff0000, v49
	v_and_b32_e32 v51, 0xffff0000, v51
	v_cmp_lt_i32_e64 s[4:5], v28, v29
	s_waitcnt vmcnt(7)
	v_lshlrev_b32_e32 v82, 16, v9
	v_and_b32_e32 v83, 0xffff0000, v9
	s_waitcnt vmcnt(6)
	v_lshlrev_b32_e32 v9, 16, v6
	v_and_b32_e32 v6, 0xffff0000, v6
	v_lshlrev_b32_e32 v81, 16, v8
	v_and_b32_e32 v8, 0xffff0000, v8
	v_mul_f32_e32 v34, v34, v6
	v_lshlrev_b32_e32 v84, 16, v7
	v_and_b32_e32 v85, 0xffff0000, v7
	v_mul_f32_e32 v61, v61, v9
	v_fmac_f32_e32 v34, v79, v8
	global_load_dwordx2 v[6:7], v[32:33], off
	global_load_dwordx2 v[8:9], v[32:33], off offset:512
	s_waitcnt vmcnt(7)
	v_lshlrev_b32_e32 v86, 16, v52
	v_and_b32_e32 v52, 0xffff0000, v52
	v_fmac_f32_e32 v61, v31, v81
	v_mul_f32_e32 v32, v62, v84
	v_lshlrev_b32_e32 v87, 16, v53
	s_waitcnt vmcnt(6)
	v_lshlrev_b32_e32 v88, 16, v54
	v_and_b32_e32 v54, 0xffff0000, v54
	v_fmac_f32_e32 v32, v60, v82
	v_mul_f32_e32 v35, v35, v85
	v_fmac_f32_e32 v61, v63, v86
	v_fmac_f32_e32 v34, v36, v52
	v_and_b32_e32 v53, 0xffff0000, v53
	v_lshlrev_b32_e32 v89, 16, v55
	s_waitcnt vmcnt(5)
	v_lshlrev_b32_e32 v90, 16, v56
	v_and_b32_e32 v56, 0xffff0000, v56
	v_fmac_f32_e32 v35, v80, v83
	v_fmac_f32_e32 v32, v64, v87
	v_fmac_f32_e32 v61, v65, v88
	v_fmac_f32_e32 v34, v38, v54
	v_and_b32_e32 v55, 0xffff0000, v55
	v_lshlrev_b32_e32 v91, 16, v57
	s_waitcnt vmcnt(4)
	v_lshlrev_b32_e32 v92, 16, v58
	v_and_b32_e32 v31, 0xffff0000, v58
	v_fmac_f32_e32 v35, v37, v53
	v_fmac_f32_e32 v32, v66, v89
	;; [unrolled: 9-line block ×4, first 2 shown]
	v_fmac_f32_e32 v61, v71, v81
	v_fmac_f32_e32 v34, v44, v12
	v_and_b32_e32 v13, 0xffff0000, v13
	v_lshlrev_b32_e32 v60, 16, v5
	v_fmac_f32_e32 v35, v43, v59
	v_fmac_f32_e32 v32, v72, v93
	;; [unrolled: 1-line block ×4, first 2 shown]
	v_and_b32_e32 v5, 0xffff0000, v5
	v_fmac_f32_e32 v35, v45, v13
	v_fmac_f32_e32 v32, v74, v60
	;; [unrolled: 1-line block ×3, first 2 shown]
	v_cndmask_b32_e64 v62, v27, v28, s[4:5]
	v_lshlrev_b32_e32 v62, 2, v62
	s_waitcnt vmcnt(1)
	v_lshlrev_b32_e32 v79, 16, v6
	v_and_b32_e32 v6, 0xffff0000, v6
	v_lshlrev_b32_e32 v80, 16, v7
	s_waitcnt vmcnt(0)
	v_lshlrev_b32_e32 v82, 16, v8
	v_and_b32_e32 v8, 0xffff0000, v8
	v_fmac_f32_e32 v61, v75, v79
	v_fmac_f32_e32 v34, v48, v6
	v_and_b32_e32 v7, 0xffff0000, v7
	v_lshlrev_b32_e32 v63, 16, v9
	v_fmac_f32_e32 v32, v76, v80
	v_fmac_f32_e32 v61, v77, v82
	;; [unrolled: 1-line block ×3, first 2 shown]
	v_and_b32_e32 v9, 0xffff0000, v9
	v_fmac_f32_e32 v35, v49, v7
	v_fmac_f32_e32 v32, v78, v63
	v_add_f32_e32 v4, v61, v34
	v_fmac_f32_e32 v35, v51, v9
	v_add_f32_e32 v4, v4, v32
	v_add_f32_e32 v4, v35, v4
	ds_bpermute_b32 v5, v62, v4
	s_and_saveexec_b64 s[44:45], vcc
	s_cbranch_execz .LBB173_12
; %bb.18:                               ;   in Loop: Header=BB173_14 Depth=1
	v_add_u32_e32 v6, v24, v22
	v_cvt_f32_i32_e32 v6, v6
	s_waitcnt lgkmcnt(0)
	v_add_f32_e32 v4, v4, v5
	v_add_u32_e32 v7, v15, v22
	v_cmp_gt_i32_e64 s[4:5], s33, v7
	v_mul_f32_e32 v5, s49, v6
	v_cndmask_b32_e64 v5, 0, v5, s[2:3]
	v_fmac_f32_e32 v5, s39, v4
	v_cndmask_b32_e64 v4, 0, v5, s[4:5]
	ds_write_b32 v23, v4
	v_max_f32_e32 v4, v20, v20
	v_max_f32_e32 v4, v4, v5
	v_cndmask_b32_e64 v20, v20, v4, s[4:5]
	s_branch .LBB173_12
.LBB173_19:
	s_or_b64 exec, exec, s[42:43]
.LBB173_20:
	s_or_b64 exec, exec, s[40:41]
	v_mbcnt_hi_u32_b32 v4, -1, v14
	v_and_b32_e32 v2, 64, v4
	v_add_u32_e32 v9, 64, v2
	v_xor_b32_e32 v2, 32, v4
	v_cmp_lt_i32_e32 vcc, v2, v9
	v_cndmask_b32_e32 v2, v4, v2, vcc
	v_lshlrev_b32_e32 v2, 2, v2
	ds_bpermute_b32 v3, v2, v20
	v_xor_b32_e32 v6, 16, v4
	s_waitcnt lgkmcnt(1)
	v_max_f32_e32 v5, v20, v20
	v_cmp_lt_i32_e32 vcc, v6, v9
	v_xor_b32_e32 v7, 8, v4
	s_waitcnt lgkmcnt(0)
	v_max_f32_e32 v3, v3, v3
	v_max_f32_e32 v5, v5, v3
	v_cndmask_b32_e32 v3, v4, v6, vcc
	v_lshlrev_b32_e32 v3, 2, v3
	ds_bpermute_b32 v6, v3, v5
	v_cmp_lt_i32_e32 vcc, v7, v9
	v_xor_b32_e32 v8, 4, v4
	v_xor_b32_e32 v12, 2, v4
	v_and_b32_e32 v18, 63, v0
	s_waitcnt lgkmcnt(0)
	v_max_f32_e32 v6, v6, v6
	v_max_f32_e32 v6, v5, v6
	v_cndmask_b32_e32 v5, v4, v7, vcc
	v_lshlrev_b32_e32 v5, 2, v5
	ds_bpermute_b32 v7, v5, v6
	v_cmp_lt_i32_e32 vcc, v8, v9
	s_waitcnt lgkmcnt(0)
	v_max_f32_e32 v7, v7, v7
	v_max_f32_e32 v7, v6, v7
	v_cndmask_b32_e32 v6, v4, v8, vcc
	v_lshlrev_b32_e32 v6, 2, v6
	ds_bpermute_b32 v8, v6, v7
	v_cmp_lt_i32_e32 vcc, v12, v9
	s_waitcnt lgkmcnt(0)
	v_max_f32_e32 v8, v8, v8
	v_max_f32_e32 v8, v7, v8
	v_cndmask_b32_e32 v7, v4, v12, vcc
	v_lshlrev_b32_e32 v19, 2, v7
	ds_bpermute_b32 v12, v19, v8
	v_cmp_eq_u32_e32 vcc, 0, v18
	v_lshlrev_b32_e32 v7, 2, v26
	s_and_saveexec_b64 s[2:3], vcc
	s_cbranch_execz .LBB173_22
; %bb.21:
	s_waitcnt lgkmcnt(0)
	v_max_f32_e32 v12, v12, v12
	v_max_f32_e32 v8, v8, v8
	v_max_f32_e32 v8, v8, v12
	ds_write_b32 v7, v8 offset:160
.LBB173_22:
	s_or_b64 exec, exec, s[2:3]
	v_cmp_gt_u32_e64 s[2:3], 2, v18
	s_waitcnt lgkmcnt(0)
	v_mov_b32_e32 v12, 0xff7fffff
	v_lshlrev_b32_e32 v8, 2, v18
	s_barrier
	s_and_saveexec_b64 s[4:5], s[2:3]
	s_cbranch_execz .LBB173_24
; %bb.23:
	ds_read_b32 v12, v8 offset:160
.LBB173_24:
	s_or_b64 exec, exec, s[4:5]
	v_xor_b32_e32 v13, 1, v4
	v_cmp_lt_i32_e64 s[4:5], v13, v9
	v_cndmask_b32_e64 v9, v4, v13, s[4:5]
	v_lshlrev_b32_e32 v20, 2, v9
	s_waitcnt lgkmcnt(0)
	ds_bpermute_b32 v9, v20, v12
	v_max_f32_e32 v12, v12, v12
	v_lshlrev_b32_e32 v4, 2, v4
	s_sub_i32 s4, s16, s38
	s_lshl_b32 s4, s4, 5
	s_waitcnt lgkmcnt(0)
	v_max_f32_e32 v9, v9, v9
	v_max_f32_e32 v12, v12, v9
	v_and_b32_e32 v9, 0x100, v4
	ds_bpermute_b32 v4, v9, v12
	s_add_i32 s4, s4, s9
	s_min_i32 s42, s4, s33
	s_sub_i32 s15, s42, s9
	v_cmp_gt_i32_e64 s[4:5], s15, v0
	v_mov_b32_e32 v12, 0
	s_and_saveexec_b64 s[38:39], s[4:5]
	s_cbranch_execz .LBB173_28
; %bb.25:
	v_mov_b32_e32 v12, 0xb0
	v_lshl_add_u32 v13, v0, 2, v12
	s_mov_b64 s[40:41], 0
	v_mov_b32_e32 v12, 0
	v_mov_b32_e32 v14, v0
.LBB173_26:                             ; =>This Inner Loop Header: Depth=1
	ds_read_b32 v15, v13
	v_add_u32_e32 v14, 0x80, v14
	v_cmp_le_i32_e64 s[10:11], s15, v14
	s_or_b64 s[40:41], s[10:11], s[40:41]
	s_waitcnt lgkmcnt(0)
	v_sub_f32_e32 v15, v15, v4
	v_mul_f32_e32 v15, 0x3fb8aa3b, v15
	v_exp_f32_e32 v15, v15
	ds_write_b32 v13, v15
	v_add_f32_e32 v12, v12, v15
	v_add_u32_e32 v13, 0x200, v13
	s_andn2_b64 exec, exec, s[40:41]
	s_cbranch_execnz .LBB173_26
; %bb.27:
	s_or_b64 exec, exec, s[40:41]
.LBB173_28:
	s_or_b64 exec, exec, s[38:39]
	ds_bpermute_b32 v2, v2, v12
	s_waitcnt lgkmcnt(0)
	v_add_f32_e32 v2, v12, v2
	ds_bpermute_b32 v3, v3, v2
	s_waitcnt lgkmcnt(0)
	v_add_f32_e32 v2, v2, v3
	;; [unrolled: 3-line block ×6, first 2 shown]
	s_and_saveexec_b64 s[10:11], vcc
	s_cbranch_execz .LBB173_30
; %bb.29:
	ds_write_b32 v7, v2 offset:168
.LBB173_30:
	s_or_b64 exec, exec, s[10:11]
	s_waitcnt lgkmcnt(0)
	s_barrier
	s_and_saveexec_b64 s[10:11], s[2:3]
	s_cbranch_execz .LBB173_32
; %bb.31:
	ds_read_b32 v2, v8 offset:168
.LBB173_32:
	s_or_b64 exec, exec, s[10:11]
	s_waitcnt lgkmcnt(0)
	ds_bpermute_b32 v3, v20, v2
	s_waitcnt lgkmcnt(0)
	v_add_f32_e32 v2, v2, v3
	ds_bpermute_b32 v5, v9, v2
	s_and_saveexec_b64 s[2:3], s[4:5]
	s_cbranch_execz .LBB173_45
; %bb.33:
	s_waitcnt lgkmcnt(0)
	v_add_f32_e32 v2, 0x358637bd, v5
	v_div_scale_f32 v3, s[4:5], v2, v2, 1.0
	v_rcp_f32_e32 v6, v3
	v_div_scale_f32 v7, vcc, 1.0, v2, 1.0
	s_movk_i32 s4, 0x7f
	v_fma_f32 v8, -v3, v6, 1.0
	v_fmac_f32_e32 v6, v8, v6
	v_mul_f32_e32 v8, v7, v6
	v_fma_f32 v9, -v3, v8, v7
	v_fmac_f32_e32 v8, v9, v6
	v_fma_f32 v3, -v3, v8, v7
	v_div_fmas_f32 v3, v3, v6, v8
	v_div_fixup_f32 v2, v3, v2, 1.0
	v_xad_u32 v3, v0, -1, s42
	v_subrev_u32_e32 v6, s9, v3
	v_cmp_lt_u32_e32 vcc, s4, v6
	s_mov_b64 s[10:11], -1
	v_mov_b32_e32 v3, v0
	s_and_saveexec_b64 s[4:5], vcc
	s_cbranch_execz .LBB173_42
; %bb.34:
	v_lshrrev_b32_e32 v6, 7, v6
	v_add_u32_e32 v8, -1, v6
	v_lshrrev_b32_e32 v7, 1, v8
	v_mov_b32_e32 v3, v2
	v_add_u32_e32 v7, 1, v7
	v_cmp_lt_u32_e32 vcc, 13, v8
	v_mov_b32_e32 v12, 0
	s_and_saveexec_b64 s[10:11], vcc
	s_cbranch_execz .LBB173_38
; %bb.35:
	v_mov_b32_e32 v9, 0xb0
	v_and_b32_e32 v8, -8, v7
	v_lshl_add_u32 v9, v0, 2, v9
	s_mov_b32 s9, 0
	s_mov_b64 s[38:39], 0
.LBB173_36:                             ; =>This Inner Loop Header: Depth=1
	ds_read2st64_b32 v[12:13], v9 offset1:2
	ds_read2st64_b32 v[14:15], v9 offset0:4 offset1:6
	ds_read2st64_b32 v[22:23], v9 offset0:8 offset1:10
	;; [unrolled: 1-line block ×3, first 2 shown]
	v_add_u32_e32 v8, -8, v8
	s_waitcnt lgkmcnt(3)
	v_pk_mul_f32 v[12:13], v[2:3], v[12:13]
	s_waitcnt lgkmcnt(2)
	v_pk_mul_f32 v[14:15], v[2:3], v[14:15]
	ds_write2st64_b32 v9, v12, v13 offset1:2
	ds_write2st64_b32 v9, v14, v15 offset0:4 offset1:6
	ds_read2st64_b32 v[14:15], v9 offset0:16 offset1:18
	s_waitcnt lgkmcnt(4)
	v_pk_mul_f32 v[12:13], v[2:3], v[22:23]
	ds_write2st64_b32 v9, v12, v13 offset0:8 offset1:10
	s_waitcnt lgkmcnt(4)
	v_pk_mul_f32 v[12:13], v[2:3], v[24:25]
	ds_write2st64_b32 v9, v12, v13 offset0:12 offset1:14
	ds_read2st64_b32 v[12:13], v9 offset0:20 offset1:22
	s_waitcnt lgkmcnt(3)
	v_pk_mul_f32 v[14:15], v[2:3], v[14:15]
	ds_read2st64_b32 v[22:23], v9 offset0:24 offset1:26
	ds_write2st64_b32 v9, v14, v15 offset0:16 offset1:18
	ds_read2st64_b32 v[14:15], v9 offset0:28 offset1:30
	s_waitcnt lgkmcnt(3)
	v_pk_mul_f32 v[12:13], v[2:3], v[12:13]
	ds_write2st64_b32 v9, v12, v13 offset0:20 offset1:22
	s_waitcnt lgkmcnt(3)
	v_pk_mul_f32 v[12:13], v[2:3], v[22:23]
	ds_write2st64_b32 v9, v12, v13 offset0:24 offset1:26
	s_waitcnt lgkmcnt(2)
	v_pk_mul_f32 v[12:13], v[2:3], v[14:15]
	s_add_i32 s9, s9, 16
	v_cmp_eq_u32_e32 vcc, 0, v8
	ds_write2st64_b32 v9, v12, v13 offset0:28 offset1:30
	v_add_u32_e32 v9, 0x2000, v9
	s_or_b64 s[38:39], vcc, s[38:39]
	v_mov_b32_e32 v12, s9
	s_andn2_b64 exec, exec, s[38:39]
	s_cbranch_execnz .LBB173_36
; %bb.37:
	s_or_b64 exec, exec, s[38:39]
.LBB173_38:
	s_or_b64 exec, exec, s[10:11]
	v_and_b32_e32 v7, 7, v7
	v_cmp_ne_u32_e32 vcc, 0, v7
	s_and_saveexec_b64 s[10:11], vcc
	s_cbranch_execz .LBB173_41
; %bb.39:
	v_lshlrev_b32_e32 v8, 9, v12
	v_lshlrev_b32_e32 v9, 2, v0
	s_movk_i32 s9, 0xb0
	v_add3_u32 v8, v8, v9, s9
	s_mov_b64 s[38:39], 0
.LBB173_40:                             ; =>This Inner Loop Header: Depth=1
	ds_read2st64_b32 v[12:13], v8 offset1:2
	v_add_u32_e32 v7, -1, v7
	v_cmp_eq_u32_e32 vcc, 0, v7
	s_or_b64 s[38:39], vcc, s[38:39]
	s_waitcnt lgkmcnt(0)
	v_pk_mul_f32 v[12:13], v[2:3], v[12:13]
	ds_write2st64_b32 v8, v12, v13 offset1:2
	v_add_u32_e32 v8, 0x400, v8
	s_andn2_b64 exec, exec, s[38:39]
	s_cbranch_execnz .LBB173_40
.LBB173_41:
	s_or_b64 exec, exec, s[10:11]
	v_add_u32_e32 v6, 1, v6
	v_and_b32_e32 v7, 0x3fffffe, v6
	v_cmp_ne_u32_e32 vcc, v6, v7
	v_lshl_add_u32 v3, v7, 7, v0
	s_orn2_b64 s[10:11], vcc, exec
.LBB173_42:
	s_or_b64 exec, exec, s[4:5]
	s_and_b64 exec, exec, s[10:11]
	s_cbranch_execz .LBB173_45
; %bb.43:
	v_mov_b32_e32 v6, 0xb0
	v_lshl_add_u32 v6, v3, 2, v6
	s_mov_b64 s[4:5], 0
.LBB173_44:                             ; =>This Inner Loop Header: Depth=1
	ds_read_b32 v7, v6
	v_add_u32_e32 v3, 0x80, v3
	v_cmp_le_i32_e32 vcc, s15, v3
	s_or_b64 s[4:5], vcc, s[4:5]
	s_waitcnt lgkmcnt(0)
	v_mul_f32_e32 v7, v2, v7
	ds_write_b32 v6, v7
	v_add_u32_e32 v6, 0x200, v6
	s_andn2_b64 exec, exec, s[4:5]
	s_cbranch_execnz .LBB173_44
.LBB173_45:
	s_or_b64 exec, exec, s[2:3]
	v_cmp_eq_u32_e32 vcc, 0, v0
	s_waitcnt lgkmcnt(0)
	s_barrier
	s_and_saveexec_b64 s[2:3], vcc
	s_cbranch_execz .LBB173_47
; %bb.46:
	s_mul_i32 s4, s12, s24
	s_mul_i32 s4, s4, s25
	s_ashr_i32 s5, s4, 31
	s_lshl_b64 s[4:5], s[4:5], 2
	s_add_u32 s9, s22, s4
	s_mul_i32 s10, s12, s6
	s_addc_u32 s15, s23, s5
	s_ashr_i32 s11, s10, 31
	s_lshl_b64 s[10:11], s[10:11], 2
	s_add_u32 s6, s9, s10
	s_addc_u32 s15, s15, s11
	s_ashr_i32 s9, s8, 31
	s_lshl_b64 s[22:23], s[8:9], 2
	s_add_u32 s38, s6, s22
	s_addc_u32 s39, s15, s23
	s_add_u32 s4, s20, s4
	s_addc_u32 s5, s21, s5
	s_add_u32 s4, s4, s10
	s_addc_u32 s5, s5, s11
	s_add_u32 s4, s4, s22
	v_mov_b32_e32 v2, 0
	s_addc_u32 s5, s5, s23
	global_store_dword v2, v4, s[38:39]
	global_store_dword v2, v5, s[4:5]
.LBB173_47:
	s_or_b64 exec, exec, s[2:3]
	v_mov_b32_e32 v22, 0
	v_and_b32_e32 v21, 3, v0
	v_mov_b32_e32 v13, 0
	v_mov_b32_e32 v12, 0
	v_mov_b32_e32 v15, 0
	v_mov_b32_e32 v14, 0
	s_and_saveexec_b64 s[2:3], s[0:1]
	s_cbranch_execz .LBB173_255
; %bb.48:
	s_ashr_i32 s15, s14, 31
	s_sub_i32 s9, s48, s17
	s_lshl_b64 s[0:1], s[14:15], 1
	s_add_u32 s14, s36, s0
	s_addc_u32 s15, s37, s1
	s_abs_i32 s17, s18
	v_cvt_f32_u32_e32 v2, s17
	s_sub_i32 s0, 0, s17
	s_add_i32 s18, s7, -1
	v_lshlrev_b64 v[6:7], 2, v[10:11]
	v_rcp_iflag_f32_e32 v3, v2
	v_and_b32_e32 v23, 24, v16
	v_and_b32_e32 v2, 0x1f8, v16
	v_or_b32_e32 v4, 0x800, v2
	v_mul_f32_e32 v3, 0x4f7ffffe, v3
	v_cvt_u32_f32_e32 v3, v3
	v_mov_b32_e32 v24, 0
	s_mov_b64 s[4:5], 0
	s_mov_b32 s20, 0x7f800000
	v_mul_lo_u32 v5, s0, v3
	s_lshl_b64 s[0:1], s[34:35], 2
	s_add_u32 s0, s30, s0
	v_mul_hi_u32 v5, v3, v5
	s_addc_u32 s1, s31, s1
	v_add_u32_e32 v25, v3, v5
	v_mov_b32_e32 v3, s1
	v_add_co_u32_e32 v16, vcc, s0, v6
	v_addc_co_u32_e32 v17, vcc, v3, v7, vcc
	v_lshlrev_b32_e32 v3, 5, v21
	v_lshl_or_b32 v3, v26, 7, v3
	v_add_u32_e32 v11, 0xb0, v3
	s_movk_i32 s21, 0x7fff
	v_lshlrev_b32_e32 v26, 1, v2
	v_lshlrev_b32_e32 v27, 1, v4
	v_mov_b32_e32 v14, 0
	v_mov_b32_e32 v15, 0
	;; [unrolled: 1-line block ×5, first 2 shown]
	s_branch .LBB173_51
.LBB173_49:                             ;   in Loop: Header=BB173_51 Depth=1
	s_or_b64 exec, exec, s[0:1]
	v_and_b32_e32 v43, 0xffff0000, v69
	v_and_b32_e32 v42, 0xffff0000, v7
	;; [unrolled: 1-line block ×8, first 2 shown]
	v_pk_add_f32 v[6:7], v[6:7], v[42:43]
	v_pk_add_f32 v[38:39], v[40:41], v[38:39]
	v_add_f32_e32 v6, v6, v7
	v_add_f32_e32 v6, v6, v38
	;; [unrolled: 1-line block ×3, first 2 shown]
	v_and_b32_e32 v41, 0xffff0000, v63
	v_and_b32_e32 v40, 0xffff0000, v61
	;; [unrolled: 1-line block ×4, first 2 shown]
	v_add_f32_e32 v13, v13, v6
	v_and_b32_e32 v7, 0xffff0000, v67
	v_and_b32_e32 v6, 0xffff0000, v65
	;; [unrolled: 1-line block ×4, first 2 shown]
	v_pk_add_f32 v[40:41], v[42:43], v[40:41]
	v_pk_add_f32 v[6:7], v[38:39], v[6:7]
	v_add_f32_e32 v38, v40, v41
	v_add_f32_e32 v6, v38, v6
	;; [unrolled: 1-line block ×3, first 2 shown]
	v_and_b32_e32 v41, 0xffff0000, v55
	v_and_b32_e32 v40, 0xffff0000, v53
	v_and_b32_e32 v43, 0xffff0000, v54
	v_and_b32_e32 v42, 0xffff0000, v52
	v_add_f32_e32 v12, v12, v6
	v_and_b32_e32 v7, 0xffff0000, v59
	v_and_b32_e32 v6, 0xffff0000, v57
	;; [unrolled: 1-line block ×4, first 2 shown]
	v_pk_add_f32 v[40:41], v[42:43], v[40:41]
	v_pk_add_f32 v[6:7], v[38:39], v[6:7]
	v_add_f32_e32 v38, v40, v41
	v_add_f32_e32 v6, v38, v6
	;; [unrolled: 1-line block ×4, first 2 shown]
	v_and_b32_e32 v7, 0xffff0000, v33
	v_and_b32_e32 v6, 0xffff0000, v31
	;; [unrolled: 1-line block ×8, first 2 shown]
	v_pk_add_f32 v[8:9], v[8:9], v[32:33]
	v_pk_add_f32 v[6:7], v[30:31], v[6:7]
	v_add_f32_e32 v8, v8, v9
	v_add_f32_e32 v6, v8, v6
	;; [unrolled: 1-line block ×3, first 2 shown]
	v_and_b32_e32 v9, 0xffff0000, v35
	v_and_b32_e32 v8, 0xffff0000, v34
	;; [unrolled: 1-line block ×4, first 2 shown]
	v_add_f32_e32 v14, v14, v6
	v_and_b32_e32 v7, 0xffff0000, v37
	v_and_b32_e32 v6, 0xffff0000, v36
	;; [unrolled: 1-line block ×4, first 2 shown]
	v_pk_add_f32 v[2:3], v[2:3], v[8:9]
	v_pk_add_f32 v[4:5], v[4:5], v[6:7]
	v_add_f32_e32 v2, v2, v3
	v_add_f32_e32 v2, v2, v4
	v_add_f32_e32 v2, v2, v5
	v_add_f32_e32 v22, v22, v2
.LBB173_50:                             ;   in Loop: Header=BB173_51 Depth=1
	s_or_b64 exec, exec, s[6:7]
	v_add_co_u32_e32 v16, vcc, 8, v16
	v_add_u32_e32 v10, 2, v10
	v_addc_co_u32_e32 v17, vcc, 0, v17, vcc
	v_cmp_le_i32_e32 vcc, s16, v10
	v_add_u32_e32 v1, 64, v1
	s_or_b64 s[4:5], vcc, s[4:5]
	v_add_u32_e32 v11, 0x100, v11
	s_andn2_b64 exec, exec, s[4:5]
	s_cbranch_execz .LBB173_254
.LBB173_51:                             ; =>This Inner Loop Header: Depth=1
	v_sub_u32_e32 v3, 0, v1
	v_max_i32_e32 v3, v1, v3
	v_mul_hi_u32 v4, v3, s46
	v_mul_lo_u32 v5, v4, s27
	v_sub_u32_e32 v3, v3, v5
	v_add_u32_e32 v5, 1, v4
	v_cmp_le_u32_e32 vcc, s27, v3
	v_cndmask_b32_e32 v4, v4, v5, vcc
	v_subrev_u32_e32 v5, s27, v3
	v_cndmask_b32_e32 v3, v3, v5, vcc
	v_ashrrev_i32_e32 v2, 31, v1
	v_add_u32_e32 v5, 1, v4
	v_cmp_le_u32_e32 vcc, s27, v3
	v_xor_b32_e32 v2, s19, v2
	v_cndmask_b32_e32 v3, v4, v5, vcc
	v_xor_b32_e32 v3, v3, v2
	v_sub_u32_e32 v2, v3, v2
	v_add_u32_e32 v3, s47, v2
	v_sub_u32_e32 v5, 0, v3
	v_ashrrev_i32_e32 v4, 31, v3
	v_max_i32_e32 v3, v3, v5
	v_mul_hi_u32 v5, v3, v25
	v_mul_lo_u32 v5, v5, s17
	v_sub_u32_e32 v3, v3, v5
	v_subrev_u32_e32 v5, s17, v3
	v_cmp_le_u32_e32 vcc, s17, v3
	v_cndmask_b32_e32 v3, v3, v5, vcc
	v_subrev_u32_e32 v5, s17, v3
	v_cmp_le_u32_e32 vcc, s17, v3
	v_cndmask_b32_e32 v3, v3, v5, vcc
	v_xor_b32_e32 v3, v3, v4
	v_sub_u32_e32 v3, v3, v4
	v_cmp_eq_u32_e32 vcc, 0, v3
	v_cmp_lt_i32_e64 s[0:1], s9, v2
	s_or_b64 s[0:1], vcc, s[0:1]
	s_and_saveexec_b64 s[6:7], s[0:1]
	s_cbranch_execz .LBB173_50
; %bb.52:                               ;   in Loop: Header=BB173_51 Depth=1
	global_load_dword v34, v[16:17], off
	ds_read2_b64 v[6:9], v11 offset1:1
	ds_read2_b64 v[2:5], v11 offset0:2 offset1:3
                                        ; implicit-def: $vgpr44
	s_waitcnt lgkmcnt(1)
	v_and_b32_e32 v28, 0x7f800000, v6
	v_cmp_ne_u32_e32 vcc, s20, v28
	s_and_saveexec_b64 s[0:1], vcc
	s_xor_b64 s[0:1], exec, s[0:1]
; %bb.53:                               ;   in Loop: Header=BB173_51 Depth=1
	v_bfe_u32 v28, v6, 16, 1
	v_add3_u32 v44, v6, v28, s21
; %bb.54:                               ;   in Loop: Header=BB173_51 Depth=1
	s_andn2_saveexec_b64 s[0:1], s[0:1]
; %bb.55:                               ;   in Loop: Header=BB173_51 Depth=1
	v_or_b32_e32 v28, 0x10000, v6
	v_cmp_eq_u32_sdwa vcc, v6, v24 src0_sel:WORD_0 src1_sel:DWORD
	v_cndmask_b32_e32 v44, v28, v6, vcc
; %bb.56:                               ;   in Loop: Header=BB173_51 Depth=1
	s_or_b64 exec, exec, s[0:1]
	v_and_b32_e32 v6, 0x7f800000, v7
	v_cmp_ne_u32_e32 vcc, s20, v6
                                        ; implicit-def: $vgpr45
	s_and_saveexec_b64 s[0:1], vcc
	s_xor_b64 s[0:1], exec, s[0:1]
; %bb.57:                               ;   in Loop: Header=BB173_51 Depth=1
	v_bfe_u32 v6, v7, 16, 1
	v_add3_u32 v45, v7, v6, s21
; %bb.58:                               ;   in Loop: Header=BB173_51 Depth=1
	s_andn2_saveexec_b64 s[0:1], s[0:1]
; %bb.59:                               ;   in Loop: Header=BB173_51 Depth=1
	v_or_b32_e32 v6, 0x10000, v7
	v_cmp_eq_u32_sdwa vcc, v7, v24 src0_sel:WORD_0 src1_sel:DWORD
	v_cndmask_b32_e32 v45, v6, v7, vcc
; %bb.60:                               ;   in Loop: Header=BB173_51 Depth=1
	s_or_b64 exec, exec, s[0:1]
	v_and_b32_e32 v6, 0x7f800000, v8
	v_cmp_ne_u32_e32 vcc, s20, v6
                                        ; implicit-def: $vgpr28
	s_and_saveexec_b64 s[0:1], vcc
	s_xor_b64 s[0:1], exec, s[0:1]
; %bb.61:                               ;   in Loop: Header=BB173_51 Depth=1
	v_bfe_u32 v6, v8, 16, 1
	v_add3_u32 v28, v8, v6, s21
; %bb.62:                               ;   in Loop: Header=BB173_51 Depth=1
	s_andn2_saveexec_b64 s[0:1], s[0:1]
; %bb.63:                               ;   in Loop: Header=BB173_51 Depth=1
	v_or_b32_e32 v6, 0x10000, v8
	v_cmp_eq_u32_sdwa vcc, v8, v24 src0_sel:WORD_0 src1_sel:DWORD
	v_cndmask_b32_e32 v28, v6, v8, vcc
; %bb.64:                               ;   in Loop: Header=BB173_51 Depth=1
	s_or_b64 exec, exec, s[0:1]
	v_and_b32_e32 v6, 0x7f800000, v9
	v_cmp_ne_u32_e32 vcc, s20, v6
                                        ; implicit-def: $vgpr29
	s_and_saveexec_b64 s[0:1], vcc
	s_xor_b64 s[0:1], exec, s[0:1]
; %bb.65:                               ;   in Loop: Header=BB173_51 Depth=1
	v_bfe_u32 v6, v9, 16, 1
	v_add3_u32 v29, v9, v6, s21
                                        ; implicit-def: $vgpr6_vgpr7_vgpr8_vgpr9
; %bb.66:                               ;   in Loop: Header=BB173_51 Depth=1
	s_andn2_saveexec_b64 s[0:1], s[0:1]
; %bb.67:                               ;   in Loop: Header=BB173_51 Depth=1
	v_or_b32_e32 v6, 0x10000, v9
	v_cmp_eq_u32_sdwa vcc, v9, v24 src0_sel:WORD_0 src1_sel:DWORD
	v_cndmask_b32_e32 v29, v6, v9, vcc
; %bb.68:                               ;   in Loop: Header=BB173_51 Depth=1
	s_or_b64 exec, exec, s[0:1]
	s_waitcnt lgkmcnt(0)
	v_and_b32_e32 v6, 0x7f800000, v2
	v_cmp_ne_u32_e32 vcc, s20, v6
                                        ; implicit-def: $vgpr30
	s_and_saveexec_b64 s[0:1], vcc
	s_xor_b64 s[0:1], exec, s[0:1]
; %bb.69:                               ;   in Loop: Header=BB173_51 Depth=1
	v_bfe_u32 v6, v2, 16, 1
	v_add3_u32 v30, v2, v6, s21
; %bb.70:                               ;   in Loop: Header=BB173_51 Depth=1
	s_andn2_saveexec_b64 s[0:1], s[0:1]
; %bb.71:                               ;   in Loop: Header=BB173_51 Depth=1
	v_or_b32_e32 v6, 0x10000, v2
	v_cmp_eq_u32_sdwa vcc, v2, v24 src0_sel:WORD_0 src1_sel:DWORD
	v_cndmask_b32_e32 v30, v6, v2, vcc
; %bb.72:                               ;   in Loop: Header=BB173_51 Depth=1
	s_or_b64 exec, exec, s[0:1]
	v_and_b32_e32 v2, 0x7f800000, v3
	v_cmp_ne_u32_e32 vcc, s20, v2
                                        ; implicit-def: $vgpr31
	s_and_saveexec_b64 s[0:1], vcc
	s_xor_b64 s[0:1], exec, s[0:1]
; %bb.73:                               ;   in Loop: Header=BB173_51 Depth=1
	v_bfe_u32 v2, v3, 16, 1
	v_add3_u32 v31, v3, v2, s21
; %bb.74:                               ;   in Loop: Header=BB173_51 Depth=1
	s_andn2_saveexec_b64 s[0:1], s[0:1]
; %bb.75:                               ;   in Loop: Header=BB173_51 Depth=1
	v_or_b32_e32 v2, 0x10000, v3
	v_cmp_eq_u32_sdwa vcc, v3, v24 src0_sel:WORD_0 src1_sel:DWORD
	v_cndmask_b32_e32 v31, v2, v3, vcc
; %bb.76:                               ;   in Loop: Header=BB173_51 Depth=1
	s_or_b64 exec, exec, s[0:1]
	v_and_b32_e32 v2, 0x7f800000, v4
	v_cmp_ne_u32_e32 vcc, s20, v2
                                        ; implicit-def: $vgpr32
	s_and_saveexec_b64 s[0:1], vcc
	s_xor_b64 s[0:1], exec, s[0:1]
; %bb.77:                               ;   in Loop: Header=BB173_51 Depth=1
	v_bfe_u32 v2, v4, 16, 1
	v_add3_u32 v32, v4, v2, s21
; %bb.78:                               ;   in Loop: Header=BB173_51 Depth=1
	s_andn2_saveexec_b64 s[0:1], s[0:1]
; %bb.79:                               ;   in Loop: Header=BB173_51 Depth=1
	v_or_b32_e32 v2, 0x10000, v4
	v_cmp_eq_u32_sdwa vcc, v4, v24 src0_sel:WORD_0 src1_sel:DWORD
	v_cndmask_b32_e32 v32, v2, v4, vcc
; %bb.80:                               ;   in Loop: Header=BB173_51 Depth=1
	s_or_b64 exec, exec, s[0:1]
	v_and_b32_e32 v2, 0x7f800000, v5
	v_cmp_ne_u32_e32 vcc, s20, v2
                                        ; implicit-def: $vgpr33
	s_and_saveexec_b64 s[0:1], vcc
	s_xor_b64 s[0:1], exec, s[0:1]
; %bb.81:                               ;   in Loop: Header=BB173_51 Depth=1
	v_bfe_u32 v2, v5, 16, 1
	v_add3_u32 v33, v5, v2, s21
                                        ; implicit-def: $vgpr2_vgpr3_vgpr4_vgpr5
; %bb.82:                               ;   in Loop: Header=BB173_51 Depth=1
	s_andn2_saveexec_b64 s[0:1], s[0:1]
; %bb.83:                               ;   in Loop: Header=BB173_51 Depth=1
	v_or_b32_e32 v2, 0x10000, v5
	v_cmp_eq_u32_sdwa vcc, v5, v24 src0_sel:WORD_0 src1_sel:DWORD
	v_cndmask_b32_e32 v33, v2, v5, vcc
; %bb.84:                               ;   in Loop: Header=BB173_51 Depth=1
	s_or_b64 exec, exec, s[0:1]
	s_waitcnt vmcnt(0)
	v_mad_i64_i32 v[2:3], s[0:1], v34, s13, 0
	v_lshlrev_b64 v[2:3], 1, v[2:3]
	v_mov_b32_e32 v4, s15
	v_add_co_u32_e32 v42, vcc, s14, v2
	v_addc_co_u32_e32 v43, vcc, v4, v3, vcc
	v_add_co_u32_e32 v6, vcc, v42, v26
	v_addc_co_u32_e32 v7, vcc, 0, v43, vcc
	global_load_dwordx4 v[2:5], v[6:7], off
	v_add_u32_e32 v34, v23, v1
	v_cmp_eq_u32_e32 vcc, s18, v10
	v_add_u32_e32 v41, 1, v34
	v_add_u32_e32 v40, 2, v34
	;; [unrolled: 1-line block ×7, first 2 shown]
	s_waitcnt vmcnt(0)
	v_lshrrev_b32_e32 v9, 16, v2
	v_lshrrev_b32_e32 v48, 16, v3
	;; [unrolled: 1-line block ×4, first 2 shown]
	s_and_saveexec_b64 s[10:11], vcc
	s_cbranch_execz .LBB173_86
; %bb.85:                               ;   in Loop: Header=BB173_51 Depth=1
	v_cmp_gt_i32_e64 s[0:1], s33, v34
	v_cndmask_b32_e64 v2, 0, v2, s[0:1]
	v_cmp_gt_i32_e64 s[0:1], s33, v41
	v_cndmask_b32_e64 v9, 0, v9, s[0:1]
	;; [unrolled: 2-line block ×8, first 2 shown]
.LBB173_86:                             ;   in Loop: Header=BB173_51 Depth=1
	s_or_b64 exec, exec, s[10:11]
	v_and_b32_e32 v44, 0xffff0000, v44
	v_lshlrev_b32_e32 v2, 16, v2
	v_mul_f32_e32 v2, v44, v2
	v_and_b32_e32 v8, 0x7f800000, v2
	v_cmp_ne_u32_e64 s[0:1], s20, v8
                                        ; implicit-def: $vgpr8
	s_and_saveexec_b64 s[10:11], s[0:1]
	s_xor_b64 s[0:1], exec, s[10:11]
; %bb.87:                               ;   in Loop: Header=BB173_51 Depth=1
	v_bfe_u32 v8, v2, 16, 1
	v_add3_u32 v8, v2, v8, s21
                                        ; implicit-def: $vgpr2
; %bb.88:                               ;   in Loop: Header=BB173_51 Depth=1
	s_andn2_saveexec_b64 s[10:11], s[0:1]
; %bb.89:                               ;   in Loop: Header=BB173_51 Depth=1
	v_or_b32_e32 v8, 0x10000, v2
	v_cmp_eq_u32_sdwa s[0:1], v2, v24 src0_sel:WORD_0 src1_sel:DWORD
	v_cndmask_b32_e64 v8, v8, v2, s[0:1]
; %bb.90:                               ;   in Loop: Header=BB173_51 Depth=1
	s_or_b64 exec, exec, s[10:11]
	v_and_b32_e32 v45, 0xffff0000, v45
	v_lshlrev_b32_e32 v2, 16, v9
	v_mul_f32_e32 v2, v45, v2
	v_and_b32_e32 v9, 0x7f800000, v2
	v_cmp_ne_u32_e64 s[0:1], s20, v9
                                        ; implicit-def: $vgpr9
	s_and_saveexec_b64 s[10:11], s[0:1]
	s_xor_b64 s[0:1], exec, s[10:11]
; %bb.91:                               ;   in Loop: Header=BB173_51 Depth=1
	v_bfe_u32 v9, v2, 16, 1
	v_add3_u32 v9, v2, v9, s21
                                        ; implicit-def: $vgpr2
; %bb.92:                               ;   in Loop: Header=BB173_51 Depth=1
	s_andn2_saveexec_b64 s[10:11], s[0:1]
; %bb.93:                               ;   in Loop: Header=BB173_51 Depth=1
	v_or_b32_e32 v9, 0x10000, v2
	v_cmp_eq_u32_sdwa s[0:1], v2, v24 src0_sel:WORD_0 src1_sel:DWORD
	v_cndmask_b32_e64 v9, v9, v2, s[0:1]
; %bb.94:                               ;   in Loop: Header=BB173_51 Depth=1
	s_or_b64 exec, exec, s[10:11]
	v_and_b32_e32 v46, 0xffff0000, v28
	v_lshlrev_b32_e32 v2, 16, v3
	v_mul_f32_e32 v2, v46, v2
	v_and_b32_e32 v3, 0x7f800000, v2
	v_cmp_ne_u32_e64 s[0:1], s20, v3
                                        ; implicit-def: $vgpr28
	s_and_saveexec_b64 s[10:11], s[0:1]
	s_xor_b64 s[0:1], exec, s[10:11]
; %bb.95:                               ;   in Loop: Header=BB173_51 Depth=1
	v_bfe_u32 v3, v2, 16, 1
	v_add3_u32 v28, v2, v3, s21
                                        ; implicit-def: $vgpr2
; %bb.96:                               ;   in Loop: Header=BB173_51 Depth=1
	s_andn2_saveexec_b64 s[10:11], s[0:1]
; %bb.97:                               ;   in Loop: Header=BB173_51 Depth=1
	v_or_b32_e32 v3, 0x10000, v2
	v_cmp_eq_u32_sdwa s[0:1], v2, v24 src0_sel:WORD_0 src1_sel:DWORD
	v_cndmask_b32_e64 v28, v3, v2, s[0:1]
; %bb.98:                               ;   in Loop: Header=BB173_51 Depth=1
	s_or_b64 exec, exec, s[10:11]
	v_and_b32_e32 v47, 0xffff0000, v29
	v_lshlrev_b32_e32 v2, 16, v48
	v_mul_f32_e32 v2, v47, v2
	v_and_b32_e32 v3, 0x7f800000, v2
	v_cmp_ne_u32_e64 s[0:1], s20, v3
                                        ; implicit-def: $vgpr29
	s_and_saveexec_b64 s[10:11], s[0:1]
	s_xor_b64 s[0:1], exec, s[10:11]
; %bb.99:                               ;   in Loop: Header=BB173_51 Depth=1
	v_bfe_u32 v3, v2, 16, 1
	v_add3_u32 v29, v2, v3, s21
                                        ; implicit-def: $vgpr2
; %bb.100:                              ;   in Loop: Header=BB173_51 Depth=1
	s_andn2_saveexec_b64 s[10:11], s[0:1]
; %bb.101:                              ;   in Loop: Header=BB173_51 Depth=1
	v_or_b32_e32 v3, 0x10000, v2
	v_cmp_eq_u32_sdwa s[0:1], v2, v24 src0_sel:WORD_0 src1_sel:DWORD
	v_cndmask_b32_e64 v29, v3, v2, s[0:1]
; %bb.102:                              ;   in Loop: Header=BB173_51 Depth=1
	s_or_b64 exec, exec, s[10:11]
	v_and_b32_e32 v48, 0xffff0000, v30
	v_lshlrev_b32_e32 v2, 16, v4
	v_mul_f32_e32 v2, v48, v2
	v_and_b32_e32 v3, 0x7f800000, v2
	v_cmp_ne_u32_e64 s[0:1], s20, v3
                                        ; implicit-def: $vgpr30
	s_and_saveexec_b64 s[10:11], s[0:1]
	s_xor_b64 s[0:1], exec, s[10:11]
; %bb.103:                              ;   in Loop: Header=BB173_51 Depth=1
	v_bfe_u32 v3, v2, 16, 1
	v_add3_u32 v30, v2, v3, s21
                                        ; implicit-def: $vgpr2
; %bb.104:                              ;   in Loop: Header=BB173_51 Depth=1
	s_andn2_saveexec_b64 s[10:11], s[0:1]
; %bb.105:                              ;   in Loop: Header=BB173_51 Depth=1
	v_or_b32_e32 v3, 0x10000, v2
	v_cmp_eq_u32_sdwa s[0:1], v2, v24 src0_sel:WORD_0 src1_sel:DWORD
	v_cndmask_b32_e64 v30, v3, v2, s[0:1]
; %bb.106:                              ;   in Loop: Header=BB173_51 Depth=1
	s_or_b64 exec, exec, s[10:11]
	v_and_b32_e32 v49, 0xffff0000, v31
	v_lshlrev_b32_e32 v2, 16, v50
	v_mul_f32_e32 v2, v49, v2
	v_and_b32_e32 v3, 0x7f800000, v2
	v_cmp_ne_u32_e64 s[0:1], s20, v3
                                        ; implicit-def: $vgpr31
	s_and_saveexec_b64 s[10:11], s[0:1]
	s_xor_b64 s[0:1], exec, s[10:11]
; %bb.107:                              ;   in Loop: Header=BB173_51 Depth=1
	v_bfe_u32 v3, v2, 16, 1
	v_add3_u32 v31, v2, v3, s21
                                        ; implicit-def: $vgpr2
; %bb.108:                              ;   in Loop: Header=BB173_51 Depth=1
	s_andn2_saveexec_b64 s[10:11], s[0:1]
; %bb.109:                              ;   in Loop: Header=BB173_51 Depth=1
	v_or_b32_e32 v3, 0x10000, v2
	v_cmp_eq_u32_sdwa s[0:1], v2, v24 src0_sel:WORD_0 src1_sel:DWORD
	v_cndmask_b32_e64 v31, v3, v2, s[0:1]
; %bb.110:                              ;   in Loop: Header=BB173_51 Depth=1
	s_or_b64 exec, exec, s[10:11]
	v_and_b32_e32 v50, 0xffff0000, v32
	v_lshlrev_b32_e32 v2, 16, v5
	v_mul_f32_e32 v2, v50, v2
	v_and_b32_e32 v3, 0x7f800000, v2
	v_cmp_ne_u32_e64 s[0:1], s20, v3
                                        ; implicit-def: $vgpr32
	s_and_saveexec_b64 s[10:11], s[0:1]
	s_xor_b64 s[0:1], exec, s[10:11]
; %bb.111:                              ;   in Loop: Header=BB173_51 Depth=1
	v_bfe_u32 v3, v2, 16, 1
	v_add3_u32 v32, v2, v3, s21
                                        ; implicit-def: $vgpr2
; %bb.112:                              ;   in Loop: Header=BB173_51 Depth=1
	s_andn2_saveexec_b64 s[10:11], s[0:1]
; %bb.113:                              ;   in Loop: Header=BB173_51 Depth=1
	v_or_b32_e32 v3, 0x10000, v2
	v_cmp_eq_u32_sdwa s[0:1], v2, v24 src0_sel:WORD_0 src1_sel:DWORD
	v_cndmask_b32_e64 v32, v3, v2, s[0:1]
; %bb.114:                              ;   in Loop: Header=BB173_51 Depth=1
	s_or_b64 exec, exec, s[10:11]
	v_and_b32_e32 v51, 0xffff0000, v33
	v_lshlrev_b32_e32 v2, 16, v52
	v_mul_f32_e32 v2, v51, v2
	v_and_b32_e32 v3, 0x7f800000, v2
	v_cmp_ne_u32_e64 s[0:1], s20, v3
                                        ; implicit-def: $vgpr33
	s_and_saveexec_b64 s[10:11], s[0:1]
	s_xor_b64 s[0:1], exec, s[10:11]
; %bb.115:                              ;   in Loop: Header=BB173_51 Depth=1
	v_bfe_u32 v3, v2, 16, 1
	v_add3_u32 v33, v2, v3, s21
                                        ; implicit-def: $vgpr2
; %bb.116:                              ;   in Loop: Header=BB173_51 Depth=1
	s_andn2_saveexec_b64 s[10:11], s[0:1]
; %bb.117:                              ;   in Loop: Header=BB173_51 Depth=1
	v_or_b32_e32 v3, 0x10000, v2
	v_cmp_eq_u32_sdwa s[0:1], v2, v24 src0_sel:WORD_0 src1_sel:DWORD
	v_cndmask_b32_e64 v33, v3, v2, s[0:1]
; %bb.118:                              ;   in Loop: Header=BB173_51 Depth=1
	s_or_b64 exec, exec, s[10:11]
	global_load_dwordx4 v[2:5], v[6:7], off offset:1024
	s_waitcnt vmcnt(0)
	v_lshrrev_b32_e32 v53, 16, v2
	v_lshrrev_b32_e32 v55, 16, v3
	v_lshrrev_b32_e32 v57, 16, v4
	v_lshrrev_b32_e32 v59, 16, v5
	s_and_saveexec_b64 s[10:11], vcc
	s_cbranch_execz .LBB173_120
; %bb.119:                              ;   in Loop: Header=BB173_51 Depth=1
	v_cmp_gt_i32_e64 s[0:1], s33, v34
	v_cndmask_b32_e64 v2, 0, v2, s[0:1]
	v_cmp_gt_i32_e64 s[0:1], s33, v41
	v_cndmask_b32_e64 v53, 0, v53, s[0:1]
	;; [unrolled: 2-line block ×8, first 2 shown]
.LBB173_120:                            ;   in Loop: Header=BB173_51 Depth=1
	s_or_b64 exec, exec, s[10:11]
	v_lshlrev_b32_e32 v2, 16, v2
	v_mul_f32_e32 v2, v44, v2
	v_and_b32_e32 v52, 0x7f800000, v2
	v_cmp_ne_u32_e64 s[0:1], s20, v52
                                        ; implicit-def: $vgpr52
	s_and_saveexec_b64 s[10:11], s[0:1]
	s_xor_b64 s[0:1], exec, s[10:11]
; %bb.121:                              ;   in Loop: Header=BB173_51 Depth=1
	v_bfe_u32 v52, v2, 16, 1
	v_add3_u32 v52, v2, v52, s21
                                        ; implicit-def: $vgpr2
; %bb.122:                              ;   in Loop: Header=BB173_51 Depth=1
	s_andn2_saveexec_b64 s[10:11], s[0:1]
; %bb.123:                              ;   in Loop: Header=BB173_51 Depth=1
	v_or_b32_e32 v52, 0x10000, v2
	v_cmp_eq_u32_sdwa s[0:1], v2, v24 src0_sel:WORD_0 src1_sel:DWORD
	v_cndmask_b32_e64 v52, v52, v2, s[0:1]
; %bb.124:                              ;   in Loop: Header=BB173_51 Depth=1
	s_or_b64 exec, exec, s[10:11]
	v_lshlrev_b32_e32 v2, 16, v53
	v_mul_f32_e32 v2, v45, v2
	v_and_b32_e32 v53, 0x7f800000, v2
	v_cmp_ne_u32_e64 s[0:1], s20, v53
                                        ; implicit-def: $vgpr53
	s_and_saveexec_b64 s[10:11], s[0:1]
	s_xor_b64 s[0:1], exec, s[10:11]
; %bb.125:                              ;   in Loop: Header=BB173_51 Depth=1
	v_bfe_u32 v53, v2, 16, 1
	v_add3_u32 v53, v2, v53, s21
                                        ; implicit-def: $vgpr2
; %bb.126:                              ;   in Loop: Header=BB173_51 Depth=1
	s_andn2_saveexec_b64 s[10:11], s[0:1]
; %bb.127:                              ;   in Loop: Header=BB173_51 Depth=1
	v_or_b32_e32 v53, 0x10000, v2
	v_cmp_eq_u32_sdwa s[0:1], v2, v24 src0_sel:WORD_0 src1_sel:DWORD
	v_cndmask_b32_e64 v53, v53, v2, s[0:1]
; %bb.128:                              ;   in Loop: Header=BB173_51 Depth=1
	s_or_b64 exec, exec, s[10:11]
	v_lshlrev_b32_e32 v2, 16, v3
	v_mul_f32_e32 v2, v46, v2
	v_and_b32_e32 v3, 0x7f800000, v2
	v_cmp_ne_u32_e64 s[0:1], s20, v3
                                        ; implicit-def: $vgpr54
	s_and_saveexec_b64 s[10:11], s[0:1]
	s_xor_b64 s[0:1], exec, s[10:11]
; %bb.129:                              ;   in Loop: Header=BB173_51 Depth=1
	v_bfe_u32 v3, v2, 16, 1
	v_add3_u32 v54, v2, v3, s21
                                        ; implicit-def: $vgpr2
; %bb.130:                              ;   in Loop: Header=BB173_51 Depth=1
	s_andn2_saveexec_b64 s[10:11], s[0:1]
; %bb.131:                              ;   in Loop: Header=BB173_51 Depth=1
	v_or_b32_e32 v3, 0x10000, v2
	v_cmp_eq_u32_sdwa s[0:1], v2, v24 src0_sel:WORD_0 src1_sel:DWORD
	v_cndmask_b32_e64 v54, v3, v2, s[0:1]
; %bb.132:                              ;   in Loop: Header=BB173_51 Depth=1
	s_or_b64 exec, exec, s[10:11]
	v_lshlrev_b32_e32 v2, 16, v55
	v_mul_f32_e32 v2, v47, v2
	v_and_b32_e32 v3, 0x7f800000, v2
	v_cmp_ne_u32_e64 s[0:1], s20, v3
                                        ; implicit-def: $vgpr55
	s_and_saveexec_b64 s[10:11], s[0:1]
	s_xor_b64 s[0:1], exec, s[10:11]
; %bb.133:                              ;   in Loop: Header=BB173_51 Depth=1
	v_bfe_u32 v3, v2, 16, 1
	v_add3_u32 v55, v2, v3, s21
                                        ; implicit-def: $vgpr2
; %bb.134:                              ;   in Loop: Header=BB173_51 Depth=1
	s_andn2_saveexec_b64 s[10:11], s[0:1]
; %bb.135:                              ;   in Loop: Header=BB173_51 Depth=1
	v_or_b32_e32 v3, 0x10000, v2
	v_cmp_eq_u32_sdwa s[0:1], v2, v24 src0_sel:WORD_0 src1_sel:DWORD
	v_cndmask_b32_e64 v55, v3, v2, s[0:1]
; %bb.136:                              ;   in Loop: Header=BB173_51 Depth=1
	s_or_b64 exec, exec, s[10:11]
	v_lshlrev_b32_e32 v2, 16, v4
	v_mul_f32_e32 v2, v48, v2
	v_and_b32_e32 v3, 0x7f800000, v2
	v_cmp_ne_u32_e64 s[0:1], s20, v3
                                        ; implicit-def: $vgpr56
	s_and_saveexec_b64 s[10:11], s[0:1]
	s_xor_b64 s[0:1], exec, s[10:11]
; %bb.137:                              ;   in Loop: Header=BB173_51 Depth=1
	v_bfe_u32 v3, v2, 16, 1
	v_add3_u32 v56, v2, v3, s21
                                        ; implicit-def: $vgpr2
; %bb.138:                              ;   in Loop: Header=BB173_51 Depth=1
	s_andn2_saveexec_b64 s[10:11], s[0:1]
; %bb.139:                              ;   in Loop: Header=BB173_51 Depth=1
	v_or_b32_e32 v3, 0x10000, v2
	v_cmp_eq_u32_sdwa s[0:1], v2, v24 src0_sel:WORD_0 src1_sel:DWORD
	v_cndmask_b32_e64 v56, v3, v2, s[0:1]
; %bb.140:                              ;   in Loop: Header=BB173_51 Depth=1
	s_or_b64 exec, exec, s[10:11]
	v_lshlrev_b32_e32 v2, 16, v57
	v_mul_f32_e32 v2, v49, v2
	v_and_b32_e32 v3, 0x7f800000, v2
	v_cmp_ne_u32_e64 s[0:1], s20, v3
                                        ; implicit-def: $vgpr57
	s_and_saveexec_b64 s[10:11], s[0:1]
	s_xor_b64 s[0:1], exec, s[10:11]
; %bb.141:                              ;   in Loop: Header=BB173_51 Depth=1
	v_bfe_u32 v3, v2, 16, 1
	v_add3_u32 v57, v2, v3, s21
                                        ; implicit-def: $vgpr2
; %bb.142:                              ;   in Loop: Header=BB173_51 Depth=1
	s_andn2_saveexec_b64 s[10:11], s[0:1]
; %bb.143:                              ;   in Loop: Header=BB173_51 Depth=1
	v_or_b32_e32 v3, 0x10000, v2
	v_cmp_eq_u32_sdwa s[0:1], v2, v24 src0_sel:WORD_0 src1_sel:DWORD
	v_cndmask_b32_e64 v57, v3, v2, s[0:1]
; %bb.144:                              ;   in Loop: Header=BB173_51 Depth=1
	s_or_b64 exec, exec, s[10:11]
	v_lshlrev_b32_e32 v2, 16, v5
	v_mul_f32_e32 v2, v50, v2
	v_and_b32_e32 v3, 0x7f800000, v2
	v_cmp_ne_u32_e64 s[0:1], s20, v3
                                        ; implicit-def: $vgpr58
	s_and_saveexec_b64 s[10:11], s[0:1]
	s_xor_b64 s[0:1], exec, s[10:11]
; %bb.145:                              ;   in Loop: Header=BB173_51 Depth=1
	v_bfe_u32 v3, v2, 16, 1
	v_add3_u32 v58, v2, v3, s21
                                        ; implicit-def: $vgpr2
; %bb.146:                              ;   in Loop: Header=BB173_51 Depth=1
	s_andn2_saveexec_b64 s[10:11], s[0:1]
; %bb.147:                              ;   in Loop: Header=BB173_51 Depth=1
	v_or_b32_e32 v3, 0x10000, v2
	v_cmp_eq_u32_sdwa s[0:1], v2, v24 src0_sel:WORD_0 src1_sel:DWORD
	v_cndmask_b32_e64 v58, v3, v2, s[0:1]
; %bb.148:                              ;   in Loop: Header=BB173_51 Depth=1
	s_or_b64 exec, exec, s[10:11]
	v_lshlrev_b32_e32 v2, 16, v59
	v_mul_f32_e32 v2, v51, v2
	v_and_b32_e32 v3, 0x7f800000, v2
	v_cmp_ne_u32_e64 s[0:1], s20, v3
                                        ; implicit-def: $vgpr59
	s_and_saveexec_b64 s[10:11], s[0:1]
	s_xor_b64 s[0:1], exec, s[10:11]
; %bb.149:                              ;   in Loop: Header=BB173_51 Depth=1
	v_bfe_u32 v3, v2, 16, 1
	v_add3_u32 v59, v2, v3, s21
                                        ; implicit-def: $vgpr2
; %bb.150:                              ;   in Loop: Header=BB173_51 Depth=1
	s_andn2_saveexec_b64 s[10:11], s[0:1]
; %bb.151:                              ;   in Loop: Header=BB173_51 Depth=1
	v_or_b32_e32 v3, 0x10000, v2
	v_cmp_eq_u32_sdwa s[0:1], v2, v24 src0_sel:WORD_0 src1_sel:DWORD
	v_cndmask_b32_e64 v59, v3, v2, s[0:1]
; %bb.152:                              ;   in Loop: Header=BB173_51 Depth=1
	s_or_b64 exec, exec, s[10:11]
	global_load_dwordx4 v[2:5], v[6:7], off offset:2048
	s_waitcnt vmcnt(0)
	v_lshrrev_b32_e32 v61, 16, v2
	v_lshrrev_b32_e32 v63, 16, v3
	;; [unrolled: 1-line block ×4, first 2 shown]
	s_and_saveexec_b64 s[10:11], vcc
	s_cbranch_execz .LBB173_154
; %bb.153:                              ;   in Loop: Header=BB173_51 Depth=1
	v_cmp_gt_i32_e64 s[0:1], s33, v34
	v_cndmask_b32_e64 v2, 0, v2, s[0:1]
	v_cmp_gt_i32_e64 s[0:1], s33, v41
	v_cndmask_b32_e64 v61, 0, v61, s[0:1]
	;; [unrolled: 2-line block ×8, first 2 shown]
.LBB173_154:                            ;   in Loop: Header=BB173_51 Depth=1
	s_or_b64 exec, exec, s[10:11]
	v_lshlrev_b32_e32 v2, 16, v2
	v_mul_f32_e32 v2, v44, v2
	v_and_b32_e32 v60, 0x7f800000, v2
	v_cmp_ne_u32_e64 s[0:1], s20, v60
                                        ; implicit-def: $vgpr60
	s_and_saveexec_b64 s[10:11], s[0:1]
	s_xor_b64 s[0:1], exec, s[10:11]
; %bb.155:                              ;   in Loop: Header=BB173_51 Depth=1
	v_bfe_u32 v60, v2, 16, 1
	v_add3_u32 v60, v2, v60, s21
                                        ; implicit-def: $vgpr2
; %bb.156:                              ;   in Loop: Header=BB173_51 Depth=1
	s_andn2_saveexec_b64 s[10:11], s[0:1]
; %bb.157:                              ;   in Loop: Header=BB173_51 Depth=1
	v_or_b32_e32 v60, 0x10000, v2
	v_cmp_eq_u32_sdwa s[0:1], v2, v24 src0_sel:WORD_0 src1_sel:DWORD
	v_cndmask_b32_e64 v60, v60, v2, s[0:1]
; %bb.158:                              ;   in Loop: Header=BB173_51 Depth=1
	s_or_b64 exec, exec, s[10:11]
	v_lshlrev_b32_e32 v2, 16, v61
	v_mul_f32_e32 v2, v45, v2
	v_and_b32_e32 v61, 0x7f800000, v2
	v_cmp_ne_u32_e64 s[0:1], s20, v61
                                        ; implicit-def: $vgpr61
	s_and_saveexec_b64 s[10:11], s[0:1]
	s_xor_b64 s[0:1], exec, s[10:11]
; %bb.159:                              ;   in Loop: Header=BB173_51 Depth=1
	v_bfe_u32 v61, v2, 16, 1
	v_add3_u32 v61, v2, v61, s21
                                        ; implicit-def: $vgpr2
; %bb.160:                              ;   in Loop: Header=BB173_51 Depth=1
	s_andn2_saveexec_b64 s[10:11], s[0:1]
; %bb.161:                              ;   in Loop: Header=BB173_51 Depth=1
	v_or_b32_e32 v61, 0x10000, v2
	v_cmp_eq_u32_sdwa s[0:1], v2, v24 src0_sel:WORD_0 src1_sel:DWORD
	v_cndmask_b32_e64 v61, v61, v2, s[0:1]
; %bb.162:                              ;   in Loop: Header=BB173_51 Depth=1
	s_or_b64 exec, exec, s[10:11]
	v_lshlrev_b32_e32 v2, 16, v3
	v_mul_f32_e32 v2, v46, v2
	v_and_b32_e32 v3, 0x7f800000, v2
	v_cmp_ne_u32_e64 s[0:1], s20, v3
                                        ; implicit-def: $vgpr62
	s_and_saveexec_b64 s[10:11], s[0:1]
	s_xor_b64 s[0:1], exec, s[10:11]
; %bb.163:                              ;   in Loop: Header=BB173_51 Depth=1
	v_bfe_u32 v3, v2, 16, 1
	v_add3_u32 v62, v2, v3, s21
                                        ; implicit-def: $vgpr2
; %bb.164:                              ;   in Loop: Header=BB173_51 Depth=1
	s_andn2_saveexec_b64 s[10:11], s[0:1]
; %bb.165:                              ;   in Loop: Header=BB173_51 Depth=1
	v_or_b32_e32 v3, 0x10000, v2
	v_cmp_eq_u32_sdwa s[0:1], v2, v24 src0_sel:WORD_0 src1_sel:DWORD
	v_cndmask_b32_e64 v62, v3, v2, s[0:1]
; %bb.166:                              ;   in Loop: Header=BB173_51 Depth=1
	s_or_b64 exec, exec, s[10:11]
	v_lshlrev_b32_e32 v2, 16, v63
	v_mul_f32_e32 v2, v47, v2
	v_and_b32_e32 v3, 0x7f800000, v2
	v_cmp_ne_u32_e64 s[0:1], s20, v3
                                        ; implicit-def: $vgpr63
	s_and_saveexec_b64 s[10:11], s[0:1]
	s_xor_b64 s[0:1], exec, s[10:11]
; %bb.167:                              ;   in Loop: Header=BB173_51 Depth=1
	v_bfe_u32 v3, v2, 16, 1
	v_add3_u32 v63, v2, v3, s21
                                        ; implicit-def: $vgpr2
; %bb.168:                              ;   in Loop: Header=BB173_51 Depth=1
	s_andn2_saveexec_b64 s[10:11], s[0:1]
; %bb.169:                              ;   in Loop: Header=BB173_51 Depth=1
	v_or_b32_e32 v3, 0x10000, v2
	v_cmp_eq_u32_sdwa s[0:1], v2, v24 src0_sel:WORD_0 src1_sel:DWORD
	v_cndmask_b32_e64 v63, v3, v2, s[0:1]
; %bb.170:                              ;   in Loop: Header=BB173_51 Depth=1
	s_or_b64 exec, exec, s[10:11]
	v_lshlrev_b32_e32 v2, 16, v4
	v_mul_f32_e32 v2, v48, v2
	v_and_b32_e32 v3, 0x7f800000, v2
	v_cmp_ne_u32_e64 s[0:1], s20, v3
                                        ; implicit-def: $vgpr64
	s_and_saveexec_b64 s[10:11], s[0:1]
	s_xor_b64 s[0:1], exec, s[10:11]
; %bb.171:                              ;   in Loop: Header=BB173_51 Depth=1
	v_bfe_u32 v3, v2, 16, 1
	v_add3_u32 v64, v2, v3, s21
                                        ; implicit-def: $vgpr2
; %bb.172:                              ;   in Loop: Header=BB173_51 Depth=1
	s_andn2_saveexec_b64 s[10:11], s[0:1]
; %bb.173:                              ;   in Loop: Header=BB173_51 Depth=1
	v_or_b32_e32 v3, 0x10000, v2
	v_cmp_eq_u32_sdwa s[0:1], v2, v24 src0_sel:WORD_0 src1_sel:DWORD
	v_cndmask_b32_e64 v64, v3, v2, s[0:1]
; %bb.174:                              ;   in Loop: Header=BB173_51 Depth=1
	s_or_b64 exec, exec, s[10:11]
	v_lshlrev_b32_e32 v2, 16, v65
	v_mul_f32_e32 v2, v49, v2
	v_and_b32_e32 v3, 0x7f800000, v2
	v_cmp_ne_u32_e64 s[0:1], s20, v3
                                        ; implicit-def: $vgpr65
	s_and_saveexec_b64 s[10:11], s[0:1]
	s_xor_b64 s[0:1], exec, s[10:11]
; %bb.175:                              ;   in Loop: Header=BB173_51 Depth=1
	v_bfe_u32 v3, v2, 16, 1
	v_add3_u32 v65, v2, v3, s21
                                        ; implicit-def: $vgpr2
; %bb.176:                              ;   in Loop: Header=BB173_51 Depth=1
	s_andn2_saveexec_b64 s[10:11], s[0:1]
; %bb.177:                              ;   in Loop: Header=BB173_51 Depth=1
	v_or_b32_e32 v3, 0x10000, v2
	v_cmp_eq_u32_sdwa s[0:1], v2, v24 src0_sel:WORD_0 src1_sel:DWORD
	v_cndmask_b32_e64 v65, v3, v2, s[0:1]
; %bb.178:                              ;   in Loop: Header=BB173_51 Depth=1
	s_or_b64 exec, exec, s[10:11]
	v_lshlrev_b32_e32 v2, 16, v5
	v_mul_f32_e32 v2, v50, v2
	v_and_b32_e32 v3, 0x7f800000, v2
	v_cmp_ne_u32_e64 s[0:1], s20, v3
                                        ; implicit-def: $vgpr66
	s_and_saveexec_b64 s[10:11], s[0:1]
	s_xor_b64 s[0:1], exec, s[10:11]
; %bb.179:                              ;   in Loop: Header=BB173_51 Depth=1
	v_bfe_u32 v3, v2, 16, 1
	v_add3_u32 v66, v2, v3, s21
                                        ; implicit-def: $vgpr2
; %bb.180:                              ;   in Loop: Header=BB173_51 Depth=1
	s_andn2_saveexec_b64 s[10:11], s[0:1]
; %bb.181:                              ;   in Loop: Header=BB173_51 Depth=1
	v_or_b32_e32 v3, 0x10000, v2
	v_cmp_eq_u32_sdwa s[0:1], v2, v24 src0_sel:WORD_0 src1_sel:DWORD
	v_cndmask_b32_e64 v66, v3, v2, s[0:1]
; %bb.182:                              ;   in Loop: Header=BB173_51 Depth=1
	s_or_b64 exec, exec, s[10:11]
	v_lshlrev_b32_e32 v2, 16, v67
	v_mul_f32_e32 v2, v51, v2
	v_and_b32_e32 v3, 0x7f800000, v2
	v_cmp_ne_u32_e64 s[0:1], s20, v3
                                        ; implicit-def: $vgpr67
	s_and_saveexec_b64 s[10:11], s[0:1]
	s_xor_b64 s[0:1], exec, s[10:11]
; %bb.183:                              ;   in Loop: Header=BB173_51 Depth=1
	v_bfe_u32 v3, v2, 16, 1
	v_add3_u32 v67, v2, v3, s21
                                        ; implicit-def: $vgpr2
; %bb.184:                              ;   in Loop: Header=BB173_51 Depth=1
	s_andn2_saveexec_b64 s[10:11], s[0:1]
; %bb.185:                              ;   in Loop: Header=BB173_51 Depth=1
	v_or_b32_e32 v3, 0x10000, v2
	v_cmp_eq_u32_sdwa s[0:1], v2, v24 src0_sel:WORD_0 src1_sel:DWORD
	v_cndmask_b32_e64 v67, v3, v2, s[0:1]
; %bb.186:                              ;   in Loop: Header=BB173_51 Depth=1
	s_or_b64 exec, exec, s[10:11]
	global_load_dwordx4 v[2:5], v[6:7], off offset:3072
	s_waitcnt vmcnt(0)
	v_lshrrev_b32_e32 v7, 16, v2
	v_lshrrev_b32_e32 v69, 16, v3
	;; [unrolled: 1-line block ×4, first 2 shown]
	s_and_saveexec_b64 s[10:11], vcc
	s_cbranch_execz .LBB173_188
; %bb.187:                              ;   in Loop: Header=BB173_51 Depth=1
	v_cmp_gt_i32_e64 s[0:1], s33, v34
	v_cndmask_b32_e64 v2, 0, v2, s[0:1]
	v_cmp_gt_i32_e64 s[0:1], s33, v41
	v_cndmask_b32_e64 v7, 0, v7, s[0:1]
	;; [unrolled: 2-line block ×8, first 2 shown]
.LBB173_188:                            ;   in Loop: Header=BB173_51 Depth=1
	s_or_b64 exec, exec, s[10:11]
	v_lshlrev_b32_e32 v2, 16, v2
	v_mul_f32_e32 v2, v44, v2
	v_and_b32_e32 v6, 0x7f800000, v2
	v_cmp_ne_u32_e64 s[0:1], s20, v6
                                        ; implicit-def: $vgpr6
	s_and_saveexec_b64 s[10:11], s[0:1]
	s_xor_b64 s[0:1], exec, s[10:11]
; %bb.189:                              ;   in Loop: Header=BB173_51 Depth=1
	v_bfe_u32 v6, v2, 16, 1
	v_add3_u32 v6, v2, v6, s21
                                        ; implicit-def: $vgpr2
; %bb.190:                              ;   in Loop: Header=BB173_51 Depth=1
	s_andn2_saveexec_b64 s[10:11], s[0:1]
; %bb.191:                              ;   in Loop: Header=BB173_51 Depth=1
	v_or_b32_e32 v6, 0x10000, v2
	v_cmp_eq_u32_sdwa s[0:1], v2, v24 src0_sel:WORD_0 src1_sel:DWORD
	v_cndmask_b32_e64 v6, v6, v2, s[0:1]
; %bb.192:                              ;   in Loop: Header=BB173_51 Depth=1
	s_or_b64 exec, exec, s[10:11]
	v_lshlrev_b32_e32 v2, 16, v7
	v_mul_f32_e32 v2, v45, v2
	v_and_b32_e32 v7, 0x7f800000, v2
	v_cmp_ne_u32_e64 s[0:1], s20, v7
                                        ; implicit-def: $vgpr7
	s_and_saveexec_b64 s[10:11], s[0:1]
	s_xor_b64 s[0:1], exec, s[10:11]
; %bb.193:                              ;   in Loop: Header=BB173_51 Depth=1
	v_bfe_u32 v7, v2, 16, 1
	v_add3_u32 v7, v2, v7, s21
                                        ; implicit-def: $vgpr2
; %bb.194:                              ;   in Loop: Header=BB173_51 Depth=1
	s_andn2_saveexec_b64 s[10:11], s[0:1]
; %bb.195:                              ;   in Loop: Header=BB173_51 Depth=1
	v_or_b32_e32 v7, 0x10000, v2
	v_cmp_eq_u32_sdwa s[0:1], v2, v24 src0_sel:WORD_0 src1_sel:DWORD
	v_cndmask_b32_e64 v7, v7, v2, s[0:1]
; %bb.196:                              ;   in Loop: Header=BB173_51 Depth=1
	s_or_b64 exec, exec, s[10:11]
	v_lshlrev_b32_e32 v2, 16, v3
	v_mul_f32_e32 v2, v46, v2
	v_and_b32_e32 v3, 0x7f800000, v2
	v_cmp_ne_u32_e64 s[0:1], s20, v3
                                        ; implicit-def: $vgpr68
	s_and_saveexec_b64 s[10:11], s[0:1]
	s_xor_b64 s[0:1], exec, s[10:11]
; %bb.197:                              ;   in Loop: Header=BB173_51 Depth=1
	v_bfe_u32 v3, v2, 16, 1
	v_add3_u32 v68, v2, v3, s21
                                        ; implicit-def: $vgpr2
; %bb.198:                              ;   in Loop: Header=BB173_51 Depth=1
	s_andn2_saveexec_b64 s[10:11], s[0:1]
; %bb.199:                              ;   in Loop: Header=BB173_51 Depth=1
	v_or_b32_e32 v3, 0x10000, v2
	v_cmp_eq_u32_sdwa s[0:1], v2, v24 src0_sel:WORD_0 src1_sel:DWORD
	v_cndmask_b32_e64 v68, v3, v2, s[0:1]
; %bb.200:                              ;   in Loop: Header=BB173_51 Depth=1
	s_or_b64 exec, exec, s[10:11]
	v_lshlrev_b32_e32 v2, 16, v69
	v_mul_f32_e32 v2, v47, v2
	v_and_b32_e32 v3, 0x7f800000, v2
	v_cmp_ne_u32_e64 s[0:1], s20, v3
                                        ; implicit-def: $vgpr69
	s_and_saveexec_b64 s[10:11], s[0:1]
	s_xor_b64 s[0:1], exec, s[10:11]
; %bb.201:                              ;   in Loop: Header=BB173_51 Depth=1
	v_bfe_u32 v3, v2, 16, 1
	v_add3_u32 v69, v2, v3, s21
                                        ; implicit-def: $vgpr2
; %bb.202:                              ;   in Loop: Header=BB173_51 Depth=1
	s_andn2_saveexec_b64 s[10:11], s[0:1]
; %bb.203:                              ;   in Loop: Header=BB173_51 Depth=1
	v_or_b32_e32 v3, 0x10000, v2
	v_cmp_eq_u32_sdwa s[0:1], v2, v24 src0_sel:WORD_0 src1_sel:DWORD
	v_cndmask_b32_e64 v69, v3, v2, s[0:1]
; %bb.204:                              ;   in Loop: Header=BB173_51 Depth=1
	s_or_b64 exec, exec, s[10:11]
	v_lshlrev_b32_e32 v2, 16, v4
	v_mul_f32_e32 v2, v48, v2
	v_and_b32_e32 v3, 0x7f800000, v2
	v_cmp_ne_u32_e64 s[0:1], s20, v3
                                        ; implicit-def: $vgpr70
	s_and_saveexec_b64 s[10:11], s[0:1]
	s_xor_b64 s[0:1], exec, s[10:11]
; %bb.205:                              ;   in Loop: Header=BB173_51 Depth=1
	v_bfe_u32 v3, v2, 16, 1
	v_add3_u32 v70, v2, v3, s21
                                        ; implicit-def: $vgpr2
; %bb.206:                              ;   in Loop: Header=BB173_51 Depth=1
	s_andn2_saveexec_b64 s[10:11], s[0:1]
; %bb.207:                              ;   in Loop: Header=BB173_51 Depth=1
	v_or_b32_e32 v3, 0x10000, v2
	v_cmp_eq_u32_sdwa s[0:1], v2, v24 src0_sel:WORD_0 src1_sel:DWORD
	v_cndmask_b32_e64 v70, v3, v2, s[0:1]
; %bb.208:                              ;   in Loop: Header=BB173_51 Depth=1
	s_or_b64 exec, exec, s[10:11]
	v_lshlrev_b32_e32 v2, 16, v71
	v_mul_f32_e32 v2, v49, v2
	v_and_b32_e32 v3, 0x7f800000, v2
	v_cmp_ne_u32_e64 s[0:1], s20, v3
                                        ; implicit-def: $vgpr71
	s_and_saveexec_b64 s[10:11], s[0:1]
	s_xor_b64 s[0:1], exec, s[10:11]
; %bb.209:                              ;   in Loop: Header=BB173_51 Depth=1
	v_bfe_u32 v3, v2, 16, 1
	v_add3_u32 v71, v2, v3, s21
                                        ; implicit-def: $vgpr2
; %bb.210:                              ;   in Loop: Header=BB173_51 Depth=1
	s_andn2_saveexec_b64 s[10:11], s[0:1]
; %bb.211:                              ;   in Loop: Header=BB173_51 Depth=1
	v_or_b32_e32 v3, 0x10000, v2
	v_cmp_eq_u32_sdwa s[0:1], v2, v24 src0_sel:WORD_0 src1_sel:DWORD
	v_cndmask_b32_e64 v71, v3, v2, s[0:1]
; %bb.212:                              ;   in Loop: Header=BB173_51 Depth=1
	s_or_b64 exec, exec, s[10:11]
	v_lshlrev_b32_e32 v2, 16, v5
	v_mul_f32_e32 v2, v50, v2
	v_and_b32_e32 v3, 0x7f800000, v2
	v_cmp_ne_u32_e64 s[0:1], s20, v3
                                        ; implicit-def: $vgpr72
	s_and_saveexec_b64 s[10:11], s[0:1]
	s_xor_b64 s[0:1], exec, s[10:11]
; %bb.213:                              ;   in Loop: Header=BB173_51 Depth=1
	v_bfe_u32 v3, v2, 16, 1
	v_add3_u32 v72, v2, v3, s21
                                        ; implicit-def: $vgpr2
; %bb.214:                              ;   in Loop: Header=BB173_51 Depth=1
	s_andn2_saveexec_b64 s[10:11], s[0:1]
; %bb.215:                              ;   in Loop: Header=BB173_51 Depth=1
	v_or_b32_e32 v3, 0x10000, v2
	v_cmp_eq_u32_sdwa s[0:1], v2, v24 src0_sel:WORD_0 src1_sel:DWORD
	v_cndmask_b32_e64 v72, v3, v2, s[0:1]
; %bb.216:                              ;   in Loop: Header=BB173_51 Depth=1
	s_or_b64 exec, exec, s[10:11]
	v_lshlrev_b32_e32 v2, 16, v73
	v_mul_f32_e32 v2, v51, v2
	v_and_b32_e32 v3, 0x7f800000, v2
	v_cmp_ne_u32_e64 s[0:1], s20, v3
                                        ; implicit-def: $vgpr73
	s_and_saveexec_b64 s[10:11], s[0:1]
	s_xor_b64 s[0:1], exec, s[10:11]
; %bb.217:                              ;   in Loop: Header=BB173_51 Depth=1
	v_bfe_u32 v3, v2, 16, 1
	v_add3_u32 v73, v2, v3, s21
                                        ; implicit-def: $vgpr2
; %bb.218:                              ;   in Loop: Header=BB173_51 Depth=1
	s_andn2_saveexec_b64 s[10:11], s[0:1]
; %bb.219:                              ;   in Loop: Header=BB173_51 Depth=1
	v_or_b32_e32 v3, 0x10000, v2
	v_cmp_eq_u32_sdwa s[0:1], v2, v24 src0_sel:WORD_0 src1_sel:DWORD
	v_cndmask_b32_e64 v73, v3, v2, s[0:1]
; %bb.220:                              ;   in Loop: Header=BB173_51 Depth=1
	s_or_b64 exec, exec, s[10:11]
	v_add_co_u32_e64 v2, s[0:1], v42, v27
	v_addc_co_u32_e64 v3, s[0:1], 0, v43, s[0:1]
	global_load_dwordx4 v[2:5], v[2:3], off
	s_waitcnt vmcnt(0)
	v_lshrrev_b32_e32 v75, 16, v2
	v_lshrrev_b32_e32 v74, 16, v3
	;; [unrolled: 1-line block ×4, first 2 shown]
	s_and_saveexec_b64 s[0:1], vcc
	s_cbranch_execz .LBB173_222
; %bb.221:                              ;   in Loop: Header=BB173_51 Depth=1
	v_cmp_gt_i32_e32 vcc, s33, v34
	v_cndmask_b32_e32 v2, 0, v2, vcc
	v_cmp_gt_i32_e32 vcc, s33, v41
	v_cndmask_b32_e32 v75, 0, v75, vcc
	;; [unrolled: 2-line block ×8, first 2 shown]
.LBB173_222:                            ;   in Loop: Header=BB173_51 Depth=1
	s_or_b64 exec, exec, s[0:1]
	v_lshlrev_b32_e32 v2, 16, v2
	v_mul_f32_e32 v34, v44, v2
	v_and_b32_e32 v2, 0x7f800000, v34
	v_cmp_ne_u32_e32 vcc, s20, v2
                                        ; implicit-def: $vgpr2
	s_and_saveexec_b64 s[0:1], vcc
	s_xor_b64 s[0:1], exec, s[0:1]
; %bb.223:                              ;   in Loop: Header=BB173_51 Depth=1
	v_bfe_u32 v2, v34, 16, 1
	v_add3_u32 v2, v34, v2, s21
                                        ; implicit-def: $vgpr34
; %bb.224:                              ;   in Loop: Header=BB173_51 Depth=1
	s_andn2_saveexec_b64 s[0:1], s[0:1]
; %bb.225:                              ;   in Loop: Header=BB173_51 Depth=1
	v_or_b32_e32 v2, 0x10000, v34
	v_cmp_eq_u32_sdwa vcc, v34, v24 src0_sel:WORD_0 src1_sel:DWORD
	v_cndmask_b32_e32 v2, v2, v34, vcc
; %bb.226:                              ;   in Loop: Header=BB173_51 Depth=1
	s_or_b64 exec, exec, s[0:1]
	v_lshlrev_b32_e32 v34, 16, v75
	v_mul_f32_e32 v35, v45, v34
	v_and_b32_e32 v34, 0x7f800000, v35
	v_cmp_ne_u32_e32 vcc, s20, v34
                                        ; implicit-def: $vgpr34
	s_and_saveexec_b64 s[0:1], vcc
	s_xor_b64 s[0:1], exec, s[0:1]
; %bb.227:                              ;   in Loop: Header=BB173_51 Depth=1
	v_bfe_u32 v34, v35, 16, 1
	v_add3_u32 v34, v35, v34, s21
                                        ; implicit-def: $vgpr35
; %bb.228:                              ;   in Loop: Header=BB173_51 Depth=1
	s_andn2_saveexec_b64 s[0:1], s[0:1]
; %bb.229:                              ;   in Loop: Header=BB173_51 Depth=1
	v_or_b32_e32 v34, 0x10000, v35
	v_cmp_eq_u32_sdwa vcc, v35, v24 src0_sel:WORD_0 src1_sel:DWORD
	v_cndmask_b32_e32 v34, v34, v35, vcc
; %bb.230:                              ;   in Loop: Header=BB173_51 Depth=1
	s_or_b64 exec, exec, s[0:1]
	v_lshlrev_b32_e32 v3, 16, v3
	v_mul_f32_e32 v35, v46, v3
	v_and_b32_e32 v3, 0x7f800000, v35
	v_cmp_ne_u32_e32 vcc, s20, v3
                                        ; implicit-def: $vgpr3
	s_and_saveexec_b64 s[0:1], vcc
	s_xor_b64 s[0:1], exec, s[0:1]
; %bb.231:                              ;   in Loop: Header=BB173_51 Depth=1
	v_bfe_u32 v3, v35, 16, 1
	v_add3_u32 v3, v35, v3, s21
                                        ; implicit-def: $vgpr35
; %bb.232:                              ;   in Loop: Header=BB173_51 Depth=1
	s_andn2_saveexec_b64 s[0:1], s[0:1]
; %bb.233:                              ;   in Loop: Header=BB173_51 Depth=1
	v_or_b32_e32 v3, 0x10000, v35
	v_cmp_eq_u32_sdwa vcc, v35, v24 src0_sel:WORD_0 src1_sel:DWORD
	v_cndmask_b32_e32 v3, v3, v35, vcc
; %bb.234:                              ;   in Loop: Header=BB173_51 Depth=1
	s_or_b64 exec, exec, s[0:1]
	v_lshlrev_b32_e32 v35, 16, v74
	v_mul_f32_e32 v36, v47, v35
	v_and_b32_e32 v35, 0x7f800000, v36
	v_cmp_ne_u32_e32 vcc, s20, v35
                                        ; implicit-def: $vgpr35
	s_and_saveexec_b64 s[0:1], vcc
	s_xor_b64 s[0:1], exec, s[0:1]
; %bb.235:                              ;   in Loop: Header=BB173_51 Depth=1
	v_bfe_u32 v35, v36, 16, 1
	v_add3_u32 v35, v36, v35, s21
                                        ; implicit-def: $vgpr36
; %bb.236:                              ;   in Loop: Header=BB173_51 Depth=1
	s_andn2_saveexec_b64 s[0:1], s[0:1]
; %bb.237:                              ;   in Loop: Header=BB173_51 Depth=1
	v_or_b32_e32 v35, 0x10000, v36
	v_cmp_eq_u32_sdwa vcc, v36, v24 src0_sel:WORD_0 src1_sel:DWORD
	v_cndmask_b32_e32 v35, v35, v36, vcc
; %bb.238:                              ;   in Loop: Header=BB173_51 Depth=1
	s_or_b64 exec, exec, s[0:1]
	v_lshlrev_b32_e32 v4, 16, v4
	v_mul_f32_e32 v36, v48, v4
	v_and_b32_e32 v4, 0x7f800000, v36
	v_cmp_ne_u32_e32 vcc, s20, v4
                                        ; implicit-def: $vgpr4
	s_and_saveexec_b64 s[0:1], vcc
	s_xor_b64 s[0:1], exec, s[0:1]
; %bb.239:                              ;   in Loop: Header=BB173_51 Depth=1
	v_bfe_u32 v4, v36, 16, 1
	v_add3_u32 v4, v36, v4, s21
                                        ; implicit-def: $vgpr36
; %bb.240:                              ;   in Loop: Header=BB173_51 Depth=1
	s_andn2_saveexec_b64 s[0:1], s[0:1]
; %bb.241:                              ;   in Loop: Header=BB173_51 Depth=1
	v_or_b32_e32 v4, 0x10000, v36
	v_cmp_eq_u32_sdwa vcc, v36, v24 src0_sel:WORD_0 src1_sel:DWORD
	v_cndmask_b32_e32 v4, v4, v36, vcc
; %bb.242:                              ;   in Loop: Header=BB173_51 Depth=1
	s_or_b64 exec, exec, s[0:1]
	v_lshlrev_b32_e32 v36, 16, v43
	v_mul_f32_e32 v37, v49, v36
	v_and_b32_e32 v36, 0x7f800000, v37
	v_cmp_ne_u32_e32 vcc, s20, v36
                                        ; implicit-def: $vgpr36
	s_and_saveexec_b64 s[0:1], vcc
	s_xor_b64 s[0:1], exec, s[0:1]
; %bb.243:                              ;   in Loop: Header=BB173_51 Depth=1
	v_bfe_u32 v36, v37, 16, 1
	v_add3_u32 v36, v37, v36, s21
                                        ; implicit-def: $vgpr37
; %bb.244:                              ;   in Loop: Header=BB173_51 Depth=1
	s_andn2_saveexec_b64 s[0:1], s[0:1]
; %bb.245:                              ;   in Loop: Header=BB173_51 Depth=1
	v_or_b32_e32 v36, 0x10000, v37
	v_cmp_eq_u32_sdwa vcc, v37, v24 src0_sel:WORD_0 src1_sel:DWORD
	v_cndmask_b32_e32 v36, v36, v37, vcc
; %bb.246:                              ;   in Loop: Header=BB173_51 Depth=1
	s_or_b64 exec, exec, s[0:1]
	v_lshlrev_b32_e32 v5, 16, v5
	v_mul_f32_e32 v37, v50, v5
	v_and_b32_e32 v5, 0x7f800000, v37
	v_cmp_ne_u32_e32 vcc, s20, v5
                                        ; implicit-def: $vgpr5
	s_and_saveexec_b64 s[0:1], vcc
	s_xor_b64 s[0:1], exec, s[0:1]
; %bb.247:                              ;   in Loop: Header=BB173_51 Depth=1
	v_bfe_u32 v5, v37, 16, 1
	v_add3_u32 v5, v37, v5, s21
                                        ; implicit-def: $vgpr37
; %bb.248:                              ;   in Loop: Header=BB173_51 Depth=1
	s_andn2_saveexec_b64 s[0:1], s[0:1]
; %bb.249:                              ;   in Loop: Header=BB173_51 Depth=1
	v_or_b32_e32 v5, 0x10000, v37
	v_cmp_eq_u32_sdwa vcc, v37, v24 src0_sel:WORD_0 src1_sel:DWORD
	v_cndmask_b32_e32 v5, v5, v37, vcc
; %bb.250:                              ;   in Loop: Header=BB173_51 Depth=1
	s_or_b64 exec, exec, s[0:1]
	v_lshlrev_b32_e32 v37, 16, v42
	v_mul_f32_e32 v38, v51, v37
	v_and_b32_e32 v37, 0x7f800000, v38
	v_cmp_ne_u32_e32 vcc, s20, v37
                                        ; implicit-def: $vgpr37
	s_and_saveexec_b64 s[0:1], vcc
	s_xor_b64 s[0:1], exec, s[0:1]
; %bb.251:                              ;   in Loop: Header=BB173_51 Depth=1
	v_bfe_u32 v37, v38, 16, 1
	v_add3_u32 v37, v38, v37, s21
                                        ; implicit-def: $vgpr38
; %bb.252:                              ;   in Loop: Header=BB173_51 Depth=1
	s_andn2_saveexec_b64 s[0:1], s[0:1]
	s_cbranch_execz .LBB173_49
; %bb.253:                              ;   in Loop: Header=BB173_51 Depth=1
	v_or_b32_e32 v37, 0x10000, v38
	v_cmp_eq_u32_sdwa vcc, v38, v24 src0_sel:WORD_0 src1_sel:DWORD
	v_cndmask_b32_e32 v37, v37, v38, vcc
	s_branch .LBB173_49
.LBB173_254:
	s_or_b64 exec, exec, s[4:5]
.LBB173_255:
	s_or_b64 exec, exec, s[2:3]
	ds_bpermute_b32 v2, v19, v14
	ds_bpermute_b32 v3, v19, v15
	;; [unrolled: 1-line block ×5, first 2 shown]
	s_waitcnt lgkmcnt(0)
	v_pk_add_f32 v[2:3], v[14:15], v[2:3]
	ds_bpermute_b32 v6, v20, v2
	v_pk_add_f32 v[4:5], v[12:13], v[4:5]
	v_add_f32_e32 v1, v22, v1
	ds_bpermute_b32 v7, v20, v3
	ds_bpermute_b32 v8, v20, v4
	;; [unrolled: 1-line block ×4, first 2 shown]
	s_barrier
	s_waitcnt lgkmcnt(3)
	v_pk_add_f32 v[6:7], v[2:3], v[6:7]
	s_waitcnt lgkmcnt(0)
	v_pk_add_f32 v[2:3], v[4:5], v[8:9]
	v_add_f32_e32 v4, v1, v10
	v_and_b32_e32 v1, 0x3c3, v0
	v_cmp_eq_u32_e32 vcc, 64, v1
	s_and_saveexec_b64 s[0:1], vcc
	s_cbranch_execz .LBB173_257
; %bb.256:
	v_add_u32_e32 v1, 0xb0, v18
	ds_write2_b32 v1, v6, v7 offset1:16
	ds_write2_b32 v1, v2, v3 offset0:32 offset1:48
	ds_write_b32 v1, v4 offset:256
.LBB173_257:
	s_or_b64 exec, exec, s[0:1]
	v_cmp_gt_u32_e32 vcc, 64, v0
	s_waitcnt lgkmcnt(0)
	s_barrier
	s_and_saveexec_b64 s[2:3], vcc
	s_cbranch_execz .LBB173_265
; %bb.258:
	v_cmp_eq_u32_e64 s[0:1], 0, v21
	v_lshrrev_b32_e32 v1, 2, v0
	s_and_saveexec_b64 s[4:5], s[0:1]
	s_cbranch_execnz .LBB173_289
; %bb.259:
	s_or_b64 exec, exec, s[4:5]
	s_and_saveexec_b64 s[4:5], s[0:1]
	s_cbranch_execnz .LBB173_290
.LBB173_260:
	s_or_b64 exec, exec, s[4:5]
	s_and_saveexec_b64 s[4:5], s[0:1]
	s_cbranch_execnz .LBB173_291
.LBB173_261:
	s_or_b64 exec, exec, s[4:5]
	s_and_saveexec_b64 s[4:5], s[0:1]
	s_cbranch_execnz .LBB173_292
.LBB173_262:
	s_or_b64 exec, exec, s[4:5]
	s_and_saveexec_b64 s[4:5], s[0:1]
	s_cbranch_execz .LBB173_264
.LBB173_263:
	v_mov_b32_e32 v5, 0xb0
	v_lshl_add_u32 v1, v1, 2, v5
	ds_read_b32 v1, v1 offset:256
	s_waitcnt lgkmcnt(0)
	v_add_f32_e32 v4, v4, v1
.LBB173_264:
	s_or_b64 exec, exec, s[4:5]
.LBB173_265:
	s_or_b64 exec, exec, s[2:3]
	s_barrier
	s_and_saveexec_b64 s[0:1], vcc
	s_cbranch_execz .LBB173_288
; %bb.266:
	v_cmp_eq_u32_e32 vcc, 0, v21
	s_and_b64 exec, exec, vcc
	s_cbranch_execz .LBB173_288
; %bb.267:
	s_mov_b32 s0, 0x7f800000
	v_and_b32_e32 v1, 0x7f800000, v6
	v_cmp_ne_u32_e32 vcc, s0, v1
                                        ; implicit-def: $vgpr1
	s_and_saveexec_b64 s[0:1], vcc
	s_xor_b64 s[0:1], exec, s[0:1]
; %bb.268:
	v_bfe_u32 v1, v6, 16, 1
	s_movk_i32 s2, 0x7fff
	v_add3_u32 v1, v6, v1, s2
; %bb.269:
	s_andn2_saveexec_b64 s[0:1], s[0:1]
; %bb.270:
	v_mov_b32_e32 v1, 0
	v_or_b32_e32 v5, 0x10000, v6
	v_cmp_eq_u32_sdwa vcc, v6, v1 src0_sel:WORD_0 src1_sel:DWORD
	v_cndmask_b32_e32 v1, v5, v6, vcc
; %bb.271:
	s_or_b64 exec, exec, s[0:1]
	s_mul_i32 s0, s12, s24
	s_mul_i32 s0, s0, s25
	s_mulk_i32 s0, 0x50
	s_ashr_i32 s1, s0, 31
	s_lshl_b64 s[0:1], s[0:1], 1
	s_add_u32 s2, s28, s0
	s_mul_i32 s0, s12, s26
	s_addc_u32 s3, s29, s1
	s_ashr_i32 s1, s0, 31
	s_lshl_b64 s[0:1], s[0:1], 1
	s_add_u32 s2, s2, s0
	s_mul_i32 s0, s8, 0x50
	s_addc_u32 s3, s3, s1
	s_ashr_i32 s1, s0, 31
	s_lshl_b64 s[0:1], s[0:1], 1
	s_add_u32 s0, s2, s0
	v_lshrrev_b32_e32 v0, 1, v0
	s_addc_u32 s1, s3, s1
	v_and_b32_e32 v0, 0x1fe, v0
	v_mov_b32_e32 v5, s1
	v_add_co_u32_e32 v8, vcc, s0, v0
	v_addc_co_u32_e32 v9, vcc, 0, v5, vcc
	global_store_short_d16_hi v0, v1, s[0:1]
	s_mov_b32 s0, 0x7f800000
	v_and_b32_e32 v0, 0x7f800000, v7
	v_cmp_ne_u32_e32 vcc, s0, v0
                                        ; implicit-def: $vgpr0
	s_and_saveexec_b64 s[0:1], vcc
	s_xor_b64 s[0:1], exec, s[0:1]
; %bb.272:
	v_bfe_u32 v0, v7, 16, 1
	s_movk_i32 s2, 0x7fff
	v_add3_u32 v0, v7, v0, s2
; %bb.273:
	s_andn2_saveexec_b64 s[0:1], s[0:1]
; %bb.274:
	v_mov_b32_e32 v0, 0
	v_or_b32_e32 v1, 0x10000, v7
	v_cmp_eq_u32_sdwa vcc, v7, v0 src0_sel:WORD_0 src1_sel:DWORD
	v_cndmask_b32_e32 v0, v1, v7, vcc
; %bb.275:
	s_or_b64 exec, exec, s[0:1]
	global_store_short_d16_hi v[8:9], v0, off offset:32
	s_mov_b32 s0, 0x7f800000
	v_and_b32_e32 v0, 0x7f800000, v2
	v_cmp_ne_u32_e32 vcc, s0, v0
                                        ; implicit-def: $vgpr0
	s_and_saveexec_b64 s[0:1], vcc
	s_xor_b64 s[0:1], exec, s[0:1]
; %bb.276:
	v_bfe_u32 v0, v2, 16, 1
	s_movk_i32 s2, 0x7fff
	v_add3_u32 v0, v2, v0, s2
; %bb.277:
	s_andn2_saveexec_b64 s[0:1], s[0:1]
; %bb.278:
	v_mov_b32_e32 v0, 0
	v_or_b32_e32 v1, 0x10000, v2
	v_cmp_eq_u32_sdwa vcc, v2, v0 src0_sel:WORD_0 src1_sel:DWORD
	v_cndmask_b32_e32 v0, v1, v2, vcc
; %bb.279:
	s_or_b64 exec, exec, s[0:1]
	global_store_short_d16_hi v[8:9], v0, off offset:64
	;; [unrolled: 20-line block ×3, first 2 shown]
	s_mov_b32 s0, 0x7f800000
	v_and_b32_e32 v0, 0x7f800000, v4
	v_cmp_ne_u32_e32 vcc, s0, v0
                                        ; implicit-def: $vgpr5
	s_and_saveexec_b64 s[0:1], vcc
	s_xor_b64 s[0:1], exec, s[0:1]
; %bb.284:
	v_bfe_u32 v0, v4, 16, 1
	s_movk_i32 s2, 0x7fff
	v_add3_u32 v5, v4, v0, s2
                                        ; implicit-def: $vgpr0_vgpr1_vgpr2_vgpr3_vgpr4
; %bb.285:
	s_andn2_saveexec_b64 s[0:1], s[0:1]
; %bb.286:
	v_mov_b32_e32 v0, 0
	v_or_b32_e32 v1, 0x10000, v4
	v_cmp_eq_u32_sdwa vcc, v4, v0 src0_sel:WORD_0 src1_sel:DWORD
	v_cndmask_b32_e32 v5, v1, v4, vcc
; %bb.287:
	s_or_b64 exec, exec, s[0:1]
	global_store_short_d16_hi v[8:9], v5, off offset:128
.LBB173_288:
	s_endpgm
.LBB173_289:
	v_mov_b32_e32 v5, 0xb0
	v_lshl_add_u32 v5, v1, 2, v5
	ds_read_b32 v5, v5
	s_waitcnt lgkmcnt(0)
	v_add_f32_e32 v6, v6, v5
	s_or_b64 exec, exec, s[4:5]
	s_and_saveexec_b64 s[4:5], s[0:1]
	s_cbranch_execz .LBB173_260
.LBB173_290:
	v_mov_b32_e32 v5, 0xb0
	v_lshl_add_u32 v5, v1, 2, v5
	ds_read_b32 v5, v5 offset:64
	s_waitcnt lgkmcnt(0)
	v_add_f32_e32 v7, v7, v5
	s_or_b64 exec, exec, s[4:5]
	s_and_saveexec_b64 s[4:5], s[0:1]
	s_cbranch_execz .LBB173_261
.LBB173_291:
	v_mov_b32_e32 v5, 0xb0
	v_lshl_add_u32 v5, v1, 2, v5
	ds_read_b32 v5, v5 offset:128
	s_waitcnt lgkmcnt(0)
	v_add_f32_e32 v2, v2, v5
	s_or_b64 exec, exec, s[4:5]
	s_and_saveexec_b64 s[4:5], s[0:1]
	s_cbranch_execz .LBB173_262
.LBB173_292:
	v_mov_b32_e32 v5, 0xb0
	v_lshl_add_u32 v5, v1, 2, v5
	ds_read_b32 v5, v5 offset:192
	s_waitcnt lgkmcnt(0)
	v_add_f32_e32 v3, v3, v5
	s_or_b64 exec, exec, s[4:5]
	s_and_saveexec_b64 s[4:5], s[0:1]
	s_cbranch_execnz .LBB173_263
	s_branch .LBB173_264
	.section	.rodata,"a",@progbits
	.p2align	6, 0x0
	.amdhsa_kernel _ZN4vllm25paged_attention_v2_kernelI14__hip_bfloat16S1_Li80ELi32ELi128ELNS_18Fp8KVCacheDataTypeE0ELb1ELi512EEEvPfS3_PT_PKS4_PKT0_SA_ifPKiSC_iPKfiiiSE_SE_iiiii
		.amdhsa_group_segment_fixed_size 176
		.amdhsa_private_segment_fixed_size 0
		.amdhsa_kernarg_size 400
		.amdhsa_user_sgpr_count 6
		.amdhsa_user_sgpr_private_segment_buffer 1
		.amdhsa_user_sgpr_dispatch_ptr 0
		.amdhsa_user_sgpr_queue_ptr 0
		.amdhsa_user_sgpr_kernarg_segment_ptr 1
		.amdhsa_user_sgpr_dispatch_id 0
		.amdhsa_user_sgpr_flat_scratch_init 0
		.amdhsa_user_sgpr_kernarg_preload_length 0
		.amdhsa_user_sgpr_kernarg_preload_offset 0
		.amdhsa_user_sgpr_private_segment_size 0
		.amdhsa_uses_dynamic_stack 0
		.amdhsa_system_sgpr_private_segment_wavefront_offset 0
		.amdhsa_system_sgpr_workgroup_id_x 1
		.amdhsa_system_sgpr_workgroup_id_y 1
		.amdhsa_system_sgpr_workgroup_id_z 1
		.amdhsa_system_sgpr_workgroup_info 0
		.amdhsa_system_vgpr_workitem_id 0
		.amdhsa_next_free_vgpr 94
		.amdhsa_next_free_sgpr 53
		.amdhsa_accum_offset 96
		.amdhsa_reserve_vcc 1
		.amdhsa_reserve_flat_scratch 0
		.amdhsa_float_round_mode_32 0
		.amdhsa_float_round_mode_16_64 0
		.amdhsa_float_denorm_mode_32 3
		.amdhsa_float_denorm_mode_16_64 3
		.amdhsa_dx10_clamp 1
		.amdhsa_ieee_mode 1
		.amdhsa_fp16_overflow 0
		.amdhsa_tg_split 0
		.amdhsa_exception_fp_ieee_invalid_op 0
		.amdhsa_exception_fp_denorm_src 0
		.amdhsa_exception_fp_ieee_div_zero 0
		.amdhsa_exception_fp_ieee_overflow 0
		.amdhsa_exception_fp_ieee_underflow 0
		.amdhsa_exception_fp_ieee_inexact 0
		.amdhsa_exception_int_div_zero 0
	.end_amdhsa_kernel
	.section	.text._ZN4vllm25paged_attention_v2_kernelI14__hip_bfloat16S1_Li80ELi32ELi128ELNS_18Fp8KVCacheDataTypeE0ELb1ELi512EEEvPfS3_PT_PKS4_PKT0_SA_ifPKiSC_iPKfiiiSE_SE_iiiii,"axG",@progbits,_ZN4vllm25paged_attention_v2_kernelI14__hip_bfloat16S1_Li80ELi32ELi128ELNS_18Fp8KVCacheDataTypeE0ELb1ELi512EEEvPfS3_PT_PKS4_PKT0_SA_ifPKiSC_iPKfiiiSE_SE_iiiii,comdat
.Lfunc_end173:
	.size	_ZN4vllm25paged_attention_v2_kernelI14__hip_bfloat16S1_Li80ELi32ELi128ELNS_18Fp8KVCacheDataTypeE0ELb1ELi512EEEvPfS3_PT_PKS4_PKT0_SA_ifPKiSC_iPKfiiiSE_SE_iiiii, .Lfunc_end173-_ZN4vllm25paged_attention_v2_kernelI14__hip_bfloat16S1_Li80ELi32ELi128ELNS_18Fp8KVCacheDataTypeE0ELb1ELi512EEEvPfS3_PT_PKS4_PKT0_SA_ifPKiSC_iPKfiiiSE_SE_iiiii
                                        ; -- End function
	.section	.AMDGPU.csdata,"",@progbits
; Kernel info:
; codeLenInByte = 10532
; NumSgprs: 57
; NumVgprs: 94
; NumAgprs: 0
; TotalNumVgprs: 94
; ScratchSize: 0
; MemoryBound: 0
; FloatMode: 240
; IeeeMode: 1
; LDSByteSize: 176 bytes/workgroup (compile time only)
; SGPRBlocks: 7
; VGPRBlocks: 11
; NumSGPRsForWavesPerEU: 57
; NumVGPRsForWavesPerEU: 94
; AccumOffset: 96
; Occupancy: 5
; WaveLimiterHint : 1
; COMPUTE_PGM_RSRC2:SCRATCH_EN: 0
; COMPUTE_PGM_RSRC2:USER_SGPR: 6
; COMPUTE_PGM_RSRC2:TRAP_HANDLER: 0
; COMPUTE_PGM_RSRC2:TGID_X_EN: 1
; COMPUTE_PGM_RSRC2:TGID_Y_EN: 1
; COMPUTE_PGM_RSRC2:TGID_Z_EN: 1
; COMPUTE_PGM_RSRC2:TIDIG_COMP_CNT: 0
; COMPUTE_PGM_RSRC3_GFX90A:ACCUM_OFFSET: 23
; COMPUTE_PGM_RSRC3_GFX90A:TG_SPLIT: 0
	.section	.text._ZN4vllm25paged_attention_v2_kernelI14__hip_bfloat16S1_Li96ELi32ELi128ELNS_18Fp8KVCacheDataTypeE0ELb1ELi512EEEvPfS3_PT_PKS4_PKT0_SA_ifPKiSC_iPKfiiiSE_SE_iiiii,"axG",@progbits,_ZN4vllm25paged_attention_v2_kernelI14__hip_bfloat16S1_Li96ELi32ELi128ELNS_18Fp8KVCacheDataTypeE0ELb1ELi512EEEvPfS3_PT_PKS4_PKT0_SA_ifPKiSC_iPKfiiiSE_SE_iiiii,comdat
	.protected	_ZN4vllm25paged_attention_v2_kernelI14__hip_bfloat16S1_Li96ELi32ELi128ELNS_18Fp8KVCacheDataTypeE0ELb1ELi512EEEvPfS3_PT_PKS4_PKT0_SA_ifPKiSC_iPKfiiiSE_SE_iiiii ; -- Begin function _ZN4vllm25paged_attention_v2_kernelI14__hip_bfloat16S1_Li96ELi32ELi128ELNS_18Fp8KVCacheDataTypeE0ELb1ELi512EEEvPfS3_PT_PKS4_PKT0_SA_ifPKiSC_iPKfiiiSE_SE_iiiii
	.globl	_ZN4vllm25paged_attention_v2_kernelI14__hip_bfloat16S1_Li96ELi32ELi128ELNS_18Fp8KVCacheDataTypeE0ELb1ELi512EEEvPfS3_PT_PKS4_PKT0_SA_ifPKiSC_iPKfiiiSE_SE_iiiii
	.p2align	8
	.type	_ZN4vllm25paged_attention_v2_kernelI14__hip_bfloat16S1_Li96ELi32ELi128ELNS_18Fp8KVCacheDataTypeE0ELb1ELi512EEEvPfS3_PT_PKS4_PKT0_SA_ifPKiSC_iPKfiiiSE_SE_iiiii,@function
_ZN4vllm25paged_attention_v2_kernelI14__hip_bfloat16S1_Li96ELi32ELi128ELNS_18Fp8KVCacheDataTypeE0ELb1ELi512EEEvPfS3_PT_PKS4_PKT0_SA_ifPKiSC_iPKfiiiSE_SE_iiiii: ; @_ZN4vllm25paged_attention_v2_kernelI14__hip_bfloat16S1_Li96ELi32ELi128ELNS_18Fp8KVCacheDataTypeE0ELb1ELi512EEEvPfS3_PT_PKS4_PKT0_SA_ifPKiSC_iPKfiiiSE_SE_iiiii
; %bb.0:
	s_load_dwordx2 s[0:1], s[4:5], 0x40
	s_mov_b32 s24, s7
	s_ashr_i32 s25, s7, 31
	s_lshl_b64 s[2:3], s[24:25], 2
	s_waitcnt lgkmcnt(0)
	s_add_u32 s0, s0, s2
	s_addc_u32 s1, s1, s3
	s_load_dword s33, s[0:1], 0x0
	s_lshl_b32 s9, s8, 9
	s_waitcnt lgkmcnt(0)
	s_cmp_ge_i32 s9, s33
	s_cbranch_scc1 .LBB174_327
; %bb.1:
	s_load_dword s25, s[4:5], 0x90
	s_load_dwordx2 s[38:39], s[4:5], 0x30
	s_mov_b32 s49, 0
	s_waitcnt lgkmcnt(0)
	s_abs_i32 s2, s25
	s_abs_i32 s0, s38
	v_cvt_f32_u32_e32 v1, s0
	s_sub_i32 s3, 0, s0
	s_xor_b32 s1, s25, s38
	s_ashr_i32 s1, s1, 31
	v_rcp_iflag_f32_e32 v1, v1
	v_mul_f32_e32 v1, 0x4f7ffffe, v1
	v_cvt_u32_f32_e32 v1, v1
	v_readfirstlane_b32 s7, v1
	s_mul_i32 s3, s3, s7
	s_mul_hi_u32 s3, s7, s3
	s_add_i32 s7, s7, s3
	s_mul_hi_u32 s3, s2, s7
	s_mul_i32 s7, s3, s0
	s_sub_i32 s2, s2, s7
	s_add_i32 s10, s3, 1
	s_sub_i32 s7, s2, s0
	s_cmp_ge_u32 s2, s0
	s_cselect_b32 s3, s10, s3
	s_cselect_b32 s2, s7, s2
	s_add_i32 s7, s3, 1
	s_cmp_ge_u32 s2, s0
	s_cselect_b32 s0, s7, s3
	s_xor_b32 s0, s0, s1
	s_sub_i32 s11, s0, s1
	s_abs_i32 s2, s11
	v_cvt_f32_u32_e32 v1, s2
	s_load_dwordx2 s[0:1], s[4:5], 0x50
	s_sub_i32 s7, 0, s2
	s_abs_i32 s3, s6
	v_rcp_iflag_f32_e32 v1, v1
	v_mul_f32_e32 v1, 0x4f7ffffe, v1
	v_cvt_u32_f32_e32 v1, v1
	v_readfirstlane_b32 s10, v1
	s_mul_i32 s7, s7, s10
	s_mul_hi_u32 s7, s10, s7
	s_add_i32 s10, s10, s7
	s_waitcnt lgkmcnt(0)
	s_cmp_eq_u64 s[0:1], 0
	s_mul_hi_u32 s10, s3, s10
	s_cbranch_scc1 .LBB174_3
; %bb.2:
	s_ashr_i32 s7, s6, 31
	s_lshl_b64 s[12:13], s[6:7], 2
	s_add_u32 s0, s0, s12
	s_addc_u32 s1, s1, s13
	s_load_dword s49, s[0:1], 0x0
.LBB174_3:
	s_load_dwordx4 s[12:15], s[4:5], 0x58
	s_ashr_i32 s7, s6, 31
	s_ashr_i32 s11, s11, 31
	v_and_b32_e32 v2, 1, v0
	s_waitcnt lgkmcnt(0)
	s_movk_i32 s15, 0x60
	s_mul_i32 s26, s6, 0x60
	v_cmp_gt_u32_e32 vcc, 24, v0
	v_lshlrev_b32_e32 v18, 3, v0
	s_and_saveexec_b64 s[0:1], vcc
	s_cbranch_execz .LBB174_5
; %bb.4:
	s_load_dwordx2 s[16:17], s[4:5], 0x18
	s_mul_i32 s18, s24, s12
	s_ashr_i32 s19, s18, 31
	s_lshl_b64 s[18:19], s[18:19], 1
	v_lshlrev_b32_e32 v1, 2, v0
	s_waitcnt lgkmcnt(0)
	s_add_u32 s12, s16, s18
	s_addc_u32 s18, s17, s19
	s_ashr_i32 s27, s26, 31
	s_lshl_b64 s[16:17], s[26:27], 1
	s_add_u32 s16, s12, s16
	s_addc_u32 s17, s18, s17
	global_load_dwordx2 v[4:5], v18, s[16:17]
	v_and_b32_e32 v1, 0xff8, v1
	v_mad_u32_u24 v1, v2, s15, v1
	s_waitcnt vmcnt(0)
	ds_write_b64 v1, v[4:5]
.LBB174_5:
	s_or_b64 exec, exec, s[0:1]
	s_mul_i32 s1, s10, s2
	s_sub_i32 s1, s3, s1
	s_xor_b32 s0, s7, s11
	s_add_i32 s3, s10, 1
	s_sub_i32 s7, s1, s2
	s_load_dwordx4 s[16:19], s[4:5], 0x78
	s_cmp_ge_u32 s1, s2
	s_cselect_b32 s3, s3, s10
	s_load_dword s10, s[4:5], 0x88
	s_cselect_b32 s1, s7, s1
	s_add_i32 s7, s3, 1
	s_cmp_ge_u32 s1, s2
	s_cselect_b32 s1, s7, s3
	s_waitcnt lgkmcnt(0)
	s_abs_i32 s27, s19
	v_cvt_f32_u32_e32 v1, s27
	s_xor_b32 s1, s1, s0
	s_sub_i32 s2, s1, s0
	s_sub_i32 s0, 0, s27
	v_rcp_iflag_f32_e32 v1, v1
	s_add_i32 s11, s33, -1
	s_abs_i32 s3, s11
	v_mul_f32_e32 v1, 0x4f7ffffe, v1
	v_cvt_u32_f32_e32 v1, v1
	s_barrier
	v_readfirstlane_b32 s46, v1
	s_mul_i32 s0, s0, s46
	s_mul_hi_u32 s0, s46, s0
	s_add_i32 s46, s46, s0
	s_cmp_lt_i32 s10, 0
	s_mul_hi_u32 s7, s3, s46
	s_cbranch_scc0 .LBB174_7
; %bb.6:
	s_mul_i32 s0, s16, s38
	s_add_i32 s0, s2, s0
	s_mul_i32 s0, s0, s10
	s_sub_i32 s47, 1, s0
	s_mov_b64 s[0:1], 0
	s_branch .LBB174_8
.LBB174_7:
	s_mov_b64 s[0:1], -1
                                        ; implicit-def: $sgpr47
.LBB174_8:
	s_load_dwordx2 s[30:31], s[4:5], 0x38
	s_ashr_i32 s11, s11, 31
	s_andn2_b64 vcc, exec, s[0:1]
	s_ashr_i32 s19, s19, 31
	s_cbranch_vccnz .LBB174_10
; %bb.9:
	s_mul_i32 s0, s25, s16
	s_add_i32 s0, s0, s6
	s_mul_i32 s0, s0, s10
	s_add_i32 s47, s0, 1
.LBB174_10:
	s_load_dword s0, s[4:5], 0x48
	s_load_dwordx2 s[36:37], s[4:5], 0x28
	s_load_dword s12, s[4:5], 0x98
	s_load_dwordx4 s[20:23], s[4:5], 0x0
	s_load_dwordx2 s[28:29], s[4:5], 0x10
	s_mul_i32 s1, s7, s27
	s_waitcnt lgkmcnt(0)
	s_mul_i32 s34, s24, s0
	s_sub_i32 s1, s3, s1
	s_ashr_i32 s35, s34, 31
	s_xor_b32 s0, s11, s19
	s_add_i32 s3, s7, 1
	s_sub_i32 s10, s1, s27
	s_cmp_ge_u32 s1, s27
	s_cselect_b32 s3, s3, s7
	s_cselect_b32 s1, s10, s1
	s_add_i32 s7, s3, 1
	s_cmp_ge_u32 s1, s27
	s_cselect_b32 s1, s7, s3
	s_xor_b32 s1, s1, s0
	s_sub_i32 s48, s1, s0
	s_add_i32 s0, s33, 31
	s_ashr_i32 s1, s0, 31
	s_lshr_b32 s1, s1, 27
	s_add_i32 s0, s0, s1
	s_lshl_b32 s38, s8, 4
	s_ashr_i32 s7, s0, 5
	s_add_i32 s0, s38, 16
	v_lshrrev_b32_e32 v27, 6, v0
	s_min_i32 s16, s0, s7
	v_or_b32_e32 v10, s38, v27
	v_cmp_gt_i32_e64 s[0:1], s16, v10
	v_mov_b32_e32 v22, 0xff7fffff
	s_mul_i32 s14, s2, s14
	v_ashrrev_i32_e32 v11, 31, v10
	v_lshl_add_u32 v1, v27, 5, s9
	v_mbcnt_lo_u32_b32 v16, -1, 0
	s_and_saveexec_b64 s[40:41], s[0:1]
	s_cbranch_execz .LBB174_20
; %bb.11:
	s_load_dwordx2 s[2:3], s[4:5], 0x20
	s_ashr_i32 s15, s14, 31
	s_sub_i32 s50, s48, s17
	s_lshl_b64 s[4:5], s[14:15], 1
	v_bfe_u32 v17, v0, 1, 5
	s_waitcnt lgkmcnt(0)
	s_add_u32 s2, s2, s4
	s_addc_u32 s3, s3, s5
	s_abs_i32 s15, s18
	v_cvt_f32_u32_e32 v5, s15
	v_lshlrev_b32_e32 v3, 4, v17
	v_mov_b32_e32 v4, s3
	v_add_co_u32_e64 v3, s[2:3], s2, v3
	v_rcp_iflag_f32_e32 v5, v5
	v_addc_co_u32_e64 v4, s[2:3], 0, v4, s[2:3]
	v_and_b32_e32 v6, 8, v18
	v_add_co_u32_e64 v19, s[2:3], v3, v6
	v_mul_f32_e32 v3, 0x4f7ffffe, v5
	v_cvt_u32_f32_e32 v3, v3
	s_sub_i32 s4, 0, s15
	v_cmp_eq_u32_e32 vcc, 0, v2
	v_mul_u32_u24_e32 v21, 0x60, v2
	v_mul_lo_u32 v2, s4, v3
	s_lshl_b64 s[4:5], s[34:35], 2
	v_mul_hi_u32 v2, v3, v2
	s_add_u32 s4, s30, s4
	v_add_u32_e32 v23, v3, v2
	v_lshlrev_b64 v[2:3], 2, v[10:11]
	s_addc_u32 s5, s31, s5
	v_addc_co_u32_e64 v20, s[2:3], 0, v4, s[2:3]
	v_mov_b32_e32 v4, s5
	v_add_co_u32_e64 v2, s[4:5], s4, v2
	v_addc_co_u32_e64 v3, s[4:5], v4, v3, s[4:5]
	v_lshlrev_b32_e32 v4, 2, v17
	v_lshl_or_b32 v4, v27, 7, v4
	v_add_u32_e32 v25, 0xd0, v4
	v_subrev_u32_e32 v4, s33, v17
	v_mbcnt_hi_u32_b32 v29, -1, v16
	v_add_u32_e32 v26, 1, v4
	v_and_b32_e32 v4, 64, v29
	s_mov_b32 s51, s13
	v_cmp_neq_f32_e64 s[2:3], s49, 0
	v_lshl_add_u32 v24, v27, 5, s9
	s_mov_b64 s[42:43], 0
	v_mov_b32_e32 v28, 0xff7fffff
	s_movk_i32 s52, 0x1000
	v_xor_b32_e32 v30, 1, v29
	v_add_u32_e32 v31, 64, v4
	v_mov_b32_e32 v22, 0xff7fffff
	v_mov_b32_e32 v32, v10
	s_branch .LBB174_14
.LBB174_12:                             ;   in Loop: Header=BB174_14 Depth=1
	s_or_b64 exec, exec, s[44:45]
.LBB174_13:                             ;   in Loop: Header=BB174_14 Depth=1
	s_or_b64 exec, exec, s[10:11]
	v_add_co_u32_e64 v2, s[4:5], 8, v2
	v_add_u32_e32 v32, 2, v32
	v_addc_co_u32_e64 v3, s[4:5], 0, v3, s[4:5]
	v_cmp_le_i32_e64 s[4:5], s16, v32
	v_add_u32_e32 v24, 64, v24
	s_or_b64 s[42:43], s[4:5], s[42:43]
	v_add_u32_e32 v25, 0x100, v25
	s_andn2_b64 exec, exec, s[42:43]
	s_cbranch_execz .LBB174_19
.LBB174_14:                             ; =>This Inner Loop Header: Depth=1
	s_waitcnt lgkmcnt(0)
	v_sub_u32_e32 v5, 0, v24
	v_max_i32_e32 v5, v24, v5
	v_mul_hi_u32 v6, v5, s46
	v_mul_lo_u32 v7, v6, s27
	v_sub_u32_e32 v5, v5, v7
	v_add_u32_e32 v7, 1, v6
	v_cmp_le_u32_e64 s[4:5], s27, v5
	v_cndmask_b32_e64 v6, v6, v7, s[4:5]
	v_subrev_u32_e32 v7, s27, v5
	v_cndmask_b32_e64 v5, v5, v7, s[4:5]
	v_ashrrev_i32_e32 v4, 31, v24
	v_add_u32_e32 v7, 1, v6
	v_cmp_le_u32_e64 s[4:5], s27, v5
	v_xor_b32_e32 v4, s19, v4
	v_cndmask_b32_e64 v5, v6, v7, s[4:5]
	v_xor_b32_e32 v5, v5, v4
	v_sub_u32_e32 v4, v5, v4
	v_add_u32_e32 v5, s47, v4
	v_sub_u32_e32 v7, 0, v5
	v_ashrrev_i32_e32 v6, 31, v5
	v_max_i32_e32 v5, v5, v7
	v_mul_hi_u32 v7, v5, v23
	v_mul_lo_u32 v7, v7, s15
	v_sub_u32_e32 v5, v5, v7
	v_subrev_u32_e32 v7, s15, v5
	v_cmp_le_u32_e64 s[4:5], s15, v5
	v_cndmask_b32_e64 v5, v5, v7, s[4:5]
	v_subrev_u32_e32 v7, s15, v5
	v_cmp_le_u32_e64 s[4:5], s15, v5
	v_cndmask_b32_e64 v5, v5, v7, s[4:5]
	v_xor_b32_e32 v5, v5, v6
	v_sub_u32_e32 v5, v5, v6
	v_cmp_ne_u32_e64 s[4:5], 0, v5
	v_cmp_ge_i32_e64 s[10:11], s50, v4
	s_and_b64 s[4:5], s[4:5], s[10:11]
	s_and_b64 s[44:45], vcc, s[4:5]
	s_and_saveexec_b64 s[10:11], s[44:45]
	s_cbranch_execz .LBB174_16
; %bb.15:                               ;   in Loop: Header=BB174_14 Depth=1
	ds_write_b32 v25, v28
.LBB174_16:                             ;   in Loop: Header=BB174_14 Depth=1
	s_or_b64 exec, exec, s[10:11]
	s_xor_b64 s[4:5], s[4:5], -1
	s_and_saveexec_b64 s[10:11], s[4:5]
	s_cbranch_execz .LBB174_13
; %bb.17:                               ;   in Loop: Header=BB174_14 Depth=1
	global_load_dword v4, v[2:3], off
	s_waitcnt vmcnt(0)
	v_mad_i64_i32 v[4:5], s[4:5], v4, s51, 0
	v_lshlrev_b64 v[4:5], 1, v[4:5]
	v_add_co_u32_e64 v6, s[4:5], v19, v4
	v_addc_co_u32_e64 v7, s[4:5], v20, v5, s[4:5]
	global_load_dwordx2 v[4:5], v[6:7], off offset:1024
	global_load_dwordx2 v[12:13], v[6:7], off offset:1536
	;; [unrolled: 1-line block ×3, first 2 shown]
	global_load_dwordx2 v[60:61], v[6:7], off
	global_load_dwordx2 v[62:63], v[6:7], off offset:2048
	global_load_dwordx2 v[64:65], v[6:7], off offset:2560
	ds_read_b128 v[34:37], v21
	ds_read_b128 v[38:41], v21 offset:16
	ds_read_b128 v[42:45], v21 offset:32
	;; [unrolled: 1-line block ×3, first 2 shown]
	global_load_dwordx2 v[14:15], v[6:7], off offset:3072
	ds_read_b128 v[50:53], v21 offset:64
	ds_read_b128 v[54:57], v21 offset:80
	global_load_dwordx2 v[8:9], v[6:7], off offset:3584
	v_add_co_u32_e64 v6, s[4:5], s52, v6
	v_addc_co_u32_e64 v7, s[4:5], 0, v7, s[4:5]
	s_waitcnt lgkmcnt(5)
	v_lshlrev_b32_e32 v67, 16, v36
	v_and_b32_e32 v36, 0xffff0000, v36
	v_lshlrev_b32_e32 v33, 16, v34
	v_lshlrev_b32_e32 v68, 16, v37
	v_and_b32_e32 v34, 0xffff0000, v34
	v_lshlrev_b32_e32 v66, 16, v35
	s_waitcnt lgkmcnt(4)
	v_lshlrev_b32_e32 v69, 16, v38
	v_and_b32_e32 v37, 0xffff0000, v37
	v_and_b32_e32 v38, 0xffff0000, v38
	v_lshlrev_b32_e32 v70, 16, v39
	v_lshlrev_b32_e32 v71, 16, v40
	v_and_b32_e32 v35, 0xffff0000, v35
	v_and_b32_e32 v40, 0xffff0000, v40
	v_lshlrev_b32_e32 v72, 16, v41
	s_waitcnt lgkmcnt(3)
	v_lshlrev_b32_e32 v73, 16, v42
	v_and_b32_e32 v39, 0xffff0000, v39
	v_and_b32_e32 v42, 0xffff0000, v42
	v_lshlrev_b32_e32 v74, 16, v43
	v_lshlrev_b32_e32 v75, 16, v44
	v_and_b32_e32 v41, 0xffff0000, v41
	;; [unrolled: 9-line block ×5, first 2 shown]
	v_and_b32_e32 v56, 0xffff0000, v56
	v_lshlrev_b32_e32 v88, 16, v57
	v_and_b32_e32 v55, 0xffff0000, v55
	v_and_b32_e32 v57, 0xffff0000, v57
	v_cmp_lt_i32_e64 s[4:5], v30, v31
	s_waitcnt vmcnt(7)
	v_lshlrev_b32_e32 v93, 16, v4
	v_and_b32_e32 v94, 0xffff0000, v4
	v_lshlrev_b32_e32 v95, 16, v5
	v_and_b32_e32 v96, 0xffff0000, v5
	global_load_dwordx2 v[4:5], v[6:7], off
	s_waitcnt vmcnt(7)
	v_lshlrev_b32_e32 v97, 16, v12
	v_and_b32_e32 v98, 0xffff0000, v12
	v_lshlrev_b32_e32 v99, 16, v13
	v_and_b32_e32 v100, 0xffff0000, v13
	s_waitcnt vmcnt(1)
	v_lshlrev_b32_e32 v107, 16, v8
	v_and_b32_e32 v108, 0xffff0000, v8
	v_lshlrev_b32_e32 v109, 16, v9
	v_and_b32_e32 v110, 0xffff0000, v9
	global_load_dwordx2 v[8:9], v[6:7], off offset:512
	global_load_dwordx2 v[12:13], v[6:7], off offset:1024
	s_nop 0
	global_load_dwordx2 v[6:7], v[6:7], off offset:1536
	v_lshlrev_b32_e32 v89, 16, v58
	v_and_b32_e32 v58, 0xffff0000, v58
	v_lshlrev_b32_e32 v90, 16, v60
	v_and_b32_e32 v60, 0xffff0000, v60
	v_lshlrev_b32_e32 v92, 16, v59
	v_mul_f32_e32 v67, v67, v89
	v_mul_f32_e32 v36, v36, v58
	v_lshlrev_b32_e32 v91, 16, v61
	v_and_b32_e32 v59, 0xffff0000, v59
	v_fmac_f32_e32 v67, v33, v90
	v_mul_f32_e32 v33, v68, v92
	v_fmac_f32_e32 v36, v34, v60
	v_and_b32_e32 v61, 0xffff0000, v61
	v_mul_f32_e32 v37, v37, v59
	v_fmac_f32_e32 v33, v66, v91
	v_fmac_f32_e32 v67, v69, v93
	v_fmac_f32_e32 v36, v38, v94
	v_lshlrev_b32_e32 v101, 16, v62
	v_and_b32_e32 v62, 0xffff0000, v62
	v_fmac_f32_e32 v37, v35, v61
	v_fmac_f32_e32 v33, v70, v95
	v_fmac_f32_e32 v67, v71, v97
	v_fmac_f32_e32 v36, v40, v98
	v_lshlrev_b32_e32 v102, 16, v63
	v_lshlrev_b32_e32 v103, 16, v64
	v_and_b32_e32 v64, 0xffff0000, v64
	v_fmac_f32_e32 v37, v39, v96
	v_fmac_f32_e32 v33, v72, v99
	;; [unrolled: 1-line block ×4, first 2 shown]
	v_and_b32_e32 v63, 0xffff0000, v63
	v_lshlrev_b32_e32 v104, 16, v65
	v_lshlrev_b32_e32 v105, 16, v14
	v_and_b32_e32 v14, 0xffff0000, v14
	v_fmac_f32_e32 v37, v41, v100
	v_fmac_f32_e32 v33, v74, v102
	;; [unrolled: 1-line block ×4, first 2 shown]
	v_and_b32_e32 v65, 0xffff0000, v65
	v_lshlrev_b32_e32 v106, 16, v15
	v_fmac_f32_e32 v37, v43, v63
	v_fmac_f32_e32 v33, v76, v104
	;; [unrolled: 1-line block ×4, first 2 shown]
	v_and_b32_e32 v15, 0xffff0000, v15
	v_fmac_f32_e32 v37, v45, v65
	v_fmac_f32_e32 v33, v78, v106
	;; [unrolled: 1-line block ×7, first 2 shown]
	v_cndmask_b32_e64 v58, v29, v30, s[4:5]
	v_lshlrev_b32_e32 v58, 2, v58
	s_waitcnt vmcnt(3)
	v_lshlrev_b32_e32 v59, 16, v4
	v_and_b32_e32 v4, 0xffff0000, v4
	v_lshlrev_b32_e32 v34, 16, v5
	v_fmac_f32_e32 v67, v81, v59
	v_fmac_f32_e32 v36, v50, v4
	v_and_b32_e32 v5, 0xffff0000, v5
	v_fmac_f32_e32 v33, v82, v34
	v_fmac_f32_e32 v37, v51, v5
	s_waitcnt vmcnt(2)
	v_lshlrev_b32_e32 v60, 16, v8
	v_and_b32_e32 v8, 0xffff0000, v8
	v_lshlrev_b32_e32 v66, 16, v9
	s_waitcnt vmcnt(1)
	v_lshlrev_b32_e32 v68, 16, v12
	v_and_b32_e32 v12, 0xffff0000, v12
	v_fmac_f32_e32 v67, v83, v60
	v_fmac_f32_e32 v36, v52, v8
	v_and_b32_e32 v9, 0xffff0000, v9
	v_lshlrev_b32_e32 v35, 16, v13
	s_waitcnt vmcnt(0)
	v_lshlrev_b32_e32 v61, 16, v6
	v_and_b32_e32 v6, 0xffff0000, v6
	v_fmac_f32_e32 v33, v84, v66
	v_fmac_f32_e32 v67, v85, v68
	;; [unrolled: 1-line block ×3, first 2 shown]
	v_and_b32_e32 v13, 0xffff0000, v13
	v_lshlrev_b32_e32 v69, 16, v7
	v_fmac_f32_e32 v37, v53, v9
	v_fmac_f32_e32 v33, v86, v35
	;; [unrolled: 1-line block ×4, first 2 shown]
	v_and_b32_e32 v7, 0xffff0000, v7
	v_fmac_f32_e32 v37, v55, v13
	v_fmac_f32_e32 v33, v88, v69
	v_add_f32_e32 v4, v67, v36
	v_fmac_f32_e32 v37, v57, v7
	v_add_f32_e32 v4, v4, v33
	v_add_f32_e32 v4, v37, v4
	ds_bpermute_b32 v5, v58, v4
	s_and_saveexec_b64 s[44:45], vcc
	s_cbranch_execz .LBB174_12
; %bb.18:                               ;   in Loop: Header=BB174_14 Depth=1
	v_add_u32_e32 v6, v26, v24
	v_cvt_f32_i32_e32 v6, v6
	s_waitcnt lgkmcnt(0)
	v_add_f32_e32 v4, v4, v5
	v_add_u32_e32 v7, v17, v24
	v_cmp_gt_i32_e64 s[4:5], s33, v7
	v_mul_f32_e32 v5, s49, v6
	v_cndmask_b32_e64 v5, 0, v5, s[2:3]
	v_fmac_f32_e32 v5, s39, v4
	v_cndmask_b32_e64 v4, 0, v5, s[4:5]
	ds_write_b32 v25, v4
	v_max_f32_e32 v4, v22, v22
	v_max_f32_e32 v4, v4, v5
	v_cndmask_b32_e64 v22, v22, v4, s[4:5]
	s_branch .LBB174_12
.LBB174_19:
	s_or_b64 exec, exec, s[42:43]
.LBB174_20:
	s_or_b64 exec, exec, s[40:41]
	v_mbcnt_hi_u32_b32 v4, -1, v16
	v_and_b32_e32 v2, 64, v4
	v_add_u32_e32 v9, 64, v2
	v_xor_b32_e32 v2, 32, v4
	v_cmp_lt_i32_e32 vcc, v2, v9
	v_cndmask_b32_e32 v2, v4, v2, vcc
	v_lshlrev_b32_e32 v2, 2, v2
	ds_bpermute_b32 v3, v2, v22
	v_xor_b32_e32 v6, 16, v4
	s_waitcnt lgkmcnt(1)
	v_max_f32_e32 v5, v22, v22
	v_cmp_lt_i32_e32 vcc, v6, v9
	v_xor_b32_e32 v7, 8, v4
	s_waitcnt lgkmcnt(0)
	v_max_f32_e32 v3, v3, v3
	v_max_f32_e32 v5, v5, v3
	v_cndmask_b32_e32 v3, v4, v6, vcc
	v_lshlrev_b32_e32 v3, 2, v3
	ds_bpermute_b32 v6, v3, v5
	v_cmp_lt_i32_e32 vcc, v7, v9
	v_xor_b32_e32 v8, 4, v4
	v_xor_b32_e32 v12, 2, v4
	v_and_b32_e32 v20, 63, v0
	s_waitcnt lgkmcnt(0)
	v_max_f32_e32 v6, v6, v6
	v_max_f32_e32 v6, v5, v6
	v_cndmask_b32_e32 v5, v4, v7, vcc
	v_lshlrev_b32_e32 v5, 2, v5
	ds_bpermute_b32 v7, v5, v6
	v_cmp_lt_i32_e32 vcc, v8, v9
	s_waitcnt lgkmcnt(0)
	v_max_f32_e32 v7, v7, v7
	v_max_f32_e32 v7, v6, v7
	v_cndmask_b32_e32 v6, v4, v8, vcc
	v_lshlrev_b32_e32 v6, 2, v6
	ds_bpermute_b32 v8, v6, v7
	v_cmp_lt_i32_e32 vcc, v12, v9
	s_waitcnt lgkmcnt(0)
	v_max_f32_e32 v8, v8, v8
	v_max_f32_e32 v8, v7, v8
	v_cndmask_b32_e32 v7, v4, v12, vcc
	v_lshlrev_b32_e32 v21, 2, v7
	ds_bpermute_b32 v12, v21, v8
	v_cmp_eq_u32_e32 vcc, 0, v20
	v_lshlrev_b32_e32 v7, 2, v27
	s_and_saveexec_b64 s[2:3], vcc
	s_cbranch_execz .LBB174_22
; %bb.21:
	s_waitcnt lgkmcnt(0)
	v_max_f32_e32 v12, v12, v12
	v_max_f32_e32 v8, v8, v8
	;; [unrolled: 1-line block ×3, first 2 shown]
	ds_write_b32 v7, v8 offset:192
.LBB174_22:
	s_or_b64 exec, exec, s[2:3]
	v_cmp_gt_u32_e64 s[2:3], 2, v20
	s_waitcnt lgkmcnt(0)
	v_mov_b32_e32 v12, 0xff7fffff
	v_lshlrev_b32_e32 v8, 2, v20
	s_barrier
	s_and_saveexec_b64 s[4:5], s[2:3]
	s_cbranch_execz .LBB174_24
; %bb.23:
	ds_read_b32 v12, v8 offset:192
.LBB174_24:
	s_or_b64 exec, exec, s[4:5]
	v_xor_b32_e32 v13, 1, v4
	v_cmp_lt_i32_e64 s[4:5], v13, v9
	v_cndmask_b32_e64 v9, v4, v13, s[4:5]
	v_lshlrev_b32_e32 v22, 2, v9
	s_waitcnt lgkmcnt(0)
	ds_bpermute_b32 v9, v22, v12
	v_max_f32_e32 v12, v12, v12
	v_lshlrev_b32_e32 v4, 2, v4
	s_sub_i32 s4, s16, s38
	s_lshl_b32 s4, s4, 5
	s_waitcnt lgkmcnt(0)
	v_max_f32_e32 v9, v9, v9
	v_max_f32_e32 v12, v12, v9
	v_and_b32_e32 v9, 0x100, v4
	ds_bpermute_b32 v4, v9, v12
	s_add_i32 s4, s4, s9
	s_min_i32 s42, s4, s33
	s_sub_i32 s15, s42, s9
	v_cmp_gt_i32_e64 s[4:5], s15, v0
	v_mov_b32_e32 v12, 0
	s_and_saveexec_b64 s[38:39], s[4:5]
	s_cbranch_execz .LBB174_28
; %bb.25:
	v_mov_b32_e32 v12, 0xd0
	v_lshl_add_u32 v13, v0, 2, v12
	s_mov_b64 s[40:41], 0
	v_mov_b32_e32 v12, 0
	v_mov_b32_e32 v14, v0
.LBB174_26:                             ; =>This Inner Loop Header: Depth=1
	ds_read_b32 v15, v13
	v_add_u32_e32 v14, 0x80, v14
	v_cmp_le_i32_e64 s[10:11], s15, v14
	s_or_b64 s[40:41], s[10:11], s[40:41]
	s_waitcnt lgkmcnt(0)
	v_sub_f32_e32 v15, v15, v4
	v_mul_f32_e32 v15, 0x3fb8aa3b, v15
	v_exp_f32_e32 v15, v15
	ds_write_b32 v13, v15
	v_add_f32_e32 v12, v12, v15
	v_add_u32_e32 v13, 0x200, v13
	s_andn2_b64 exec, exec, s[40:41]
	s_cbranch_execnz .LBB174_26
; %bb.27:
	s_or_b64 exec, exec, s[40:41]
.LBB174_28:
	s_or_b64 exec, exec, s[38:39]
	ds_bpermute_b32 v2, v2, v12
	s_waitcnt lgkmcnt(0)
	v_add_f32_e32 v2, v12, v2
	ds_bpermute_b32 v3, v3, v2
	s_waitcnt lgkmcnt(0)
	v_add_f32_e32 v2, v2, v3
	;; [unrolled: 3-line block ×6, first 2 shown]
	s_and_saveexec_b64 s[10:11], vcc
	s_cbranch_execz .LBB174_30
; %bb.29:
	ds_write_b32 v7, v2 offset:200
.LBB174_30:
	s_or_b64 exec, exec, s[10:11]
	s_waitcnt lgkmcnt(0)
	s_barrier
	s_and_saveexec_b64 s[10:11], s[2:3]
	s_cbranch_execz .LBB174_32
; %bb.31:
	ds_read_b32 v2, v8 offset:200
.LBB174_32:
	s_or_b64 exec, exec, s[10:11]
	s_waitcnt lgkmcnt(0)
	ds_bpermute_b32 v3, v22, v2
	s_waitcnt lgkmcnt(0)
	v_add_f32_e32 v2, v2, v3
	ds_bpermute_b32 v5, v9, v2
	s_and_saveexec_b64 s[2:3], s[4:5]
	s_cbranch_execz .LBB174_45
; %bb.33:
	s_waitcnt lgkmcnt(0)
	v_add_f32_e32 v2, 0x358637bd, v5
	v_div_scale_f32 v3, s[4:5], v2, v2, 1.0
	v_rcp_f32_e32 v6, v3
	v_div_scale_f32 v7, vcc, 1.0, v2, 1.0
	s_movk_i32 s4, 0x7f
	v_fma_f32 v8, -v3, v6, 1.0
	v_fmac_f32_e32 v6, v8, v6
	v_mul_f32_e32 v8, v7, v6
	v_fma_f32 v9, -v3, v8, v7
	v_fmac_f32_e32 v8, v9, v6
	v_fma_f32 v3, -v3, v8, v7
	v_div_fmas_f32 v3, v3, v6, v8
	v_div_fixup_f32 v2, v3, v2, 1.0
	v_xad_u32 v3, v0, -1, s42
	v_subrev_u32_e32 v6, s9, v3
	v_cmp_lt_u32_e32 vcc, s4, v6
	s_mov_b64 s[10:11], -1
	v_mov_b32_e32 v3, v0
	s_and_saveexec_b64 s[4:5], vcc
	s_cbranch_execz .LBB174_42
; %bb.34:
	v_lshrrev_b32_e32 v6, 7, v6
	v_add_u32_e32 v8, -1, v6
	v_lshrrev_b32_e32 v7, 1, v8
	v_mov_b32_e32 v3, v2
	v_add_u32_e32 v7, 1, v7
	v_cmp_lt_u32_e32 vcc, 13, v8
	v_mov_b32_e32 v12, 0
	s_and_saveexec_b64 s[10:11], vcc
	s_cbranch_execz .LBB174_38
; %bb.35:
	v_mov_b32_e32 v9, 0xd0
	v_and_b32_e32 v8, -8, v7
	v_lshl_add_u32 v9, v0, 2, v9
	s_mov_b32 s9, 0
	s_mov_b64 s[38:39], 0
.LBB174_36:                             ; =>This Inner Loop Header: Depth=1
	ds_read2st64_b32 v[12:13], v9 offset1:2
	ds_read2st64_b32 v[14:15], v9 offset0:4 offset1:6
	ds_read2st64_b32 v[16:17], v9 offset0:8 offset1:10
	;; [unrolled: 1-line block ×3, first 2 shown]
	v_add_u32_e32 v8, -8, v8
	s_waitcnt lgkmcnt(3)
	v_pk_mul_f32 v[12:13], v[2:3], v[12:13]
	s_waitcnt lgkmcnt(2)
	v_pk_mul_f32 v[14:15], v[2:3], v[14:15]
	ds_write2st64_b32 v9, v12, v13 offset1:2
	ds_write2st64_b32 v9, v14, v15 offset0:4 offset1:6
	ds_read2st64_b32 v[14:15], v9 offset0:16 offset1:18
	s_waitcnt lgkmcnt(4)
	v_pk_mul_f32 v[12:13], v[2:3], v[16:17]
	ds_write2st64_b32 v9, v12, v13 offset0:8 offset1:10
	s_waitcnt lgkmcnt(4)
	v_pk_mul_f32 v[12:13], v[2:3], v[24:25]
	ds_write2st64_b32 v9, v12, v13 offset0:12 offset1:14
	ds_read2st64_b32 v[12:13], v9 offset0:20 offset1:22
	s_waitcnt lgkmcnt(3)
	v_pk_mul_f32 v[14:15], v[2:3], v[14:15]
	ds_read2st64_b32 v[16:17], v9 offset0:24 offset1:26
	ds_write2st64_b32 v9, v14, v15 offset0:16 offset1:18
	ds_read2st64_b32 v[14:15], v9 offset0:28 offset1:30
	s_waitcnt lgkmcnt(3)
	v_pk_mul_f32 v[12:13], v[2:3], v[12:13]
	ds_write2st64_b32 v9, v12, v13 offset0:20 offset1:22
	s_waitcnt lgkmcnt(3)
	v_pk_mul_f32 v[12:13], v[2:3], v[16:17]
	ds_write2st64_b32 v9, v12, v13 offset0:24 offset1:26
	s_waitcnt lgkmcnt(2)
	v_pk_mul_f32 v[12:13], v[2:3], v[14:15]
	s_add_i32 s9, s9, 16
	v_cmp_eq_u32_e32 vcc, 0, v8
	ds_write2st64_b32 v9, v12, v13 offset0:28 offset1:30
	v_add_u32_e32 v9, 0x2000, v9
	s_or_b64 s[38:39], vcc, s[38:39]
	v_mov_b32_e32 v12, s9
	s_andn2_b64 exec, exec, s[38:39]
	s_cbranch_execnz .LBB174_36
; %bb.37:
	s_or_b64 exec, exec, s[38:39]
.LBB174_38:
	s_or_b64 exec, exec, s[10:11]
	v_and_b32_e32 v7, 7, v7
	v_cmp_ne_u32_e32 vcc, 0, v7
	s_and_saveexec_b64 s[10:11], vcc
	s_cbranch_execz .LBB174_41
; %bb.39:
	v_lshlrev_b32_e32 v8, 9, v12
	v_lshlrev_b32_e32 v9, 2, v0
	s_movk_i32 s9, 0xd0
	v_add3_u32 v8, v8, v9, s9
	s_mov_b64 s[38:39], 0
.LBB174_40:                             ; =>This Inner Loop Header: Depth=1
	ds_read2st64_b32 v[12:13], v8 offset1:2
	v_add_u32_e32 v7, -1, v7
	v_cmp_eq_u32_e32 vcc, 0, v7
	s_or_b64 s[38:39], vcc, s[38:39]
	s_waitcnt lgkmcnt(0)
	v_pk_mul_f32 v[12:13], v[2:3], v[12:13]
	ds_write2st64_b32 v8, v12, v13 offset1:2
	v_add_u32_e32 v8, 0x400, v8
	s_andn2_b64 exec, exec, s[38:39]
	s_cbranch_execnz .LBB174_40
.LBB174_41:
	s_or_b64 exec, exec, s[10:11]
	v_add_u32_e32 v6, 1, v6
	v_and_b32_e32 v7, 0x3fffffe, v6
	v_cmp_ne_u32_e32 vcc, v6, v7
	v_lshl_add_u32 v3, v7, 7, v0
	s_orn2_b64 s[10:11], vcc, exec
.LBB174_42:
	s_or_b64 exec, exec, s[4:5]
	s_and_b64 exec, exec, s[10:11]
	s_cbranch_execz .LBB174_45
; %bb.43:
	v_mov_b32_e32 v6, 0xd0
	v_lshl_add_u32 v6, v3, 2, v6
	s_mov_b64 s[4:5], 0
.LBB174_44:                             ; =>This Inner Loop Header: Depth=1
	ds_read_b32 v7, v6
	v_add_u32_e32 v3, 0x80, v3
	v_cmp_le_i32_e32 vcc, s15, v3
	s_or_b64 s[4:5], vcc, s[4:5]
	s_waitcnt lgkmcnt(0)
	v_mul_f32_e32 v7, v2, v7
	ds_write_b32 v6, v7
	v_add_u32_e32 v6, 0x200, v6
	s_andn2_b64 exec, exec, s[4:5]
	s_cbranch_execnz .LBB174_44
.LBB174_45:
	s_or_b64 exec, exec, s[2:3]
	v_cmp_eq_u32_e32 vcc, 0, v0
	s_waitcnt lgkmcnt(0)
	s_barrier
	s_and_saveexec_b64 s[2:3], vcc
	s_cbranch_execz .LBB174_47
; %bb.46:
	s_mul_i32 s4, s12, s24
	s_mul_i32 s4, s4, s25
	s_ashr_i32 s5, s4, 31
	s_lshl_b64 s[4:5], s[4:5], 2
	s_add_u32 s9, s22, s4
	s_mul_i32 s10, s12, s6
	s_addc_u32 s15, s23, s5
	s_ashr_i32 s11, s10, 31
	s_lshl_b64 s[10:11], s[10:11], 2
	s_add_u32 s6, s9, s10
	s_addc_u32 s15, s15, s11
	s_ashr_i32 s9, s8, 31
	s_lshl_b64 s[22:23], s[8:9], 2
	s_add_u32 s38, s6, s22
	s_addc_u32 s39, s15, s23
	s_add_u32 s4, s20, s4
	s_addc_u32 s5, s21, s5
	;; [unrolled: 2-line block ×3, first 2 shown]
	s_add_u32 s4, s4, s22
	v_mov_b32_e32 v2, 0
	s_addc_u32 s5, s5, s23
	global_store_dword v2, v4, s[38:39]
	global_store_dword v2, v5, s[4:5]
.LBB174_47:
	s_or_b64 exec, exec, s[2:3]
	v_mov_b32_e32 v13, 0
	v_and_b32_e32 v23, 3, v0
	v_mov_b32_e32 v12, 0
	v_mov_b32_e32 v15, 0
	;; [unrolled: 1-line block ×5, first 2 shown]
	s_and_saveexec_b64 s[2:3], s[0:1]
	s_cbranch_execz .LBB174_289
; %bb.48:
	s_ashr_i32 s15, s14, 31
	s_sub_i32 s9, s48, s17
	s_lshl_b64 s[0:1], s[14:15], 1
	s_add_u32 s14, s36, s0
	s_addc_u32 s15, s37, s1
	s_abs_i32 s17, s18
	v_cvt_f32_u32_e32 v2, s17
	s_sub_i32 s0, 0, s17
	s_add_i32 s18, s7, -1
	v_lshlrev_b64 v[8:9], 2, v[10:11]
	v_rcp_iflag_f32_e32 v3, v2
	v_and_b32_e32 v24, 24, v18
	v_and_b32_e32 v2, 0x1f8, v18
	v_or_b32_e32 v4, 0x800, v2
	v_mul_f32_e32 v3, 0x4f7ffffe, v3
	v_cvt_u32_f32_e32 v3, v3
	v_or_b32_e32 v6, 0xa00, v2
	v_mov_b32_e32 v25, 0
	s_mov_b64 s[4:5], 0
	v_mul_lo_u32 v5, s0, v3
	s_lshl_b64 s[0:1], s[34:35], 2
	s_add_u32 s0, s30, s0
	v_mul_hi_u32 v5, v3, v5
	s_addc_u32 s1, s31, s1
	v_add_u32_e32 v26, v3, v5
	v_mov_b32_e32 v3, s1
	v_add_co_u32_e32 v18, vcc, s0, v8
	v_addc_co_u32_e32 v19, vcc, v3, v9, vcc
	v_lshlrev_b32_e32 v3, 5, v23
	v_lshl_or_b32 v3, v27, 7, v3
	v_add_u32_e32 v11, 0xd0, v3
	s_mov_b32 s20, 0x7f800000
	s_movk_i32 s21, 0x7fff
	v_lshlrev_b32_e32 v27, 1, v2
	v_lshlrev_b32_e32 v28, 1, v4
	;; [unrolled: 1-line block ×3, first 2 shown]
	v_mov_b32_e32 v16, 0
	v_mov_b32_e32 v17, 0
	;; [unrolled: 1-line block ×6, first 2 shown]
	s_branch .LBB174_51
.LBB174_49:                             ;   in Loop: Header=BB174_51 Depth=1
	s_or_b64 exec, exec, s[0:1]
	v_and_b32_e32 v45, 0xffff0000, v79
	v_and_b32_e32 v44, 0xffff0000, v77
	;; [unrolled: 1-line block ×8, first 2 shown]
	v_pk_add_f32 v[44:45], v[46:47], v[44:45]
	v_pk_add_f32 v[40:41], v[42:43], v[40:41]
	v_add_f32_e32 v42, v44, v45
	v_add_f32_e32 v40, v42, v40
	v_add_f32_e32 v40, v40, v41
	v_and_b32_e32 v45, 0xffff0000, v71
	v_and_b32_e32 v44, 0xffff0000, v7
	v_and_b32_e32 v7, 0xffff0000, v70
	v_and_b32_e32 v6, 0xffff0000, v6
	v_add_f32_e32 v12, v12, v40
	v_and_b32_e32 v41, 0xffff0000, v75
	v_and_b32_e32 v40, 0xffff0000, v73
	v_and_b32_e32 v43, 0xffff0000, v74
	v_and_b32_e32 v42, 0xffff0000, v72
	v_pk_add_f32 v[6:7], v[6:7], v[44:45]
	v_pk_add_f32 v[40:41], v[42:43], v[40:41]
	v_add_f32_e32 v6, v6, v7
	v_add_f32_e32 v6, v6, v40
	v_add_f32_e32 v6, v6, v41
	v_and_b32_e32 v43, 0xffff0000, v65
	v_and_b32_e32 v42, 0xffff0000, v63
	v_and_b32_e32 v45, 0xffff0000, v64
	v_and_b32_e32 v44, 0xffff0000, v62
	v_add_f32_e32 v15, v15, v6
	v_and_b32_e32 v7, 0xffff0000, v69
	v_and_b32_e32 v6, 0xffff0000, v67
	v_and_b32_e32 v41, 0xffff0000, v68
	v_and_b32_e32 v40, 0xffff0000, v66
	;; [unrolled: 14-line block ×3, first 2 shown]
	v_pk_add_f32 v[42:43], v[44:45], v[42:43]
	v_pk_add_f32 v[6:7], v[40:41], v[6:7]
	v_add_f32_e32 v40, v42, v43
	v_add_f32_e32 v6, v40, v6
	v_add_f32_e32 v6, v6, v7
	v_add_f32_e32 v17, v17, v6
	v_and_b32_e32 v7, 0xffff0000, v35
	v_and_b32_e32 v6, 0xffff0000, v33
	;; [unrolled: 1-line block ×8, first 2 shown]
	v_pk_add_f32 v[8:9], v[8:9], v[34:35]
	v_pk_add_f32 v[6:7], v[32:33], v[6:7]
	v_add_f32_e32 v8, v8, v9
	v_add_f32_e32 v6, v8, v6
	;; [unrolled: 1-line block ×3, first 2 shown]
	v_and_b32_e32 v9, 0xffff0000, v37
	v_and_b32_e32 v8, 0xffff0000, v36
	;; [unrolled: 1-line block ×4, first 2 shown]
	v_add_f32_e32 v16, v16, v6
	v_and_b32_e32 v7, 0xffff0000, v39
	v_and_b32_e32 v6, 0xffff0000, v38
	;; [unrolled: 1-line block ×4, first 2 shown]
	v_pk_add_f32 v[2:3], v[2:3], v[8:9]
	v_pk_add_f32 v[4:5], v[4:5], v[6:7]
	v_add_f32_e32 v2, v2, v3
	v_add_f32_e32 v2, v2, v4
	v_add_f32_e32 v2, v2, v5
	v_add_f32_e32 v13, v13, v2
.LBB174_50:                             ;   in Loop: Header=BB174_51 Depth=1
	s_or_b64 exec, exec, s[6:7]
	v_add_co_u32_e32 v18, vcc, 8, v18
	v_add_u32_e32 v10, 2, v10
	v_addc_co_u32_e32 v19, vcc, 0, v19, vcc
	v_cmp_le_i32_e32 vcc, s16, v10
	v_add_u32_e32 v1, 64, v1
	s_or_b64 s[4:5], vcc, s[4:5]
	v_add_u32_e32 v11, 0x100, v11
	s_andn2_b64 exec, exec, s[4:5]
	s_cbranch_execz .LBB174_288
.LBB174_51:                             ; =>This Inner Loop Header: Depth=1
	v_sub_u32_e32 v3, 0, v1
	v_max_i32_e32 v3, v1, v3
	v_mul_hi_u32 v4, v3, s46
	v_mul_lo_u32 v5, v4, s27
	v_sub_u32_e32 v3, v3, v5
	v_add_u32_e32 v5, 1, v4
	v_cmp_le_u32_e32 vcc, s27, v3
	v_cndmask_b32_e32 v4, v4, v5, vcc
	v_subrev_u32_e32 v5, s27, v3
	v_cndmask_b32_e32 v3, v3, v5, vcc
	v_ashrrev_i32_e32 v2, 31, v1
	v_add_u32_e32 v5, 1, v4
	v_cmp_le_u32_e32 vcc, s27, v3
	v_xor_b32_e32 v2, s19, v2
	v_cndmask_b32_e32 v3, v4, v5, vcc
	v_xor_b32_e32 v3, v3, v2
	v_sub_u32_e32 v2, v3, v2
	v_add_u32_e32 v3, s47, v2
	v_sub_u32_e32 v5, 0, v3
	v_ashrrev_i32_e32 v4, 31, v3
	v_max_i32_e32 v3, v3, v5
	v_mul_hi_u32 v5, v3, v26
	v_mul_lo_u32 v5, v5, s17
	v_sub_u32_e32 v3, v3, v5
	v_subrev_u32_e32 v5, s17, v3
	v_cmp_le_u32_e32 vcc, s17, v3
	v_cndmask_b32_e32 v3, v3, v5, vcc
	v_subrev_u32_e32 v5, s17, v3
	v_cmp_le_u32_e32 vcc, s17, v3
	v_cndmask_b32_e32 v3, v3, v5, vcc
	v_xor_b32_e32 v3, v3, v4
	v_sub_u32_e32 v3, v3, v4
	v_cmp_eq_u32_e32 vcc, 0, v3
	v_cmp_lt_i32_e64 s[0:1], s9, v2
	s_or_b64 s[0:1], vcc, s[0:1]
	s_and_saveexec_b64 s[6:7], s[0:1]
	s_cbranch_execz .LBB174_50
; %bb.52:                               ;   in Loop: Header=BB174_51 Depth=1
	global_load_dword v36, v[18:19], off
	ds_read2_b64 v[6:9], v11 offset1:1
	ds_read2_b64 v[2:5], v11 offset0:2 offset1:3
                                        ; implicit-def: $vgpr46
	s_waitcnt lgkmcnt(1)
	v_and_b32_e32 v30, 0x7f800000, v6
	v_cmp_ne_u32_e32 vcc, s20, v30
	s_and_saveexec_b64 s[0:1], vcc
	s_xor_b64 s[0:1], exec, s[0:1]
; %bb.53:                               ;   in Loop: Header=BB174_51 Depth=1
	v_bfe_u32 v30, v6, 16, 1
	v_add3_u32 v46, v6, v30, s21
; %bb.54:                               ;   in Loop: Header=BB174_51 Depth=1
	s_andn2_saveexec_b64 s[0:1], s[0:1]
; %bb.55:                               ;   in Loop: Header=BB174_51 Depth=1
	v_or_b32_e32 v30, 0x10000, v6
	v_cmp_eq_u32_sdwa vcc, v6, v25 src0_sel:WORD_0 src1_sel:DWORD
	v_cndmask_b32_e32 v46, v30, v6, vcc
; %bb.56:                               ;   in Loop: Header=BB174_51 Depth=1
	s_or_b64 exec, exec, s[0:1]
	v_and_b32_e32 v6, 0x7f800000, v7
	v_cmp_ne_u32_e32 vcc, s20, v6
                                        ; implicit-def: $vgpr47
	s_and_saveexec_b64 s[0:1], vcc
	s_xor_b64 s[0:1], exec, s[0:1]
; %bb.57:                               ;   in Loop: Header=BB174_51 Depth=1
	v_bfe_u32 v6, v7, 16, 1
	v_add3_u32 v47, v7, v6, s21
; %bb.58:                               ;   in Loop: Header=BB174_51 Depth=1
	s_andn2_saveexec_b64 s[0:1], s[0:1]
; %bb.59:                               ;   in Loop: Header=BB174_51 Depth=1
	v_or_b32_e32 v6, 0x10000, v7
	v_cmp_eq_u32_sdwa vcc, v7, v25 src0_sel:WORD_0 src1_sel:DWORD
	v_cndmask_b32_e32 v47, v6, v7, vcc
; %bb.60:                               ;   in Loop: Header=BB174_51 Depth=1
	s_or_b64 exec, exec, s[0:1]
	v_and_b32_e32 v6, 0x7f800000, v8
	v_cmp_ne_u32_e32 vcc, s20, v6
                                        ; implicit-def: $vgpr30
	s_and_saveexec_b64 s[0:1], vcc
	s_xor_b64 s[0:1], exec, s[0:1]
; %bb.61:                               ;   in Loop: Header=BB174_51 Depth=1
	v_bfe_u32 v6, v8, 16, 1
	v_add3_u32 v30, v8, v6, s21
; %bb.62:                               ;   in Loop: Header=BB174_51 Depth=1
	s_andn2_saveexec_b64 s[0:1], s[0:1]
; %bb.63:                               ;   in Loop: Header=BB174_51 Depth=1
	v_or_b32_e32 v6, 0x10000, v8
	v_cmp_eq_u32_sdwa vcc, v8, v25 src0_sel:WORD_0 src1_sel:DWORD
	v_cndmask_b32_e32 v30, v6, v8, vcc
; %bb.64:                               ;   in Loop: Header=BB174_51 Depth=1
	s_or_b64 exec, exec, s[0:1]
	v_and_b32_e32 v6, 0x7f800000, v9
	v_cmp_ne_u32_e32 vcc, s20, v6
                                        ; implicit-def: $vgpr31
	s_and_saveexec_b64 s[0:1], vcc
	s_xor_b64 s[0:1], exec, s[0:1]
; %bb.65:                               ;   in Loop: Header=BB174_51 Depth=1
	v_bfe_u32 v6, v9, 16, 1
	v_add3_u32 v31, v9, v6, s21
                                        ; implicit-def: $vgpr6_vgpr7_vgpr8_vgpr9
; %bb.66:                               ;   in Loop: Header=BB174_51 Depth=1
	s_andn2_saveexec_b64 s[0:1], s[0:1]
; %bb.67:                               ;   in Loop: Header=BB174_51 Depth=1
	v_or_b32_e32 v6, 0x10000, v9
	v_cmp_eq_u32_sdwa vcc, v9, v25 src0_sel:WORD_0 src1_sel:DWORD
	v_cndmask_b32_e32 v31, v6, v9, vcc
; %bb.68:                               ;   in Loop: Header=BB174_51 Depth=1
	s_or_b64 exec, exec, s[0:1]
	s_waitcnt lgkmcnt(0)
	v_and_b32_e32 v6, 0x7f800000, v2
	v_cmp_ne_u32_e32 vcc, s20, v6
                                        ; implicit-def: $vgpr32
	s_and_saveexec_b64 s[0:1], vcc
	s_xor_b64 s[0:1], exec, s[0:1]
; %bb.69:                               ;   in Loop: Header=BB174_51 Depth=1
	v_bfe_u32 v6, v2, 16, 1
	v_add3_u32 v32, v2, v6, s21
; %bb.70:                               ;   in Loop: Header=BB174_51 Depth=1
	s_andn2_saveexec_b64 s[0:1], s[0:1]
; %bb.71:                               ;   in Loop: Header=BB174_51 Depth=1
	v_or_b32_e32 v6, 0x10000, v2
	v_cmp_eq_u32_sdwa vcc, v2, v25 src0_sel:WORD_0 src1_sel:DWORD
	v_cndmask_b32_e32 v32, v6, v2, vcc
; %bb.72:                               ;   in Loop: Header=BB174_51 Depth=1
	s_or_b64 exec, exec, s[0:1]
	v_and_b32_e32 v2, 0x7f800000, v3
	v_cmp_ne_u32_e32 vcc, s20, v2
                                        ; implicit-def: $vgpr33
	s_and_saveexec_b64 s[0:1], vcc
	s_xor_b64 s[0:1], exec, s[0:1]
; %bb.73:                               ;   in Loop: Header=BB174_51 Depth=1
	v_bfe_u32 v2, v3, 16, 1
	v_add3_u32 v33, v3, v2, s21
; %bb.74:                               ;   in Loop: Header=BB174_51 Depth=1
	s_andn2_saveexec_b64 s[0:1], s[0:1]
; %bb.75:                               ;   in Loop: Header=BB174_51 Depth=1
	v_or_b32_e32 v2, 0x10000, v3
	v_cmp_eq_u32_sdwa vcc, v3, v25 src0_sel:WORD_0 src1_sel:DWORD
	v_cndmask_b32_e32 v33, v2, v3, vcc
; %bb.76:                               ;   in Loop: Header=BB174_51 Depth=1
	s_or_b64 exec, exec, s[0:1]
	v_and_b32_e32 v2, 0x7f800000, v4
	v_cmp_ne_u32_e32 vcc, s20, v2
                                        ; implicit-def: $vgpr34
	s_and_saveexec_b64 s[0:1], vcc
	s_xor_b64 s[0:1], exec, s[0:1]
; %bb.77:                               ;   in Loop: Header=BB174_51 Depth=1
	v_bfe_u32 v2, v4, 16, 1
	v_add3_u32 v34, v4, v2, s21
; %bb.78:                               ;   in Loop: Header=BB174_51 Depth=1
	s_andn2_saveexec_b64 s[0:1], s[0:1]
; %bb.79:                               ;   in Loop: Header=BB174_51 Depth=1
	v_or_b32_e32 v2, 0x10000, v4
	v_cmp_eq_u32_sdwa vcc, v4, v25 src0_sel:WORD_0 src1_sel:DWORD
	v_cndmask_b32_e32 v34, v2, v4, vcc
; %bb.80:                               ;   in Loop: Header=BB174_51 Depth=1
	s_or_b64 exec, exec, s[0:1]
	v_and_b32_e32 v2, 0x7f800000, v5
	v_cmp_ne_u32_e32 vcc, s20, v2
                                        ; implicit-def: $vgpr35
	s_and_saveexec_b64 s[0:1], vcc
	s_xor_b64 s[0:1], exec, s[0:1]
; %bb.81:                               ;   in Loop: Header=BB174_51 Depth=1
	v_bfe_u32 v2, v5, 16, 1
	v_add3_u32 v35, v5, v2, s21
                                        ; implicit-def: $vgpr2_vgpr3_vgpr4_vgpr5
; %bb.82:                               ;   in Loop: Header=BB174_51 Depth=1
	s_andn2_saveexec_b64 s[0:1], s[0:1]
; %bb.83:                               ;   in Loop: Header=BB174_51 Depth=1
	v_or_b32_e32 v2, 0x10000, v5
	v_cmp_eq_u32_sdwa vcc, v5, v25 src0_sel:WORD_0 src1_sel:DWORD
	v_cndmask_b32_e32 v35, v2, v5, vcc
; %bb.84:                               ;   in Loop: Header=BB174_51 Depth=1
	s_or_b64 exec, exec, s[0:1]
	s_waitcnt vmcnt(0)
	v_mad_i64_i32 v[2:3], s[0:1], v36, s13, 0
	v_lshlrev_b64 v[2:3], 1, v[2:3]
	v_mov_b32_e32 v4, s15
	v_add_co_u32_e32 v44, vcc, s14, v2
	v_addc_co_u32_e32 v45, vcc, v4, v3, vcc
	v_add_co_u32_e32 v6, vcc, v44, v27
	v_addc_co_u32_e32 v7, vcc, 0, v45, vcc
	global_load_dwordx4 v[2:5], v[6:7], off
	v_add_u32_e32 v36, v24, v1
	v_cmp_eq_u32_e32 vcc, s18, v10
	v_add_u32_e32 v43, 1, v36
	v_add_u32_e32 v42, 2, v36
	;; [unrolled: 1-line block ×7, first 2 shown]
	s_waitcnt vmcnt(0)
	v_lshrrev_b32_e32 v9, 16, v2
	v_lshrrev_b32_e32 v50, 16, v3
	;; [unrolled: 1-line block ×4, first 2 shown]
	s_and_saveexec_b64 s[10:11], vcc
	s_cbranch_execz .LBB174_86
; %bb.85:                               ;   in Loop: Header=BB174_51 Depth=1
	v_cmp_gt_i32_e64 s[0:1], s33, v36
	v_cndmask_b32_e64 v2, 0, v2, s[0:1]
	v_cmp_gt_i32_e64 s[0:1], s33, v43
	v_cndmask_b32_e64 v9, 0, v9, s[0:1]
	;; [unrolled: 2-line block ×8, first 2 shown]
.LBB174_86:                             ;   in Loop: Header=BB174_51 Depth=1
	s_or_b64 exec, exec, s[10:11]
	v_and_b32_e32 v46, 0xffff0000, v46
	v_lshlrev_b32_e32 v2, 16, v2
	v_mul_f32_e32 v2, v46, v2
	v_and_b32_e32 v8, 0x7f800000, v2
	v_cmp_ne_u32_e64 s[0:1], s20, v8
                                        ; implicit-def: $vgpr8
	s_and_saveexec_b64 s[10:11], s[0:1]
	s_xor_b64 s[0:1], exec, s[10:11]
; %bb.87:                               ;   in Loop: Header=BB174_51 Depth=1
	v_bfe_u32 v8, v2, 16, 1
	v_add3_u32 v8, v2, v8, s21
                                        ; implicit-def: $vgpr2
; %bb.88:                               ;   in Loop: Header=BB174_51 Depth=1
	s_andn2_saveexec_b64 s[10:11], s[0:1]
; %bb.89:                               ;   in Loop: Header=BB174_51 Depth=1
	v_or_b32_e32 v8, 0x10000, v2
	v_cmp_eq_u32_sdwa s[0:1], v2, v25 src0_sel:WORD_0 src1_sel:DWORD
	v_cndmask_b32_e64 v8, v8, v2, s[0:1]
; %bb.90:                               ;   in Loop: Header=BB174_51 Depth=1
	s_or_b64 exec, exec, s[10:11]
	v_and_b32_e32 v47, 0xffff0000, v47
	v_lshlrev_b32_e32 v2, 16, v9
	v_mul_f32_e32 v2, v47, v2
	v_and_b32_e32 v9, 0x7f800000, v2
	v_cmp_ne_u32_e64 s[0:1], s20, v9
                                        ; implicit-def: $vgpr9
	s_and_saveexec_b64 s[10:11], s[0:1]
	s_xor_b64 s[0:1], exec, s[10:11]
; %bb.91:                               ;   in Loop: Header=BB174_51 Depth=1
	v_bfe_u32 v9, v2, 16, 1
	v_add3_u32 v9, v2, v9, s21
                                        ; implicit-def: $vgpr2
; %bb.92:                               ;   in Loop: Header=BB174_51 Depth=1
	s_andn2_saveexec_b64 s[10:11], s[0:1]
; %bb.93:                               ;   in Loop: Header=BB174_51 Depth=1
	v_or_b32_e32 v9, 0x10000, v2
	v_cmp_eq_u32_sdwa s[0:1], v2, v25 src0_sel:WORD_0 src1_sel:DWORD
	v_cndmask_b32_e64 v9, v9, v2, s[0:1]
; %bb.94:                               ;   in Loop: Header=BB174_51 Depth=1
	s_or_b64 exec, exec, s[10:11]
	v_and_b32_e32 v48, 0xffff0000, v30
	v_lshlrev_b32_e32 v2, 16, v3
	v_mul_f32_e32 v2, v48, v2
	v_and_b32_e32 v3, 0x7f800000, v2
	v_cmp_ne_u32_e64 s[0:1], s20, v3
                                        ; implicit-def: $vgpr30
	s_and_saveexec_b64 s[10:11], s[0:1]
	s_xor_b64 s[0:1], exec, s[10:11]
; %bb.95:                               ;   in Loop: Header=BB174_51 Depth=1
	v_bfe_u32 v3, v2, 16, 1
	v_add3_u32 v30, v2, v3, s21
                                        ; implicit-def: $vgpr2
; %bb.96:                               ;   in Loop: Header=BB174_51 Depth=1
	s_andn2_saveexec_b64 s[10:11], s[0:1]
; %bb.97:                               ;   in Loop: Header=BB174_51 Depth=1
	v_or_b32_e32 v3, 0x10000, v2
	v_cmp_eq_u32_sdwa s[0:1], v2, v25 src0_sel:WORD_0 src1_sel:DWORD
	v_cndmask_b32_e64 v30, v3, v2, s[0:1]
; %bb.98:                               ;   in Loop: Header=BB174_51 Depth=1
	s_or_b64 exec, exec, s[10:11]
	v_and_b32_e32 v49, 0xffff0000, v31
	v_lshlrev_b32_e32 v2, 16, v50
	v_mul_f32_e32 v2, v49, v2
	v_and_b32_e32 v3, 0x7f800000, v2
	v_cmp_ne_u32_e64 s[0:1], s20, v3
                                        ; implicit-def: $vgpr31
	s_and_saveexec_b64 s[10:11], s[0:1]
	s_xor_b64 s[0:1], exec, s[10:11]
; %bb.99:                               ;   in Loop: Header=BB174_51 Depth=1
	v_bfe_u32 v3, v2, 16, 1
	v_add3_u32 v31, v2, v3, s21
                                        ; implicit-def: $vgpr2
; %bb.100:                              ;   in Loop: Header=BB174_51 Depth=1
	s_andn2_saveexec_b64 s[10:11], s[0:1]
; %bb.101:                              ;   in Loop: Header=BB174_51 Depth=1
	v_or_b32_e32 v3, 0x10000, v2
	v_cmp_eq_u32_sdwa s[0:1], v2, v25 src0_sel:WORD_0 src1_sel:DWORD
	v_cndmask_b32_e64 v31, v3, v2, s[0:1]
; %bb.102:                              ;   in Loop: Header=BB174_51 Depth=1
	s_or_b64 exec, exec, s[10:11]
	v_and_b32_e32 v50, 0xffff0000, v32
	v_lshlrev_b32_e32 v2, 16, v4
	v_mul_f32_e32 v2, v50, v2
	v_and_b32_e32 v3, 0x7f800000, v2
	v_cmp_ne_u32_e64 s[0:1], s20, v3
                                        ; implicit-def: $vgpr32
	s_and_saveexec_b64 s[10:11], s[0:1]
	s_xor_b64 s[0:1], exec, s[10:11]
; %bb.103:                              ;   in Loop: Header=BB174_51 Depth=1
	v_bfe_u32 v3, v2, 16, 1
	v_add3_u32 v32, v2, v3, s21
                                        ; implicit-def: $vgpr2
; %bb.104:                              ;   in Loop: Header=BB174_51 Depth=1
	s_andn2_saveexec_b64 s[10:11], s[0:1]
; %bb.105:                              ;   in Loop: Header=BB174_51 Depth=1
	v_or_b32_e32 v3, 0x10000, v2
	v_cmp_eq_u32_sdwa s[0:1], v2, v25 src0_sel:WORD_0 src1_sel:DWORD
	v_cndmask_b32_e64 v32, v3, v2, s[0:1]
; %bb.106:                              ;   in Loop: Header=BB174_51 Depth=1
	s_or_b64 exec, exec, s[10:11]
	v_and_b32_e32 v51, 0xffff0000, v33
	v_lshlrev_b32_e32 v2, 16, v52
	v_mul_f32_e32 v2, v51, v2
	v_and_b32_e32 v3, 0x7f800000, v2
	v_cmp_ne_u32_e64 s[0:1], s20, v3
                                        ; implicit-def: $vgpr33
	s_and_saveexec_b64 s[10:11], s[0:1]
	s_xor_b64 s[0:1], exec, s[10:11]
; %bb.107:                              ;   in Loop: Header=BB174_51 Depth=1
	v_bfe_u32 v3, v2, 16, 1
	v_add3_u32 v33, v2, v3, s21
                                        ; implicit-def: $vgpr2
; %bb.108:                              ;   in Loop: Header=BB174_51 Depth=1
	s_andn2_saveexec_b64 s[10:11], s[0:1]
; %bb.109:                              ;   in Loop: Header=BB174_51 Depth=1
	v_or_b32_e32 v3, 0x10000, v2
	v_cmp_eq_u32_sdwa s[0:1], v2, v25 src0_sel:WORD_0 src1_sel:DWORD
	v_cndmask_b32_e64 v33, v3, v2, s[0:1]
; %bb.110:                              ;   in Loop: Header=BB174_51 Depth=1
	s_or_b64 exec, exec, s[10:11]
	v_and_b32_e32 v52, 0xffff0000, v34
	v_lshlrev_b32_e32 v2, 16, v5
	v_mul_f32_e32 v2, v52, v2
	v_and_b32_e32 v3, 0x7f800000, v2
	v_cmp_ne_u32_e64 s[0:1], s20, v3
                                        ; implicit-def: $vgpr34
	s_and_saveexec_b64 s[10:11], s[0:1]
	s_xor_b64 s[0:1], exec, s[10:11]
; %bb.111:                              ;   in Loop: Header=BB174_51 Depth=1
	v_bfe_u32 v3, v2, 16, 1
	v_add3_u32 v34, v2, v3, s21
                                        ; implicit-def: $vgpr2
; %bb.112:                              ;   in Loop: Header=BB174_51 Depth=1
	s_andn2_saveexec_b64 s[10:11], s[0:1]
; %bb.113:                              ;   in Loop: Header=BB174_51 Depth=1
	v_or_b32_e32 v3, 0x10000, v2
	v_cmp_eq_u32_sdwa s[0:1], v2, v25 src0_sel:WORD_0 src1_sel:DWORD
	v_cndmask_b32_e64 v34, v3, v2, s[0:1]
; %bb.114:                              ;   in Loop: Header=BB174_51 Depth=1
	s_or_b64 exec, exec, s[10:11]
	v_and_b32_e32 v53, 0xffff0000, v35
	v_lshlrev_b32_e32 v2, 16, v54
	v_mul_f32_e32 v2, v53, v2
	v_and_b32_e32 v3, 0x7f800000, v2
	v_cmp_ne_u32_e64 s[0:1], s20, v3
                                        ; implicit-def: $vgpr35
	s_and_saveexec_b64 s[10:11], s[0:1]
	s_xor_b64 s[0:1], exec, s[10:11]
; %bb.115:                              ;   in Loop: Header=BB174_51 Depth=1
	v_bfe_u32 v3, v2, 16, 1
	v_add3_u32 v35, v2, v3, s21
                                        ; implicit-def: $vgpr2
; %bb.116:                              ;   in Loop: Header=BB174_51 Depth=1
	s_andn2_saveexec_b64 s[10:11], s[0:1]
; %bb.117:                              ;   in Loop: Header=BB174_51 Depth=1
	v_or_b32_e32 v3, 0x10000, v2
	v_cmp_eq_u32_sdwa s[0:1], v2, v25 src0_sel:WORD_0 src1_sel:DWORD
	v_cndmask_b32_e64 v35, v3, v2, s[0:1]
; %bb.118:                              ;   in Loop: Header=BB174_51 Depth=1
	s_or_b64 exec, exec, s[10:11]
	global_load_dwordx4 v[2:5], v[6:7], off offset:1024
	s_waitcnt vmcnt(0)
	v_lshrrev_b32_e32 v55, 16, v2
	v_lshrrev_b32_e32 v57, 16, v3
	;; [unrolled: 1-line block ×4, first 2 shown]
	s_and_saveexec_b64 s[10:11], vcc
	s_cbranch_execz .LBB174_120
; %bb.119:                              ;   in Loop: Header=BB174_51 Depth=1
	v_cmp_gt_i32_e64 s[0:1], s33, v36
	v_cndmask_b32_e64 v2, 0, v2, s[0:1]
	v_cmp_gt_i32_e64 s[0:1], s33, v43
	v_cndmask_b32_e64 v55, 0, v55, s[0:1]
	;; [unrolled: 2-line block ×8, first 2 shown]
.LBB174_120:                            ;   in Loop: Header=BB174_51 Depth=1
	s_or_b64 exec, exec, s[10:11]
	v_lshlrev_b32_e32 v2, 16, v2
	v_mul_f32_e32 v2, v46, v2
	v_and_b32_e32 v54, 0x7f800000, v2
	v_cmp_ne_u32_e64 s[0:1], s20, v54
                                        ; implicit-def: $vgpr54
	s_and_saveexec_b64 s[10:11], s[0:1]
	s_xor_b64 s[0:1], exec, s[10:11]
; %bb.121:                              ;   in Loop: Header=BB174_51 Depth=1
	v_bfe_u32 v54, v2, 16, 1
	v_add3_u32 v54, v2, v54, s21
                                        ; implicit-def: $vgpr2
; %bb.122:                              ;   in Loop: Header=BB174_51 Depth=1
	s_andn2_saveexec_b64 s[10:11], s[0:1]
; %bb.123:                              ;   in Loop: Header=BB174_51 Depth=1
	v_or_b32_e32 v54, 0x10000, v2
	v_cmp_eq_u32_sdwa s[0:1], v2, v25 src0_sel:WORD_0 src1_sel:DWORD
	v_cndmask_b32_e64 v54, v54, v2, s[0:1]
; %bb.124:                              ;   in Loop: Header=BB174_51 Depth=1
	s_or_b64 exec, exec, s[10:11]
	v_lshlrev_b32_e32 v2, 16, v55
	v_mul_f32_e32 v2, v47, v2
	v_and_b32_e32 v55, 0x7f800000, v2
	v_cmp_ne_u32_e64 s[0:1], s20, v55
                                        ; implicit-def: $vgpr55
	s_and_saveexec_b64 s[10:11], s[0:1]
	s_xor_b64 s[0:1], exec, s[10:11]
; %bb.125:                              ;   in Loop: Header=BB174_51 Depth=1
	v_bfe_u32 v55, v2, 16, 1
	v_add3_u32 v55, v2, v55, s21
                                        ; implicit-def: $vgpr2
; %bb.126:                              ;   in Loop: Header=BB174_51 Depth=1
	s_andn2_saveexec_b64 s[10:11], s[0:1]
; %bb.127:                              ;   in Loop: Header=BB174_51 Depth=1
	v_or_b32_e32 v55, 0x10000, v2
	v_cmp_eq_u32_sdwa s[0:1], v2, v25 src0_sel:WORD_0 src1_sel:DWORD
	v_cndmask_b32_e64 v55, v55, v2, s[0:1]
; %bb.128:                              ;   in Loop: Header=BB174_51 Depth=1
	s_or_b64 exec, exec, s[10:11]
	v_lshlrev_b32_e32 v2, 16, v3
	v_mul_f32_e32 v2, v48, v2
	v_and_b32_e32 v3, 0x7f800000, v2
	v_cmp_ne_u32_e64 s[0:1], s20, v3
                                        ; implicit-def: $vgpr56
	s_and_saveexec_b64 s[10:11], s[0:1]
	s_xor_b64 s[0:1], exec, s[10:11]
; %bb.129:                              ;   in Loop: Header=BB174_51 Depth=1
	v_bfe_u32 v3, v2, 16, 1
	v_add3_u32 v56, v2, v3, s21
                                        ; implicit-def: $vgpr2
; %bb.130:                              ;   in Loop: Header=BB174_51 Depth=1
	s_andn2_saveexec_b64 s[10:11], s[0:1]
; %bb.131:                              ;   in Loop: Header=BB174_51 Depth=1
	v_or_b32_e32 v3, 0x10000, v2
	v_cmp_eq_u32_sdwa s[0:1], v2, v25 src0_sel:WORD_0 src1_sel:DWORD
	v_cndmask_b32_e64 v56, v3, v2, s[0:1]
; %bb.132:                              ;   in Loop: Header=BB174_51 Depth=1
	s_or_b64 exec, exec, s[10:11]
	v_lshlrev_b32_e32 v2, 16, v57
	v_mul_f32_e32 v2, v49, v2
	v_and_b32_e32 v3, 0x7f800000, v2
	v_cmp_ne_u32_e64 s[0:1], s20, v3
                                        ; implicit-def: $vgpr57
	s_and_saveexec_b64 s[10:11], s[0:1]
	s_xor_b64 s[0:1], exec, s[10:11]
; %bb.133:                              ;   in Loop: Header=BB174_51 Depth=1
	v_bfe_u32 v3, v2, 16, 1
	v_add3_u32 v57, v2, v3, s21
                                        ; implicit-def: $vgpr2
; %bb.134:                              ;   in Loop: Header=BB174_51 Depth=1
	s_andn2_saveexec_b64 s[10:11], s[0:1]
; %bb.135:                              ;   in Loop: Header=BB174_51 Depth=1
	v_or_b32_e32 v3, 0x10000, v2
	v_cmp_eq_u32_sdwa s[0:1], v2, v25 src0_sel:WORD_0 src1_sel:DWORD
	v_cndmask_b32_e64 v57, v3, v2, s[0:1]
; %bb.136:                              ;   in Loop: Header=BB174_51 Depth=1
	s_or_b64 exec, exec, s[10:11]
	v_lshlrev_b32_e32 v2, 16, v4
	v_mul_f32_e32 v2, v50, v2
	v_and_b32_e32 v3, 0x7f800000, v2
	v_cmp_ne_u32_e64 s[0:1], s20, v3
                                        ; implicit-def: $vgpr58
	s_and_saveexec_b64 s[10:11], s[0:1]
	s_xor_b64 s[0:1], exec, s[10:11]
; %bb.137:                              ;   in Loop: Header=BB174_51 Depth=1
	v_bfe_u32 v3, v2, 16, 1
	v_add3_u32 v58, v2, v3, s21
                                        ; implicit-def: $vgpr2
; %bb.138:                              ;   in Loop: Header=BB174_51 Depth=1
	s_andn2_saveexec_b64 s[10:11], s[0:1]
; %bb.139:                              ;   in Loop: Header=BB174_51 Depth=1
	v_or_b32_e32 v3, 0x10000, v2
	v_cmp_eq_u32_sdwa s[0:1], v2, v25 src0_sel:WORD_0 src1_sel:DWORD
	v_cndmask_b32_e64 v58, v3, v2, s[0:1]
; %bb.140:                              ;   in Loop: Header=BB174_51 Depth=1
	s_or_b64 exec, exec, s[10:11]
	v_lshlrev_b32_e32 v2, 16, v59
	v_mul_f32_e32 v2, v51, v2
	v_and_b32_e32 v3, 0x7f800000, v2
	v_cmp_ne_u32_e64 s[0:1], s20, v3
                                        ; implicit-def: $vgpr59
	s_and_saveexec_b64 s[10:11], s[0:1]
	s_xor_b64 s[0:1], exec, s[10:11]
; %bb.141:                              ;   in Loop: Header=BB174_51 Depth=1
	v_bfe_u32 v3, v2, 16, 1
	v_add3_u32 v59, v2, v3, s21
                                        ; implicit-def: $vgpr2
; %bb.142:                              ;   in Loop: Header=BB174_51 Depth=1
	s_andn2_saveexec_b64 s[10:11], s[0:1]
; %bb.143:                              ;   in Loop: Header=BB174_51 Depth=1
	v_or_b32_e32 v3, 0x10000, v2
	v_cmp_eq_u32_sdwa s[0:1], v2, v25 src0_sel:WORD_0 src1_sel:DWORD
	v_cndmask_b32_e64 v59, v3, v2, s[0:1]
; %bb.144:                              ;   in Loop: Header=BB174_51 Depth=1
	s_or_b64 exec, exec, s[10:11]
	v_lshlrev_b32_e32 v2, 16, v5
	v_mul_f32_e32 v2, v52, v2
	v_and_b32_e32 v3, 0x7f800000, v2
	v_cmp_ne_u32_e64 s[0:1], s20, v3
                                        ; implicit-def: $vgpr60
	s_and_saveexec_b64 s[10:11], s[0:1]
	s_xor_b64 s[0:1], exec, s[10:11]
; %bb.145:                              ;   in Loop: Header=BB174_51 Depth=1
	v_bfe_u32 v3, v2, 16, 1
	v_add3_u32 v60, v2, v3, s21
                                        ; implicit-def: $vgpr2
; %bb.146:                              ;   in Loop: Header=BB174_51 Depth=1
	s_andn2_saveexec_b64 s[10:11], s[0:1]
; %bb.147:                              ;   in Loop: Header=BB174_51 Depth=1
	v_or_b32_e32 v3, 0x10000, v2
	v_cmp_eq_u32_sdwa s[0:1], v2, v25 src0_sel:WORD_0 src1_sel:DWORD
	v_cndmask_b32_e64 v60, v3, v2, s[0:1]
; %bb.148:                              ;   in Loop: Header=BB174_51 Depth=1
	s_or_b64 exec, exec, s[10:11]
	v_lshlrev_b32_e32 v2, 16, v61
	v_mul_f32_e32 v2, v53, v2
	v_and_b32_e32 v3, 0x7f800000, v2
	v_cmp_ne_u32_e64 s[0:1], s20, v3
                                        ; implicit-def: $vgpr61
	s_and_saveexec_b64 s[10:11], s[0:1]
	s_xor_b64 s[0:1], exec, s[10:11]
; %bb.149:                              ;   in Loop: Header=BB174_51 Depth=1
	v_bfe_u32 v3, v2, 16, 1
	v_add3_u32 v61, v2, v3, s21
                                        ; implicit-def: $vgpr2
; %bb.150:                              ;   in Loop: Header=BB174_51 Depth=1
	s_andn2_saveexec_b64 s[10:11], s[0:1]
; %bb.151:                              ;   in Loop: Header=BB174_51 Depth=1
	v_or_b32_e32 v3, 0x10000, v2
	v_cmp_eq_u32_sdwa s[0:1], v2, v25 src0_sel:WORD_0 src1_sel:DWORD
	v_cndmask_b32_e64 v61, v3, v2, s[0:1]
; %bb.152:                              ;   in Loop: Header=BB174_51 Depth=1
	s_or_b64 exec, exec, s[10:11]
	global_load_dwordx4 v[2:5], v[6:7], off offset:2048
	s_waitcnt vmcnt(0)
	v_lshrrev_b32_e32 v63, 16, v2
	v_lshrrev_b32_e32 v65, 16, v3
	;; [unrolled: 1-line block ×4, first 2 shown]
	s_and_saveexec_b64 s[10:11], vcc
	s_cbranch_execz .LBB174_154
; %bb.153:                              ;   in Loop: Header=BB174_51 Depth=1
	v_cmp_gt_i32_e64 s[0:1], s33, v36
	v_cndmask_b32_e64 v2, 0, v2, s[0:1]
	v_cmp_gt_i32_e64 s[0:1], s33, v43
	v_cndmask_b32_e64 v63, 0, v63, s[0:1]
	;; [unrolled: 2-line block ×8, first 2 shown]
.LBB174_154:                            ;   in Loop: Header=BB174_51 Depth=1
	s_or_b64 exec, exec, s[10:11]
	v_lshlrev_b32_e32 v2, 16, v2
	v_mul_f32_e32 v2, v46, v2
	v_and_b32_e32 v62, 0x7f800000, v2
	v_cmp_ne_u32_e64 s[0:1], s20, v62
                                        ; implicit-def: $vgpr62
	s_and_saveexec_b64 s[10:11], s[0:1]
	s_xor_b64 s[0:1], exec, s[10:11]
; %bb.155:                              ;   in Loop: Header=BB174_51 Depth=1
	v_bfe_u32 v62, v2, 16, 1
	v_add3_u32 v62, v2, v62, s21
                                        ; implicit-def: $vgpr2
; %bb.156:                              ;   in Loop: Header=BB174_51 Depth=1
	s_andn2_saveexec_b64 s[10:11], s[0:1]
; %bb.157:                              ;   in Loop: Header=BB174_51 Depth=1
	v_or_b32_e32 v62, 0x10000, v2
	v_cmp_eq_u32_sdwa s[0:1], v2, v25 src0_sel:WORD_0 src1_sel:DWORD
	v_cndmask_b32_e64 v62, v62, v2, s[0:1]
; %bb.158:                              ;   in Loop: Header=BB174_51 Depth=1
	s_or_b64 exec, exec, s[10:11]
	v_lshlrev_b32_e32 v2, 16, v63
	v_mul_f32_e32 v2, v47, v2
	v_and_b32_e32 v63, 0x7f800000, v2
	v_cmp_ne_u32_e64 s[0:1], s20, v63
                                        ; implicit-def: $vgpr63
	s_and_saveexec_b64 s[10:11], s[0:1]
	s_xor_b64 s[0:1], exec, s[10:11]
; %bb.159:                              ;   in Loop: Header=BB174_51 Depth=1
	v_bfe_u32 v63, v2, 16, 1
	v_add3_u32 v63, v2, v63, s21
                                        ; implicit-def: $vgpr2
; %bb.160:                              ;   in Loop: Header=BB174_51 Depth=1
	s_andn2_saveexec_b64 s[10:11], s[0:1]
; %bb.161:                              ;   in Loop: Header=BB174_51 Depth=1
	v_or_b32_e32 v63, 0x10000, v2
	v_cmp_eq_u32_sdwa s[0:1], v2, v25 src0_sel:WORD_0 src1_sel:DWORD
	v_cndmask_b32_e64 v63, v63, v2, s[0:1]
; %bb.162:                              ;   in Loop: Header=BB174_51 Depth=1
	s_or_b64 exec, exec, s[10:11]
	v_lshlrev_b32_e32 v2, 16, v3
	v_mul_f32_e32 v2, v48, v2
	v_and_b32_e32 v3, 0x7f800000, v2
	v_cmp_ne_u32_e64 s[0:1], s20, v3
                                        ; implicit-def: $vgpr64
	s_and_saveexec_b64 s[10:11], s[0:1]
	s_xor_b64 s[0:1], exec, s[10:11]
; %bb.163:                              ;   in Loop: Header=BB174_51 Depth=1
	v_bfe_u32 v3, v2, 16, 1
	v_add3_u32 v64, v2, v3, s21
                                        ; implicit-def: $vgpr2
; %bb.164:                              ;   in Loop: Header=BB174_51 Depth=1
	s_andn2_saveexec_b64 s[10:11], s[0:1]
; %bb.165:                              ;   in Loop: Header=BB174_51 Depth=1
	v_or_b32_e32 v3, 0x10000, v2
	v_cmp_eq_u32_sdwa s[0:1], v2, v25 src0_sel:WORD_0 src1_sel:DWORD
	v_cndmask_b32_e64 v64, v3, v2, s[0:1]
; %bb.166:                              ;   in Loop: Header=BB174_51 Depth=1
	s_or_b64 exec, exec, s[10:11]
	v_lshlrev_b32_e32 v2, 16, v65
	v_mul_f32_e32 v2, v49, v2
	v_and_b32_e32 v3, 0x7f800000, v2
	v_cmp_ne_u32_e64 s[0:1], s20, v3
                                        ; implicit-def: $vgpr65
	s_and_saveexec_b64 s[10:11], s[0:1]
	s_xor_b64 s[0:1], exec, s[10:11]
; %bb.167:                              ;   in Loop: Header=BB174_51 Depth=1
	v_bfe_u32 v3, v2, 16, 1
	v_add3_u32 v65, v2, v3, s21
                                        ; implicit-def: $vgpr2
; %bb.168:                              ;   in Loop: Header=BB174_51 Depth=1
	s_andn2_saveexec_b64 s[10:11], s[0:1]
; %bb.169:                              ;   in Loop: Header=BB174_51 Depth=1
	v_or_b32_e32 v3, 0x10000, v2
	v_cmp_eq_u32_sdwa s[0:1], v2, v25 src0_sel:WORD_0 src1_sel:DWORD
	v_cndmask_b32_e64 v65, v3, v2, s[0:1]
; %bb.170:                              ;   in Loop: Header=BB174_51 Depth=1
	s_or_b64 exec, exec, s[10:11]
	v_lshlrev_b32_e32 v2, 16, v4
	v_mul_f32_e32 v2, v50, v2
	v_and_b32_e32 v3, 0x7f800000, v2
	v_cmp_ne_u32_e64 s[0:1], s20, v3
                                        ; implicit-def: $vgpr66
	s_and_saveexec_b64 s[10:11], s[0:1]
	s_xor_b64 s[0:1], exec, s[10:11]
; %bb.171:                              ;   in Loop: Header=BB174_51 Depth=1
	v_bfe_u32 v3, v2, 16, 1
	v_add3_u32 v66, v2, v3, s21
                                        ; implicit-def: $vgpr2
; %bb.172:                              ;   in Loop: Header=BB174_51 Depth=1
	s_andn2_saveexec_b64 s[10:11], s[0:1]
; %bb.173:                              ;   in Loop: Header=BB174_51 Depth=1
	v_or_b32_e32 v3, 0x10000, v2
	v_cmp_eq_u32_sdwa s[0:1], v2, v25 src0_sel:WORD_0 src1_sel:DWORD
	v_cndmask_b32_e64 v66, v3, v2, s[0:1]
; %bb.174:                              ;   in Loop: Header=BB174_51 Depth=1
	s_or_b64 exec, exec, s[10:11]
	v_lshlrev_b32_e32 v2, 16, v67
	v_mul_f32_e32 v2, v51, v2
	v_and_b32_e32 v3, 0x7f800000, v2
	v_cmp_ne_u32_e64 s[0:1], s20, v3
                                        ; implicit-def: $vgpr67
	s_and_saveexec_b64 s[10:11], s[0:1]
	s_xor_b64 s[0:1], exec, s[10:11]
; %bb.175:                              ;   in Loop: Header=BB174_51 Depth=1
	v_bfe_u32 v3, v2, 16, 1
	v_add3_u32 v67, v2, v3, s21
                                        ; implicit-def: $vgpr2
; %bb.176:                              ;   in Loop: Header=BB174_51 Depth=1
	s_andn2_saveexec_b64 s[10:11], s[0:1]
; %bb.177:                              ;   in Loop: Header=BB174_51 Depth=1
	v_or_b32_e32 v3, 0x10000, v2
	v_cmp_eq_u32_sdwa s[0:1], v2, v25 src0_sel:WORD_0 src1_sel:DWORD
	v_cndmask_b32_e64 v67, v3, v2, s[0:1]
; %bb.178:                              ;   in Loop: Header=BB174_51 Depth=1
	s_or_b64 exec, exec, s[10:11]
	v_lshlrev_b32_e32 v2, 16, v5
	v_mul_f32_e32 v2, v52, v2
	v_and_b32_e32 v3, 0x7f800000, v2
	v_cmp_ne_u32_e64 s[0:1], s20, v3
                                        ; implicit-def: $vgpr68
	s_and_saveexec_b64 s[10:11], s[0:1]
	s_xor_b64 s[0:1], exec, s[10:11]
; %bb.179:                              ;   in Loop: Header=BB174_51 Depth=1
	v_bfe_u32 v3, v2, 16, 1
	v_add3_u32 v68, v2, v3, s21
                                        ; implicit-def: $vgpr2
; %bb.180:                              ;   in Loop: Header=BB174_51 Depth=1
	s_andn2_saveexec_b64 s[10:11], s[0:1]
; %bb.181:                              ;   in Loop: Header=BB174_51 Depth=1
	v_or_b32_e32 v3, 0x10000, v2
	v_cmp_eq_u32_sdwa s[0:1], v2, v25 src0_sel:WORD_0 src1_sel:DWORD
	v_cndmask_b32_e64 v68, v3, v2, s[0:1]
; %bb.182:                              ;   in Loop: Header=BB174_51 Depth=1
	s_or_b64 exec, exec, s[10:11]
	v_lshlrev_b32_e32 v2, 16, v69
	v_mul_f32_e32 v2, v53, v2
	v_and_b32_e32 v3, 0x7f800000, v2
	v_cmp_ne_u32_e64 s[0:1], s20, v3
                                        ; implicit-def: $vgpr69
	s_and_saveexec_b64 s[10:11], s[0:1]
	s_xor_b64 s[0:1], exec, s[10:11]
; %bb.183:                              ;   in Loop: Header=BB174_51 Depth=1
	v_bfe_u32 v3, v2, 16, 1
	v_add3_u32 v69, v2, v3, s21
                                        ; implicit-def: $vgpr2
; %bb.184:                              ;   in Loop: Header=BB174_51 Depth=1
	s_andn2_saveexec_b64 s[10:11], s[0:1]
; %bb.185:                              ;   in Loop: Header=BB174_51 Depth=1
	v_or_b32_e32 v3, 0x10000, v2
	v_cmp_eq_u32_sdwa s[0:1], v2, v25 src0_sel:WORD_0 src1_sel:DWORD
	v_cndmask_b32_e64 v69, v3, v2, s[0:1]
; %bb.186:                              ;   in Loop: Header=BB174_51 Depth=1
	s_or_b64 exec, exec, s[10:11]
	global_load_dwordx4 v[2:5], v[6:7], off offset:3072
	s_waitcnt vmcnt(0)
	v_lshrrev_b32_e32 v7, 16, v2
	v_lshrrev_b32_e32 v71, 16, v3
	;; [unrolled: 1-line block ×4, first 2 shown]
	s_and_saveexec_b64 s[10:11], vcc
	s_cbranch_execz .LBB174_188
; %bb.187:                              ;   in Loop: Header=BB174_51 Depth=1
	v_cmp_gt_i32_e64 s[0:1], s33, v36
	v_cndmask_b32_e64 v2, 0, v2, s[0:1]
	v_cmp_gt_i32_e64 s[0:1], s33, v43
	v_cndmask_b32_e64 v7, 0, v7, s[0:1]
	;; [unrolled: 2-line block ×8, first 2 shown]
.LBB174_188:                            ;   in Loop: Header=BB174_51 Depth=1
	s_or_b64 exec, exec, s[10:11]
	v_lshlrev_b32_e32 v2, 16, v2
	v_mul_f32_e32 v2, v46, v2
	v_and_b32_e32 v6, 0x7f800000, v2
	v_cmp_ne_u32_e64 s[0:1], s20, v6
                                        ; implicit-def: $vgpr6
	s_and_saveexec_b64 s[10:11], s[0:1]
	s_xor_b64 s[0:1], exec, s[10:11]
; %bb.189:                              ;   in Loop: Header=BB174_51 Depth=1
	v_bfe_u32 v6, v2, 16, 1
	v_add3_u32 v6, v2, v6, s21
                                        ; implicit-def: $vgpr2
; %bb.190:                              ;   in Loop: Header=BB174_51 Depth=1
	s_andn2_saveexec_b64 s[10:11], s[0:1]
; %bb.191:                              ;   in Loop: Header=BB174_51 Depth=1
	v_or_b32_e32 v6, 0x10000, v2
	v_cmp_eq_u32_sdwa s[0:1], v2, v25 src0_sel:WORD_0 src1_sel:DWORD
	v_cndmask_b32_e64 v6, v6, v2, s[0:1]
; %bb.192:                              ;   in Loop: Header=BB174_51 Depth=1
	s_or_b64 exec, exec, s[10:11]
	v_lshlrev_b32_e32 v2, 16, v7
	v_mul_f32_e32 v2, v47, v2
	v_and_b32_e32 v7, 0x7f800000, v2
	v_cmp_ne_u32_e64 s[0:1], s20, v7
                                        ; implicit-def: $vgpr7
	s_and_saveexec_b64 s[10:11], s[0:1]
	s_xor_b64 s[0:1], exec, s[10:11]
; %bb.193:                              ;   in Loop: Header=BB174_51 Depth=1
	v_bfe_u32 v7, v2, 16, 1
	v_add3_u32 v7, v2, v7, s21
                                        ; implicit-def: $vgpr2
; %bb.194:                              ;   in Loop: Header=BB174_51 Depth=1
	s_andn2_saveexec_b64 s[10:11], s[0:1]
; %bb.195:                              ;   in Loop: Header=BB174_51 Depth=1
	v_or_b32_e32 v7, 0x10000, v2
	v_cmp_eq_u32_sdwa s[0:1], v2, v25 src0_sel:WORD_0 src1_sel:DWORD
	v_cndmask_b32_e64 v7, v7, v2, s[0:1]
; %bb.196:                              ;   in Loop: Header=BB174_51 Depth=1
	s_or_b64 exec, exec, s[10:11]
	v_lshlrev_b32_e32 v2, 16, v3
	v_mul_f32_e32 v2, v48, v2
	v_and_b32_e32 v3, 0x7f800000, v2
	v_cmp_ne_u32_e64 s[0:1], s20, v3
                                        ; implicit-def: $vgpr70
	s_and_saveexec_b64 s[10:11], s[0:1]
	s_xor_b64 s[0:1], exec, s[10:11]
; %bb.197:                              ;   in Loop: Header=BB174_51 Depth=1
	v_bfe_u32 v3, v2, 16, 1
	v_add3_u32 v70, v2, v3, s21
                                        ; implicit-def: $vgpr2
; %bb.198:                              ;   in Loop: Header=BB174_51 Depth=1
	s_andn2_saveexec_b64 s[10:11], s[0:1]
; %bb.199:                              ;   in Loop: Header=BB174_51 Depth=1
	v_or_b32_e32 v3, 0x10000, v2
	v_cmp_eq_u32_sdwa s[0:1], v2, v25 src0_sel:WORD_0 src1_sel:DWORD
	v_cndmask_b32_e64 v70, v3, v2, s[0:1]
; %bb.200:                              ;   in Loop: Header=BB174_51 Depth=1
	s_or_b64 exec, exec, s[10:11]
	v_lshlrev_b32_e32 v2, 16, v71
	v_mul_f32_e32 v2, v49, v2
	v_and_b32_e32 v3, 0x7f800000, v2
	v_cmp_ne_u32_e64 s[0:1], s20, v3
                                        ; implicit-def: $vgpr71
	s_and_saveexec_b64 s[10:11], s[0:1]
	s_xor_b64 s[0:1], exec, s[10:11]
; %bb.201:                              ;   in Loop: Header=BB174_51 Depth=1
	v_bfe_u32 v3, v2, 16, 1
	v_add3_u32 v71, v2, v3, s21
                                        ; implicit-def: $vgpr2
; %bb.202:                              ;   in Loop: Header=BB174_51 Depth=1
	s_andn2_saveexec_b64 s[10:11], s[0:1]
; %bb.203:                              ;   in Loop: Header=BB174_51 Depth=1
	v_or_b32_e32 v3, 0x10000, v2
	v_cmp_eq_u32_sdwa s[0:1], v2, v25 src0_sel:WORD_0 src1_sel:DWORD
	v_cndmask_b32_e64 v71, v3, v2, s[0:1]
; %bb.204:                              ;   in Loop: Header=BB174_51 Depth=1
	s_or_b64 exec, exec, s[10:11]
	v_lshlrev_b32_e32 v2, 16, v4
	v_mul_f32_e32 v2, v50, v2
	v_and_b32_e32 v3, 0x7f800000, v2
	v_cmp_ne_u32_e64 s[0:1], s20, v3
                                        ; implicit-def: $vgpr72
	s_and_saveexec_b64 s[10:11], s[0:1]
	s_xor_b64 s[0:1], exec, s[10:11]
; %bb.205:                              ;   in Loop: Header=BB174_51 Depth=1
	v_bfe_u32 v3, v2, 16, 1
	v_add3_u32 v72, v2, v3, s21
                                        ; implicit-def: $vgpr2
; %bb.206:                              ;   in Loop: Header=BB174_51 Depth=1
	s_andn2_saveexec_b64 s[10:11], s[0:1]
; %bb.207:                              ;   in Loop: Header=BB174_51 Depth=1
	v_or_b32_e32 v3, 0x10000, v2
	v_cmp_eq_u32_sdwa s[0:1], v2, v25 src0_sel:WORD_0 src1_sel:DWORD
	v_cndmask_b32_e64 v72, v3, v2, s[0:1]
; %bb.208:                              ;   in Loop: Header=BB174_51 Depth=1
	s_or_b64 exec, exec, s[10:11]
	v_lshlrev_b32_e32 v2, 16, v73
	v_mul_f32_e32 v2, v51, v2
	v_and_b32_e32 v3, 0x7f800000, v2
	v_cmp_ne_u32_e64 s[0:1], s20, v3
                                        ; implicit-def: $vgpr73
	s_and_saveexec_b64 s[10:11], s[0:1]
	s_xor_b64 s[0:1], exec, s[10:11]
; %bb.209:                              ;   in Loop: Header=BB174_51 Depth=1
	v_bfe_u32 v3, v2, 16, 1
	v_add3_u32 v73, v2, v3, s21
                                        ; implicit-def: $vgpr2
; %bb.210:                              ;   in Loop: Header=BB174_51 Depth=1
	s_andn2_saveexec_b64 s[10:11], s[0:1]
; %bb.211:                              ;   in Loop: Header=BB174_51 Depth=1
	v_or_b32_e32 v3, 0x10000, v2
	v_cmp_eq_u32_sdwa s[0:1], v2, v25 src0_sel:WORD_0 src1_sel:DWORD
	v_cndmask_b32_e64 v73, v3, v2, s[0:1]
; %bb.212:                              ;   in Loop: Header=BB174_51 Depth=1
	s_or_b64 exec, exec, s[10:11]
	v_lshlrev_b32_e32 v2, 16, v5
	v_mul_f32_e32 v2, v52, v2
	v_and_b32_e32 v3, 0x7f800000, v2
	v_cmp_ne_u32_e64 s[0:1], s20, v3
                                        ; implicit-def: $vgpr74
	s_and_saveexec_b64 s[10:11], s[0:1]
	s_xor_b64 s[0:1], exec, s[10:11]
; %bb.213:                              ;   in Loop: Header=BB174_51 Depth=1
	v_bfe_u32 v3, v2, 16, 1
	v_add3_u32 v74, v2, v3, s21
                                        ; implicit-def: $vgpr2
; %bb.214:                              ;   in Loop: Header=BB174_51 Depth=1
	s_andn2_saveexec_b64 s[10:11], s[0:1]
; %bb.215:                              ;   in Loop: Header=BB174_51 Depth=1
	v_or_b32_e32 v3, 0x10000, v2
	v_cmp_eq_u32_sdwa s[0:1], v2, v25 src0_sel:WORD_0 src1_sel:DWORD
	v_cndmask_b32_e64 v74, v3, v2, s[0:1]
; %bb.216:                              ;   in Loop: Header=BB174_51 Depth=1
	s_or_b64 exec, exec, s[10:11]
	v_lshlrev_b32_e32 v2, 16, v75
	v_mul_f32_e32 v2, v53, v2
	v_and_b32_e32 v3, 0x7f800000, v2
	v_cmp_ne_u32_e64 s[0:1], s20, v3
                                        ; implicit-def: $vgpr75
	s_and_saveexec_b64 s[10:11], s[0:1]
	s_xor_b64 s[0:1], exec, s[10:11]
; %bb.217:                              ;   in Loop: Header=BB174_51 Depth=1
	v_bfe_u32 v3, v2, 16, 1
	v_add3_u32 v75, v2, v3, s21
                                        ; implicit-def: $vgpr2
; %bb.218:                              ;   in Loop: Header=BB174_51 Depth=1
	s_andn2_saveexec_b64 s[10:11], s[0:1]
; %bb.219:                              ;   in Loop: Header=BB174_51 Depth=1
	v_or_b32_e32 v3, 0x10000, v2
	v_cmp_eq_u32_sdwa s[0:1], v2, v25 src0_sel:WORD_0 src1_sel:DWORD
	v_cndmask_b32_e64 v75, v3, v2, s[0:1]
; %bb.220:                              ;   in Loop: Header=BB174_51 Depth=1
	s_or_b64 exec, exec, s[10:11]
	v_add_co_u32_e64 v2, s[0:1], v44, v28
	v_addc_co_u32_e64 v3, s[0:1], 0, v45, s[0:1]
	global_load_dwordx4 v[2:5], v[2:3], off
	s_waitcnt vmcnt(0)
	v_lshrrev_b32_e32 v77, 16, v2
	v_lshrrev_b32_e32 v79, 16, v3
	v_lshrrev_b32_e32 v81, 16, v4
	v_lshrrev_b32_e32 v83, 16, v5
	s_and_saveexec_b64 s[10:11], vcc
	s_cbranch_execz .LBB174_222
; %bb.221:                              ;   in Loop: Header=BB174_51 Depth=1
	v_cmp_gt_i32_e64 s[0:1], s33, v36
	v_cndmask_b32_e64 v2, 0, v2, s[0:1]
	v_cmp_gt_i32_e64 s[0:1], s33, v43
	v_cndmask_b32_e64 v77, 0, v77, s[0:1]
	;; [unrolled: 2-line block ×8, first 2 shown]
.LBB174_222:                            ;   in Loop: Header=BB174_51 Depth=1
	s_or_b64 exec, exec, s[10:11]
	v_lshlrev_b32_e32 v2, 16, v2
	v_mul_f32_e32 v2, v46, v2
	v_and_b32_e32 v76, 0x7f800000, v2
	v_cmp_ne_u32_e64 s[0:1], s20, v76
                                        ; implicit-def: $vgpr76
	s_and_saveexec_b64 s[10:11], s[0:1]
	s_xor_b64 s[0:1], exec, s[10:11]
; %bb.223:                              ;   in Loop: Header=BB174_51 Depth=1
	v_bfe_u32 v76, v2, 16, 1
	v_add3_u32 v76, v2, v76, s21
                                        ; implicit-def: $vgpr2
; %bb.224:                              ;   in Loop: Header=BB174_51 Depth=1
	s_andn2_saveexec_b64 s[10:11], s[0:1]
; %bb.225:                              ;   in Loop: Header=BB174_51 Depth=1
	v_or_b32_e32 v76, 0x10000, v2
	v_cmp_eq_u32_sdwa s[0:1], v2, v25 src0_sel:WORD_0 src1_sel:DWORD
	v_cndmask_b32_e64 v76, v76, v2, s[0:1]
; %bb.226:                              ;   in Loop: Header=BB174_51 Depth=1
	s_or_b64 exec, exec, s[10:11]
	v_lshlrev_b32_e32 v2, 16, v77
	v_mul_f32_e32 v2, v47, v2
	v_and_b32_e32 v77, 0x7f800000, v2
	v_cmp_ne_u32_e64 s[0:1], s20, v77
                                        ; implicit-def: $vgpr77
	s_and_saveexec_b64 s[10:11], s[0:1]
	s_xor_b64 s[0:1], exec, s[10:11]
; %bb.227:                              ;   in Loop: Header=BB174_51 Depth=1
	v_bfe_u32 v77, v2, 16, 1
	v_add3_u32 v77, v2, v77, s21
                                        ; implicit-def: $vgpr2
; %bb.228:                              ;   in Loop: Header=BB174_51 Depth=1
	s_andn2_saveexec_b64 s[10:11], s[0:1]
; %bb.229:                              ;   in Loop: Header=BB174_51 Depth=1
	v_or_b32_e32 v77, 0x10000, v2
	v_cmp_eq_u32_sdwa s[0:1], v2, v25 src0_sel:WORD_0 src1_sel:DWORD
	v_cndmask_b32_e64 v77, v77, v2, s[0:1]
; %bb.230:                              ;   in Loop: Header=BB174_51 Depth=1
	s_or_b64 exec, exec, s[10:11]
	v_lshlrev_b32_e32 v2, 16, v3
	v_mul_f32_e32 v2, v48, v2
	v_and_b32_e32 v3, 0x7f800000, v2
	v_cmp_ne_u32_e64 s[0:1], s20, v3
                                        ; implicit-def: $vgpr78
	s_and_saveexec_b64 s[10:11], s[0:1]
	s_xor_b64 s[0:1], exec, s[10:11]
; %bb.231:                              ;   in Loop: Header=BB174_51 Depth=1
	v_bfe_u32 v3, v2, 16, 1
	v_add3_u32 v78, v2, v3, s21
                                        ; implicit-def: $vgpr2
; %bb.232:                              ;   in Loop: Header=BB174_51 Depth=1
	s_andn2_saveexec_b64 s[10:11], s[0:1]
; %bb.233:                              ;   in Loop: Header=BB174_51 Depth=1
	v_or_b32_e32 v3, 0x10000, v2
	v_cmp_eq_u32_sdwa s[0:1], v2, v25 src0_sel:WORD_0 src1_sel:DWORD
	v_cndmask_b32_e64 v78, v3, v2, s[0:1]
; %bb.234:                              ;   in Loop: Header=BB174_51 Depth=1
	s_or_b64 exec, exec, s[10:11]
	v_lshlrev_b32_e32 v2, 16, v79
	v_mul_f32_e32 v2, v49, v2
	v_and_b32_e32 v3, 0x7f800000, v2
	v_cmp_ne_u32_e64 s[0:1], s20, v3
                                        ; implicit-def: $vgpr79
	s_and_saveexec_b64 s[10:11], s[0:1]
	s_xor_b64 s[0:1], exec, s[10:11]
; %bb.235:                              ;   in Loop: Header=BB174_51 Depth=1
	v_bfe_u32 v3, v2, 16, 1
	v_add3_u32 v79, v2, v3, s21
                                        ; implicit-def: $vgpr2
; %bb.236:                              ;   in Loop: Header=BB174_51 Depth=1
	s_andn2_saveexec_b64 s[10:11], s[0:1]
; %bb.237:                              ;   in Loop: Header=BB174_51 Depth=1
	v_or_b32_e32 v3, 0x10000, v2
	v_cmp_eq_u32_sdwa s[0:1], v2, v25 src0_sel:WORD_0 src1_sel:DWORD
	v_cndmask_b32_e64 v79, v3, v2, s[0:1]
; %bb.238:                              ;   in Loop: Header=BB174_51 Depth=1
	s_or_b64 exec, exec, s[10:11]
	v_lshlrev_b32_e32 v2, 16, v4
	v_mul_f32_e32 v2, v50, v2
	v_and_b32_e32 v3, 0x7f800000, v2
	v_cmp_ne_u32_e64 s[0:1], s20, v3
                                        ; implicit-def: $vgpr80
	s_and_saveexec_b64 s[10:11], s[0:1]
	s_xor_b64 s[0:1], exec, s[10:11]
; %bb.239:                              ;   in Loop: Header=BB174_51 Depth=1
	v_bfe_u32 v3, v2, 16, 1
	v_add3_u32 v80, v2, v3, s21
                                        ; implicit-def: $vgpr2
; %bb.240:                              ;   in Loop: Header=BB174_51 Depth=1
	s_andn2_saveexec_b64 s[10:11], s[0:1]
; %bb.241:                              ;   in Loop: Header=BB174_51 Depth=1
	v_or_b32_e32 v3, 0x10000, v2
	v_cmp_eq_u32_sdwa s[0:1], v2, v25 src0_sel:WORD_0 src1_sel:DWORD
	v_cndmask_b32_e64 v80, v3, v2, s[0:1]
; %bb.242:                              ;   in Loop: Header=BB174_51 Depth=1
	s_or_b64 exec, exec, s[10:11]
	v_lshlrev_b32_e32 v2, 16, v81
	v_mul_f32_e32 v2, v51, v2
	v_and_b32_e32 v3, 0x7f800000, v2
	v_cmp_ne_u32_e64 s[0:1], s20, v3
                                        ; implicit-def: $vgpr81
	s_and_saveexec_b64 s[10:11], s[0:1]
	s_xor_b64 s[0:1], exec, s[10:11]
; %bb.243:                              ;   in Loop: Header=BB174_51 Depth=1
	v_bfe_u32 v3, v2, 16, 1
	v_add3_u32 v81, v2, v3, s21
                                        ; implicit-def: $vgpr2
; %bb.244:                              ;   in Loop: Header=BB174_51 Depth=1
	s_andn2_saveexec_b64 s[10:11], s[0:1]
; %bb.245:                              ;   in Loop: Header=BB174_51 Depth=1
	v_or_b32_e32 v3, 0x10000, v2
	v_cmp_eq_u32_sdwa s[0:1], v2, v25 src0_sel:WORD_0 src1_sel:DWORD
	v_cndmask_b32_e64 v81, v3, v2, s[0:1]
; %bb.246:                              ;   in Loop: Header=BB174_51 Depth=1
	s_or_b64 exec, exec, s[10:11]
	v_lshlrev_b32_e32 v2, 16, v5
	v_mul_f32_e32 v2, v52, v2
	v_and_b32_e32 v3, 0x7f800000, v2
	v_cmp_ne_u32_e64 s[0:1], s20, v3
                                        ; implicit-def: $vgpr82
	s_and_saveexec_b64 s[10:11], s[0:1]
	s_xor_b64 s[0:1], exec, s[10:11]
; %bb.247:                              ;   in Loop: Header=BB174_51 Depth=1
	v_bfe_u32 v3, v2, 16, 1
	v_add3_u32 v82, v2, v3, s21
                                        ; implicit-def: $vgpr2
; %bb.248:                              ;   in Loop: Header=BB174_51 Depth=1
	s_andn2_saveexec_b64 s[10:11], s[0:1]
; %bb.249:                              ;   in Loop: Header=BB174_51 Depth=1
	v_or_b32_e32 v3, 0x10000, v2
	v_cmp_eq_u32_sdwa s[0:1], v2, v25 src0_sel:WORD_0 src1_sel:DWORD
	v_cndmask_b32_e64 v82, v3, v2, s[0:1]
; %bb.250:                              ;   in Loop: Header=BB174_51 Depth=1
	s_or_b64 exec, exec, s[10:11]
	v_lshlrev_b32_e32 v2, 16, v83
	v_mul_f32_e32 v2, v53, v2
	v_and_b32_e32 v3, 0x7f800000, v2
	v_cmp_ne_u32_e64 s[0:1], s20, v3
                                        ; implicit-def: $vgpr83
	s_and_saveexec_b64 s[10:11], s[0:1]
	s_xor_b64 s[0:1], exec, s[10:11]
; %bb.251:                              ;   in Loop: Header=BB174_51 Depth=1
	v_bfe_u32 v3, v2, 16, 1
	v_add3_u32 v83, v2, v3, s21
                                        ; implicit-def: $vgpr2
; %bb.252:                              ;   in Loop: Header=BB174_51 Depth=1
	s_andn2_saveexec_b64 s[10:11], s[0:1]
; %bb.253:                              ;   in Loop: Header=BB174_51 Depth=1
	v_or_b32_e32 v3, 0x10000, v2
	v_cmp_eq_u32_sdwa s[0:1], v2, v25 src0_sel:WORD_0 src1_sel:DWORD
	v_cndmask_b32_e64 v83, v3, v2, s[0:1]
; %bb.254:                              ;   in Loop: Header=BB174_51 Depth=1
	s_or_b64 exec, exec, s[10:11]
	v_add_co_u32_e64 v2, s[0:1], v44, v29
	v_addc_co_u32_e64 v3, s[0:1], 0, v45, s[0:1]
	global_load_dwordx4 v[2:5], v[2:3], off
	s_waitcnt vmcnt(0)
	v_lshrrev_b32_e32 v85, 16, v2
	v_lshrrev_b32_e32 v84, 16, v3
	;; [unrolled: 1-line block ×4, first 2 shown]
	s_and_saveexec_b64 s[0:1], vcc
	s_cbranch_execz .LBB174_256
; %bb.255:                              ;   in Loop: Header=BB174_51 Depth=1
	v_cmp_gt_i32_e32 vcc, s33, v36
	v_cndmask_b32_e32 v2, 0, v2, vcc
	v_cmp_gt_i32_e32 vcc, s33, v43
	v_cndmask_b32_e32 v85, 0, v85, vcc
	;; [unrolled: 2-line block ×8, first 2 shown]
.LBB174_256:                            ;   in Loop: Header=BB174_51 Depth=1
	s_or_b64 exec, exec, s[0:1]
	v_lshlrev_b32_e32 v2, 16, v2
	v_mul_f32_e32 v36, v46, v2
	v_and_b32_e32 v2, 0x7f800000, v36
	v_cmp_ne_u32_e32 vcc, s20, v2
                                        ; implicit-def: $vgpr2
	s_and_saveexec_b64 s[0:1], vcc
	s_xor_b64 s[0:1], exec, s[0:1]
; %bb.257:                              ;   in Loop: Header=BB174_51 Depth=1
	v_bfe_u32 v2, v36, 16, 1
	v_add3_u32 v2, v36, v2, s21
                                        ; implicit-def: $vgpr36
; %bb.258:                              ;   in Loop: Header=BB174_51 Depth=1
	s_andn2_saveexec_b64 s[0:1], s[0:1]
; %bb.259:                              ;   in Loop: Header=BB174_51 Depth=1
	v_or_b32_e32 v2, 0x10000, v36
	v_cmp_eq_u32_sdwa vcc, v36, v25 src0_sel:WORD_0 src1_sel:DWORD
	v_cndmask_b32_e32 v2, v2, v36, vcc
; %bb.260:                              ;   in Loop: Header=BB174_51 Depth=1
	s_or_b64 exec, exec, s[0:1]
	v_lshlrev_b32_e32 v36, 16, v85
	v_mul_f32_e32 v37, v47, v36
	v_and_b32_e32 v36, 0x7f800000, v37
	v_cmp_ne_u32_e32 vcc, s20, v36
                                        ; implicit-def: $vgpr36
	s_and_saveexec_b64 s[0:1], vcc
	s_xor_b64 s[0:1], exec, s[0:1]
; %bb.261:                              ;   in Loop: Header=BB174_51 Depth=1
	v_bfe_u32 v36, v37, 16, 1
	v_add3_u32 v36, v37, v36, s21
                                        ; implicit-def: $vgpr37
; %bb.262:                              ;   in Loop: Header=BB174_51 Depth=1
	s_andn2_saveexec_b64 s[0:1], s[0:1]
; %bb.263:                              ;   in Loop: Header=BB174_51 Depth=1
	v_or_b32_e32 v36, 0x10000, v37
	v_cmp_eq_u32_sdwa vcc, v37, v25 src0_sel:WORD_0 src1_sel:DWORD
	v_cndmask_b32_e32 v36, v36, v37, vcc
; %bb.264:                              ;   in Loop: Header=BB174_51 Depth=1
	s_or_b64 exec, exec, s[0:1]
	v_lshlrev_b32_e32 v3, 16, v3
	v_mul_f32_e32 v37, v48, v3
	v_and_b32_e32 v3, 0x7f800000, v37
	v_cmp_ne_u32_e32 vcc, s20, v3
                                        ; implicit-def: $vgpr3
	s_and_saveexec_b64 s[0:1], vcc
	s_xor_b64 s[0:1], exec, s[0:1]
; %bb.265:                              ;   in Loop: Header=BB174_51 Depth=1
	v_bfe_u32 v3, v37, 16, 1
	v_add3_u32 v3, v37, v3, s21
                                        ; implicit-def: $vgpr37
; %bb.266:                              ;   in Loop: Header=BB174_51 Depth=1
	s_andn2_saveexec_b64 s[0:1], s[0:1]
; %bb.267:                              ;   in Loop: Header=BB174_51 Depth=1
	v_or_b32_e32 v3, 0x10000, v37
	v_cmp_eq_u32_sdwa vcc, v37, v25 src0_sel:WORD_0 src1_sel:DWORD
	v_cndmask_b32_e32 v3, v3, v37, vcc
; %bb.268:                              ;   in Loop: Header=BB174_51 Depth=1
	s_or_b64 exec, exec, s[0:1]
	v_lshlrev_b32_e32 v37, 16, v84
	v_mul_f32_e32 v38, v49, v37
	v_and_b32_e32 v37, 0x7f800000, v38
	v_cmp_ne_u32_e32 vcc, s20, v37
                                        ; implicit-def: $vgpr37
	s_and_saveexec_b64 s[0:1], vcc
	s_xor_b64 s[0:1], exec, s[0:1]
; %bb.269:                              ;   in Loop: Header=BB174_51 Depth=1
	v_bfe_u32 v37, v38, 16, 1
	v_add3_u32 v37, v38, v37, s21
                                        ; implicit-def: $vgpr38
; %bb.270:                              ;   in Loop: Header=BB174_51 Depth=1
	s_andn2_saveexec_b64 s[0:1], s[0:1]
; %bb.271:                              ;   in Loop: Header=BB174_51 Depth=1
	v_or_b32_e32 v37, 0x10000, v38
	v_cmp_eq_u32_sdwa vcc, v38, v25 src0_sel:WORD_0 src1_sel:DWORD
	v_cndmask_b32_e32 v37, v37, v38, vcc
; %bb.272:                              ;   in Loop: Header=BB174_51 Depth=1
	s_or_b64 exec, exec, s[0:1]
	v_lshlrev_b32_e32 v4, 16, v4
	v_mul_f32_e32 v38, v50, v4
	v_and_b32_e32 v4, 0x7f800000, v38
	v_cmp_ne_u32_e32 vcc, s20, v4
                                        ; implicit-def: $vgpr4
	s_and_saveexec_b64 s[0:1], vcc
	s_xor_b64 s[0:1], exec, s[0:1]
; %bb.273:                              ;   in Loop: Header=BB174_51 Depth=1
	v_bfe_u32 v4, v38, 16, 1
	v_add3_u32 v4, v38, v4, s21
                                        ; implicit-def: $vgpr38
; %bb.274:                              ;   in Loop: Header=BB174_51 Depth=1
	s_andn2_saveexec_b64 s[0:1], s[0:1]
; %bb.275:                              ;   in Loop: Header=BB174_51 Depth=1
	v_or_b32_e32 v4, 0x10000, v38
	v_cmp_eq_u32_sdwa vcc, v38, v25 src0_sel:WORD_0 src1_sel:DWORD
	v_cndmask_b32_e32 v4, v4, v38, vcc
; %bb.276:                              ;   in Loop: Header=BB174_51 Depth=1
	s_or_b64 exec, exec, s[0:1]
	v_lshlrev_b32_e32 v38, 16, v45
	v_mul_f32_e32 v39, v51, v38
	v_and_b32_e32 v38, 0x7f800000, v39
	v_cmp_ne_u32_e32 vcc, s20, v38
                                        ; implicit-def: $vgpr38
	s_and_saveexec_b64 s[0:1], vcc
	s_xor_b64 s[0:1], exec, s[0:1]
; %bb.277:                              ;   in Loop: Header=BB174_51 Depth=1
	v_bfe_u32 v38, v39, 16, 1
	v_add3_u32 v38, v39, v38, s21
                                        ; implicit-def: $vgpr39
; %bb.278:                              ;   in Loop: Header=BB174_51 Depth=1
	s_andn2_saveexec_b64 s[0:1], s[0:1]
; %bb.279:                              ;   in Loop: Header=BB174_51 Depth=1
	v_or_b32_e32 v38, 0x10000, v39
	v_cmp_eq_u32_sdwa vcc, v39, v25 src0_sel:WORD_0 src1_sel:DWORD
	v_cndmask_b32_e32 v38, v38, v39, vcc
; %bb.280:                              ;   in Loop: Header=BB174_51 Depth=1
	s_or_b64 exec, exec, s[0:1]
	v_lshlrev_b32_e32 v5, 16, v5
	v_mul_f32_e32 v39, v52, v5
	v_and_b32_e32 v5, 0x7f800000, v39
	v_cmp_ne_u32_e32 vcc, s20, v5
                                        ; implicit-def: $vgpr5
	s_and_saveexec_b64 s[0:1], vcc
	s_xor_b64 s[0:1], exec, s[0:1]
; %bb.281:                              ;   in Loop: Header=BB174_51 Depth=1
	v_bfe_u32 v5, v39, 16, 1
	v_add3_u32 v5, v39, v5, s21
                                        ; implicit-def: $vgpr39
; %bb.282:                              ;   in Loop: Header=BB174_51 Depth=1
	s_andn2_saveexec_b64 s[0:1], s[0:1]
; %bb.283:                              ;   in Loop: Header=BB174_51 Depth=1
	v_or_b32_e32 v5, 0x10000, v39
	v_cmp_eq_u32_sdwa vcc, v39, v25 src0_sel:WORD_0 src1_sel:DWORD
	v_cndmask_b32_e32 v5, v5, v39, vcc
; %bb.284:                              ;   in Loop: Header=BB174_51 Depth=1
	s_or_b64 exec, exec, s[0:1]
	v_lshlrev_b32_e32 v39, 16, v44
	v_mul_f32_e32 v40, v53, v39
	v_and_b32_e32 v39, 0x7f800000, v40
	v_cmp_ne_u32_e32 vcc, s20, v39
                                        ; implicit-def: $vgpr39
	s_and_saveexec_b64 s[0:1], vcc
	s_xor_b64 s[0:1], exec, s[0:1]
; %bb.285:                              ;   in Loop: Header=BB174_51 Depth=1
	v_bfe_u32 v39, v40, 16, 1
	v_add3_u32 v39, v40, v39, s21
                                        ; implicit-def: $vgpr40
; %bb.286:                              ;   in Loop: Header=BB174_51 Depth=1
	s_andn2_saveexec_b64 s[0:1], s[0:1]
	s_cbranch_execz .LBB174_49
; %bb.287:                              ;   in Loop: Header=BB174_51 Depth=1
	v_or_b32_e32 v39, 0x10000, v40
	v_cmp_eq_u32_sdwa vcc, v40, v25 src0_sel:WORD_0 src1_sel:DWORD
	v_cndmask_b32_e32 v39, v39, v40, vcc
	s_branch .LBB174_49
.LBB174_288:
	s_or_b64 exec, exec, s[4:5]
.LBB174_289:
	s_or_b64 exec, exec, s[2:3]
	ds_bpermute_b32 v2, v21, v16
	ds_bpermute_b32 v3, v21, v17
	;; [unrolled: 1-line block ×6, first 2 shown]
	s_waitcnt lgkmcnt(4)
	v_pk_add_f32 v[2:3], v[16:17], v[2:3]
	ds_bpermute_b32 v8, v22, v2
	s_waitcnt lgkmcnt(3)
	v_pk_add_f32 v[4:5], v[14:15], v[4:5]
	ds_bpermute_b32 v9, v22, v3
	;; [unrolled: 3-line block ×3, first 2 shown]
	ds_bpermute_b32 v11, v22, v5
	ds_bpermute_b32 v14, v22, v12
	;; [unrolled: 1-line block ×3, first 2 shown]
	v_and_b32_e32 v1, 0x3c3, v0
	s_waitcnt lgkmcnt(4)
	v_pk_add_f32 v[6:7], v[2:3], v[8:9]
	s_waitcnt lgkmcnt(2)
	v_pk_add_f32 v[2:3], v[4:5], v[10:11]
	v_cmp_eq_u32_e32 vcc, 64, v1
	s_waitcnt lgkmcnt(0)
	v_pk_add_f32 v[4:5], v[12:13], v[14:15]
	s_barrier
	s_and_saveexec_b64 s[0:1], vcc
	s_cbranch_execz .LBB174_291
; %bb.290:
	v_add_u32_e32 v1, 0xd0, v20
	ds_write2_b32 v1, v6, v7 offset1:16
	ds_write2_b32 v1, v2, v3 offset0:32 offset1:48
	ds_write2_b32 v1, v4, v5 offset0:64 offset1:80
.LBB174_291:
	s_or_b64 exec, exec, s[0:1]
	v_cmp_gt_u32_e32 vcc, 64, v0
	s_waitcnt lgkmcnt(0)
	s_barrier
	s_and_saveexec_b64 s[2:3], vcc
	s_cbranch_execz .LBB174_300
; %bb.292:
	v_cmp_eq_u32_e64 s[0:1], 0, v23
	v_lshrrev_b32_e32 v1, 2, v0
	s_and_saveexec_b64 s[4:5], s[0:1]
	s_cbranch_execnz .LBB174_328
; %bb.293:
	s_or_b64 exec, exec, s[4:5]
	s_and_saveexec_b64 s[4:5], s[0:1]
	s_cbranch_execnz .LBB174_329
.LBB174_294:
	s_or_b64 exec, exec, s[4:5]
	s_and_saveexec_b64 s[4:5], s[0:1]
	s_cbranch_execnz .LBB174_330
.LBB174_295:
	s_or_b64 exec, exec, s[4:5]
	s_and_saveexec_b64 s[4:5], s[0:1]
	s_cbranch_execnz .LBB174_331
.LBB174_296:
	s_or_b64 exec, exec, s[4:5]
	s_and_saveexec_b64 s[4:5], s[0:1]
	s_cbranch_execnz .LBB174_332
.LBB174_297:
	s_or_b64 exec, exec, s[4:5]
	s_and_saveexec_b64 s[4:5], s[0:1]
	s_cbranch_execz .LBB174_299
.LBB174_298:
	v_mov_b32_e32 v8, 0xd0
	v_lshl_add_u32 v1, v1, 2, v8
	ds_read_b32 v1, v1 offset:320
	s_waitcnt lgkmcnt(0)
	v_add_f32_e32 v5, v5, v1
.LBB174_299:
	s_or_b64 exec, exec, s[4:5]
.LBB174_300:
	s_or_b64 exec, exec, s[2:3]
	s_barrier
	s_and_saveexec_b64 s[0:1], vcc
	s_cbranch_execz .LBB174_327
; %bb.301:
	v_cmp_eq_u32_e32 vcc, 0, v23
	s_and_b64 exec, exec, vcc
	s_cbranch_execz .LBB174_327
; %bb.302:
	s_mov_b32 s0, 0x7f800000
	v_and_b32_e32 v1, 0x7f800000, v6
	v_cmp_ne_u32_e32 vcc, s0, v1
                                        ; implicit-def: $vgpr1
	s_and_saveexec_b64 s[0:1], vcc
	s_xor_b64 s[0:1], exec, s[0:1]
; %bb.303:
	v_bfe_u32 v1, v6, 16, 1
	s_movk_i32 s2, 0x7fff
	v_add3_u32 v1, v6, v1, s2
; %bb.304:
	s_andn2_saveexec_b64 s[0:1], s[0:1]
; %bb.305:
	v_mov_b32_e32 v1, 0
	v_or_b32_e32 v8, 0x10000, v6
	v_cmp_eq_u32_sdwa vcc, v6, v1 src0_sel:WORD_0 src1_sel:DWORD
	v_cndmask_b32_e32 v1, v8, v6, vcc
; %bb.306:
	s_or_b64 exec, exec, s[0:1]
	s_mul_i32 s0, s12, s24
	s_mul_i32 s0, s0, s25
	s_mulk_i32 s0, 0x60
	s_ashr_i32 s1, s0, 31
	s_lshl_b64 s[0:1], s[0:1], 1
	s_add_u32 s2, s28, s0
	s_mul_i32 s0, s12, s26
	s_addc_u32 s3, s29, s1
	s_ashr_i32 s1, s0, 31
	s_lshl_b64 s[0:1], s[0:1], 1
	s_add_u32 s2, s2, s0
	s_mul_i32 s0, s8, 0x60
	s_addc_u32 s3, s3, s1
	s_ashr_i32 s1, s0, 31
	s_lshl_b64 s[0:1], s[0:1], 1
	s_add_u32 s0, s2, s0
	v_lshrrev_b32_e32 v0, 1, v0
	s_addc_u32 s1, s3, s1
	v_and_b32_e32 v0, 0x1fe, v0
	v_mov_b32_e32 v6, s1
	v_add_co_u32_e32 v8, vcc, s0, v0
	v_addc_co_u32_e32 v9, vcc, 0, v6, vcc
	global_store_short_d16_hi v0, v1, s[0:1]
	s_mov_b32 s0, 0x7f800000
	v_and_b32_e32 v0, 0x7f800000, v7
	v_cmp_ne_u32_e32 vcc, s0, v0
                                        ; implicit-def: $vgpr0
	s_and_saveexec_b64 s[0:1], vcc
	s_xor_b64 s[0:1], exec, s[0:1]
; %bb.307:
	v_bfe_u32 v0, v7, 16, 1
	s_movk_i32 s2, 0x7fff
	v_add3_u32 v0, v7, v0, s2
; %bb.308:
	s_andn2_saveexec_b64 s[0:1], s[0:1]
; %bb.309:
	v_mov_b32_e32 v0, 0
	v_or_b32_e32 v1, 0x10000, v7
	v_cmp_eq_u32_sdwa vcc, v7, v0 src0_sel:WORD_0 src1_sel:DWORD
	v_cndmask_b32_e32 v0, v1, v7, vcc
; %bb.310:
	s_or_b64 exec, exec, s[0:1]
	global_store_short_d16_hi v[8:9], v0, off offset:32
	s_mov_b32 s0, 0x7f800000
	v_and_b32_e32 v0, 0x7f800000, v2
	v_cmp_ne_u32_e32 vcc, s0, v0
                                        ; implicit-def: $vgpr0
	s_and_saveexec_b64 s[0:1], vcc
	s_xor_b64 s[0:1], exec, s[0:1]
; %bb.311:
	v_bfe_u32 v0, v2, 16, 1
	s_movk_i32 s2, 0x7fff
	v_add3_u32 v0, v2, v0, s2
; %bb.312:
	s_andn2_saveexec_b64 s[0:1], s[0:1]
; %bb.313:
	v_mov_b32_e32 v0, 0
	v_or_b32_e32 v1, 0x10000, v2
	v_cmp_eq_u32_sdwa vcc, v2, v0 src0_sel:WORD_0 src1_sel:DWORD
	v_cndmask_b32_e32 v0, v1, v2, vcc
; %bb.314:
	s_or_b64 exec, exec, s[0:1]
	global_store_short_d16_hi v[8:9], v0, off offset:64
	;; [unrolled: 20-line block ×4, first 2 shown]
	s_mov_b32 s0, 0x7f800000
	v_and_b32_e32 v0, 0x7f800000, v5
	v_cmp_ne_u32_e32 vcc, s0, v0
                                        ; implicit-def: $vgpr6
	s_and_saveexec_b64 s[0:1], vcc
	s_xor_b64 s[0:1], exec, s[0:1]
; %bb.323:
	v_bfe_u32 v0, v5, 16, 1
	s_movk_i32 s2, 0x7fff
	v_add3_u32 v6, v5, v0, s2
                                        ; implicit-def: $vgpr0_vgpr1_vgpr2_vgpr3_vgpr4_vgpr5
; %bb.324:
	s_andn2_saveexec_b64 s[0:1], s[0:1]
; %bb.325:
	v_mov_b32_e32 v0, 0
	v_or_b32_e32 v1, 0x10000, v5
	v_cmp_eq_u32_sdwa vcc, v5, v0 src0_sel:WORD_0 src1_sel:DWORD
	v_cndmask_b32_e32 v6, v1, v5, vcc
; %bb.326:
	s_or_b64 exec, exec, s[0:1]
	global_store_short_d16_hi v[8:9], v6, off offset:160
.LBB174_327:
	s_endpgm
.LBB174_328:
	v_mov_b32_e32 v8, 0xd0
	v_lshl_add_u32 v8, v1, 2, v8
	ds_read_b32 v8, v8
	s_waitcnt lgkmcnt(0)
	v_add_f32_e32 v6, v6, v8
	s_or_b64 exec, exec, s[4:5]
	s_and_saveexec_b64 s[4:5], s[0:1]
	s_cbranch_execz .LBB174_294
.LBB174_329:
	v_mov_b32_e32 v8, 0xd0
	v_lshl_add_u32 v8, v1, 2, v8
	ds_read_b32 v8, v8 offset:64
	s_waitcnt lgkmcnt(0)
	v_add_f32_e32 v7, v7, v8
	s_or_b64 exec, exec, s[4:5]
	s_and_saveexec_b64 s[4:5], s[0:1]
	s_cbranch_execz .LBB174_295
.LBB174_330:
	v_mov_b32_e32 v8, 0xd0
	v_lshl_add_u32 v8, v1, 2, v8
	ds_read_b32 v8, v8 offset:128
	s_waitcnt lgkmcnt(0)
	v_add_f32_e32 v2, v2, v8
	s_or_b64 exec, exec, s[4:5]
	s_and_saveexec_b64 s[4:5], s[0:1]
	s_cbranch_execz .LBB174_296
.LBB174_331:
	v_mov_b32_e32 v8, 0xd0
	v_lshl_add_u32 v8, v1, 2, v8
	ds_read_b32 v8, v8 offset:192
	s_waitcnt lgkmcnt(0)
	v_add_f32_e32 v3, v3, v8
	s_or_b64 exec, exec, s[4:5]
	s_and_saveexec_b64 s[4:5], s[0:1]
	s_cbranch_execz .LBB174_297
.LBB174_332:
	v_mov_b32_e32 v8, 0xd0
	v_lshl_add_u32 v8, v1, 2, v8
	ds_read_b32 v8, v8 offset:256
	s_waitcnt lgkmcnt(0)
	v_add_f32_e32 v4, v4, v8
	s_or_b64 exec, exec, s[4:5]
	s_and_saveexec_b64 s[4:5], s[0:1]
	s_cbranch_execnz .LBB174_298
	s_branch .LBB174_299
	.section	.rodata,"a",@progbits
	.p2align	6, 0x0
	.amdhsa_kernel _ZN4vllm25paged_attention_v2_kernelI14__hip_bfloat16S1_Li96ELi32ELi128ELNS_18Fp8KVCacheDataTypeE0ELb1ELi512EEEvPfS3_PT_PKS4_PKT0_SA_ifPKiSC_iPKfiiiSE_SE_iiiii
		.amdhsa_group_segment_fixed_size 208
		.amdhsa_private_segment_fixed_size 0
		.amdhsa_kernarg_size 400
		.amdhsa_user_sgpr_count 6
		.amdhsa_user_sgpr_private_segment_buffer 1
		.amdhsa_user_sgpr_dispatch_ptr 0
		.amdhsa_user_sgpr_queue_ptr 0
		.amdhsa_user_sgpr_kernarg_segment_ptr 1
		.amdhsa_user_sgpr_dispatch_id 0
		.amdhsa_user_sgpr_flat_scratch_init 0
		.amdhsa_user_sgpr_kernarg_preload_length 0
		.amdhsa_user_sgpr_kernarg_preload_offset 0
		.amdhsa_user_sgpr_private_segment_size 0
		.amdhsa_uses_dynamic_stack 0
		.amdhsa_system_sgpr_private_segment_wavefront_offset 0
		.amdhsa_system_sgpr_workgroup_id_x 1
		.amdhsa_system_sgpr_workgroup_id_y 1
		.amdhsa_system_sgpr_workgroup_id_z 1
		.amdhsa_system_sgpr_workgroup_info 0
		.amdhsa_system_vgpr_workitem_id 0
		.amdhsa_next_free_vgpr 111
		.amdhsa_next_free_sgpr 53
		.amdhsa_accum_offset 112
		.amdhsa_reserve_vcc 1
		.amdhsa_reserve_flat_scratch 0
		.amdhsa_float_round_mode_32 0
		.amdhsa_float_round_mode_16_64 0
		.amdhsa_float_denorm_mode_32 3
		.amdhsa_float_denorm_mode_16_64 3
		.amdhsa_dx10_clamp 1
		.amdhsa_ieee_mode 1
		.amdhsa_fp16_overflow 0
		.amdhsa_tg_split 0
		.amdhsa_exception_fp_ieee_invalid_op 0
		.amdhsa_exception_fp_denorm_src 0
		.amdhsa_exception_fp_ieee_div_zero 0
		.amdhsa_exception_fp_ieee_overflow 0
		.amdhsa_exception_fp_ieee_underflow 0
		.amdhsa_exception_fp_ieee_inexact 0
		.amdhsa_exception_int_div_zero 0
	.end_amdhsa_kernel
	.section	.text._ZN4vllm25paged_attention_v2_kernelI14__hip_bfloat16S1_Li96ELi32ELi128ELNS_18Fp8KVCacheDataTypeE0ELb1ELi512EEEvPfS3_PT_PKS4_PKT0_SA_ifPKiSC_iPKfiiiSE_SE_iiiii,"axG",@progbits,_ZN4vllm25paged_attention_v2_kernelI14__hip_bfloat16S1_Li96ELi32ELi128ELNS_18Fp8KVCacheDataTypeE0ELb1ELi512EEEvPfS3_PT_PKS4_PKT0_SA_ifPKiSC_iPKfiiiSE_SE_iiiii,comdat
.Lfunc_end174:
	.size	_ZN4vllm25paged_attention_v2_kernelI14__hip_bfloat16S1_Li96ELi32ELi128ELNS_18Fp8KVCacheDataTypeE0ELb1ELi512EEEvPfS3_PT_PKS4_PKT0_SA_ifPKiSC_iPKfiiiSE_SE_iiiii, .Lfunc_end174-_ZN4vllm25paged_attention_v2_kernelI14__hip_bfloat16S1_Li96ELi32ELi128ELNS_18Fp8KVCacheDataTypeE0ELb1ELi512EEEvPfS3_PT_PKS4_PKT0_SA_ifPKiSC_iPKfiiiSE_SE_iiiii
                                        ; -- End function
	.section	.AMDGPU.csdata,"",@progbits
; Kernel info:
; codeLenInByte = 11800
; NumSgprs: 57
; NumVgprs: 111
; NumAgprs: 0
; TotalNumVgprs: 111
; ScratchSize: 0
; MemoryBound: 0
; FloatMode: 240
; IeeeMode: 1
; LDSByteSize: 208 bytes/workgroup (compile time only)
; SGPRBlocks: 7
; VGPRBlocks: 13
; NumSGPRsForWavesPerEU: 57
; NumVGPRsForWavesPerEU: 111
; AccumOffset: 112
; Occupancy: 4
; WaveLimiterHint : 1
; COMPUTE_PGM_RSRC2:SCRATCH_EN: 0
; COMPUTE_PGM_RSRC2:USER_SGPR: 6
; COMPUTE_PGM_RSRC2:TRAP_HANDLER: 0
; COMPUTE_PGM_RSRC2:TGID_X_EN: 1
; COMPUTE_PGM_RSRC2:TGID_Y_EN: 1
; COMPUTE_PGM_RSRC2:TGID_Z_EN: 1
; COMPUTE_PGM_RSRC2:TIDIG_COMP_CNT: 0
; COMPUTE_PGM_RSRC3_GFX90A:ACCUM_OFFSET: 27
; COMPUTE_PGM_RSRC3_GFX90A:TG_SPLIT: 0
	.section	.text._ZN4vllm25paged_attention_v2_kernelI14__hip_bfloat16S1_Li112ELi32ELi128ELNS_18Fp8KVCacheDataTypeE0ELb1ELi512EEEvPfS3_PT_PKS4_PKT0_SA_ifPKiSC_iPKfiiiSE_SE_iiiii,"axG",@progbits,_ZN4vllm25paged_attention_v2_kernelI14__hip_bfloat16S1_Li112ELi32ELi128ELNS_18Fp8KVCacheDataTypeE0ELb1ELi512EEEvPfS3_PT_PKS4_PKT0_SA_ifPKiSC_iPKfiiiSE_SE_iiiii,comdat
	.protected	_ZN4vllm25paged_attention_v2_kernelI14__hip_bfloat16S1_Li112ELi32ELi128ELNS_18Fp8KVCacheDataTypeE0ELb1ELi512EEEvPfS3_PT_PKS4_PKT0_SA_ifPKiSC_iPKfiiiSE_SE_iiiii ; -- Begin function _ZN4vllm25paged_attention_v2_kernelI14__hip_bfloat16S1_Li112ELi32ELi128ELNS_18Fp8KVCacheDataTypeE0ELb1ELi512EEEvPfS3_PT_PKS4_PKT0_SA_ifPKiSC_iPKfiiiSE_SE_iiiii
	.globl	_ZN4vllm25paged_attention_v2_kernelI14__hip_bfloat16S1_Li112ELi32ELi128ELNS_18Fp8KVCacheDataTypeE0ELb1ELi512EEEvPfS3_PT_PKS4_PKT0_SA_ifPKiSC_iPKfiiiSE_SE_iiiii
	.p2align	8
	.type	_ZN4vllm25paged_attention_v2_kernelI14__hip_bfloat16S1_Li112ELi32ELi128ELNS_18Fp8KVCacheDataTypeE0ELb1ELi512EEEvPfS3_PT_PKS4_PKT0_SA_ifPKiSC_iPKfiiiSE_SE_iiiii,@function
_ZN4vllm25paged_attention_v2_kernelI14__hip_bfloat16S1_Li112ELi32ELi128ELNS_18Fp8KVCacheDataTypeE0ELb1ELi512EEEvPfS3_PT_PKS4_PKT0_SA_ifPKiSC_iPKfiiiSE_SE_iiiii: ; @_ZN4vllm25paged_attention_v2_kernelI14__hip_bfloat16S1_Li112ELi32ELi128ELNS_18Fp8KVCacheDataTypeE0ELb1ELi512EEEvPfS3_PT_PKS4_PKT0_SA_ifPKiSC_iPKfiiiSE_SE_iiiii
; %bb.0:
	s_load_dwordx2 s[0:1], s[4:5], 0x40
	s_mov_b32 s24, s7
	s_ashr_i32 s25, s7, 31
	s_lshl_b64 s[2:3], s[24:25], 2
	s_waitcnt lgkmcnt(0)
	s_add_u32 s0, s0, s2
	s_addc_u32 s1, s1, s3
	s_load_dword s33, s[0:1], 0x0
	s_lshl_b32 s9, s8, 9
	s_waitcnt lgkmcnt(0)
	s_cmp_ge_i32 s9, s33
	s_cbranch_scc1 .LBB175_366
; %bb.1:
	s_load_dword s25, s[4:5], 0x90
	s_load_dwordx2 s[38:39], s[4:5], 0x30
	s_mov_b32 s49, 0
	s_waitcnt lgkmcnt(0)
	s_abs_i32 s2, s25
	s_abs_i32 s0, s38
	v_cvt_f32_u32_e32 v1, s0
	s_sub_i32 s3, 0, s0
	s_xor_b32 s1, s25, s38
	s_ashr_i32 s1, s1, 31
	v_rcp_iflag_f32_e32 v1, v1
	v_mul_f32_e32 v1, 0x4f7ffffe, v1
	v_cvt_u32_f32_e32 v1, v1
	v_readfirstlane_b32 s7, v1
	s_mul_i32 s3, s3, s7
	s_mul_hi_u32 s3, s7, s3
	s_add_i32 s7, s7, s3
	s_mul_hi_u32 s3, s2, s7
	s_mul_i32 s7, s3, s0
	s_sub_i32 s2, s2, s7
	s_add_i32 s10, s3, 1
	s_sub_i32 s7, s2, s0
	s_cmp_ge_u32 s2, s0
	s_cselect_b32 s3, s10, s3
	s_cselect_b32 s2, s7, s2
	s_add_i32 s7, s3, 1
	s_cmp_ge_u32 s2, s0
	s_cselect_b32 s0, s7, s3
	s_xor_b32 s0, s0, s1
	s_sub_i32 s11, s0, s1
	s_abs_i32 s2, s11
	v_cvt_f32_u32_e32 v1, s2
	s_load_dwordx2 s[0:1], s[4:5], 0x50
	s_sub_i32 s7, 0, s2
	s_abs_i32 s3, s6
	v_rcp_iflag_f32_e32 v1, v1
	v_mul_f32_e32 v1, 0x4f7ffffe, v1
	v_cvt_u32_f32_e32 v1, v1
	v_readfirstlane_b32 s10, v1
	s_mul_i32 s7, s7, s10
	s_mul_hi_u32 s7, s10, s7
	s_add_i32 s10, s10, s7
	s_waitcnt lgkmcnt(0)
	s_cmp_eq_u64 s[0:1], 0
	s_mul_hi_u32 s10, s3, s10
	s_cbranch_scc1 .LBB175_3
; %bb.2:
	s_ashr_i32 s7, s6, 31
	s_lshl_b64 s[12:13], s[6:7], 2
	s_add_u32 s0, s0, s12
	s_addc_u32 s1, s1, s13
	s_load_dword s49, s[0:1], 0x0
.LBB175_3:
	s_load_dwordx4 s[12:15], s[4:5], 0x58
	s_ashr_i32 s7, s6, 31
	s_ashr_i32 s11, s11, 31
	v_and_b32_e32 v2, 1, v0
	s_waitcnt lgkmcnt(0)
	s_movk_i32 s15, 0x70
	s_mul_i32 s26, s6, 0x70
	v_cmp_gt_u32_e32 vcc, 28, v0
	v_lshlrev_b32_e32 v56, 3, v0
	s_and_saveexec_b64 s[0:1], vcc
	s_cbranch_execz .LBB175_5
; %bb.4:
	s_load_dwordx2 s[16:17], s[4:5], 0x18
	s_mul_i32 s18, s24, s12
	s_ashr_i32 s19, s18, 31
	s_lshl_b64 s[18:19], s[18:19], 1
	v_lshlrev_b32_e32 v1, 2, v0
	s_waitcnt lgkmcnt(0)
	s_add_u32 s12, s16, s18
	s_addc_u32 s18, s17, s19
	s_ashr_i32 s27, s26, 31
	s_lshl_b64 s[16:17], s[26:27], 1
	s_add_u32 s16, s12, s16
	s_addc_u32 s17, s18, s17
	global_load_dwordx2 v[4:5], v56, s[16:17]
	v_and_b32_e32 v1, 0xff8, v1
	v_mad_u32_u24 v1, v2, s15, v1
	s_waitcnt vmcnt(0)
	ds_write_b64 v1, v[4:5]
.LBB175_5:
	s_or_b64 exec, exec, s[0:1]
	s_mul_i32 s1, s10, s2
	s_sub_i32 s1, s3, s1
	s_xor_b32 s0, s7, s11
	s_add_i32 s3, s10, 1
	s_sub_i32 s7, s1, s2
	s_load_dwordx4 s[16:19], s[4:5], 0x78
	s_cmp_ge_u32 s1, s2
	s_cselect_b32 s3, s3, s10
	s_load_dword s10, s[4:5], 0x88
	s_cselect_b32 s1, s7, s1
	s_add_i32 s7, s3, 1
	s_cmp_ge_u32 s1, s2
	s_cselect_b32 s1, s7, s3
	s_waitcnt lgkmcnt(0)
	s_abs_i32 s27, s19
	v_cvt_f32_u32_e32 v1, s27
	s_xor_b32 s1, s1, s0
	s_sub_i32 s2, s1, s0
	s_sub_i32 s0, 0, s27
	v_rcp_iflag_f32_e32 v1, v1
	s_add_i32 s11, s33, -1
	s_abs_i32 s3, s11
	v_mul_f32_e32 v1, 0x4f7ffffe, v1
	v_cvt_u32_f32_e32 v1, v1
	s_barrier
	v_readfirstlane_b32 s46, v1
	s_mul_i32 s0, s0, s46
	s_mul_hi_u32 s0, s46, s0
	s_add_i32 s46, s46, s0
	s_cmp_lt_i32 s10, 0
	s_mul_hi_u32 s7, s3, s46
	s_cbranch_scc0 .LBB175_7
; %bb.6:
	s_mul_i32 s0, s16, s38
	s_add_i32 s0, s2, s0
	s_mul_i32 s0, s0, s10
	s_sub_i32 s47, 1, s0
	s_mov_b64 s[0:1], 0
	s_branch .LBB175_8
.LBB175_7:
	s_mov_b64 s[0:1], -1
                                        ; implicit-def: $sgpr47
.LBB175_8:
	s_load_dwordx2 s[30:31], s[4:5], 0x38
	s_ashr_i32 s11, s11, 31
	s_andn2_b64 vcc, exec, s[0:1]
	s_ashr_i32 s19, s19, 31
	s_cbranch_vccnz .LBB175_10
; %bb.9:
	s_mul_i32 s0, s25, s16
	s_add_i32 s0, s0, s6
	s_mul_i32 s0, s0, s10
	s_add_i32 s47, s0, 1
.LBB175_10:
	s_load_dword s0, s[4:5], 0x48
	s_load_dwordx2 s[36:37], s[4:5], 0x28
	s_load_dword s12, s[4:5], 0x98
	s_load_dwordx4 s[20:23], s[4:5], 0x0
	s_load_dwordx2 s[28:29], s[4:5], 0x10
	s_mul_i32 s1, s7, s27
	s_waitcnt lgkmcnt(0)
	s_mul_i32 s34, s24, s0
	s_sub_i32 s1, s3, s1
	s_ashr_i32 s35, s34, 31
	s_xor_b32 s0, s11, s19
	s_add_i32 s3, s7, 1
	s_sub_i32 s10, s1, s27
	s_cmp_ge_u32 s1, s27
	s_cselect_b32 s3, s3, s7
	s_cselect_b32 s1, s10, s1
	s_add_i32 s7, s3, 1
	s_cmp_ge_u32 s1, s27
	s_cselect_b32 s1, s7, s3
	s_xor_b32 s1, s1, s0
	s_sub_i32 s48, s1, s0
	s_add_i32 s0, s33, 31
	s_ashr_i32 s1, s0, 31
	s_lshr_b32 s1, s1, 27
	s_add_i32 s0, s0, s1
	s_lshl_b32 s38, s8, 4
	s_ashr_i32 s7, s0, 5
	s_add_i32 s0, s38, 16
	v_lshrrev_b32_e32 v57, 6, v0
	s_min_i32 s16, s0, s7
	v_or_b32_e32 v30, s38, v57
	v_cmp_gt_i32_e64 s[0:1], s16, v30
	v_mov_b32_e32 v63, 0xff7fffff
	s_mul_i32 s14, s2, s14
	v_ashrrev_i32_e32 v31, 31, v30
	v_lshl_add_u32 v1, v57, 5, s9
	v_mbcnt_lo_u32_b32 v58, -1, 0
	s_and_saveexec_b64 s[40:41], s[0:1]
	s_cbranch_execz .LBB175_20
; %bb.11:
	s_load_dwordx2 s[2:3], s[4:5], 0x20
	s_ashr_i32 s15, s14, 31
	s_sub_i32 s50, s48, s17
	s_lshl_b64 s[4:5], s[14:15], 1
	v_bfe_u32 v59, v0, 1, 5
	s_waitcnt lgkmcnt(0)
	s_add_u32 s2, s2, s4
	s_addc_u32 s3, s3, s5
	s_abs_i32 s15, s18
	v_cvt_f32_u32_e32 v5, s15
	v_lshlrev_b32_e32 v3, 4, v59
	v_mov_b32_e32 v4, s3
	v_add_co_u32_e64 v3, s[2:3], s2, v3
	v_rcp_iflag_f32_e32 v5, v5
	v_addc_co_u32_e64 v4, s[2:3], 0, v4, s[2:3]
	v_and_b32_e32 v6, 8, v56
	v_add_co_u32_e64 v60, s[2:3], v3, v6
	v_mul_f32_e32 v3, 0x4f7ffffe, v5
	v_cvt_u32_f32_e32 v3, v3
	s_sub_i32 s4, 0, s15
	v_cmp_eq_u32_e32 vcc, 0, v2
	v_mul_u32_u24_e32 v62, 0x70, v2
	v_mul_lo_u32 v2, s4, v3
	s_lshl_b64 s[4:5], s[34:35], 2
	v_mul_hi_u32 v2, v3, v2
	s_add_u32 s4, s30, s4
	v_add_u32_e32 v64, v3, v2
	v_lshlrev_b64 v[2:3], 2, v[30:31]
	s_addc_u32 s5, s31, s5
	v_addc_co_u32_e64 v61, s[2:3], 0, v4, s[2:3]
	v_mov_b32_e32 v4, s5
	v_add_co_u32_e64 v32, s[4:5], s4, v2
	v_lshlrev_b32_e32 v2, 2, v59
	v_lshl_or_b32 v2, v57, 7, v2
	v_add_u32_e32 v66, 0xf0, v2
	v_subrev_u32_e32 v2, s33, v59
	v_mbcnt_hi_u32_b32 v69, -1, v58
	v_add_u32_e32 v67, 1, v2
	v_and_b32_e32 v2, 64, v69
	s_mov_b32 s51, s13
	v_cmp_neq_f32_e64 s[2:3], s49, 0
	v_addc_co_u32_e64 v33, s[4:5], v4, v3, s[4:5]
	v_lshl_add_u32 v65, v57, 5, s9
	s_mov_b64 s[42:43], 0
	v_mov_b32_e32 v68, 0xff7fffff
	s_movk_i32 s52, 0x1000
	v_xor_b32_e32 v70, 1, v69
	v_add_u32_e32 v71, 64, v2
	v_mov_b32_e32 v63, 0xff7fffff
	v_mov_b32_e32 v72, v30
	s_branch .LBB175_14
.LBB175_12:                             ;   in Loop: Header=BB175_14 Depth=1
	s_or_b64 exec, exec, s[44:45]
.LBB175_13:                             ;   in Loop: Header=BB175_14 Depth=1
	s_or_b64 exec, exec, s[10:11]
	v_add_co_u32_e64 v32, s[4:5], 8, v32
	v_add_u32_e32 v72, 2, v72
	v_addc_co_u32_e64 v33, s[4:5], 0, v33, s[4:5]
	v_cmp_le_i32_e64 s[4:5], s16, v72
	v_add_u32_e32 v65, 64, v65
	s_or_b64 s[42:43], s[4:5], s[42:43]
	v_add_u32_e32 v66, 0x100, v66
	s_andn2_b64 exec, exec, s[42:43]
	s_cbranch_execz .LBB175_19
.LBB175_14:                             ; =>This Inner Loop Header: Depth=1
	s_waitcnt lgkmcnt(0)
	v_sub_u32_e32 v3, 0, v65
	v_max_i32_e32 v3, v65, v3
	v_mul_hi_u32 v4, v3, s46
	v_mul_lo_u32 v5, v4, s27
	v_sub_u32_e32 v3, v3, v5
	v_add_u32_e32 v5, 1, v4
	v_cmp_le_u32_e64 s[4:5], s27, v3
	v_cndmask_b32_e64 v4, v4, v5, s[4:5]
	v_subrev_u32_e32 v5, s27, v3
	v_cndmask_b32_e64 v3, v3, v5, s[4:5]
	v_ashrrev_i32_e32 v2, 31, v65
	v_add_u32_e32 v5, 1, v4
	v_cmp_le_u32_e64 s[4:5], s27, v3
	v_xor_b32_e32 v2, s19, v2
	v_cndmask_b32_e64 v3, v4, v5, s[4:5]
	v_xor_b32_e32 v3, v3, v2
	v_sub_u32_e32 v2, v3, v2
	v_add_u32_e32 v3, s47, v2
	v_sub_u32_e32 v5, 0, v3
	v_ashrrev_i32_e32 v4, 31, v3
	v_max_i32_e32 v3, v3, v5
	v_mul_hi_u32 v5, v3, v64
	v_mul_lo_u32 v5, v5, s15
	v_sub_u32_e32 v3, v3, v5
	v_subrev_u32_e32 v5, s15, v3
	v_cmp_le_u32_e64 s[4:5], s15, v3
	v_cndmask_b32_e64 v3, v3, v5, s[4:5]
	v_subrev_u32_e32 v5, s15, v3
	v_cmp_le_u32_e64 s[4:5], s15, v3
	v_cndmask_b32_e64 v3, v3, v5, s[4:5]
	v_xor_b32_e32 v3, v3, v4
	v_sub_u32_e32 v3, v3, v4
	v_cmp_ne_u32_e64 s[4:5], 0, v3
	v_cmp_ge_i32_e64 s[10:11], s50, v2
	s_and_b64 s[4:5], s[4:5], s[10:11]
	s_and_b64 s[44:45], vcc, s[4:5]
	s_and_saveexec_b64 s[10:11], s[44:45]
	s_cbranch_execz .LBB175_16
; %bb.15:                               ;   in Loop: Header=BB175_14 Depth=1
	ds_write_b32 v66, v68
.LBB175_16:                             ;   in Loop: Header=BB175_14 Depth=1
	s_or_b64 exec, exec, s[10:11]
	s_xor_b64 s[4:5], s[4:5], -1
	s_and_saveexec_b64 s[10:11], s[4:5]
	s_cbranch_execz .LBB175_13
; %bb.17:                               ;   in Loop: Header=BB175_14 Depth=1
	global_load_dword v2, v[32:33], off
	s_waitcnt vmcnt(0)
	v_mad_i64_i32 v[2:3], s[4:5], v2, s51, 0
	v_lshlrev_b64 v[2:3], 1, v[2:3]
	v_add_co_u32_e64 v36, s[4:5], v60, v2
	v_addc_co_u32_e64 v37, s[4:5], v61, v3, s[4:5]
	global_load_dwordx2 v[34:35], v[36:37], off offset:1024
	global_load_dwordx2 v[38:39], v[36:37], off offset:1536
	;; [unrolled: 1-line block ×3, first 2 shown]
	global_load_dwordx2 v[42:43], v[36:37], off
	ds_read_b128 v[26:29], v62
	ds_read_b128 v[22:25], v62 offset:16
	ds_read_b128 v[18:21], v62 offset:32
	;; [unrolled: 1-line block ×6, first 2 shown]
	global_load_dwordx2 v[46:47], v[36:37], off offset:2048
	global_load_dwordx2 v[48:49], v[36:37], off offset:2560
	;; [unrolled: 1-line block ×4, first 2 shown]
	v_cmp_lt_i32_e64 s[4:5], v70, v71
	v_cndmask_b32_e64 v44, v69, v70, s[4:5]
	v_add_co_u32_e64 v54, s[4:5], s52, v36
	v_addc_co_u32_e64 v55, s[4:5], 0, v37, s[4:5]
	global_load_dwordx2 v[36:37], v[54:55], off
	v_lshlrev_b32_e32 v73, 2, v44
	global_load_dwordx2 v[44:45], v[54:55], off offset:512
	s_waitcnt lgkmcnt(6)
	v_lshlrev_b32_e32 v74, 16, v26
	v_lshlrev_b32_e32 v75, 16, v27
	v_and_b32_e32 v98, 0xffff0000, v26
	v_and_b32_e32 v99, 0xffff0000, v27
	global_load_dwordx2 v[26:27], v[54:55], off offset:1024
	v_lshlrev_b32_e32 v76, 16, v28
	s_waitcnt lgkmcnt(1)
	v_lshlrev_b32_e32 v94, 16, v6
	v_lshlrev_b32_e32 v95, 16, v7
	;; [unrolled: 1-line block ×3, first 2 shown]
	v_and_b32_e32 v100, 0xffff0000, v6
	v_and_b32_e32 v101, 0xffff0000, v7
	global_load_dwordx2 v[6:7], v[54:55], off offset:1536
	v_and_b32_e32 v102, 0xffff0000, v8
	v_lshlrev_b32_e32 v97, 16, v9
	v_and_b32_e32 v103, 0xffff0000, v9
	v_lshlrev_b32_e32 v77, 16, v29
	v_and_b32_e32 v28, 0xffff0000, v28
	s_waitcnt lgkmcnt(0)
	v_lshlrev_b32_e32 v104, 16, v2
	v_lshlrev_b32_e32 v108, 16, v3
	v_and_b32_e32 v29, 0xffff0000, v29
	v_lshlrev_b32_e32 v78, 16, v22
	v_and_b32_e32 v22, 0xffff0000, v22
	v_lshlrev_b32_e32 v79, 16, v23
	v_lshlrev_b32_e32 v80, 16, v24
	v_and_b32_e32 v23, 0xffff0000, v23
	v_and_b32_e32 v24, 0xffff0000, v24
	v_lshlrev_b32_e32 v81, 16, v25
	v_lshlrev_b32_e32 v82, 16, v18
	v_and_b32_e32 v25, 0xffff0000, v25
	;; [unrolled: 4-line block ×7, first 2 shown]
	v_and_b32_e32 v12, 0xffff0000, v12
	v_lshlrev_b32_e32 v93, 16, v13
	v_and_b32_e32 v13, 0xffff0000, v13
	s_waitcnt vmcnt(11)
	v_lshlrev_b32_e32 v107, 16, v34
	v_and_b32_e32 v34, 0xffff0000, v34
	s_waitcnt vmcnt(9)
	v_lshlrev_b32_e32 v8, 16, v40
	s_waitcnt vmcnt(8)
	v_lshlrev_b32_e32 v9, 16, v42
	v_mul_f32_e32 v76, v76, v8
	v_lshlrev_b32_e32 v106, 16, v41
	v_fmac_f32_e32 v76, v74, v9
	global_load_dwordx2 v[8:9], v[54:55], off offset:2048
	v_and_b32_e32 v40, 0xffff0000, v40
	v_lshlrev_b32_e32 v105, 16, v43
	v_mul_f32_e32 v77, v77, v106
	v_mul_f32_e32 v28, v28, v40
	v_and_b32_e32 v40, 0xffff0000, v2
	v_fmac_f32_e32 v77, v75, v105
	v_and_b32_e32 v75, 0xffff0000, v3
	global_load_dwordx2 v[2:3], v[54:55], off offset:2560
	v_and_b32_e32 v42, 0xffff0000, v42
	v_and_b32_e32 v41, 0xffff0000, v41
	;; [unrolled: 1-line block ×3, first 2 shown]
	v_fmac_f32_e32 v28, v98, v42
	v_mul_f32_e32 v29, v29, v41
	v_lshlrev_b32_e32 v74, 16, v35
	v_and_b32_e32 v35, 0xffff0000, v35
	v_lshlrev_b32_e32 v106, 16, v38
	v_and_b32_e32 v38, 0xffff0000, v38
	v_fmac_f32_e32 v29, v99, v43
	v_fmac_f32_e32 v28, v22, v34
	v_lshlrev_b32_e32 v42, 16, v39
	v_and_b32_e32 v39, 0xffff0000, v39
	s_waitcnt vmcnt(9)
	v_and_b32_e32 v43, 0xffff0000, v46
	v_fmac_f32_e32 v76, v78, v107
	v_fmac_f32_e32 v77, v79, v74
	v_fmac_f32_e32 v29, v23, v35
	v_fmac_f32_e32 v28, v24, v38
	v_lshlrev_b32_e32 v41, 16, v46
	v_lshlrev_b32_e32 v46, 16, v47
	v_and_b32_e32 v47, 0xffff0000, v47
	s_waitcnt vmcnt(8)
	v_lshlrev_b32_e32 v54, 16, v48
	v_and_b32_e32 v48, 0xffff0000, v48
	v_fmac_f32_e32 v76, v80, v106
	v_fmac_f32_e32 v77, v81, v42
	v_fmac_f32_e32 v29, v25, v39
	v_fmac_f32_e32 v28, v18, v43
	v_lshlrev_b32_e32 v55, 16, v49
	v_and_b32_e32 v49, 0xffff0000, v49
	s_waitcnt vmcnt(7)
	v_and_b32_e32 v22, 0xffff0000, v50
	v_fmac_f32_e32 v76, v82, v41
	v_fmac_f32_e32 v77, v83, v46
	v_fmac_f32_e32 v29, v19, v47
	v_fmac_f32_e32 v28, v20, v48
	v_lshlrev_b32_e32 v78, 16, v50
	v_lshlrev_b32_e32 v34, 16, v51
	v_and_b32_e32 v50, 0xffff0000, v51
	s_waitcnt vmcnt(6)
	v_lshlrev_b32_e32 v51, 16, v52
	v_and_b32_e32 v52, 0xffff0000, v52
	v_fmac_f32_e32 v76, v84, v54
	v_fmac_f32_e32 v77, v85, v55
	;; [unrolled: 18-line block ×3, first 2 shown]
	v_fmac_f32_e32 v29, v17, v53
	v_fmac_f32_e32 v28, v10, v23
	v_lshlrev_b32_e32 v80, 16, v45
	v_and_b32_e32 v45, 0xffff0000, v45
	s_waitcnt vmcnt(3)
	v_and_b32_e32 v24, 0xffff0000, v26
	v_fmac_f32_e32 v76, v90, v79
	v_fmac_f32_e32 v77, v91, v35
	;; [unrolled: 1-line block ×4, first 2 shown]
	v_lshlrev_b32_e32 v98, 16, v26
	v_lshlrev_b32_e32 v26, 16, v27
	v_and_b32_e32 v27, 0xffff0000, v27
	v_fmac_f32_e32 v76, v92, v37
	v_fmac_f32_e32 v77, v93, v80
	;; [unrolled: 1-line block ×4, first 2 shown]
	s_waitcnt vmcnt(2)
	v_lshlrev_b32_e32 v10, 16, v6
	v_and_b32_e32 v6, 0xffff0000, v6
	v_fmac_f32_e32 v76, v94, v98
	v_fmac_f32_e32 v77, v95, v26
	;; [unrolled: 1-line block ×4, first 2 shown]
	v_lshlrev_b32_e32 v6, 16, v7
	v_and_b32_e32 v7, 0xffff0000, v7
	v_fmac_f32_e32 v76, v96, v10
	v_fmac_f32_e32 v77, v97, v6
	;; [unrolled: 1-line block ×3, first 2 shown]
	s_waitcnt vmcnt(1)
	v_lshlrev_b32_e32 v6, 16, v8
	v_and_b32_e32 v7, 0xffff0000, v8
	v_fmac_f32_e32 v76, v104, v6
	v_fmac_f32_e32 v28, v40, v7
	v_lshlrev_b32_e32 v6, 16, v9
	v_and_b32_e32 v7, 0xffff0000, v9
	v_fmac_f32_e32 v77, v108, v6
	v_fmac_f32_e32 v29, v75, v7
	v_lshlrev_b32_e32 v6, 16, v4
	v_and_b32_e32 v4, 0xffff0000, v4
	s_waitcnt vmcnt(0)
	v_lshlrev_b32_e32 v7, 16, v2
	v_and_b32_e32 v2, 0xffff0000, v2
	v_fmac_f32_e32 v76, v7, v6
	v_fmac_f32_e32 v28, v2, v4
	v_lshlrev_b32_e32 v2, 16, v5
	v_and_b32_e32 v4, 0xffff0000, v5
	v_lshlrev_b32_e32 v5, 16, v3
	v_and_b32_e32 v3, 0xffff0000, v3
	v_fmac_f32_e32 v77, v5, v2
	v_add_f32_e32 v2, v76, v28
	v_fmac_f32_e32 v29, v3, v4
	v_add_f32_e32 v2, v2, v77
	v_add_f32_e32 v2, v29, v2
	ds_bpermute_b32 v3, v73, v2
	s_and_saveexec_b64 s[44:45], vcc
	s_cbranch_execz .LBB175_12
; %bb.18:                               ;   in Loop: Header=BB175_14 Depth=1
	v_add_u32_e32 v4, v67, v65
	v_cvt_f32_i32_e32 v4, v4
	s_waitcnt lgkmcnt(0)
	v_add_f32_e32 v2, v2, v3
	v_add_u32_e32 v5, v59, v65
	v_cmp_gt_i32_e64 s[4:5], s33, v5
	v_mul_f32_e32 v3, s49, v4
	v_cndmask_b32_e64 v3, 0, v3, s[2:3]
	v_fmac_f32_e32 v3, s39, v2
	v_cndmask_b32_e64 v2, 0, v3, s[4:5]
	ds_write_b32 v66, v2
	v_max_f32_e32 v2, v63, v63
	v_max_f32_e32 v2, v2, v3
	v_cndmask_b32_e64 v63, v63, v2, s[4:5]
	s_branch .LBB175_12
.LBB175_19:
	s_or_b64 exec, exec, s[42:43]
.LBB175_20:
	s_or_b64 exec, exec, s[40:41]
	v_mbcnt_hi_u32_b32 v4, -1, v58
	v_and_b32_e32 v2, 64, v4
	v_add_u32_e32 v9, 64, v2
	v_xor_b32_e32 v2, 32, v4
	v_cmp_lt_i32_e32 vcc, v2, v9
	v_cndmask_b32_e32 v2, v4, v2, vcc
	v_lshlrev_b32_e32 v2, 2, v2
	s_waitcnt lgkmcnt(0)
	ds_bpermute_b32 v3, v2, v63
	v_xor_b32_e32 v6, 16, v4
	v_max_f32_e32 v5, v63, v63
	v_cmp_lt_i32_e32 vcc, v6, v9
	v_xor_b32_e32 v7, 8, v4
	s_waitcnt lgkmcnt(0)
	v_max_f32_e32 v3, v3, v3
	v_max_f32_e32 v5, v5, v3
	v_cndmask_b32_e32 v3, v4, v6, vcc
	v_lshlrev_b32_e32 v3, 2, v3
	ds_bpermute_b32 v6, v3, v5
	v_cmp_lt_i32_e32 vcc, v7, v9
	v_xor_b32_e32 v8, 4, v4
	v_xor_b32_e32 v10, 2, v4
	v_and_b32_e32 v18, 63, v0
	s_waitcnt lgkmcnt(0)
	v_max_f32_e32 v6, v6, v6
	v_max_f32_e32 v6, v5, v6
	v_cndmask_b32_e32 v5, v4, v7, vcc
	v_lshlrev_b32_e32 v5, 2, v5
	ds_bpermute_b32 v7, v5, v6
	v_cmp_lt_i32_e32 vcc, v8, v9
	s_waitcnt lgkmcnt(0)
	v_max_f32_e32 v7, v7, v7
	v_max_f32_e32 v7, v6, v7
	v_cndmask_b32_e32 v6, v4, v8, vcc
	v_lshlrev_b32_e32 v6, 2, v6
	ds_bpermute_b32 v8, v6, v7
	v_cmp_lt_i32_e32 vcc, v10, v9
	s_waitcnt lgkmcnt(0)
	v_max_f32_e32 v8, v8, v8
	v_max_f32_e32 v8, v7, v8
	v_cndmask_b32_e32 v7, v4, v10, vcc
	v_lshlrev_b32_e32 v19, 2, v7
	ds_bpermute_b32 v10, v19, v8
	v_cmp_eq_u32_e32 vcc, 0, v18
	v_lshlrev_b32_e32 v7, 2, v57
	s_and_saveexec_b64 s[2:3], vcc
	s_cbranch_execz .LBB175_22
; %bb.21:
	s_waitcnt lgkmcnt(0)
	v_max_f32_e32 v10, v10, v10
	v_max_f32_e32 v8, v8, v8
	;; [unrolled: 1-line block ×3, first 2 shown]
	ds_write_b32 v7, v8 offset:224
.LBB175_22:
	s_or_b64 exec, exec, s[2:3]
	v_cmp_gt_u32_e64 s[2:3], 2, v18
	s_waitcnt lgkmcnt(0)
	v_mov_b32_e32 v10, 0xff7fffff
	v_lshlrev_b32_e32 v8, 2, v18
	s_barrier
	s_and_saveexec_b64 s[4:5], s[2:3]
	s_cbranch_execz .LBB175_24
; %bb.23:
	ds_read_b32 v10, v8 offset:224
.LBB175_24:
	s_or_b64 exec, exec, s[4:5]
	v_xor_b32_e32 v11, 1, v4
	v_cmp_lt_i32_e64 s[4:5], v11, v9
	v_cndmask_b32_e64 v9, v4, v11, s[4:5]
	v_lshlrev_b32_e32 v20, 2, v9
	s_waitcnt lgkmcnt(0)
	ds_bpermute_b32 v9, v20, v10
	v_max_f32_e32 v10, v10, v10
	v_lshlrev_b32_e32 v4, 2, v4
	s_sub_i32 s4, s16, s38
	s_lshl_b32 s4, s4, 5
	s_waitcnt lgkmcnt(0)
	v_max_f32_e32 v9, v9, v9
	v_max_f32_e32 v10, v10, v9
	v_and_b32_e32 v9, 0x100, v4
	ds_bpermute_b32 v4, v9, v10
	s_add_i32 s4, s4, s9
	s_min_i32 s42, s4, s33
	s_sub_i32 s15, s42, s9
	v_cmp_gt_i32_e64 s[4:5], s15, v0
	v_mov_b32_e32 v10, 0
	s_and_saveexec_b64 s[38:39], s[4:5]
	s_cbranch_execz .LBB175_28
; %bb.25:
	v_mov_b32_e32 v10, 0xf0
	v_lshl_add_u32 v11, v0, 2, v10
	s_mov_b64 s[40:41], 0
	v_mov_b32_e32 v10, 0
	v_mov_b32_e32 v12, v0
.LBB175_26:                             ; =>This Inner Loop Header: Depth=1
	ds_read_b32 v13, v11
	v_add_u32_e32 v12, 0x80, v12
	v_cmp_le_i32_e64 s[10:11], s15, v12
	s_or_b64 s[40:41], s[10:11], s[40:41]
	s_waitcnt lgkmcnt(0)
	v_sub_f32_e32 v13, v13, v4
	v_mul_f32_e32 v13, 0x3fb8aa3b, v13
	v_exp_f32_e32 v13, v13
	ds_write_b32 v11, v13
	v_add_f32_e32 v10, v10, v13
	v_add_u32_e32 v11, 0x200, v11
	s_andn2_b64 exec, exec, s[40:41]
	s_cbranch_execnz .LBB175_26
; %bb.27:
	s_or_b64 exec, exec, s[40:41]
.LBB175_28:
	s_or_b64 exec, exec, s[38:39]
	ds_bpermute_b32 v2, v2, v10
	s_waitcnt lgkmcnt(0)
	v_add_f32_e32 v2, v10, v2
	ds_bpermute_b32 v3, v3, v2
	s_waitcnt lgkmcnt(0)
	v_add_f32_e32 v2, v2, v3
	;; [unrolled: 3-line block ×6, first 2 shown]
	s_and_saveexec_b64 s[10:11], vcc
	s_cbranch_execz .LBB175_30
; %bb.29:
	ds_write_b32 v7, v2 offset:232
.LBB175_30:
	s_or_b64 exec, exec, s[10:11]
	s_waitcnt lgkmcnt(0)
	s_barrier
	s_and_saveexec_b64 s[10:11], s[2:3]
	s_cbranch_execz .LBB175_32
; %bb.31:
	ds_read_b32 v2, v8 offset:232
.LBB175_32:
	s_or_b64 exec, exec, s[10:11]
	s_waitcnt lgkmcnt(0)
	ds_bpermute_b32 v3, v20, v2
	s_waitcnt lgkmcnt(0)
	v_add_f32_e32 v2, v2, v3
	ds_bpermute_b32 v5, v9, v2
	s_and_saveexec_b64 s[2:3], s[4:5]
	s_cbranch_execz .LBB175_45
; %bb.33:
	s_waitcnt lgkmcnt(0)
	v_add_f32_e32 v2, 0x358637bd, v5
	v_div_scale_f32 v3, s[4:5], v2, v2, 1.0
	v_rcp_f32_e32 v6, v3
	v_div_scale_f32 v7, vcc, 1.0, v2, 1.0
	s_movk_i32 s4, 0x7f
	v_fma_f32 v8, -v3, v6, 1.0
	v_fmac_f32_e32 v6, v8, v6
	v_mul_f32_e32 v8, v7, v6
	v_fma_f32 v9, -v3, v8, v7
	v_fmac_f32_e32 v8, v9, v6
	v_fma_f32 v3, -v3, v8, v7
	v_div_fmas_f32 v3, v3, v6, v8
	v_div_fixup_f32 v2, v3, v2, 1.0
	v_xad_u32 v3, v0, -1, s42
	v_subrev_u32_e32 v6, s9, v3
	v_cmp_lt_u32_e32 vcc, s4, v6
	s_mov_b64 s[10:11], -1
	v_mov_b32_e32 v3, v0
	s_and_saveexec_b64 s[4:5], vcc
	s_cbranch_execz .LBB175_42
; %bb.34:
	v_lshrrev_b32_e32 v6, 7, v6
	v_add_u32_e32 v8, -1, v6
	v_lshrrev_b32_e32 v7, 1, v8
	v_mov_b32_e32 v3, v2
	v_add_u32_e32 v7, 1, v7
	v_cmp_lt_u32_e32 vcc, 13, v8
	v_mov_b32_e32 v10, 0
	s_and_saveexec_b64 s[10:11], vcc
	s_cbranch_execz .LBB175_38
; %bb.35:
	v_mov_b32_e32 v9, 0xf0
	v_and_b32_e32 v8, -8, v7
	v_lshl_add_u32 v9, v0, 2, v9
	s_mov_b32 s9, 0
	s_mov_b64 s[38:39], 0
.LBB175_36:                             ; =>This Inner Loop Header: Depth=1
	ds_read2st64_b32 v[10:11], v9 offset1:2
	ds_read2st64_b32 v[12:13], v9 offset0:4 offset1:6
	ds_read2st64_b32 v[14:15], v9 offset0:8 offset1:10
	;; [unrolled: 1-line block ×3, first 2 shown]
	v_add_u32_e32 v8, -8, v8
	s_waitcnt lgkmcnt(3)
	v_pk_mul_f32 v[10:11], v[2:3], v[10:11]
	s_waitcnt lgkmcnt(2)
	v_pk_mul_f32 v[12:13], v[2:3], v[12:13]
	ds_write2st64_b32 v9, v10, v11 offset1:2
	ds_write2st64_b32 v9, v12, v13 offset0:4 offset1:6
	ds_read2st64_b32 v[12:13], v9 offset0:16 offset1:18
	s_waitcnt lgkmcnt(4)
	v_pk_mul_f32 v[10:11], v[2:3], v[14:15]
	ds_write2st64_b32 v9, v10, v11 offset0:8 offset1:10
	s_waitcnt lgkmcnt(4)
	v_pk_mul_f32 v[10:11], v[2:3], v[16:17]
	ds_write2st64_b32 v9, v10, v11 offset0:12 offset1:14
	ds_read2st64_b32 v[10:11], v9 offset0:20 offset1:22
	s_waitcnt lgkmcnt(3)
	v_pk_mul_f32 v[12:13], v[2:3], v[12:13]
	ds_read2st64_b32 v[14:15], v9 offset0:24 offset1:26
	ds_write2st64_b32 v9, v12, v13 offset0:16 offset1:18
	ds_read2st64_b32 v[12:13], v9 offset0:28 offset1:30
	s_waitcnt lgkmcnt(3)
	v_pk_mul_f32 v[10:11], v[2:3], v[10:11]
	ds_write2st64_b32 v9, v10, v11 offset0:20 offset1:22
	s_waitcnt lgkmcnt(3)
	v_pk_mul_f32 v[10:11], v[2:3], v[14:15]
	ds_write2st64_b32 v9, v10, v11 offset0:24 offset1:26
	s_waitcnt lgkmcnt(2)
	v_pk_mul_f32 v[10:11], v[2:3], v[12:13]
	s_add_i32 s9, s9, 16
	v_cmp_eq_u32_e32 vcc, 0, v8
	ds_write2st64_b32 v9, v10, v11 offset0:28 offset1:30
	v_add_u32_e32 v9, 0x2000, v9
	s_or_b64 s[38:39], vcc, s[38:39]
	v_mov_b32_e32 v10, s9
	s_andn2_b64 exec, exec, s[38:39]
	s_cbranch_execnz .LBB175_36
; %bb.37:
	s_or_b64 exec, exec, s[38:39]
.LBB175_38:
	s_or_b64 exec, exec, s[10:11]
	v_and_b32_e32 v7, 7, v7
	v_cmp_ne_u32_e32 vcc, 0, v7
	s_and_saveexec_b64 s[10:11], vcc
	s_cbranch_execz .LBB175_41
; %bb.39:
	v_lshlrev_b32_e32 v8, 9, v10
	v_lshlrev_b32_e32 v9, 2, v0
	s_movk_i32 s9, 0xf0
	v_add3_u32 v8, v8, v9, s9
	s_mov_b64 s[38:39], 0
.LBB175_40:                             ; =>This Inner Loop Header: Depth=1
	ds_read2st64_b32 v[10:11], v8 offset1:2
	v_add_u32_e32 v7, -1, v7
	v_cmp_eq_u32_e32 vcc, 0, v7
	s_or_b64 s[38:39], vcc, s[38:39]
	s_waitcnt lgkmcnt(0)
	v_pk_mul_f32 v[10:11], v[2:3], v[10:11]
	ds_write2st64_b32 v8, v10, v11 offset1:2
	v_add_u32_e32 v8, 0x400, v8
	s_andn2_b64 exec, exec, s[38:39]
	s_cbranch_execnz .LBB175_40
.LBB175_41:
	s_or_b64 exec, exec, s[10:11]
	v_add_u32_e32 v6, 1, v6
	v_and_b32_e32 v7, 0x3fffffe, v6
	v_cmp_ne_u32_e32 vcc, v6, v7
	v_lshl_add_u32 v3, v7, 7, v0
	s_orn2_b64 s[10:11], vcc, exec
.LBB175_42:
	s_or_b64 exec, exec, s[4:5]
	s_and_b64 exec, exec, s[10:11]
	s_cbranch_execz .LBB175_45
; %bb.43:
	v_mov_b32_e32 v6, 0xf0
	v_lshl_add_u32 v6, v3, 2, v6
	s_mov_b64 s[4:5], 0
.LBB175_44:                             ; =>This Inner Loop Header: Depth=1
	ds_read_b32 v7, v6
	v_add_u32_e32 v3, 0x80, v3
	v_cmp_le_i32_e32 vcc, s15, v3
	s_or_b64 s[4:5], vcc, s[4:5]
	s_waitcnt lgkmcnt(0)
	v_mul_f32_e32 v7, v2, v7
	ds_write_b32 v6, v7
	v_add_u32_e32 v6, 0x200, v6
	s_andn2_b64 exec, exec, s[4:5]
	s_cbranch_execnz .LBB175_44
.LBB175_45:
	s_or_b64 exec, exec, s[2:3]
	v_cmp_eq_u32_e32 vcc, 0, v0
	s_waitcnt lgkmcnt(0)
	s_barrier
	s_and_saveexec_b64 s[2:3], vcc
	s_cbranch_execz .LBB175_47
; %bb.46:
	s_mul_i32 s4, s12, s24
	s_mul_i32 s4, s4, s25
	s_ashr_i32 s5, s4, 31
	s_lshl_b64 s[4:5], s[4:5], 2
	s_add_u32 s9, s22, s4
	s_mul_i32 s10, s12, s6
	s_addc_u32 s15, s23, s5
	s_ashr_i32 s11, s10, 31
	s_lshl_b64 s[10:11], s[10:11], 2
	s_add_u32 s6, s9, s10
	s_addc_u32 s15, s15, s11
	s_ashr_i32 s9, s8, 31
	s_lshl_b64 s[22:23], s[8:9], 2
	s_add_u32 s38, s6, s22
	s_addc_u32 s39, s15, s23
	s_add_u32 s4, s20, s4
	s_addc_u32 s5, s21, s5
	;; [unrolled: 2-line block ×3, first 2 shown]
	s_add_u32 s4, s4, s22
	v_mov_b32_e32 v2, 0
	s_addc_u32 s5, s5, s23
	global_store_dword v2, v4, s[38:39]
	global_store_dword v2, v5, s[4:5]
.LBB175_47:
	s_or_b64 exec, exec, s[2:3]
	v_mov_b32_e32 v22, 0
	v_and_b32_e32 v21, 3, v0
	v_mov_b32_e32 v11, 0
	v_mov_b32_e32 v10, 0
	;; [unrolled: 1-line block ×6, first 2 shown]
	s_and_saveexec_b64 s[2:3], s[0:1]
	s_cbranch_execz .LBB175_323
; %bb.48:
	s_ashr_i32 s15, s14, 31
	s_sub_i32 s9, s48, s17
	s_lshl_b64 s[0:1], s[14:15], 1
	s_add_u32 s14, s36, s0
	s_addc_u32 s15, s37, s1
	s_abs_i32 s17, s18
	v_cvt_f32_u32_e32 v2, s17
	s_sub_i32 s0, 0, s17
	s_add_i32 s18, s7, -1
	v_lshlrev_b64 v[10:11], 2, v[30:31]
	v_rcp_iflag_f32_e32 v3, v2
	v_and_b32_e32 v2, 0x1f8, v56
	v_or_b32_e32 v4, 0x800, v2
	v_or_b32_e32 v6, 0xa00, v2
	v_mul_f32_e32 v3, 0x4f7ffffe, v3
	v_cvt_u32_f32_e32 v3, v3
	v_or_b32_e32 v8, 0xc00, v2
	v_and_b32_e32 v23, 24, v56
	v_mov_b32_e32 v24, 0
	v_mul_lo_u32 v5, s0, v3
	s_lshl_b64 s[0:1], s[34:35], 2
	s_add_u32 s0, s30, s0
	v_mul_hi_u32 v5, v3, v5
	s_addc_u32 s1, s31, s1
	v_add_u32_e32 v25, v3, v5
	v_mov_b32_e32 v3, s1
	v_add_co_u32_e32 v16, vcc, s0, v10
	v_addc_co_u32_e32 v17, vcc, v3, v11, vcc
	v_lshlrev_b32_e32 v3, 5, v21
	v_lshl_or_b32 v3, v57, 7, v3
	v_add_u32_e32 v26, 0xf0, v3
	s_mov_b64 s[4:5], 0
	s_mov_b32 s20, 0x7f800000
	s_movk_i32 s21, 0x7fff
	v_lshlrev_b32_e32 v27, 1, v2
	v_lshlrev_b32_e32 v28, 1, v4
	v_lshlrev_b32_e32 v29, 1, v6
	v_lshlrev_b32_e32 v31, 1, v8
	v_mov_b32_e32 v14, 0
	v_mov_b32_e32 v15, 0
	;; [unrolled: 1-line block ×7, first 2 shown]
	s_branch .LBB175_51
.LBB175_49:                             ;   in Loop: Header=BB175_51 Depth=1
	s_or_b64 exec, exec, s[0:1]
	v_and_b32_e32 v47, 0xffff0000, v89
	v_and_b32_e32 v46, 0xffff0000, v87
	;; [unrolled: 1-line block ×8, first 2 shown]
	v_pk_add_f32 v[46:47], v[50:51], v[46:47]
	v_pk_add_f32 v[42:43], v[44:45], v[42:43]
	v_add_f32_e32 v44, v46, v47
	v_add_f32_e32 v42, v44, v42
	v_add_f32_e32 v42, v42, v43
	v_and_b32_e32 v47, 0xffff0000, v81
	v_and_b32_e32 v46, 0xffff0000, v79
	v_and_b32_e32 v51, 0xffff0000, v80
	v_and_b32_e32 v50, 0xffff0000, v78
	v_add_f32_e32 v11, v11, v42
	v_and_b32_e32 v43, 0xffff0000, v85
	v_and_b32_e32 v42, 0xffff0000, v83
	v_and_b32_e32 v45, 0xffff0000, v84
	v_and_b32_e32 v44, 0xffff0000, v82
	v_pk_add_f32 v[46:47], v[50:51], v[46:47]
	v_pk_add_f32 v[42:43], v[44:45], v[42:43]
	v_add_f32_e32 v44, v46, v47
	v_add_f32_e32 v42, v44, v42
	v_add_f32_e32 v42, v42, v43
	v_and_b32_e32 v47, 0xffff0000, v73
	v_and_b32_e32 v46, 0xffff0000, v7
	v_and_b32_e32 v7, 0xffff0000, v72
	v_and_b32_e32 v6, 0xffff0000, v6
	v_add_f32_e32 v10, v10, v42
	v_and_b32_e32 v43, 0xffff0000, v77
	v_and_b32_e32 v42, 0xffff0000, v75
	v_and_b32_e32 v45, 0xffff0000, v76
	v_and_b32_e32 v44, 0xffff0000, v74
	v_pk_add_f32 v[6:7], v[6:7], v[46:47]
	v_pk_add_f32 v[42:43], v[44:45], v[42:43]
	v_add_f32_e32 v6, v6, v7
	v_add_f32_e32 v6, v6, v42
	v_add_f32_e32 v6, v6, v43
	v_and_b32_e32 v45, 0xffff0000, v67
	v_and_b32_e32 v44, 0xffff0000, v65
	v_and_b32_e32 v47, 0xffff0000, v66
	v_and_b32_e32 v46, 0xffff0000, v64
	v_add_f32_e32 v13, v13, v6
	v_and_b32_e32 v7, 0xffff0000, v71
	v_and_b32_e32 v6, 0xffff0000, v69
	v_and_b32_e32 v43, 0xffff0000, v70
	v_and_b32_e32 v42, 0xffff0000, v68
	v_pk_add_f32 v[44:45], v[46:47], v[44:45]
	v_pk_add_f32 v[6:7], v[42:43], v[6:7]
	v_add_f32_e32 v42, v44, v45
	v_add_f32_e32 v6, v42, v6
	v_add_f32_e32 v6, v6, v7
	v_and_b32_e32 v45, 0xffff0000, v59
	v_and_b32_e32 v44, 0xffff0000, v57
	v_and_b32_e32 v47, 0xffff0000, v58
	v_and_b32_e32 v46, 0xffff0000, v48
	v_add_f32_e32 v12, v12, v6
	v_and_b32_e32 v7, 0xffff0000, v63
	v_and_b32_e32 v6, 0xffff0000, v61
	v_and_b32_e32 v43, 0xffff0000, v62
	v_and_b32_e32 v42, 0xffff0000, v60
	v_pk_add_f32 v[44:45], v[46:47], v[44:45]
	v_pk_add_f32 v[6:7], v[42:43], v[6:7]
	v_add_f32_e32 v42, v44, v45
	v_add_f32_e32 v6, v42, v6
	;; [unrolled: 1-line block ×4, first 2 shown]
	v_and_b32_e32 v7, 0xffff0000, v37
	v_and_b32_e32 v6, 0xffff0000, v35
	;; [unrolled: 1-line block ×8, first 2 shown]
	v_pk_add_f32 v[8:9], v[8:9], v[36:37]
	v_pk_add_f32 v[6:7], v[34:35], v[6:7]
	v_add_f32_e32 v8, v8, v9
	v_add_f32_e32 v6, v8, v6
	;; [unrolled: 1-line block ×3, first 2 shown]
	v_and_b32_e32 v9, 0xffff0000, v39
	v_and_b32_e32 v8, 0xffff0000, v38
	;; [unrolled: 1-line block ×4, first 2 shown]
	v_add_f32_e32 v14, v14, v6
	v_and_b32_e32 v7, 0xffff0000, v41
	v_and_b32_e32 v6, 0xffff0000, v40
	;; [unrolled: 1-line block ×4, first 2 shown]
	v_pk_add_f32 v[2:3], v[2:3], v[8:9]
	v_pk_add_f32 v[4:5], v[4:5], v[6:7]
	v_add_f32_e32 v2, v2, v3
	v_add_f32_e32 v2, v2, v4
	v_add_f32_e32 v2, v2, v5
	v_add_f32_e32 v22, v22, v2
.LBB175_50:                             ;   in Loop: Header=BB175_51 Depth=1
	s_or_b64 exec, exec, s[6:7]
	v_add_co_u32_e32 v16, vcc, 8, v16
	v_add_u32_e32 v30, 2, v30
	v_addc_co_u32_e32 v17, vcc, 0, v17, vcc
	v_cmp_le_i32_e32 vcc, s16, v30
	v_add_u32_e32 v1, 64, v1
	s_or_b64 s[4:5], vcc, s[4:5]
	v_add_u32_e32 v26, 0x100, v26
	s_andn2_b64 exec, exec, s[4:5]
	s_cbranch_execz .LBB175_322
.LBB175_51:                             ; =>This Inner Loop Header: Depth=1
	v_sub_u32_e32 v3, 0, v1
	v_max_i32_e32 v3, v1, v3
	v_mul_hi_u32 v4, v3, s46
	v_mul_lo_u32 v5, v4, s27
	v_sub_u32_e32 v3, v3, v5
	v_add_u32_e32 v5, 1, v4
	v_cmp_le_u32_e32 vcc, s27, v3
	v_cndmask_b32_e32 v4, v4, v5, vcc
	v_subrev_u32_e32 v5, s27, v3
	v_cndmask_b32_e32 v3, v3, v5, vcc
	v_ashrrev_i32_e32 v2, 31, v1
	v_add_u32_e32 v5, 1, v4
	v_cmp_le_u32_e32 vcc, s27, v3
	v_xor_b32_e32 v2, s19, v2
	v_cndmask_b32_e32 v3, v4, v5, vcc
	v_xor_b32_e32 v3, v3, v2
	v_sub_u32_e32 v2, v3, v2
	v_add_u32_e32 v3, s47, v2
	v_sub_u32_e32 v5, 0, v3
	v_ashrrev_i32_e32 v4, 31, v3
	v_max_i32_e32 v3, v3, v5
	v_mul_hi_u32 v5, v3, v25
	v_mul_lo_u32 v5, v5, s17
	v_sub_u32_e32 v3, v3, v5
	v_subrev_u32_e32 v5, s17, v3
	v_cmp_le_u32_e32 vcc, s17, v3
	v_cndmask_b32_e32 v3, v3, v5, vcc
	v_subrev_u32_e32 v5, s17, v3
	v_cmp_le_u32_e32 vcc, s17, v3
	v_cndmask_b32_e32 v3, v3, v5, vcc
	v_xor_b32_e32 v3, v3, v4
	v_sub_u32_e32 v3, v3, v4
	v_cmp_eq_u32_e32 vcc, 0, v3
	v_cmp_lt_i32_e64 s[0:1], s9, v2
	s_or_b64 s[0:1], vcc, s[0:1]
	s_and_saveexec_b64 s[6:7], s[0:1]
	s_cbranch_execz .LBB175_50
; %bb.52:                               ;   in Loop: Header=BB175_51 Depth=1
	global_load_dword v38, v[16:17], off
	ds_read2_b64 v[6:9], v26 offset1:1
	ds_read2_b64 v[2:5], v26 offset0:2 offset1:3
                                        ; implicit-def: $vgpr49
	s_waitcnt lgkmcnt(1)
	v_and_b32_e32 v32, 0x7f800000, v6
	v_cmp_ne_u32_e32 vcc, s20, v32
	s_and_saveexec_b64 s[0:1], vcc
	s_xor_b64 s[0:1], exec, s[0:1]
; %bb.53:                               ;   in Loop: Header=BB175_51 Depth=1
	v_bfe_u32 v32, v6, 16, 1
	v_add3_u32 v49, v6, v32, s21
; %bb.54:                               ;   in Loop: Header=BB175_51 Depth=1
	s_andn2_saveexec_b64 s[0:1], s[0:1]
; %bb.55:                               ;   in Loop: Header=BB175_51 Depth=1
	v_or_b32_e32 v32, 0x10000, v6
	v_cmp_eq_u32_sdwa vcc, v6, v24 src0_sel:WORD_0 src1_sel:DWORD
	v_cndmask_b32_e32 v49, v32, v6, vcc
; %bb.56:                               ;   in Loop: Header=BB175_51 Depth=1
	s_or_b64 exec, exec, s[0:1]
	v_and_b32_e32 v6, 0x7f800000, v7
	v_cmp_ne_u32_e32 vcc, s20, v6
                                        ; implicit-def: $vgpr48
	s_and_saveexec_b64 s[0:1], vcc
	s_xor_b64 s[0:1], exec, s[0:1]
; %bb.57:                               ;   in Loop: Header=BB175_51 Depth=1
	v_bfe_u32 v6, v7, 16, 1
	v_add3_u32 v48, v7, v6, s21
; %bb.58:                               ;   in Loop: Header=BB175_51 Depth=1
	s_andn2_saveexec_b64 s[0:1], s[0:1]
; %bb.59:                               ;   in Loop: Header=BB175_51 Depth=1
	v_or_b32_e32 v6, 0x10000, v7
	v_cmp_eq_u32_sdwa vcc, v7, v24 src0_sel:WORD_0 src1_sel:DWORD
	v_cndmask_b32_e32 v48, v6, v7, vcc
; %bb.60:                               ;   in Loop: Header=BB175_51 Depth=1
	s_or_b64 exec, exec, s[0:1]
	v_and_b32_e32 v6, 0x7f800000, v8
	v_cmp_ne_u32_e32 vcc, s20, v6
                                        ; implicit-def: $vgpr32
	s_and_saveexec_b64 s[0:1], vcc
	s_xor_b64 s[0:1], exec, s[0:1]
; %bb.61:                               ;   in Loop: Header=BB175_51 Depth=1
	v_bfe_u32 v6, v8, 16, 1
	v_add3_u32 v32, v8, v6, s21
; %bb.62:                               ;   in Loop: Header=BB175_51 Depth=1
	s_andn2_saveexec_b64 s[0:1], s[0:1]
; %bb.63:                               ;   in Loop: Header=BB175_51 Depth=1
	v_or_b32_e32 v6, 0x10000, v8
	v_cmp_eq_u32_sdwa vcc, v8, v24 src0_sel:WORD_0 src1_sel:DWORD
	v_cndmask_b32_e32 v32, v6, v8, vcc
; %bb.64:                               ;   in Loop: Header=BB175_51 Depth=1
	s_or_b64 exec, exec, s[0:1]
	v_and_b32_e32 v6, 0x7f800000, v9
	v_cmp_ne_u32_e32 vcc, s20, v6
                                        ; implicit-def: $vgpr33
	s_and_saveexec_b64 s[0:1], vcc
	s_xor_b64 s[0:1], exec, s[0:1]
; %bb.65:                               ;   in Loop: Header=BB175_51 Depth=1
	v_bfe_u32 v6, v9, 16, 1
	v_add3_u32 v33, v9, v6, s21
                                        ; implicit-def: $vgpr6_vgpr7_vgpr8_vgpr9
; %bb.66:                               ;   in Loop: Header=BB175_51 Depth=1
	s_andn2_saveexec_b64 s[0:1], s[0:1]
; %bb.67:                               ;   in Loop: Header=BB175_51 Depth=1
	v_or_b32_e32 v6, 0x10000, v9
	v_cmp_eq_u32_sdwa vcc, v9, v24 src0_sel:WORD_0 src1_sel:DWORD
	v_cndmask_b32_e32 v33, v6, v9, vcc
; %bb.68:                               ;   in Loop: Header=BB175_51 Depth=1
	s_or_b64 exec, exec, s[0:1]
	s_waitcnt lgkmcnt(0)
	v_and_b32_e32 v6, 0x7f800000, v2
	v_cmp_ne_u32_e32 vcc, s20, v6
                                        ; implicit-def: $vgpr34
	s_and_saveexec_b64 s[0:1], vcc
	s_xor_b64 s[0:1], exec, s[0:1]
; %bb.69:                               ;   in Loop: Header=BB175_51 Depth=1
	v_bfe_u32 v6, v2, 16, 1
	v_add3_u32 v34, v2, v6, s21
; %bb.70:                               ;   in Loop: Header=BB175_51 Depth=1
	s_andn2_saveexec_b64 s[0:1], s[0:1]
; %bb.71:                               ;   in Loop: Header=BB175_51 Depth=1
	v_or_b32_e32 v6, 0x10000, v2
	v_cmp_eq_u32_sdwa vcc, v2, v24 src0_sel:WORD_0 src1_sel:DWORD
	v_cndmask_b32_e32 v34, v6, v2, vcc
; %bb.72:                               ;   in Loop: Header=BB175_51 Depth=1
	s_or_b64 exec, exec, s[0:1]
	v_and_b32_e32 v2, 0x7f800000, v3
	v_cmp_ne_u32_e32 vcc, s20, v2
                                        ; implicit-def: $vgpr35
	s_and_saveexec_b64 s[0:1], vcc
	s_xor_b64 s[0:1], exec, s[0:1]
; %bb.73:                               ;   in Loop: Header=BB175_51 Depth=1
	v_bfe_u32 v2, v3, 16, 1
	v_add3_u32 v35, v3, v2, s21
; %bb.74:                               ;   in Loop: Header=BB175_51 Depth=1
	s_andn2_saveexec_b64 s[0:1], s[0:1]
; %bb.75:                               ;   in Loop: Header=BB175_51 Depth=1
	v_or_b32_e32 v2, 0x10000, v3
	v_cmp_eq_u32_sdwa vcc, v3, v24 src0_sel:WORD_0 src1_sel:DWORD
	v_cndmask_b32_e32 v35, v2, v3, vcc
; %bb.76:                               ;   in Loop: Header=BB175_51 Depth=1
	s_or_b64 exec, exec, s[0:1]
	v_and_b32_e32 v2, 0x7f800000, v4
	v_cmp_ne_u32_e32 vcc, s20, v2
                                        ; implicit-def: $vgpr36
	s_and_saveexec_b64 s[0:1], vcc
	s_xor_b64 s[0:1], exec, s[0:1]
; %bb.77:                               ;   in Loop: Header=BB175_51 Depth=1
	v_bfe_u32 v2, v4, 16, 1
	v_add3_u32 v36, v4, v2, s21
; %bb.78:                               ;   in Loop: Header=BB175_51 Depth=1
	s_andn2_saveexec_b64 s[0:1], s[0:1]
; %bb.79:                               ;   in Loop: Header=BB175_51 Depth=1
	v_or_b32_e32 v2, 0x10000, v4
	v_cmp_eq_u32_sdwa vcc, v4, v24 src0_sel:WORD_0 src1_sel:DWORD
	v_cndmask_b32_e32 v36, v2, v4, vcc
; %bb.80:                               ;   in Loop: Header=BB175_51 Depth=1
	s_or_b64 exec, exec, s[0:1]
	v_and_b32_e32 v2, 0x7f800000, v5
	v_cmp_ne_u32_e32 vcc, s20, v2
                                        ; implicit-def: $vgpr37
	s_and_saveexec_b64 s[0:1], vcc
	s_xor_b64 s[0:1], exec, s[0:1]
; %bb.81:                               ;   in Loop: Header=BB175_51 Depth=1
	v_bfe_u32 v2, v5, 16, 1
	v_add3_u32 v37, v5, v2, s21
                                        ; implicit-def: $vgpr2_vgpr3_vgpr4_vgpr5
; %bb.82:                               ;   in Loop: Header=BB175_51 Depth=1
	s_andn2_saveexec_b64 s[0:1], s[0:1]
; %bb.83:                               ;   in Loop: Header=BB175_51 Depth=1
	v_or_b32_e32 v2, 0x10000, v5
	v_cmp_eq_u32_sdwa vcc, v5, v24 src0_sel:WORD_0 src1_sel:DWORD
	v_cndmask_b32_e32 v37, v2, v5, vcc
; %bb.84:                               ;   in Loop: Header=BB175_51 Depth=1
	s_or_b64 exec, exec, s[0:1]
	s_waitcnt vmcnt(0)
	v_mad_i64_i32 v[2:3], s[0:1], v38, s13, 0
	v_lshlrev_b64 v[2:3], 1, v[2:3]
	v_mov_b32_e32 v4, s15
	v_add_co_u32_e32 v46, vcc, s14, v2
	v_addc_co_u32_e32 v47, vcc, v4, v3, vcc
	v_add_co_u32_e32 v6, vcc, v46, v27
	v_addc_co_u32_e32 v7, vcc, 0, v47, vcc
	global_load_dwordx4 v[2:5], v[6:7], off
	v_add_u32_e32 v38, v23, v1
	v_cmp_eq_u32_e32 vcc, s18, v30
	v_add_u32_e32 v45, 1, v38
	v_add_u32_e32 v44, 2, v38
	v_add_u32_e32 v42, 3, v38
	v_add_u32_e32 v41, 4, v38
	v_add_u32_e32 v40, 5, v38
	v_add_u32_e32 v39, 6, v38
	v_add_u32_e32 v43, 7, v38
	s_waitcnt vmcnt(0)
	v_lshrrev_b32_e32 v9, 16, v2
	v_lshrrev_b32_e32 v53, 16, v3
	;; [unrolled: 1-line block ×4, first 2 shown]
	s_and_saveexec_b64 s[10:11], vcc
	s_cbranch_execz .LBB175_86
; %bb.85:                               ;   in Loop: Header=BB175_51 Depth=1
	v_cmp_gt_i32_e64 s[0:1], s33, v38
	v_cndmask_b32_e64 v2, 0, v2, s[0:1]
	v_cmp_gt_i32_e64 s[0:1], s33, v45
	v_cndmask_b32_e64 v9, 0, v9, s[0:1]
	;; [unrolled: 2-line block ×8, first 2 shown]
.LBB175_86:                             ;   in Loop: Header=BB175_51 Depth=1
	s_or_b64 exec, exec, s[10:11]
	v_and_b32_e32 v49, 0xffff0000, v49
	v_lshlrev_b32_e32 v2, 16, v2
	v_mul_f32_e32 v2, v49, v2
	v_and_b32_e32 v8, 0x7f800000, v2
	v_cmp_ne_u32_e64 s[0:1], s20, v8
                                        ; implicit-def: $vgpr8
	s_and_saveexec_b64 s[10:11], s[0:1]
	s_xor_b64 s[0:1], exec, s[10:11]
; %bb.87:                               ;   in Loop: Header=BB175_51 Depth=1
	v_bfe_u32 v8, v2, 16, 1
	v_add3_u32 v8, v2, v8, s21
                                        ; implicit-def: $vgpr2
; %bb.88:                               ;   in Loop: Header=BB175_51 Depth=1
	s_andn2_saveexec_b64 s[10:11], s[0:1]
; %bb.89:                               ;   in Loop: Header=BB175_51 Depth=1
	v_or_b32_e32 v8, 0x10000, v2
	v_cmp_eq_u32_sdwa s[0:1], v2, v24 src0_sel:WORD_0 src1_sel:DWORD
	v_cndmask_b32_e64 v8, v8, v2, s[0:1]
; %bb.90:                               ;   in Loop: Header=BB175_51 Depth=1
	s_or_b64 exec, exec, s[10:11]
	v_and_b32_e32 v50, 0xffff0000, v48
	v_lshlrev_b32_e32 v2, 16, v9
	v_mul_f32_e32 v2, v50, v2
	v_and_b32_e32 v9, 0x7f800000, v2
	v_cmp_ne_u32_e64 s[0:1], s20, v9
                                        ; implicit-def: $vgpr9
	s_and_saveexec_b64 s[10:11], s[0:1]
	s_xor_b64 s[0:1], exec, s[10:11]
; %bb.91:                               ;   in Loop: Header=BB175_51 Depth=1
	v_bfe_u32 v9, v2, 16, 1
	v_add3_u32 v9, v2, v9, s21
                                        ; implicit-def: $vgpr2
; %bb.92:                               ;   in Loop: Header=BB175_51 Depth=1
	s_andn2_saveexec_b64 s[10:11], s[0:1]
; %bb.93:                               ;   in Loop: Header=BB175_51 Depth=1
	v_or_b32_e32 v9, 0x10000, v2
	v_cmp_eq_u32_sdwa s[0:1], v2, v24 src0_sel:WORD_0 src1_sel:DWORD
	v_cndmask_b32_e64 v9, v9, v2, s[0:1]
; %bb.94:                               ;   in Loop: Header=BB175_51 Depth=1
	s_or_b64 exec, exec, s[10:11]
	v_and_b32_e32 v51, 0xffff0000, v32
	v_lshlrev_b32_e32 v2, 16, v3
	v_mul_f32_e32 v2, v51, v2
	v_and_b32_e32 v3, 0x7f800000, v2
	v_cmp_ne_u32_e64 s[0:1], s20, v3
                                        ; implicit-def: $vgpr32
	s_and_saveexec_b64 s[10:11], s[0:1]
	s_xor_b64 s[0:1], exec, s[10:11]
; %bb.95:                               ;   in Loop: Header=BB175_51 Depth=1
	v_bfe_u32 v3, v2, 16, 1
	v_add3_u32 v32, v2, v3, s21
                                        ; implicit-def: $vgpr2
; %bb.96:                               ;   in Loop: Header=BB175_51 Depth=1
	s_andn2_saveexec_b64 s[10:11], s[0:1]
; %bb.97:                               ;   in Loop: Header=BB175_51 Depth=1
	v_or_b32_e32 v3, 0x10000, v2
	v_cmp_eq_u32_sdwa s[0:1], v2, v24 src0_sel:WORD_0 src1_sel:DWORD
	v_cndmask_b32_e64 v32, v3, v2, s[0:1]
; %bb.98:                               ;   in Loop: Header=BB175_51 Depth=1
	s_or_b64 exec, exec, s[10:11]
	v_and_b32_e32 v52, 0xffff0000, v33
	v_lshlrev_b32_e32 v2, 16, v53
	v_mul_f32_e32 v2, v52, v2
	v_and_b32_e32 v3, 0x7f800000, v2
	v_cmp_ne_u32_e64 s[0:1], s20, v3
                                        ; implicit-def: $vgpr33
	s_and_saveexec_b64 s[10:11], s[0:1]
	s_xor_b64 s[0:1], exec, s[10:11]
; %bb.99:                               ;   in Loop: Header=BB175_51 Depth=1
	v_bfe_u32 v3, v2, 16, 1
	v_add3_u32 v33, v2, v3, s21
                                        ; implicit-def: $vgpr2
; %bb.100:                              ;   in Loop: Header=BB175_51 Depth=1
	s_andn2_saveexec_b64 s[10:11], s[0:1]
; %bb.101:                              ;   in Loop: Header=BB175_51 Depth=1
	v_or_b32_e32 v3, 0x10000, v2
	v_cmp_eq_u32_sdwa s[0:1], v2, v24 src0_sel:WORD_0 src1_sel:DWORD
	v_cndmask_b32_e64 v33, v3, v2, s[0:1]
; %bb.102:                              ;   in Loop: Header=BB175_51 Depth=1
	s_or_b64 exec, exec, s[10:11]
	v_and_b32_e32 v53, 0xffff0000, v34
	v_lshlrev_b32_e32 v2, 16, v4
	v_mul_f32_e32 v2, v53, v2
	v_and_b32_e32 v3, 0x7f800000, v2
	v_cmp_ne_u32_e64 s[0:1], s20, v3
                                        ; implicit-def: $vgpr34
	s_and_saveexec_b64 s[10:11], s[0:1]
	s_xor_b64 s[0:1], exec, s[10:11]
; %bb.103:                              ;   in Loop: Header=BB175_51 Depth=1
	v_bfe_u32 v3, v2, 16, 1
	v_add3_u32 v34, v2, v3, s21
                                        ; implicit-def: $vgpr2
; %bb.104:                              ;   in Loop: Header=BB175_51 Depth=1
	s_andn2_saveexec_b64 s[10:11], s[0:1]
; %bb.105:                              ;   in Loop: Header=BB175_51 Depth=1
	v_or_b32_e32 v3, 0x10000, v2
	v_cmp_eq_u32_sdwa s[0:1], v2, v24 src0_sel:WORD_0 src1_sel:DWORD
	v_cndmask_b32_e64 v34, v3, v2, s[0:1]
; %bb.106:                              ;   in Loop: Header=BB175_51 Depth=1
	s_or_b64 exec, exec, s[10:11]
	v_and_b32_e32 v54, 0xffff0000, v35
	v_lshlrev_b32_e32 v2, 16, v55
	v_mul_f32_e32 v2, v54, v2
	v_and_b32_e32 v3, 0x7f800000, v2
	v_cmp_ne_u32_e64 s[0:1], s20, v3
                                        ; implicit-def: $vgpr35
	s_and_saveexec_b64 s[10:11], s[0:1]
	s_xor_b64 s[0:1], exec, s[10:11]
; %bb.107:                              ;   in Loop: Header=BB175_51 Depth=1
	v_bfe_u32 v3, v2, 16, 1
	v_add3_u32 v35, v2, v3, s21
                                        ; implicit-def: $vgpr2
; %bb.108:                              ;   in Loop: Header=BB175_51 Depth=1
	s_andn2_saveexec_b64 s[10:11], s[0:1]
; %bb.109:                              ;   in Loop: Header=BB175_51 Depth=1
	v_or_b32_e32 v3, 0x10000, v2
	v_cmp_eq_u32_sdwa s[0:1], v2, v24 src0_sel:WORD_0 src1_sel:DWORD
	v_cndmask_b32_e64 v35, v3, v2, s[0:1]
; %bb.110:                              ;   in Loop: Header=BB175_51 Depth=1
	s_or_b64 exec, exec, s[10:11]
	v_and_b32_e32 v55, 0xffff0000, v36
	v_lshlrev_b32_e32 v2, 16, v5
	v_mul_f32_e32 v2, v55, v2
	v_and_b32_e32 v3, 0x7f800000, v2
	v_cmp_ne_u32_e64 s[0:1], s20, v3
                                        ; implicit-def: $vgpr36
	s_and_saveexec_b64 s[10:11], s[0:1]
	s_xor_b64 s[0:1], exec, s[10:11]
; %bb.111:                              ;   in Loop: Header=BB175_51 Depth=1
	v_bfe_u32 v3, v2, 16, 1
	v_add3_u32 v36, v2, v3, s21
                                        ; implicit-def: $vgpr2
; %bb.112:                              ;   in Loop: Header=BB175_51 Depth=1
	s_andn2_saveexec_b64 s[10:11], s[0:1]
; %bb.113:                              ;   in Loop: Header=BB175_51 Depth=1
	v_or_b32_e32 v3, 0x10000, v2
	v_cmp_eq_u32_sdwa s[0:1], v2, v24 src0_sel:WORD_0 src1_sel:DWORD
	v_cndmask_b32_e64 v36, v3, v2, s[0:1]
; %bb.114:                              ;   in Loop: Header=BB175_51 Depth=1
	s_or_b64 exec, exec, s[10:11]
	v_and_b32_e32 v56, 0xffff0000, v37
	v_lshlrev_b32_e32 v2, 16, v57
	v_mul_f32_e32 v2, v56, v2
	v_and_b32_e32 v3, 0x7f800000, v2
	v_cmp_ne_u32_e64 s[0:1], s20, v3
                                        ; implicit-def: $vgpr37
	s_and_saveexec_b64 s[10:11], s[0:1]
	s_xor_b64 s[0:1], exec, s[10:11]
; %bb.115:                              ;   in Loop: Header=BB175_51 Depth=1
	v_bfe_u32 v3, v2, 16, 1
	v_add3_u32 v37, v2, v3, s21
                                        ; implicit-def: $vgpr2
; %bb.116:                              ;   in Loop: Header=BB175_51 Depth=1
	s_andn2_saveexec_b64 s[10:11], s[0:1]
; %bb.117:                              ;   in Loop: Header=BB175_51 Depth=1
	v_or_b32_e32 v3, 0x10000, v2
	v_cmp_eq_u32_sdwa s[0:1], v2, v24 src0_sel:WORD_0 src1_sel:DWORD
	v_cndmask_b32_e64 v37, v3, v2, s[0:1]
; %bb.118:                              ;   in Loop: Header=BB175_51 Depth=1
	s_or_b64 exec, exec, s[10:11]
	global_load_dwordx4 v[2:5], v[6:7], off offset:1024
	s_waitcnt vmcnt(0)
	v_lshrrev_b32_e32 v57, 16, v2
	v_lshrrev_b32_e32 v59, 16, v3
	;; [unrolled: 1-line block ×4, first 2 shown]
	s_and_saveexec_b64 s[10:11], vcc
	s_cbranch_execz .LBB175_120
; %bb.119:                              ;   in Loop: Header=BB175_51 Depth=1
	v_cmp_gt_i32_e64 s[0:1], s33, v38
	v_cndmask_b32_e64 v2, 0, v2, s[0:1]
	v_cmp_gt_i32_e64 s[0:1], s33, v45
	v_cndmask_b32_e64 v57, 0, v57, s[0:1]
	v_cmp_gt_i32_e64 s[0:1], s33, v44
	v_cndmask_b32_e64 v3, 0, v3, s[0:1]
	v_cmp_gt_i32_e64 s[0:1], s33, v42
	v_cndmask_b32_e64 v59, 0, v59, s[0:1]
	v_cmp_gt_i32_e64 s[0:1], s33, v41
	v_cndmask_b32_e64 v4, 0, v4, s[0:1]
	v_cmp_gt_i32_e64 s[0:1], s33, v40
	v_cndmask_b32_e64 v61, 0, v61, s[0:1]
	v_cmp_gt_i32_e64 s[0:1], s33, v39
	v_cndmask_b32_e64 v5, 0, v5, s[0:1]
	v_cmp_gt_i32_e64 s[0:1], s33, v43
	v_cndmask_b32_e64 v63, 0, v63, s[0:1]
.LBB175_120:                            ;   in Loop: Header=BB175_51 Depth=1
	s_or_b64 exec, exec, s[10:11]
	v_lshlrev_b32_e32 v2, 16, v2
	v_mul_f32_e32 v2, v49, v2
	v_and_b32_e32 v48, 0x7f800000, v2
	v_cmp_ne_u32_e64 s[0:1], s20, v48
                                        ; implicit-def: $vgpr48
	s_and_saveexec_b64 s[10:11], s[0:1]
	s_xor_b64 s[0:1], exec, s[10:11]
; %bb.121:                              ;   in Loop: Header=BB175_51 Depth=1
	v_bfe_u32 v48, v2, 16, 1
	v_add3_u32 v48, v2, v48, s21
                                        ; implicit-def: $vgpr2
; %bb.122:                              ;   in Loop: Header=BB175_51 Depth=1
	s_andn2_saveexec_b64 s[10:11], s[0:1]
; %bb.123:                              ;   in Loop: Header=BB175_51 Depth=1
	v_or_b32_e32 v48, 0x10000, v2
	v_cmp_eq_u32_sdwa s[0:1], v2, v24 src0_sel:WORD_0 src1_sel:DWORD
	v_cndmask_b32_e64 v48, v48, v2, s[0:1]
; %bb.124:                              ;   in Loop: Header=BB175_51 Depth=1
	s_or_b64 exec, exec, s[10:11]
	v_lshlrev_b32_e32 v2, 16, v57
	v_mul_f32_e32 v2, v50, v2
	v_and_b32_e32 v57, 0x7f800000, v2
	v_cmp_ne_u32_e64 s[0:1], s20, v57
                                        ; implicit-def: $vgpr57
	s_and_saveexec_b64 s[10:11], s[0:1]
	s_xor_b64 s[0:1], exec, s[10:11]
; %bb.125:                              ;   in Loop: Header=BB175_51 Depth=1
	v_bfe_u32 v57, v2, 16, 1
	v_add3_u32 v57, v2, v57, s21
                                        ; implicit-def: $vgpr2
; %bb.126:                              ;   in Loop: Header=BB175_51 Depth=1
	s_andn2_saveexec_b64 s[10:11], s[0:1]
; %bb.127:                              ;   in Loop: Header=BB175_51 Depth=1
	v_or_b32_e32 v57, 0x10000, v2
	v_cmp_eq_u32_sdwa s[0:1], v2, v24 src0_sel:WORD_0 src1_sel:DWORD
	v_cndmask_b32_e64 v57, v57, v2, s[0:1]
; %bb.128:                              ;   in Loop: Header=BB175_51 Depth=1
	s_or_b64 exec, exec, s[10:11]
	v_lshlrev_b32_e32 v2, 16, v3
	v_mul_f32_e32 v2, v51, v2
	v_and_b32_e32 v3, 0x7f800000, v2
	v_cmp_ne_u32_e64 s[0:1], s20, v3
                                        ; implicit-def: $vgpr58
	s_and_saveexec_b64 s[10:11], s[0:1]
	s_xor_b64 s[0:1], exec, s[10:11]
; %bb.129:                              ;   in Loop: Header=BB175_51 Depth=1
	v_bfe_u32 v3, v2, 16, 1
	v_add3_u32 v58, v2, v3, s21
                                        ; implicit-def: $vgpr2
; %bb.130:                              ;   in Loop: Header=BB175_51 Depth=1
	s_andn2_saveexec_b64 s[10:11], s[0:1]
; %bb.131:                              ;   in Loop: Header=BB175_51 Depth=1
	v_or_b32_e32 v3, 0x10000, v2
	v_cmp_eq_u32_sdwa s[0:1], v2, v24 src0_sel:WORD_0 src1_sel:DWORD
	v_cndmask_b32_e64 v58, v3, v2, s[0:1]
; %bb.132:                              ;   in Loop: Header=BB175_51 Depth=1
	s_or_b64 exec, exec, s[10:11]
	v_lshlrev_b32_e32 v2, 16, v59
	v_mul_f32_e32 v2, v52, v2
	v_and_b32_e32 v3, 0x7f800000, v2
	v_cmp_ne_u32_e64 s[0:1], s20, v3
                                        ; implicit-def: $vgpr59
	s_and_saveexec_b64 s[10:11], s[0:1]
	s_xor_b64 s[0:1], exec, s[10:11]
; %bb.133:                              ;   in Loop: Header=BB175_51 Depth=1
	v_bfe_u32 v3, v2, 16, 1
	v_add3_u32 v59, v2, v3, s21
                                        ; implicit-def: $vgpr2
; %bb.134:                              ;   in Loop: Header=BB175_51 Depth=1
	s_andn2_saveexec_b64 s[10:11], s[0:1]
; %bb.135:                              ;   in Loop: Header=BB175_51 Depth=1
	v_or_b32_e32 v3, 0x10000, v2
	v_cmp_eq_u32_sdwa s[0:1], v2, v24 src0_sel:WORD_0 src1_sel:DWORD
	v_cndmask_b32_e64 v59, v3, v2, s[0:1]
; %bb.136:                              ;   in Loop: Header=BB175_51 Depth=1
	s_or_b64 exec, exec, s[10:11]
	v_lshlrev_b32_e32 v2, 16, v4
	v_mul_f32_e32 v2, v53, v2
	v_and_b32_e32 v3, 0x7f800000, v2
	v_cmp_ne_u32_e64 s[0:1], s20, v3
                                        ; implicit-def: $vgpr60
	s_and_saveexec_b64 s[10:11], s[0:1]
	s_xor_b64 s[0:1], exec, s[10:11]
; %bb.137:                              ;   in Loop: Header=BB175_51 Depth=1
	v_bfe_u32 v3, v2, 16, 1
	v_add3_u32 v60, v2, v3, s21
                                        ; implicit-def: $vgpr2
; %bb.138:                              ;   in Loop: Header=BB175_51 Depth=1
	s_andn2_saveexec_b64 s[10:11], s[0:1]
; %bb.139:                              ;   in Loop: Header=BB175_51 Depth=1
	v_or_b32_e32 v3, 0x10000, v2
	v_cmp_eq_u32_sdwa s[0:1], v2, v24 src0_sel:WORD_0 src1_sel:DWORD
	v_cndmask_b32_e64 v60, v3, v2, s[0:1]
; %bb.140:                              ;   in Loop: Header=BB175_51 Depth=1
	s_or_b64 exec, exec, s[10:11]
	v_lshlrev_b32_e32 v2, 16, v61
	v_mul_f32_e32 v2, v54, v2
	v_and_b32_e32 v3, 0x7f800000, v2
	v_cmp_ne_u32_e64 s[0:1], s20, v3
                                        ; implicit-def: $vgpr61
	s_and_saveexec_b64 s[10:11], s[0:1]
	s_xor_b64 s[0:1], exec, s[10:11]
; %bb.141:                              ;   in Loop: Header=BB175_51 Depth=1
	v_bfe_u32 v3, v2, 16, 1
	v_add3_u32 v61, v2, v3, s21
                                        ; implicit-def: $vgpr2
; %bb.142:                              ;   in Loop: Header=BB175_51 Depth=1
	s_andn2_saveexec_b64 s[10:11], s[0:1]
; %bb.143:                              ;   in Loop: Header=BB175_51 Depth=1
	v_or_b32_e32 v3, 0x10000, v2
	v_cmp_eq_u32_sdwa s[0:1], v2, v24 src0_sel:WORD_0 src1_sel:DWORD
	v_cndmask_b32_e64 v61, v3, v2, s[0:1]
; %bb.144:                              ;   in Loop: Header=BB175_51 Depth=1
	s_or_b64 exec, exec, s[10:11]
	v_lshlrev_b32_e32 v2, 16, v5
	v_mul_f32_e32 v2, v55, v2
	v_and_b32_e32 v3, 0x7f800000, v2
	v_cmp_ne_u32_e64 s[0:1], s20, v3
                                        ; implicit-def: $vgpr62
	s_and_saveexec_b64 s[10:11], s[0:1]
	s_xor_b64 s[0:1], exec, s[10:11]
; %bb.145:                              ;   in Loop: Header=BB175_51 Depth=1
	v_bfe_u32 v3, v2, 16, 1
	v_add3_u32 v62, v2, v3, s21
                                        ; implicit-def: $vgpr2
; %bb.146:                              ;   in Loop: Header=BB175_51 Depth=1
	s_andn2_saveexec_b64 s[10:11], s[0:1]
; %bb.147:                              ;   in Loop: Header=BB175_51 Depth=1
	v_or_b32_e32 v3, 0x10000, v2
	v_cmp_eq_u32_sdwa s[0:1], v2, v24 src0_sel:WORD_0 src1_sel:DWORD
	v_cndmask_b32_e64 v62, v3, v2, s[0:1]
; %bb.148:                              ;   in Loop: Header=BB175_51 Depth=1
	s_or_b64 exec, exec, s[10:11]
	v_lshlrev_b32_e32 v2, 16, v63
	v_mul_f32_e32 v2, v56, v2
	v_and_b32_e32 v3, 0x7f800000, v2
	v_cmp_ne_u32_e64 s[0:1], s20, v3
                                        ; implicit-def: $vgpr63
	s_and_saveexec_b64 s[10:11], s[0:1]
	s_xor_b64 s[0:1], exec, s[10:11]
; %bb.149:                              ;   in Loop: Header=BB175_51 Depth=1
	v_bfe_u32 v3, v2, 16, 1
	v_add3_u32 v63, v2, v3, s21
                                        ; implicit-def: $vgpr2
; %bb.150:                              ;   in Loop: Header=BB175_51 Depth=1
	s_andn2_saveexec_b64 s[10:11], s[0:1]
; %bb.151:                              ;   in Loop: Header=BB175_51 Depth=1
	v_or_b32_e32 v3, 0x10000, v2
	v_cmp_eq_u32_sdwa s[0:1], v2, v24 src0_sel:WORD_0 src1_sel:DWORD
	v_cndmask_b32_e64 v63, v3, v2, s[0:1]
; %bb.152:                              ;   in Loop: Header=BB175_51 Depth=1
	s_or_b64 exec, exec, s[10:11]
	global_load_dwordx4 v[2:5], v[6:7], off offset:2048
	s_waitcnt vmcnt(0)
	v_lshrrev_b32_e32 v65, 16, v2
	v_lshrrev_b32_e32 v67, 16, v3
	;; [unrolled: 1-line block ×4, first 2 shown]
	s_and_saveexec_b64 s[10:11], vcc
	s_cbranch_execz .LBB175_154
; %bb.153:                              ;   in Loop: Header=BB175_51 Depth=1
	v_cmp_gt_i32_e64 s[0:1], s33, v38
	v_cndmask_b32_e64 v2, 0, v2, s[0:1]
	v_cmp_gt_i32_e64 s[0:1], s33, v45
	v_cndmask_b32_e64 v65, 0, v65, s[0:1]
	;; [unrolled: 2-line block ×8, first 2 shown]
.LBB175_154:                            ;   in Loop: Header=BB175_51 Depth=1
	s_or_b64 exec, exec, s[10:11]
	v_lshlrev_b32_e32 v2, 16, v2
	v_mul_f32_e32 v2, v49, v2
	v_and_b32_e32 v64, 0x7f800000, v2
	v_cmp_ne_u32_e64 s[0:1], s20, v64
                                        ; implicit-def: $vgpr64
	s_and_saveexec_b64 s[10:11], s[0:1]
	s_xor_b64 s[0:1], exec, s[10:11]
; %bb.155:                              ;   in Loop: Header=BB175_51 Depth=1
	v_bfe_u32 v64, v2, 16, 1
	v_add3_u32 v64, v2, v64, s21
                                        ; implicit-def: $vgpr2
; %bb.156:                              ;   in Loop: Header=BB175_51 Depth=1
	s_andn2_saveexec_b64 s[10:11], s[0:1]
; %bb.157:                              ;   in Loop: Header=BB175_51 Depth=1
	v_or_b32_e32 v64, 0x10000, v2
	v_cmp_eq_u32_sdwa s[0:1], v2, v24 src0_sel:WORD_0 src1_sel:DWORD
	v_cndmask_b32_e64 v64, v64, v2, s[0:1]
; %bb.158:                              ;   in Loop: Header=BB175_51 Depth=1
	s_or_b64 exec, exec, s[10:11]
	v_lshlrev_b32_e32 v2, 16, v65
	v_mul_f32_e32 v2, v50, v2
	v_and_b32_e32 v65, 0x7f800000, v2
	v_cmp_ne_u32_e64 s[0:1], s20, v65
                                        ; implicit-def: $vgpr65
	s_and_saveexec_b64 s[10:11], s[0:1]
	s_xor_b64 s[0:1], exec, s[10:11]
; %bb.159:                              ;   in Loop: Header=BB175_51 Depth=1
	v_bfe_u32 v65, v2, 16, 1
	v_add3_u32 v65, v2, v65, s21
                                        ; implicit-def: $vgpr2
; %bb.160:                              ;   in Loop: Header=BB175_51 Depth=1
	s_andn2_saveexec_b64 s[10:11], s[0:1]
; %bb.161:                              ;   in Loop: Header=BB175_51 Depth=1
	v_or_b32_e32 v65, 0x10000, v2
	v_cmp_eq_u32_sdwa s[0:1], v2, v24 src0_sel:WORD_0 src1_sel:DWORD
	v_cndmask_b32_e64 v65, v65, v2, s[0:1]
; %bb.162:                              ;   in Loop: Header=BB175_51 Depth=1
	s_or_b64 exec, exec, s[10:11]
	v_lshlrev_b32_e32 v2, 16, v3
	v_mul_f32_e32 v2, v51, v2
	v_and_b32_e32 v3, 0x7f800000, v2
	v_cmp_ne_u32_e64 s[0:1], s20, v3
                                        ; implicit-def: $vgpr66
	s_and_saveexec_b64 s[10:11], s[0:1]
	s_xor_b64 s[0:1], exec, s[10:11]
; %bb.163:                              ;   in Loop: Header=BB175_51 Depth=1
	v_bfe_u32 v3, v2, 16, 1
	v_add3_u32 v66, v2, v3, s21
                                        ; implicit-def: $vgpr2
; %bb.164:                              ;   in Loop: Header=BB175_51 Depth=1
	s_andn2_saveexec_b64 s[10:11], s[0:1]
; %bb.165:                              ;   in Loop: Header=BB175_51 Depth=1
	v_or_b32_e32 v3, 0x10000, v2
	v_cmp_eq_u32_sdwa s[0:1], v2, v24 src0_sel:WORD_0 src1_sel:DWORD
	v_cndmask_b32_e64 v66, v3, v2, s[0:1]
; %bb.166:                              ;   in Loop: Header=BB175_51 Depth=1
	s_or_b64 exec, exec, s[10:11]
	v_lshlrev_b32_e32 v2, 16, v67
	v_mul_f32_e32 v2, v52, v2
	v_and_b32_e32 v3, 0x7f800000, v2
	v_cmp_ne_u32_e64 s[0:1], s20, v3
                                        ; implicit-def: $vgpr67
	s_and_saveexec_b64 s[10:11], s[0:1]
	s_xor_b64 s[0:1], exec, s[10:11]
; %bb.167:                              ;   in Loop: Header=BB175_51 Depth=1
	v_bfe_u32 v3, v2, 16, 1
	v_add3_u32 v67, v2, v3, s21
                                        ; implicit-def: $vgpr2
; %bb.168:                              ;   in Loop: Header=BB175_51 Depth=1
	s_andn2_saveexec_b64 s[10:11], s[0:1]
; %bb.169:                              ;   in Loop: Header=BB175_51 Depth=1
	v_or_b32_e32 v3, 0x10000, v2
	v_cmp_eq_u32_sdwa s[0:1], v2, v24 src0_sel:WORD_0 src1_sel:DWORD
	v_cndmask_b32_e64 v67, v3, v2, s[0:1]
; %bb.170:                              ;   in Loop: Header=BB175_51 Depth=1
	s_or_b64 exec, exec, s[10:11]
	v_lshlrev_b32_e32 v2, 16, v4
	v_mul_f32_e32 v2, v53, v2
	v_and_b32_e32 v3, 0x7f800000, v2
	v_cmp_ne_u32_e64 s[0:1], s20, v3
                                        ; implicit-def: $vgpr68
	s_and_saveexec_b64 s[10:11], s[0:1]
	s_xor_b64 s[0:1], exec, s[10:11]
; %bb.171:                              ;   in Loop: Header=BB175_51 Depth=1
	v_bfe_u32 v3, v2, 16, 1
	v_add3_u32 v68, v2, v3, s21
                                        ; implicit-def: $vgpr2
; %bb.172:                              ;   in Loop: Header=BB175_51 Depth=1
	s_andn2_saveexec_b64 s[10:11], s[0:1]
; %bb.173:                              ;   in Loop: Header=BB175_51 Depth=1
	v_or_b32_e32 v3, 0x10000, v2
	v_cmp_eq_u32_sdwa s[0:1], v2, v24 src0_sel:WORD_0 src1_sel:DWORD
	v_cndmask_b32_e64 v68, v3, v2, s[0:1]
; %bb.174:                              ;   in Loop: Header=BB175_51 Depth=1
	s_or_b64 exec, exec, s[10:11]
	v_lshlrev_b32_e32 v2, 16, v69
	v_mul_f32_e32 v2, v54, v2
	v_and_b32_e32 v3, 0x7f800000, v2
	v_cmp_ne_u32_e64 s[0:1], s20, v3
                                        ; implicit-def: $vgpr69
	s_and_saveexec_b64 s[10:11], s[0:1]
	s_xor_b64 s[0:1], exec, s[10:11]
; %bb.175:                              ;   in Loop: Header=BB175_51 Depth=1
	v_bfe_u32 v3, v2, 16, 1
	v_add3_u32 v69, v2, v3, s21
                                        ; implicit-def: $vgpr2
; %bb.176:                              ;   in Loop: Header=BB175_51 Depth=1
	s_andn2_saveexec_b64 s[10:11], s[0:1]
; %bb.177:                              ;   in Loop: Header=BB175_51 Depth=1
	v_or_b32_e32 v3, 0x10000, v2
	v_cmp_eq_u32_sdwa s[0:1], v2, v24 src0_sel:WORD_0 src1_sel:DWORD
	v_cndmask_b32_e64 v69, v3, v2, s[0:1]
; %bb.178:                              ;   in Loop: Header=BB175_51 Depth=1
	s_or_b64 exec, exec, s[10:11]
	v_lshlrev_b32_e32 v2, 16, v5
	v_mul_f32_e32 v2, v55, v2
	v_and_b32_e32 v3, 0x7f800000, v2
	v_cmp_ne_u32_e64 s[0:1], s20, v3
                                        ; implicit-def: $vgpr70
	s_and_saveexec_b64 s[10:11], s[0:1]
	s_xor_b64 s[0:1], exec, s[10:11]
; %bb.179:                              ;   in Loop: Header=BB175_51 Depth=1
	v_bfe_u32 v3, v2, 16, 1
	v_add3_u32 v70, v2, v3, s21
                                        ; implicit-def: $vgpr2
; %bb.180:                              ;   in Loop: Header=BB175_51 Depth=1
	s_andn2_saveexec_b64 s[10:11], s[0:1]
; %bb.181:                              ;   in Loop: Header=BB175_51 Depth=1
	v_or_b32_e32 v3, 0x10000, v2
	v_cmp_eq_u32_sdwa s[0:1], v2, v24 src0_sel:WORD_0 src1_sel:DWORD
	v_cndmask_b32_e64 v70, v3, v2, s[0:1]
; %bb.182:                              ;   in Loop: Header=BB175_51 Depth=1
	s_or_b64 exec, exec, s[10:11]
	v_lshlrev_b32_e32 v2, 16, v71
	v_mul_f32_e32 v2, v56, v2
	v_and_b32_e32 v3, 0x7f800000, v2
	v_cmp_ne_u32_e64 s[0:1], s20, v3
                                        ; implicit-def: $vgpr71
	s_and_saveexec_b64 s[10:11], s[0:1]
	s_xor_b64 s[0:1], exec, s[10:11]
; %bb.183:                              ;   in Loop: Header=BB175_51 Depth=1
	v_bfe_u32 v3, v2, 16, 1
	v_add3_u32 v71, v2, v3, s21
                                        ; implicit-def: $vgpr2
; %bb.184:                              ;   in Loop: Header=BB175_51 Depth=1
	s_andn2_saveexec_b64 s[10:11], s[0:1]
; %bb.185:                              ;   in Loop: Header=BB175_51 Depth=1
	v_or_b32_e32 v3, 0x10000, v2
	v_cmp_eq_u32_sdwa s[0:1], v2, v24 src0_sel:WORD_0 src1_sel:DWORD
	v_cndmask_b32_e64 v71, v3, v2, s[0:1]
; %bb.186:                              ;   in Loop: Header=BB175_51 Depth=1
	s_or_b64 exec, exec, s[10:11]
	global_load_dwordx4 v[2:5], v[6:7], off offset:3072
	s_waitcnt vmcnt(0)
	v_lshrrev_b32_e32 v7, 16, v2
	v_lshrrev_b32_e32 v73, 16, v3
	;; [unrolled: 1-line block ×4, first 2 shown]
	s_and_saveexec_b64 s[10:11], vcc
	s_cbranch_execz .LBB175_188
; %bb.187:                              ;   in Loop: Header=BB175_51 Depth=1
	v_cmp_gt_i32_e64 s[0:1], s33, v38
	v_cndmask_b32_e64 v2, 0, v2, s[0:1]
	v_cmp_gt_i32_e64 s[0:1], s33, v45
	v_cndmask_b32_e64 v7, 0, v7, s[0:1]
	;; [unrolled: 2-line block ×8, first 2 shown]
.LBB175_188:                            ;   in Loop: Header=BB175_51 Depth=1
	s_or_b64 exec, exec, s[10:11]
	v_lshlrev_b32_e32 v2, 16, v2
	v_mul_f32_e32 v2, v49, v2
	v_and_b32_e32 v6, 0x7f800000, v2
	v_cmp_ne_u32_e64 s[0:1], s20, v6
                                        ; implicit-def: $vgpr6
	s_and_saveexec_b64 s[10:11], s[0:1]
	s_xor_b64 s[0:1], exec, s[10:11]
; %bb.189:                              ;   in Loop: Header=BB175_51 Depth=1
	v_bfe_u32 v6, v2, 16, 1
	v_add3_u32 v6, v2, v6, s21
                                        ; implicit-def: $vgpr2
; %bb.190:                              ;   in Loop: Header=BB175_51 Depth=1
	s_andn2_saveexec_b64 s[10:11], s[0:1]
; %bb.191:                              ;   in Loop: Header=BB175_51 Depth=1
	v_or_b32_e32 v6, 0x10000, v2
	v_cmp_eq_u32_sdwa s[0:1], v2, v24 src0_sel:WORD_0 src1_sel:DWORD
	v_cndmask_b32_e64 v6, v6, v2, s[0:1]
; %bb.192:                              ;   in Loop: Header=BB175_51 Depth=1
	s_or_b64 exec, exec, s[10:11]
	v_lshlrev_b32_e32 v2, 16, v7
	v_mul_f32_e32 v2, v50, v2
	v_and_b32_e32 v7, 0x7f800000, v2
	v_cmp_ne_u32_e64 s[0:1], s20, v7
                                        ; implicit-def: $vgpr7
	s_and_saveexec_b64 s[10:11], s[0:1]
	s_xor_b64 s[0:1], exec, s[10:11]
; %bb.193:                              ;   in Loop: Header=BB175_51 Depth=1
	v_bfe_u32 v7, v2, 16, 1
	v_add3_u32 v7, v2, v7, s21
                                        ; implicit-def: $vgpr2
; %bb.194:                              ;   in Loop: Header=BB175_51 Depth=1
	s_andn2_saveexec_b64 s[10:11], s[0:1]
; %bb.195:                              ;   in Loop: Header=BB175_51 Depth=1
	v_or_b32_e32 v7, 0x10000, v2
	v_cmp_eq_u32_sdwa s[0:1], v2, v24 src0_sel:WORD_0 src1_sel:DWORD
	v_cndmask_b32_e64 v7, v7, v2, s[0:1]
; %bb.196:                              ;   in Loop: Header=BB175_51 Depth=1
	s_or_b64 exec, exec, s[10:11]
	v_lshlrev_b32_e32 v2, 16, v3
	v_mul_f32_e32 v2, v51, v2
	v_and_b32_e32 v3, 0x7f800000, v2
	v_cmp_ne_u32_e64 s[0:1], s20, v3
                                        ; implicit-def: $vgpr72
	s_and_saveexec_b64 s[10:11], s[0:1]
	s_xor_b64 s[0:1], exec, s[10:11]
; %bb.197:                              ;   in Loop: Header=BB175_51 Depth=1
	v_bfe_u32 v3, v2, 16, 1
	v_add3_u32 v72, v2, v3, s21
                                        ; implicit-def: $vgpr2
; %bb.198:                              ;   in Loop: Header=BB175_51 Depth=1
	s_andn2_saveexec_b64 s[10:11], s[0:1]
; %bb.199:                              ;   in Loop: Header=BB175_51 Depth=1
	v_or_b32_e32 v3, 0x10000, v2
	v_cmp_eq_u32_sdwa s[0:1], v2, v24 src0_sel:WORD_0 src1_sel:DWORD
	v_cndmask_b32_e64 v72, v3, v2, s[0:1]
; %bb.200:                              ;   in Loop: Header=BB175_51 Depth=1
	s_or_b64 exec, exec, s[10:11]
	v_lshlrev_b32_e32 v2, 16, v73
	v_mul_f32_e32 v2, v52, v2
	v_and_b32_e32 v3, 0x7f800000, v2
	v_cmp_ne_u32_e64 s[0:1], s20, v3
                                        ; implicit-def: $vgpr73
	s_and_saveexec_b64 s[10:11], s[0:1]
	s_xor_b64 s[0:1], exec, s[10:11]
; %bb.201:                              ;   in Loop: Header=BB175_51 Depth=1
	v_bfe_u32 v3, v2, 16, 1
	v_add3_u32 v73, v2, v3, s21
                                        ; implicit-def: $vgpr2
; %bb.202:                              ;   in Loop: Header=BB175_51 Depth=1
	s_andn2_saveexec_b64 s[10:11], s[0:1]
; %bb.203:                              ;   in Loop: Header=BB175_51 Depth=1
	v_or_b32_e32 v3, 0x10000, v2
	v_cmp_eq_u32_sdwa s[0:1], v2, v24 src0_sel:WORD_0 src1_sel:DWORD
	v_cndmask_b32_e64 v73, v3, v2, s[0:1]
; %bb.204:                              ;   in Loop: Header=BB175_51 Depth=1
	s_or_b64 exec, exec, s[10:11]
	v_lshlrev_b32_e32 v2, 16, v4
	v_mul_f32_e32 v2, v53, v2
	v_and_b32_e32 v3, 0x7f800000, v2
	v_cmp_ne_u32_e64 s[0:1], s20, v3
                                        ; implicit-def: $vgpr74
	s_and_saveexec_b64 s[10:11], s[0:1]
	s_xor_b64 s[0:1], exec, s[10:11]
; %bb.205:                              ;   in Loop: Header=BB175_51 Depth=1
	v_bfe_u32 v3, v2, 16, 1
	v_add3_u32 v74, v2, v3, s21
                                        ; implicit-def: $vgpr2
; %bb.206:                              ;   in Loop: Header=BB175_51 Depth=1
	s_andn2_saveexec_b64 s[10:11], s[0:1]
; %bb.207:                              ;   in Loop: Header=BB175_51 Depth=1
	v_or_b32_e32 v3, 0x10000, v2
	v_cmp_eq_u32_sdwa s[0:1], v2, v24 src0_sel:WORD_0 src1_sel:DWORD
	v_cndmask_b32_e64 v74, v3, v2, s[0:1]
; %bb.208:                              ;   in Loop: Header=BB175_51 Depth=1
	s_or_b64 exec, exec, s[10:11]
	v_lshlrev_b32_e32 v2, 16, v75
	v_mul_f32_e32 v2, v54, v2
	v_and_b32_e32 v3, 0x7f800000, v2
	v_cmp_ne_u32_e64 s[0:1], s20, v3
                                        ; implicit-def: $vgpr75
	s_and_saveexec_b64 s[10:11], s[0:1]
	s_xor_b64 s[0:1], exec, s[10:11]
; %bb.209:                              ;   in Loop: Header=BB175_51 Depth=1
	v_bfe_u32 v3, v2, 16, 1
	v_add3_u32 v75, v2, v3, s21
                                        ; implicit-def: $vgpr2
; %bb.210:                              ;   in Loop: Header=BB175_51 Depth=1
	s_andn2_saveexec_b64 s[10:11], s[0:1]
; %bb.211:                              ;   in Loop: Header=BB175_51 Depth=1
	v_or_b32_e32 v3, 0x10000, v2
	v_cmp_eq_u32_sdwa s[0:1], v2, v24 src0_sel:WORD_0 src1_sel:DWORD
	v_cndmask_b32_e64 v75, v3, v2, s[0:1]
; %bb.212:                              ;   in Loop: Header=BB175_51 Depth=1
	s_or_b64 exec, exec, s[10:11]
	v_lshlrev_b32_e32 v2, 16, v5
	v_mul_f32_e32 v2, v55, v2
	v_and_b32_e32 v3, 0x7f800000, v2
	v_cmp_ne_u32_e64 s[0:1], s20, v3
                                        ; implicit-def: $vgpr76
	s_and_saveexec_b64 s[10:11], s[0:1]
	s_xor_b64 s[0:1], exec, s[10:11]
; %bb.213:                              ;   in Loop: Header=BB175_51 Depth=1
	v_bfe_u32 v3, v2, 16, 1
	v_add3_u32 v76, v2, v3, s21
                                        ; implicit-def: $vgpr2
; %bb.214:                              ;   in Loop: Header=BB175_51 Depth=1
	s_andn2_saveexec_b64 s[10:11], s[0:1]
; %bb.215:                              ;   in Loop: Header=BB175_51 Depth=1
	v_or_b32_e32 v3, 0x10000, v2
	v_cmp_eq_u32_sdwa s[0:1], v2, v24 src0_sel:WORD_0 src1_sel:DWORD
	v_cndmask_b32_e64 v76, v3, v2, s[0:1]
; %bb.216:                              ;   in Loop: Header=BB175_51 Depth=1
	s_or_b64 exec, exec, s[10:11]
	v_lshlrev_b32_e32 v2, 16, v77
	v_mul_f32_e32 v2, v56, v2
	v_and_b32_e32 v3, 0x7f800000, v2
	v_cmp_ne_u32_e64 s[0:1], s20, v3
                                        ; implicit-def: $vgpr77
	s_and_saveexec_b64 s[10:11], s[0:1]
	s_xor_b64 s[0:1], exec, s[10:11]
; %bb.217:                              ;   in Loop: Header=BB175_51 Depth=1
	v_bfe_u32 v3, v2, 16, 1
	v_add3_u32 v77, v2, v3, s21
                                        ; implicit-def: $vgpr2
; %bb.218:                              ;   in Loop: Header=BB175_51 Depth=1
	s_andn2_saveexec_b64 s[10:11], s[0:1]
; %bb.219:                              ;   in Loop: Header=BB175_51 Depth=1
	v_or_b32_e32 v3, 0x10000, v2
	v_cmp_eq_u32_sdwa s[0:1], v2, v24 src0_sel:WORD_0 src1_sel:DWORD
	v_cndmask_b32_e64 v77, v3, v2, s[0:1]
; %bb.220:                              ;   in Loop: Header=BB175_51 Depth=1
	s_or_b64 exec, exec, s[10:11]
	v_add_co_u32_e64 v2, s[0:1], v46, v28
	v_addc_co_u32_e64 v3, s[0:1], 0, v47, s[0:1]
	global_load_dwordx4 v[2:5], v[2:3], off
	s_waitcnt vmcnt(0)
	v_lshrrev_b32_e32 v79, 16, v2
	v_lshrrev_b32_e32 v81, 16, v3
	;; [unrolled: 1-line block ×4, first 2 shown]
	s_and_saveexec_b64 s[10:11], vcc
	s_cbranch_execz .LBB175_222
; %bb.221:                              ;   in Loop: Header=BB175_51 Depth=1
	v_cmp_gt_i32_e64 s[0:1], s33, v38
	v_cndmask_b32_e64 v2, 0, v2, s[0:1]
	v_cmp_gt_i32_e64 s[0:1], s33, v45
	v_cndmask_b32_e64 v79, 0, v79, s[0:1]
	;; [unrolled: 2-line block ×8, first 2 shown]
.LBB175_222:                            ;   in Loop: Header=BB175_51 Depth=1
	s_or_b64 exec, exec, s[10:11]
	v_lshlrev_b32_e32 v2, 16, v2
	v_mul_f32_e32 v2, v49, v2
	v_and_b32_e32 v78, 0x7f800000, v2
	v_cmp_ne_u32_e64 s[0:1], s20, v78
                                        ; implicit-def: $vgpr78
	s_and_saveexec_b64 s[10:11], s[0:1]
	s_xor_b64 s[0:1], exec, s[10:11]
; %bb.223:                              ;   in Loop: Header=BB175_51 Depth=1
	v_bfe_u32 v78, v2, 16, 1
	v_add3_u32 v78, v2, v78, s21
                                        ; implicit-def: $vgpr2
; %bb.224:                              ;   in Loop: Header=BB175_51 Depth=1
	s_andn2_saveexec_b64 s[10:11], s[0:1]
; %bb.225:                              ;   in Loop: Header=BB175_51 Depth=1
	v_or_b32_e32 v78, 0x10000, v2
	v_cmp_eq_u32_sdwa s[0:1], v2, v24 src0_sel:WORD_0 src1_sel:DWORD
	v_cndmask_b32_e64 v78, v78, v2, s[0:1]
; %bb.226:                              ;   in Loop: Header=BB175_51 Depth=1
	s_or_b64 exec, exec, s[10:11]
	v_lshlrev_b32_e32 v2, 16, v79
	v_mul_f32_e32 v2, v50, v2
	v_and_b32_e32 v79, 0x7f800000, v2
	v_cmp_ne_u32_e64 s[0:1], s20, v79
                                        ; implicit-def: $vgpr79
	s_and_saveexec_b64 s[10:11], s[0:1]
	s_xor_b64 s[0:1], exec, s[10:11]
; %bb.227:                              ;   in Loop: Header=BB175_51 Depth=1
	v_bfe_u32 v79, v2, 16, 1
	v_add3_u32 v79, v2, v79, s21
                                        ; implicit-def: $vgpr2
; %bb.228:                              ;   in Loop: Header=BB175_51 Depth=1
	s_andn2_saveexec_b64 s[10:11], s[0:1]
; %bb.229:                              ;   in Loop: Header=BB175_51 Depth=1
	v_or_b32_e32 v79, 0x10000, v2
	v_cmp_eq_u32_sdwa s[0:1], v2, v24 src0_sel:WORD_0 src1_sel:DWORD
	v_cndmask_b32_e64 v79, v79, v2, s[0:1]
; %bb.230:                              ;   in Loop: Header=BB175_51 Depth=1
	s_or_b64 exec, exec, s[10:11]
	v_lshlrev_b32_e32 v2, 16, v3
	v_mul_f32_e32 v2, v51, v2
	v_and_b32_e32 v3, 0x7f800000, v2
	v_cmp_ne_u32_e64 s[0:1], s20, v3
                                        ; implicit-def: $vgpr80
	s_and_saveexec_b64 s[10:11], s[0:1]
	s_xor_b64 s[0:1], exec, s[10:11]
; %bb.231:                              ;   in Loop: Header=BB175_51 Depth=1
	v_bfe_u32 v3, v2, 16, 1
	v_add3_u32 v80, v2, v3, s21
                                        ; implicit-def: $vgpr2
; %bb.232:                              ;   in Loop: Header=BB175_51 Depth=1
	s_andn2_saveexec_b64 s[10:11], s[0:1]
; %bb.233:                              ;   in Loop: Header=BB175_51 Depth=1
	v_or_b32_e32 v3, 0x10000, v2
	v_cmp_eq_u32_sdwa s[0:1], v2, v24 src0_sel:WORD_0 src1_sel:DWORD
	v_cndmask_b32_e64 v80, v3, v2, s[0:1]
; %bb.234:                              ;   in Loop: Header=BB175_51 Depth=1
	s_or_b64 exec, exec, s[10:11]
	v_lshlrev_b32_e32 v2, 16, v81
	v_mul_f32_e32 v2, v52, v2
	v_and_b32_e32 v3, 0x7f800000, v2
	v_cmp_ne_u32_e64 s[0:1], s20, v3
                                        ; implicit-def: $vgpr81
	s_and_saveexec_b64 s[10:11], s[0:1]
	s_xor_b64 s[0:1], exec, s[10:11]
; %bb.235:                              ;   in Loop: Header=BB175_51 Depth=1
	v_bfe_u32 v3, v2, 16, 1
	v_add3_u32 v81, v2, v3, s21
                                        ; implicit-def: $vgpr2
; %bb.236:                              ;   in Loop: Header=BB175_51 Depth=1
	s_andn2_saveexec_b64 s[10:11], s[0:1]
; %bb.237:                              ;   in Loop: Header=BB175_51 Depth=1
	v_or_b32_e32 v3, 0x10000, v2
	v_cmp_eq_u32_sdwa s[0:1], v2, v24 src0_sel:WORD_0 src1_sel:DWORD
	v_cndmask_b32_e64 v81, v3, v2, s[0:1]
; %bb.238:                              ;   in Loop: Header=BB175_51 Depth=1
	s_or_b64 exec, exec, s[10:11]
	v_lshlrev_b32_e32 v2, 16, v4
	v_mul_f32_e32 v2, v53, v2
	v_and_b32_e32 v3, 0x7f800000, v2
	v_cmp_ne_u32_e64 s[0:1], s20, v3
                                        ; implicit-def: $vgpr82
	s_and_saveexec_b64 s[10:11], s[0:1]
	s_xor_b64 s[0:1], exec, s[10:11]
; %bb.239:                              ;   in Loop: Header=BB175_51 Depth=1
	v_bfe_u32 v3, v2, 16, 1
	v_add3_u32 v82, v2, v3, s21
                                        ; implicit-def: $vgpr2
; %bb.240:                              ;   in Loop: Header=BB175_51 Depth=1
	s_andn2_saveexec_b64 s[10:11], s[0:1]
; %bb.241:                              ;   in Loop: Header=BB175_51 Depth=1
	v_or_b32_e32 v3, 0x10000, v2
	v_cmp_eq_u32_sdwa s[0:1], v2, v24 src0_sel:WORD_0 src1_sel:DWORD
	v_cndmask_b32_e64 v82, v3, v2, s[0:1]
; %bb.242:                              ;   in Loop: Header=BB175_51 Depth=1
	s_or_b64 exec, exec, s[10:11]
	v_lshlrev_b32_e32 v2, 16, v83
	v_mul_f32_e32 v2, v54, v2
	v_and_b32_e32 v3, 0x7f800000, v2
	v_cmp_ne_u32_e64 s[0:1], s20, v3
                                        ; implicit-def: $vgpr83
	s_and_saveexec_b64 s[10:11], s[0:1]
	s_xor_b64 s[0:1], exec, s[10:11]
; %bb.243:                              ;   in Loop: Header=BB175_51 Depth=1
	v_bfe_u32 v3, v2, 16, 1
	v_add3_u32 v83, v2, v3, s21
                                        ; implicit-def: $vgpr2
; %bb.244:                              ;   in Loop: Header=BB175_51 Depth=1
	s_andn2_saveexec_b64 s[10:11], s[0:1]
; %bb.245:                              ;   in Loop: Header=BB175_51 Depth=1
	v_or_b32_e32 v3, 0x10000, v2
	v_cmp_eq_u32_sdwa s[0:1], v2, v24 src0_sel:WORD_0 src1_sel:DWORD
	v_cndmask_b32_e64 v83, v3, v2, s[0:1]
; %bb.246:                              ;   in Loop: Header=BB175_51 Depth=1
	s_or_b64 exec, exec, s[10:11]
	v_lshlrev_b32_e32 v2, 16, v5
	v_mul_f32_e32 v2, v55, v2
	v_and_b32_e32 v3, 0x7f800000, v2
	v_cmp_ne_u32_e64 s[0:1], s20, v3
                                        ; implicit-def: $vgpr84
	s_and_saveexec_b64 s[10:11], s[0:1]
	s_xor_b64 s[0:1], exec, s[10:11]
; %bb.247:                              ;   in Loop: Header=BB175_51 Depth=1
	v_bfe_u32 v3, v2, 16, 1
	v_add3_u32 v84, v2, v3, s21
                                        ; implicit-def: $vgpr2
; %bb.248:                              ;   in Loop: Header=BB175_51 Depth=1
	s_andn2_saveexec_b64 s[10:11], s[0:1]
; %bb.249:                              ;   in Loop: Header=BB175_51 Depth=1
	v_or_b32_e32 v3, 0x10000, v2
	v_cmp_eq_u32_sdwa s[0:1], v2, v24 src0_sel:WORD_0 src1_sel:DWORD
	v_cndmask_b32_e64 v84, v3, v2, s[0:1]
; %bb.250:                              ;   in Loop: Header=BB175_51 Depth=1
	s_or_b64 exec, exec, s[10:11]
	v_lshlrev_b32_e32 v2, 16, v85
	v_mul_f32_e32 v2, v56, v2
	v_and_b32_e32 v3, 0x7f800000, v2
	v_cmp_ne_u32_e64 s[0:1], s20, v3
                                        ; implicit-def: $vgpr85
	s_and_saveexec_b64 s[10:11], s[0:1]
	s_xor_b64 s[0:1], exec, s[10:11]
; %bb.251:                              ;   in Loop: Header=BB175_51 Depth=1
	v_bfe_u32 v3, v2, 16, 1
	v_add3_u32 v85, v2, v3, s21
                                        ; implicit-def: $vgpr2
; %bb.252:                              ;   in Loop: Header=BB175_51 Depth=1
	s_andn2_saveexec_b64 s[10:11], s[0:1]
; %bb.253:                              ;   in Loop: Header=BB175_51 Depth=1
	v_or_b32_e32 v3, 0x10000, v2
	v_cmp_eq_u32_sdwa s[0:1], v2, v24 src0_sel:WORD_0 src1_sel:DWORD
	v_cndmask_b32_e64 v85, v3, v2, s[0:1]
; %bb.254:                              ;   in Loop: Header=BB175_51 Depth=1
	s_or_b64 exec, exec, s[10:11]
	v_add_co_u32_e64 v2, s[0:1], v46, v29
	v_addc_co_u32_e64 v3, s[0:1], 0, v47, s[0:1]
	global_load_dwordx4 v[2:5], v[2:3], off
	s_waitcnt vmcnt(0)
	v_lshrrev_b32_e32 v87, 16, v2
	v_lshrrev_b32_e32 v89, 16, v3
	;; [unrolled: 1-line block ×4, first 2 shown]
	s_and_saveexec_b64 s[10:11], vcc
	s_cbranch_execz .LBB175_256
; %bb.255:                              ;   in Loop: Header=BB175_51 Depth=1
	v_cmp_gt_i32_e64 s[0:1], s33, v38
	v_cndmask_b32_e64 v2, 0, v2, s[0:1]
	v_cmp_gt_i32_e64 s[0:1], s33, v45
	v_cndmask_b32_e64 v87, 0, v87, s[0:1]
	;; [unrolled: 2-line block ×8, first 2 shown]
.LBB175_256:                            ;   in Loop: Header=BB175_51 Depth=1
	s_or_b64 exec, exec, s[10:11]
	v_lshlrev_b32_e32 v2, 16, v2
	v_mul_f32_e32 v2, v49, v2
	v_and_b32_e32 v86, 0x7f800000, v2
	v_cmp_ne_u32_e64 s[0:1], s20, v86
                                        ; implicit-def: $vgpr86
	s_and_saveexec_b64 s[10:11], s[0:1]
	s_xor_b64 s[0:1], exec, s[10:11]
; %bb.257:                              ;   in Loop: Header=BB175_51 Depth=1
	v_bfe_u32 v86, v2, 16, 1
	v_add3_u32 v86, v2, v86, s21
                                        ; implicit-def: $vgpr2
; %bb.258:                              ;   in Loop: Header=BB175_51 Depth=1
	s_andn2_saveexec_b64 s[10:11], s[0:1]
; %bb.259:                              ;   in Loop: Header=BB175_51 Depth=1
	v_or_b32_e32 v86, 0x10000, v2
	v_cmp_eq_u32_sdwa s[0:1], v2, v24 src0_sel:WORD_0 src1_sel:DWORD
	v_cndmask_b32_e64 v86, v86, v2, s[0:1]
; %bb.260:                              ;   in Loop: Header=BB175_51 Depth=1
	s_or_b64 exec, exec, s[10:11]
	v_lshlrev_b32_e32 v2, 16, v87
	v_mul_f32_e32 v2, v50, v2
	v_and_b32_e32 v87, 0x7f800000, v2
	v_cmp_ne_u32_e64 s[0:1], s20, v87
                                        ; implicit-def: $vgpr87
	s_and_saveexec_b64 s[10:11], s[0:1]
	s_xor_b64 s[0:1], exec, s[10:11]
; %bb.261:                              ;   in Loop: Header=BB175_51 Depth=1
	v_bfe_u32 v87, v2, 16, 1
	v_add3_u32 v87, v2, v87, s21
                                        ; implicit-def: $vgpr2
; %bb.262:                              ;   in Loop: Header=BB175_51 Depth=1
	s_andn2_saveexec_b64 s[10:11], s[0:1]
; %bb.263:                              ;   in Loop: Header=BB175_51 Depth=1
	v_or_b32_e32 v87, 0x10000, v2
	v_cmp_eq_u32_sdwa s[0:1], v2, v24 src0_sel:WORD_0 src1_sel:DWORD
	v_cndmask_b32_e64 v87, v87, v2, s[0:1]
; %bb.264:                              ;   in Loop: Header=BB175_51 Depth=1
	s_or_b64 exec, exec, s[10:11]
	v_lshlrev_b32_e32 v2, 16, v3
	v_mul_f32_e32 v2, v51, v2
	v_and_b32_e32 v3, 0x7f800000, v2
	v_cmp_ne_u32_e64 s[0:1], s20, v3
                                        ; implicit-def: $vgpr88
	s_and_saveexec_b64 s[10:11], s[0:1]
	s_xor_b64 s[0:1], exec, s[10:11]
; %bb.265:                              ;   in Loop: Header=BB175_51 Depth=1
	v_bfe_u32 v3, v2, 16, 1
	v_add3_u32 v88, v2, v3, s21
                                        ; implicit-def: $vgpr2
; %bb.266:                              ;   in Loop: Header=BB175_51 Depth=1
	s_andn2_saveexec_b64 s[10:11], s[0:1]
; %bb.267:                              ;   in Loop: Header=BB175_51 Depth=1
	v_or_b32_e32 v3, 0x10000, v2
	v_cmp_eq_u32_sdwa s[0:1], v2, v24 src0_sel:WORD_0 src1_sel:DWORD
	v_cndmask_b32_e64 v88, v3, v2, s[0:1]
; %bb.268:                              ;   in Loop: Header=BB175_51 Depth=1
	s_or_b64 exec, exec, s[10:11]
	v_lshlrev_b32_e32 v2, 16, v89
	v_mul_f32_e32 v2, v52, v2
	v_and_b32_e32 v3, 0x7f800000, v2
	v_cmp_ne_u32_e64 s[0:1], s20, v3
                                        ; implicit-def: $vgpr89
	s_and_saveexec_b64 s[10:11], s[0:1]
	s_xor_b64 s[0:1], exec, s[10:11]
; %bb.269:                              ;   in Loop: Header=BB175_51 Depth=1
	v_bfe_u32 v3, v2, 16, 1
	v_add3_u32 v89, v2, v3, s21
                                        ; implicit-def: $vgpr2
; %bb.270:                              ;   in Loop: Header=BB175_51 Depth=1
	s_andn2_saveexec_b64 s[10:11], s[0:1]
; %bb.271:                              ;   in Loop: Header=BB175_51 Depth=1
	v_or_b32_e32 v3, 0x10000, v2
	v_cmp_eq_u32_sdwa s[0:1], v2, v24 src0_sel:WORD_0 src1_sel:DWORD
	v_cndmask_b32_e64 v89, v3, v2, s[0:1]
; %bb.272:                              ;   in Loop: Header=BB175_51 Depth=1
	s_or_b64 exec, exec, s[10:11]
	v_lshlrev_b32_e32 v2, 16, v4
	v_mul_f32_e32 v2, v53, v2
	v_and_b32_e32 v3, 0x7f800000, v2
	v_cmp_ne_u32_e64 s[0:1], s20, v3
                                        ; implicit-def: $vgpr90
	s_and_saveexec_b64 s[10:11], s[0:1]
	s_xor_b64 s[0:1], exec, s[10:11]
; %bb.273:                              ;   in Loop: Header=BB175_51 Depth=1
	v_bfe_u32 v3, v2, 16, 1
	v_add3_u32 v90, v2, v3, s21
                                        ; implicit-def: $vgpr2
; %bb.274:                              ;   in Loop: Header=BB175_51 Depth=1
	s_andn2_saveexec_b64 s[10:11], s[0:1]
; %bb.275:                              ;   in Loop: Header=BB175_51 Depth=1
	v_or_b32_e32 v3, 0x10000, v2
	v_cmp_eq_u32_sdwa s[0:1], v2, v24 src0_sel:WORD_0 src1_sel:DWORD
	v_cndmask_b32_e64 v90, v3, v2, s[0:1]
; %bb.276:                              ;   in Loop: Header=BB175_51 Depth=1
	s_or_b64 exec, exec, s[10:11]
	v_lshlrev_b32_e32 v2, 16, v91
	v_mul_f32_e32 v2, v54, v2
	v_and_b32_e32 v3, 0x7f800000, v2
	v_cmp_ne_u32_e64 s[0:1], s20, v3
                                        ; implicit-def: $vgpr91
	s_and_saveexec_b64 s[10:11], s[0:1]
	s_xor_b64 s[0:1], exec, s[10:11]
; %bb.277:                              ;   in Loop: Header=BB175_51 Depth=1
	v_bfe_u32 v3, v2, 16, 1
	v_add3_u32 v91, v2, v3, s21
                                        ; implicit-def: $vgpr2
; %bb.278:                              ;   in Loop: Header=BB175_51 Depth=1
	s_andn2_saveexec_b64 s[10:11], s[0:1]
; %bb.279:                              ;   in Loop: Header=BB175_51 Depth=1
	v_or_b32_e32 v3, 0x10000, v2
	v_cmp_eq_u32_sdwa s[0:1], v2, v24 src0_sel:WORD_0 src1_sel:DWORD
	v_cndmask_b32_e64 v91, v3, v2, s[0:1]
; %bb.280:                              ;   in Loop: Header=BB175_51 Depth=1
	s_or_b64 exec, exec, s[10:11]
	v_lshlrev_b32_e32 v2, 16, v5
	v_mul_f32_e32 v2, v55, v2
	v_and_b32_e32 v3, 0x7f800000, v2
	v_cmp_ne_u32_e64 s[0:1], s20, v3
                                        ; implicit-def: $vgpr92
	s_and_saveexec_b64 s[10:11], s[0:1]
	s_xor_b64 s[0:1], exec, s[10:11]
; %bb.281:                              ;   in Loop: Header=BB175_51 Depth=1
	v_bfe_u32 v3, v2, 16, 1
	v_add3_u32 v92, v2, v3, s21
                                        ; implicit-def: $vgpr2
; %bb.282:                              ;   in Loop: Header=BB175_51 Depth=1
	s_andn2_saveexec_b64 s[10:11], s[0:1]
; %bb.283:                              ;   in Loop: Header=BB175_51 Depth=1
	v_or_b32_e32 v3, 0x10000, v2
	v_cmp_eq_u32_sdwa s[0:1], v2, v24 src0_sel:WORD_0 src1_sel:DWORD
	v_cndmask_b32_e64 v92, v3, v2, s[0:1]
; %bb.284:                              ;   in Loop: Header=BB175_51 Depth=1
	s_or_b64 exec, exec, s[10:11]
	v_lshlrev_b32_e32 v2, 16, v93
	v_mul_f32_e32 v2, v56, v2
	v_and_b32_e32 v3, 0x7f800000, v2
	v_cmp_ne_u32_e64 s[0:1], s20, v3
                                        ; implicit-def: $vgpr93
	s_and_saveexec_b64 s[10:11], s[0:1]
	s_xor_b64 s[0:1], exec, s[10:11]
; %bb.285:                              ;   in Loop: Header=BB175_51 Depth=1
	v_bfe_u32 v3, v2, 16, 1
	v_add3_u32 v93, v2, v3, s21
                                        ; implicit-def: $vgpr2
; %bb.286:                              ;   in Loop: Header=BB175_51 Depth=1
	s_andn2_saveexec_b64 s[10:11], s[0:1]
; %bb.287:                              ;   in Loop: Header=BB175_51 Depth=1
	v_or_b32_e32 v3, 0x10000, v2
	v_cmp_eq_u32_sdwa s[0:1], v2, v24 src0_sel:WORD_0 src1_sel:DWORD
	v_cndmask_b32_e64 v93, v3, v2, s[0:1]
; %bb.288:                              ;   in Loop: Header=BB175_51 Depth=1
	s_or_b64 exec, exec, s[10:11]
	v_add_co_u32_e64 v2, s[0:1], v46, v31
	v_addc_co_u32_e64 v3, s[0:1], 0, v47, s[0:1]
	global_load_dwordx4 v[2:5], v[2:3], off
	s_waitcnt vmcnt(0)
	v_lshrrev_b32_e32 v95, 16, v2
	v_lshrrev_b32_e32 v94, 16, v3
	;; [unrolled: 1-line block ×4, first 2 shown]
	s_and_saveexec_b64 s[0:1], vcc
	s_cbranch_execz .LBB175_290
; %bb.289:                              ;   in Loop: Header=BB175_51 Depth=1
	v_cmp_gt_i32_e32 vcc, s33, v38
	v_cndmask_b32_e32 v2, 0, v2, vcc
	v_cmp_gt_i32_e32 vcc, s33, v45
	v_cndmask_b32_e32 v95, 0, v95, vcc
	;; [unrolled: 2-line block ×8, first 2 shown]
.LBB175_290:                            ;   in Loop: Header=BB175_51 Depth=1
	s_or_b64 exec, exec, s[0:1]
	v_lshlrev_b32_e32 v2, 16, v2
	v_mul_f32_e32 v38, v49, v2
	v_and_b32_e32 v2, 0x7f800000, v38
	v_cmp_ne_u32_e32 vcc, s20, v2
                                        ; implicit-def: $vgpr2
	s_and_saveexec_b64 s[0:1], vcc
	s_xor_b64 s[0:1], exec, s[0:1]
; %bb.291:                              ;   in Loop: Header=BB175_51 Depth=1
	v_bfe_u32 v2, v38, 16, 1
	v_add3_u32 v2, v38, v2, s21
                                        ; implicit-def: $vgpr38
; %bb.292:                              ;   in Loop: Header=BB175_51 Depth=1
	s_andn2_saveexec_b64 s[0:1], s[0:1]
; %bb.293:                              ;   in Loop: Header=BB175_51 Depth=1
	v_or_b32_e32 v2, 0x10000, v38
	v_cmp_eq_u32_sdwa vcc, v38, v24 src0_sel:WORD_0 src1_sel:DWORD
	v_cndmask_b32_e32 v2, v2, v38, vcc
; %bb.294:                              ;   in Loop: Header=BB175_51 Depth=1
	s_or_b64 exec, exec, s[0:1]
	v_lshlrev_b32_e32 v38, 16, v95
	v_mul_f32_e32 v39, v50, v38
	v_and_b32_e32 v38, 0x7f800000, v39
	v_cmp_ne_u32_e32 vcc, s20, v38
                                        ; implicit-def: $vgpr38
	s_and_saveexec_b64 s[0:1], vcc
	s_xor_b64 s[0:1], exec, s[0:1]
; %bb.295:                              ;   in Loop: Header=BB175_51 Depth=1
	v_bfe_u32 v38, v39, 16, 1
	v_add3_u32 v38, v39, v38, s21
                                        ; implicit-def: $vgpr39
; %bb.296:                              ;   in Loop: Header=BB175_51 Depth=1
	s_andn2_saveexec_b64 s[0:1], s[0:1]
; %bb.297:                              ;   in Loop: Header=BB175_51 Depth=1
	v_or_b32_e32 v38, 0x10000, v39
	v_cmp_eq_u32_sdwa vcc, v39, v24 src0_sel:WORD_0 src1_sel:DWORD
	v_cndmask_b32_e32 v38, v38, v39, vcc
; %bb.298:                              ;   in Loop: Header=BB175_51 Depth=1
	s_or_b64 exec, exec, s[0:1]
	v_lshlrev_b32_e32 v3, 16, v3
	v_mul_f32_e32 v39, v51, v3
	v_and_b32_e32 v3, 0x7f800000, v39
	v_cmp_ne_u32_e32 vcc, s20, v3
                                        ; implicit-def: $vgpr3
	s_and_saveexec_b64 s[0:1], vcc
	s_xor_b64 s[0:1], exec, s[0:1]
; %bb.299:                              ;   in Loop: Header=BB175_51 Depth=1
	v_bfe_u32 v3, v39, 16, 1
	v_add3_u32 v3, v39, v3, s21
                                        ; implicit-def: $vgpr39
; %bb.300:                              ;   in Loop: Header=BB175_51 Depth=1
	s_andn2_saveexec_b64 s[0:1], s[0:1]
; %bb.301:                              ;   in Loop: Header=BB175_51 Depth=1
	v_or_b32_e32 v3, 0x10000, v39
	v_cmp_eq_u32_sdwa vcc, v39, v24 src0_sel:WORD_0 src1_sel:DWORD
	v_cndmask_b32_e32 v3, v3, v39, vcc
; %bb.302:                              ;   in Loop: Header=BB175_51 Depth=1
	s_or_b64 exec, exec, s[0:1]
	v_lshlrev_b32_e32 v39, 16, v94
	v_mul_f32_e32 v40, v52, v39
	v_and_b32_e32 v39, 0x7f800000, v40
	v_cmp_ne_u32_e32 vcc, s20, v39
                                        ; implicit-def: $vgpr39
	s_and_saveexec_b64 s[0:1], vcc
	s_xor_b64 s[0:1], exec, s[0:1]
; %bb.303:                              ;   in Loop: Header=BB175_51 Depth=1
	v_bfe_u32 v39, v40, 16, 1
	v_add3_u32 v39, v40, v39, s21
                                        ; implicit-def: $vgpr40
; %bb.304:                              ;   in Loop: Header=BB175_51 Depth=1
	s_andn2_saveexec_b64 s[0:1], s[0:1]
; %bb.305:                              ;   in Loop: Header=BB175_51 Depth=1
	v_or_b32_e32 v39, 0x10000, v40
	v_cmp_eq_u32_sdwa vcc, v40, v24 src0_sel:WORD_0 src1_sel:DWORD
	v_cndmask_b32_e32 v39, v39, v40, vcc
; %bb.306:                              ;   in Loop: Header=BB175_51 Depth=1
	s_or_b64 exec, exec, s[0:1]
	v_lshlrev_b32_e32 v4, 16, v4
	v_mul_f32_e32 v40, v53, v4
	v_and_b32_e32 v4, 0x7f800000, v40
	v_cmp_ne_u32_e32 vcc, s20, v4
                                        ; implicit-def: $vgpr4
	s_and_saveexec_b64 s[0:1], vcc
	s_xor_b64 s[0:1], exec, s[0:1]
; %bb.307:                              ;   in Loop: Header=BB175_51 Depth=1
	v_bfe_u32 v4, v40, 16, 1
	v_add3_u32 v4, v40, v4, s21
                                        ; implicit-def: $vgpr40
; %bb.308:                              ;   in Loop: Header=BB175_51 Depth=1
	s_andn2_saveexec_b64 s[0:1], s[0:1]
; %bb.309:                              ;   in Loop: Header=BB175_51 Depth=1
	v_or_b32_e32 v4, 0x10000, v40
	v_cmp_eq_u32_sdwa vcc, v40, v24 src0_sel:WORD_0 src1_sel:DWORD
	v_cndmask_b32_e32 v4, v4, v40, vcc
; %bb.310:                              ;   in Loop: Header=BB175_51 Depth=1
	s_or_b64 exec, exec, s[0:1]
	v_lshlrev_b32_e32 v40, 16, v47
	v_mul_f32_e32 v41, v54, v40
	v_and_b32_e32 v40, 0x7f800000, v41
	v_cmp_ne_u32_e32 vcc, s20, v40
                                        ; implicit-def: $vgpr40
	s_and_saveexec_b64 s[0:1], vcc
	s_xor_b64 s[0:1], exec, s[0:1]
; %bb.311:                              ;   in Loop: Header=BB175_51 Depth=1
	v_bfe_u32 v40, v41, 16, 1
	v_add3_u32 v40, v41, v40, s21
                                        ; implicit-def: $vgpr41
; %bb.312:                              ;   in Loop: Header=BB175_51 Depth=1
	s_andn2_saveexec_b64 s[0:1], s[0:1]
; %bb.313:                              ;   in Loop: Header=BB175_51 Depth=1
	v_or_b32_e32 v40, 0x10000, v41
	v_cmp_eq_u32_sdwa vcc, v41, v24 src0_sel:WORD_0 src1_sel:DWORD
	v_cndmask_b32_e32 v40, v40, v41, vcc
; %bb.314:                              ;   in Loop: Header=BB175_51 Depth=1
	s_or_b64 exec, exec, s[0:1]
	v_lshlrev_b32_e32 v5, 16, v5
	v_mul_f32_e32 v41, v55, v5
	v_and_b32_e32 v5, 0x7f800000, v41
	v_cmp_ne_u32_e32 vcc, s20, v5
                                        ; implicit-def: $vgpr5
	s_and_saveexec_b64 s[0:1], vcc
	s_xor_b64 s[0:1], exec, s[0:1]
; %bb.315:                              ;   in Loop: Header=BB175_51 Depth=1
	v_bfe_u32 v5, v41, 16, 1
	v_add3_u32 v5, v41, v5, s21
                                        ; implicit-def: $vgpr41
; %bb.316:                              ;   in Loop: Header=BB175_51 Depth=1
	s_andn2_saveexec_b64 s[0:1], s[0:1]
; %bb.317:                              ;   in Loop: Header=BB175_51 Depth=1
	v_or_b32_e32 v5, 0x10000, v41
	v_cmp_eq_u32_sdwa vcc, v41, v24 src0_sel:WORD_0 src1_sel:DWORD
	v_cndmask_b32_e32 v5, v5, v41, vcc
; %bb.318:                              ;   in Loop: Header=BB175_51 Depth=1
	s_or_b64 exec, exec, s[0:1]
	v_lshlrev_b32_e32 v41, 16, v46
	v_mul_f32_e32 v42, v56, v41
	v_and_b32_e32 v41, 0x7f800000, v42
	v_cmp_ne_u32_e32 vcc, s20, v41
                                        ; implicit-def: $vgpr41
	s_and_saveexec_b64 s[0:1], vcc
	s_xor_b64 s[0:1], exec, s[0:1]
; %bb.319:                              ;   in Loop: Header=BB175_51 Depth=1
	v_bfe_u32 v41, v42, 16, 1
	v_add3_u32 v41, v42, v41, s21
                                        ; implicit-def: $vgpr42
; %bb.320:                              ;   in Loop: Header=BB175_51 Depth=1
	s_andn2_saveexec_b64 s[0:1], s[0:1]
	s_cbranch_execz .LBB175_49
; %bb.321:                              ;   in Loop: Header=BB175_51 Depth=1
	v_or_b32_e32 v41, 0x10000, v42
	v_cmp_eq_u32_sdwa vcc, v42, v24 src0_sel:WORD_0 src1_sel:DWORD
	v_cndmask_b32_e32 v41, v41, v42, vcc
	s_branch .LBB175_49
.LBB175_322:
	s_or_b64 exec, exec, s[4:5]
.LBB175_323:
	s_or_b64 exec, exec, s[2:3]
	ds_bpermute_b32 v2, v19, v14
	ds_bpermute_b32 v3, v19, v15
	;; [unrolled: 1-line block ×7, first 2 shown]
	s_waitcnt lgkmcnt(5)
	v_pk_add_f32 v[2:3], v[14:15], v[2:3]
	s_waitcnt lgkmcnt(4)
	v_add_f32_e32 v1, v22, v1
	ds_bpermute_b32 v6, v20, v2
	ds_bpermute_b32 v7, v20, v3
	s_waitcnt lgkmcnt(4)
	v_pk_add_f32 v[4:5], v[12:13], v[4:5]
	s_waitcnt lgkmcnt(2)
	v_pk_add_f32 v[10:11], v[10:11], v[8:9]
	ds_bpermute_b32 v16, v20, v1
	ds_bpermute_b32 v12, v20, v4
	ds_bpermute_b32 v13, v20, v5
	ds_bpermute_b32 v14, v20, v10
	ds_bpermute_b32 v15, v20, v11
	s_waitcnt lgkmcnt(5)
	v_pk_add_f32 v[8:9], v[2:3], v[6:7]
	s_waitcnt lgkmcnt(4)
	v_add_f32_e32 v6, v1, v16
	v_and_b32_e32 v1, 0x3c3, v0
	s_waitcnt lgkmcnt(2)
	v_pk_add_f32 v[4:5], v[4:5], v[12:13]
	s_waitcnt lgkmcnt(0)
	v_pk_add_f32 v[2:3], v[10:11], v[14:15]
	v_cmp_eq_u32_e32 vcc, 64, v1
	s_barrier
	s_and_saveexec_b64 s[0:1], vcc
	s_cbranch_execz .LBB175_325
; %bb.324:
	v_add_u32_e32 v1, 0xf0, v18
	ds_write2_b32 v1, v8, v9 offset1:16
	ds_write2_b32 v1, v4, v5 offset0:32 offset1:48
	ds_write2_b32 v1, v2, v3 offset0:64 offset1:80
	ds_write_b32 v1, v6 offset:384
.LBB175_325:
	s_or_b64 exec, exec, s[0:1]
	v_cmp_gt_u32_e32 vcc, 64, v0
	s_waitcnt lgkmcnt(0)
	s_barrier
	s_and_saveexec_b64 s[2:3], vcc
	s_cbranch_execz .LBB175_335
; %bb.326:
	v_cmp_eq_u32_e64 s[0:1], 0, v21
	v_lshrrev_b32_e32 v1, 2, v0
	s_and_saveexec_b64 s[4:5], s[0:1]
	s_cbranch_execnz .LBB175_367
; %bb.327:
	s_or_b64 exec, exec, s[4:5]
	s_and_saveexec_b64 s[4:5], s[0:1]
	s_cbranch_execnz .LBB175_368
.LBB175_328:
	s_or_b64 exec, exec, s[4:5]
	s_and_saveexec_b64 s[4:5], s[0:1]
	s_cbranch_execnz .LBB175_369
.LBB175_329:
	s_or_b64 exec, exec, s[4:5]
	s_and_saveexec_b64 s[4:5], s[0:1]
	s_cbranch_execnz .LBB175_370
.LBB175_330:
	s_or_b64 exec, exec, s[4:5]
	s_and_saveexec_b64 s[4:5], s[0:1]
	s_cbranch_execnz .LBB175_371
.LBB175_331:
	s_or_b64 exec, exec, s[4:5]
	s_and_saveexec_b64 s[4:5], s[0:1]
	s_cbranch_execnz .LBB175_372
.LBB175_332:
	s_or_b64 exec, exec, s[4:5]
	s_and_saveexec_b64 s[4:5], s[0:1]
	s_cbranch_execz .LBB175_334
.LBB175_333:
	v_mov_b32_e32 v7, 0xf0
	v_lshl_add_u32 v1, v1, 2, v7
	ds_read_b32 v1, v1 offset:384
	s_waitcnt lgkmcnt(0)
	v_add_f32_e32 v6, v6, v1
.LBB175_334:
	s_or_b64 exec, exec, s[4:5]
.LBB175_335:
	s_or_b64 exec, exec, s[2:3]
	s_barrier
	s_and_saveexec_b64 s[0:1], vcc
	s_cbranch_execz .LBB175_366
; %bb.336:
	v_cmp_eq_u32_e32 vcc, 0, v21
	s_and_b64 exec, exec, vcc
	s_cbranch_execz .LBB175_366
; %bb.337:
	s_mov_b32 s0, 0x7f800000
	v_and_b32_e32 v1, 0x7f800000, v8
	v_cmp_ne_u32_e32 vcc, s0, v1
                                        ; implicit-def: $vgpr1
	s_and_saveexec_b64 s[0:1], vcc
	s_xor_b64 s[0:1], exec, s[0:1]
; %bb.338:
	v_bfe_u32 v1, v8, 16, 1
	s_movk_i32 s2, 0x7fff
	v_add3_u32 v1, v8, v1, s2
; %bb.339:
	s_andn2_saveexec_b64 s[0:1], s[0:1]
; %bb.340:
	v_mov_b32_e32 v1, 0
	v_or_b32_e32 v7, 0x10000, v8
	v_cmp_eq_u32_sdwa vcc, v8, v1 src0_sel:WORD_0 src1_sel:DWORD
	v_cndmask_b32_e32 v1, v7, v8, vcc
; %bb.341:
	s_or_b64 exec, exec, s[0:1]
	s_mul_i32 s0, s12, s24
	s_mul_i32 s0, s0, s25
	s_mulk_i32 s0, 0x70
	s_ashr_i32 s1, s0, 31
	s_lshl_b64 s[0:1], s[0:1], 1
	s_add_u32 s2, s28, s0
	s_mul_i32 s0, s12, s26
	s_addc_u32 s3, s29, s1
	s_ashr_i32 s1, s0, 31
	s_lshl_b64 s[0:1], s[0:1], 1
	s_add_u32 s2, s2, s0
	s_mul_i32 s0, s8, 0x70
	s_addc_u32 s3, s3, s1
	s_ashr_i32 s1, s0, 31
	s_lshl_b64 s[0:1], s[0:1], 1
	s_add_u32 s0, s2, s0
	v_lshrrev_b32_e32 v0, 1, v0
	s_addc_u32 s1, s3, s1
	v_and_b32_e32 v0, 0x1fe, v0
	v_mov_b32_e32 v7, s1
	v_add_co_u32_e32 v10, vcc, s0, v0
	v_addc_co_u32_e32 v11, vcc, 0, v7, vcc
	global_store_short_d16_hi v0, v1, s[0:1]
	s_mov_b32 s0, 0x7f800000
	v_and_b32_e32 v0, 0x7f800000, v9
	v_cmp_ne_u32_e32 vcc, s0, v0
                                        ; implicit-def: $vgpr0
	s_and_saveexec_b64 s[0:1], vcc
	s_xor_b64 s[0:1], exec, s[0:1]
; %bb.342:
	v_bfe_u32 v0, v9, 16, 1
	s_movk_i32 s2, 0x7fff
	v_add3_u32 v0, v9, v0, s2
; %bb.343:
	s_andn2_saveexec_b64 s[0:1], s[0:1]
; %bb.344:
	v_mov_b32_e32 v0, 0
	v_or_b32_e32 v1, 0x10000, v9
	v_cmp_eq_u32_sdwa vcc, v9, v0 src0_sel:WORD_0 src1_sel:DWORD
	v_cndmask_b32_e32 v0, v1, v9, vcc
; %bb.345:
	s_or_b64 exec, exec, s[0:1]
	global_store_short_d16_hi v[10:11], v0, off offset:32
	s_mov_b32 s0, 0x7f800000
	v_and_b32_e32 v0, 0x7f800000, v4
	v_cmp_ne_u32_e32 vcc, s0, v0
                                        ; implicit-def: $vgpr0
	s_and_saveexec_b64 s[0:1], vcc
	s_xor_b64 s[0:1], exec, s[0:1]
; %bb.346:
	v_bfe_u32 v0, v4, 16, 1
	s_movk_i32 s2, 0x7fff
	v_add3_u32 v0, v4, v0, s2
; %bb.347:
	s_andn2_saveexec_b64 s[0:1], s[0:1]
; %bb.348:
	v_mov_b32_e32 v0, 0
	v_or_b32_e32 v1, 0x10000, v4
	v_cmp_eq_u32_sdwa vcc, v4, v0 src0_sel:WORD_0 src1_sel:DWORD
	v_cndmask_b32_e32 v0, v1, v4, vcc
; %bb.349:
	s_or_b64 exec, exec, s[0:1]
	global_store_short_d16_hi v[10:11], v0, off offset:64
	;; [unrolled: 20-line block ×5, first 2 shown]
	s_mov_b32 s0, 0x7f800000
	v_and_b32_e32 v0, 0x7f800000, v6
	v_cmp_ne_u32_e32 vcc, s0, v0
                                        ; implicit-def: $vgpr7
	s_and_saveexec_b64 s[0:1], vcc
	s_xor_b64 s[0:1], exec, s[0:1]
; %bb.362:
	v_bfe_u32 v0, v6, 16, 1
	s_movk_i32 s2, 0x7fff
	v_add3_u32 v7, v6, v0, s2
                                        ; implicit-def: $vgpr0_vgpr1_vgpr2_vgpr3_vgpr4_vgpr5_vgpr6
; %bb.363:
	s_andn2_saveexec_b64 s[0:1], s[0:1]
; %bb.364:
	v_mov_b32_e32 v0, 0
	v_or_b32_e32 v1, 0x10000, v6
	v_cmp_eq_u32_sdwa vcc, v6, v0 src0_sel:WORD_0 src1_sel:DWORD
	v_cndmask_b32_e32 v7, v1, v6, vcc
; %bb.365:
	s_or_b64 exec, exec, s[0:1]
	global_store_short_d16_hi v[10:11], v7, off offset:192
.LBB175_366:
	s_endpgm
.LBB175_367:
	v_mov_b32_e32 v7, 0xf0
	v_lshl_add_u32 v7, v1, 2, v7
	ds_read_b32 v7, v7
	s_waitcnt lgkmcnt(0)
	v_add_f32_e32 v8, v8, v7
	s_or_b64 exec, exec, s[4:5]
	s_and_saveexec_b64 s[4:5], s[0:1]
	s_cbranch_execz .LBB175_328
.LBB175_368:
	v_mov_b32_e32 v7, 0xf0
	v_lshl_add_u32 v7, v1, 2, v7
	ds_read_b32 v7, v7 offset:64
	s_waitcnt lgkmcnt(0)
	v_add_f32_e32 v9, v9, v7
	s_or_b64 exec, exec, s[4:5]
	s_and_saveexec_b64 s[4:5], s[0:1]
	s_cbranch_execz .LBB175_329
.LBB175_369:
	v_mov_b32_e32 v7, 0xf0
	v_lshl_add_u32 v7, v1, 2, v7
	ds_read_b32 v7, v7 offset:128
	s_waitcnt lgkmcnt(0)
	v_add_f32_e32 v4, v4, v7
	s_or_b64 exec, exec, s[4:5]
	s_and_saveexec_b64 s[4:5], s[0:1]
	s_cbranch_execz .LBB175_330
.LBB175_370:
	v_mov_b32_e32 v7, 0xf0
	v_lshl_add_u32 v7, v1, 2, v7
	ds_read_b32 v7, v7 offset:192
	s_waitcnt lgkmcnt(0)
	v_add_f32_e32 v5, v5, v7
	s_or_b64 exec, exec, s[4:5]
	s_and_saveexec_b64 s[4:5], s[0:1]
	s_cbranch_execz .LBB175_331
.LBB175_371:
	v_mov_b32_e32 v7, 0xf0
	v_lshl_add_u32 v7, v1, 2, v7
	ds_read_b32 v7, v7 offset:256
	s_waitcnt lgkmcnt(0)
	v_add_f32_e32 v2, v2, v7
	s_or_b64 exec, exec, s[4:5]
	s_and_saveexec_b64 s[4:5], s[0:1]
	s_cbranch_execz .LBB175_332
.LBB175_372:
	v_mov_b32_e32 v7, 0xf0
	v_lshl_add_u32 v7, v1, 2, v7
	ds_read_b32 v7, v7 offset:320
	s_waitcnt lgkmcnt(0)
	v_add_f32_e32 v3, v3, v7
	s_or_b64 exec, exec, s[4:5]
	s_and_saveexec_b64 s[4:5], s[0:1]
	s_cbranch_execnz .LBB175_333
	s_branch .LBB175_334
	.section	.rodata,"a",@progbits
	.p2align	6, 0x0
	.amdhsa_kernel _ZN4vllm25paged_attention_v2_kernelI14__hip_bfloat16S1_Li112ELi32ELi128ELNS_18Fp8KVCacheDataTypeE0ELb1ELi512EEEvPfS3_PT_PKS4_PKT0_SA_ifPKiSC_iPKfiiiSE_SE_iiiii
		.amdhsa_group_segment_fixed_size 240
		.amdhsa_private_segment_fixed_size 0
		.amdhsa_kernarg_size 400
		.amdhsa_user_sgpr_count 6
		.amdhsa_user_sgpr_private_segment_buffer 1
		.amdhsa_user_sgpr_dispatch_ptr 0
		.amdhsa_user_sgpr_queue_ptr 0
		.amdhsa_user_sgpr_kernarg_segment_ptr 1
		.amdhsa_user_sgpr_dispatch_id 0
		.amdhsa_user_sgpr_flat_scratch_init 0
		.amdhsa_user_sgpr_kernarg_preload_length 0
		.amdhsa_user_sgpr_kernarg_preload_offset 0
		.amdhsa_user_sgpr_private_segment_size 0
		.amdhsa_uses_dynamic_stack 0
		.amdhsa_system_sgpr_private_segment_wavefront_offset 0
		.amdhsa_system_sgpr_workgroup_id_x 1
		.amdhsa_system_sgpr_workgroup_id_y 1
		.amdhsa_system_sgpr_workgroup_id_z 1
		.amdhsa_system_sgpr_workgroup_info 0
		.amdhsa_system_vgpr_workitem_id 0
		.amdhsa_next_free_vgpr 109
		.amdhsa_next_free_sgpr 53
		.amdhsa_accum_offset 112
		.amdhsa_reserve_vcc 1
		.amdhsa_reserve_flat_scratch 0
		.amdhsa_float_round_mode_32 0
		.amdhsa_float_round_mode_16_64 0
		.amdhsa_float_denorm_mode_32 3
		.amdhsa_float_denorm_mode_16_64 3
		.amdhsa_dx10_clamp 1
		.amdhsa_ieee_mode 1
		.amdhsa_fp16_overflow 0
		.amdhsa_tg_split 0
		.amdhsa_exception_fp_ieee_invalid_op 0
		.amdhsa_exception_fp_denorm_src 0
		.amdhsa_exception_fp_ieee_div_zero 0
		.amdhsa_exception_fp_ieee_overflow 0
		.amdhsa_exception_fp_ieee_underflow 0
		.amdhsa_exception_fp_ieee_inexact 0
		.amdhsa_exception_int_div_zero 0
	.end_amdhsa_kernel
	.section	.text._ZN4vllm25paged_attention_v2_kernelI14__hip_bfloat16S1_Li112ELi32ELi128ELNS_18Fp8KVCacheDataTypeE0ELb1ELi512EEEvPfS3_PT_PKS4_PKT0_SA_ifPKiSC_iPKfiiiSE_SE_iiiii,"axG",@progbits,_ZN4vllm25paged_attention_v2_kernelI14__hip_bfloat16S1_Li112ELi32ELi128ELNS_18Fp8KVCacheDataTypeE0ELb1ELi512EEEvPfS3_PT_PKS4_PKT0_SA_ifPKiSC_iPKfiiiSE_SE_iiiii,comdat
.Lfunc_end175:
	.size	_ZN4vllm25paged_attention_v2_kernelI14__hip_bfloat16S1_Li112ELi32ELi128ELNS_18Fp8KVCacheDataTypeE0ELb1ELi512EEEvPfS3_PT_PKS4_PKT0_SA_ifPKiSC_iPKfiiiSE_SE_iiiii, .Lfunc_end175-_ZN4vllm25paged_attention_v2_kernelI14__hip_bfloat16S1_Li112ELi32ELi128ELNS_18Fp8KVCacheDataTypeE0ELb1ELi512EEEvPfS3_PT_PKS4_PKT0_SA_ifPKiSC_iPKfiiiSE_SE_iiiii
                                        ; -- End function
	.section	.AMDGPU.csdata,"",@progbits
; Kernel info:
; codeLenInByte = 13084
; NumSgprs: 57
; NumVgprs: 109
; NumAgprs: 0
; TotalNumVgprs: 109
; ScratchSize: 0
; MemoryBound: 0
; FloatMode: 240
; IeeeMode: 1
; LDSByteSize: 240 bytes/workgroup (compile time only)
; SGPRBlocks: 7
; VGPRBlocks: 13
; NumSGPRsForWavesPerEU: 57
; NumVGPRsForWavesPerEU: 109
; AccumOffset: 112
; Occupancy: 4
; WaveLimiterHint : 1
; COMPUTE_PGM_RSRC2:SCRATCH_EN: 0
; COMPUTE_PGM_RSRC2:USER_SGPR: 6
; COMPUTE_PGM_RSRC2:TRAP_HANDLER: 0
; COMPUTE_PGM_RSRC2:TGID_X_EN: 1
; COMPUTE_PGM_RSRC2:TGID_Y_EN: 1
; COMPUTE_PGM_RSRC2:TGID_Z_EN: 1
; COMPUTE_PGM_RSRC2:TIDIG_COMP_CNT: 0
; COMPUTE_PGM_RSRC3_GFX90A:ACCUM_OFFSET: 27
; COMPUTE_PGM_RSRC3_GFX90A:TG_SPLIT: 0
	.section	.text._ZN4vllm25paged_attention_v2_kernelI14__hip_bfloat16S1_Li120ELi32ELi128ELNS_18Fp8KVCacheDataTypeE0ELb1ELi512EEEvPfS3_PT_PKS4_PKT0_SA_ifPKiSC_iPKfiiiSE_SE_iiiii,"axG",@progbits,_ZN4vllm25paged_attention_v2_kernelI14__hip_bfloat16S1_Li120ELi32ELi128ELNS_18Fp8KVCacheDataTypeE0ELb1ELi512EEEvPfS3_PT_PKS4_PKT0_SA_ifPKiSC_iPKfiiiSE_SE_iiiii,comdat
	.protected	_ZN4vllm25paged_attention_v2_kernelI14__hip_bfloat16S1_Li120ELi32ELi128ELNS_18Fp8KVCacheDataTypeE0ELb1ELi512EEEvPfS3_PT_PKS4_PKT0_SA_ifPKiSC_iPKfiiiSE_SE_iiiii ; -- Begin function _ZN4vllm25paged_attention_v2_kernelI14__hip_bfloat16S1_Li120ELi32ELi128ELNS_18Fp8KVCacheDataTypeE0ELb1ELi512EEEvPfS3_PT_PKS4_PKT0_SA_ifPKiSC_iPKfiiiSE_SE_iiiii
	.globl	_ZN4vllm25paged_attention_v2_kernelI14__hip_bfloat16S1_Li120ELi32ELi128ELNS_18Fp8KVCacheDataTypeE0ELb1ELi512EEEvPfS3_PT_PKS4_PKT0_SA_ifPKiSC_iPKfiiiSE_SE_iiiii
	.p2align	8
	.type	_ZN4vllm25paged_attention_v2_kernelI14__hip_bfloat16S1_Li120ELi32ELi128ELNS_18Fp8KVCacheDataTypeE0ELb1ELi512EEEvPfS3_PT_PKS4_PKT0_SA_ifPKiSC_iPKfiiiSE_SE_iiiii,@function
_ZN4vllm25paged_attention_v2_kernelI14__hip_bfloat16S1_Li120ELi32ELi128ELNS_18Fp8KVCacheDataTypeE0ELb1ELi512EEEvPfS3_PT_PKS4_PKT0_SA_ifPKiSC_iPKfiiiSE_SE_iiiii: ; @_ZN4vllm25paged_attention_v2_kernelI14__hip_bfloat16S1_Li120ELi32ELi128ELNS_18Fp8KVCacheDataTypeE0ELb1ELi512EEEvPfS3_PT_PKS4_PKT0_SA_ifPKiSC_iPKfiiiSE_SE_iiiii
; %bb.0:
	s_load_dwordx2 s[0:1], s[4:5], 0x40
	s_mov_b32 s28, s7
	s_ashr_i32 s29, s7, 31
	s_lshl_b64 s[2:3], s[28:29], 2
	s_waitcnt lgkmcnt(0)
	s_add_u32 s0, s0, s2
	s_addc_u32 s1, s1, s3
	s_load_dword s29, s[0:1], 0x0
	s_lshl_b32 s49, s8, 9
	s_waitcnt lgkmcnt(0)
	s_cmp_ge_i32 s49, s29
	s_cbranch_scc1 .LBB176_413
; %bb.1:
	s_load_dword s9, s[4:5], 0x90
	s_load_dwordx2 s[38:39], s[4:5], 0x30
	s_waitcnt lgkmcnt(0)
	s_abs_i32 s2, s9
	s_abs_i32 s0, s38
	v_cvt_f32_u32_e32 v1, s0
	s_sub_i32 s3, 0, s0
	s_xor_b32 s1, s9, s38
	s_ashr_i32 s1, s1, 31
	v_rcp_iflag_f32_e32 v1, v1
	v_mul_f32_e32 v1, 0x4f7ffffe, v1
	v_cvt_u32_f32_e32 v1, v1
	v_readfirstlane_b32 s7, v1
	s_mul_i32 s3, s3, s7
	s_mul_hi_u32 s3, s7, s3
	s_add_i32 s7, s7, s3
	s_mul_hi_u32 s3, s2, s7
	s_mul_i32 s7, s3, s0
	s_sub_i32 s2, s2, s7
	s_add_i32 s10, s3, 1
	s_sub_i32 s7, s2, s0
	s_cmp_ge_u32 s2, s0
	s_cselect_b32 s3, s10, s3
	s_cselect_b32 s2, s7, s2
	s_add_i32 s7, s3, 1
	s_cmp_ge_u32 s2, s0
	s_cselect_b32 s0, s7, s3
	s_xor_b32 s0, s0, s1
	s_sub_i32 s12, s0, s1
	s_abs_i32 s2, s12
	v_cvt_f32_u32_e32 v1, s2
	s_load_dwordx2 s[0:1], s[4:5], 0x50
	s_sub_i32 s10, 0, s2
	s_abs_i32 s3, s6
	v_rcp_iflag_f32_e32 v1, v1
	s_mov_b32 s7, 0
	v_mul_f32_e32 v1, 0x4f7ffffe, v1
	v_cvt_u32_f32_e32 v1, v1
	v_readfirstlane_b32 s11, v1
	s_mul_i32 s10, s10, s11
	s_mul_hi_u32 s10, s11, s10
	s_add_i32 s11, s11, s10
	s_waitcnt lgkmcnt(0)
	s_cmp_eq_u64 s[0:1], 0
	s_mul_hi_u32 s10, s3, s11
	s_cbranch_scc1 .LBB176_3
; %bb.2:
	s_ashr_i32 s7, s6, 31
	s_lshl_b64 s[14:15], s[6:7], 2
	s_add_u32 s0, s0, s14
	s_addc_u32 s1, s1, s15
	s_load_dword s7, s[0:1], 0x0
.LBB176_3:
	s_ashr_i32 s16, s12, 31
	s_load_dwordx4 s[12:15], s[4:5], 0x58
	s_ashr_i32 s11, s6, 31
	v_and_b32_e32 v2, 1, v0
	s_waitcnt lgkmcnt(0)
	s_movk_i32 s15, 0x78
	s_mul_i32 s24, s6, 0x78
	v_cmp_gt_u32_e32 vcc, 30, v0
	v_lshlrev_b32_e32 v46, 3, v0
	s_and_saveexec_b64 s[0:1], vcc
	s_cbranch_execz .LBB176_5
; %bb.4:
	s_load_dwordx2 s[18:19], s[4:5], 0x18
	s_mul_i32 s20, s28, s12
	s_ashr_i32 s21, s20, 31
	s_lshl_b64 s[20:21], s[20:21], 1
	v_lshlrev_b32_e32 v1, 2, v0
	s_waitcnt lgkmcnt(0)
	s_add_u32 s12, s18, s20
	s_addc_u32 s17, s19, s21
	s_ashr_i32 s25, s24, 31
	s_lshl_b64 s[18:19], s[24:25], 1
	s_add_u32 s18, s12, s18
	s_addc_u32 s19, s17, s19
	global_load_dwordx2 v[4:5], v46, s[18:19]
	v_and_b32_e32 v1, 0xff8, v1
	v_mad_u32_u24 v1, v2, s15, v1
	s_waitcnt vmcnt(0)
	ds_write_b64 v1, v[4:5]
.LBB176_5:
	s_or_b64 exec, exec, s[0:1]
	s_mul_i32 s1, s10, s2
	s_sub_i32 s1, s3, s1
	s_xor_b32 s0, s11, s16
	s_add_i32 s3, s10, 1
	s_sub_i32 s11, s1, s2
	s_load_dwordx4 s[16:19], s[4:5], 0x78
	s_cmp_ge_u32 s1, s2
	s_cselect_b32 s3, s3, s10
	s_cselect_b32 s1, s11, s1
	s_load_dword s11, s[4:5], 0x88
	s_add_i32 s10, s3, 1
	s_cmp_ge_u32 s1, s2
	s_cselect_b32 s1, s10, s3
	s_waitcnt lgkmcnt(0)
	s_abs_i32 s25, s19
	v_cvt_f32_u32_e32 v1, s25
	s_xor_b32 s1, s1, s0
	s_sub_i32 s2, s1, s0
	s_sub_i32 s0, 0, s25
	v_rcp_iflag_f32_e32 v1, v1
	s_add_i32 s12, s29, -1
	s_abs_i32 s3, s12
	v_mul_f32_e32 v1, 0x4f7ffffe, v1
	v_cvt_u32_f32_e32 v1, v1
	s_barrier
	v_readfirstlane_b32 s33, v1
	s_mul_i32 s0, s0, s33
	s_mul_hi_u32 s0, s33, s0
	s_add_i32 s33, s33, s0
	s_cmp_lt_i32 s11, 0
	s_mul_hi_u32 s10, s3, s33
	s_cbranch_scc0 .LBB176_7
; %bb.6:
	s_mul_i32 s0, s16, s38
	s_add_i32 s0, s2, s0
	s_mul_i32 s0, s0, s11
	s_sub_i32 s46, 1, s0
	s_mov_b64 s[0:1], 0
	s_branch .LBB176_8
.LBB176_7:
	s_mov_b64 s[0:1], -1
                                        ; implicit-def: $sgpr46
.LBB176_8:
	s_load_dwordx2 s[30:31], s[4:5], 0x38
	s_ashr_i32 s12, s12, 31
	s_andn2_b64 vcc, exec, s[0:1]
	s_ashr_i32 s19, s19, 31
	s_cbranch_vccnz .LBB176_10
; %bb.9:
	s_mul_i32 s0, s9, s16
	s_add_i32 s0, s0, s6
	s_mul_i32 s0, s0, s11
	s_add_i32 s46, s0, 1
.LBB176_10:
	s_load_dword s0, s[4:5], 0x48
	s_load_dwordx2 s[36:37], s[4:5], 0x28
	s_load_dword s16, s[4:5], 0x98
	s_load_dwordx4 s[20:23], s[4:5], 0x0
	s_load_dwordx2 s[26:27], s[4:5], 0x10
	s_mul_i32 s1, s10, s25
	s_waitcnt lgkmcnt(0)
	s_mul_i32 s34, s28, s0
	s_sub_i32 s1, s3, s1
	s_ashr_i32 s35, s34, 31
	s_xor_b32 s0, s12, s19
	s_add_i32 s3, s10, 1
	s_sub_i32 s11, s1, s25
	s_cmp_ge_u32 s1, s25
	s_cselect_b32 s3, s3, s10
	s_cselect_b32 s1, s11, s1
	s_add_i32 s10, s3, 1
	s_cmp_ge_u32 s1, s25
	s_cselect_b32 s1, s10, s3
	s_xor_b32 s1, s1, s0
	s_sub_i32 s48, s1, s0
	s_add_i32 s0, s29, 31
	s_ashr_i32 s1, s0, 31
	s_lshr_b32 s1, s1, 27
	s_add_i32 s0, s0, s1
	s_lshl_b32 s38, s8, 4
	s_ashr_i32 s12, s0, 5
	s_add_i32 s0, s38, 16
	v_lshrrev_b32_e32 v47, 6, v0
	s_min_i32 s47, s0, s12
	v_or_b32_e32 v30, s38, v47
	v_cmp_gt_i32_e64 s[0:1], s47, v30
	v_mov_b32_e32 v53, 0xff7fffff
	s_mul_i32 s14, s2, s14
	v_ashrrev_i32_e32 v31, 31, v30
	v_lshl_add_u32 v1, v47, 5, s49
	v_mbcnt_lo_u32_b32 v48, -1, 0
	s_and_saveexec_b64 s[40:41], s[0:1]
	s_cbranch_execz .LBB176_20
; %bb.11:
	s_load_dwordx2 s[2:3], s[4:5], 0x20
	s_ashr_i32 s15, s14, 31
	s_sub_i32 s50, s48, s17
	s_lshl_b64 s[4:5], s[14:15], 1
	v_bfe_u32 v49, v0, 1, 5
	s_waitcnt lgkmcnt(0)
	s_add_u32 s2, s2, s4
	s_addc_u32 s3, s3, s5
	s_abs_i32 s15, s18
	v_cvt_f32_u32_e32 v5, s15
	v_lshlrev_b32_e32 v3, 4, v49
	v_mov_b32_e32 v4, s3
	v_add_co_u32_e64 v3, s[2:3], s2, v3
	v_rcp_iflag_f32_e32 v5, v5
	v_addc_co_u32_e64 v4, s[2:3], 0, v4, s[2:3]
	v_and_b32_e32 v6, 8, v46
	v_add_co_u32_e64 v50, s[2:3], v3, v6
	v_mul_f32_e32 v3, 0x4f7ffffe, v5
	v_cvt_u32_f32_e32 v3, v3
	s_sub_i32 s4, 0, s15
	v_cmp_eq_u32_e32 vcc, 0, v2
	v_mul_u32_u24_e32 v52, 0x78, v2
	v_mul_lo_u32 v2, s4, v3
	s_lshl_b64 s[4:5], s[34:35], 2
	v_mul_hi_u32 v2, v3, v2
	s_add_u32 s4, s30, s4
	v_add_u32_e32 v54, v3, v2
	v_lshlrev_b64 v[2:3], 2, v[30:31]
	s_addc_u32 s5, s31, s5
	v_addc_co_u32_e64 v51, s[2:3], 0, v4, s[2:3]
	v_mov_b32_e32 v4, s5
	v_add_co_u32_e64 v32, s[4:5], s4, v2
	v_lshlrev_b32_e32 v2, 2, v49
	v_lshl_or_b32 v2, v47, 7, v2
	v_add_u32_e32 v56, 0x100, v2
	v_subrev_u32_e32 v2, s29, v49
	v_mbcnt_hi_u32_b32 v59, -1, v48
	v_add_u32_e32 v57, 1, v2
	v_and_b32_e32 v2, 64, v59
	s_mov_b32 s51, s13
	v_cmp_neq_f32_e64 s[2:3], s7, 0
	v_addc_co_u32_e64 v33, s[4:5], v4, v3, s[4:5]
	v_lshl_add_u32 v55, v47, 5, s49
	s_mov_b64 s[42:43], 0
	v_mov_b32_e32 v58, 0xff7fffff
	s_movk_i32 s52, 0x1000
	v_xor_b32_e32 v60, 1, v59
	v_add_u32_e32 v61, 64, v2
	v_mov_b32_e32 v53, 0xff7fffff
	v_mov_b32_e32 v62, v30
	s_branch .LBB176_14
.LBB176_12:                             ;   in Loop: Header=BB176_14 Depth=1
	s_or_b64 exec, exec, s[44:45]
.LBB176_13:                             ;   in Loop: Header=BB176_14 Depth=1
	s_or_b64 exec, exec, s[10:11]
	v_add_co_u32_e64 v32, s[4:5], 8, v32
	v_add_u32_e32 v62, 2, v62
	v_addc_co_u32_e64 v33, s[4:5], 0, v33, s[4:5]
	v_cmp_le_i32_e64 s[4:5], s47, v62
	v_add_u32_e32 v55, 64, v55
	s_or_b64 s[42:43], s[4:5], s[42:43]
	v_add_u32_e32 v56, 0x100, v56
	s_andn2_b64 exec, exec, s[42:43]
	s_cbranch_execz .LBB176_19
.LBB176_14:                             ; =>This Inner Loop Header: Depth=1
	s_waitcnt lgkmcnt(0)
	v_sub_u32_e32 v3, 0, v55
	v_max_i32_e32 v3, v55, v3
	v_mul_hi_u32 v4, v3, s33
	v_mul_lo_u32 v5, v4, s25
	v_sub_u32_e32 v3, v3, v5
	v_add_u32_e32 v5, 1, v4
	v_cmp_le_u32_e64 s[4:5], s25, v3
	v_cndmask_b32_e64 v4, v4, v5, s[4:5]
	v_subrev_u32_e32 v5, s25, v3
	v_cndmask_b32_e64 v3, v3, v5, s[4:5]
	v_ashrrev_i32_e32 v2, 31, v55
	v_add_u32_e32 v5, 1, v4
	v_cmp_le_u32_e64 s[4:5], s25, v3
	v_xor_b32_e32 v2, s19, v2
	v_cndmask_b32_e64 v3, v4, v5, s[4:5]
	v_xor_b32_e32 v3, v3, v2
	v_sub_u32_e32 v2, v3, v2
	v_add_u32_e32 v3, s46, v2
	v_sub_u32_e32 v5, 0, v3
	v_ashrrev_i32_e32 v4, 31, v3
	v_max_i32_e32 v3, v3, v5
	v_mul_hi_u32 v5, v3, v54
	v_mul_lo_u32 v5, v5, s15
	v_sub_u32_e32 v3, v3, v5
	v_subrev_u32_e32 v5, s15, v3
	v_cmp_le_u32_e64 s[4:5], s15, v3
	v_cndmask_b32_e64 v3, v3, v5, s[4:5]
	v_subrev_u32_e32 v5, s15, v3
	v_cmp_le_u32_e64 s[4:5], s15, v3
	v_cndmask_b32_e64 v3, v3, v5, s[4:5]
	v_xor_b32_e32 v3, v3, v4
	v_sub_u32_e32 v3, v3, v4
	v_cmp_ne_u32_e64 s[4:5], 0, v3
	v_cmp_ge_i32_e64 s[10:11], s50, v2
	s_and_b64 s[4:5], s[4:5], s[10:11]
	s_and_b64 s[44:45], vcc, s[4:5]
	s_and_saveexec_b64 s[10:11], s[44:45]
	s_cbranch_execz .LBB176_16
; %bb.15:                               ;   in Loop: Header=BB176_14 Depth=1
	ds_write_b32 v56, v58
.LBB176_16:                             ;   in Loop: Header=BB176_14 Depth=1
	s_or_b64 exec, exec, s[10:11]
	s_xor_b64 s[4:5], s[4:5], -1
	s_and_saveexec_b64 s[10:11], s[4:5]
	s_cbranch_execz .LBB176_13
; %bb.17:                               ;   in Loop: Header=BB176_14 Depth=1
	global_load_dword v2, v[32:33], off
	s_waitcnt vmcnt(0)
	v_mad_i64_i32 v[2:3], s[4:5], v2, s51, 0
	v_lshlrev_b64 v[2:3], 1, v[2:3]
	v_add_co_u32_e64 v42, s[4:5], v50, v2
	v_addc_co_u32_e64 v43, s[4:5], v51, v3, s[4:5]
	global_load_dwordx2 v[36:37], v[42:43], off offset:1024
	global_load_dwordx2 v[34:35], v[42:43], off offset:1536
	;; [unrolled: 1-line block ×3, first 2 shown]
	global_load_dwordx2 v[40:41], v[42:43], off
	ds_read2_b64 v[26:29], v52 offset1:1
	ds_read2_b64 v[22:25], v52 offset0:2 offset1:3
	ds_read2_b64 v[18:21], v52 offset0:4 offset1:5
	;; [unrolled: 1-line block ×6, first 2 shown]
	ds_read_b64 v[44:45], v52 offset:112
	global_load_dwordx2 v[64:65], v[42:43], off offset:2048
	global_load_dwordx2 v[66:67], v[42:43], off offset:2560
	;; [unrolled: 1-line block ×4, first 2 shown]
	v_cmp_lt_i32_e64 s[4:5], v60, v61
	v_cndmask_b32_e64 v63, v59, v60, s[4:5]
	v_add_co_u32_e64 v72, s[4:5], s52, v42
	v_addc_co_u32_e64 v73, s[4:5], 0, v43, s[4:5]
	global_load_dwordx2 v[74:75], v[72:73], off
	global_load_dwordx2 v[76:77], v[72:73], off offset:512
	global_load_dwordx2 v[42:43], v[72:73], off offset:1024
	s_waitcnt lgkmcnt(3)
	v_lshlrev_b32_e32 v94, 16, v10
	v_lshlrev_b32_e32 v95, 16, v11
	s_waitcnt lgkmcnt(2)
	v_lshlrev_b32_e32 v98, 16, v6
	v_lshlrev_b32_e32 v99, 16, v7
	;; [unrolled: 1-line block ×4, first 2 shown]
	v_and_b32_e32 v102, 0xffff0000, v10
	v_and_b32_e32 v103, 0xffff0000, v11
	;; [unrolled: 1-line block ×6, first 2 shown]
	s_waitcnt lgkmcnt(1)
	v_lshlrev_b32_e32 v108, 16, v2
	v_lshlrev_b32_e32 v109, 16, v3
	v_and_b32_e32 v110, 0xffff0000, v2
	v_and_b32_e32 v111, 0xffff0000, v3
	global_load_dwordx2 v[6:7], v[72:73], off offset:1536
	global_load_dwordx2 v[8:9], v[72:73], off offset:2048
	;; [unrolled: 1-line block ×4, first 2 shown]
	v_lshlrev_b32_e32 v80, 16, v28
	v_lshlrev_b32_e32 v81, 16, v29
	v_and_b32_e32 v28, 0xffff0000, v28
	v_and_b32_e32 v29, 0xffff0000, v29
	v_lshlrev_b32_e32 v78, 16, v26
	v_lshlrev_b32_e32 v79, 16, v27
	v_and_b32_e32 v26, 0xffff0000, v26
	v_and_b32_e32 v27, 0xffff0000, v27
	;; [unrolled: 4-line block ×9, first 2 shown]
	v_lshlrev_b32_e32 v63, 2, v63
	s_waitcnt vmcnt(14)
	v_lshlrev_b32_e32 v114, 16, v36
	v_and_b32_e32 v36, 0xffff0000, v36
	s_waitcnt vmcnt(12)
	v_lshlrev_b32_e32 v72, 16, v38
	v_and_b32_e32 v38, 0xffff0000, v38
	v_lshlrev_b32_e32 v112, 16, v39
	v_and_b32_e32 v39, 0xffff0000, v39
	s_waitcnt vmcnt(11)
	v_lshlrev_b32_e32 v73, 16, v40
	v_and_b32_e32 v40, 0xffff0000, v40
	v_lshlrev_b32_e32 v113, 16, v41
	v_and_b32_e32 v41, 0xffff0000, v41
	v_mul_f32_e32 v28, v28, v38
	v_mul_f32_e32 v29, v29, v39
	v_lshlrev_b32_e32 v115, 16, v37
	v_and_b32_e32 v37, 0xffff0000, v37
	v_mul_f32_e32 v72, v80, v72
	v_mul_f32_e32 v38, v81, v112
	v_fmac_f32_e32 v28, v26, v40
	v_fmac_f32_e32 v29, v27, v41
	v_lshlrev_b32_e32 v116, 16, v34
	v_and_b32_e32 v34, 0xffff0000, v34
	v_lshlrev_b32_e32 v117, 16, v35
	v_and_b32_e32 v35, 0xffff0000, v35
	v_fmac_f32_e32 v72, v78, v73
	v_fmac_f32_e32 v38, v79, v113
	v_fmac_f32_e32 v28, v22, v36
	v_fmac_f32_e32 v29, v23, v37
	s_waitcnt vmcnt(10)
	v_lshlrev_b32_e32 v118, 16, v64
	v_and_b32_e32 v64, 0xffff0000, v64
	v_lshlrev_b32_e32 v119, 16, v65
	v_and_b32_e32 v65, 0xffff0000, v65
	v_fmac_f32_e32 v72, v82, v114
	v_fmac_f32_e32 v38, v83, v115
	v_fmac_f32_e32 v28, v24, v34
	v_fmac_f32_e32 v29, v25, v35
	s_waitcnt vmcnt(9)
	;; [unrolled: 9-line block ×7, first 2 shown]
	v_lshlrev_b32_e32 v126, 16, v42
	v_and_b32_e32 v42, 0xffff0000, v42
	v_fmac_f32_e32 v72, v94, v39
	v_fmac_f32_e32 v38, v95, v80
	;; [unrolled: 1-line block ×4, first 2 shown]
	v_and_b32_e32 v12, 0xffff0000, v43
	v_lshlrev_b32_e32 v127, 16, v43
	v_fmac_f32_e32 v72, v96, v81
	v_fmac_f32_e32 v38, v97, v112
	;; [unrolled: 1-line block ×4, first 2 shown]
	s_waitcnt vmcnt(3)
	v_lshlrev_b32_e32 v12, 16, v6
	v_and_b32_e32 v6, 0xffff0000, v6
	v_fmac_f32_e32 v72, v98, v126
	v_fmac_f32_e32 v38, v99, v127
	;; [unrolled: 1-line block ×3, first 2 shown]
	v_lshlrev_b32_e32 v6, 16, v7
	v_and_b32_e32 v7, 0xffff0000, v7
	v_fmac_f32_e32 v72, v100, v12
	v_fmac_f32_e32 v38, v101, v6
	;; [unrolled: 1-line block ×3, first 2 shown]
	s_waitcnt vmcnt(2)
	v_lshlrev_b32_e32 v6, 16, v8
	v_and_b32_e32 v7, 0xffff0000, v8
	v_fmac_f32_e32 v72, v108, v6
	v_fmac_f32_e32 v28, v110, v7
	v_lshlrev_b32_e32 v6, 16, v9
	v_and_b32_e32 v7, 0xffff0000, v9
	v_fmac_f32_e32 v38, v109, v6
	v_fmac_f32_e32 v29, v111, v7
	v_lshlrev_b32_e32 v6, 16, v4
	v_and_b32_e32 v4, 0xffff0000, v4
	s_waitcnt vmcnt(1)
	v_lshlrev_b32_e32 v7, 16, v10
	v_and_b32_e32 v8, 0xffff0000, v10
	v_fmac_f32_e32 v72, v7, v6
	v_fmac_f32_e32 v28, v8, v4
	v_lshlrev_b32_e32 v4, 16, v5
	v_and_b32_e32 v5, 0xffff0000, v5
	v_lshlrev_b32_e32 v6, 16, v11
	v_and_b32_e32 v7, 0xffff0000, v11
	v_fmac_f32_e32 v38, v6, v4
	v_fmac_f32_e32 v29, v7, v5
	s_waitcnt lgkmcnt(0)
	v_lshlrev_b32_e32 v4, 16, v44
	v_and_b32_e32 v5, 0xffff0000, v44
	s_waitcnt vmcnt(0)
	v_lshlrev_b32_e32 v6, 16, v2
	v_and_b32_e32 v2, 0xffff0000, v2
	v_fmac_f32_e32 v72, v6, v4
	v_fmac_f32_e32 v28, v2, v5
	v_lshlrev_b32_e32 v2, 16, v45
	v_lshlrev_b32_e32 v5, 16, v3
	v_and_b32_e32 v4, 0xffff0000, v45
	v_and_b32_e32 v3, 0xffff0000, v3
	v_fmac_f32_e32 v38, v5, v2
	v_add_f32_e32 v2, v72, v28
	v_fmac_f32_e32 v29, v3, v4
	v_add_f32_e32 v2, v2, v38
	v_add_f32_e32 v2, v29, v2
	ds_bpermute_b32 v3, v63, v2
	s_and_saveexec_b64 s[44:45], vcc
	s_cbranch_execz .LBB176_12
; %bb.18:                               ;   in Loop: Header=BB176_14 Depth=1
	v_add_u32_e32 v4, v57, v55
	v_cvt_f32_i32_e32 v4, v4
	s_waitcnt lgkmcnt(0)
	v_add_f32_e32 v2, v2, v3
	v_add_u32_e32 v5, v49, v55
	v_cmp_gt_i32_e64 s[4:5], s29, v5
	v_mul_f32_e32 v3, s7, v4
	v_cndmask_b32_e64 v3, 0, v3, s[2:3]
	v_fmac_f32_e32 v3, s39, v2
	v_cndmask_b32_e64 v2, 0, v3, s[4:5]
	ds_write_b32 v56, v2
	v_max_f32_e32 v2, v53, v53
	v_max_f32_e32 v2, v2, v3
	v_cndmask_b32_e64 v53, v53, v2, s[4:5]
	s_branch .LBB176_12
.LBB176_19:
	s_or_b64 exec, exec, s[42:43]
.LBB176_20:
	s_or_b64 exec, exec, s[40:41]
	v_mbcnt_hi_u32_b32 v5, -1, v48
	v_and_b32_e32 v2, 64, v5
	v_add_u32_e32 v10, 64, v2
	v_xor_b32_e32 v2, 32, v5
	v_cmp_lt_i32_e32 vcc, v2, v10
	v_cndmask_b32_e32 v2, v5, v2, vcc
	v_lshlrev_b32_e32 v2, 2, v2
	s_waitcnt lgkmcnt(0)
	ds_bpermute_b32 v3, v2, v53
	v_xor_b32_e32 v6, 16, v5
	v_max_f32_e32 v4, v53, v53
	v_cmp_lt_i32_e32 vcc, v6, v10
	v_xor_b32_e32 v7, 8, v5
	s_waitcnt lgkmcnt(0)
	v_max_f32_e32 v3, v3, v3
	v_max_f32_e32 v4, v4, v3
	v_cndmask_b32_e32 v3, v5, v6, vcc
	v_lshlrev_b32_e32 v3, 2, v3
	ds_bpermute_b32 v6, v3, v4
	v_cmp_lt_i32_e32 vcc, v7, v10
	v_xor_b32_e32 v8, 4, v5
	v_xor_b32_e32 v11, 2, v5
	s_waitcnt lgkmcnt(0)
	v_max_f32_e32 v6, v6, v6
	v_max_f32_e32 v4, v4, v6
	v_cndmask_b32_e32 v6, v5, v7, vcc
	v_lshlrev_b32_e32 v6, 2, v6
	ds_bpermute_b32 v7, v6, v4
	v_cmp_lt_i32_e32 vcc, v8, v10
	s_waitcnt lgkmcnt(0)
	v_max_f32_e32 v7, v7, v7
	v_max_f32_e32 v4, v4, v7
	v_cndmask_b32_e32 v7, v5, v8, vcc
	v_lshlrev_b32_e32 v7, 2, v7
	ds_bpermute_b32 v8, v7, v4
	v_cmp_lt_i32_e32 vcc, v11, v10
	s_waitcnt lgkmcnt(0)
	v_max_f32_e32 v8, v8, v8
	v_max_f32_e32 v9, v4, v8
	v_cndmask_b32_e32 v4, v5, v11, vcc
	v_lshlrev_b32_e32 v20, 2, v4
	ds_bpermute_b32 v11, v20, v9
	v_and_b32_e32 v4, 63, v0
	v_cmp_eq_u32_e32 vcc, 0, v4
	v_lshlrev_b32_e32 v8, 2, v47
	s_and_saveexec_b64 s[2:3], vcc
	s_cbranch_execz .LBB176_22
; %bb.21:
	s_waitcnt lgkmcnt(0)
	v_max_f32_e32 v11, v11, v11
	v_max_f32_e32 v9, v9, v9
	;; [unrolled: 1-line block ×3, first 2 shown]
	ds_write_b32 v8, v9 offset:240
.LBB176_22:
	s_or_b64 exec, exec, s[2:3]
	v_cmp_gt_u32_e64 s[2:3], 2, v4
	s_waitcnt lgkmcnt(0)
	v_mov_b32_e32 v11, 0xff7fffff
	v_lshlrev_b32_e32 v9, 2, v4
	s_barrier
	s_and_saveexec_b64 s[4:5], s[2:3]
	s_cbranch_execz .LBB176_24
; %bb.23:
	ds_read_b32 v11, v9 offset:240
.LBB176_24:
	s_or_b64 exec, exec, s[4:5]
	v_xor_b32_e32 v12, 1, v5
	v_cmp_lt_i32_e64 s[4:5], v12, v10
	v_cndmask_b32_e64 v10, v5, v12, s[4:5]
	v_lshlrev_b32_e32 v21, 2, v10
	s_waitcnt lgkmcnt(0)
	ds_bpermute_b32 v10, v21, v11
	v_max_f32_e32 v11, v11, v11
	v_lshlrev_b32_e32 v5, 2, v5
	s_sub_i32 s4, s47, s38
	s_lshl_b32 s4, s4, 5
	s_waitcnt lgkmcnt(0)
	v_max_f32_e32 v10, v10, v10
	v_max_f32_e32 v11, v11, v10
	v_and_b32_e32 v10, 0x100, v5
	ds_bpermute_b32 v5, v10, v11
	s_add_i32 s4, s4, s49
	s_min_i32 s15, s4, s29
	s_sub_i32 s7, s15, s49
	v_cmp_gt_i32_e64 s[4:5], s7, v0
	v_mov_b32_e32 v11, 0
	s_and_saveexec_b64 s[38:39], s[4:5]
	s_cbranch_execz .LBB176_28
; %bb.25:
	v_mov_b32_e32 v11, 0x100
	v_lshl_add_u32 v12, v0, 2, v11
	s_mov_b64 s[40:41], 0
	v_mov_b32_e32 v11, 0
	v_mov_b32_e32 v13, v0
.LBB176_26:                             ; =>This Inner Loop Header: Depth=1
	ds_read_b32 v14, v12
	v_add_u32_e32 v13, 0x80, v13
	v_cmp_le_i32_e64 s[10:11], s7, v13
	s_or_b64 s[40:41], s[10:11], s[40:41]
	s_waitcnt lgkmcnt(0)
	v_sub_f32_e32 v14, v14, v5
	v_mul_f32_e32 v14, 0x3fb8aa3b, v14
	v_exp_f32_e32 v14, v14
	ds_write_b32 v12, v14
	v_add_f32_e32 v11, v11, v14
	v_add_u32_e32 v12, 0x200, v12
	s_andn2_b64 exec, exec, s[40:41]
	s_cbranch_execnz .LBB176_26
; %bb.27:
	s_or_b64 exec, exec, s[40:41]
.LBB176_28:
	s_or_b64 exec, exec, s[38:39]
	ds_bpermute_b32 v2, v2, v11
	s_waitcnt lgkmcnt(0)
	v_add_f32_e32 v2, v11, v2
	ds_bpermute_b32 v3, v3, v2
	s_waitcnt lgkmcnt(0)
	v_add_f32_e32 v2, v2, v3
	;; [unrolled: 3-line block ×6, first 2 shown]
	s_and_saveexec_b64 s[10:11], vcc
	s_cbranch_execz .LBB176_30
; %bb.29:
	ds_write_b32 v8, v2 offset:248
.LBB176_30:
	s_or_b64 exec, exec, s[10:11]
	s_waitcnt lgkmcnt(0)
	s_barrier
	s_and_saveexec_b64 s[10:11], s[2:3]
	s_cbranch_execz .LBB176_32
; %bb.31:
	ds_read_b32 v2, v9 offset:248
.LBB176_32:
	s_or_b64 exec, exec, s[10:11]
	s_waitcnt lgkmcnt(0)
	ds_bpermute_b32 v3, v21, v2
	s_waitcnt lgkmcnt(0)
	v_add_f32_e32 v2, v2, v3
	ds_bpermute_b32 v6, v10, v2
	s_and_saveexec_b64 s[2:3], s[4:5]
	s_cbranch_execz .LBB176_45
; %bb.33:
	s_waitcnt lgkmcnt(0)
	v_add_f32_e32 v2, 0x358637bd, v6
	v_div_scale_f32 v3, s[4:5], v2, v2, 1.0
	v_rcp_f32_e32 v7, v3
	v_div_scale_f32 v8, vcc, 1.0, v2, 1.0
	s_movk_i32 s4, 0x7f
	v_fma_f32 v9, -v3, v7, 1.0
	v_fmac_f32_e32 v7, v9, v7
	v_mul_f32_e32 v9, v8, v7
	v_fma_f32 v10, -v3, v9, v8
	v_fmac_f32_e32 v9, v10, v7
	v_fma_f32 v3, -v3, v9, v8
	v_div_fmas_f32 v3, v3, v7, v9
	v_div_fixup_f32 v2, v3, v2, 1.0
	v_xad_u32 v3, v0, -1, s15
	v_subrev_u32_e32 v7, s49, v3
	v_cmp_lt_u32_e32 vcc, s4, v7
	s_mov_b64 s[10:11], -1
	v_mov_b32_e32 v3, v0
	s_and_saveexec_b64 s[4:5], vcc
	s_cbranch_execz .LBB176_42
; %bb.34:
	v_lshrrev_b32_e32 v7, 7, v7
	v_add_u32_e32 v9, -1, v7
	v_lshrrev_b32_e32 v8, 1, v9
	v_mov_b32_e32 v3, v2
	v_add_u32_e32 v8, 1, v8
	v_cmp_lt_u32_e32 vcc, 13, v9
	v_mov_b32_e32 v11, 0
	s_and_saveexec_b64 s[10:11], vcc
	s_cbranch_execz .LBB176_38
; %bb.35:
	v_mov_b32_e32 v10, 0x100
	v_and_b32_e32 v9, -8, v8
	v_lshl_add_u32 v10, v0, 2, v10
	s_mov_b32 s15, 0
	s_mov_b64 s[38:39], 0
.LBB176_36:                             ; =>This Inner Loop Header: Depth=1
	ds_read2st64_b32 v[12:13], v10 offset1:2
	ds_read2st64_b32 v[14:15], v10 offset0:4 offset1:6
	ds_read2st64_b32 v[16:17], v10 offset0:8 offset1:10
	;; [unrolled: 1-line block ×3, first 2 shown]
	v_add_u32_e32 v9, -8, v9
	s_waitcnt lgkmcnt(3)
	v_pk_mul_f32 v[12:13], v[2:3], v[12:13]
	s_waitcnt lgkmcnt(2)
	v_pk_mul_f32 v[14:15], v[2:3], v[14:15]
	ds_write2st64_b32 v10, v12, v13 offset1:2
	ds_write2st64_b32 v10, v14, v15 offset0:4 offset1:6
	ds_read2st64_b32 v[14:15], v10 offset0:16 offset1:18
	s_waitcnt lgkmcnt(4)
	v_pk_mul_f32 v[12:13], v[2:3], v[16:17]
	ds_write2st64_b32 v10, v12, v13 offset0:8 offset1:10
	s_waitcnt lgkmcnt(4)
	v_pk_mul_f32 v[12:13], v[2:3], v[18:19]
	ds_write2st64_b32 v10, v12, v13 offset0:12 offset1:14
	ds_read2st64_b32 v[12:13], v10 offset0:20 offset1:22
	s_waitcnt lgkmcnt(3)
	v_pk_mul_f32 v[14:15], v[2:3], v[14:15]
	ds_read2st64_b32 v[16:17], v10 offset0:24 offset1:26
	ds_write2st64_b32 v10, v14, v15 offset0:16 offset1:18
	ds_read2st64_b32 v[14:15], v10 offset0:28 offset1:30
	s_waitcnt lgkmcnt(3)
	v_pk_mul_f32 v[12:13], v[2:3], v[12:13]
	ds_write2st64_b32 v10, v12, v13 offset0:20 offset1:22
	s_waitcnt lgkmcnt(3)
	v_pk_mul_f32 v[12:13], v[2:3], v[16:17]
	ds_write2st64_b32 v10, v12, v13 offset0:24 offset1:26
	s_waitcnt lgkmcnt(2)
	v_pk_mul_f32 v[12:13], v[2:3], v[14:15]
	s_add_i32 s15, s15, 16
	v_cmp_eq_u32_e32 vcc, 0, v9
	ds_write2st64_b32 v10, v12, v13 offset0:28 offset1:30
	v_add_u32_e32 v10, 0x2000, v10
	s_or_b64 s[38:39], vcc, s[38:39]
	v_mov_b32_e32 v11, s15
	s_andn2_b64 exec, exec, s[38:39]
	s_cbranch_execnz .LBB176_36
; %bb.37:
	s_or_b64 exec, exec, s[38:39]
.LBB176_38:
	s_or_b64 exec, exec, s[10:11]
	v_and_b32_e32 v8, 7, v8
	v_cmp_ne_u32_e32 vcc, 0, v8
	s_and_saveexec_b64 s[10:11], vcc
	s_cbranch_execz .LBB176_41
; %bb.39:
	v_lshlrev_b32_e32 v9, 9, v11
	v_lshlrev_b32_e32 v10, 2, v0
	s_movk_i32 s15, 0x100
	v_add3_u32 v9, v9, v10, s15
	s_mov_b64 s[38:39], 0
.LBB176_40:                             ; =>This Inner Loop Header: Depth=1
	ds_read2st64_b32 v[10:11], v9 offset1:2
	v_add_u32_e32 v8, -1, v8
	v_cmp_eq_u32_e32 vcc, 0, v8
	s_or_b64 s[38:39], vcc, s[38:39]
	s_waitcnt lgkmcnt(0)
	v_pk_mul_f32 v[10:11], v[2:3], v[10:11]
	ds_write2st64_b32 v9, v10, v11 offset1:2
	v_add_u32_e32 v9, 0x400, v9
	s_andn2_b64 exec, exec, s[38:39]
	s_cbranch_execnz .LBB176_40
.LBB176_41:
	s_or_b64 exec, exec, s[10:11]
	v_add_u32_e32 v7, 1, v7
	v_and_b32_e32 v8, 0x3fffffe, v7
	v_cmp_ne_u32_e32 vcc, v7, v8
	v_lshl_add_u32 v3, v8, 7, v0
	s_orn2_b64 s[10:11], vcc, exec
.LBB176_42:
	s_or_b64 exec, exec, s[4:5]
	s_and_b64 exec, exec, s[10:11]
	s_cbranch_execz .LBB176_45
; %bb.43:
	v_mov_b32_e32 v7, 0x100
	v_lshl_add_u32 v7, v3, 2, v7
	s_mov_b64 s[4:5], 0
.LBB176_44:                             ; =>This Inner Loop Header: Depth=1
	ds_read_b32 v8, v7
	v_add_u32_e32 v3, 0x80, v3
	v_cmp_le_i32_e32 vcc, s7, v3
	s_or_b64 s[4:5], vcc, s[4:5]
	s_waitcnt lgkmcnt(0)
	v_mul_f32_e32 v8, v2, v8
	ds_write_b32 v7, v8
	v_add_u32_e32 v7, 0x200, v7
	s_andn2_b64 exec, exec, s[4:5]
	s_cbranch_execnz .LBB176_44
.LBB176_45:
	s_or_b64 exec, exec, s[2:3]
	s_mul_i32 s2, s16, s28
	v_cmp_eq_u32_e32 vcc, 0, v0
	s_mul_i32 s4, s2, s9
	s_waitcnt lgkmcnt(0)
	s_barrier
	s_and_saveexec_b64 s[2:3], vcc
	s_cbranch_execz .LBB176_47
; %bb.46:
	s_ashr_i32 s5, s4, 31
	s_lshl_b64 s[10:11], s[4:5], 2
	s_add_u32 s5, s22, s10
	s_mul_i32 s6, s16, s6
	s_addc_u32 s9, s23, s11
	s_ashr_i32 s7, s6, 31
	s_lshl_b64 s[6:7], s[6:7], 2
	s_add_u32 s5, s5, s6
	s_addc_u32 s15, s9, s7
	s_ashr_i32 s9, s8, 31
	s_lshl_b64 s[22:23], s[8:9], 2
	s_add_u32 s38, s5, s22
	s_addc_u32 s39, s15, s23
	s_add_u32 s5, s20, s10
	s_addc_u32 s9, s21, s11
	;; [unrolled: 2-line block ×3, first 2 shown]
	s_add_u32 s6, s5, s22
	v_mov_b32_e32 v2, 0
	s_addc_u32 s7, s7, s23
	global_store_dword v2, v5, s[38:39]
	global_store_dword v2, v6, s[6:7]
.LBB176_47:
	s_or_b64 exec, exec, s[2:3]
	v_mov_b32_e32 v11, 0
	v_lshrrev_b32_e32 v23, 2, v4
	v_and_b32_e32 v22, 3, v0
	v_mov_b32_e32 v10, 0
	v_mov_b32_e32 v13, 0
	v_mov_b32_e32 v12, 0
	v_mov_b32_e32 v15, 0
	v_mov_b32_e32 v14, 0
	v_mov_b32_e32 v17, 0
	v_mov_b32_e32 v16, 0
	s_and_saveexec_b64 s[6:7], s[0:1]
	s_cbranch_execz .LBB176_359
; %bb.48:
	s_ashr_i32 s15, s14, 31
	s_sub_i32 s5, s48, s17
	s_lshl_b64 s[0:1], s[14:15], 1
	s_add_u32 s17, s36, s0
	s_addc_u32 s20, s37, s1
	s_abs_i32 s18, s18
	v_cvt_f32_u32_e32 v3, s18
	v_or_b32_e32 v5, 0x70, v23
	s_movk_i32 s0, 0x78
	v_and_b32_e32 v24, 24, v46
	v_rcp_iflag_f32_e32 v3, v3
	v_cmp_gt_u32_e32 vcc, s0, v5
	s_sub_i32 s0, 0, s18
	s_add_i32 s21, s12, -1
	v_mul_f32_e32 v3, 0x4f7ffffe, v3
	v_cvt_u32_f32_e32 v3, v3
	v_lshl_or_b32 v10, v5, 5, v24
	v_lshlrev_b64 v[12:13], 2, v[30:31]
	v_lshl_or_b32 v2, v23, 5, v24
	v_mul_lo_u32 v5, s0, v3
	s_lshl_b64 s[0:1], s[34:35], 2
	s_add_u32 s0, s30, s0
	v_mul_hi_u32 v5, v3, v5
	s_addc_u32 s1, s31, s1
	v_add_u32_e32 v26, v3, v5
	v_mov_b32_e32 v3, s1
	v_add_co_u32_e64 v18, s[0:1], s0, v12
	v_addc_co_u32_e64 v19, s[0:1], v3, v13, s[0:1]
	v_lshlrev_b32_e32 v3, 5, v22
	v_or_b32_e32 v4, 0x800, v2
	v_or_b32_e32 v6, 0xa00, v2
	;; [unrolled: 1-line block ×3, first 2 shown]
	v_lshl_or_b32 v3, v47, 7, v3
	s_mov_b32 s9, s13
	v_mov_b32_e32 v25, 0
	v_add_u32_e32 v27, 0x100, v3
	s_mov_b64 s[10:11], 0
	s_mov_b32 s22, 0x7f800000
	s_movk_i32 s23, 0x7fff
	v_lshlrev_b32_e32 v28, 1, v2
	v_lshlrev_b32_e32 v29, 1, v4
	;; [unrolled: 1-line block ×5, first 2 shown]
	v_mov_b32_e32 v16, 0
	v_mov_b32_e32 v17, 0
	;; [unrolled: 1-line block ×8, first 2 shown]
	s_branch .LBB176_52
.LBB176_49:                             ;   in Loop: Header=BB176_52 Depth=1
	s_or_b64 exec, exec, s[2:3]
	v_and_b32_e32 v45, 0xffff0000, v44
	v_and_b32_e32 v44, 0xffff0000, v42
	;; [unrolled: 1-line block ×8, first 2 shown]
	v_pk_add_f32 v[2:3], v[2:3], v[42:43]
	v_pk_add_f32 v[4:5], v[4:5], v[44:45]
	v_add_f32_e32 v2, v2, v3
	v_add_f32_e32 v2, v2, v4
	v_add_f32_e32 v2, v2, v5
	v_add_f32_e32 v11, v11, v2
.LBB176_50:                             ;   in Loop: Header=BB176_52 Depth=1
	s_or_b64 exec, exec, s[14:15]
	v_and_b32_e32 v2, 0xffff0000, v37
	v_and_b32_e32 v4, 0xffff0000, v36
	;; [unrolled: 1-line block ×8, first 2 shown]
	v_pk_add_f32 v[8:9], v[8:9], v[36:37]
	v_pk_add_f32 v[2:3], v[4:5], v[2:3]
	v_add_f32_e32 v4, v8, v9
	v_add_f32_e32 v2, v4, v2
	v_add_f32_e32 v2, v2, v3
	v_and_b32_e32 v9, 0xffff0000, v54
	v_and_b32_e32 v8, 0xffff0000, v52
	v_and_b32_e32 v35, 0xffff0000, v53
	v_and_b32_e32 v34, 0xffff0000, v51
	v_add_f32_e32 v16, v16, v2
	v_and_b32_e32 v3, 0xffff0000, v58
	v_and_b32_e32 v2, 0xffff0000, v56
	v_and_b32_e32 v5, 0xffff0000, v57
	v_and_b32_e32 v4, 0xffff0000, v55
	v_pk_add_f32 v[8:9], v[34:35], v[8:9]
	v_pk_add_f32 v[2:3], v[4:5], v[2:3]
	v_add_f32_e32 v4, v8, v9
	v_add_f32_e32 v2, v4, v2
	v_add_f32_e32 v2, v2, v3
	v_and_b32_e32 v9, 0xffff0000, v62
	v_and_b32_e32 v8, 0xffff0000, v60
	v_and_b32_e32 v35, 0xffff0000, v61
	v_and_b32_e32 v34, 0xffff0000, v59
	v_add_f32_e32 v17, v17, v2
	v_and_b32_e32 v3, 0xffff0000, v66
	v_and_b32_e32 v2, 0xffff0000, v64
	v_and_b32_e32 v5, 0xffff0000, v65
	v_and_b32_e32 v4, 0xffff0000, v63
	;; [unrolled: 14-line block ×6, first 2 shown]
	v_pk_add_f32 v[6:7], v[8:9], v[6:7]
	v_pk_add_f32 v[2:3], v[4:5], v[2:3]
	v_add_f32_e32 v4, v6, v7
	v_add_f32_e32 v2, v4, v2
	;; [unrolled: 1-line block ×4, first 2 shown]
.LBB176_51:                             ;   in Loop: Header=BB176_52 Depth=1
	s_or_b64 exec, exec, s[12:13]
	v_add_co_u32_e64 v18, s[0:1], 8, v18
	v_add_u32_e32 v30, 2, v30
	v_addc_co_u32_e64 v19, s[0:1], 0, v19, s[0:1]
	v_cmp_le_i32_e64 s[0:1], s47, v30
	v_add_u32_e32 v1, 64, v1
	s_or_b64 s[10:11], s[0:1], s[10:11]
	v_add_u32_e32 v27, 0x100, v27
	s_andn2_b64 exec, exec, s[10:11]
	s_cbranch_execz .LBB176_358
.LBB176_52:                             ; =>This Inner Loop Header: Depth=1
	v_sub_u32_e32 v3, 0, v1
	v_max_i32_e32 v3, v1, v3
	v_mul_hi_u32 v4, v3, s33
	v_mul_lo_u32 v5, v4, s25
	v_sub_u32_e32 v3, v3, v5
	v_add_u32_e32 v5, 1, v4
	v_cmp_le_u32_e64 s[0:1], s25, v3
	v_cndmask_b32_e64 v4, v4, v5, s[0:1]
	v_subrev_u32_e32 v5, s25, v3
	v_cndmask_b32_e64 v3, v3, v5, s[0:1]
	v_ashrrev_i32_e32 v2, 31, v1
	v_add_u32_e32 v5, 1, v4
	v_cmp_le_u32_e64 s[0:1], s25, v3
	v_xor_b32_e32 v2, s19, v2
	v_cndmask_b32_e64 v3, v4, v5, s[0:1]
	v_xor_b32_e32 v3, v3, v2
	v_sub_u32_e32 v2, v3, v2
	v_add_u32_e32 v3, s46, v2
	v_sub_u32_e32 v5, 0, v3
	v_ashrrev_i32_e32 v4, 31, v3
	v_max_i32_e32 v3, v3, v5
	v_mul_hi_u32 v5, v3, v26
	v_mul_lo_u32 v5, v5, s18
	v_sub_u32_e32 v3, v3, v5
	v_subrev_u32_e32 v5, s18, v3
	v_cmp_le_u32_e64 s[0:1], s18, v3
	v_cndmask_b32_e64 v3, v3, v5, s[0:1]
	v_subrev_u32_e32 v5, s18, v3
	v_cmp_le_u32_e64 s[0:1], s18, v3
	v_cndmask_b32_e64 v3, v3, v5, s[0:1]
	v_xor_b32_e32 v3, v3, v4
	v_sub_u32_e32 v3, v3, v4
	v_cmp_eq_u32_e64 s[0:1], 0, v3
	v_cmp_lt_i32_e64 s[2:3], s5, v2
	s_or_b64 s[0:1], s[0:1], s[2:3]
	s_and_saveexec_b64 s[12:13], s[0:1]
	s_cbranch_execz .LBB176_51
; %bb.53:                               ;   in Loop: Header=BB176_52 Depth=1
	global_load_dword v39, v[18:19], off
	ds_read2_b64 v[6:9], v27 offset1:1
	ds_read2_b64 v[2:5], v27 offset0:2 offset1:3
                                        ; implicit-def: $vgpr43
	s_waitcnt lgkmcnt(1)
	v_and_b32_e32 v34, 0x7f800000, v6
	v_cmp_ne_u32_e64 s[0:1], s22, v34
	s_and_saveexec_b64 s[2:3], s[0:1]
	s_xor_b64 s[0:1], exec, s[2:3]
; %bb.54:                               ;   in Loop: Header=BB176_52 Depth=1
	v_bfe_u32 v34, v6, 16, 1
	v_add3_u32 v43, v6, v34, s23
; %bb.55:                               ;   in Loop: Header=BB176_52 Depth=1
	s_andn2_saveexec_b64 s[2:3], s[0:1]
; %bb.56:                               ;   in Loop: Header=BB176_52 Depth=1
	v_or_b32_e32 v34, 0x10000, v6
	v_cmp_eq_u32_sdwa s[0:1], v6, v25 src0_sel:WORD_0 src1_sel:DWORD
	v_cndmask_b32_e64 v43, v34, v6, s[0:1]
; %bb.57:                               ;   in Loop: Header=BB176_52 Depth=1
	s_or_b64 exec, exec, s[2:3]
	v_and_b32_e32 v6, 0x7f800000, v7
	v_cmp_ne_u32_e64 s[0:1], s22, v6
                                        ; implicit-def: $vgpr44
	s_and_saveexec_b64 s[2:3], s[0:1]
	s_xor_b64 s[0:1], exec, s[2:3]
; %bb.58:                               ;   in Loop: Header=BB176_52 Depth=1
	v_bfe_u32 v6, v7, 16, 1
	v_add3_u32 v44, v7, v6, s23
; %bb.59:                               ;   in Loop: Header=BB176_52 Depth=1
	s_andn2_saveexec_b64 s[2:3], s[0:1]
; %bb.60:                               ;   in Loop: Header=BB176_52 Depth=1
	v_or_b32_e32 v6, 0x10000, v7
	v_cmp_eq_u32_sdwa s[0:1], v7, v25 src0_sel:WORD_0 src1_sel:DWORD
	v_cndmask_b32_e64 v44, v6, v7, s[0:1]
; %bb.61:                               ;   in Loop: Header=BB176_52 Depth=1
	s_or_b64 exec, exec, s[2:3]
	v_and_b32_e32 v6, 0x7f800000, v8
	v_cmp_ne_u32_e64 s[0:1], s22, v6
                                        ; implicit-def: $vgpr34
	s_and_saveexec_b64 s[2:3], s[0:1]
	s_xor_b64 s[0:1], exec, s[2:3]
; %bb.62:                               ;   in Loop: Header=BB176_52 Depth=1
	v_bfe_u32 v6, v8, 16, 1
	v_add3_u32 v34, v8, v6, s23
; %bb.63:                               ;   in Loop: Header=BB176_52 Depth=1
	s_andn2_saveexec_b64 s[2:3], s[0:1]
; %bb.64:                               ;   in Loop: Header=BB176_52 Depth=1
	v_or_b32_e32 v6, 0x10000, v8
	v_cmp_eq_u32_sdwa s[0:1], v8, v25 src0_sel:WORD_0 src1_sel:DWORD
	v_cndmask_b32_e64 v34, v6, v8, s[0:1]
; %bb.65:                               ;   in Loop: Header=BB176_52 Depth=1
	s_or_b64 exec, exec, s[2:3]
	v_and_b32_e32 v6, 0x7f800000, v9
	v_cmp_ne_u32_e64 s[0:1], s22, v6
                                        ; implicit-def: $vgpr35
	s_and_saveexec_b64 s[2:3], s[0:1]
	s_xor_b64 s[0:1], exec, s[2:3]
; %bb.66:                               ;   in Loop: Header=BB176_52 Depth=1
	v_bfe_u32 v6, v9, 16, 1
	v_add3_u32 v35, v9, v6, s23
                                        ; implicit-def: $vgpr6_vgpr7_vgpr8_vgpr9
; %bb.67:                               ;   in Loop: Header=BB176_52 Depth=1
	s_andn2_saveexec_b64 s[2:3], s[0:1]
; %bb.68:                               ;   in Loop: Header=BB176_52 Depth=1
	v_or_b32_e32 v6, 0x10000, v9
	v_cmp_eq_u32_sdwa s[0:1], v9, v25 src0_sel:WORD_0 src1_sel:DWORD
	v_cndmask_b32_e64 v35, v6, v9, s[0:1]
; %bb.69:                               ;   in Loop: Header=BB176_52 Depth=1
	s_or_b64 exec, exec, s[2:3]
	s_waitcnt lgkmcnt(0)
	v_and_b32_e32 v6, 0x7f800000, v2
	v_cmp_ne_u32_e64 s[0:1], s22, v6
                                        ; implicit-def: $vgpr36
	s_and_saveexec_b64 s[2:3], s[0:1]
	s_xor_b64 s[0:1], exec, s[2:3]
; %bb.70:                               ;   in Loop: Header=BB176_52 Depth=1
	v_bfe_u32 v6, v2, 16, 1
	v_add3_u32 v36, v2, v6, s23
; %bb.71:                               ;   in Loop: Header=BB176_52 Depth=1
	s_andn2_saveexec_b64 s[2:3], s[0:1]
; %bb.72:                               ;   in Loop: Header=BB176_52 Depth=1
	v_or_b32_e32 v6, 0x10000, v2
	v_cmp_eq_u32_sdwa s[0:1], v2, v25 src0_sel:WORD_0 src1_sel:DWORD
	v_cndmask_b32_e64 v36, v6, v2, s[0:1]
; %bb.73:                               ;   in Loop: Header=BB176_52 Depth=1
	s_or_b64 exec, exec, s[2:3]
	v_and_b32_e32 v2, 0x7f800000, v3
	v_cmp_ne_u32_e64 s[0:1], s22, v2
                                        ; implicit-def: $vgpr37
	s_and_saveexec_b64 s[2:3], s[0:1]
	s_xor_b64 s[0:1], exec, s[2:3]
; %bb.74:                               ;   in Loop: Header=BB176_52 Depth=1
	v_bfe_u32 v2, v3, 16, 1
	v_add3_u32 v37, v3, v2, s23
; %bb.75:                               ;   in Loop: Header=BB176_52 Depth=1
	s_andn2_saveexec_b64 s[2:3], s[0:1]
; %bb.76:                               ;   in Loop: Header=BB176_52 Depth=1
	v_or_b32_e32 v2, 0x10000, v3
	v_cmp_eq_u32_sdwa s[0:1], v3, v25 src0_sel:WORD_0 src1_sel:DWORD
	v_cndmask_b32_e64 v37, v2, v3, s[0:1]
; %bb.77:                               ;   in Loop: Header=BB176_52 Depth=1
	s_or_b64 exec, exec, s[2:3]
	v_and_b32_e32 v2, 0x7f800000, v4
	v_cmp_ne_u32_e64 s[0:1], s22, v2
                                        ; implicit-def: $vgpr38
	s_and_saveexec_b64 s[2:3], s[0:1]
	s_xor_b64 s[0:1], exec, s[2:3]
; %bb.78:                               ;   in Loop: Header=BB176_52 Depth=1
	v_bfe_u32 v2, v4, 16, 1
	v_add3_u32 v38, v4, v2, s23
; %bb.79:                               ;   in Loop: Header=BB176_52 Depth=1
	s_andn2_saveexec_b64 s[2:3], s[0:1]
; %bb.80:                               ;   in Loop: Header=BB176_52 Depth=1
	v_or_b32_e32 v2, 0x10000, v4
	v_cmp_eq_u32_sdwa s[0:1], v4, v25 src0_sel:WORD_0 src1_sel:DWORD
	v_cndmask_b32_e64 v38, v2, v4, s[0:1]
; %bb.81:                               ;   in Loop: Header=BB176_52 Depth=1
	s_or_b64 exec, exec, s[2:3]
	v_and_b32_e32 v2, 0x7f800000, v5
	v_cmp_ne_u32_e64 s[0:1], s22, v2
                                        ; implicit-def: $vgpr40
	s_and_saveexec_b64 s[2:3], s[0:1]
	s_xor_b64 s[0:1], exec, s[2:3]
; %bb.82:                               ;   in Loop: Header=BB176_52 Depth=1
	v_bfe_u32 v2, v5, 16, 1
	v_add3_u32 v40, v5, v2, s23
                                        ; implicit-def: $vgpr2_vgpr3_vgpr4_vgpr5
; %bb.83:                               ;   in Loop: Header=BB176_52 Depth=1
	s_andn2_saveexec_b64 s[2:3], s[0:1]
; %bb.84:                               ;   in Loop: Header=BB176_52 Depth=1
	v_or_b32_e32 v2, 0x10000, v5
	v_cmp_eq_u32_sdwa s[0:1], v5, v25 src0_sel:WORD_0 src1_sel:DWORD
	v_cndmask_b32_e64 v40, v2, v5, s[0:1]
; %bb.85:                               ;   in Loop: Header=BB176_52 Depth=1
	s_or_b64 exec, exec, s[2:3]
	s_waitcnt vmcnt(0)
	v_mad_i64_i32 v[2:3], s[0:1], v39, s9, 0
	v_lshlrev_b64 v[2:3], 1, v[2:3]
	v_mov_b32_e32 v4, s20
	v_add_co_u32_e64 v41, s[0:1], s17, v2
	v_addc_co_u32_e64 v42, s[0:1], v4, v3, s[0:1]
	v_add_co_u32_e64 v6, s[0:1], v41, v28
	v_addc_co_u32_e64 v7, s[0:1], 0, v42, s[0:1]
	global_load_dwordx4 v[2:5], v[6:7], off
	v_add_u32_e32 v39, v24, v1
	v_cmp_eq_u32_e64 s[0:1], s21, v30
	s_waitcnt vmcnt(0)
	v_lshrrev_b32_e32 v9, 16, v2
	v_lshrrev_b32_e32 v47, 16, v3
	;; [unrolled: 1-line block ×4, first 2 shown]
	s_and_saveexec_b64 s[14:15], s[0:1]
	s_cbranch_execz .LBB176_87
; %bb.86:                               ;   in Loop: Header=BB176_52 Depth=1
	v_cmp_gt_i32_e64 s[2:3], s29, v39
	v_add_u32_e32 v8, 1, v39
	v_cndmask_b32_e64 v2, 0, v2, s[2:3]
	v_cmp_gt_i32_e64 s[2:3], s29, v8
	v_add_u32_e32 v8, 2, v39
	v_cndmask_b32_e64 v9, 0, v9, s[2:3]
	;; [unrolled: 3-line block ×7, first 2 shown]
	v_cmp_gt_i32_e64 s[2:3], s29, v8
	v_cndmask_b32_e64 v51, 0, v51, s[2:3]
.LBB176_87:                             ;   in Loop: Header=BB176_52 Depth=1
	s_or_b64 exec, exec, s[14:15]
	v_and_b32_e32 v43, 0xffff0000, v43
	v_lshlrev_b32_e32 v2, 16, v2
	v_mul_f32_e32 v2, v43, v2
	v_and_b32_e32 v8, 0x7f800000, v2
	v_cmp_ne_u32_e64 s[2:3], s22, v8
                                        ; implicit-def: $vgpr8
	s_and_saveexec_b64 s[14:15], s[2:3]
	s_xor_b64 s[2:3], exec, s[14:15]
; %bb.88:                               ;   in Loop: Header=BB176_52 Depth=1
	v_bfe_u32 v8, v2, 16, 1
	v_add3_u32 v8, v2, v8, s23
                                        ; implicit-def: $vgpr2
; %bb.89:                               ;   in Loop: Header=BB176_52 Depth=1
	s_andn2_saveexec_b64 s[14:15], s[2:3]
; %bb.90:                               ;   in Loop: Header=BB176_52 Depth=1
	v_or_b32_e32 v8, 0x10000, v2
	v_cmp_eq_u32_sdwa s[2:3], v2, v25 src0_sel:WORD_0 src1_sel:DWORD
	v_cndmask_b32_e64 v8, v8, v2, s[2:3]
; %bb.91:                               ;   in Loop: Header=BB176_52 Depth=1
	s_or_b64 exec, exec, s[14:15]
	v_and_b32_e32 v44, 0xffff0000, v44
	v_lshlrev_b32_e32 v2, 16, v9
	v_mul_f32_e32 v2, v44, v2
	v_and_b32_e32 v9, 0x7f800000, v2
	v_cmp_ne_u32_e64 s[2:3], s22, v9
                                        ; implicit-def: $vgpr9
	s_and_saveexec_b64 s[14:15], s[2:3]
	s_xor_b64 s[2:3], exec, s[14:15]
; %bb.92:                               ;   in Loop: Header=BB176_52 Depth=1
	v_bfe_u32 v9, v2, 16, 1
	v_add3_u32 v9, v2, v9, s23
                                        ; implicit-def: $vgpr2
; %bb.93:                               ;   in Loop: Header=BB176_52 Depth=1
	s_andn2_saveexec_b64 s[14:15], s[2:3]
; %bb.94:                               ;   in Loop: Header=BB176_52 Depth=1
	v_or_b32_e32 v9, 0x10000, v2
	v_cmp_eq_u32_sdwa s[2:3], v2, v25 src0_sel:WORD_0 src1_sel:DWORD
	v_cndmask_b32_e64 v9, v9, v2, s[2:3]
; %bb.95:                               ;   in Loop: Header=BB176_52 Depth=1
	s_or_b64 exec, exec, s[14:15]
	v_and_b32_e32 v45, 0xffff0000, v34
	v_lshlrev_b32_e32 v2, 16, v3
	v_mul_f32_e32 v2, v45, v2
	v_and_b32_e32 v3, 0x7f800000, v2
	v_cmp_ne_u32_e64 s[2:3], s22, v3
                                        ; implicit-def: $vgpr34
	s_and_saveexec_b64 s[14:15], s[2:3]
	s_xor_b64 s[2:3], exec, s[14:15]
; %bb.96:                               ;   in Loop: Header=BB176_52 Depth=1
	v_bfe_u32 v3, v2, 16, 1
	v_add3_u32 v34, v2, v3, s23
                                        ; implicit-def: $vgpr2
; %bb.97:                               ;   in Loop: Header=BB176_52 Depth=1
	s_andn2_saveexec_b64 s[14:15], s[2:3]
; %bb.98:                               ;   in Loop: Header=BB176_52 Depth=1
	v_or_b32_e32 v3, 0x10000, v2
	v_cmp_eq_u32_sdwa s[2:3], v2, v25 src0_sel:WORD_0 src1_sel:DWORD
	v_cndmask_b32_e64 v34, v3, v2, s[2:3]
; %bb.99:                               ;   in Loop: Header=BB176_52 Depth=1
	s_or_b64 exec, exec, s[14:15]
	v_and_b32_e32 v46, 0xffff0000, v35
	v_lshlrev_b32_e32 v2, 16, v47
	v_mul_f32_e32 v2, v46, v2
	v_and_b32_e32 v3, 0x7f800000, v2
	v_cmp_ne_u32_e64 s[2:3], s22, v3
                                        ; implicit-def: $vgpr35
	s_and_saveexec_b64 s[14:15], s[2:3]
	s_xor_b64 s[2:3], exec, s[14:15]
; %bb.100:                              ;   in Loop: Header=BB176_52 Depth=1
	v_bfe_u32 v3, v2, 16, 1
	v_add3_u32 v35, v2, v3, s23
                                        ; implicit-def: $vgpr2
; %bb.101:                              ;   in Loop: Header=BB176_52 Depth=1
	s_andn2_saveexec_b64 s[14:15], s[2:3]
; %bb.102:                              ;   in Loop: Header=BB176_52 Depth=1
	v_or_b32_e32 v3, 0x10000, v2
	v_cmp_eq_u32_sdwa s[2:3], v2, v25 src0_sel:WORD_0 src1_sel:DWORD
	v_cndmask_b32_e64 v35, v3, v2, s[2:3]
; %bb.103:                              ;   in Loop: Header=BB176_52 Depth=1
	s_or_b64 exec, exec, s[14:15]
	v_and_b32_e32 v47, 0xffff0000, v36
	v_lshlrev_b32_e32 v2, 16, v4
	v_mul_f32_e32 v2, v47, v2
	v_and_b32_e32 v3, 0x7f800000, v2
	v_cmp_ne_u32_e64 s[2:3], s22, v3
                                        ; implicit-def: $vgpr36
	s_and_saveexec_b64 s[14:15], s[2:3]
	s_xor_b64 s[2:3], exec, s[14:15]
; %bb.104:                              ;   in Loop: Header=BB176_52 Depth=1
	v_bfe_u32 v3, v2, 16, 1
	v_add3_u32 v36, v2, v3, s23
                                        ; implicit-def: $vgpr2
; %bb.105:                              ;   in Loop: Header=BB176_52 Depth=1
	s_andn2_saveexec_b64 s[14:15], s[2:3]
; %bb.106:                              ;   in Loop: Header=BB176_52 Depth=1
	v_or_b32_e32 v3, 0x10000, v2
	v_cmp_eq_u32_sdwa s[2:3], v2, v25 src0_sel:WORD_0 src1_sel:DWORD
	v_cndmask_b32_e64 v36, v3, v2, s[2:3]
; %bb.107:                              ;   in Loop: Header=BB176_52 Depth=1
	s_or_b64 exec, exec, s[14:15]
	v_and_b32_e32 v48, 0xffff0000, v37
	v_lshlrev_b32_e32 v2, 16, v49
	v_mul_f32_e32 v2, v48, v2
	v_and_b32_e32 v3, 0x7f800000, v2
	v_cmp_ne_u32_e64 s[2:3], s22, v3
                                        ; implicit-def: $vgpr37
	s_and_saveexec_b64 s[14:15], s[2:3]
	s_xor_b64 s[2:3], exec, s[14:15]
; %bb.108:                              ;   in Loop: Header=BB176_52 Depth=1
	v_bfe_u32 v3, v2, 16, 1
	v_add3_u32 v37, v2, v3, s23
                                        ; implicit-def: $vgpr2
; %bb.109:                              ;   in Loop: Header=BB176_52 Depth=1
	s_andn2_saveexec_b64 s[14:15], s[2:3]
; %bb.110:                              ;   in Loop: Header=BB176_52 Depth=1
	v_or_b32_e32 v3, 0x10000, v2
	v_cmp_eq_u32_sdwa s[2:3], v2, v25 src0_sel:WORD_0 src1_sel:DWORD
	v_cndmask_b32_e64 v37, v3, v2, s[2:3]
; %bb.111:                              ;   in Loop: Header=BB176_52 Depth=1
	s_or_b64 exec, exec, s[14:15]
	v_and_b32_e32 v49, 0xffff0000, v38
	v_lshlrev_b32_e32 v2, 16, v5
	v_mul_f32_e32 v2, v49, v2
	v_and_b32_e32 v3, 0x7f800000, v2
	v_cmp_ne_u32_e64 s[2:3], s22, v3
                                        ; implicit-def: $vgpr38
	s_and_saveexec_b64 s[14:15], s[2:3]
	s_xor_b64 s[2:3], exec, s[14:15]
; %bb.112:                              ;   in Loop: Header=BB176_52 Depth=1
	v_bfe_u32 v3, v2, 16, 1
	v_add3_u32 v38, v2, v3, s23
                                        ; implicit-def: $vgpr2
; %bb.113:                              ;   in Loop: Header=BB176_52 Depth=1
	s_andn2_saveexec_b64 s[14:15], s[2:3]
; %bb.114:                              ;   in Loop: Header=BB176_52 Depth=1
	v_or_b32_e32 v3, 0x10000, v2
	v_cmp_eq_u32_sdwa s[2:3], v2, v25 src0_sel:WORD_0 src1_sel:DWORD
	v_cndmask_b32_e64 v38, v3, v2, s[2:3]
; %bb.115:                              ;   in Loop: Header=BB176_52 Depth=1
	s_or_b64 exec, exec, s[14:15]
	v_and_b32_e32 v50, 0xffff0000, v40
	v_lshlrev_b32_e32 v2, 16, v51
	v_mul_f32_e32 v2, v50, v2
	v_and_b32_e32 v3, 0x7f800000, v2
	v_cmp_ne_u32_e64 s[2:3], s22, v3
                                        ; implicit-def: $vgpr40
	s_and_saveexec_b64 s[14:15], s[2:3]
	s_xor_b64 s[2:3], exec, s[14:15]
; %bb.116:                              ;   in Loop: Header=BB176_52 Depth=1
	v_bfe_u32 v3, v2, 16, 1
	v_add3_u32 v40, v2, v3, s23
                                        ; implicit-def: $vgpr2
; %bb.117:                              ;   in Loop: Header=BB176_52 Depth=1
	s_andn2_saveexec_b64 s[14:15], s[2:3]
; %bb.118:                              ;   in Loop: Header=BB176_52 Depth=1
	v_or_b32_e32 v3, 0x10000, v2
	v_cmp_eq_u32_sdwa s[2:3], v2, v25 src0_sel:WORD_0 src1_sel:DWORD
	v_cndmask_b32_e64 v40, v3, v2, s[2:3]
; %bb.119:                              ;   in Loop: Header=BB176_52 Depth=1
	s_or_b64 exec, exec, s[14:15]
	global_load_dwordx4 v[2:5], v[6:7], off offset:1024
	s_waitcnt vmcnt(0)
	v_lshrrev_b32_e32 v52, 16, v2
	v_lshrrev_b32_e32 v54, 16, v3
	;; [unrolled: 1-line block ×4, first 2 shown]
	s_and_saveexec_b64 s[14:15], s[0:1]
	s_cbranch_execz .LBB176_121
; %bb.120:                              ;   in Loop: Header=BB176_52 Depth=1
	v_cmp_gt_i32_e64 s[2:3], s29, v39
	v_add_u32_e32 v51, 1, v39
	v_cndmask_b32_e64 v2, 0, v2, s[2:3]
	v_cmp_gt_i32_e64 s[2:3], s29, v51
	v_add_u32_e32 v51, 2, v39
	v_cndmask_b32_e64 v52, 0, v52, s[2:3]
	;; [unrolled: 3-line block ×7, first 2 shown]
	v_cmp_gt_i32_e64 s[2:3], s29, v51
	v_cndmask_b32_e64 v58, 0, v58, s[2:3]
.LBB176_121:                            ;   in Loop: Header=BB176_52 Depth=1
	s_or_b64 exec, exec, s[14:15]
	v_lshlrev_b32_e32 v2, 16, v2
	v_mul_f32_e32 v2, v43, v2
	v_and_b32_e32 v51, 0x7f800000, v2
	v_cmp_ne_u32_e64 s[2:3], s22, v51
                                        ; implicit-def: $vgpr51
	s_and_saveexec_b64 s[14:15], s[2:3]
	s_xor_b64 s[2:3], exec, s[14:15]
; %bb.122:                              ;   in Loop: Header=BB176_52 Depth=1
	v_bfe_u32 v51, v2, 16, 1
	v_add3_u32 v51, v2, v51, s23
                                        ; implicit-def: $vgpr2
; %bb.123:                              ;   in Loop: Header=BB176_52 Depth=1
	s_andn2_saveexec_b64 s[14:15], s[2:3]
; %bb.124:                              ;   in Loop: Header=BB176_52 Depth=1
	v_or_b32_e32 v51, 0x10000, v2
	v_cmp_eq_u32_sdwa s[2:3], v2, v25 src0_sel:WORD_0 src1_sel:DWORD
	v_cndmask_b32_e64 v51, v51, v2, s[2:3]
; %bb.125:                              ;   in Loop: Header=BB176_52 Depth=1
	s_or_b64 exec, exec, s[14:15]
	v_lshlrev_b32_e32 v2, 16, v52
	v_mul_f32_e32 v2, v44, v2
	v_and_b32_e32 v52, 0x7f800000, v2
	v_cmp_ne_u32_e64 s[2:3], s22, v52
                                        ; implicit-def: $vgpr52
	s_and_saveexec_b64 s[14:15], s[2:3]
	s_xor_b64 s[2:3], exec, s[14:15]
; %bb.126:                              ;   in Loop: Header=BB176_52 Depth=1
	v_bfe_u32 v52, v2, 16, 1
	v_add3_u32 v52, v2, v52, s23
                                        ; implicit-def: $vgpr2
; %bb.127:                              ;   in Loop: Header=BB176_52 Depth=1
	s_andn2_saveexec_b64 s[14:15], s[2:3]
; %bb.128:                              ;   in Loop: Header=BB176_52 Depth=1
	v_or_b32_e32 v52, 0x10000, v2
	v_cmp_eq_u32_sdwa s[2:3], v2, v25 src0_sel:WORD_0 src1_sel:DWORD
	v_cndmask_b32_e64 v52, v52, v2, s[2:3]
; %bb.129:                              ;   in Loop: Header=BB176_52 Depth=1
	s_or_b64 exec, exec, s[14:15]
	v_lshlrev_b32_e32 v2, 16, v3
	v_mul_f32_e32 v2, v45, v2
	v_and_b32_e32 v3, 0x7f800000, v2
	v_cmp_ne_u32_e64 s[2:3], s22, v3
                                        ; implicit-def: $vgpr53
	s_and_saveexec_b64 s[14:15], s[2:3]
	s_xor_b64 s[2:3], exec, s[14:15]
; %bb.130:                              ;   in Loop: Header=BB176_52 Depth=1
	v_bfe_u32 v3, v2, 16, 1
	v_add3_u32 v53, v2, v3, s23
                                        ; implicit-def: $vgpr2
; %bb.131:                              ;   in Loop: Header=BB176_52 Depth=1
	s_andn2_saveexec_b64 s[14:15], s[2:3]
; %bb.132:                              ;   in Loop: Header=BB176_52 Depth=1
	v_or_b32_e32 v3, 0x10000, v2
	v_cmp_eq_u32_sdwa s[2:3], v2, v25 src0_sel:WORD_0 src1_sel:DWORD
	v_cndmask_b32_e64 v53, v3, v2, s[2:3]
; %bb.133:                              ;   in Loop: Header=BB176_52 Depth=1
	s_or_b64 exec, exec, s[14:15]
	v_lshlrev_b32_e32 v2, 16, v54
	v_mul_f32_e32 v2, v46, v2
	v_and_b32_e32 v3, 0x7f800000, v2
	v_cmp_ne_u32_e64 s[2:3], s22, v3
                                        ; implicit-def: $vgpr54
	s_and_saveexec_b64 s[14:15], s[2:3]
	s_xor_b64 s[2:3], exec, s[14:15]
; %bb.134:                              ;   in Loop: Header=BB176_52 Depth=1
	v_bfe_u32 v3, v2, 16, 1
	v_add3_u32 v54, v2, v3, s23
                                        ; implicit-def: $vgpr2
; %bb.135:                              ;   in Loop: Header=BB176_52 Depth=1
	s_andn2_saveexec_b64 s[14:15], s[2:3]
; %bb.136:                              ;   in Loop: Header=BB176_52 Depth=1
	v_or_b32_e32 v3, 0x10000, v2
	v_cmp_eq_u32_sdwa s[2:3], v2, v25 src0_sel:WORD_0 src1_sel:DWORD
	v_cndmask_b32_e64 v54, v3, v2, s[2:3]
; %bb.137:                              ;   in Loop: Header=BB176_52 Depth=1
	s_or_b64 exec, exec, s[14:15]
	v_lshlrev_b32_e32 v2, 16, v4
	v_mul_f32_e32 v2, v47, v2
	v_and_b32_e32 v3, 0x7f800000, v2
	v_cmp_ne_u32_e64 s[2:3], s22, v3
                                        ; implicit-def: $vgpr55
	s_and_saveexec_b64 s[14:15], s[2:3]
	s_xor_b64 s[2:3], exec, s[14:15]
; %bb.138:                              ;   in Loop: Header=BB176_52 Depth=1
	v_bfe_u32 v3, v2, 16, 1
	v_add3_u32 v55, v2, v3, s23
                                        ; implicit-def: $vgpr2
; %bb.139:                              ;   in Loop: Header=BB176_52 Depth=1
	s_andn2_saveexec_b64 s[14:15], s[2:3]
; %bb.140:                              ;   in Loop: Header=BB176_52 Depth=1
	v_or_b32_e32 v3, 0x10000, v2
	v_cmp_eq_u32_sdwa s[2:3], v2, v25 src0_sel:WORD_0 src1_sel:DWORD
	v_cndmask_b32_e64 v55, v3, v2, s[2:3]
; %bb.141:                              ;   in Loop: Header=BB176_52 Depth=1
	s_or_b64 exec, exec, s[14:15]
	v_lshlrev_b32_e32 v2, 16, v56
	v_mul_f32_e32 v2, v48, v2
	v_and_b32_e32 v3, 0x7f800000, v2
	v_cmp_ne_u32_e64 s[2:3], s22, v3
                                        ; implicit-def: $vgpr56
	s_and_saveexec_b64 s[14:15], s[2:3]
	s_xor_b64 s[2:3], exec, s[14:15]
; %bb.142:                              ;   in Loop: Header=BB176_52 Depth=1
	v_bfe_u32 v3, v2, 16, 1
	v_add3_u32 v56, v2, v3, s23
                                        ; implicit-def: $vgpr2
; %bb.143:                              ;   in Loop: Header=BB176_52 Depth=1
	s_andn2_saveexec_b64 s[14:15], s[2:3]
; %bb.144:                              ;   in Loop: Header=BB176_52 Depth=1
	v_or_b32_e32 v3, 0x10000, v2
	v_cmp_eq_u32_sdwa s[2:3], v2, v25 src0_sel:WORD_0 src1_sel:DWORD
	v_cndmask_b32_e64 v56, v3, v2, s[2:3]
; %bb.145:                              ;   in Loop: Header=BB176_52 Depth=1
	s_or_b64 exec, exec, s[14:15]
	v_lshlrev_b32_e32 v2, 16, v5
	v_mul_f32_e32 v2, v49, v2
	v_and_b32_e32 v3, 0x7f800000, v2
	v_cmp_ne_u32_e64 s[2:3], s22, v3
                                        ; implicit-def: $vgpr57
	s_and_saveexec_b64 s[14:15], s[2:3]
	s_xor_b64 s[2:3], exec, s[14:15]
; %bb.146:                              ;   in Loop: Header=BB176_52 Depth=1
	v_bfe_u32 v3, v2, 16, 1
	v_add3_u32 v57, v2, v3, s23
                                        ; implicit-def: $vgpr2
; %bb.147:                              ;   in Loop: Header=BB176_52 Depth=1
	s_andn2_saveexec_b64 s[14:15], s[2:3]
; %bb.148:                              ;   in Loop: Header=BB176_52 Depth=1
	v_or_b32_e32 v3, 0x10000, v2
	v_cmp_eq_u32_sdwa s[2:3], v2, v25 src0_sel:WORD_0 src1_sel:DWORD
	v_cndmask_b32_e64 v57, v3, v2, s[2:3]
; %bb.149:                              ;   in Loop: Header=BB176_52 Depth=1
	s_or_b64 exec, exec, s[14:15]
	v_lshlrev_b32_e32 v2, 16, v58
	v_mul_f32_e32 v2, v50, v2
	v_and_b32_e32 v3, 0x7f800000, v2
	v_cmp_ne_u32_e64 s[2:3], s22, v3
                                        ; implicit-def: $vgpr58
	s_and_saveexec_b64 s[14:15], s[2:3]
	s_xor_b64 s[2:3], exec, s[14:15]
; %bb.150:                              ;   in Loop: Header=BB176_52 Depth=1
	v_bfe_u32 v3, v2, 16, 1
	v_add3_u32 v58, v2, v3, s23
                                        ; implicit-def: $vgpr2
; %bb.151:                              ;   in Loop: Header=BB176_52 Depth=1
	s_andn2_saveexec_b64 s[14:15], s[2:3]
; %bb.152:                              ;   in Loop: Header=BB176_52 Depth=1
	v_or_b32_e32 v3, 0x10000, v2
	v_cmp_eq_u32_sdwa s[2:3], v2, v25 src0_sel:WORD_0 src1_sel:DWORD
	v_cndmask_b32_e64 v58, v3, v2, s[2:3]
; %bb.153:                              ;   in Loop: Header=BB176_52 Depth=1
	s_or_b64 exec, exec, s[14:15]
	global_load_dwordx4 v[2:5], v[6:7], off offset:2048
	s_waitcnt vmcnt(0)
	v_lshrrev_b32_e32 v60, 16, v2
	v_lshrrev_b32_e32 v62, 16, v3
	;; [unrolled: 1-line block ×4, first 2 shown]
	s_and_saveexec_b64 s[14:15], s[0:1]
	s_cbranch_execz .LBB176_155
; %bb.154:                              ;   in Loop: Header=BB176_52 Depth=1
	v_cmp_gt_i32_e64 s[2:3], s29, v39
	v_add_u32_e32 v59, 1, v39
	v_cndmask_b32_e64 v2, 0, v2, s[2:3]
	v_cmp_gt_i32_e64 s[2:3], s29, v59
	v_add_u32_e32 v59, 2, v39
	v_cndmask_b32_e64 v60, 0, v60, s[2:3]
	;; [unrolled: 3-line block ×7, first 2 shown]
	v_cmp_gt_i32_e64 s[2:3], s29, v59
	v_cndmask_b32_e64 v66, 0, v66, s[2:3]
.LBB176_155:                            ;   in Loop: Header=BB176_52 Depth=1
	s_or_b64 exec, exec, s[14:15]
	v_lshlrev_b32_e32 v2, 16, v2
	v_mul_f32_e32 v2, v43, v2
	v_and_b32_e32 v59, 0x7f800000, v2
	v_cmp_ne_u32_e64 s[2:3], s22, v59
                                        ; implicit-def: $vgpr59
	s_and_saveexec_b64 s[14:15], s[2:3]
	s_xor_b64 s[2:3], exec, s[14:15]
; %bb.156:                              ;   in Loop: Header=BB176_52 Depth=1
	v_bfe_u32 v59, v2, 16, 1
	v_add3_u32 v59, v2, v59, s23
                                        ; implicit-def: $vgpr2
; %bb.157:                              ;   in Loop: Header=BB176_52 Depth=1
	s_andn2_saveexec_b64 s[14:15], s[2:3]
; %bb.158:                              ;   in Loop: Header=BB176_52 Depth=1
	v_or_b32_e32 v59, 0x10000, v2
	v_cmp_eq_u32_sdwa s[2:3], v2, v25 src0_sel:WORD_0 src1_sel:DWORD
	v_cndmask_b32_e64 v59, v59, v2, s[2:3]
; %bb.159:                              ;   in Loop: Header=BB176_52 Depth=1
	s_or_b64 exec, exec, s[14:15]
	v_lshlrev_b32_e32 v2, 16, v60
	v_mul_f32_e32 v2, v44, v2
	v_and_b32_e32 v60, 0x7f800000, v2
	v_cmp_ne_u32_e64 s[2:3], s22, v60
                                        ; implicit-def: $vgpr60
	s_and_saveexec_b64 s[14:15], s[2:3]
	s_xor_b64 s[2:3], exec, s[14:15]
; %bb.160:                              ;   in Loop: Header=BB176_52 Depth=1
	v_bfe_u32 v60, v2, 16, 1
	v_add3_u32 v60, v2, v60, s23
                                        ; implicit-def: $vgpr2
; %bb.161:                              ;   in Loop: Header=BB176_52 Depth=1
	s_andn2_saveexec_b64 s[14:15], s[2:3]
; %bb.162:                              ;   in Loop: Header=BB176_52 Depth=1
	v_or_b32_e32 v60, 0x10000, v2
	v_cmp_eq_u32_sdwa s[2:3], v2, v25 src0_sel:WORD_0 src1_sel:DWORD
	v_cndmask_b32_e64 v60, v60, v2, s[2:3]
; %bb.163:                              ;   in Loop: Header=BB176_52 Depth=1
	s_or_b64 exec, exec, s[14:15]
	v_lshlrev_b32_e32 v2, 16, v3
	v_mul_f32_e32 v2, v45, v2
	v_and_b32_e32 v3, 0x7f800000, v2
	v_cmp_ne_u32_e64 s[2:3], s22, v3
                                        ; implicit-def: $vgpr61
	s_and_saveexec_b64 s[14:15], s[2:3]
	s_xor_b64 s[2:3], exec, s[14:15]
; %bb.164:                              ;   in Loop: Header=BB176_52 Depth=1
	v_bfe_u32 v3, v2, 16, 1
	v_add3_u32 v61, v2, v3, s23
                                        ; implicit-def: $vgpr2
; %bb.165:                              ;   in Loop: Header=BB176_52 Depth=1
	s_andn2_saveexec_b64 s[14:15], s[2:3]
; %bb.166:                              ;   in Loop: Header=BB176_52 Depth=1
	v_or_b32_e32 v3, 0x10000, v2
	v_cmp_eq_u32_sdwa s[2:3], v2, v25 src0_sel:WORD_0 src1_sel:DWORD
	v_cndmask_b32_e64 v61, v3, v2, s[2:3]
; %bb.167:                              ;   in Loop: Header=BB176_52 Depth=1
	s_or_b64 exec, exec, s[14:15]
	v_lshlrev_b32_e32 v2, 16, v62
	v_mul_f32_e32 v2, v46, v2
	v_and_b32_e32 v3, 0x7f800000, v2
	v_cmp_ne_u32_e64 s[2:3], s22, v3
                                        ; implicit-def: $vgpr62
	s_and_saveexec_b64 s[14:15], s[2:3]
	s_xor_b64 s[2:3], exec, s[14:15]
; %bb.168:                              ;   in Loop: Header=BB176_52 Depth=1
	v_bfe_u32 v3, v2, 16, 1
	v_add3_u32 v62, v2, v3, s23
                                        ; implicit-def: $vgpr2
; %bb.169:                              ;   in Loop: Header=BB176_52 Depth=1
	s_andn2_saveexec_b64 s[14:15], s[2:3]
; %bb.170:                              ;   in Loop: Header=BB176_52 Depth=1
	v_or_b32_e32 v3, 0x10000, v2
	v_cmp_eq_u32_sdwa s[2:3], v2, v25 src0_sel:WORD_0 src1_sel:DWORD
	v_cndmask_b32_e64 v62, v3, v2, s[2:3]
; %bb.171:                              ;   in Loop: Header=BB176_52 Depth=1
	s_or_b64 exec, exec, s[14:15]
	v_lshlrev_b32_e32 v2, 16, v4
	v_mul_f32_e32 v2, v47, v2
	v_and_b32_e32 v3, 0x7f800000, v2
	v_cmp_ne_u32_e64 s[2:3], s22, v3
                                        ; implicit-def: $vgpr63
	s_and_saveexec_b64 s[14:15], s[2:3]
	s_xor_b64 s[2:3], exec, s[14:15]
; %bb.172:                              ;   in Loop: Header=BB176_52 Depth=1
	v_bfe_u32 v3, v2, 16, 1
	v_add3_u32 v63, v2, v3, s23
                                        ; implicit-def: $vgpr2
; %bb.173:                              ;   in Loop: Header=BB176_52 Depth=1
	s_andn2_saveexec_b64 s[14:15], s[2:3]
; %bb.174:                              ;   in Loop: Header=BB176_52 Depth=1
	v_or_b32_e32 v3, 0x10000, v2
	v_cmp_eq_u32_sdwa s[2:3], v2, v25 src0_sel:WORD_0 src1_sel:DWORD
	v_cndmask_b32_e64 v63, v3, v2, s[2:3]
; %bb.175:                              ;   in Loop: Header=BB176_52 Depth=1
	s_or_b64 exec, exec, s[14:15]
	v_lshlrev_b32_e32 v2, 16, v64
	v_mul_f32_e32 v2, v48, v2
	v_and_b32_e32 v3, 0x7f800000, v2
	v_cmp_ne_u32_e64 s[2:3], s22, v3
                                        ; implicit-def: $vgpr64
	s_and_saveexec_b64 s[14:15], s[2:3]
	s_xor_b64 s[2:3], exec, s[14:15]
; %bb.176:                              ;   in Loop: Header=BB176_52 Depth=1
	v_bfe_u32 v3, v2, 16, 1
	v_add3_u32 v64, v2, v3, s23
                                        ; implicit-def: $vgpr2
; %bb.177:                              ;   in Loop: Header=BB176_52 Depth=1
	s_andn2_saveexec_b64 s[14:15], s[2:3]
; %bb.178:                              ;   in Loop: Header=BB176_52 Depth=1
	v_or_b32_e32 v3, 0x10000, v2
	v_cmp_eq_u32_sdwa s[2:3], v2, v25 src0_sel:WORD_0 src1_sel:DWORD
	v_cndmask_b32_e64 v64, v3, v2, s[2:3]
; %bb.179:                              ;   in Loop: Header=BB176_52 Depth=1
	s_or_b64 exec, exec, s[14:15]
	v_lshlrev_b32_e32 v2, 16, v5
	v_mul_f32_e32 v2, v49, v2
	v_and_b32_e32 v3, 0x7f800000, v2
	v_cmp_ne_u32_e64 s[2:3], s22, v3
                                        ; implicit-def: $vgpr65
	s_and_saveexec_b64 s[14:15], s[2:3]
	s_xor_b64 s[2:3], exec, s[14:15]
; %bb.180:                              ;   in Loop: Header=BB176_52 Depth=1
	v_bfe_u32 v3, v2, 16, 1
	v_add3_u32 v65, v2, v3, s23
                                        ; implicit-def: $vgpr2
; %bb.181:                              ;   in Loop: Header=BB176_52 Depth=1
	s_andn2_saveexec_b64 s[14:15], s[2:3]
; %bb.182:                              ;   in Loop: Header=BB176_52 Depth=1
	v_or_b32_e32 v3, 0x10000, v2
	v_cmp_eq_u32_sdwa s[2:3], v2, v25 src0_sel:WORD_0 src1_sel:DWORD
	v_cndmask_b32_e64 v65, v3, v2, s[2:3]
; %bb.183:                              ;   in Loop: Header=BB176_52 Depth=1
	s_or_b64 exec, exec, s[14:15]
	v_lshlrev_b32_e32 v2, 16, v66
	v_mul_f32_e32 v2, v50, v2
	v_and_b32_e32 v3, 0x7f800000, v2
	v_cmp_ne_u32_e64 s[2:3], s22, v3
                                        ; implicit-def: $vgpr66
	s_and_saveexec_b64 s[14:15], s[2:3]
	s_xor_b64 s[2:3], exec, s[14:15]
; %bb.184:                              ;   in Loop: Header=BB176_52 Depth=1
	v_bfe_u32 v3, v2, 16, 1
	v_add3_u32 v66, v2, v3, s23
                                        ; implicit-def: $vgpr2
; %bb.185:                              ;   in Loop: Header=BB176_52 Depth=1
	s_andn2_saveexec_b64 s[14:15], s[2:3]
; %bb.186:                              ;   in Loop: Header=BB176_52 Depth=1
	v_or_b32_e32 v3, 0x10000, v2
	v_cmp_eq_u32_sdwa s[2:3], v2, v25 src0_sel:WORD_0 src1_sel:DWORD
	v_cndmask_b32_e64 v66, v3, v2, s[2:3]
; %bb.187:                              ;   in Loop: Header=BB176_52 Depth=1
	s_or_b64 exec, exec, s[14:15]
	global_load_dwordx4 v[2:5], v[6:7], off offset:3072
	s_waitcnt vmcnt(0)
	v_lshrrev_b32_e32 v7, 16, v2
	v_lshrrev_b32_e32 v68, 16, v3
	;; [unrolled: 1-line block ×4, first 2 shown]
	s_and_saveexec_b64 s[14:15], s[0:1]
	s_cbranch_execz .LBB176_189
; %bb.188:                              ;   in Loop: Header=BB176_52 Depth=1
	v_cmp_gt_i32_e64 s[2:3], s29, v39
	v_add_u32_e32 v6, 1, v39
	v_cndmask_b32_e64 v2, 0, v2, s[2:3]
	v_cmp_gt_i32_e64 s[2:3], s29, v6
	v_add_u32_e32 v6, 2, v39
	v_cndmask_b32_e64 v7, 0, v7, s[2:3]
	;; [unrolled: 3-line block ×7, first 2 shown]
	v_cmp_gt_i32_e64 s[2:3], s29, v6
	v_cndmask_b32_e64 v72, 0, v72, s[2:3]
.LBB176_189:                            ;   in Loop: Header=BB176_52 Depth=1
	s_or_b64 exec, exec, s[14:15]
	v_lshlrev_b32_e32 v2, 16, v2
	v_mul_f32_e32 v2, v43, v2
	v_and_b32_e32 v6, 0x7f800000, v2
	v_cmp_ne_u32_e64 s[2:3], s22, v6
                                        ; implicit-def: $vgpr6
	s_and_saveexec_b64 s[14:15], s[2:3]
	s_xor_b64 s[2:3], exec, s[14:15]
; %bb.190:                              ;   in Loop: Header=BB176_52 Depth=1
	v_bfe_u32 v6, v2, 16, 1
	v_add3_u32 v6, v2, v6, s23
                                        ; implicit-def: $vgpr2
; %bb.191:                              ;   in Loop: Header=BB176_52 Depth=1
	s_andn2_saveexec_b64 s[14:15], s[2:3]
; %bb.192:                              ;   in Loop: Header=BB176_52 Depth=1
	v_or_b32_e32 v6, 0x10000, v2
	v_cmp_eq_u32_sdwa s[2:3], v2, v25 src0_sel:WORD_0 src1_sel:DWORD
	v_cndmask_b32_e64 v6, v6, v2, s[2:3]
; %bb.193:                              ;   in Loop: Header=BB176_52 Depth=1
	s_or_b64 exec, exec, s[14:15]
	v_lshlrev_b32_e32 v2, 16, v7
	v_mul_f32_e32 v2, v44, v2
	v_and_b32_e32 v7, 0x7f800000, v2
	v_cmp_ne_u32_e64 s[2:3], s22, v7
                                        ; implicit-def: $vgpr7
	s_and_saveexec_b64 s[14:15], s[2:3]
	s_xor_b64 s[2:3], exec, s[14:15]
; %bb.194:                              ;   in Loop: Header=BB176_52 Depth=1
	v_bfe_u32 v7, v2, 16, 1
	v_add3_u32 v7, v2, v7, s23
                                        ; implicit-def: $vgpr2
; %bb.195:                              ;   in Loop: Header=BB176_52 Depth=1
	s_andn2_saveexec_b64 s[14:15], s[2:3]
; %bb.196:                              ;   in Loop: Header=BB176_52 Depth=1
	v_or_b32_e32 v7, 0x10000, v2
	v_cmp_eq_u32_sdwa s[2:3], v2, v25 src0_sel:WORD_0 src1_sel:DWORD
	v_cndmask_b32_e64 v7, v7, v2, s[2:3]
; %bb.197:                              ;   in Loop: Header=BB176_52 Depth=1
	s_or_b64 exec, exec, s[14:15]
	v_lshlrev_b32_e32 v2, 16, v3
	v_mul_f32_e32 v2, v45, v2
	v_and_b32_e32 v3, 0x7f800000, v2
	v_cmp_ne_u32_e64 s[2:3], s22, v3
                                        ; implicit-def: $vgpr67
	s_and_saveexec_b64 s[14:15], s[2:3]
	s_xor_b64 s[2:3], exec, s[14:15]
; %bb.198:                              ;   in Loop: Header=BB176_52 Depth=1
	v_bfe_u32 v3, v2, 16, 1
	v_add3_u32 v67, v2, v3, s23
                                        ; implicit-def: $vgpr2
; %bb.199:                              ;   in Loop: Header=BB176_52 Depth=1
	s_andn2_saveexec_b64 s[14:15], s[2:3]
; %bb.200:                              ;   in Loop: Header=BB176_52 Depth=1
	v_or_b32_e32 v3, 0x10000, v2
	v_cmp_eq_u32_sdwa s[2:3], v2, v25 src0_sel:WORD_0 src1_sel:DWORD
	v_cndmask_b32_e64 v67, v3, v2, s[2:3]
; %bb.201:                              ;   in Loop: Header=BB176_52 Depth=1
	s_or_b64 exec, exec, s[14:15]
	v_lshlrev_b32_e32 v2, 16, v68
	v_mul_f32_e32 v2, v46, v2
	v_and_b32_e32 v3, 0x7f800000, v2
	v_cmp_ne_u32_e64 s[2:3], s22, v3
                                        ; implicit-def: $vgpr68
	s_and_saveexec_b64 s[14:15], s[2:3]
	s_xor_b64 s[2:3], exec, s[14:15]
; %bb.202:                              ;   in Loop: Header=BB176_52 Depth=1
	v_bfe_u32 v3, v2, 16, 1
	v_add3_u32 v68, v2, v3, s23
                                        ; implicit-def: $vgpr2
; %bb.203:                              ;   in Loop: Header=BB176_52 Depth=1
	s_andn2_saveexec_b64 s[14:15], s[2:3]
; %bb.204:                              ;   in Loop: Header=BB176_52 Depth=1
	v_or_b32_e32 v3, 0x10000, v2
	v_cmp_eq_u32_sdwa s[2:3], v2, v25 src0_sel:WORD_0 src1_sel:DWORD
	v_cndmask_b32_e64 v68, v3, v2, s[2:3]
; %bb.205:                              ;   in Loop: Header=BB176_52 Depth=1
	s_or_b64 exec, exec, s[14:15]
	v_lshlrev_b32_e32 v2, 16, v4
	v_mul_f32_e32 v2, v47, v2
	v_and_b32_e32 v3, 0x7f800000, v2
	v_cmp_ne_u32_e64 s[2:3], s22, v3
                                        ; implicit-def: $vgpr69
	s_and_saveexec_b64 s[14:15], s[2:3]
	s_xor_b64 s[2:3], exec, s[14:15]
; %bb.206:                              ;   in Loop: Header=BB176_52 Depth=1
	v_bfe_u32 v3, v2, 16, 1
	v_add3_u32 v69, v2, v3, s23
                                        ; implicit-def: $vgpr2
; %bb.207:                              ;   in Loop: Header=BB176_52 Depth=1
	s_andn2_saveexec_b64 s[14:15], s[2:3]
; %bb.208:                              ;   in Loop: Header=BB176_52 Depth=1
	v_or_b32_e32 v3, 0x10000, v2
	v_cmp_eq_u32_sdwa s[2:3], v2, v25 src0_sel:WORD_0 src1_sel:DWORD
	v_cndmask_b32_e64 v69, v3, v2, s[2:3]
; %bb.209:                              ;   in Loop: Header=BB176_52 Depth=1
	s_or_b64 exec, exec, s[14:15]
	v_lshlrev_b32_e32 v2, 16, v70
	v_mul_f32_e32 v2, v48, v2
	v_and_b32_e32 v3, 0x7f800000, v2
	v_cmp_ne_u32_e64 s[2:3], s22, v3
                                        ; implicit-def: $vgpr70
	s_and_saveexec_b64 s[14:15], s[2:3]
	s_xor_b64 s[2:3], exec, s[14:15]
; %bb.210:                              ;   in Loop: Header=BB176_52 Depth=1
	v_bfe_u32 v3, v2, 16, 1
	v_add3_u32 v70, v2, v3, s23
                                        ; implicit-def: $vgpr2
; %bb.211:                              ;   in Loop: Header=BB176_52 Depth=1
	s_andn2_saveexec_b64 s[14:15], s[2:3]
; %bb.212:                              ;   in Loop: Header=BB176_52 Depth=1
	v_or_b32_e32 v3, 0x10000, v2
	v_cmp_eq_u32_sdwa s[2:3], v2, v25 src0_sel:WORD_0 src1_sel:DWORD
	v_cndmask_b32_e64 v70, v3, v2, s[2:3]
; %bb.213:                              ;   in Loop: Header=BB176_52 Depth=1
	s_or_b64 exec, exec, s[14:15]
	v_lshlrev_b32_e32 v2, 16, v5
	v_mul_f32_e32 v2, v49, v2
	v_and_b32_e32 v3, 0x7f800000, v2
	v_cmp_ne_u32_e64 s[2:3], s22, v3
                                        ; implicit-def: $vgpr71
	s_and_saveexec_b64 s[14:15], s[2:3]
	s_xor_b64 s[2:3], exec, s[14:15]
; %bb.214:                              ;   in Loop: Header=BB176_52 Depth=1
	v_bfe_u32 v3, v2, 16, 1
	v_add3_u32 v71, v2, v3, s23
                                        ; implicit-def: $vgpr2
; %bb.215:                              ;   in Loop: Header=BB176_52 Depth=1
	s_andn2_saveexec_b64 s[14:15], s[2:3]
; %bb.216:                              ;   in Loop: Header=BB176_52 Depth=1
	v_or_b32_e32 v3, 0x10000, v2
	v_cmp_eq_u32_sdwa s[2:3], v2, v25 src0_sel:WORD_0 src1_sel:DWORD
	v_cndmask_b32_e64 v71, v3, v2, s[2:3]
; %bb.217:                              ;   in Loop: Header=BB176_52 Depth=1
	s_or_b64 exec, exec, s[14:15]
	v_lshlrev_b32_e32 v2, 16, v72
	v_mul_f32_e32 v2, v50, v2
	v_and_b32_e32 v3, 0x7f800000, v2
	v_cmp_ne_u32_e64 s[2:3], s22, v3
                                        ; implicit-def: $vgpr72
	s_and_saveexec_b64 s[14:15], s[2:3]
	s_xor_b64 s[2:3], exec, s[14:15]
; %bb.218:                              ;   in Loop: Header=BB176_52 Depth=1
	v_bfe_u32 v3, v2, 16, 1
	v_add3_u32 v72, v2, v3, s23
                                        ; implicit-def: $vgpr2
; %bb.219:                              ;   in Loop: Header=BB176_52 Depth=1
	s_andn2_saveexec_b64 s[14:15], s[2:3]
; %bb.220:                              ;   in Loop: Header=BB176_52 Depth=1
	v_or_b32_e32 v3, 0x10000, v2
	v_cmp_eq_u32_sdwa s[2:3], v2, v25 src0_sel:WORD_0 src1_sel:DWORD
	v_cndmask_b32_e64 v72, v3, v2, s[2:3]
; %bb.221:                              ;   in Loop: Header=BB176_52 Depth=1
	s_or_b64 exec, exec, s[14:15]
	v_add_co_u32_e64 v2, s[2:3], v41, v29
	v_addc_co_u32_e64 v3, s[2:3], 0, v42, s[2:3]
	global_load_dwordx4 v[2:5], v[2:3], off
	s_waitcnt vmcnt(0)
	v_lshrrev_b32_e32 v74, 16, v2
	v_lshrrev_b32_e32 v76, 16, v3
	;; [unrolled: 1-line block ×4, first 2 shown]
	s_and_saveexec_b64 s[14:15], s[0:1]
	s_cbranch_execz .LBB176_223
; %bb.222:                              ;   in Loop: Header=BB176_52 Depth=1
	v_cmp_gt_i32_e64 s[2:3], s29, v39
	v_add_u32_e32 v73, 1, v39
	v_cndmask_b32_e64 v2, 0, v2, s[2:3]
	v_cmp_gt_i32_e64 s[2:3], s29, v73
	v_add_u32_e32 v73, 2, v39
	v_cndmask_b32_e64 v74, 0, v74, s[2:3]
	;; [unrolled: 3-line block ×7, first 2 shown]
	v_cmp_gt_i32_e64 s[2:3], s29, v73
	v_cndmask_b32_e64 v80, 0, v80, s[2:3]
.LBB176_223:                            ;   in Loop: Header=BB176_52 Depth=1
	s_or_b64 exec, exec, s[14:15]
	v_lshlrev_b32_e32 v2, 16, v2
	v_mul_f32_e32 v2, v43, v2
	v_and_b32_e32 v73, 0x7f800000, v2
	v_cmp_ne_u32_e64 s[2:3], s22, v73
                                        ; implicit-def: $vgpr73
	s_and_saveexec_b64 s[14:15], s[2:3]
	s_xor_b64 s[2:3], exec, s[14:15]
; %bb.224:                              ;   in Loop: Header=BB176_52 Depth=1
	v_bfe_u32 v73, v2, 16, 1
	v_add3_u32 v73, v2, v73, s23
                                        ; implicit-def: $vgpr2
; %bb.225:                              ;   in Loop: Header=BB176_52 Depth=1
	s_andn2_saveexec_b64 s[14:15], s[2:3]
; %bb.226:                              ;   in Loop: Header=BB176_52 Depth=1
	v_or_b32_e32 v73, 0x10000, v2
	v_cmp_eq_u32_sdwa s[2:3], v2, v25 src0_sel:WORD_0 src1_sel:DWORD
	v_cndmask_b32_e64 v73, v73, v2, s[2:3]
; %bb.227:                              ;   in Loop: Header=BB176_52 Depth=1
	s_or_b64 exec, exec, s[14:15]
	v_lshlrev_b32_e32 v2, 16, v74
	v_mul_f32_e32 v2, v44, v2
	v_and_b32_e32 v74, 0x7f800000, v2
	v_cmp_ne_u32_e64 s[2:3], s22, v74
                                        ; implicit-def: $vgpr74
	s_and_saveexec_b64 s[14:15], s[2:3]
	s_xor_b64 s[2:3], exec, s[14:15]
; %bb.228:                              ;   in Loop: Header=BB176_52 Depth=1
	v_bfe_u32 v74, v2, 16, 1
	v_add3_u32 v74, v2, v74, s23
                                        ; implicit-def: $vgpr2
; %bb.229:                              ;   in Loop: Header=BB176_52 Depth=1
	s_andn2_saveexec_b64 s[14:15], s[2:3]
; %bb.230:                              ;   in Loop: Header=BB176_52 Depth=1
	v_or_b32_e32 v74, 0x10000, v2
	v_cmp_eq_u32_sdwa s[2:3], v2, v25 src0_sel:WORD_0 src1_sel:DWORD
	v_cndmask_b32_e64 v74, v74, v2, s[2:3]
; %bb.231:                              ;   in Loop: Header=BB176_52 Depth=1
	s_or_b64 exec, exec, s[14:15]
	v_lshlrev_b32_e32 v2, 16, v3
	v_mul_f32_e32 v2, v45, v2
	v_and_b32_e32 v3, 0x7f800000, v2
	v_cmp_ne_u32_e64 s[2:3], s22, v3
                                        ; implicit-def: $vgpr75
	s_and_saveexec_b64 s[14:15], s[2:3]
	s_xor_b64 s[2:3], exec, s[14:15]
; %bb.232:                              ;   in Loop: Header=BB176_52 Depth=1
	v_bfe_u32 v3, v2, 16, 1
	v_add3_u32 v75, v2, v3, s23
                                        ; implicit-def: $vgpr2
; %bb.233:                              ;   in Loop: Header=BB176_52 Depth=1
	s_andn2_saveexec_b64 s[14:15], s[2:3]
; %bb.234:                              ;   in Loop: Header=BB176_52 Depth=1
	v_or_b32_e32 v3, 0x10000, v2
	v_cmp_eq_u32_sdwa s[2:3], v2, v25 src0_sel:WORD_0 src1_sel:DWORD
	v_cndmask_b32_e64 v75, v3, v2, s[2:3]
; %bb.235:                              ;   in Loop: Header=BB176_52 Depth=1
	s_or_b64 exec, exec, s[14:15]
	v_lshlrev_b32_e32 v2, 16, v76
	v_mul_f32_e32 v2, v46, v2
	v_and_b32_e32 v3, 0x7f800000, v2
	v_cmp_ne_u32_e64 s[2:3], s22, v3
                                        ; implicit-def: $vgpr76
	s_and_saveexec_b64 s[14:15], s[2:3]
	s_xor_b64 s[2:3], exec, s[14:15]
; %bb.236:                              ;   in Loop: Header=BB176_52 Depth=1
	v_bfe_u32 v3, v2, 16, 1
	v_add3_u32 v76, v2, v3, s23
                                        ; implicit-def: $vgpr2
; %bb.237:                              ;   in Loop: Header=BB176_52 Depth=1
	s_andn2_saveexec_b64 s[14:15], s[2:3]
; %bb.238:                              ;   in Loop: Header=BB176_52 Depth=1
	v_or_b32_e32 v3, 0x10000, v2
	v_cmp_eq_u32_sdwa s[2:3], v2, v25 src0_sel:WORD_0 src1_sel:DWORD
	v_cndmask_b32_e64 v76, v3, v2, s[2:3]
; %bb.239:                              ;   in Loop: Header=BB176_52 Depth=1
	s_or_b64 exec, exec, s[14:15]
	v_lshlrev_b32_e32 v2, 16, v4
	v_mul_f32_e32 v2, v47, v2
	v_and_b32_e32 v3, 0x7f800000, v2
	v_cmp_ne_u32_e64 s[2:3], s22, v3
                                        ; implicit-def: $vgpr77
	s_and_saveexec_b64 s[14:15], s[2:3]
	s_xor_b64 s[2:3], exec, s[14:15]
; %bb.240:                              ;   in Loop: Header=BB176_52 Depth=1
	v_bfe_u32 v3, v2, 16, 1
	v_add3_u32 v77, v2, v3, s23
                                        ; implicit-def: $vgpr2
; %bb.241:                              ;   in Loop: Header=BB176_52 Depth=1
	s_andn2_saveexec_b64 s[14:15], s[2:3]
; %bb.242:                              ;   in Loop: Header=BB176_52 Depth=1
	v_or_b32_e32 v3, 0x10000, v2
	v_cmp_eq_u32_sdwa s[2:3], v2, v25 src0_sel:WORD_0 src1_sel:DWORD
	v_cndmask_b32_e64 v77, v3, v2, s[2:3]
; %bb.243:                              ;   in Loop: Header=BB176_52 Depth=1
	s_or_b64 exec, exec, s[14:15]
	v_lshlrev_b32_e32 v2, 16, v78
	v_mul_f32_e32 v2, v48, v2
	v_and_b32_e32 v3, 0x7f800000, v2
	v_cmp_ne_u32_e64 s[2:3], s22, v3
                                        ; implicit-def: $vgpr78
	s_and_saveexec_b64 s[14:15], s[2:3]
	s_xor_b64 s[2:3], exec, s[14:15]
; %bb.244:                              ;   in Loop: Header=BB176_52 Depth=1
	v_bfe_u32 v3, v2, 16, 1
	v_add3_u32 v78, v2, v3, s23
                                        ; implicit-def: $vgpr2
; %bb.245:                              ;   in Loop: Header=BB176_52 Depth=1
	s_andn2_saveexec_b64 s[14:15], s[2:3]
; %bb.246:                              ;   in Loop: Header=BB176_52 Depth=1
	v_or_b32_e32 v3, 0x10000, v2
	v_cmp_eq_u32_sdwa s[2:3], v2, v25 src0_sel:WORD_0 src1_sel:DWORD
	v_cndmask_b32_e64 v78, v3, v2, s[2:3]
; %bb.247:                              ;   in Loop: Header=BB176_52 Depth=1
	s_or_b64 exec, exec, s[14:15]
	v_lshlrev_b32_e32 v2, 16, v5
	v_mul_f32_e32 v2, v49, v2
	v_and_b32_e32 v3, 0x7f800000, v2
	v_cmp_ne_u32_e64 s[2:3], s22, v3
                                        ; implicit-def: $vgpr79
	s_and_saveexec_b64 s[14:15], s[2:3]
	s_xor_b64 s[2:3], exec, s[14:15]
; %bb.248:                              ;   in Loop: Header=BB176_52 Depth=1
	v_bfe_u32 v3, v2, 16, 1
	v_add3_u32 v79, v2, v3, s23
                                        ; implicit-def: $vgpr2
; %bb.249:                              ;   in Loop: Header=BB176_52 Depth=1
	s_andn2_saveexec_b64 s[14:15], s[2:3]
; %bb.250:                              ;   in Loop: Header=BB176_52 Depth=1
	v_or_b32_e32 v3, 0x10000, v2
	v_cmp_eq_u32_sdwa s[2:3], v2, v25 src0_sel:WORD_0 src1_sel:DWORD
	v_cndmask_b32_e64 v79, v3, v2, s[2:3]
; %bb.251:                              ;   in Loop: Header=BB176_52 Depth=1
	s_or_b64 exec, exec, s[14:15]
	v_lshlrev_b32_e32 v2, 16, v80
	v_mul_f32_e32 v2, v50, v2
	v_and_b32_e32 v3, 0x7f800000, v2
	v_cmp_ne_u32_e64 s[2:3], s22, v3
                                        ; implicit-def: $vgpr80
	s_and_saveexec_b64 s[14:15], s[2:3]
	s_xor_b64 s[2:3], exec, s[14:15]
; %bb.252:                              ;   in Loop: Header=BB176_52 Depth=1
	v_bfe_u32 v3, v2, 16, 1
	v_add3_u32 v80, v2, v3, s23
                                        ; implicit-def: $vgpr2
; %bb.253:                              ;   in Loop: Header=BB176_52 Depth=1
	s_andn2_saveexec_b64 s[14:15], s[2:3]
; %bb.254:                              ;   in Loop: Header=BB176_52 Depth=1
	v_or_b32_e32 v3, 0x10000, v2
	v_cmp_eq_u32_sdwa s[2:3], v2, v25 src0_sel:WORD_0 src1_sel:DWORD
	v_cndmask_b32_e64 v80, v3, v2, s[2:3]
; %bb.255:                              ;   in Loop: Header=BB176_52 Depth=1
	s_or_b64 exec, exec, s[14:15]
	v_add_co_u32_e64 v2, s[2:3], v41, v31
	v_addc_co_u32_e64 v3, s[2:3], 0, v42, s[2:3]
	global_load_dwordx4 v[2:5], v[2:3], off
	s_waitcnt vmcnt(0)
	v_lshrrev_b32_e32 v82, 16, v2
	v_lshrrev_b32_e32 v84, 16, v3
	;; [unrolled: 1-line block ×4, first 2 shown]
	s_and_saveexec_b64 s[14:15], s[0:1]
	s_cbranch_execz .LBB176_257
; %bb.256:                              ;   in Loop: Header=BB176_52 Depth=1
	v_cmp_gt_i32_e64 s[2:3], s29, v39
	v_add_u32_e32 v81, 1, v39
	v_cndmask_b32_e64 v2, 0, v2, s[2:3]
	v_cmp_gt_i32_e64 s[2:3], s29, v81
	v_add_u32_e32 v81, 2, v39
	v_cndmask_b32_e64 v82, 0, v82, s[2:3]
	;; [unrolled: 3-line block ×7, first 2 shown]
	v_cmp_gt_i32_e64 s[2:3], s29, v81
	v_cndmask_b32_e64 v88, 0, v88, s[2:3]
.LBB176_257:                            ;   in Loop: Header=BB176_52 Depth=1
	s_or_b64 exec, exec, s[14:15]
	v_lshlrev_b32_e32 v2, 16, v2
	v_mul_f32_e32 v2, v43, v2
	v_and_b32_e32 v81, 0x7f800000, v2
	v_cmp_ne_u32_e64 s[2:3], s22, v81
                                        ; implicit-def: $vgpr81
	s_and_saveexec_b64 s[14:15], s[2:3]
	s_xor_b64 s[2:3], exec, s[14:15]
; %bb.258:                              ;   in Loop: Header=BB176_52 Depth=1
	v_bfe_u32 v81, v2, 16, 1
	v_add3_u32 v81, v2, v81, s23
                                        ; implicit-def: $vgpr2
; %bb.259:                              ;   in Loop: Header=BB176_52 Depth=1
	s_andn2_saveexec_b64 s[14:15], s[2:3]
; %bb.260:                              ;   in Loop: Header=BB176_52 Depth=1
	v_or_b32_e32 v81, 0x10000, v2
	v_cmp_eq_u32_sdwa s[2:3], v2, v25 src0_sel:WORD_0 src1_sel:DWORD
	v_cndmask_b32_e64 v81, v81, v2, s[2:3]
; %bb.261:                              ;   in Loop: Header=BB176_52 Depth=1
	s_or_b64 exec, exec, s[14:15]
	v_lshlrev_b32_e32 v2, 16, v82
	v_mul_f32_e32 v2, v44, v2
	v_and_b32_e32 v82, 0x7f800000, v2
	v_cmp_ne_u32_e64 s[2:3], s22, v82
                                        ; implicit-def: $vgpr82
	s_and_saveexec_b64 s[14:15], s[2:3]
	s_xor_b64 s[2:3], exec, s[14:15]
; %bb.262:                              ;   in Loop: Header=BB176_52 Depth=1
	v_bfe_u32 v82, v2, 16, 1
	v_add3_u32 v82, v2, v82, s23
                                        ; implicit-def: $vgpr2
; %bb.263:                              ;   in Loop: Header=BB176_52 Depth=1
	s_andn2_saveexec_b64 s[14:15], s[2:3]
; %bb.264:                              ;   in Loop: Header=BB176_52 Depth=1
	v_or_b32_e32 v82, 0x10000, v2
	v_cmp_eq_u32_sdwa s[2:3], v2, v25 src0_sel:WORD_0 src1_sel:DWORD
	v_cndmask_b32_e64 v82, v82, v2, s[2:3]
; %bb.265:                              ;   in Loop: Header=BB176_52 Depth=1
	s_or_b64 exec, exec, s[14:15]
	v_lshlrev_b32_e32 v2, 16, v3
	v_mul_f32_e32 v2, v45, v2
	v_and_b32_e32 v3, 0x7f800000, v2
	v_cmp_ne_u32_e64 s[2:3], s22, v3
                                        ; implicit-def: $vgpr83
	s_and_saveexec_b64 s[14:15], s[2:3]
	s_xor_b64 s[2:3], exec, s[14:15]
; %bb.266:                              ;   in Loop: Header=BB176_52 Depth=1
	v_bfe_u32 v3, v2, 16, 1
	v_add3_u32 v83, v2, v3, s23
                                        ; implicit-def: $vgpr2
; %bb.267:                              ;   in Loop: Header=BB176_52 Depth=1
	s_andn2_saveexec_b64 s[14:15], s[2:3]
; %bb.268:                              ;   in Loop: Header=BB176_52 Depth=1
	v_or_b32_e32 v3, 0x10000, v2
	v_cmp_eq_u32_sdwa s[2:3], v2, v25 src0_sel:WORD_0 src1_sel:DWORD
	v_cndmask_b32_e64 v83, v3, v2, s[2:3]
; %bb.269:                              ;   in Loop: Header=BB176_52 Depth=1
	s_or_b64 exec, exec, s[14:15]
	v_lshlrev_b32_e32 v2, 16, v84
	v_mul_f32_e32 v2, v46, v2
	v_and_b32_e32 v3, 0x7f800000, v2
	v_cmp_ne_u32_e64 s[2:3], s22, v3
                                        ; implicit-def: $vgpr84
	s_and_saveexec_b64 s[14:15], s[2:3]
	s_xor_b64 s[2:3], exec, s[14:15]
; %bb.270:                              ;   in Loop: Header=BB176_52 Depth=1
	v_bfe_u32 v3, v2, 16, 1
	v_add3_u32 v84, v2, v3, s23
                                        ; implicit-def: $vgpr2
; %bb.271:                              ;   in Loop: Header=BB176_52 Depth=1
	s_andn2_saveexec_b64 s[14:15], s[2:3]
; %bb.272:                              ;   in Loop: Header=BB176_52 Depth=1
	v_or_b32_e32 v3, 0x10000, v2
	v_cmp_eq_u32_sdwa s[2:3], v2, v25 src0_sel:WORD_0 src1_sel:DWORD
	v_cndmask_b32_e64 v84, v3, v2, s[2:3]
; %bb.273:                              ;   in Loop: Header=BB176_52 Depth=1
	s_or_b64 exec, exec, s[14:15]
	v_lshlrev_b32_e32 v2, 16, v4
	v_mul_f32_e32 v2, v47, v2
	v_and_b32_e32 v3, 0x7f800000, v2
	v_cmp_ne_u32_e64 s[2:3], s22, v3
                                        ; implicit-def: $vgpr85
	s_and_saveexec_b64 s[14:15], s[2:3]
	s_xor_b64 s[2:3], exec, s[14:15]
; %bb.274:                              ;   in Loop: Header=BB176_52 Depth=1
	v_bfe_u32 v3, v2, 16, 1
	v_add3_u32 v85, v2, v3, s23
                                        ; implicit-def: $vgpr2
; %bb.275:                              ;   in Loop: Header=BB176_52 Depth=1
	s_andn2_saveexec_b64 s[14:15], s[2:3]
; %bb.276:                              ;   in Loop: Header=BB176_52 Depth=1
	v_or_b32_e32 v3, 0x10000, v2
	v_cmp_eq_u32_sdwa s[2:3], v2, v25 src0_sel:WORD_0 src1_sel:DWORD
	v_cndmask_b32_e64 v85, v3, v2, s[2:3]
; %bb.277:                              ;   in Loop: Header=BB176_52 Depth=1
	s_or_b64 exec, exec, s[14:15]
	v_lshlrev_b32_e32 v2, 16, v86
	v_mul_f32_e32 v2, v48, v2
	v_and_b32_e32 v3, 0x7f800000, v2
	v_cmp_ne_u32_e64 s[2:3], s22, v3
                                        ; implicit-def: $vgpr86
	s_and_saveexec_b64 s[14:15], s[2:3]
	s_xor_b64 s[2:3], exec, s[14:15]
; %bb.278:                              ;   in Loop: Header=BB176_52 Depth=1
	v_bfe_u32 v3, v2, 16, 1
	v_add3_u32 v86, v2, v3, s23
                                        ; implicit-def: $vgpr2
; %bb.279:                              ;   in Loop: Header=BB176_52 Depth=1
	s_andn2_saveexec_b64 s[14:15], s[2:3]
; %bb.280:                              ;   in Loop: Header=BB176_52 Depth=1
	v_or_b32_e32 v3, 0x10000, v2
	v_cmp_eq_u32_sdwa s[2:3], v2, v25 src0_sel:WORD_0 src1_sel:DWORD
	v_cndmask_b32_e64 v86, v3, v2, s[2:3]
; %bb.281:                              ;   in Loop: Header=BB176_52 Depth=1
	s_or_b64 exec, exec, s[14:15]
	v_lshlrev_b32_e32 v2, 16, v5
	v_mul_f32_e32 v2, v49, v2
	v_and_b32_e32 v3, 0x7f800000, v2
	v_cmp_ne_u32_e64 s[2:3], s22, v3
                                        ; implicit-def: $vgpr87
	s_and_saveexec_b64 s[14:15], s[2:3]
	s_xor_b64 s[2:3], exec, s[14:15]
; %bb.282:                              ;   in Loop: Header=BB176_52 Depth=1
	v_bfe_u32 v3, v2, 16, 1
	v_add3_u32 v87, v2, v3, s23
                                        ; implicit-def: $vgpr2
; %bb.283:                              ;   in Loop: Header=BB176_52 Depth=1
	s_andn2_saveexec_b64 s[14:15], s[2:3]
; %bb.284:                              ;   in Loop: Header=BB176_52 Depth=1
	v_or_b32_e32 v3, 0x10000, v2
	v_cmp_eq_u32_sdwa s[2:3], v2, v25 src0_sel:WORD_0 src1_sel:DWORD
	v_cndmask_b32_e64 v87, v3, v2, s[2:3]
; %bb.285:                              ;   in Loop: Header=BB176_52 Depth=1
	s_or_b64 exec, exec, s[14:15]
	v_lshlrev_b32_e32 v2, 16, v88
	v_mul_f32_e32 v2, v50, v2
	v_and_b32_e32 v3, 0x7f800000, v2
	v_cmp_ne_u32_e64 s[2:3], s22, v3
                                        ; implicit-def: $vgpr88
	s_and_saveexec_b64 s[14:15], s[2:3]
	s_xor_b64 s[2:3], exec, s[14:15]
; %bb.286:                              ;   in Loop: Header=BB176_52 Depth=1
	v_bfe_u32 v3, v2, 16, 1
	v_add3_u32 v88, v2, v3, s23
                                        ; implicit-def: $vgpr2
; %bb.287:                              ;   in Loop: Header=BB176_52 Depth=1
	s_andn2_saveexec_b64 s[14:15], s[2:3]
; %bb.288:                              ;   in Loop: Header=BB176_52 Depth=1
	v_or_b32_e32 v3, 0x10000, v2
	v_cmp_eq_u32_sdwa s[2:3], v2, v25 src0_sel:WORD_0 src1_sel:DWORD
	v_cndmask_b32_e64 v88, v3, v2, s[2:3]
; %bb.289:                              ;   in Loop: Header=BB176_52 Depth=1
	s_or_b64 exec, exec, s[14:15]
	v_add_co_u32_e64 v2, s[2:3], v41, v32
	v_addc_co_u32_e64 v3, s[2:3], 0, v42, s[2:3]
	global_load_dwordx4 v[2:5], v[2:3], off
	s_waitcnt vmcnt(0)
	v_lshrrev_b32_e32 v90, 16, v2
	v_lshrrev_b32_e32 v92, 16, v3
	;; [unrolled: 1-line block ×4, first 2 shown]
	s_and_saveexec_b64 s[14:15], s[0:1]
	s_cbranch_execz .LBB176_291
; %bb.290:                              ;   in Loop: Header=BB176_52 Depth=1
	v_cmp_gt_i32_e64 s[2:3], s29, v39
	v_add_u32_e32 v89, 1, v39
	v_cndmask_b32_e64 v2, 0, v2, s[2:3]
	v_cmp_gt_i32_e64 s[2:3], s29, v89
	v_add_u32_e32 v89, 2, v39
	v_cndmask_b32_e64 v90, 0, v90, s[2:3]
	;; [unrolled: 3-line block ×7, first 2 shown]
	v_cmp_gt_i32_e64 s[2:3], s29, v89
	v_cndmask_b32_e64 v96, 0, v96, s[2:3]
.LBB176_291:                            ;   in Loop: Header=BB176_52 Depth=1
	s_or_b64 exec, exec, s[14:15]
	v_lshlrev_b32_e32 v2, 16, v2
	v_mul_f32_e32 v2, v43, v2
	v_and_b32_e32 v89, 0x7f800000, v2
	v_cmp_ne_u32_e64 s[2:3], s22, v89
                                        ; implicit-def: $vgpr89
	s_and_saveexec_b64 s[14:15], s[2:3]
	s_xor_b64 s[2:3], exec, s[14:15]
; %bb.292:                              ;   in Loop: Header=BB176_52 Depth=1
	v_bfe_u32 v89, v2, 16, 1
	v_add3_u32 v89, v2, v89, s23
                                        ; implicit-def: $vgpr2
; %bb.293:                              ;   in Loop: Header=BB176_52 Depth=1
	s_andn2_saveexec_b64 s[14:15], s[2:3]
; %bb.294:                              ;   in Loop: Header=BB176_52 Depth=1
	v_or_b32_e32 v89, 0x10000, v2
	v_cmp_eq_u32_sdwa s[2:3], v2, v25 src0_sel:WORD_0 src1_sel:DWORD
	v_cndmask_b32_e64 v89, v89, v2, s[2:3]
; %bb.295:                              ;   in Loop: Header=BB176_52 Depth=1
	s_or_b64 exec, exec, s[14:15]
	v_lshlrev_b32_e32 v2, 16, v90
	v_mul_f32_e32 v2, v44, v2
	v_and_b32_e32 v90, 0x7f800000, v2
	v_cmp_ne_u32_e64 s[2:3], s22, v90
                                        ; implicit-def: $vgpr90
	s_and_saveexec_b64 s[14:15], s[2:3]
	s_xor_b64 s[2:3], exec, s[14:15]
; %bb.296:                              ;   in Loop: Header=BB176_52 Depth=1
	v_bfe_u32 v90, v2, 16, 1
	v_add3_u32 v90, v2, v90, s23
                                        ; implicit-def: $vgpr2
; %bb.297:                              ;   in Loop: Header=BB176_52 Depth=1
	s_andn2_saveexec_b64 s[14:15], s[2:3]
; %bb.298:                              ;   in Loop: Header=BB176_52 Depth=1
	v_or_b32_e32 v90, 0x10000, v2
	v_cmp_eq_u32_sdwa s[2:3], v2, v25 src0_sel:WORD_0 src1_sel:DWORD
	v_cndmask_b32_e64 v90, v90, v2, s[2:3]
; %bb.299:                              ;   in Loop: Header=BB176_52 Depth=1
	s_or_b64 exec, exec, s[14:15]
	v_lshlrev_b32_e32 v2, 16, v3
	v_mul_f32_e32 v2, v45, v2
	v_and_b32_e32 v3, 0x7f800000, v2
	v_cmp_ne_u32_e64 s[2:3], s22, v3
                                        ; implicit-def: $vgpr91
	s_and_saveexec_b64 s[14:15], s[2:3]
	s_xor_b64 s[2:3], exec, s[14:15]
; %bb.300:                              ;   in Loop: Header=BB176_52 Depth=1
	v_bfe_u32 v3, v2, 16, 1
	v_add3_u32 v91, v2, v3, s23
                                        ; implicit-def: $vgpr2
; %bb.301:                              ;   in Loop: Header=BB176_52 Depth=1
	s_andn2_saveexec_b64 s[14:15], s[2:3]
; %bb.302:                              ;   in Loop: Header=BB176_52 Depth=1
	v_or_b32_e32 v3, 0x10000, v2
	v_cmp_eq_u32_sdwa s[2:3], v2, v25 src0_sel:WORD_0 src1_sel:DWORD
	v_cndmask_b32_e64 v91, v3, v2, s[2:3]
; %bb.303:                              ;   in Loop: Header=BB176_52 Depth=1
	s_or_b64 exec, exec, s[14:15]
	v_lshlrev_b32_e32 v2, 16, v92
	v_mul_f32_e32 v2, v46, v2
	v_and_b32_e32 v3, 0x7f800000, v2
	v_cmp_ne_u32_e64 s[2:3], s22, v3
                                        ; implicit-def: $vgpr92
	s_and_saveexec_b64 s[14:15], s[2:3]
	s_xor_b64 s[2:3], exec, s[14:15]
; %bb.304:                              ;   in Loop: Header=BB176_52 Depth=1
	v_bfe_u32 v3, v2, 16, 1
	v_add3_u32 v92, v2, v3, s23
                                        ; implicit-def: $vgpr2
; %bb.305:                              ;   in Loop: Header=BB176_52 Depth=1
	s_andn2_saveexec_b64 s[14:15], s[2:3]
; %bb.306:                              ;   in Loop: Header=BB176_52 Depth=1
	v_or_b32_e32 v3, 0x10000, v2
	v_cmp_eq_u32_sdwa s[2:3], v2, v25 src0_sel:WORD_0 src1_sel:DWORD
	v_cndmask_b32_e64 v92, v3, v2, s[2:3]
; %bb.307:                              ;   in Loop: Header=BB176_52 Depth=1
	s_or_b64 exec, exec, s[14:15]
	v_lshlrev_b32_e32 v2, 16, v4
	v_mul_f32_e32 v2, v47, v2
	v_and_b32_e32 v3, 0x7f800000, v2
	v_cmp_ne_u32_e64 s[2:3], s22, v3
                                        ; implicit-def: $vgpr93
	s_and_saveexec_b64 s[14:15], s[2:3]
	s_xor_b64 s[2:3], exec, s[14:15]
; %bb.308:                              ;   in Loop: Header=BB176_52 Depth=1
	v_bfe_u32 v3, v2, 16, 1
	v_add3_u32 v93, v2, v3, s23
                                        ; implicit-def: $vgpr2
; %bb.309:                              ;   in Loop: Header=BB176_52 Depth=1
	s_andn2_saveexec_b64 s[14:15], s[2:3]
; %bb.310:                              ;   in Loop: Header=BB176_52 Depth=1
	v_or_b32_e32 v3, 0x10000, v2
	v_cmp_eq_u32_sdwa s[2:3], v2, v25 src0_sel:WORD_0 src1_sel:DWORD
	v_cndmask_b32_e64 v93, v3, v2, s[2:3]
; %bb.311:                              ;   in Loop: Header=BB176_52 Depth=1
	s_or_b64 exec, exec, s[14:15]
	v_lshlrev_b32_e32 v2, 16, v94
	v_mul_f32_e32 v2, v48, v2
	v_and_b32_e32 v3, 0x7f800000, v2
	v_cmp_ne_u32_e64 s[2:3], s22, v3
                                        ; implicit-def: $vgpr94
	s_and_saveexec_b64 s[14:15], s[2:3]
	s_xor_b64 s[2:3], exec, s[14:15]
; %bb.312:                              ;   in Loop: Header=BB176_52 Depth=1
	v_bfe_u32 v3, v2, 16, 1
	v_add3_u32 v94, v2, v3, s23
                                        ; implicit-def: $vgpr2
; %bb.313:                              ;   in Loop: Header=BB176_52 Depth=1
	s_andn2_saveexec_b64 s[14:15], s[2:3]
; %bb.314:                              ;   in Loop: Header=BB176_52 Depth=1
	v_or_b32_e32 v3, 0x10000, v2
	v_cmp_eq_u32_sdwa s[2:3], v2, v25 src0_sel:WORD_0 src1_sel:DWORD
	v_cndmask_b32_e64 v94, v3, v2, s[2:3]
; %bb.315:                              ;   in Loop: Header=BB176_52 Depth=1
	s_or_b64 exec, exec, s[14:15]
	v_lshlrev_b32_e32 v2, 16, v5
	v_mul_f32_e32 v2, v49, v2
	v_and_b32_e32 v3, 0x7f800000, v2
	v_cmp_ne_u32_e64 s[2:3], s22, v3
                                        ; implicit-def: $vgpr95
	s_and_saveexec_b64 s[14:15], s[2:3]
	s_xor_b64 s[2:3], exec, s[14:15]
; %bb.316:                              ;   in Loop: Header=BB176_52 Depth=1
	v_bfe_u32 v3, v2, 16, 1
	v_add3_u32 v95, v2, v3, s23
                                        ; implicit-def: $vgpr2
; %bb.317:                              ;   in Loop: Header=BB176_52 Depth=1
	s_andn2_saveexec_b64 s[14:15], s[2:3]
; %bb.318:                              ;   in Loop: Header=BB176_52 Depth=1
	v_or_b32_e32 v3, 0x10000, v2
	v_cmp_eq_u32_sdwa s[2:3], v2, v25 src0_sel:WORD_0 src1_sel:DWORD
	v_cndmask_b32_e64 v95, v3, v2, s[2:3]
; %bb.319:                              ;   in Loop: Header=BB176_52 Depth=1
	s_or_b64 exec, exec, s[14:15]
	v_lshlrev_b32_e32 v2, 16, v96
	v_mul_f32_e32 v2, v50, v2
	v_and_b32_e32 v3, 0x7f800000, v2
	v_cmp_ne_u32_e64 s[2:3], s22, v3
                                        ; implicit-def: $vgpr96
	s_and_saveexec_b64 s[14:15], s[2:3]
	s_xor_b64 s[2:3], exec, s[14:15]
	s_cbranch_execnz .LBB176_322
; %bb.320:                              ;   in Loop: Header=BB176_52 Depth=1
	s_andn2_saveexec_b64 s[14:15], s[2:3]
	s_cbranch_execnz .LBB176_323
.LBB176_321:                            ;   in Loop: Header=BB176_52 Depth=1
	s_or_b64 exec, exec, s[14:15]
	s_and_saveexec_b64 s[14:15], vcc
	s_cbranch_execz .LBB176_50
	s_branch .LBB176_324
.LBB176_322:                            ;   in Loop: Header=BB176_52 Depth=1
	v_bfe_u32 v3, v2, 16, 1
	v_add3_u32 v96, v2, v3, s23
                                        ; implicit-def: $vgpr2
	s_andn2_saveexec_b64 s[14:15], s[2:3]
	s_cbranch_execz .LBB176_321
.LBB176_323:                            ;   in Loop: Header=BB176_52 Depth=1
	v_or_b32_e32 v3, 0x10000, v2
	v_cmp_eq_u32_sdwa s[2:3], v2, v25 src0_sel:WORD_0 src1_sel:DWORD
	v_cndmask_b32_e64 v96, v3, v2, s[2:3]
	s_or_b64 exec, exec, s[14:15]
	s_and_saveexec_b64 s[14:15], vcc
	s_cbranch_execz .LBB176_50
.LBB176_324:                            ;   in Loop: Header=BB176_52 Depth=1
	v_add_co_u32_e64 v2, s[2:3], v41, v33
	v_addc_co_u32_e64 v3, s[2:3], 0, v42, s[2:3]
	global_load_dwordx4 v[2:5], v[2:3], off
	s_waitcnt vmcnt(0)
	v_lshrrev_b32_e32 v98, 16, v2
	v_lshrrev_b32_e32 v97, 16, v3
	;; [unrolled: 1-line block ×4, first 2 shown]
	s_and_saveexec_b64 s[2:3], s[0:1]
	s_cbranch_execz .LBB176_326
; %bb.325:                              ;   in Loop: Header=BB176_52 Depth=1
	v_cmp_gt_i32_e64 s[0:1], s29, v39
	v_add_u32_e32 v99, 1, v39
	v_cndmask_b32_e64 v2, 0, v2, s[0:1]
	v_cmp_gt_i32_e64 s[0:1], s29, v99
	v_add_u32_e32 v99, 2, v39
	v_cndmask_b32_e64 v98, 0, v98, s[0:1]
	;; [unrolled: 3-line block ×7, first 2 shown]
	v_cmp_gt_i32_e64 s[0:1], s29, v39
	v_cndmask_b32_e64 v41, 0, v41, s[0:1]
.LBB176_326:                            ;   in Loop: Header=BB176_52 Depth=1
	s_or_b64 exec, exec, s[2:3]
	v_lshlrev_b32_e32 v2, 16, v2
	v_mul_f32_e32 v39, v43, v2
	v_and_b32_e32 v2, 0x7f800000, v39
	v_cmp_ne_u32_e64 s[0:1], s22, v2
                                        ; implicit-def: $vgpr2
	s_and_saveexec_b64 s[2:3], s[0:1]
	s_xor_b64 s[0:1], exec, s[2:3]
; %bb.327:                              ;   in Loop: Header=BB176_52 Depth=1
	v_bfe_u32 v2, v39, 16, 1
	v_add3_u32 v2, v39, v2, s23
                                        ; implicit-def: $vgpr39
; %bb.328:                              ;   in Loop: Header=BB176_52 Depth=1
	s_andn2_saveexec_b64 s[2:3], s[0:1]
; %bb.329:                              ;   in Loop: Header=BB176_52 Depth=1
	v_or_b32_e32 v2, 0x10000, v39
	v_cmp_eq_u32_sdwa s[0:1], v39, v25 src0_sel:WORD_0 src1_sel:DWORD
	v_cndmask_b32_e64 v2, v2, v39, s[0:1]
; %bb.330:                              ;   in Loop: Header=BB176_52 Depth=1
	s_or_b64 exec, exec, s[2:3]
	v_lshlrev_b32_e32 v39, 16, v98
	v_mul_f32_e32 v43, v44, v39
	v_and_b32_e32 v39, 0x7f800000, v43
	v_cmp_ne_u32_e64 s[0:1], s22, v39
                                        ; implicit-def: $vgpr39
	s_and_saveexec_b64 s[2:3], s[0:1]
	s_xor_b64 s[0:1], exec, s[2:3]
; %bb.331:                              ;   in Loop: Header=BB176_52 Depth=1
	v_bfe_u32 v39, v43, 16, 1
	v_add3_u32 v39, v43, v39, s23
                                        ; implicit-def: $vgpr43
; %bb.332:                              ;   in Loop: Header=BB176_52 Depth=1
	s_andn2_saveexec_b64 s[2:3], s[0:1]
; %bb.333:                              ;   in Loop: Header=BB176_52 Depth=1
	v_or_b32_e32 v39, 0x10000, v43
	v_cmp_eq_u32_sdwa s[0:1], v43, v25 src0_sel:WORD_0 src1_sel:DWORD
	v_cndmask_b32_e64 v39, v39, v43, s[0:1]
; %bb.334:                              ;   in Loop: Header=BB176_52 Depth=1
	s_or_b64 exec, exec, s[2:3]
	v_lshlrev_b32_e32 v3, 16, v3
	v_mul_f32_e32 v43, v45, v3
	v_and_b32_e32 v3, 0x7f800000, v43
	v_cmp_ne_u32_e64 s[0:1], s22, v3
                                        ; implicit-def: $vgpr3
	s_and_saveexec_b64 s[2:3], s[0:1]
	s_xor_b64 s[0:1], exec, s[2:3]
; %bb.335:                              ;   in Loop: Header=BB176_52 Depth=1
	v_bfe_u32 v3, v43, 16, 1
	v_add3_u32 v3, v43, v3, s23
                                        ; implicit-def: $vgpr43
; %bb.336:                              ;   in Loop: Header=BB176_52 Depth=1
	s_andn2_saveexec_b64 s[2:3], s[0:1]
; %bb.337:                              ;   in Loop: Header=BB176_52 Depth=1
	v_or_b32_e32 v3, 0x10000, v43
	v_cmp_eq_u32_sdwa s[0:1], v43, v25 src0_sel:WORD_0 src1_sel:DWORD
	v_cndmask_b32_e64 v3, v3, v43, s[0:1]
; %bb.338:                              ;   in Loop: Header=BB176_52 Depth=1
	s_or_b64 exec, exec, s[2:3]
	v_lshlrev_b32_e32 v43, 16, v97
	v_mul_f32_e32 v44, v46, v43
	v_and_b32_e32 v43, 0x7f800000, v44
	v_cmp_ne_u32_e64 s[0:1], s22, v43
                                        ; implicit-def: $vgpr43
	s_and_saveexec_b64 s[2:3], s[0:1]
	s_xor_b64 s[0:1], exec, s[2:3]
; %bb.339:                              ;   in Loop: Header=BB176_52 Depth=1
	v_bfe_u32 v43, v44, 16, 1
	v_add3_u32 v43, v44, v43, s23
                                        ; implicit-def: $vgpr44
; %bb.340:                              ;   in Loop: Header=BB176_52 Depth=1
	s_andn2_saveexec_b64 s[2:3], s[0:1]
; %bb.341:                              ;   in Loop: Header=BB176_52 Depth=1
	v_or_b32_e32 v43, 0x10000, v44
	v_cmp_eq_u32_sdwa s[0:1], v44, v25 src0_sel:WORD_0 src1_sel:DWORD
	v_cndmask_b32_e64 v43, v43, v44, s[0:1]
; %bb.342:                              ;   in Loop: Header=BB176_52 Depth=1
	s_or_b64 exec, exec, s[2:3]
	v_lshlrev_b32_e32 v4, 16, v4
	v_mul_f32_e32 v44, v47, v4
	v_and_b32_e32 v4, 0x7f800000, v44
	v_cmp_ne_u32_e64 s[0:1], s22, v4
                                        ; implicit-def: $vgpr4
	s_and_saveexec_b64 s[2:3], s[0:1]
	s_xor_b64 s[0:1], exec, s[2:3]
; %bb.343:                              ;   in Loop: Header=BB176_52 Depth=1
	v_bfe_u32 v4, v44, 16, 1
	v_add3_u32 v4, v44, v4, s23
                                        ; implicit-def: $vgpr44
; %bb.344:                              ;   in Loop: Header=BB176_52 Depth=1
	s_andn2_saveexec_b64 s[2:3], s[0:1]
; %bb.345:                              ;   in Loop: Header=BB176_52 Depth=1
	v_or_b32_e32 v4, 0x10000, v44
	v_cmp_eq_u32_sdwa s[0:1], v44, v25 src0_sel:WORD_0 src1_sel:DWORD
	v_cndmask_b32_e64 v4, v4, v44, s[0:1]
; %bb.346:                              ;   in Loop: Header=BB176_52 Depth=1
	s_or_b64 exec, exec, s[2:3]
	v_lshlrev_b32_e32 v42, 16, v42
	v_mul_f32_e32 v44, v48, v42
	v_and_b32_e32 v42, 0x7f800000, v44
	v_cmp_ne_u32_e64 s[0:1], s22, v42
                                        ; implicit-def: $vgpr42
	s_and_saveexec_b64 s[2:3], s[0:1]
	s_xor_b64 s[0:1], exec, s[2:3]
; %bb.347:                              ;   in Loop: Header=BB176_52 Depth=1
	v_bfe_u32 v42, v44, 16, 1
	v_add3_u32 v42, v44, v42, s23
                                        ; implicit-def: $vgpr44
; %bb.348:                              ;   in Loop: Header=BB176_52 Depth=1
	s_andn2_saveexec_b64 s[2:3], s[0:1]
; %bb.349:                              ;   in Loop: Header=BB176_52 Depth=1
	v_or_b32_e32 v42, 0x10000, v44
	v_cmp_eq_u32_sdwa s[0:1], v44, v25 src0_sel:WORD_0 src1_sel:DWORD
	v_cndmask_b32_e64 v42, v42, v44, s[0:1]
; %bb.350:                              ;   in Loop: Header=BB176_52 Depth=1
	s_or_b64 exec, exec, s[2:3]
	v_lshlrev_b32_e32 v5, 16, v5
	v_mul_f32_e32 v44, v49, v5
	v_and_b32_e32 v5, 0x7f800000, v44
	v_cmp_ne_u32_e64 s[0:1], s22, v5
                                        ; implicit-def: $vgpr5
	s_and_saveexec_b64 s[2:3], s[0:1]
	s_xor_b64 s[0:1], exec, s[2:3]
; %bb.351:                              ;   in Loop: Header=BB176_52 Depth=1
	v_bfe_u32 v5, v44, 16, 1
	v_add3_u32 v5, v44, v5, s23
                                        ; implicit-def: $vgpr44
; %bb.352:                              ;   in Loop: Header=BB176_52 Depth=1
	s_andn2_saveexec_b64 s[2:3], s[0:1]
; %bb.353:                              ;   in Loop: Header=BB176_52 Depth=1
	v_or_b32_e32 v5, 0x10000, v44
	v_cmp_eq_u32_sdwa s[0:1], v44, v25 src0_sel:WORD_0 src1_sel:DWORD
	v_cndmask_b32_e64 v5, v5, v44, s[0:1]
; %bb.354:                              ;   in Loop: Header=BB176_52 Depth=1
	s_or_b64 exec, exec, s[2:3]
	v_lshlrev_b32_e32 v41, 16, v41
	v_mul_f32_e32 v41, v50, v41
	v_and_b32_e32 v44, 0x7f800000, v41
	v_cmp_ne_u32_e64 s[0:1], s22, v44
                                        ; implicit-def: $vgpr44
	s_and_saveexec_b64 s[2:3], s[0:1]
	s_xor_b64 s[0:1], exec, s[2:3]
; %bb.355:                              ;   in Loop: Header=BB176_52 Depth=1
	v_bfe_u32 v44, v41, 16, 1
	v_add3_u32 v44, v41, v44, s23
                                        ; implicit-def: $vgpr41
; %bb.356:                              ;   in Loop: Header=BB176_52 Depth=1
	s_andn2_saveexec_b64 s[2:3], s[0:1]
	s_cbranch_execz .LBB176_49
; %bb.357:                              ;   in Loop: Header=BB176_52 Depth=1
	v_or_b32_e32 v44, 0x10000, v41
	v_cmp_eq_u32_sdwa s[0:1], v41, v25 src0_sel:WORD_0 src1_sel:DWORD
	v_cndmask_b32_e64 v44, v44, v41, s[0:1]
	s_branch .LBB176_49
.LBB176_358:
	s_or_b64 exec, exec, s[10:11]
.LBB176_359:
	s_or_b64 exec, exec, s[6:7]
	ds_bpermute_b32 v2, v20, v16
	ds_bpermute_b32 v3, v20, v17
	ds_bpermute_b32 v4, v20, v14
	ds_bpermute_b32 v5, v20, v15
	ds_bpermute_b32 v8, v20, v12
	ds_bpermute_b32 v9, v20, v13
	s_waitcnt lgkmcnt(4)
	v_pk_add_f32 v[2:3], v[16:17], v[2:3]
	ds_bpermute_b32 v16, v20, v10
	ds_bpermute_b32 v17, v20, v11
	s_waitcnt lgkmcnt(4)
	v_pk_add_f32 v[4:5], v[14:15], v[4:5]
	s_waitcnt lgkmcnt(2)
	v_pk_add_f32 v[12:13], v[12:13], v[8:9]
	ds_bpermute_b32 v6, v21, v2
	ds_bpermute_b32 v7, v21, v3
	s_waitcnt lgkmcnt(2)
	v_pk_add_f32 v[10:11], v[10:11], v[16:17]
	ds_bpermute_b32 v14, v21, v4
	ds_bpermute_b32 v15, v21, v5
	;; [unrolled: 1-line block ×6, first 2 shown]
	v_and_b32_e32 v1, 0x3c0, v0
	s_waitcnt lgkmcnt(6)
	v_pk_add_f32 v[8:9], v[2:3], v[6:7]
	s_waitcnt lgkmcnt(4)
	v_pk_add_f32 v[4:5], v[4:5], v[14:15]
	;; [unrolled: 2-line block ×4, first 2 shown]
	v_cmp_eq_u32_e32 vcc, 64, v1
	s_barrier
	s_and_saveexec_b64 s[2:3], vcc
	s_cbranch_execz .LBB176_364
; %bb.360:
	v_cmp_eq_u32_e32 vcc, 0, v22
	s_and_saveexec_b64 s[0:1], vcc
	s_cbranch_execz .LBB176_362
; %bb.361:
	v_mov_b32_e32 v1, 0x100
	v_lshl_add_u32 v1, v23, 2, v1
	ds_write2_b32 v1, v8, v9 offset1:16
	ds_write2_b32 v1, v4, v5 offset0:32 offset1:48
	ds_write2_b32 v1, v2, v3 offset0:64 offset1:80
	ds_write_b32 v1, v6 offset:384
.LBB176_362:
	s_or_b64 exec, exec, s[0:1]
	v_or_b32_e32 v1, 0x70, v23
	s_movk_i32 s0, 0x78
	v_cmp_gt_u32_e64 s[0:1], s0, v1
	s_and_b64 s[0:1], vcc, s[0:1]
	s_and_b64 exec, exec, s[0:1]
	s_cbranch_execz .LBB176_364
; %bb.363:
	v_mov_b32_e32 v1, 0x100
	v_lshl_add_u32 v1, v23, 2, v1
	ds_write_b32 v1, v7 offset:448
.LBB176_364:
	s_or_b64 exec, exec, s[2:3]
	v_cmp_gt_u32_e32 vcc, 64, v0
	v_lshrrev_b32_e32 v10, 2, v0
	s_waitcnt lgkmcnt(0)
	s_barrier
	s_and_saveexec_b64 s[6:7], vcc
	s_cbranch_execz .LBB176_376
; %bb.365:
	v_cmp_eq_u32_e64 s[0:1], 0, v22
	s_and_saveexec_b64 s[2:3], s[0:1]
	s_cbranch_execnz .LBB176_414
; %bb.366:
	s_or_b64 exec, exec, s[2:3]
	s_and_saveexec_b64 s[2:3], s[0:1]
	s_cbranch_execnz .LBB176_415
.LBB176_367:
	s_or_b64 exec, exec, s[2:3]
	s_and_saveexec_b64 s[2:3], s[0:1]
	s_cbranch_execnz .LBB176_416
.LBB176_368:
	s_or_b64 exec, exec, s[2:3]
	s_and_saveexec_b64 s[2:3], s[0:1]
	s_cbranch_execnz .LBB176_417
.LBB176_369:
	s_or_b64 exec, exec, s[2:3]
	s_and_saveexec_b64 s[2:3], s[0:1]
	s_cbranch_execnz .LBB176_418
.LBB176_370:
	s_or_b64 exec, exec, s[2:3]
	s_and_saveexec_b64 s[2:3], s[0:1]
	s_cbranch_execnz .LBB176_419
.LBB176_371:
	s_or_b64 exec, exec, s[2:3]
	s_and_saveexec_b64 s[2:3], s[0:1]
	s_cbranch_execz .LBB176_373
.LBB176_372:
	v_mov_b32_e32 v0, 0x100
	v_lshl_add_u32 v0, v10, 2, v0
	ds_read_b32 v0, v0 offset:384
	s_waitcnt lgkmcnt(0)
	v_add_f32_e32 v6, v6, v0
.LBB176_373:
	s_or_b64 exec, exec, s[2:3]
	v_or_b32_e32 v0, 0x70, v10
	s_movk_i32 s2, 0x78
	v_cmp_gt_u32_e64 s[2:3], s2, v0
	s_and_b64 s[2:3], s[0:1], s[2:3]
	s_and_saveexec_b64 s[0:1], s[2:3]
	s_cbranch_execz .LBB176_375
; %bb.374:
	v_mov_b32_e32 v0, 0x100
	v_lshl_add_u32 v0, v10, 2, v0
	ds_read_b32 v0, v0 offset:448
	s_waitcnt lgkmcnt(0)
	v_add_f32_e32 v7, v7, v0
.LBB176_375:
	s_or_b64 exec, exec, s[0:1]
.LBB176_376:
	s_or_b64 exec, exec, s[6:7]
	s_barrier
	s_and_saveexec_b64 s[0:1], vcc
	s_cbranch_execz .LBB176_413
; %bb.377:
	s_mul_i32 s0, s4, 0x78
	s_ashr_i32 s1, s0, 31
	s_lshl_b64 s[0:1], s[0:1], 1
	s_add_u32 s2, s26, s0
	s_mul_i32 s0, s16, s24
	s_addc_u32 s3, s27, s1
	s_ashr_i32 s1, s0, 31
	s_lshl_b64 s[0:1], s[0:1], 1
	s_add_u32 s2, s2, s0
	s_mul_i32 s0, s8, 0x78
	s_addc_u32 s3, s3, s1
	s_ashr_i32 s1, s0, 31
	s_lshl_b64 s[0:1], s[0:1], 1
	s_add_u32 s2, s2, s0
	s_addc_u32 s3, s3, s1
	v_cmp_eq_u32_e32 vcc, 0, v22
	s_and_saveexec_b64 s[4:5], vcc
	s_cbranch_execz .LBB176_407
; %bb.378:
	s_mov_b32 s0, 0x7f800000
	v_and_b32_e32 v0, 0x7f800000, v8
	v_cmp_ne_u32_e64 s[0:1], s0, v0
                                        ; implicit-def: $vgpr11
	s_and_saveexec_b64 s[6:7], s[0:1]
	s_xor_b64 s[0:1], exec, s[6:7]
; %bb.379:
	v_bfe_u32 v0, v8, 16, 1
	s_movk_i32 s6, 0x7fff
	v_add3_u32 v11, v8, v0, s6
; %bb.380:
	s_andn2_saveexec_b64 s[6:7], s[0:1]
; %bb.381:
	v_mov_b32_e32 v0, 0
	v_or_b32_e32 v1, 0x10000, v8
	v_cmp_eq_u32_sdwa s[0:1], v8, v0 src0_sel:WORD_0 src1_sel:DWORD
	v_cndmask_b32_e64 v11, v1, v8, s[0:1]
; %bb.382:
	s_or_b64 exec, exec, s[6:7]
	v_lshlrev_b32_e32 v8, 1, v10
	v_mov_b32_e32 v1, s3
	v_add_co_u32_e64 v0, s[0:1], s2, v8
	v_addc_co_u32_e64 v1, s[0:1], 0, v1, s[0:1]
	global_store_short_d16_hi v8, v11, s[2:3]
	s_mov_b32 s0, 0x7f800000
	v_and_b32_e32 v8, 0x7f800000, v9
	v_cmp_ne_u32_e64 s[0:1], s0, v8
                                        ; implicit-def: $vgpr8
	s_and_saveexec_b64 s[6:7], s[0:1]
	s_xor_b64 s[0:1], exec, s[6:7]
; %bb.383:
	v_bfe_u32 v8, v9, 16, 1
	s_movk_i32 s6, 0x7fff
	v_add3_u32 v8, v9, v8, s6
; %bb.384:
	s_andn2_saveexec_b64 s[6:7], s[0:1]
; %bb.385:
	v_mov_b32_e32 v8, 0
	v_or_b32_e32 v11, 0x10000, v9
	v_cmp_eq_u32_sdwa s[0:1], v9, v8 src0_sel:WORD_0 src1_sel:DWORD
	v_cndmask_b32_e64 v8, v11, v9, s[0:1]
; %bb.386:
	s_or_b64 exec, exec, s[6:7]
	global_store_short_d16_hi v[0:1], v8, off offset:32
	s_mov_b32 s0, 0x7f800000
	v_and_b32_e32 v8, 0x7f800000, v4
	v_cmp_ne_u32_e64 s[0:1], s0, v8
                                        ; implicit-def: $vgpr8
	s_and_saveexec_b64 s[6:7], s[0:1]
	s_xor_b64 s[0:1], exec, s[6:7]
; %bb.387:
	v_bfe_u32 v8, v4, 16, 1
	s_movk_i32 s6, 0x7fff
	v_add3_u32 v8, v4, v8, s6
; %bb.388:
	s_andn2_saveexec_b64 s[6:7], s[0:1]
; %bb.389:
	v_mov_b32_e32 v8, 0
	v_or_b32_e32 v9, 0x10000, v4
	v_cmp_eq_u32_sdwa s[0:1], v4, v8 src0_sel:WORD_0 src1_sel:DWORD
	v_cndmask_b32_e64 v8, v9, v4, s[0:1]
; %bb.390:
	s_or_b64 exec, exec, s[6:7]
	s_mov_b32 s0, 0x7f800000
	v_and_b32_e32 v4, 0x7f800000, v5
	v_cmp_ne_u32_e64 s[0:1], s0, v4
	global_store_short_d16_hi v[0:1], v8, off offset:64
                                        ; implicit-def: $vgpr4
	s_and_saveexec_b64 s[6:7], s[0:1]
	s_xor_b64 s[0:1], exec, s[6:7]
; %bb.391:
	v_bfe_u32 v4, v5, 16, 1
	s_movk_i32 s6, 0x7fff
	v_add3_u32 v4, v5, v4, s6
; %bb.392:
	s_andn2_saveexec_b64 s[6:7], s[0:1]
; %bb.393:
	v_mov_b32_e32 v4, 0
	v_or_b32_e32 v8, 0x10000, v5
	v_cmp_eq_u32_sdwa s[0:1], v5, v4 src0_sel:WORD_0 src1_sel:DWORD
	v_cndmask_b32_e64 v4, v8, v5, s[0:1]
; %bb.394:
	s_or_b64 exec, exec, s[6:7]
	global_store_short_d16_hi v[0:1], v4, off offset:96
	s_mov_b32 s0, 0x7f800000
	v_and_b32_e32 v4, 0x7f800000, v2
	v_cmp_ne_u32_e64 s[0:1], s0, v4
                                        ; implicit-def: $vgpr4
	s_and_saveexec_b64 s[6:7], s[0:1]
	s_xor_b64 s[0:1], exec, s[6:7]
; %bb.395:
	v_bfe_u32 v4, v2, 16, 1
	s_movk_i32 s6, 0x7fff
	v_add3_u32 v4, v2, v4, s6
; %bb.396:
	s_andn2_saveexec_b64 s[6:7], s[0:1]
; %bb.397:
	v_mov_b32_e32 v4, 0
	v_or_b32_e32 v5, 0x10000, v2
	v_cmp_eq_u32_sdwa s[0:1], v2, v4 src0_sel:WORD_0 src1_sel:DWORD
	v_cndmask_b32_e64 v4, v5, v2, s[0:1]
; %bb.398:
	s_or_b64 exec, exec, s[6:7]
	s_mov_b32 s0, 0x7f800000
	v_and_b32_e32 v2, 0x7f800000, v3
	v_cmp_ne_u32_e64 s[0:1], s0, v2
	global_store_short_d16_hi v[0:1], v4, off offset:128
                                        ; implicit-def: $vgpr2
	s_and_saveexec_b64 s[6:7], s[0:1]
	s_xor_b64 s[0:1], exec, s[6:7]
; %bb.399:
	v_bfe_u32 v2, v3, 16, 1
	s_movk_i32 s6, 0x7fff
	v_add3_u32 v2, v3, v2, s6
; %bb.400:
	s_andn2_saveexec_b64 s[6:7], s[0:1]
; %bb.401:
	v_mov_b32_e32 v2, 0
	v_or_b32_e32 v4, 0x10000, v3
	v_cmp_eq_u32_sdwa s[0:1], v3, v2 src0_sel:WORD_0 src1_sel:DWORD
	v_cndmask_b32_e64 v2, v4, v3, s[0:1]
; %bb.402:
	s_or_b64 exec, exec, s[6:7]
	global_store_short_d16_hi v[0:1], v2, off offset:160
	s_mov_b32 s0, 0x7f800000
	v_and_b32_e32 v2, 0x7f800000, v6
	v_cmp_ne_u32_e64 s[0:1], s0, v2
                                        ; implicit-def: $vgpr2
	s_and_saveexec_b64 s[6:7], s[0:1]
	s_xor_b64 s[0:1], exec, s[6:7]
; %bb.403:
	v_bfe_u32 v2, v6, 16, 1
	s_movk_i32 s6, 0x7fff
	v_add3_u32 v2, v6, v2, s6
; %bb.404:
	s_andn2_saveexec_b64 s[6:7], s[0:1]
; %bb.405:
	v_mov_b32_e32 v2, 0
	v_or_b32_e32 v3, 0x10000, v6
	v_cmp_eq_u32_sdwa s[0:1], v6, v2 src0_sel:WORD_0 src1_sel:DWORD
	v_cndmask_b32_e64 v2, v3, v6, s[0:1]
; %bb.406:
	s_or_b64 exec, exec, s[6:7]
	global_store_short_d16_hi v[0:1], v2, off offset:192
.LBB176_407:
	s_or_b64 exec, exec, s[4:5]
	v_or_b32_e32 v0, 0x70, v10
	s_movk_i32 s0, 0x78
	v_cmp_gt_u32_e64 s[0:1], s0, v0
	s_and_b64 s[0:1], vcc, s[0:1]
	s_and_b64 exec, exec, s[0:1]
	s_cbranch_execz .LBB176_413
; %bb.408:
	s_mov_b32 s0, 0x7f800000
	v_and_b32_e32 v0, 0x7f800000, v7
	v_cmp_ne_u32_e32 vcc, s0, v0
                                        ; implicit-def: $vgpr8
	s_and_saveexec_b64 s[0:1], vcc
	s_xor_b64 s[0:1], exec, s[0:1]
; %bb.409:
	v_bfe_u32 v0, v7, 16, 1
	s_movk_i32 s4, 0x7fff
	v_add3_u32 v8, v7, v0, s4
                                        ; implicit-def: $vgpr0_vgpr1_vgpr2_vgpr3_vgpr4_vgpr5_vgpr6_vgpr7
; %bb.410:
	s_andn2_saveexec_b64 s[0:1], s[0:1]
; %bb.411:
	v_mov_b32_e32 v0, 0
	v_or_b32_e32 v1, 0x10000, v7
	v_cmp_eq_u32_sdwa vcc, v7, v0 src0_sel:WORD_0 src1_sel:DWORD
	v_cndmask_b32_e32 v8, v1, v7, vcc
; %bb.412:
	s_or_b64 exec, exec, s[0:1]
	v_lshlrev_b32_e32 v0, 1, v10
	global_store_short_d16_hi v0, v8, s[2:3] offset:224
.LBB176_413:
	s_endpgm
.LBB176_414:
	v_mov_b32_e32 v0, 0x100
	v_lshl_add_u32 v0, v10, 2, v0
	ds_read_b32 v0, v0
	s_waitcnt lgkmcnt(0)
	v_add_f32_e32 v8, v8, v0
	s_or_b64 exec, exec, s[2:3]
	s_and_saveexec_b64 s[2:3], s[0:1]
	s_cbranch_execz .LBB176_367
.LBB176_415:
	v_mov_b32_e32 v0, 0x100
	v_lshl_add_u32 v0, v10, 2, v0
	ds_read_b32 v0, v0 offset:64
	s_waitcnt lgkmcnt(0)
	v_add_f32_e32 v9, v9, v0
	s_or_b64 exec, exec, s[2:3]
	s_and_saveexec_b64 s[2:3], s[0:1]
	s_cbranch_execz .LBB176_368
.LBB176_416:
	v_mov_b32_e32 v0, 0x100
	v_lshl_add_u32 v0, v10, 2, v0
	ds_read_b32 v0, v0 offset:128
	s_waitcnt lgkmcnt(0)
	v_add_f32_e32 v4, v4, v0
	s_or_b64 exec, exec, s[2:3]
	s_and_saveexec_b64 s[2:3], s[0:1]
	s_cbranch_execz .LBB176_369
.LBB176_417:
	v_mov_b32_e32 v0, 0x100
	v_lshl_add_u32 v0, v10, 2, v0
	ds_read_b32 v0, v0 offset:192
	s_waitcnt lgkmcnt(0)
	v_add_f32_e32 v5, v5, v0
	s_or_b64 exec, exec, s[2:3]
	s_and_saveexec_b64 s[2:3], s[0:1]
	s_cbranch_execz .LBB176_370
.LBB176_418:
	v_mov_b32_e32 v0, 0x100
	v_lshl_add_u32 v0, v10, 2, v0
	ds_read_b32 v0, v0 offset:256
	s_waitcnt lgkmcnt(0)
	v_add_f32_e32 v2, v2, v0
	s_or_b64 exec, exec, s[2:3]
	s_and_saveexec_b64 s[2:3], s[0:1]
	s_cbranch_execz .LBB176_371
.LBB176_419:
	v_mov_b32_e32 v0, 0x100
	v_lshl_add_u32 v0, v10, 2, v0
	ds_read_b32 v0, v0 offset:320
	s_waitcnt lgkmcnt(0)
	v_add_f32_e32 v3, v3, v0
	s_or_b64 exec, exec, s[2:3]
	s_and_saveexec_b64 s[2:3], s[0:1]
	s_cbranch_execnz .LBB176_372
	s_branch .LBB176_373
	.section	.rodata,"a",@progbits
	.p2align	6, 0x0
	.amdhsa_kernel _ZN4vllm25paged_attention_v2_kernelI14__hip_bfloat16S1_Li120ELi32ELi128ELNS_18Fp8KVCacheDataTypeE0ELb1ELi512EEEvPfS3_PT_PKS4_PKT0_SA_ifPKiSC_iPKfiiiSE_SE_iiiii
		.amdhsa_group_segment_fixed_size 256
		.amdhsa_private_segment_fixed_size 0
		.amdhsa_kernarg_size 400
		.amdhsa_user_sgpr_count 6
		.amdhsa_user_sgpr_private_segment_buffer 1
		.amdhsa_user_sgpr_dispatch_ptr 0
		.amdhsa_user_sgpr_queue_ptr 0
		.amdhsa_user_sgpr_kernarg_segment_ptr 1
		.amdhsa_user_sgpr_dispatch_id 0
		.amdhsa_user_sgpr_flat_scratch_init 0
		.amdhsa_user_sgpr_kernarg_preload_length 0
		.amdhsa_user_sgpr_kernarg_preload_offset 0
		.amdhsa_user_sgpr_private_segment_size 0
		.amdhsa_uses_dynamic_stack 0
		.amdhsa_system_sgpr_private_segment_wavefront_offset 0
		.amdhsa_system_sgpr_workgroup_id_x 1
		.amdhsa_system_sgpr_workgroup_id_y 1
		.amdhsa_system_sgpr_workgroup_id_z 1
		.amdhsa_system_sgpr_workgroup_info 0
		.amdhsa_system_vgpr_workitem_id 0
		.amdhsa_next_free_vgpr 128
		.amdhsa_next_free_sgpr 53
		.amdhsa_accum_offset 128
		.amdhsa_reserve_vcc 1
		.amdhsa_reserve_flat_scratch 0
		.amdhsa_float_round_mode_32 0
		.amdhsa_float_round_mode_16_64 0
		.amdhsa_float_denorm_mode_32 3
		.amdhsa_float_denorm_mode_16_64 3
		.amdhsa_dx10_clamp 1
		.amdhsa_ieee_mode 1
		.amdhsa_fp16_overflow 0
		.amdhsa_tg_split 0
		.amdhsa_exception_fp_ieee_invalid_op 0
		.amdhsa_exception_fp_denorm_src 0
		.amdhsa_exception_fp_ieee_div_zero 0
		.amdhsa_exception_fp_ieee_overflow 0
		.amdhsa_exception_fp_ieee_underflow 0
		.amdhsa_exception_fp_ieee_inexact 0
		.amdhsa_exception_int_div_zero 0
	.end_amdhsa_kernel
	.section	.text._ZN4vllm25paged_attention_v2_kernelI14__hip_bfloat16S1_Li120ELi32ELi128ELNS_18Fp8KVCacheDataTypeE0ELb1ELi512EEEvPfS3_PT_PKS4_PKT0_SA_ifPKiSC_iPKfiiiSE_SE_iiiii,"axG",@progbits,_ZN4vllm25paged_attention_v2_kernelI14__hip_bfloat16S1_Li120ELi32ELi128ELNS_18Fp8KVCacheDataTypeE0ELb1ELi512EEEvPfS3_PT_PKS4_PKT0_SA_ifPKiSC_iPKfiiiSE_SE_iiiii,comdat
.Lfunc_end176:
	.size	_ZN4vllm25paged_attention_v2_kernelI14__hip_bfloat16S1_Li120ELi32ELi128ELNS_18Fp8KVCacheDataTypeE0ELb1ELi512EEEvPfS3_PT_PKS4_PKT0_SA_ifPKiSC_iPKfiiiSE_SE_iiiii, .Lfunc_end176-_ZN4vllm25paged_attention_v2_kernelI14__hip_bfloat16S1_Li120ELi32ELi128ELNS_18Fp8KVCacheDataTypeE0ELb1ELi512EEEvPfS3_PT_PKS4_PKT0_SA_ifPKiSC_iPKfiiiSE_SE_iiiii
                                        ; -- End function
	.section	.AMDGPU.csdata,"",@progbits
; Kernel info:
; codeLenInByte = 15000
; NumSgprs: 57
; NumVgprs: 128
; NumAgprs: 0
; TotalNumVgprs: 128
; ScratchSize: 0
; MemoryBound: 0
; FloatMode: 240
; IeeeMode: 1
; LDSByteSize: 256 bytes/workgroup (compile time only)
; SGPRBlocks: 7
; VGPRBlocks: 15
; NumSGPRsForWavesPerEU: 57
; NumVGPRsForWavesPerEU: 128
; AccumOffset: 128
; Occupancy: 4
; WaveLimiterHint : 1
; COMPUTE_PGM_RSRC2:SCRATCH_EN: 0
; COMPUTE_PGM_RSRC2:USER_SGPR: 6
; COMPUTE_PGM_RSRC2:TRAP_HANDLER: 0
; COMPUTE_PGM_RSRC2:TGID_X_EN: 1
; COMPUTE_PGM_RSRC2:TGID_Y_EN: 1
; COMPUTE_PGM_RSRC2:TGID_Z_EN: 1
; COMPUTE_PGM_RSRC2:TIDIG_COMP_CNT: 0
; COMPUTE_PGM_RSRC3_GFX90A:ACCUM_OFFSET: 31
; COMPUTE_PGM_RSRC3_GFX90A:TG_SPLIT: 0
	.section	.text._ZN4vllm25paged_attention_v2_kernelI14__hip_bfloat16S1_Li128ELi32ELi128ELNS_18Fp8KVCacheDataTypeE0ELb1ELi512EEEvPfS3_PT_PKS4_PKT0_SA_ifPKiSC_iPKfiiiSE_SE_iiiii,"axG",@progbits,_ZN4vllm25paged_attention_v2_kernelI14__hip_bfloat16S1_Li128ELi32ELi128ELNS_18Fp8KVCacheDataTypeE0ELb1ELi512EEEvPfS3_PT_PKS4_PKT0_SA_ifPKiSC_iPKfiiiSE_SE_iiiii,comdat
	.protected	_ZN4vllm25paged_attention_v2_kernelI14__hip_bfloat16S1_Li128ELi32ELi128ELNS_18Fp8KVCacheDataTypeE0ELb1ELi512EEEvPfS3_PT_PKS4_PKT0_SA_ifPKiSC_iPKfiiiSE_SE_iiiii ; -- Begin function _ZN4vllm25paged_attention_v2_kernelI14__hip_bfloat16S1_Li128ELi32ELi128ELNS_18Fp8KVCacheDataTypeE0ELb1ELi512EEEvPfS3_PT_PKS4_PKT0_SA_ifPKiSC_iPKfiiiSE_SE_iiiii
	.globl	_ZN4vllm25paged_attention_v2_kernelI14__hip_bfloat16S1_Li128ELi32ELi128ELNS_18Fp8KVCacheDataTypeE0ELb1ELi512EEEvPfS3_PT_PKS4_PKT0_SA_ifPKiSC_iPKfiiiSE_SE_iiiii
	.p2align	8
	.type	_ZN4vllm25paged_attention_v2_kernelI14__hip_bfloat16S1_Li128ELi32ELi128ELNS_18Fp8KVCacheDataTypeE0ELb1ELi512EEEvPfS3_PT_PKS4_PKT0_SA_ifPKiSC_iPKfiiiSE_SE_iiiii,@function
_ZN4vllm25paged_attention_v2_kernelI14__hip_bfloat16S1_Li128ELi32ELi128ELNS_18Fp8KVCacheDataTypeE0ELb1ELi512EEEvPfS3_PT_PKS4_PKT0_SA_ifPKiSC_iPKfiiiSE_SE_iiiii: ; @_ZN4vllm25paged_attention_v2_kernelI14__hip_bfloat16S1_Li128ELi32ELi128ELNS_18Fp8KVCacheDataTypeE0ELb1ELi512EEEvPfS3_PT_PKS4_PKT0_SA_ifPKiSC_iPKfiiiSE_SE_iiiii
; %bb.0:
	s_load_dwordx2 s[0:1], s[4:5], 0x40
	s_mov_b32 s24, s7
	s_ashr_i32 s25, s7, 31
	s_lshl_b64 s[2:3], s[24:25], 2
	s_waitcnt lgkmcnt(0)
	s_add_u32 s0, s0, s2
	s_addc_u32 s1, s1, s3
	s_load_dword s33, s[0:1], 0x0
	s_lshl_b32 s9, s8, 9
	s_waitcnt lgkmcnt(0)
	s_cmp_ge_i32 s9, s33
	s_cbranch_scc1 .LBB177_405
; %bb.1:
	s_load_dword s25, s[4:5], 0x90
	s_load_dwordx2 s[38:39], s[4:5], 0x30
	s_mov_b32 s49, 0
	s_waitcnt lgkmcnt(0)
	s_abs_i32 s2, s25
	s_abs_i32 s0, s38
	v_cvt_f32_u32_e32 v1, s0
	s_sub_i32 s3, 0, s0
	s_xor_b32 s1, s25, s38
	s_ashr_i32 s1, s1, 31
	v_rcp_iflag_f32_e32 v1, v1
	v_mul_f32_e32 v1, 0x4f7ffffe, v1
	v_cvt_u32_f32_e32 v1, v1
	v_readfirstlane_b32 s7, v1
	s_mul_i32 s3, s3, s7
	s_mul_hi_u32 s3, s7, s3
	s_add_i32 s7, s7, s3
	s_mul_hi_u32 s3, s2, s7
	s_mul_i32 s7, s3, s0
	s_sub_i32 s2, s2, s7
	s_add_i32 s10, s3, 1
	s_sub_i32 s7, s2, s0
	s_cmp_ge_u32 s2, s0
	s_cselect_b32 s3, s10, s3
	s_cselect_b32 s2, s7, s2
	s_add_i32 s7, s3, 1
	s_cmp_ge_u32 s2, s0
	s_cselect_b32 s0, s7, s3
	s_xor_b32 s0, s0, s1
	s_sub_i32 s11, s0, s1
	s_abs_i32 s2, s11
	v_cvt_f32_u32_e32 v1, s2
	s_load_dwordx2 s[0:1], s[4:5], 0x50
	s_sub_i32 s7, 0, s2
	s_abs_i32 s3, s6
	v_rcp_iflag_f32_e32 v1, v1
	v_mul_f32_e32 v1, 0x4f7ffffe, v1
	v_cvt_u32_f32_e32 v1, v1
	v_readfirstlane_b32 s10, v1
	s_mul_i32 s7, s7, s10
	s_mul_hi_u32 s7, s10, s7
	s_add_i32 s10, s10, s7
	s_waitcnt lgkmcnt(0)
	s_cmp_eq_u64 s[0:1], 0
	s_mul_hi_u32 s10, s3, s10
	s_cbranch_scc1 .LBB177_3
; %bb.2:
	s_ashr_i32 s7, s6, 31
	s_lshl_b64 s[12:13], s[6:7], 2
	s_add_u32 s0, s0, s12
	s_addc_u32 s1, s1, s13
	s_load_dword s49, s[0:1], 0x0
.LBB177_3:
	s_load_dwordx4 s[12:15], s[4:5], 0x58
	s_ashr_i32 s7, s6, 31
	s_ashr_i32 s11, s11, 31
	v_and_b32_e32 v2, 1, v0
	s_lshl_b32 s26, s6, 7
	v_cmp_gt_u32_e32 vcc, 32, v0
	v_lshlrev_b32_e32 v32, 3, v0
	s_and_saveexec_b64 s[0:1], vcc
	s_cbranch_execz .LBB177_5
; %bb.4:
	s_load_dwordx2 s[16:17], s[4:5], 0x18
	s_waitcnt lgkmcnt(0)
	s_mul_i32 s18, s24, s12
	s_ashr_i32 s19, s18, 31
	s_lshl_b64 s[18:19], s[18:19], 1
	v_lshlrev_b32_e32 v1, 2, v0
	s_add_u32 s12, s16, s18
	s_addc_u32 s15, s17, s19
	s_ashr_i32 s27, s26, 31
	s_lshl_b64 s[16:17], s[26:27], 1
	s_add_u32 s16, s12, s16
	s_addc_u32 s17, s15, s17
	global_load_dwordx2 v[4:5], v32, s[16:17]
	v_and_b32_e32 v1, 0xff8, v1
	v_lshl_add_u32 v1, v2, 7, v1
	s_waitcnt vmcnt(0)
	ds_write_b64 v1, v[4:5]
.LBB177_5:
	s_or_b64 exec, exec, s[0:1]
	s_mul_i32 s1, s10, s2
	s_sub_i32 s1, s3, s1
	s_xor_b32 s0, s7, s11
	s_add_i32 s3, s10, 1
	s_sub_i32 s7, s1, s2
	s_load_dwordx4 s[16:19], s[4:5], 0x78
	s_cmp_ge_u32 s1, s2
	s_cselect_b32 s3, s3, s10
	s_load_dword s10, s[4:5], 0x88
	s_cselect_b32 s1, s7, s1
	s_add_i32 s7, s3, 1
	s_cmp_ge_u32 s1, s2
	s_cselect_b32 s1, s7, s3
	s_waitcnt lgkmcnt(0)
	s_abs_i32 s27, s19
	v_cvt_f32_u32_e32 v1, s27
	s_xor_b32 s1, s1, s0
	s_sub_i32 s2, s1, s0
	s_sub_i32 s0, 0, s27
	v_rcp_iflag_f32_e32 v1, v1
	s_add_i32 s11, s33, -1
	s_abs_i32 s3, s11
	v_mul_f32_e32 v1, 0x4f7ffffe, v1
	v_cvt_u32_f32_e32 v1, v1
	s_barrier
	v_readfirstlane_b32 s46, v1
	s_mul_i32 s0, s0, s46
	s_mul_hi_u32 s0, s46, s0
	s_add_i32 s46, s46, s0
	s_cmp_lt_i32 s10, 0
	s_mul_hi_u32 s7, s3, s46
	s_cbranch_scc0 .LBB177_7
; %bb.6:
	s_mul_i32 s0, s16, s38
	s_add_i32 s0, s2, s0
	s_mul_i32 s0, s0, s10
	s_sub_i32 s47, 1, s0
	s_mov_b64 s[0:1], 0
	s_branch .LBB177_8
.LBB177_7:
	s_mov_b64 s[0:1], -1
                                        ; implicit-def: $sgpr47
.LBB177_8:
	s_load_dwordx2 s[30:31], s[4:5], 0x38
	s_ashr_i32 s11, s11, 31
	s_andn2_b64 vcc, exec, s[0:1]
	s_ashr_i32 s19, s19, 31
	s_cbranch_vccnz .LBB177_10
; %bb.9:
	s_mul_i32 s0, s25, s16
	s_add_i32 s0, s0, s6
	s_mul_i32 s0, s0, s10
	s_add_i32 s47, s0, 1
.LBB177_10:
	s_load_dword s0, s[4:5], 0x48
	s_load_dwordx2 s[36:37], s[4:5], 0x28
	s_load_dword s12, s[4:5], 0x98
	s_load_dwordx4 s[20:23], s[4:5], 0x0
	s_load_dwordx2 s[28:29], s[4:5], 0x10
	s_mul_i32 s1, s7, s27
	s_waitcnt lgkmcnt(0)
	s_mul_i32 s34, s24, s0
	s_sub_i32 s1, s3, s1
	s_ashr_i32 s35, s34, 31
	s_xor_b32 s0, s11, s19
	s_add_i32 s3, s7, 1
	s_sub_i32 s10, s1, s27
	s_cmp_ge_u32 s1, s27
	s_cselect_b32 s3, s3, s7
	s_cselect_b32 s1, s10, s1
	s_add_i32 s7, s3, 1
	s_cmp_ge_u32 s1, s27
	s_cselect_b32 s1, s7, s3
	s_xor_b32 s1, s1, s0
	s_sub_i32 s48, s1, s0
	s_add_i32 s0, s33, 31
	s_ashr_i32 s1, s0, 31
	s_lshr_b32 s1, s1, 27
	s_add_i32 s0, s0, s1
	s_lshl_b32 s38, s8, 4
	s_ashr_i32 s7, s0, 5
	s_add_i32 s0, s38, 16
	v_lshrrev_b32_e32 v33, 6, v0
	s_min_i32 s16, s0, s7
	v_or_b32_e32 v10, s38, v33
	v_cmp_gt_i32_e64 s[0:1], s16, v10
	v_mov_b32_e32 v39, 0xff7fffff
	s_mul_i32 s14, s2, s14
	v_ashrrev_i32_e32 v11, 31, v10
	v_lshl_add_u32 v1, v33, 5, s9
	v_mbcnt_lo_u32_b32 v34, -1, 0
	s_and_saveexec_b64 s[40:41], s[0:1]
	s_cbranch_execz .LBB177_20
; %bb.11:
	s_load_dwordx2 s[2:3], s[4:5], 0x20
	s_ashr_i32 s15, s14, 31
	s_sub_i32 s50, s48, s17
	s_lshl_b64 s[4:5], s[14:15], 1
	v_bfe_u32 v35, v0, 1, 5
	s_waitcnt lgkmcnt(0)
	s_add_u32 s2, s2, s4
	s_addc_u32 s3, s3, s5
	s_abs_i32 s15, s18
	v_cvt_f32_u32_e32 v5, s15
	v_lshlrev_b32_e32 v3, 4, v35
	v_mov_b32_e32 v4, s3
	v_add_co_u32_e64 v3, s[2:3], s2, v3
	v_rcp_iflag_f32_e32 v5, v5
	v_addc_co_u32_e64 v4, s[2:3], 0, v4, s[2:3]
	v_and_b32_e32 v6, 8, v32
	v_add_co_u32_e64 v36, s[2:3], v3, v6
	v_mul_f32_e32 v3, 0x4f7ffffe, v5
	v_cvt_u32_f32_e32 v3, v3
	s_sub_i32 s4, 0, s15
	v_cmp_eq_u32_e32 vcc, 0, v2
	v_lshlrev_b32_e32 v38, 7, v2
	v_mul_lo_u32 v2, s4, v3
	s_lshl_b64 s[4:5], s[34:35], 2
	v_mul_hi_u32 v2, v3, v2
	s_add_u32 s4, s30, s4
	v_add_u32_e32 v40, v3, v2
	v_lshlrev_b64 v[2:3], 2, v[10:11]
	s_addc_u32 s5, s31, s5
	v_addc_co_u32_e64 v37, s[2:3], 0, v4, s[2:3]
	v_mov_b32_e32 v4, s5
	v_add_co_u32_e64 v12, s[4:5], s4, v2
	v_lshlrev_b32_e32 v2, 2, v35
	v_lshl_or_b32 v2, v33, 7, v2
	v_add_u32_e32 v42, 0x110, v2
	v_subrev_u32_e32 v2, s33, v35
	v_mbcnt_hi_u32_b32 v45, -1, v34
	v_add_u32_e32 v43, 1, v2
	v_and_b32_e32 v2, 64, v45
	s_mov_b32 s51, s13
	v_cmp_neq_f32_e64 s[2:3], s49, 0
	v_addc_co_u32_e64 v13, s[4:5], v4, v3, s[4:5]
	v_lshl_add_u32 v41, v33, 5, s9
	s_mov_b64 s[42:43], 0
	v_mov_b32_e32 v44, 0xff7fffff
	s_movk_i32 s52, 0x1000
	v_xor_b32_e32 v46, 1, v45
	v_add_u32_e32 v47, 64, v2
	v_mov_b32_e32 v39, 0xff7fffff
	v_mov_b32_e32 v48, v10
	s_branch .LBB177_14
.LBB177_12:                             ;   in Loop: Header=BB177_14 Depth=1
	s_or_b64 exec, exec, s[44:45]
.LBB177_13:                             ;   in Loop: Header=BB177_14 Depth=1
	s_or_b64 exec, exec, s[10:11]
	v_add_co_u32_e64 v12, s[4:5], 8, v12
	v_add_u32_e32 v48, 2, v48
	v_addc_co_u32_e64 v13, s[4:5], 0, v13, s[4:5]
	v_cmp_le_i32_e64 s[4:5], s16, v48
	v_add_u32_e32 v41, 64, v41
	s_or_b64 s[42:43], s[4:5], s[42:43]
	v_add_u32_e32 v42, 0x100, v42
	s_andn2_b64 exec, exec, s[42:43]
	s_cbranch_execz .LBB177_19
.LBB177_14:                             ; =>This Inner Loop Header: Depth=1
	s_waitcnt lgkmcnt(0)
	v_sub_u32_e32 v3, 0, v41
	v_max_i32_e32 v3, v41, v3
	v_mul_hi_u32 v4, v3, s46
	v_mul_lo_u32 v5, v4, s27
	v_sub_u32_e32 v3, v3, v5
	v_add_u32_e32 v5, 1, v4
	v_cmp_le_u32_e64 s[4:5], s27, v3
	v_cndmask_b32_e64 v4, v4, v5, s[4:5]
	v_subrev_u32_e32 v5, s27, v3
	v_cndmask_b32_e64 v3, v3, v5, s[4:5]
	v_ashrrev_i32_e32 v2, 31, v41
	v_add_u32_e32 v5, 1, v4
	v_cmp_le_u32_e64 s[4:5], s27, v3
	v_xor_b32_e32 v2, s19, v2
	v_cndmask_b32_e64 v3, v4, v5, s[4:5]
	v_xor_b32_e32 v3, v3, v2
	v_sub_u32_e32 v2, v3, v2
	v_add_u32_e32 v3, s47, v2
	v_sub_u32_e32 v5, 0, v3
	v_ashrrev_i32_e32 v4, 31, v3
	v_max_i32_e32 v3, v3, v5
	v_mul_hi_u32 v5, v3, v40
	v_mul_lo_u32 v5, v5, s15
	v_sub_u32_e32 v3, v3, v5
	v_subrev_u32_e32 v5, s15, v3
	v_cmp_le_u32_e64 s[4:5], s15, v3
	v_cndmask_b32_e64 v3, v3, v5, s[4:5]
	v_subrev_u32_e32 v5, s15, v3
	v_cmp_le_u32_e64 s[4:5], s15, v3
	v_cndmask_b32_e64 v3, v3, v5, s[4:5]
	v_xor_b32_e32 v3, v3, v4
	v_sub_u32_e32 v3, v3, v4
	v_cmp_ne_u32_e64 s[4:5], 0, v3
	v_cmp_ge_i32_e64 s[10:11], s50, v2
	s_and_b64 s[4:5], s[4:5], s[10:11]
	s_and_b64 s[44:45], vcc, s[4:5]
	s_and_saveexec_b64 s[10:11], s[44:45]
	s_cbranch_execz .LBB177_16
; %bb.15:                               ;   in Loop: Header=BB177_14 Depth=1
	ds_write_b32 v42, v44
.LBB177_16:                             ;   in Loop: Header=BB177_14 Depth=1
	s_or_b64 exec, exec, s[10:11]
	s_xor_b64 s[4:5], s[4:5], -1
	s_and_saveexec_b64 s[10:11], s[4:5]
	s_cbranch_execz .LBB177_13
; %bb.17:                               ;   in Loop: Header=BB177_14 Depth=1
	global_load_dword v30, v[12:13], off
	ds_read_b128 v[6:9], v38
	ds_read_b128 v[14:17], v38 offset:16
	ds_read_b128 v[18:21], v38 offset:32
	;; [unrolled: 1-line block ×5, first 2 shown]
	s_waitcnt lgkmcnt(5)
	v_lshlrev_b32_e32 v66, 16, v8
	v_lshlrev_b32_e32 v69, 16, v9
	v_and_b32_e32 v68, 0xffff0000, v8
	v_and_b32_e32 v86, 0xffff0000, v9
	s_waitcnt lgkmcnt(4)
	v_lshlrev_b32_e32 v73, 16, v14
	v_lshlrev_b32_e32 v78, 16, v15
	;; [unrolled: 1-line block ×4, first 2 shown]
	s_waitcnt lgkmcnt(3)
	v_lshlrev_b32_e32 v81, 16, v18
	v_lshlrev_b32_e32 v82, 16, v19
	v_and_b32_e32 v87, 0xffff0000, v14
	v_and_b32_e32 v88, 0xffff0000, v15
	;; [unrolled: 1-line block ×6, first 2 shown]
	v_lshlrev_b32_e32 v83, 16, v20
	v_and_b32_e32 v93, 0xffff0000, v20
	v_lshlrev_b32_e32 v70, 16, v7
	v_lshlrev_b32_e32 v4, 16, v21
	v_and_b32_e32 v85, 0xffff0000, v7
	v_and_b32_e32 v7, 0xffff0000, v21
	s_waitcnt lgkmcnt(1)
	v_lshlrev_b32_e32 v63, 16, v26
	v_lshlrev_b32_e32 v55, 16, v27
	s_waitcnt lgkmcnt(0)
	v_lshlrev_b32_e32 v52, 16, v74
	v_lshlrev_b32_e32 v51, 16, v75
	v_and_b32_e32 v84, 0xffff0000, v6
	v_and_b32_e32 v64, 0xffff0000, v26
	;; [unrolled: 1-line block ×5, first 2 shown]
	v_lshlrev_b32_e32 v31, 16, v6
	v_lshlrev_b32_e32 v3, 16, v22
	v_and_b32_e32 v6, 0xffff0000, v22
	v_lshlrev_b32_e32 v50, 16, v76
	v_lshlrev_b32_e32 v49, 16, v77
	v_and_b32_e32 v57, 0xffff0000, v76
	v_and_b32_e32 v56, 0xffff0000, v77
	v_lshlrev_b32_e32 v72, 16, v24
	v_lshlrev_b32_e32 v67, 16, v25
	v_and_b32_e32 v71, 0xffff0000, v24
	v_and_b32_e32 v65, 0xffff0000, v25
	v_lshlrev_b32_e32 v2, 16, v23
	v_and_b32_e32 v5, 0xffff0000, v23
	v_lshlrev_b32_e32 v54, 16, v28
	v_lshlrev_b32_e32 v53, 16, v29
	v_and_b32_e32 v61, 0xffff0000, v28
	v_and_b32_e32 v60, 0xffff0000, v29
	s_waitcnt vmcnt(0)
	v_mad_i64_i32 v[8:9], s[4:5], v30, s51, 0
	v_lshlrev_b64 v[8:9], 1, v[8:9]
	v_add_co_u32_e64 v8, s[4:5], v36, v8
	v_addc_co_u32_e64 v9, s[4:5], v37, v9, s[4:5]
	global_load_dwordx2 v[14:15], v[8:9], off offset:512
	global_load_dwordx2 v[16:17], v[8:9], off offset:1024
	;; [unrolled: 1-line block ×3, first 2 shown]
	v_add_co_u32_e64 v30, s[4:5], s52, v8
	global_load_dwordx2 v[74:75], v[8:9], off offset:2560
	global_load_dwordx2 v[26:27], v[8:9], off offset:3584
	;; [unrolled: 1-line block ×3, first 2 shown]
	s_waitcnt vmcnt(5)
	v_lshlrev_b32_e32 v20, 16, v14
	v_mul_f32_e32 v66, v66, v20
	global_load_dwordx2 v[20:21], v[8:9], off
	v_and_b32_e32 v14, 0xffff0000, v14
	v_mul_f32_e32 v68, v68, v14
	s_waitcnt vmcnt(0)
	v_and_b32_e32 v14, 0xffff0000, v20
	v_fmac_f32_e32 v68, v84, v14
	v_lshlrev_b32_e32 v14, 16, v15
	v_mul_f32_e32 v69, v69, v14
	v_lshlrev_b32_e32 v14, 16, v21
	v_and_b32_e32 v15, 0xffff0000, v15
	v_lshlrev_b32_e32 v22, 16, v20
	v_fmac_f32_e32 v69, v70, v14
	v_and_b32_e32 v14, 0xffff0000, v21
	v_mul_f32_e32 v70, v86, v15
	v_fmac_f32_e32 v66, v31, v22
	v_fmac_f32_e32 v70, v85, v14
	v_lshlrev_b32_e32 v14, 16, v16
	v_and_b32_e32 v15, 0xffff0000, v16
	v_fmac_f32_e32 v66, v73, v14
	v_fmac_f32_e32 v68, v87, v15
	global_load_dwordx2 v[14:15], v[8:9], off offset:2048
	v_addc_co_u32_e64 v31, s[4:5], 0, v9, s[4:5]
	v_lshlrev_b32_e32 v16, 16, v17
	global_load_dwordx2 v[24:25], v[30:31], off
	global_load_dwordx2 v[22:23], v[30:31], off offset:512
	v_lshlrev_b32_e32 v20, 16, v18
	v_lshlrev_b32_e32 v21, 16, v19
	v_fmac_f32_e32 v69, v78, v16
	v_and_b32_e32 v17, 0xffff0000, v17
	v_fmac_f32_e32 v66, v79, v20
	v_fmac_f32_e32 v69, v80, v21
	global_load_dwordx2 v[20:21], v[30:31], off offset:1024
	v_and_b32_e32 v18, 0xffff0000, v18
	v_and_b32_e32 v19, 0xffff0000, v19
	v_fmac_f32_e32 v70, v88, v17
	v_fmac_f32_e32 v68, v89, v18
	;; [unrolled: 1-line block ×3, first 2 shown]
	global_load_dwordx2 v[18:19], v[30:31], off offset:1536
	global_load_dwordx2 v[16:17], v[30:31], off offset:2048
	;; [unrolled: 1-line block ×3, first 2 shown]
	v_cmp_lt_i32_e64 s[4:5], v46, v47
	v_cndmask_b32_e64 v73, v45, v46, s[4:5]
	v_lshlrev_b32_e32 v73, 2, v73
	s_waitcnt vmcnt(6)
	v_lshlrev_b32_e32 v8, 16, v14
	v_and_b32_e32 v9, 0xffff0000, v14
	v_lshlrev_b32_e32 v14, 16, v15
	v_and_b32_e32 v15, 0xffff0000, v15
	v_fmac_f32_e32 v66, v81, v8
	v_lshlrev_b32_e32 v8, 16, v74
	v_fmac_f32_e32 v68, v91, v9
	v_fmac_f32_e32 v69, v82, v14
	v_fmac_f32_e32 v70, v92, v15
	global_load_dwordx2 v[14:15], v[30:31], off offset:2560
	v_fmac_f32_e32 v66, v83, v8
	v_and_b32_e32 v8, 0xffff0000, v74
	v_fmac_f32_e32 v68, v93, v8
	v_lshlrev_b32_e32 v8, 16, v75
	v_fmac_f32_e32 v69, v4, v8
	v_and_b32_e32 v4, 0xffff0000, v75
	v_lshlrev_b32_e32 v8, 16, v76
	v_fmac_f32_e32 v70, v7, v4
	v_and_b32_e32 v4, 0xffff0000, v76
	v_lshlrev_b32_e32 v7, 16, v77
	v_and_b32_e32 v9, 0xffff0000, v77
	v_fmac_f32_e32 v66, v3, v8
	v_fmac_f32_e32 v68, v6, v4
	;; [unrolled: 1-line block ×4, first 2 shown]
	ds_read_b128 v[2:5], v38 offset:96
	ds_read_b128 v[6:9], v38 offset:112
	global_load_dwordx2 v[30:31], v[30:31], off offset:3584
	v_lshlrev_b32_e32 v74, 16, v26
	v_and_b32_e32 v26, 0xffff0000, v26
	v_fmac_f32_e32 v68, v71, v26
	v_lshlrev_b32_e32 v71, 16, v27
	v_fmac_f32_e32 v69, v67, v71
	v_and_b32_e32 v27, 0xffff0000, v27
	s_waitcnt vmcnt(7)
	v_lshlrev_b32_e32 v67, 16, v24
	v_and_b32_e32 v24, 0xffff0000, v24
	v_fmac_f32_e32 v66, v72, v74
	v_fmac_f32_e32 v70, v65, v27
	v_lshlrev_b32_e32 v27, 16, v25
	s_waitcnt vmcnt(6)
	v_lshlrev_b32_e32 v65, 16, v22
	v_and_b32_e32 v22, 0xffff0000, v22
	v_fmac_f32_e32 v68, v64, v24
	v_fmac_f32_e32 v66, v63, v67
	v_lshlrev_b32_e32 v63, 16, v23
	s_waitcnt vmcnt(5)
	v_lshlrev_b32_e32 v67, 16, v20
	v_and_b32_e32 v20, 0xffff0000, v20
	v_fmac_f32_e32 v69, v55, v27
	v_fmac_f32_e32 v68, v61, v22
	v_and_b32_e32 v25, 0xffff0000, v25
	v_fmac_f32_e32 v69, v53, v63
	v_fmac_f32_e32 v68, v59, v20
	v_lshlrev_b32_e32 v20, 16, v21
	v_and_b32_e32 v23, 0xffff0000, v23
	v_fmac_f32_e32 v70, v62, v25
	v_fmac_f32_e32 v69, v51, v20
	s_waitcnt vmcnt(4)
	v_lshlrev_b32_e32 v20, 16, v18
	v_and_b32_e32 v18, 0xffff0000, v18
	v_fmac_f32_e32 v66, v54, v65
	v_fmac_f32_e32 v70, v60, v23
	v_and_b32_e32 v21, 0xffff0000, v21
	v_fmac_f32_e32 v68, v57, v18
	v_lshlrev_b32_e32 v18, 16, v19
	s_waitcnt lgkmcnt(1)
	v_lshlrev_b32_e32 v72, 16, v2
	v_and_b32_e32 v2, 0xffff0000, v2
	v_fmac_f32_e32 v66, v52, v67
	v_fmac_f32_e32 v70, v58, v21
	v_and_b32_e32 v19, 0xffff0000, v19
	v_fmac_f32_e32 v69, v49, v18
	s_waitcnt vmcnt(3)
	v_lshlrev_b32_e32 v18, 16, v16
	v_and_b32_e32 v16, 0xffff0000, v16
	v_lshlrev_b32_e32 v26, 16, v3
	v_and_b32_e32 v3, 0xffff0000, v3
	v_fmac_f32_e32 v66, v50, v20
	v_fmac_f32_e32 v70, v56, v19
	;; [unrolled: 1-line block ×3, first 2 shown]
	v_lshlrev_b32_e32 v2, 16, v17
	v_and_b32_e32 v16, 0xffff0000, v17
	v_fmac_f32_e32 v66, v72, v18
	v_fmac_f32_e32 v69, v26, v2
	;; [unrolled: 1-line block ×3, first 2 shown]
	v_lshlrev_b32_e32 v2, 16, v4
	v_and_b32_e32 v3, 0xffff0000, v4
	s_waitcnt vmcnt(1)
	v_lshlrev_b32_e32 v4, 16, v14
	v_and_b32_e32 v14, 0xffff0000, v14
	v_fmac_f32_e32 v66, v4, v2
	v_fmac_f32_e32 v68, v14, v3
	v_lshlrev_b32_e32 v2, 16, v5
	v_and_b32_e32 v3, 0xffff0000, v5
	v_lshlrev_b32_e32 v4, 16, v15
	v_and_b32_e32 v5, 0xffff0000, v15
	v_fmac_f32_e32 v69, v4, v2
	v_fmac_f32_e32 v70, v5, v3
	s_waitcnt lgkmcnt(0)
	v_lshlrev_b32_e32 v2, 16, v6
	v_and_b32_e32 v3, 0xffff0000, v6
	v_lshlrev_b32_e32 v4, 16, v28
	v_and_b32_e32 v5, 0xffff0000, v28
	v_fmac_f32_e32 v66, v4, v2
	v_fmac_f32_e32 v68, v5, v3
	v_lshlrev_b32_e32 v2, 16, v7
	v_and_b32_e32 v3, 0xffff0000, v7
	v_lshlrev_b32_e32 v4, 16, v29
	v_and_b32_e32 v5, 0xffff0000, v29
	v_fmac_f32_e32 v69, v4, v2
	v_fmac_f32_e32 v70, v5, v3
	v_lshlrev_b32_e32 v2, 16, v8
	v_and_b32_e32 v3, 0xffff0000, v8
	s_waitcnt vmcnt(0)
	v_lshlrev_b32_e32 v4, 16, v30
	v_and_b32_e32 v5, 0xffff0000, v30
	v_fmac_f32_e32 v66, v4, v2
	v_fmac_f32_e32 v68, v5, v3
	v_lshlrev_b32_e32 v2, 16, v9
	v_lshlrev_b32_e32 v4, 16, v31
	v_and_b32_e32 v3, 0xffff0000, v9
	v_and_b32_e32 v5, 0xffff0000, v31
	v_fmac_f32_e32 v69, v4, v2
	v_add_f32_e32 v2, v66, v68
	v_fmac_f32_e32 v70, v5, v3
	v_add_f32_e32 v2, v2, v69
	v_add_f32_e32 v2, v70, v2
	ds_bpermute_b32 v3, v73, v2
	s_and_saveexec_b64 s[44:45], vcc
	s_cbranch_execz .LBB177_12
; %bb.18:                               ;   in Loop: Header=BB177_14 Depth=1
	v_add_u32_e32 v4, v43, v41
	v_cvt_f32_i32_e32 v4, v4
	s_waitcnt lgkmcnt(0)
	v_add_f32_e32 v2, v2, v3
	v_add_u32_e32 v5, v35, v41
	v_cmp_gt_i32_e64 s[4:5], s33, v5
	v_mul_f32_e32 v3, s49, v4
	v_cndmask_b32_e64 v3, 0, v3, s[2:3]
	v_fmac_f32_e32 v3, s39, v2
	v_cndmask_b32_e64 v2, 0, v3, s[4:5]
	ds_write_b32 v42, v2
	v_max_f32_e32 v2, v39, v39
	v_max_f32_e32 v2, v2, v3
	v_cndmask_b32_e64 v39, v39, v2, s[4:5]
	s_branch .LBB177_12
.LBB177_19:
	s_or_b64 exec, exec, s[42:43]
.LBB177_20:
	s_or_b64 exec, exec, s[40:41]
	v_mbcnt_hi_u32_b32 v4, -1, v34
	v_and_b32_e32 v2, 64, v4
	v_add_u32_e32 v9, 64, v2
	v_xor_b32_e32 v2, 32, v4
	v_cmp_lt_i32_e32 vcc, v2, v9
	v_cndmask_b32_e32 v2, v4, v2, vcc
	v_lshlrev_b32_e32 v2, 2, v2
	s_waitcnt lgkmcnt(0)
	ds_bpermute_b32 v3, v2, v39
	v_xor_b32_e32 v6, 16, v4
	v_max_f32_e32 v5, v39, v39
	v_cmp_lt_i32_e32 vcc, v6, v9
	v_xor_b32_e32 v7, 8, v4
	s_waitcnt lgkmcnt(0)
	v_max_f32_e32 v3, v3, v3
	v_max_f32_e32 v5, v5, v3
	v_cndmask_b32_e32 v3, v4, v6, vcc
	v_lshlrev_b32_e32 v3, 2, v3
	ds_bpermute_b32 v6, v3, v5
	v_cmp_lt_i32_e32 vcc, v7, v9
	v_xor_b32_e32 v8, 4, v4
	v_xor_b32_e32 v12, 2, v4
	v_and_b32_e32 v22, 63, v0
	s_waitcnt lgkmcnt(0)
	v_max_f32_e32 v6, v6, v6
	v_max_f32_e32 v6, v5, v6
	v_cndmask_b32_e32 v5, v4, v7, vcc
	v_lshlrev_b32_e32 v5, 2, v5
	ds_bpermute_b32 v7, v5, v6
	v_cmp_lt_i32_e32 vcc, v8, v9
	s_waitcnt lgkmcnt(0)
	v_max_f32_e32 v7, v7, v7
	v_max_f32_e32 v7, v6, v7
	v_cndmask_b32_e32 v6, v4, v8, vcc
	v_lshlrev_b32_e32 v6, 2, v6
	ds_bpermute_b32 v8, v6, v7
	v_cmp_lt_i32_e32 vcc, v12, v9
	s_waitcnt lgkmcnt(0)
	v_max_f32_e32 v8, v8, v8
	v_max_f32_e32 v8, v7, v8
	v_cndmask_b32_e32 v7, v4, v12, vcc
	v_lshlrev_b32_e32 v23, 2, v7
	ds_bpermute_b32 v12, v23, v8
	v_cmp_eq_u32_e32 vcc, 0, v22
	v_lshlrev_b32_e32 v7, 2, v33
	s_and_saveexec_b64 s[2:3], vcc
	s_cbranch_execz .LBB177_22
; %bb.21:
	s_waitcnt lgkmcnt(0)
	v_max_f32_e32 v12, v12, v12
	v_max_f32_e32 v8, v8, v8
	;; [unrolled: 1-line block ×3, first 2 shown]
	ds_write_b32 v7, v8 offset:256
.LBB177_22:
	s_or_b64 exec, exec, s[2:3]
	v_cmp_gt_u32_e64 s[2:3], 2, v22
	s_waitcnt lgkmcnt(0)
	v_mov_b32_e32 v12, 0xff7fffff
	v_lshlrev_b32_e32 v8, 2, v22
	s_barrier
	s_and_saveexec_b64 s[4:5], s[2:3]
	s_cbranch_execz .LBB177_24
; %bb.23:
	ds_read_b32 v12, v8 offset:256
.LBB177_24:
	s_or_b64 exec, exec, s[4:5]
	v_xor_b32_e32 v13, 1, v4
	v_cmp_lt_i32_e64 s[4:5], v13, v9
	v_cndmask_b32_e64 v9, v4, v13, s[4:5]
	v_lshlrev_b32_e32 v24, 2, v9
	s_waitcnt lgkmcnt(0)
	ds_bpermute_b32 v9, v24, v12
	v_max_f32_e32 v12, v12, v12
	v_lshlrev_b32_e32 v4, 2, v4
	s_sub_i32 s4, s16, s38
	s_lshl_b32 s4, s4, 5
	s_waitcnt lgkmcnt(0)
	v_max_f32_e32 v9, v9, v9
	v_max_f32_e32 v12, v12, v9
	v_and_b32_e32 v9, 0x100, v4
	ds_bpermute_b32 v4, v9, v12
	s_add_i32 s4, s4, s9
	s_min_i32 s42, s4, s33
	s_sub_i32 s15, s42, s9
	v_cmp_gt_i32_e64 s[4:5], s15, v0
	v_mov_b32_e32 v12, 0
	s_and_saveexec_b64 s[38:39], s[4:5]
	s_cbranch_execz .LBB177_28
; %bb.25:
	v_mov_b32_e32 v12, 0x110
	v_lshl_add_u32 v13, v0, 2, v12
	s_mov_b64 s[40:41], 0
	v_mov_b32_e32 v12, 0
	v_mov_b32_e32 v14, v0
.LBB177_26:                             ; =>This Inner Loop Header: Depth=1
	ds_read_b32 v15, v13
	v_add_u32_e32 v14, 0x80, v14
	v_cmp_le_i32_e64 s[10:11], s15, v14
	s_or_b64 s[40:41], s[10:11], s[40:41]
	s_waitcnt lgkmcnt(0)
	v_sub_f32_e32 v15, v15, v4
	v_mul_f32_e32 v15, 0x3fb8aa3b, v15
	v_exp_f32_e32 v15, v15
	ds_write_b32 v13, v15
	v_add_f32_e32 v12, v12, v15
	v_add_u32_e32 v13, 0x200, v13
	s_andn2_b64 exec, exec, s[40:41]
	s_cbranch_execnz .LBB177_26
; %bb.27:
	s_or_b64 exec, exec, s[40:41]
.LBB177_28:
	s_or_b64 exec, exec, s[38:39]
	ds_bpermute_b32 v2, v2, v12
	s_waitcnt lgkmcnt(0)
	v_add_f32_e32 v2, v12, v2
	ds_bpermute_b32 v3, v3, v2
	s_waitcnt lgkmcnt(0)
	v_add_f32_e32 v2, v2, v3
	;; [unrolled: 3-line block ×6, first 2 shown]
	s_and_saveexec_b64 s[10:11], vcc
	s_cbranch_execz .LBB177_30
; %bb.29:
	ds_write_b32 v7, v2 offset:264
.LBB177_30:
	s_or_b64 exec, exec, s[10:11]
	s_waitcnt lgkmcnt(0)
	s_barrier
	s_and_saveexec_b64 s[10:11], s[2:3]
	s_cbranch_execz .LBB177_32
; %bb.31:
	ds_read_b32 v2, v8 offset:264
.LBB177_32:
	s_or_b64 exec, exec, s[10:11]
	s_waitcnt lgkmcnt(0)
	ds_bpermute_b32 v3, v24, v2
	s_waitcnt lgkmcnt(0)
	v_add_f32_e32 v2, v2, v3
	ds_bpermute_b32 v5, v9, v2
	s_and_saveexec_b64 s[2:3], s[4:5]
	s_cbranch_execz .LBB177_45
; %bb.33:
	s_waitcnt lgkmcnt(0)
	v_add_f32_e32 v2, 0x358637bd, v5
	v_div_scale_f32 v3, s[4:5], v2, v2, 1.0
	v_rcp_f32_e32 v6, v3
	v_div_scale_f32 v7, vcc, 1.0, v2, 1.0
	s_movk_i32 s4, 0x7f
	v_fma_f32 v8, -v3, v6, 1.0
	v_fmac_f32_e32 v6, v8, v6
	v_mul_f32_e32 v8, v7, v6
	v_fma_f32 v9, -v3, v8, v7
	v_fmac_f32_e32 v8, v9, v6
	v_fma_f32 v3, -v3, v8, v7
	v_div_fmas_f32 v3, v3, v6, v8
	v_div_fixup_f32 v2, v3, v2, 1.0
	v_xad_u32 v3, v0, -1, s42
	v_subrev_u32_e32 v6, s9, v3
	v_cmp_lt_u32_e32 vcc, s4, v6
	s_mov_b64 s[10:11], -1
	v_mov_b32_e32 v3, v0
	s_and_saveexec_b64 s[4:5], vcc
	s_cbranch_execz .LBB177_42
; %bb.34:
	v_lshrrev_b32_e32 v6, 7, v6
	v_add_u32_e32 v8, -1, v6
	v_lshrrev_b32_e32 v7, 1, v8
	v_mov_b32_e32 v3, v2
	v_add_u32_e32 v7, 1, v7
	v_cmp_lt_u32_e32 vcc, 13, v8
	v_mov_b32_e32 v12, 0
	s_and_saveexec_b64 s[10:11], vcc
	s_cbranch_execz .LBB177_38
; %bb.35:
	v_mov_b32_e32 v9, 0x110
	v_and_b32_e32 v8, -8, v7
	v_lshl_add_u32 v9, v0, 2, v9
	s_mov_b32 s9, 0
	s_mov_b64 s[38:39], 0
.LBB177_36:                             ; =>This Inner Loop Header: Depth=1
	ds_read2st64_b32 v[12:13], v9 offset1:2
	ds_read2st64_b32 v[14:15], v9 offset0:4 offset1:6
	ds_read2st64_b32 v[16:17], v9 offset0:8 offset1:10
	ds_read2st64_b32 v[18:19], v9 offset0:12 offset1:14
	v_add_u32_e32 v8, -8, v8
	s_waitcnt lgkmcnt(3)
	v_pk_mul_f32 v[12:13], v[2:3], v[12:13]
	s_waitcnt lgkmcnt(2)
	v_pk_mul_f32 v[14:15], v[2:3], v[14:15]
	ds_write2st64_b32 v9, v12, v13 offset1:2
	ds_write2st64_b32 v9, v14, v15 offset0:4 offset1:6
	ds_read2st64_b32 v[14:15], v9 offset0:16 offset1:18
	s_waitcnt lgkmcnt(4)
	v_pk_mul_f32 v[12:13], v[2:3], v[16:17]
	ds_write2st64_b32 v9, v12, v13 offset0:8 offset1:10
	s_waitcnt lgkmcnt(4)
	v_pk_mul_f32 v[12:13], v[2:3], v[18:19]
	ds_write2st64_b32 v9, v12, v13 offset0:12 offset1:14
	ds_read2st64_b32 v[12:13], v9 offset0:20 offset1:22
	s_waitcnt lgkmcnt(3)
	v_pk_mul_f32 v[14:15], v[2:3], v[14:15]
	ds_read2st64_b32 v[16:17], v9 offset0:24 offset1:26
	ds_write2st64_b32 v9, v14, v15 offset0:16 offset1:18
	ds_read2st64_b32 v[14:15], v9 offset0:28 offset1:30
	s_waitcnt lgkmcnt(3)
	v_pk_mul_f32 v[12:13], v[2:3], v[12:13]
	ds_write2st64_b32 v9, v12, v13 offset0:20 offset1:22
	s_waitcnt lgkmcnt(3)
	v_pk_mul_f32 v[12:13], v[2:3], v[16:17]
	ds_write2st64_b32 v9, v12, v13 offset0:24 offset1:26
	s_waitcnt lgkmcnt(2)
	v_pk_mul_f32 v[12:13], v[2:3], v[14:15]
	s_add_i32 s9, s9, 16
	v_cmp_eq_u32_e32 vcc, 0, v8
	ds_write2st64_b32 v9, v12, v13 offset0:28 offset1:30
	v_add_u32_e32 v9, 0x2000, v9
	s_or_b64 s[38:39], vcc, s[38:39]
	v_mov_b32_e32 v12, s9
	s_andn2_b64 exec, exec, s[38:39]
	s_cbranch_execnz .LBB177_36
; %bb.37:
	s_or_b64 exec, exec, s[38:39]
.LBB177_38:
	s_or_b64 exec, exec, s[10:11]
	v_and_b32_e32 v7, 7, v7
	v_cmp_ne_u32_e32 vcc, 0, v7
	s_and_saveexec_b64 s[10:11], vcc
	s_cbranch_execz .LBB177_41
; %bb.39:
	v_lshlrev_b32_e32 v8, 9, v12
	v_lshlrev_b32_e32 v9, 2, v0
	s_movk_i32 s9, 0x110
	v_add3_u32 v8, v8, v9, s9
	s_mov_b64 s[38:39], 0
.LBB177_40:                             ; =>This Inner Loop Header: Depth=1
	ds_read2st64_b32 v[12:13], v8 offset1:2
	v_add_u32_e32 v7, -1, v7
	v_cmp_eq_u32_e32 vcc, 0, v7
	s_or_b64 s[38:39], vcc, s[38:39]
	s_waitcnt lgkmcnt(0)
	v_pk_mul_f32 v[12:13], v[2:3], v[12:13]
	ds_write2st64_b32 v8, v12, v13 offset1:2
	v_add_u32_e32 v8, 0x400, v8
	s_andn2_b64 exec, exec, s[38:39]
	s_cbranch_execnz .LBB177_40
.LBB177_41:
	s_or_b64 exec, exec, s[10:11]
	v_add_u32_e32 v6, 1, v6
	v_and_b32_e32 v7, 0x3fffffe, v6
	v_cmp_ne_u32_e32 vcc, v6, v7
	v_lshl_add_u32 v3, v7, 7, v0
	s_orn2_b64 s[10:11], vcc, exec
.LBB177_42:
	s_or_b64 exec, exec, s[4:5]
	s_and_b64 exec, exec, s[10:11]
	s_cbranch_execz .LBB177_45
; %bb.43:
	v_mov_b32_e32 v6, 0x110
	v_lshl_add_u32 v6, v3, 2, v6
	s_mov_b64 s[4:5], 0
.LBB177_44:                             ; =>This Inner Loop Header: Depth=1
	ds_read_b32 v7, v6
	v_add_u32_e32 v3, 0x80, v3
	v_cmp_le_i32_e32 vcc, s15, v3
	s_or_b64 s[4:5], vcc, s[4:5]
	s_waitcnt lgkmcnt(0)
	v_mul_f32_e32 v7, v2, v7
	ds_write_b32 v6, v7
	v_add_u32_e32 v6, 0x200, v6
	s_andn2_b64 exec, exec, s[4:5]
	s_cbranch_execnz .LBB177_44
.LBB177_45:
	s_or_b64 exec, exec, s[2:3]
	v_cmp_eq_u32_e32 vcc, 0, v0
	s_waitcnt lgkmcnt(0)
	s_barrier
	s_and_saveexec_b64 s[2:3], vcc
	s_cbranch_execz .LBB177_47
; %bb.46:
	s_mul_i32 s4, s12, s24
	s_mul_i32 s4, s4, s25
	s_ashr_i32 s5, s4, 31
	s_lshl_b64 s[4:5], s[4:5], 2
	s_add_u32 s9, s22, s4
	s_mul_i32 s10, s12, s6
	s_addc_u32 s15, s23, s5
	s_ashr_i32 s11, s10, 31
	s_lshl_b64 s[10:11], s[10:11], 2
	s_add_u32 s6, s9, s10
	s_addc_u32 s15, s15, s11
	s_ashr_i32 s9, s8, 31
	s_lshl_b64 s[22:23], s[8:9], 2
	s_add_u32 s38, s6, s22
	s_addc_u32 s39, s15, s23
	s_add_u32 s4, s20, s4
	s_addc_u32 s5, s21, s5
	;; [unrolled: 2-line block ×3, first 2 shown]
	s_add_u32 s4, s4, s22
	v_mov_b32_e32 v2, 0
	s_addc_u32 s5, s5, s23
	global_store_dword v2, v4, s[38:39]
	global_store_dword v2, v5, s[4:5]
.LBB177_47:
	s_or_b64 exec, exec, s[2:3]
	v_mov_b32_e32 v13, 0
	v_and_b32_e32 v25, 3, v0
	v_mov_b32_e32 v12, 0
	v_mov_b32_e32 v15, 0
	v_mov_b32_e32 v14, 0
	v_mov_b32_e32 v17, 0
	v_mov_b32_e32 v16, 0
	v_mov_b32_e32 v19, 0
	v_mov_b32_e32 v18, 0
	s_and_saveexec_b64 s[2:3], s[0:1]
	s_cbranch_execz .LBB177_357
; %bb.48:
	s_ashr_i32 s15, s14, 31
	s_sub_i32 s9, s48, s17
	s_lshl_b64 s[0:1], s[14:15], 1
	s_add_u32 s14, s36, s0
	s_addc_u32 s15, s37, s1
	s_abs_i32 s17, s18
	v_cvt_f32_u32_e32 v3, s17
	s_sub_i32 s0, 0, s17
	s_add_i32 s18, s7, -1
	v_lshlrev_b64 v[14:15], 2, v[10:11]
	v_rcp_iflag_f32_e32 v3, v3
	v_and_b32_e32 v2, 0x1f8, v32
	v_or_b32_e32 v4, 0x800, v2
	v_or_b32_e32 v6, 0xa00, v2
	v_mul_f32_e32 v3, 0x4f7ffffe, v3
	v_cvt_u32_f32_e32 v3, v3
	v_or_b32_e32 v8, 0xc00, v2
	v_or_b32_e32 v12, 0xe00, v2
	v_and_b32_e32 v26, 24, v32
	v_mul_lo_u32 v5, s0, v3
	s_lshl_b64 s[0:1], s[34:35], 2
	s_add_u32 s0, s30, s0
	v_mul_hi_u32 v5, v3, v5
	s_addc_u32 s1, s31, s1
	v_add_u32_e32 v28, v3, v5
	v_mov_b32_e32 v3, s1
	v_add_co_u32_e32 v20, vcc, s0, v14
	v_addc_co_u32_e32 v21, vcc, v3, v15, vcc
	v_lshlrev_b32_e32 v3, 5, v25
	v_lshl_or_b32 v3, v33, 7, v3
	v_mov_b32_e32 v27, 0
	v_add_u32_e32 v11, 0x110, v3
	s_mov_b64 s[4:5], 0
	s_mov_b32 s20, 0x7f800000
	s_movk_i32 s21, 0x7fff
	v_lshlrev_b32_e32 v29, 1, v2
	v_lshlrev_b32_e32 v30, 1, v4
	;; [unrolled: 1-line block ×5, first 2 shown]
	v_mov_b32_e32 v18, 0
	v_mov_b32_e32 v19, 0
	;; [unrolled: 1-line block ×8, first 2 shown]
	s_branch .LBB177_51
.LBB177_49:                             ;   in Loop: Header=BB177_51 Depth=1
	s_or_b64 exec, exec, s[0:1]
	v_and_b32_e32 v51, 0xffff0000, v99
	v_and_b32_e32 v50, 0xffff0000, v97
	;; [unrolled: 1-line block ×8, first 2 shown]
	v_pk_add_f32 v[50:51], v[54:55], v[50:51]
	v_pk_add_f32 v[46:47], v[48:49], v[46:47]
	v_add_f32_e32 v45, v50, v51
	v_add_f32_e32 v45, v45, v46
	v_and_b32_e32 v51, 0xffff0000, v91
	v_and_b32_e32 v50, 0xffff0000, v89
	;; [unrolled: 1-line block ×4, first 2 shown]
	v_add_f32_e32 v45, v45, v47
	v_and_b32_e32 v47, 0xffff0000, v95
	v_and_b32_e32 v46, 0xffff0000, v93
	;; [unrolled: 1-line block ×4, first 2 shown]
	v_pk_add_f32 v[50:51], v[54:55], v[50:51]
	v_add_f32_e32 v12, v12, v45
	v_pk_add_f32 v[46:47], v[48:49], v[46:47]
	v_add_f32_e32 v45, v50, v51
	v_add_f32_e32 v45, v45, v46
	v_and_b32_e32 v51, 0xffff0000, v83
	v_and_b32_e32 v50, 0xffff0000, v81
	;; [unrolled: 1-line block ×4, first 2 shown]
	v_add_f32_e32 v45, v45, v47
	v_and_b32_e32 v47, 0xffff0000, v87
	v_and_b32_e32 v46, 0xffff0000, v85
	;; [unrolled: 1-line block ×4, first 2 shown]
	v_pk_add_f32 v[50:51], v[54:55], v[50:51]
	v_add_f32_e32 v15, v15, v45
	v_pk_add_f32 v[46:47], v[48:49], v[46:47]
	v_add_f32_e32 v45, v50, v51
	v_add_f32_e32 v45, v45, v46
	v_and_b32_e32 v51, 0xffff0000, v75
	v_and_b32_e32 v50, 0xffff0000, v7
	;; [unrolled: 1-line block ×4, first 2 shown]
	v_add_f32_e32 v45, v45, v47
	v_and_b32_e32 v47, 0xffff0000, v79
	v_and_b32_e32 v46, 0xffff0000, v77
	;; [unrolled: 1-line block ×4, first 2 shown]
	v_pk_add_f32 v[6:7], v[6:7], v[50:51]
	v_pk_add_f32 v[46:47], v[48:49], v[46:47]
	v_add_f32_e32 v6, v6, v7
	v_add_f32_e32 v6, v6, v46
	v_add_f32_e32 v6, v6, v47
	v_and_b32_e32 v49, 0xffff0000, v69
	v_and_b32_e32 v48, 0xffff0000, v67
	;; [unrolled: 1-line block ×4, first 2 shown]
	v_add_f32_e32 v17, v17, v6
	v_and_b32_e32 v7, 0xffff0000, v73
	v_and_b32_e32 v6, 0xffff0000, v71
	;; [unrolled: 1-line block ×4, first 2 shown]
	v_pk_add_f32 v[48:49], v[50:51], v[48:49]
	v_add_f32_e32 v14, v14, v45
	v_pk_add_f32 v[6:7], v[46:47], v[6:7]
	v_add_f32_e32 v45, v48, v49
	v_add_f32_e32 v6, v45, v6
	v_add_f32_e32 v6, v6, v7
	v_and_b32_e32 v49, 0xffff0000, v61
	v_and_b32_e32 v48, 0xffff0000, v52
	;; [unrolled: 1-line block ×4, first 2 shown]
	v_add_f32_e32 v16, v16, v6
	v_and_b32_e32 v7, 0xffff0000, v65
	v_and_b32_e32 v6, 0xffff0000, v63
	;; [unrolled: 1-line block ×4, first 2 shown]
	v_pk_add_f32 v[48:49], v[50:51], v[48:49]
	v_pk_add_f32 v[6:7], v[46:47], v[6:7]
	v_add_f32_e32 v41, v48, v49
	v_add_f32_e32 v6, v41, v6
	;; [unrolled: 1-line block ×4, first 2 shown]
	v_and_b32_e32 v7, 0xffff0000, v39
	v_and_b32_e32 v6, 0xffff0000, v37
	;; [unrolled: 1-line block ×8, first 2 shown]
	v_pk_add_f32 v[8:9], v[8:9], v[38:39]
	v_pk_add_f32 v[6:7], v[36:37], v[6:7]
	v_add_f32_e32 v8, v8, v9
	v_add_f32_e32 v6, v8, v6
	;; [unrolled: 1-line block ×3, first 2 shown]
	v_and_b32_e32 v9, 0xffff0000, v42
	v_and_b32_e32 v8, 0xffff0000, v40
	;; [unrolled: 1-line block ×4, first 2 shown]
	v_add_f32_e32 v18, v18, v6
	v_and_b32_e32 v7, 0xffff0000, v44
	v_and_b32_e32 v6, 0xffff0000, v43
	;; [unrolled: 1-line block ×4, first 2 shown]
	v_pk_add_f32 v[2:3], v[2:3], v[8:9]
	v_pk_add_f32 v[4:5], v[4:5], v[6:7]
	v_add_f32_e32 v2, v2, v3
	v_add_f32_e32 v2, v2, v4
	;; [unrolled: 1-line block ×4, first 2 shown]
.LBB177_50:                             ;   in Loop: Header=BB177_51 Depth=1
	s_or_b64 exec, exec, s[6:7]
	v_add_co_u32_e32 v20, vcc, 8, v20
	v_add_u32_e32 v10, 2, v10
	v_addc_co_u32_e32 v21, vcc, 0, v21, vcc
	v_cmp_le_i32_e32 vcc, s16, v10
	v_add_u32_e32 v1, 64, v1
	s_or_b64 s[4:5], vcc, s[4:5]
	v_add_u32_e32 v11, 0x100, v11
	s_andn2_b64 exec, exec, s[4:5]
	s_cbranch_execz .LBB177_356
.LBB177_51:                             ; =>This Inner Loop Header: Depth=1
	v_sub_u32_e32 v3, 0, v1
	v_max_i32_e32 v3, v1, v3
	v_mul_hi_u32 v4, v3, s46
	v_mul_lo_u32 v5, v4, s27
	v_sub_u32_e32 v3, v3, v5
	v_add_u32_e32 v5, 1, v4
	v_cmp_le_u32_e32 vcc, s27, v3
	v_cndmask_b32_e32 v4, v4, v5, vcc
	v_subrev_u32_e32 v5, s27, v3
	v_cndmask_b32_e32 v3, v3, v5, vcc
	v_ashrrev_i32_e32 v2, 31, v1
	v_add_u32_e32 v5, 1, v4
	v_cmp_le_u32_e32 vcc, s27, v3
	v_xor_b32_e32 v2, s19, v2
	v_cndmask_b32_e32 v3, v4, v5, vcc
	v_xor_b32_e32 v3, v3, v2
	v_sub_u32_e32 v2, v3, v2
	v_add_u32_e32 v3, s47, v2
	v_sub_u32_e32 v5, 0, v3
	v_ashrrev_i32_e32 v4, 31, v3
	v_max_i32_e32 v3, v3, v5
	v_mul_hi_u32 v5, v3, v28
	v_mul_lo_u32 v5, v5, s17
	v_sub_u32_e32 v3, v3, v5
	v_subrev_u32_e32 v5, s17, v3
	v_cmp_le_u32_e32 vcc, s17, v3
	v_cndmask_b32_e32 v3, v3, v5, vcc
	v_subrev_u32_e32 v5, s17, v3
	v_cmp_le_u32_e32 vcc, s17, v3
	v_cndmask_b32_e32 v3, v3, v5, vcc
	v_xor_b32_e32 v3, v3, v4
	v_sub_u32_e32 v3, v3, v4
	v_cmp_eq_u32_e32 vcc, 0, v3
	v_cmp_lt_i32_e64 s[0:1], s9, v2
	s_or_b64 s[0:1], vcc, s[0:1]
	s_and_saveexec_b64 s[6:7], s[0:1]
	s_cbranch_execz .LBB177_50
; %bb.52:                               ;   in Loop: Header=BB177_51 Depth=1
	global_load_dword v40, v[20:21], off
	ds_read2_b64 v[6:9], v11 offset1:1
	ds_read2_b64 v[2:5], v11 offset0:2 offset1:3
                                        ; implicit-def: $vgpr51
	s_waitcnt lgkmcnt(1)
	v_and_b32_e32 v34, 0x7f800000, v6
	v_cmp_ne_u32_e32 vcc, s20, v34
	s_and_saveexec_b64 s[0:1], vcc
	s_xor_b64 s[0:1], exec, s[0:1]
; %bb.53:                               ;   in Loop: Header=BB177_51 Depth=1
	v_bfe_u32 v34, v6, 16, 1
	v_add3_u32 v51, v6, v34, s21
; %bb.54:                               ;   in Loop: Header=BB177_51 Depth=1
	s_andn2_saveexec_b64 s[0:1], s[0:1]
; %bb.55:                               ;   in Loop: Header=BB177_51 Depth=1
	v_or_b32_e32 v34, 0x10000, v6
	v_cmp_eq_u32_sdwa vcc, v6, v27 src0_sel:WORD_0 src1_sel:DWORD
	v_cndmask_b32_e32 v51, v34, v6, vcc
; %bb.56:                               ;   in Loop: Header=BB177_51 Depth=1
	s_or_b64 exec, exec, s[0:1]
	v_and_b32_e32 v6, 0x7f800000, v7
	v_cmp_ne_u32_e32 vcc, s20, v6
                                        ; implicit-def: $vgpr41
	s_and_saveexec_b64 s[0:1], vcc
	s_xor_b64 s[0:1], exec, s[0:1]
; %bb.57:                               ;   in Loop: Header=BB177_51 Depth=1
	v_bfe_u32 v6, v7, 16, 1
	v_add3_u32 v41, v7, v6, s21
; %bb.58:                               ;   in Loop: Header=BB177_51 Depth=1
	s_andn2_saveexec_b64 s[0:1], s[0:1]
; %bb.59:                               ;   in Loop: Header=BB177_51 Depth=1
	v_or_b32_e32 v6, 0x10000, v7
	v_cmp_eq_u32_sdwa vcc, v7, v27 src0_sel:WORD_0 src1_sel:DWORD
	v_cndmask_b32_e32 v41, v6, v7, vcc
; %bb.60:                               ;   in Loop: Header=BB177_51 Depth=1
	s_or_b64 exec, exec, s[0:1]
	v_and_b32_e32 v6, 0x7f800000, v8
	v_cmp_ne_u32_e32 vcc, s20, v6
                                        ; implicit-def: $vgpr34
	s_and_saveexec_b64 s[0:1], vcc
	s_xor_b64 s[0:1], exec, s[0:1]
; %bb.61:                               ;   in Loop: Header=BB177_51 Depth=1
	v_bfe_u32 v6, v8, 16, 1
	v_add3_u32 v34, v8, v6, s21
; %bb.62:                               ;   in Loop: Header=BB177_51 Depth=1
	s_andn2_saveexec_b64 s[0:1], s[0:1]
; %bb.63:                               ;   in Loop: Header=BB177_51 Depth=1
	v_or_b32_e32 v6, 0x10000, v8
	v_cmp_eq_u32_sdwa vcc, v8, v27 src0_sel:WORD_0 src1_sel:DWORD
	v_cndmask_b32_e32 v34, v6, v8, vcc
; %bb.64:                               ;   in Loop: Header=BB177_51 Depth=1
	s_or_b64 exec, exec, s[0:1]
	v_and_b32_e32 v6, 0x7f800000, v9
	v_cmp_ne_u32_e32 vcc, s20, v6
                                        ; implicit-def: $vgpr35
	s_and_saveexec_b64 s[0:1], vcc
	s_xor_b64 s[0:1], exec, s[0:1]
; %bb.65:                               ;   in Loop: Header=BB177_51 Depth=1
	v_bfe_u32 v6, v9, 16, 1
	v_add3_u32 v35, v9, v6, s21
                                        ; implicit-def: $vgpr6_vgpr7_vgpr8_vgpr9
; %bb.66:                               ;   in Loop: Header=BB177_51 Depth=1
	s_andn2_saveexec_b64 s[0:1], s[0:1]
; %bb.67:                               ;   in Loop: Header=BB177_51 Depth=1
	v_or_b32_e32 v6, 0x10000, v9
	v_cmp_eq_u32_sdwa vcc, v9, v27 src0_sel:WORD_0 src1_sel:DWORD
	v_cndmask_b32_e32 v35, v6, v9, vcc
; %bb.68:                               ;   in Loop: Header=BB177_51 Depth=1
	s_or_b64 exec, exec, s[0:1]
	s_waitcnt lgkmcnt(0)
	v_and_b32_e32 v6, 0x7f800000, v2
	v_cmp_ne_u32_e32 vcc, s20, v6
                                        ; implicit-def: $vgpr36
	s_and_saveexec_b64 s[0:1], vcc
	s_xor_b64 s[0:1], exec, s[0:1]
; %bb.69:                               ;   in Loop: Header=BB177_51 Depth=1
	v_bfe_u32 v6, v2, 16, 1
	v_add3_u32 v36, v2, v6, s21
; %bb.70:                               ;   in Loop: Header=BB177_51 Depth=1
	s_andn2_saveexec_b64 s[0:1], s[0:1]
; %bb.71:                               ;   in Loop: Header=BB177_51 Depth=1
	v_or_b32_e32 v6, 0x10000, v2
	v_cmp_eq_u32_sdwa vcc, v2, v27 src0_sel:WORD_0 src1_sel:DWORD
	v_cndmask_b32_e32 v36, v6, v2, vcc
; %bb.72:                               ;   in Loop: Header=BB177_51 Depth=1
	s_or_b64 exec, exec, s[0:1]
	v_and_b32_e32 v2, 0x7f800000, v3
	v_cmp_ne_u32_e32 vcc, s20, v2
                                        ; implicit-def: $vgpr37
	s_and_saveexec_b64 s[0:1], vcc
	s_xor_b64 s[0:1], exec, s[0:1]
; %bb.73:                               ;   in Loop: Header=BB177_51 Depth=1
	v_bfe_u32 v2, v3, 16, 1
	v_add3_u32 v37, v3, v2, s21
; %bb.74:                               ;   in Loop: Header=BB177_51 Depth=1
	s_andn2_saveexec_b64 s[0:1], s[0:1]
; %bb.75:                               ;   in Loop: Header=BB177_51 Depth=1
	v_or_b32_e32 v2, 0x10000, v3
	v_cmp_eq_u32_sdwa vcc, v3, v27 src0_sel:WORD_0 src1_sel:DWORD
	v_cndmask_b32_e32 v37, v2, v3, vcc
; %bb.76:                               ;   in Loop: Header=BB177_51 Depth=1
	s_or_b64 exec, exec, s[0:1]
	v_and_b32_e32 v2, 0x7f800000, v4
	v_cmp_ne_u32_e32 vcc, s20, v2
                                        ; implicit-def: $vgpr38
	s_and_saveexec_b64 s[0:1], vcc
	s_xor_b64 s[0:1], exec, s[0:1]
; %bb.77:                               ;   in Loop: Header=BB177_51 Depth=1
	v_bfe_u32 v2, v4, 16, 1
	v_add3_u32 v38, v4, v2, s21
; %bb.78:                               ;   in Loop: Header=BB177_51 Depth=1
	s_andn2_saveexec_b64 s[0:1], s[0:1]
; %bb.79:                               ;   in Loop: Header=BB177_51 Depth=1
	v_or_b32_e32 v2, 0x10000, v4
	v_cmp_eq_u32_sdwa vcc, v4, v27 src0_sel:WORD_0 src1_sel:DWORD
	v_cndmask_b32_e32 v38, v2, v4, vcc
; %bb.80:                               ;   in Loop: Header=BB177_51 Depth=1
	s_or_b64 exec, exec, s[0:1]
	v_and_b32_e32 v2, 0x7f800000, v5
	v_cmp_ne_u32_e32 vcc, s20, v2
                                        ; implicit-def: $vgpr39
	s_and_saveexec_b64 s[0:1], vcc
	s_xor_b64 s[0:1], exec, s[0:1]
; %bb.81:                               ;   in Loop: Header=BB177_51 Depth=1
	v_bfe_u32 v2, v5, 16, 1
	v_add3_u32 v39, v5, v2, s21
                                        ; implicit-def: $vgpr2_vgpr3_vgpr4_vgpr5
; %bb.82:                               ;   in Loop: Header=BB177_51 Depth=1
	s_andn2_saveexec_b64 s[0:1], s[0:1]
; %bb.83:                               ;   in Loop: Header=BB177_51 Depth=1
	v_or_b32_e32 v2, 0x10000, v5
	v_cmp_eq_u32_sdwa vcc, v5, v27 src0_sel:WORD_0 src1_sel:DWORD
	v_cndmask_b32_e32 v39, v2, v5, vcc
; %bb.84:                               ;   in Loop: Header=BB177_51 Depth=1
	s_or_b64 exec, exec, s[0:1]
	s_waitcnt vmcnt(0)
	v_mad_i64_i32 v[2:3], s[0:1], v40, s13, 0
	v_lshlrev_b64 v[2:3], 1, v[2:3]
	v_mov_b32_e32 v4, s15
	v_add_co_u32_e32 v49, vcc, s14, v2
	v_addc_co_u32_e32 v50, vcc, v4, v3, vcc
	v_add_co_u32_e32 v6, vcc, v49, v29
	v_addc_co_u32_e32 v7, vcc, 0, v50, vcc
	global_load_dwordx4 v[2:5], v[6:7], off
	v_add_u32_e32 v40, v26, v1
	v_cmp_eq_u32_e32 vcc, s18, v10
	v_add_u32_e32 v48, 1, v40
	v_add_u32_e32 v47, 2, v40
	;; [unrolled: 1-line block ×7, first 2 shown]
	s_waitcnt vmcnt(0)
	v_lshrrev_b32_e32 v9, 16, v2
	v_lshrrev_b32_e32 v56, 16, v3
	;; [unrolled: 1-line block ×4, first 2 shown]
	s_and_saveexec_b64 s[10:11], vcc
	s_cbranch_execz .LBB177_86
; %bb.85:                               ;   in Loop: Header=BB177_51 Depth=1
	v_cmp_gt_i32_e64 s[0:1], s33, v40
	v_cndmask_b32_e64 v2, 0, v2, s[0:1]
	v_cmp_gt_i32_e64 s[0:1], s33, v48
	v_cndmask_b32_e64 v9, 0, v9, s[0:1]
	;; [unrolled: 2-line block ×8, first 2 shown]
.LBB177_86:                             ;   in Loop: Header=BB177_51 Depth=1
	s_or_b64 exec, exec, s[10:11]
	v_and_b32_e32 v51, 0xffff0000, v51
	v_lshlrev_b32_e32 v2, 16, v2
	v_mul_f32_e32 v2, v51, v2
	v_and_b32_e32 v8, 0x7f800000, v2
	v_cmp_ne_u32_e64 s[0:1], s20, v8
                                        ; implicit-def: $vgpr8
	s_and_saveexec_b64 s[10:11], s[0:1]
	s_xor_b64 s[0:1], exec, s[10:11]
; %bb.87:                               ;   in Loop: Header=BB177_51 Depth=1
	v_bfe_u32 v8, v2, 16, 1
	v_add3_u32 v8, v2, v8, s21
                                        ; implicit-def: $vgpr2
; %bb.88:                               ;   in Loop: Header=BB177_51 Depth=1
	s_andn2_saveexec_b64 s[10:11], s[0:1]
; %bb.89:                               ;   in Loop: Header=BB177_51 Depth=1
	v_or_b32_e32 v8, 0x10000, v2
	v_cmp_eq_u32_sdwa s[0:1], v2, v27 src0_sel:WORD_0 src1_sel:DWORD
	v_cndmask_b32_e64 v8, v8, v2, s[0:1]
; %bb.90:                               ;   in Loop: Header=BB177_51 Depth=1
	s_or_b64 exec, exec, s[10:11]
	v_and_b32_e32 v53, 0xffff0000, v41
	v_lshlrev_b32_e32 v2, 16, v9
	v_mul_f32_e32 v2, v53, v2
	v_and_b32_e32 v9, 0x7f800000, v2
	v_cmp_ne_u32_e64 s[0:1], s20, v9
                                        ; implicit-def: $vgpr9
	s_and_saveexec_b64 s[10:11], s[0:1]
	s_xor_b64 s[0:1], exec, s[10:11]
; %bb.91:                               ;   in Loop: Header=BB177_51 Depth=1
	v_bfe_u32 v9, v2, 16, 1
	v_add3_u32 v9, v2, v9, s21
                                        ; implicit-def: $vgpr2
; %bb.92:                               ;   in Loop: Header=BB177_51 Depth=1
	s_andn2_saveexec_b64 s[10:11], s[0:1]
; %bb.93:                               ;   in Loop: Header=BB177_51 Depth=1
	v_or_b32_e32 v9, 0x10000, v2
	v_cmp_eq_u32_sdwa s[0:1], v2, v27 src0_sel:WORD_0 src1_sel:DWORD
	v_cndmask_b32_e64 v9, v9, v2, s[0:1]
; %bb.94:                               ;   in Loop: Header=BB177_51 Depth=1
	s_or_b64 exec, exec, s[10:11]
	v_and_b32_e32 v54, 0xffff0000, v34
	v_lshlrev_b32_e32 v2, 16, v3
	v_mul_f32_e32 v2, v54, v2
	v_and_b32_e32 v3, 0x7f800000, v2
	v_cmp_ne_u32_e64 s[0:1], s20, v3
                                        ; implicit-def: $vgpr34
	s_and_saveexec_b64 s[10:11], s[0:1]
	s_xor_b64 s[0:1], exec, s[10:11]
; %bb.95:                               ;   in Loop: Header=BB177_51 Depth=1
	v_bfe_u32 v3, v2, 16, 1
	v_add3_u32 v34, v2, v3, s21
                                        ; implicit-def: $vgpr2
; %bb.96:                               ;   in Loop: Header=BB177_51 Depth=1
	s_andn2_saveexec_b64 s[10:11], s[0:1]
; %bb.97:                               ;   in Loop: Header=BB177_51 Depth=1
	v_or_b32_e32 v3, 0x10000, v2
	v_cmp_eq_u32_sdwa s[0:1], v2, v27 src0_sel:WORD_0 src1_sel:DWORD
	v_cndmask_b32_e64 v34, v3, v2, s[0:1]
; %bb.98:                               ;   in Loop: Header=BB177_51 Depth=1
	s_or_b64 exec, exec, s[10:11]
	v_and_b32_e32 v55, 0xffff0000, v35
	v_lshlrev_b32_e32 v2, 16, v56
	v_mul_f32_e32 v2, v55, v2
	v_and_b32_e32 v3, 0x7f800000, v2
	v_cmp_ne_u32_e64 s[0:1], s20, v3
                                        ; implicit-def: $vgpr35
	s_and_saveexec_b64 s[10:11], s[0:1]
	s_xor_b64 s[0:1], exec, s[10:11]
; %bb.99:                               ;   in Loop: Header=BB177_51 Depth=1
	v_bfe_u32 v3, v2, 16, 1
	v_add3_u32 v35, v2, v3, s21
                                        ; implicit-def: $vgpr2
; %bb.100:                              ;   in Loop: Header=BB177_51 Depth=1
	s_andn2_saveexec_b64 s[10:11], s[0:1]
; %bb.101:                              ;   in Loop: Header=BB177_51 Depth=1
	v_or_b32_e32 v3, 0x10000, v2
	v_cmp_eq_u32_sdwa s[0:1], v2, v27 src0_sel:WORD_0 src1_sel:DWORD
	v_cndmask_b32_e64 v35, v3, v2, s[0:1]
; %bb.102:                              ;   in Loop: Header=BB177_51 Depth=1
	s_or_b64 exec, exec, s[10:11]
	v_and_b32_e32 v56, 0xffff0000, v36
	v_lshlrev_b32_e32 v2, 16, v4
	v_mul_f32_e32 v2, v56, v2
	v_and_b32_e32 v3, 0x7f800000, v2
	v_cmp_ne_u32_e64 s[0:1], s20, v3
                                        ; implicit-def: $vgpr36
	s_and_saveexec_b64 s[10:11], s[0:1]
	s_xor_b64 s[0:1], exec, s[10:11]
; %bb.103:                              ;   in Loop: Header=BB177_51 Depth=1
	v_bfe_u32 v3, v2, 16, 1
	v_add3_u32 v36, v2, v3, s21
                                        ; implicit-def: $vgpr2
; %bb.104:                              ;   in Loop: Header=BB177_51 Depth=1
	s_andn2_saveexec_b64 s[10:11], s[0:1]
; %bb.105:                              ;   in Loop: Header=BB177_51 Depth=1
	v_or_b32_e32 v3, 0x10000, v2
	v_cmp_eq_u32_sdwa s[0:1], v2, v27 src0_sel:WORD_0 src1_sel:DWORD
	v_cndmask_b32_e64 v36, v3, v2, s[0:1]
; %bb.106:                              ;   in Loop: Header=BB177_51 Depth=1
	s_or_b64 exec, exec, s[10:11]
	v_and_b32_e32 v57, 0xffff0000, v37
	v_lshlrev_b32_e32 v2, 16, v58
	v_mul_f32_e32 v2, v57, v2
	v_and_b32_e32 v3, 0x7f800000, v2
	v_cmp_ne_u32_e64 s[0:1], s20, v3
                                        ; implicit-def: $vgpr37
	s_and_saveexec_b64 s[10:11], s[0:1]
	s_xor_b64 s[0:1], exec, s[10:11]
; %bb.107:                              ;   in Loop: Header=BB177_51 Depth=1
	v_bfe_u32 v3, v2, 16, 1
	v_add3_u32 v37, v2, v3, s21
                                        ; implicit-def: $vgpr2
; %bb.108:                              ;   in Loop: Header=BB177_51 Depth=1
	s_andn2_saveexec_b64 s[10:11], s[0:1]
; %bb.109:                              ;   in Loop: Header=BB177_51 Depth=1
	v_or_b32_e32 v3, 0x10000, v2
	v_cmp_eq_u32_sdwa s[0:1], v2, v27 src0_sel:WORD_0 src1_sel:DWORD
	v_cndmask_b32_e64 v37, v3, v2, s[0:1]
; %bb.110:                              ;   in Loop: Header=BB177_51 Depth=1
	s_or_b64 exec, exec, s[10:11]
	v_and_b32_e32 v58, 0xffff0000, v38
	v_lshlrev_b32_e32 v2, 16, v5
	v_mul_f32_e32 v2, v58, v2
	v_and_b32_e32 v3, 0x7f800000, v2
	v_cmp_ne_u32_e64 s[0:1], s20, v3
                                        ; implicit-def: $vgpr38
	s_and_saveexec_b64 s[10:11], s[0:1]
	s_xor_b64 s[0:1], exec, s[10:11]
; %bb.111:                              ;   in Loop: Header=BB177_51 Depth=1
	v_bfe_u32 v3, v2, 16, 1
	v_add3_u32 v38, v2, v3, s21
                                        ; implicit-def: $vgpr2
; %bb.112:                              ;   in Loop: Header=BB177_51 Depth=1
	s_andn2_saveexec_b64 s[10:11], s[0:1]
; %bb.113:                              ;   in Loop: Header=BB177_51 Depth=1
	v_or_b32_e32 v3, 0x10000, v2
	v_cmp_eq_u32_sdwa s[0:1], v2, v27 src0_sel:WORD_0 src1_sel:DWORD
	v_cndmask_b32_e64 v38, v3, v2, s[0:1]
; %bb.114:                              ;   in Loop: Header=BB177_51 Depth=1
	s_or_b64 exec, exec, s[10:11]
	v_and_b32_e32 v59, 0xffff0000, v39
	v_lshlrev_b32_e32 v2, 16, v52
	v_mul_f32_e32 v2, v59, v2
	v_and_b32_e32 v3, 0x7f800000, v2
	v_cmp_ne_u32_e64 s[0:1], s20, v3
                                        ; implicit-def: $vgpr39
	s_and_saveexec_b64 s[10:11], s[0:1]
	s_xor_b64 s[0:1], exec, s[10:11]
; %bb.115:                              ;   in Loop: Header=BB177_51 Depth=1
	v_bfe_u32 v3, v2, 16, 1
	v_add3_u32 v39, v2, v3, s21
                                        ; implicit-def: $vgpr2
; %bb.116:                              ;   in Loop: Header=BB177_51 Depth=1
	s_andn2_saveexec_b64 s[10:11], s[0:1]
; %bb.117:                              ;   in Loop: Header=BB177_51 Depth=1
	v_or_b32_e32 v3, 0x10000, v2
	v_cmp_eq_u32_sdwa s[0:1], v2, v27 src0_sel:WORD_0 src1_sel:DWORD
	v_cndmask_b32_e64 v39, v3, v2, s[0:1]
; %bb.118:                              ;   in Loop: Header=BB177_51 Depth=1
	s_or_b64 exec, exec, s[10:11]
	global_load_dwordx4 v[2:5], v[6:7], off offset:1024
	s_waitcnt vmcnt(0)
	v_lshrrev_b32_e32 v52, 16, v2
	v_lshrrev_b32_e32 v61, 16, v3
	v_lshrrev_b32_e32 v63, 16, v4
	v_lshrrev_b32_e32 v65, 16, v5
	s_and_saveexec_b64 s[10:11], vcc
	s_cbranch_execz .LBB177_120
; %bb.119:                              ;   in Loop: Header=BB177_51 Depth=1
	v_cmp_gt_i32_e64 s[0:1], s33, v40
	v_cndmask_b32_e64 v2, 0, v2, s[0:1]
	v_cmp_gt_i32_e64 s[0:1], s33, v48
	v_cndmask_b32_e64 v52, 0, v52, s[0:1]
	;; [unrolled: 2-line block ×8, first 2 shown]
.LBB177_120:                            ;   in Loop: Header=BB177_51 Depth=1
	s_or_b64 exec, exec, s[10:11]
	v_lshlrev_b32_e32 v2, 16, v2
	v_mul_f32_e32 v2, v51, v2
	v_and_b32_e32 v41, 0x7f800000, v2
	v_cmp_ne_u32_e64 s[0:1], s20, v41
                                        ; implicit-def: $vgpr41
	s_and_saveexec_b64 s[10:11], s[0:1]
	s_xor_b64 s[0:1], exec, s[10:11]
; %bb.121:                              ;   in Loop: Header=BB177_51 Depth=1
	v_bfe_u32 v41, v2, 16, 1
	v_add3_u32 v41, v2, v41, s21
                                        ; implicit-def: $vgpr2
; %bb.122:                              ;   in Loop: Header=BB177_51 Depth=1
	s_andn2_saveexec_b64 s[10:11], s[0:1]
; %bb.123:                              ;   in Loop: Header=BB177_51 Depth=1
	v_or_b32_e32 v41, 0x10000, v2
	v_cmp_eq_u32_sdwa s[0:1], v2, v27 src0_sel:WORD_0 src1_sel:DWORD
	v_cndmask_b32_e64 v41, v41, v2, s[0:1]
; %bb.124:                              ;   in Loop: Header=BB177_51 Depth=1
	s_or_b64 exec, exec, s[10:11]
	v_lshlrev_b32_e32 v2, 16, v52
	v_mul_f32_e32 v2, v53, v2
	v_and_b32_e32 v52, 0x7f800000, v2
	v_cmp_ne_u32_e64 s[0:1], s20, v52
                                        ; implicit-def: $vgpr52
	s_and_saveexec_b64 s[10:11], s[0:1]
	s_xor_b64 s[0:1], exec, s[10:11]
; %bb.125:                              ;   in Loop: Header=BB177_51 Depth=1
	v_bfe_u32 v52, v2, 16, 1
	v_add3_u32 v52, v2, v52, s21
                                        ; implicit-def: $vgpr2
; %bb.126:                              ;   in Loop: Header=BB177_51 Depth=1
	s_andn2_saveexec_b64 s[10:11], s[0:1]
; %bb.127:                              ;   in Loop: Header=BB177_51 Depth=1
	v_or_b32_e32 v52, 0x10000, v2
	v_cmp_eq_u32_sdwa s[0:1], v2, v27 src0_sel:WORD_0 src1_sel:DWORD
	v_cndmask_b32_e64 v52, v52, v2, s[0:1]
; %bb.128:                              ;   in Loop: Header=BB177_51 Depth=1
	s_or_b64 exec, exec, s[10:11]
	v_lshlrev_b32_e32 v2, 16, v3
	v_mul_f32_e32 v2, v54, v2
	v_and_b32_e32 v3, 0x7f800000, v2
	v_cmp_ne_u32_e64 s[0:1], s20, v3
                                        ; implicit-def: $vgpr60
	s_and_saveexec_b64 s[10:11], s[0:1]
	s_xor_b64 s[0:1], exec, s[10:11]
; %bb.129:                              ;   in Loop: Header=BB177_51 Depth=1
	v_bfe_u32 v3, v2, 16, 1
	v_add3_u32 v60, v2, v3, s21
                                        ; implicit-def: $vgpr2
; %bb.130:                              ;   in Loop: Header=BB177_51 Depth=1
	s_andn2_saveexec_b64 s[10:11], s[0:1]
; %bb.131:                              ;   in Loop: Header=BB177_51 Depth=1
	v_or_b32_e32 v3, 0x10000, v2
	v_cmp_eq_u32_sdwa s[0:1], v2, v27 src0_sel:WORD_0 src1_sel:DWORD
	v_cndmask_b32_e64 v60, v3, v2, s[0:1]
; %bb.132:                              ;   in Loop: Header=BB177_51 Depth=1
	s_or_b64 exec, exec, s[10:11]
	v_lshlrev_b32_e32 v2, 16, v61
	v_mul_f32_e32 v2, v55, v2
	v_and_b32_e32 v3, 0x7f800000, v2
	v_cmp_ne_u32_e64 s[0:1], s20, v3
                                        ; implicit-def: $vgpr61
	s_and_saveexec_b64 s[10:11], s[0:1]
	s_xor_b64 s[0:1], exec, s[10:11]
; %bb.133:                              ;   in Loop: Header=BB177_51 Depth=1
	v_bfe_u32 v3, v2, 16, 1
	v_add3_u32 v61, v2, v3, s21
                                        ; implicit-def: $vgpr2
; %bb.134:                              ;   in Loop: Header=BB177_51 Depth=1
	s_andn2_saveexec_b64 s[10:11], s[0:1]
; %bb.135:                              ;   in Loop: Header=BB177_51 Depth=1
	v_or_b32_e32 v3, 0x10000, v2
	v_cmp_eq_u32_sdwa s[0:1], v2, v27 src0_sel:WORD_0 src1_sel:DWORD
	v_cndmask_b32_e64 v61, v3, v2, s[0:1]
; %bb.136:                              ;   in Loop: Header=BB177_51 Depth=1
	s_or_b64 exec, exec, s[10:11]
	v_lshlrev_b32_e32 v2, 16, v4
	v_mul_f32_e32 v2, v56, v2
	v_and_b32_e32 v3, 0x7f800000, v2
	v_cmp_ne_u32_e64 s[0:1], s20, v3
                                        ; implicit-def: $vgpr62
	s_and_saveexec_b64 s[10:11], s[0:1]
	s_xor_b64 s[0:1], exec, s[10:11]
; %bb.137:                              ;   in Loop: Header=BB177_51 Depth=1
	v_bfe_u32 v3, v2, 16, 1
	v_add3_u32 v62, v2, v3, s21
                                        ; implicit-def: $vgpr2
; %bb.138:                              ;   in Loop: Header=BB177_51 Depth=1
	s_andn2_saveexec_b64 s[10:11], s[0:1]
; %bb.139:                              ;   in Loop: Header=BB177_51 Depth=1
	v_or_b32_e32 v3, 0x10000, v2
	v_cmp_eq_u32_sdwa s[0:1], v2, v27 src0_sel:WORD_0 src1_sel:DWORD
	v_cndmask_b32_e64 v62, v3, v2, s[0:1]
; %bb.140:                              ;   in Loop: Header=BB177_51 Depth=1
	s_or_b64 exec, exec, s[10:11]
	v_lshlrev_b32_e32 v2, 16, v63
	v_mul_f32_e32 v2, v57, v2
	v_and_b32_e32 v3, 0x7f800000, v2
	v_cmp_ne_u32_e64 s[0:1], s20, v3
                                        ; implicit-def: $vgpr63
	s_and_saveexec_b64 s[10:11], s[0:1]
	s_xor_b64 s[0:1], exec, s[10:11]
; %bb.141:                              ;   in Loop: Header=BB177_51 Depth=1
	v_bfe_u32 v3, v2, 16, 1
	v_add3_u32 v63, v2, v3, s21
                                        ; implicit-def: $vgpr2
; %bb.142:                              ;   in Loop: Header=BB177_51 Depth=1
	s_andn2_saveexec_b64 s[10:11], s[0:1]
; %bb.143:                              ;   in Loop: Header=BB177_51 Depth=1
	v_or_b32_e32 v3, 0x10000, v2
	v_cmp_eq_u32_sdwa s[0:1], v2, v27 src0_sel:WORD_0 src1_sel:DWORD
	v_cndmask_b32_e64 v63, v3, v2, s[0:1]
; %bb.144:                              ;   in Loop: Header=BB177_51 Depth=1
	s_or_b64 exec, exec, s[10:11]
	v_lshlrev_b32_e32 v2, 16, v5
	v_mul_f32_e32 v2, v58, v2
	v_and_b32_e32 v3, 0x7f800000, v2
	v_cmp_ne_u32_e64 s[0:1], s20, v3
                                        ; implicit-def: $vgpr64
	s_and_saveexec_b64 s[10:11], s[0:1]
	s_xor_b64 s[0:1], exec, s[10:11]
; %bb.145:                              ;   in Loop: Header=BB177_51 Depth=1
	v_bfe_u32 v3, v2, 16, 1
	v_add3_u32 v64, v2, v3, s21
                                        ; implicit-def: $vgpr2
; %bb.146:                              ;   in Loop: Header=BB177_51 Depth=1
	s_andn2_saveexec_b64 s[10:11], s[0:1]
; %bb.147:                              ;   in Loop: Header=BB177_51 Depth=1
	v_or_b32_e32 v3, 0x10000, v2
	v_cmp_eq_u32_sdwa s[0:1], v2, v27 src0_sel:WORD_0 src1_sel:DWORD
	v_cndmask_b32_e64 v64, v3, v2, s[0:1]
; %bb.148:                              ;   in Loop: Header=BB177_51 Depth=1
	s_or_b64 exec, exec, s[10:11]
	v_lshlrev_b32_e32 v2, 16, v65
	v_mul_f32_e32 v2, v59, v2
	v_and_b32_e32 v3, 0x7f800000, v2
	v_cmp_ne_u32_e64 s[0:1], s20, v3
                                        ; implicit-def: $vgpr65
	s_and_saveexec_b64 s[10:11], s[0:1]
	s_xor_b64 s[0:1], exec, s[10:11]
; %bb.149:                              ;   in Loop: Header=BB177_51 Depth=1
	v_bfe_u32 v3, v2, 16, 1
	v_add3_u32 v65, v2, v3, s21
                                        ; implicit-def: $vgpr2
; %bb.150:                              ;   in Loop: Header=BB177_51 Depth=1
	s_andn2_saveexec_b64 s[10:11], s[0:1]
; %bb.151:                              ;   in Loop: Header=BB177_51 Depth=1
	v_or_b32_e32 v3, 0x10000, v2
	v_cmp_eq_u32_sdwa s[0:1], v2, v27 src0_sel:WORD_0 src1_sel:DWORD
	v_cndmask_b32_e64 v65, v3, v2, s[0:1]
; %bb.152:                              ;   in Loop: Header=BB177_51 Depth=1
	s_or_b64 exec, exec, s[10:11]
	global_load_dwordx4 v[2:5], v[6:7], off offset:2048
	s_waitcnt vmcnt(0)
	v_lshrrev_b32_e32 v67, 16, v2
	v_lshrrev_b32_e32 v69, 16, v3
	;; [unrolled: 1-line block ×4, first 2 shown]
	s_and_saveexec_b64 s[10:11], vcc
	s_cbranch_execz .LBB177_154
; %bb.153:                              ;   in Loop: Header=BB177_51 Depth=1
	v_cmp_gt_i32_e64 s[0:1], s33, v40
	v_cndmask_b32_e64 v2, 0, v2, s[0:1]
	v_cmp_gt_i32_e64 s[0:1], s33, v48
	v_cndmask_b32_e64 v67, 0, v67, s[0:1]
	;; [unrolled: 2-line block ×8, first 2 shown]
.LBB177_154:                            ;   in Loop: Header=BB177_51 Depth=1
	s_or_b64 exec, exec, s[10:11]
	v_lshlrev_b32_e32 v2, 16, v2
	v_mul_f32_e32 v2, v51, v2
	v_and_b32_e32 v66, 0x7f800000, v2
	v_cmp_ne_u32_e64 s[0:1], s20, v66
                                        ; implicit-def: $vgpr66
	s_and_saveexec_b64 s[10:11], s[0:1]
	s_xor_b64 s[0:1], exec, s[10:11]
; %bb.155:                              ;   in Loop: Header=BB177_51 Depth=1
	v_bfe_u32 v66, v2, 16, 1
	v_add3_u32 v66, v2, v66, s21
                                        ; implicit-def: $vgpr2
; %bb.156:                              ;   in Loop: Header=BB177_51 Depth=1
	s_andn2_saveexec_b64 s[10:11], s[0:1]
; %bb.157:                              ;   in Loop: Header=BB177_51 Depth=1
	v_or_b32_e32 v66, 0x10000, v2
	v_cmp_eq_u32_sdwa s[0:1], v2, v27 src0_sel:WORD_0 src1_sel:DWORD
	v_cndmask_b32_e64 v66, v66, v2, s[0:1]
; %bb.158:                              ;   in Loop: Header=BB177_51 Depth=1
	s_or_b64 exec, exec, s[10:11]
	v_lshlrev_b32_e32 v2, 16, v67
	v_mul_f32_e32 v2, v53, v2
	v_and_b32_e32 v67, 0x7f800000, v2
	v_cmp_ne_u32_e64 s[0:1], s20, v67
                                        ; implicit-def: $vgpr67
	s_and_saveexec_b64 s[10:11], s[0:1]
	s_xor_b64 s[0:1], exec, s[10:11]
; %bb.159:                              ;   in Loop: Header=BB177_51 Depth=1
	v_bfe_u32 v67, v2, 16, 1
	v_add3_u32 v67, v2, v67, s21
                                        ; implicit-def: $vgpr2
; %bb.160:                              ;   in Loop: Header=BB177_51 Depth=1
	s_andn2_saveexec_b64 s[10:11], s[0:1]
; %bb.161:                              ;   in Loop: Header=BB177_51 Depth=1
	v_or_b32_e32 v67, 0x10000, v2
	v_cmp_eq_u32_sdwa s[0:1], v2, v27 src0_sel:WORD_0 src1_sel:DWORD
	v_cndmask_b32_e64 v67, v67, v2, s[0:1]
; %bb.162:                              ;   in Loop: Header=BB177_51 Depth=1
	s_or_b64 exec, exec, s[10:11]
	v_lshlrev_b32_e32 v2, 16, v3
	v_mul_f32_e32 v2, v54, v2
	v_and_b32_e32 v3, 0x7f800000, v2
	v_cmp_ne_u32_e64 s[0:1], s20, v3
                                        ; implicit-def: $vgpr68
	s_and_saveexec_b64 s[10:11], s[0:1]
	s_xor_b64 s[0:1], exec, s[10:11]
; %bb.163:                              ;   in Loop: Header=BB177_51 Depth=1
	v_bfe_u32 v3, v2, 16, 1
	v_add3_u32 v68, v2, v3, s21
                                        ; implicit-def: $vgpr2
; %bb.164:                              ;   in Loop: Header=BB177_51 Depth=1
	s_andn2_saveexec_b64 s[10:11], s[0:1]
; %bb.165:                              ;   in Loop: Header=BB177_51 Depth=1
	v_or_b32_e32 v3, 0x10000, v2
	v_cmp_eq_u32_sdwa s[0:1], v2, v27 src0_sel:WORD_0 src1_sel:DWORD
	v_cndmask_b32_e64 v68, v3, v2, s[0:1]
; %bb.166:                              ;   in Loop: Header=BB177_51 Depth=1
	s_or_b64 exec, exec, s[10:11]
	v_lshlrev_b32_e32 v2, 16, v69
	v_mul_f32_e32 v2, v55, v2
	v_and_b32_e32 v3, 0x7f800000, v2
	v_cmp_ne_u32_e64 s[0:1], s20, v3
                                        ; implicit-def: $vgpr69
	s_and_saveexec_b64 s[10:11], s[0:1]
	s_xor_b64 s[0:1], exec, s[10:11]
; %bb.167:                              ;   in Loop: Header=BB177_51 Depth=1
	v_bfe_u32 v3, v2, 16, 1
	v_add3_u32 v69, v2, v3, s21
                                        ; implicit-def: $vgpr2
; %bb.168:                              ;   in Loop: Header=BB177_51 Depth=1
	s_andn2_saveexec_b64 s[10:11], s[0:1]
; %bb.169:                              ;   in Loop: Header=BB177_51 Depth=1
	v_or_b32_e32 v3, 0x10000, v2
	v_cmp_eq_u32_sdwa s[0:1], v2, v27 src0_sel:WORD_0 src1_sel:DWORD
	v_cndmask_b32_e64 v69, v3, v2, s[0:1]
; %bb.170:                              ;   in Loop: Header=BB177_51 Depth=1
	s_or_b64 exec, exec, s[10:11]
	v_lshlrev_b32_e32 v2, 16, v4
	v_mul_f32_e32 v2, v56, v2
	v_and_b32_e32 v3, 0x7f800000, v2
	v_cmp_ne_u32_e64 s[0:1], s20, v3
                                        ; implicit-def: $vgpr70
	s_and_saveexec_b64 s[10:11], s[0:1]
	s_xor_b64 s[0:1], exec, s[10:11]
; %bb.171:                              ;   in Loop: Header=BB177_51 Depth=1
	v_bfe_u32 v3, v2, 16, 1
	v_add3_u32 v70, v2, v3, s21
                                        ; implicit-def: $vgpr2
; %bb.172:                              ;   in Loop: Header=BB177_51 Depth=1
	s_andn2_saveexec_b64 s[10:11], s[0:1]
; %bb.173:                              ;   in Loop: Header=BB177_51 Depth=1
	v_or_b32_e32 v3, 0x10000, v2
	v_cmp_eq_u32_sdwa s[0:1], v2, v27 src0_sel:WORD_0 src1_sel:DWORD
	v_cndmask_b32_e64 v70, v3, v2, s[0:1]
; %bb.174:                              ;   in Loop: Header=BB177_51 Depth=1
	s_or_b64 exec, exec, s[10:11]
	v_lshlrev_b32_e32 v2, 16, v71
	v_mul_f32_e32 v2, v57, v2
	v_and_b32_e32 v3, 0x7f800000, v2
	v_cmp_ne_u32_e64 s[0:1], s20, v3
                                        ; implicit-def: $vgpr71
	s_and_saveexec_b64 s[10:11], s[0:1]
	s_xor_b64 s[0:1], exec, s[10:11]
; %bb.175:                              ;   in Loop: Header=BB177_51 Depth=1
	v_bfe_u32 v3, v2, 16, 1
	v_add3_u32 v71, v2, v3, s21
                                        ; implicit-def: $vgpr2
; %bb.176:                              ;   in Loop: Header=BB177_51 Depth=1
	s_andn2_saveexec_b64 s[10:11], s[0:1]
; %bb.177:                              ;   in Loop: Header=BB177_51 Depth=1
	v_or_b32_e32 v3, 0x10000, v2
	v_cmp_eq_u32_sdwa s[0:1], v2, v27 src0_sel:WORD_0 src1_sel:DWORD
	v_cndmask_b32_e64 v71, v3, v2, s[0:1]
; %bb.178:                              ;   in Loop: Header=BB177_51 Depth=1
	s_or_b64 exec, exec, s[10:11]
	v_lshlrev_b32_e32 v2, 16, v5
	v_mul_f32_e32 v2, v58, v2
	v_and_b32_e32 v3, 0x7f800000, v2
	v_cmp_ne_u32_e64 s[0:1], s20, v3
                                        ; implicit-def: $vgpr72
	s_and_saveexec_b64 s[10:11], s[0:1]
	s_xor_b64 s[0:1], exec, s[10:11]
; %bb.179:                              ;   in Loop: Header=BB177_51 Depth=1
	v_bfe_u32 v3, v2, 16, 1
	v_add3_u32 v72, v2, v3, s21
                                        ; implicit-def: $vgpr2
; %bb.180:                              ;   in Loop: Header=BB177_51 Depth=1
	s_andn2_saveexec_b64 s[10:11], s[0:1]
; %bb.181:                              ;   in Loop: Header=BB177_51 Depth=1
	v_or_b32_e32 v3, 0x10000, v2
	v_cmp_eq_u32_sdwa s[0:1], v2, v27 src0_sel:WORD_0 src1_sel:DWORD
	v_cndmask_b32_e64 v72, v3, v2, s[0:1]
; %bb.182:                              ;   in Loop: Header=BB177_51 Depth=1
	s_or_b64 exec, exec, s[10:11]
	v_lshlrev_b32_e32 v2, 16, v73
	v_mul_f32_e32 v2, v59, v2
	v_and_b32_e32 v3, 0x7f800000, v2
	v_cmp_ne_u32_e64 s[0:1], s20, v3
                                        ; implicit-def: $vgpr73
	s_and_saveexec_b64 s[10:11], s[0:1]
	s_xor_b64 s[0:1], exec, s[10:11]
; %bb.183:                              ;   in Loop: Header=BB177_51 Depth=1
	v_bfe_u32 v3, v2, 16, 1
	v_add3_u32 v73, v2, v3, s21
                                        ; implicit-def: $vgpr2
; %bb.184:                              ;   in Loop: Header=BB177_51 Depth=1
	s_andn2_saveexec_b64 s[10:11], s[0:1]
; %bb.185:                              ;   in Loop: Header=BB177_51 Depth=1
	v_or_b32_e32 v3, 0x10000, v2
	v_cmp_eq_u32_sdwa s[0:1], v2, v27 src0_sel:WORD_0 src1_sel:DWORD
	v_cndmask_b32_e64 v73, v3, v2, s[0:1]
; %bb.186:                              ;   in Loop: Header=BB177_51 Depth=1
	s_or_b64 exec, exec, s[10:11]
	global_load_dwordx4 v[2:5], v[6:7], off offset:3072
	s_waitcnt vmcnt(0)
	v_lshrrev_b32_e32 v7, 16, v2
	v_lshrrev_b32_e32 v75, 16, v3
	v_lshrrev_b32_e32 v77, 16, v4
	v_lshrrev_b32_e32 v79, 16, v5
	s_and_saveexec_b64 s[10:11], vcc
	s_cbranch_execz .LBB177_188
; %bb.187:                              ;   in Loop: Header=BB177_51 Depth=1
	v_cmp_gt_i32_e64 s[0:1], s33, v40
	v_cndmask_b32_e64 v2, 0, v2, s[0:1]
	v_cmp_gt_i32_e64 s[0:1], s33, v48
	v_cndmask_b32_e64 v7, 0, v7, s[0:1]
	;; [unrolled: 2-line block ×8, first 2 shown]
.LBB177_188:                            ;   in Loop: Header=BB177_51 Depth=1
	s_or_b64 exec, exec, s[10:11]
	v_lshlrev_b32_e32 v2, 16, v2
	v_mul_f32_e32 v2, v51, v2
	v_and_b32_e32 v6, 0x7f800000, v2
	v_cmp_ne_u32_e64 s[0:1], s20, v6
                                        ; implicit-def: $vgpr6
	s_and_saveexec_b64 s[10:11], s[0:1]
	s_xor_b64 s[0:1], exec, s[10:11]
; %bb.189:                              ;   in Loop: Header=BB177_51 Depth=1
	v_bfe_u32 v6, v2, 16, 1
	v_add3_u32 v6, v2, v6, s21
                                        ; implicit-def: $vgpr2
; %bb.190:                              ;   in Loop: Header=BB177_51 Depth=1
	s_andn2_saveexec_b64 s[10:11], s[0:1]
; %bb.191:                              ;   in Loop: Header=BB177_51 Depth=1
	v_or_b32_e32 v6, 0x10000, v2
	v_cmp_eq_u32_sdwa s[0:1], v2, v27 src0_sel:WORD_0 src1_sel:DWORD
	v_cndmask_b32_e64 v6, v6, v2, s[0:1]
; %bb.192:                              ;   in Loop: Header=BB177_51 Depth=1
	s_or_b64 exec, exec, s[10:11]
	v_lshlrev_b32_e32 v2, 16, v7
	v_mul_f32_e32 v2, v53, v2
	v_and_b32_e32 v7, 0x7f800000, v2
	v_cmp_ne_u32_e64 s[0:1], s20, v7
                                        ; implicit-def: $vgpr7
	s_and_saveexec_b64 s[10:11], s[0:1]
	s_xor_b64 s[0:1], exec, s[10:11]
; %bb.193:                              ;   in Loop: Header=BB177_51 Depth=1
	v_bfe_u32 v7, v2, 16, 1
	v_add3_u32 v7, v2, v7, s21
                                        ; implicit-def: $vgpr2
; %bb.194:                              ;   in Loop: Header=BB177_51 Depth=1
	s_andn2_saveexec_b64 s[10:11], s[0:1]
; %bb.195:                              ;   in Loop: Header=BB177_51 Depth=1
	v_or_b32_e32 v7, 0x10000, v2
	v_cmp_eq_u32_sdwa s[0:1], v2, v27 src0_sel:WORD_0 src1_sel:DWORD
	v_cndmask_b32_e64 v7, v7, v2, s[0:1]
; %bb.196:                              ;   in Loop: Header=BB177_51 Depth=1
	s_or_b64 exec, exec, s[10:11]
	v_lshlrev_b32_e32 v2, 16, v3
	v_mul_f32_e32 v2, v54, v2
	v_and_b32_e32 v3, 0x7f800000, v2
	v_cmp_ne_u32_e64 s[0:1], s20, v3
                                        ; implicit-def: $vgpr74
	s_and_saveexec_b64 s[10:11], s[0:1]
	s_xor_b64 s[0:1], exec, s[10:11]
; %bb.197:                              ;   in Loop: Header=BB177_51 Depth=1
	v_bfe_u32 v3, v2, 16, 1
	v_add3_u32 v74, v2, v3, s21
                                        ; implicit-def: $vgpr2
; %bb.198:                              ;   in Loop: Header=BB177_51 Depth=1
	s_andn2_saveexec_b64 s[10:11], s[0:1]
; %bb.199:                              ;   in Loop: Header=BB177_51 Depth=1
	v_or_b32_e32 v3, 0x10000, v2
	v_cmp_eq_u32_sdwa s[0:1], v2, v27 src0_sel:WORD_0 src1_sel:DWORD
	v_cndmask_b32_e64 v74, v3, v2, s[0:1]
; %bb.200:                              ;   in Loop: Header=BB177_51 Depth=1
	s_or_b64 exec, exec, s[10:11]
	v_lshlrev_b32_e32 v2, 16, v75
	v_mul_f32_e32 v2, v55, v2
	v_and_b32_e32 v3, 0x7f800000, v2
	v_cmp_ne_u32_e64 s[0:1], s20, v3
                                        ; implicit-def: $vgpr75
	s_and_saveexec_b64 s[10:11], s[0:1]
	s_xor_b64 s[0:1], exec, s[10:11]
; %bb.201:                              ;   in Loop: Header=BB177_51 Depth=1
	v_bfe_u32 v3, v2, 16, 1
	v_add3_u32 v75, v2, v3, s21
                                        ; implicit-def: $vgpr2
; %bb.202:                              ;   in Loop: Header=BB177_51 Depth=1
	s_andn2_saveexec_b64 s[10:11], s[0:1]
; %bb.203:                              ;   in Loop: Header=BB177_51 Depth=1
	v_or_b32_e32 v3, 0x10000, v2
	v_cmp_eq_u32_sdwa s[0:1], v2, v27 src0_sel:WORD_0 src1_sel:DWORD
	v_cndmask_b32_e64 v75, v3, v2, s[0:1]
; %bb.204:                              ;   in Loop: Header=BB177_51 Depth=1
	s_or_b64 exec, exec, s[10:11]
	v_lshlrev_b32_e32 v2, 16, v4
	v_mul_f32_e32 v2, v56, v2
	v_and_b32_e32 v3, 0x7f800000, v2
	v_cmp_ne_u32_e64 s[0:1], s20, v3
                                        ; implicit-def: $vgpr76
	s_and_saveexec_b64 s[10:11], s[0:1]
	s_xor_b64 s[0:1], exec, s[10:11]
; %bb.205:                              ;   in Loop: Header=BB177_51 Depth=1
	v_bfe_u32 v3, v2, 16, 1
	v_add3_u32 v76, v2, v3, s21
                                        ; implicit-def: $vgpr2
; %bb.206:                              ;   in Loop: Header=BB177_51 Depth=1
	s_andn2_saveexec_b64 s[10:11], s[0:1]
; %bb.207:                              ;   in Loop: Header=BB177_51 Depth=1
	v_or_b32_e32 v3, 0x10000, v2
	v_cmp_eq_u32_sdwa s[0:1], v2, v27 src0_sel:WORD_0 src1_sel:DWORD
	v_cndmask_b32_e64 v76, v3, v2, s[0:1]
; %bb.208:                              ;   in Loop: Header=BB177_51 Depth=1
	s_or_b64 exec, exec, s[10:11]
	v_lshlrev_b32_e32 v2, 16, v77
	v_mul_f32_e32 v2, v57, v2
	v_and_b32_e32 v3, 0x7f800000, v2
	v_cmp_ne_u32_e64 s[0:1], s20, v3
                                        ; implicit-def: $vgpr77
	s_and_saveexec_b64 s[10:11], s[0:1]
	s_xor_b64 s[0:1], exec, s[10:11]
; %bb.209:                              ;   in Loop: Header=BB177_51 Depth=1
	v_bfe_u32 v3, v2, 16, 1
	v_add3_u32 v77, v2, v3, s21
                                        ; implicit-def: $vgpr2
; %bb.210:                              ;   in Loop: Header=BB177_51 Depth=1
	s_andn2_saveexec_b64 s[10:11], s[0:1]
; %bb.211:                              ;   in Loop: Header=BB177_51 Depth=1
	v_or_b32_e32 v3, 0x10000, v2
	v_cmp_eq_u32_sdwa s[0:1], v2, v27 src0_sel:WORD_0 src1_sel:DWORD
	v_cndmask_b32_e64 v77, v3, v2, s[0:1]
; %bb.212:                              ;   in Loop: Header=BB177_51 Depth=1
	s_or_b64 exec, exec, s[10:11]
	v_lshlrev_b32_e32 v2, 16, v5
	v_mul_f32_e32 v2, v58, v2
	v_and_b32_e32 v3, 0x7f800000, v2
	v_cmp_ne_u32_e64 s[0:1], s20, v3
                                        ; implicit-def: $vgpr78
	s_and_saveexec_b64 s[10:11], s[0:1]
	s_xor_b64 s[0:1], exec, s[10:11]
; %bb.213:                              ;   in Loop: Header=BB177_51 Depth=1
	v_bfe_u32 v3, v2, 16, 1
	v_add3_u32 v78, v2, v3, s21
                                        ; implicit-def: $vgpr2
; %bb.214:                              ;   in Loop: Header=BB177_51 Depth=1
	s_andn2_saveexec_b64 s[10:11], s[0:1]
; %bb.215:                              ;   in Loop: Header=BB177_51 Depth=1
	v_or_b32_e32 v3, 0x10000, v2
	v_cmp_eq_u32_sdwa s[0:1], v2, v27 src0_sel:WORD_0 src1_sel:DWORD
	v_cndmask_b32_e64 v78, v3, v2, s[0:1]
; %bb.216:                              ;   in Loop: Header=BB177_51 Depth=1
	s_or_b64 exec, exec, s[10:11]
	v_lshlrev_b32_e32 v2, 16, v79
	v_mul_f32_e32 v2, v59, v2
	v_and_b32_e32 v3, 0x7f800000, v2
	v_cmp_ne_u32_e64 s[0:1], s20, v3
                                        ; implicit-def: $vgpr79
	s_and_saveexec_b64 s[10:11], s[0:1]
	s_xor_b64 s[0:1], exec, s[10:11]
; %bb.217:                              ;   in Loop: Header=BB177_51 Depth=1
	v_bfe_u32 v3, v2, 16, 1
	v_add3_u32 v79, v2, v3, s21
                                        ; implicit-def: $vgpr2
; %bb.218:                              ;   in Loop: Header=BB177_51 Depth=1
	s_andn2_saveexec_b64 s[10:11], s[0:1]
; %bb.219:                              ;   in Loop: Header=BB177_51 Depth=1
	v_or_b32_e32 v3, 0x10000, v2
	v_cmp_eq_u32_sdwa s[0:1], v2, v27 src0_sel:WORD_0 src1_sel:DWORD
	v_cndmask_b32_e64 v79, v3, v2, s[0:1]
; %bb.220:                              ;   in Loop: Header=BB177_51 Depth=1
	s_or_b64 exec, exec, s[10:11]
	v_add_co_u32_e64 v2, s[0:1], v49, v30
	v_addc_co_u32_e64 v3, s[0:1], 0, v50, s[0:1]
	global_load_dwordx4 v[2:5], v[2:3], off
	s_waitcnt vmcnt(0)
	v_lshrrev_b32_e32 v81, 16, v2
	v_lshrrev_b32_e32 v83, 16, v3
	;; [unrolled: 1-line block ×4, first 2 shown]
	s_and_saveexec_b64 s[10:11], vcc
	s_cbranch_execz .LBB177_222
; %bb.221:                              ;   in Loop: Header=BB177_51 Depth=1
	v_cmp_gt_i32_e64 s[0:1], s33, v40
	v_cndmask_b32_e64 v2, 0, v2, s[0:1]
	v_cmp_gt_i32_e64 s[0:1], s33, v48
	v_cndmask_b32_e64 v81, 0, v81, s[0:1]
	;; [unrolled: 2-line block ×8, first 2 shown]
.LBB177_222:                            ;   in Loop: Header=BB177_51 Depth=1
	s_or_b64 exec, exec, s[10:11]
	v_lshlrev_b32_e32 v2, 16, v2
	v_mul_f32_e32 v2, v51, v2
	v_and_b32_e32 v80, 0x7f800000, v2
	v_cmp_ne_u32_e64 s[0:1], s20, v80
                                        ; implicit-def: $vgpr80
	s_and_saveexec_b64 s[10:11], s[0:1]
	s_xor_b64 s[0:1], exec, s[10:11]
; %bb.223:                              ;   in Loop: Header=BB177_51 Depth=1
	v_bfe_u32 v80, v2, 16, 1
	v_add3_u32 v80, v2, v80, s21
                                        ; implicit-def: $vgpr2
; %bb.224:                              ;   in Loop: Header=BB177_51 Depth=1
	s_andn2_saveexec_b64 s[10:11], s[0:1]
; %bb.225:                              ;   in Loop: Header=BB177_51 Depth=1
	v_or_b32_e32 v80, 0x10000, v2
	v_cmp_eq_u32_sdwa s[0:1], v2, v27 src0_sel:WORD_0 src1_sel:DWORD
	v_cndmask_b32_e64 v80, v80, v2, s[0:1]
; %bb.226:                              ;   in Loop: Header=BB177_51 Depth=1
	s_or_b64 exec, exec, s[10:11]
	v_lshlrev_b32_e32 v2, 16, v81
	v_mul_f32_e32 v2, v53, v2
	v_and_b32_e32 v81, 0x7f800000, v2
	v_cmp_ne_u32_e64 s[0:1], s20, v81
                                        ; implicit-def: $vgpr81
	s_and_saveexec_b64 s[10:11], s[0:1]
	s_xor_b64 s[0:1], exec, s[10:11]
; %bb.227:                              ;   in Loop: Header=BB177_51 Depth=1
	v_bfe_u32 v81, v2, 16, 1
	v_add3_u32 v81, v2, v81, s21
                                        ; implicit-def: $vgpr2
; %bb.228:                              ;   in Loop: Header=BB177_51 Depth=1
	s_andn2_saveexec_b64 s[10:11], s[0:1]
; %bb.229:                              ;   in Loop: Header=BB177_51 Depth=1
	v_or_b32_e32 v81, 0x10000, v2
	v_cmp_eq_u32_sdwa s[0:1], v2, v27 src0_sel:WORD_0 src1_sel:DWORD
	v_cndmask_b32_e64 v81, v81, v2, s[0:1]
; %bb.230:                              ;   in Loop: Header=BB177_51 Depth=1
	s_or_b64 exec, exec, s[10:11]
	v_lshlrev_b32_e32 v2, 16, v3
	v_mul_f32_e32 v2, v54, v2
	v_and_b32_e32 v3, 0x7f800000, v2
	v_cmp_ne_u32_e64 s[0:1], s20, v3
                                        ; implicit-def: $vgpr82
	s_and_saveexec_b64 s[10:11], s[0:1]
	s_xor_b64 s[0:1], exec, s[10:11]
; %bb.231:                              ;   in Loop: Header=BB177_51 Depth=1
	v_bfe_u32 v3, v2, 16, 1
	v_add3_u32 v82, v2, v3, s21
                                        ; implicit-def: $vgpr2
; %bb.232:                              ;   in Loop: Header=BB177_51 Depth=1
	s_andn2_saveexec_b64 s[10:11], s[0:1]
; %bb.233:                              ;   in Loop: Header=BB177_51 Depth=1
	v_or_b32_e32 v3, 0x10000, v2
	v_cmp_eq_u32_sdwa s[0:1], v2, v27 src0_sel:WORD_0 src1_sel:DWORD
	v_cndmask_b32_e64 v82, v3, v2, s[0:1]
; %bb.234:                              ;   in Loop: Header=BB177_51 Depth=1
	s_or_b64 exec, exec, s[10:11]
	v_lshlrev_b32_e32 v2, 16, v83
	v_mul_f32_e32 v2, v55, v2
	v_and_b32_e32 v3, 0x7f800000, v2
	v_cmp_ne_u32_e64 s[0:1], s20, v3
                                        ; implicit-def: $vgpr83
	s_and_saveexec_b64 s[10:11], s[0:1]
	s_xor_b64 s[0:1], exec, s[10:11]
; %bb.235:                              ;   in Loop: Header=BB177_51 Depth=1
	v_bfe_u32 v3, v2, 16, 1
	v_add3_u32 v83, v2, v3, s21
                                        ; implicit-def: $vgpr2
; %bb.236:                              ;   in Loop: Header=BB177_51 Depth=1
	s_andn2_saveexec_b64 s[10:11], s[0:1]
; %bb.237:                              ;   in Loop: Header=BB177_51 Depth=1
	v_or_b32_e32 v3, 0x10000, v2
	v_cmp_eq_u32_sdwa s[0:1], v2, v27 src0_sel:WORD_0 src1_sel:DWORD
	v_cndmask_b32_e64 v83, v3, v2, s[0:1]
; %bb.238:                              ;   in Loop: Header=BB177_51 Depth=1
	s_or_b64 exec, exec, s[10:11]
	v_lshlrev_b32_e32 v2, 16, v4
	v_mul_f32_e32 v2, v56, v2
	v_and_b32_e32 v3, 0x7f800000, v2
	v_cmp_ne_u32_e64 s[0:1], s20, v3
                                        ; implicit-def: $vgpr84
	s_and_saveexec_b64 s[10:11], s[0:1]
	s_xor_b64 s[0:1], exec, s[10:11]
; %bb.239:                              ;   in Loop: Header=BB177_51 Depth=1
	v_bfe_u32 v3, v2, 16, 1
	v_add3_u32 v84, v2, v3, s21
                                        ; implicit-def: $vgpr2
; %bb.240:                              ;   in Loop: Header=BB177_51 Depth=1
	s_andn2_saveexec_b64 s[10:11], s[0:1]
; %bb.241:                              ;   in Loop: Header=BB177_51 Depth=1
	v_or_b32_e32 v3, 0x10000, v2
	v_cmp_eq_u32_sdwa s[0:1], v2, v27 src0_sel:WORD_0 src1_sel:DWORD
	v_cndmask_b32_e64 v84, v3, v2, s[0:1]
; %bb.242:                              ;   in Loop: Header=BB177_51 Depth=1
	s_or_b64 exec, exec, s[10:11]
	v_lshlrev_b32_e32 v2, 16, v85
	v_mul_f32_e32 v2, v57, v2
	v_and_b32_e32 v3, 0x7f800000, v2
	v_cmp_ne_u32_e64 s[0:1], s20, v3
                                        ; implicit-def: $vgpr85
	s_and_saveexec_b64 s[10:11], s[0:1]
	s_xor_b64 s[0:1], exec, s[10:11]
; %bb.243:                              ;   in Loop: Header=BB177_51 Depth=1
	v_bfe_u32 v3, v2, 16, 1
	v_add3_u32 v85, v2, v3, s21
                                        ; implicit-def: $vgpr2
; %bb.244:                              ;   in Loop: Header=BB177_51 Depth=1
	s_andn2_saveexec_b64 s[10:11], s[0:1]
; %bb.245:                              ;   in Loop: Header=BB177_51 Depth=1
	v_or_b32_e32 v3, 0x10000, v2
	v_cmp_eq_u32_sdwa s[0:1], v2, v27 src0_sel:WORD_0 src1_sel:DWORD
	v_cndmask_b32_e64 v85, v3, v2, s[0:1]
; %bb.246:                              ;   in Loop: Header=BB177_51 Depth=1
	s_or_b64 exec, exec, s[10:11]
	v_lshlrev_b32_e32 v2, 16, v5
	v_mul_f32_e32 v2, v58, v2
	v_and_b32_e32 v3, 0x7f800000, v2
	v_cmp_ne_u32_e64 s[0:1], s20, v3
                                        ; implicit-def: $vgpr86
	s_and_saveexec_b64 s[10:11], s[0:1]
	s_xor_b64 s[0:1], exec, s[10:11]
; %bb.247:                              ;   in Loop: Header=BB177_51 Depth=1
	v_bfe_u32 v3, v2, 16, 1
	v_add3_u32 v86, v2, v3, s21
                                        ; implicit-def: $vgpr2
; %bb.248:                              ;   in Loop: Header=BB177_51 Depth=1
	s_andn2_saveexec_b64 s[10:11], s[0:1]
; %bb.249:                              ;   in Loop: Header=BB177_51 Depth=1
	v_or_b32_e32 v3, 0x10000, v2
	v_cmp_eq_u32_sdwa s[0:1], v2, v27 src0_sel:WORD_0 src1_sel:DWORD
	v_cndmask_b32_e64 v86, v3, v2, s[0:1]
; %bb.250:                              ;   in Loop: Header=BB177_51 Depth=1
	s_or_b64 exec, exec, s[10:11]
	v_lshlrev_b32_e32 v2, 16, v87
	v_mul_f32_e32 v2, v59, v2
	v_and_b32_e32 v3, 0x7f800000, v2
	v_cmp_ne_u32_e64 s[0:1], s20, v3
                                        ; implicit-def: $vgpr87
	s_and_saveexec_b64 s[10:11], s[0:1]
	s_xor_b64 s[0:1], exec, s[10:11]
; %bb.251:                              ;   in Loop: Header=BB177_51 Depth=1
	v_bfe_u32 v3, v2, 16, 1
	v_add3_u32 v87, v2, v3, s21
                                        ; implicit-def: $vgpr2
; %bb.252:                              ;   in Loop: Header=BB177_51 Depth=1
	s_andn2_saveexec_b64 s[10:11], s[0:1]
; %bb.253:                              ;   in Loop: Header=BB177_51 Depth=1
	v_or_b32_e32 v3, 0x10000, v2
	v_cmp_eq_u32_sdwa s[0:1], v2, v27 src0_sel:WORD_0 src1_sel:DWORD
	v_cndmask_b32_e64 v87, v3, v2, s[0:1]
; %bb.254:                              ;   in Loop: Header=BB177_51 Depth=1
	s_or_b64 exec, exec, s[10:11]
	v_add_co_u32_e64 v2, s[0:1], v49, v31
	v_addc_co_u32_e64 v3, s[0:1], 0, v50, s[0:1]
	global_load_dwordx4 v[2:5], v[2:3], off
	s_waitcnt vmcnt(0)
	v_lshrrev_b32_e32 v89, 16, v2
	v_lshrrev_b32_e32 v91, 16, v3
	;; [unrolled: 1-line block ×4, first 2 shown]
	s_and_saveexec_b64 s[10:11], vcc
	s_cbranch_execz .LBB177_256
; %bb.255:                              ;   in Loop: Header=BB177_51 Depth=1
	v_cmp_gt_i32_e64 s[0:1], s33, v40
	v_cndmask_b32_e64 v2, 0, v2, s[0:1]
	v_cmp_gt_i32_e64 s[0:1], s33, v48
	v_cndmask_b32_e64 v89, 0, v89, s[0:1]
	;; [unrolled: 2-line block ×8, first 2 shown]
.LBB177_256:                            ;   in Loop: Header=BB177_51 Depth=1
	s_or_b64 exec, exec, s[10:11]
	v_lshlrev_b32_e32 v2, 16, v2
	v_mul_f32_e32 v2, v51, v2
	v_and_b32_e32 v88, 0x7f800000, v2
	v_cmp_ne_u32_e64 s[0:1], s20, v88
                                        ; implicit-def: $vgpr88
	s_and_saveexec_b64 s[10:11], s[0:1]
	s_xor_b64 s[0:1], exec, s[10:11]
; %bb.257:                              ;   in Loop: Header=BB177_51 Depth=1
	v_bfe_u32 v88, v2, 16, 1
	v_add3_u32 v88, v2, v88, s21
                                        ; implicit-def: $vgpr2
; %bb.258:                              ;   in Loop: Header=BB177_51 Depth=1
	s_andn2_saveexec_b64 s[10:11], s[0:1]
; %bb.259:                              ;   in Loop: Header=BB177_51 Depth=1
	v_or_b32_e32 v88, 0x10000, v2
	v_cmp_eq_u32_sdwa s[0:1], v2, v27 src0_sel:WORD_0 src1_sel:DWORD
	v_cndmask_b32_e64 v88, v88, v2, s[0:1]
; %bb.260:                              ;   in Loop: Header=BB177_51 Depth=1
	s_or_b64 exec, exec, s[10:11]
	v_lshlrev_b32_e32 v2, 16, v89
	v_mul_f32_e32 v2, v53, v2
	v_and_b32_e32 v89, 0x7f800000, v2
	v_cmp_ne_u32_e64 s[0:1], s20, v89
                                        ; implicit-def: $vgpr89
	s_and_saveexec_b64 s[10:11], s[0:1]
	s_xor_b64 s[0:1], exec, s[10:11]
; %bb.261:                              ;   in Loop: Header=BB177_51 Depth=1
	v_bfe_u32 v89, v2, 16, 1
	v_add3_u32 v89, v2, v89, s21
                                        ; implicit-def: $vgpr2
; %bb.262:                              ;   in Loop: Header=BB177_51 Depth=1
	s_andn2_saveexec_b64 s[10:11], s[0:1]
; %bb.263:                              ;   in Loop: Header=BB177_51 Depth=1
	v_or_b32_e32 v89, 0x10000, v2
	v_cmp_eq_u32_sdwa s[0:1], v2, v27 src0_sel:WORD_0 src1_sel:DWORD
	v_cndmask_b32_e64 v89, v89, v2, s[0:1]
; %bb.264:                              ;   in Loop: Header=BB177_51 Depth=1
	s_or_b64 exec, exec, s[10:11]
	v_lshlrev_b32_e32 v2, 16, v3
	v_mul_f32_e32 v2, v54, v2
	v_and_b32_e32 v3, 0x7f800000, v2
	v_cmp_ne_u32_e64 s[0:1], s20, v3
                                        ; implicit-def: $vgpr90
	s_and_saveexec_b64 s[10:11], s[0:1]
	s_xor_b64 s[0:1], exec, s[10:11]
; %bb.265:                              ;   in Loop: Header=BB177_51 Depth=1
	v_bfe_u32 v3, v2, 16, 1
	v_add3_u32 v90, v2, v3, s21
                                        ; implicit-def: $vgpr2
; %bb.266:                              ;   in Loop: Header=BB177_51 Depth=1
	s_andn2_saveexec_b64 s[10:11], s[0:1]
; %bb.267:                              ;   in Loop: Header=BB177_51 Depth=1
	v_or_b32_e32 v3, 0x10000, v2
	v_cmp_eq_u32_sdwa s[0:1], v2, v27 src0_sel:WORD_0 src1_sel:DWORD
	v_cndmask_b32_e64 v90, v3, v2, s[0:1]
; %bb.268:                              ;   in Loop: Header=BB177_51 Depth=1
	s_or_b64 exec, exec, s[10:11]
	v_lshlrev_b32_e32 v2, 16, v91
	v_mul_f32_e32 v2, v55, v2
	v_and_b32_e32 v3, 0x7f800000, v2
	v_cmp_ne_u32_e64 s[0:1], s20, v3
                                        ; implicit-def: $vgpr91
	s_and_saveexec_b64 s[10:11], s[0:1]
	s_xor_b64 s[0:1], exec, s[10:11]
; %bb.269:                              ;   in Loop: Header=BB177_51 Depth=1
	v_bfe_u32 v3, v2, 16, 1
	v_add3_u32 v91, v2, v3, s21
                                        ; implicit-def: $vgpr2
; %bb.270:                              ;   in Loop: Header=BB177_51 Depth=1
	s_andn2_saveexec_b64 s[10:11], s[0:1]
; %bb.271:                              ;   in Loop: Header=BB177_51 Depth=1
	v_or_b32_e32 v3, 0x10000, v2
	v_cmp_eq_u32_sdwa s[0:1], v2, v27 src0_sel:WORD_0 src1_sel:DWORD
	v_cndmask_b32_e64 v91, v3, v2, s[0:1]
; %bb.272:                              ;   in Loop: Header=BB177_51 Depth=1
	s_or_b64 exec, exec, s[10:11]
	v_lshlrev_b32_e32 v2, 16, v4
	v_mul_f32_e32 v2, v56, v2
	v_and_b32_e32 v3, 0x7f800000, v2
	v_cmp_ne_u32_e64 s[0:1], s20, v3
                                        ; implicit-def: $vgpr92
	s_and_saveexec_b64 s[10:11], s[0:1]
	s_xor_b64 s[0:1], exec, s[10:11]
; %bb.273:                              ;   in Loop: Header=BB177_51 Depth=1
	v_bfe_u32 v3, v2, 16, 1
	v_add3_u32 v92, v2, v3, s21
                                        ; implicit-def: $vgpr2
; %bb.274:                              ;   in Loop: Header=BB177_51 Depth=1
	s_andn2_saveexec_b64 s[10:11], s[0:1]
; %bb.275:                              ;   in Loop: Header=BB177_51 Depth=1
	v_or_b32_e32 v3, 0x10000, v2
	v_cmp_eq_u32_sdwa s[0:1], v2, v27 src0_sel:WORD_0 src1_sel:DWORD
	v_cndmask_b32_e64 v92, v3, v2, s[0:1]
; %bb.276:                              ;   in Loop: Header=BB177_51 Depth=1
	s_or_b64 exec, exec, s[10:11]
	v_lshlrev_b32_e32 v2, 16, v93
	v_mul_f32_e32 v2, v57, v2
	v_and_b32_e32 v3, 0x7f800000, v2
	v_cmp_ne_u32_e64 s[0:1], s20, v3
                                        ; implicit-def: $vgpr93
	s_and_saveexec_b64 s[10:11], s[0:1]
	s_xor_b64 s[0:1], exec, s[10:11]
; %bb.277:                              ;   in Loop: Header=BB177_51 Depth=1
	v_bfe_u32 v3, v2, 16, 1
	v_add3_u32 v93, v2, v3, s21
                                        ; implicit-def: $vgpr2
; %bb.278:                              ;   in Loop: Header=BB177_51 Depth=1
	s_andn2_saveexec_b64 s[10:11], s[0:1]
; %bb.279:                              ;   in Loop: Header=BB177_51 Depth=1
	v_or_b32_e32 v3, 0x10000, v2
	v_cmp_eq_u32_sdwa s[0:1], v2, v27 src0_sel:WORD_0 src1_sel:DWORD
	v_cndmask_b32_e64 v93, v3, v2, s[0:1]
; %bb.280:                              ;   in Loop: Header=BB177_51 Depth=1
	s_or_b64 exec, exec, s[10:11]
	v_lshlrev_b32_e32 v2, 16, v5
	v_mul_f32_e32 v2, v58, v2
	v_and_b32_e32 v3, 0x7f800000, v2
	v_cmp_ne_u32_e64 s[0:1], s20, v3
                                        ; implicit-def: $vgpr94
	s_and_saveexec_b64 s[10:11], s[0:1]
	s_xor_b64 s[0:1], exec, s[10:11]
; %bb.281:                              ;   in Loop: Header=BB177_51 Depth=1
	v_bfe_u32 v3, v2, 16, 1
	v_add3_u32 v94, v2, v3, s21
                                        ; implicit-def: $vgpr2
; %bb.282:                              ;   in Loop: Header=BB177_51 Depth=1
	s_andn2_saveexec_b64 s[10:11], s[0:1]
; %bb.283:                              ;   in Loop: Header=BB177_51 Depth=1
	v_or_b32_e32 v3, 0x10000, v2
	v_cmp_eq_u32_sdwa s[0:1], v2, v27 src0_sel:WORD_0 src1_sel:DWORD
	v_cndmask_b32_e64 v94, v3, v2, s[0:1]
; %bb.284:                              ;   in Loop: Header=BB177_51 Depth=1
	s_or_b64 exec, exec, s[10:11]
	v_lshlrev_b32_e32 v2, 16, v95
	v_mul_f32_e32 v2, v59, v2
	v_and_b32_e32 v3, 0x7f800000, v2
	v_cmp_ne_u32_e64 s[0:1], s20, v3
                                        ; implicit-def: $vgpr95
	s_and_saveexec_b64 s[10:11], s[0:1]
	s_xor_b64 s[0:1], exec, s[10:11]
; %bb.285:                              ;   in Loop: Header=BB177_51 Depth=1
	v_bfe_u32 v3, v2, 16, 1
	v_add3_u32 v95, v2, v3, s21
                                        ; implicit-def: $vgpr2
; %bb.286:                              ;   in Loop: Header=BB177_51 Depth=1
	s_andn2_saveexec_b64 s[10:11], s[0:1]
; %bb.287:                              ;   in Loop: Header=BB177_51 Depth=1
	v_or_b32_e32 v3, 0x10000, v2
	v_cmp_eq_u32_sdwa s[0:1], v2, v27 src0_sel:WORD_0 src1_sel:DWORD
	v_cndmask_b32_e64 v95, v3, v2, s[0:1]
; %bb.288:                              ;   in Loop: Header=BB177_51 Depth=1
	s_or_b64 exec, exec, s[10:11]
	v_add_co_u32_e64 v2, s[0:1], v49, v32
	v_addc_co_u32_e64 v3, s[0:1], 0, v50, s[0:1]
	global_load_dwordx4 v[2:5], v[2:3], off
	s_waitcnt vmcnt(0)
	v_lshrrev_b32_e32 v97, 16, v2
	v_lshrrev_b32_e32 v99, 16, v3
	;; [unrolled: 1-line block ×4, first 2 shown]
	s_and_saveexec_b64 s[10:11], vcc
	s_cbranch_execz .LBB177_290
; %bb.289:                              ;   in Loop: Header=BB177_51 Depth=1
	v_cmp_gt_i32_e64 s[0:1], s33, v40
	v_cndmask_b32_e64 v2, 0, v2, s[0:1]
	v_cmp_gt_i32_e64 s[0:1], s33, v48
	v_cndmask_b32_e64 v97, 0, v97, s[0:1]
	;; [unrolled: 2-line block ×8, first 2 shown]
.LBB177_290:                            ;   in Loop: Header=BB177_51 Depth=1
	s_or_b64 exec, exec, s[10:11]
	v_lshlrev_b32_e32 v2, 16, v2
	v_mul_f32_e32 v2, v51, v2
	v_and_b32_e32 v96, 0x7f800000, v2
	v_cmp_ne_u32_e64 s[0:1], s20, v96
                                        ; implicit-def: $vgpr96
	s_and_saveexec_b64 s[10:11], s[0:1]
	s_xor_b64 s[0:1], exec, s[10:11]
; %bb.291:                              ;   in Loop: Header=BB177_51 Depth=1
	v_bfe_u32 v96, v2, 16, 1
	v_add3_u32 v96, v2, v96, s21
                                        ; implicit-def: $vgpr2
; %bb.292:                              ;   in Loop: Header=BB177_51 Depth=1
	s_andn2_saveexec_b64 s[10:11], s[0:1]
; %bb.293:                              ;   in Loop: Header=BB177_51 Depth=1
	v_or_b32_e32 v96, 0x10000, v2
	v_cmp_eq_u32_sdwa s[0:1], v2, v27 src0_sel:WORD_0 src1_sel:DWORD
	v_cndmask_b32_e64 v96, v96, v2, s[0:1]
; %bb.294:                              ;   in Loop: Header=BB177_51 Depth=1
	s_or_b64 exec, exec, s[10:11]
	v_lshlrev_b32_e32 v2, 16, v97
	v_mul_f32_e32 v2, v53, v2
	v_and_b32_e32 v97, 0x7f800000, v2
	v_cmp_ne_u32_e64 s[0:1], s20, v97
                                        ; implicit-def: $vgpr97
	s_and_saveexec_b64 s[10:11], s[0:1]
	s_xor_b64 s[0:1], exec, s[10:11]
; %bb.295:                              ;   in Loop: Header=BB177_51 Depth=1
	v_bfe_u32 v97, v2, 16, 1
	v_add3_u32 v97, v2, v97, s21
                                        ; implicit-def: $vgpr2
; %bb.296:                              ;   in Loop: Header=BB177_51 Depth=1
	s_andn2_saveexec_b64 s[10:11], s[0:1]
; %bb.297:                              ;   in Loop: Header=BB177_51 Depth=1
	v_or_b32_e32 v97, 0x10000, v2
	v_cmp_eq_u32_sdwa s[0:1], v2, v27 src0_sel:WORD_0 src1_sel:DWORD
	v_cndmask_b32_e64 v97, v97, v2, s[0:1]
; %bb.298:                              ;   in Loop: Header=BB177_51 Depth=1
	s_or_b64 exec, exec, s[10:11]
	v_lshlrev_b32_e32 v2, 16, v3
	v_mul_f32_e32 v2, v54, v2
	v_and_b32_e32 v3, 0x7f800000, v2
	v_cmp_ne_u32_e64 s[0:1], s20, v3
                                        ; implicit-def: $vgpr98
	s_and_saveexec_b64 s[10:11], s[0:1]
	s_xor_b64 s[0:1], exec, s[10:11]
; %bb.299:                              ;   in Loop: Header=BB177_51 Depth=1
	v_bfe_u32 v3, v2, 16, 1
	v_add3_u32 v98, v2, v3, s21
                                        ; implicit-def: $vgpr2
; %bb.300:                              ;   in Loop: Header=BB177_51 Depth=1
	s_andn2_saveexec_b64 s[10:11], s[0:1]
; %bb.301:                              ;   in Loop: Header=BB177_51 Depth=1
	v_or_b32_e32 v3, 0x10000, v2
	v_cmp_eq_u32_sdwa s[0:1], v2, v27 src0_sel:WORD_0 src1_sel:DWORD
	v_cndmask_b32_e64 v98, v3, v2, s[0:1]
; %bb.302:                              ;   in Loop: Header=BB177_51 Depth=1
	s_or_b64 exec, exec, s[10:11]
	v_lshlrev_b32_e32 v2, 16, v99
	v_mul_f32_e32 v2, v55, v2
	v_and_b32_e32 v3, 0x7f800000, v2
	v_cmp_ne_u32_e64 s[0:1], s20, v3
                                        ; implicit-def: $vgpr99
	s_and_saveexec_b64 s[10:11], s[0:1]
	s_xor_b64 s[0:1], exec, s[10:11]
; %bb.303:                              ;   in Loop: Header=BB177_51 Depth=1
	v_bfe_u32 v3, v2, 16, 1
	v_add3_u32 v99, v2, v3, s21
                                        ; implicit-def: $vgpr2
; %bb.304:                              ;   in Loop: Header=BB177_51 Depth=1
	s_andn2_saveexec_b64 s[10:11], s[0:1]
; %bb.305:                              ;   in Loop: Header=BB177_51 Depth=1
	v_or_b32_e32 v3, 0x10000, v2
	v_cmp_eq_u32_sdwa s[0:1], v2, v27 src0_sel:WORD_0 src1_sel:DWORD
	v_cndmask_b32_e64 v99, v3, v2, s[0:1]
; %bb.306:                              ;   in Loop: Header=BB177_51 Depth=1
	s_or_b64 exec, exec, s[10:11]
	v_lshlrev_b32_e32 v2, 16, v4
	v_mul_f32_e32 v2, v56, v2
	v_and_b32_e32 v3, 0x7f800000, v2
	v_cmp_ne_u32_e64 s[0:1], s20, v3
                                        ; implicit-def: $vgpr100
	s_and_saveexec_b64 s[10:11], s[0:1]
	s_xor_b64 s[0:1], exec, s[10:11]
; %bb.307:                              ;   in Loop: Header=BB177_51 Depth=1
	v_bfe_u32 v3, v2, 16, 1
	v_add3_u32 v100, v2, v3, s21
                                        ; implicit-def: $vgpr2
; %bb.308:                              ;   in Loop: Header=BB177_51 Depth=1
	s_andn2_saveexec_b64 s[10:11], s[0:1]
; %bb.309:                              ;   in Loop: Header=BB177_51 Depth=1
	v_or_b32_e32 v3, 0x10000, v2
	v_cmp_eq_u32_sdwa s[0:1], v2, v27 src0_sel:WORD_0 src1_sel:DWORD
	v_cndmask_b32_e64 v100, v3, v2, s[0:1]
; %bb.310:                              ;   in Loop: Header=BB177_51 Depth=1
	s_or_b64 exec, exec, s[10:11]
	v_lshlrev_b32_e32 v2, 16, v101
	v_mul_f32_e32 v2, v57, v2
	v_and_b32_e32 v3, 0x7f800000, v2
	v_cmp_ne_u32_e64 s[0:1], s20, v3
                                        ; implicit-def: $vgpr101
	s_and_saveexec_b64 s[10:11], s[0:1]
	s_xor_b64 s[0:1], exec, s[10:11]
; %bb.311:                              ;   in Loop: Header=BB177_51 Depth=1
	v_bfe_u32 v3, v2, 16, 1
	v_add3_u32 v101, v2, v3, s21
                                        ; implicit-def: $vgpr2
; %bb.312:                              ;   in Loop: Header=BB177_51 Depth=1
	s_andn2_saveexec_b64 s[10:11], s[0:1]
; %bb.313:                              ;   in Loop: Header=BB177_51 Depth=1
	v_or_b32_e32 v3, 0x10000, v2
	v_cmp_eq_u32_sdwa s[0:1], v2, v27 src0_sel:WORD_0 src1_sel:DWORD
	v_cndmask_b32_e64 v101, v3, v2, s[0:1]
; %bb.314:                              ;   in Loop: Header=BB177_51 Depth=1
	s_or_b64 exec, exec, s[10:11]
	v_lshlrev_b32_e32 v2, 16, v5
	v_mul_f32_e32 v2, v58, v2
	v_and_b32_e32 v3, 0x7f800000, v2
	v_cmp_ne_u32_e64 s[0:1], s20, v3
                                        ; implicit-def: $vgpr102
	s_and_saveexec_b64 s[10:11], s[0:1]
	s_xor_b64 s[0:1], exec, s[10:11]
; %bb.315:                              ;   in Loop: Header=BB177_51 Depth=1
	v_bfe_u32 v3, v2, 16, 1
	v_add3_u32 v102, v2, v3, s21
                                        ; implicit-def: $vgpr2
; %bb.316:                              ;   in Loop: Header=BB177_51 Depth=1
	s_andn2_saveexec_b64 s[10:11], s[0:1]
; %bb.317:                              ;   in Loop: Header=BB177_51 Depth=1
	v_or_b32_e32 v3, 0x10000, v2
	v_cmp_eq_u32_sdwa s[0:1], v2, v27 src0_sel:WORD_0 src1_sel:DWORD
	v_cndmask_b32_e64 v102, v3, v2, s[0:1]
; %bb.318:                              ;   in Loop: Header=BB177_51 Depth=1
	s_or_b64 exec, exec, s[10:11]
	v_lshlrev_b32_e32 v2, 16, v103
	v_mul_f32_e32 v2, v59, v2
	v_and_b32_e32 v3, 0x7f800000, v2
	v_cmp_ne_u32_e64 s[0:1], s20, v3
                                        ; implicit-def: $vgpr103
	s_and_saveexec_b64 s[10:11], s[0:1]
	s_xor_b64 s[0:1], exec, s[10:11]
; %bb.319:                              ;   in Loop: Header=BB177_51 Depth=1
	v_bfe_u32 v3, v2, 16, 1
	v_add3_u32 v103, v2, v3, s21
                                        ; implicit-def: $vgpr2
; %bb.320:                              ;   in Loop: Header=BB177_51 Depth=1
	s_andn2_saveexec_b64 s[10:11], s[0:1]
; %bb.321:                              ;   in Loop: Header=BB177_51 Depth=1
	v_or_b32_e32 v3, 0x10000, v2
	v_cmp_eq_u32_sdwa s[0:1], v2, v27 src0_sel:WORD_0 src1_sel:DWORD
	v_cndmask_b32_e64 v103, v3, v2, s[0:1]
; %bb.322:                              ;   in Loop: Header=BB177_51 Depth=1
	s_or_b64 exec, exec, s[10:11]
	v_add_co_u32_e64 v2, s[0:1], v49, v33
	v_addc_co_u32_e64 v3, s[0:1], 0, v50, s[0:1]
	global_load_dwordx4 v[2:5], v[2:3], off
	s_waitcnt vmcnt(0)
	v_lshrrev_b32_e32 v105, 16, v2
	v_lshrrev_b32_e32 v104, 16, v3
	;; [unrolled: 1-line block ×4, first 2 shown]
	s_and_saveexec_b64 s[0:1], vcc
	s_cbranch_execz .LBB177_324
; %bb.323:                              ;   in Loop: Header=BB177_51 Depth=1
	v_cmp_gt_i32_e32 vcc, s33, v40
	v_cndmask_b32_e32 v2, 0, v2, vcc
	v_cmp_gt_i32_e32 vcc, s33, v48
	v_cndmask_b32_e32 v105, 0, v105, vcc
	v_cmp_gt_i32_e32 vcc, s33, v47
	v_cndmask_b32_e32 v3, 0, v3, vcc
	v_cmp_gt_i32_e32 vcc, s33, v45
	v_cndmask_b32_e32 v104, 0, v104, vcc
	v_cmp_gt_i32_e32 vcc, s33, v44
	v_cndmask_b32_e32 v4, 0, v4, vcc
	v_cmp_gt_i32_e32 vcc, s33, v43
	v_cndmask_b32_e32 v50, 0, v50, vcc
	v_cmp_gt_i32_e32 vcc, s33, v42
	v_cndmask_b32_e32 v5, 0, v5, vcc
	v_cmp_gt_i32_e32 vcc, s33, v46
	v_cndmask_b32_e32 v49, 0, v49, vcc
.LBB177_324:                            ;   in Loop: Header=BB177_51 Depth=1
	s_or_b64 exec, exec, s[0:1]
	v_lshlrev_b32_e32 v2, 16, v2
	v_mul_f32_e32 v40, v51, v2
	v_and_b32_e32 v2, 0x7f800000, v40
	v_cmp_ne_u32_e32 vcc, s20, v2
                                        ; implicit-def: $vgpr2
	s_and_saveexec_b64 s[0:1], vcc
	s_xor_b64 s[0:1], exec, s[0:1]
; %bb.325:                              ;   in Loop: Header=BB177_51 Depth=1
	v_bfe_u32 v2, v40, 16, 1
	v_add3_u32 v2, v40, v2, s21
                                        ; implicit-def: $vgpr40
; %bb.326:                              ;   in Loop: Header=BB177_51 Depth=1
	s_andn2_saveexec_b64 s[0:1], s[0:1]
; %bb.327:                              ;   in Loop: Header=BB177_51 Depth=1
	v_or_b32_e32 v2, 0x10000, v40
	v_cmp_eq_u32_sdwa vcc, v40, v27 src0_sel:WORD_0 src1_sel:DWORD
	v_cndmask_b32_e32 v2, v2, v40, vcc
; %bb.328:                              ;   in Loop: Header=BB177_51 Depth=1
	s_or_b64 exec, exec, s[0:1]
	v_lshlrev_b32_e32 v40, 16, v105
	v_mul_f32_e32 v42, v53, v40
	v_and_b32_e32 v40, 0x7f800000, v42
	v_cmp_ne_u32_e32 vcc, s20, v40
                                        ; implicit-def: $vgpr40
	s_and_saveexec_b64 s[0:1], vcc
	s_xor_b64 s[0:1], exec, s[0:1]
; %bb.329:                              ;   in Loop: Header=BB177_51 Depth=1
	v_bfe_u32 v40, v42, 16, 1
	v_add3_u32 v40, v42, v40, s21
                                        ; implicit-def: $vgpr42
; %bb.330:                              ;   in Loop: Header=BB177_51 Depth=1
	s_andn2_saveexec_b64 s[0:1], s[0:1]
; %bb.331:                              ;   in Loop: Header=BB177_51 Depth=1
	v_or_b32_e32 v40, 0x10000, v42
	v_cmp_eq_u32_sdwa vcc, v42, v27 src0_sel:WORD_0 src1_sel:DWORD
	v_cndmask_b32_e32 v40, v40, v42, vcc
; %bb.332:                              ;   in Loop: Header=BB177_51 Depth=1
	s_or_b64 exec, exec, s[0:1]
	v_lshlrev_b32_e32 v3, 16, v3
	v_mul_f32_e32 v42, v54, v3
	v_and_b32_e32 v3, 0x7f800000, v42
	v_cmp_ne_u32_e32 vcc, s20, v3
                                        ; implicit-def: $vgpr3
	s_and_saveexec_b64 s[0:1], vcc
	s_xor_b64 s[0:1], exec, s[0:1]
; %bb.333:                              ;   in Loop: Header=BB177_51 Depth=1
	v_bfe_u32 v3, v42, 16, 1
	v_add3_u32 v3, v42, v3, s21
                                        ; implicit-def: $vgpr42
; %bb.334:                              ;   in Loop: Header=BB177_51 Depth=1
	s_andn2_saveexec_b64 s[0:1], s[0:1]
; %bb.335:                              ;   in Loop: Header=BB177_51 Depth=1
	v_or_b32_e32 v3, 0x10000, v42
	v_cmp_eq_u32_sdwa vcc, v42, v27 src0_sel:WORD_0 src1_sel:DWORD
	v_cndmask_b32_e32 v3, v3, v42, vcc
; %bb.336:                              ;   in Loop: Header=BB177_51 Depth=1
	s_or_b64 exec, exec, s[0:1]
	v_lshlrev_b32_e32 v42, 16, v104
	v_mul_f32_e32 v43, v55, v42
	v_and_b32_e32 v42, 0x7f800000, v43
	v_cmp_ne_u32_e32 vcc, s20, v42
                                        ; implicit-def: $vgpr42
	s_and_saveexec_b64 s[0:1], vcc
	s_xor_b64 s[0:1], exec, s[0:1]
; %bb.337:                              ;   in Loop: Header=BB177_51 Depth=1
	v_bfe_u32 v42, v43, 16, 1
	v_add3_u32 v42, v43, v42, s21
                                        ; implicit-def: $vgpr43
; %bb.338:                              ;   in Loop: Header=BB177_51 Depth=1
	s_andn2_saveexec_b64 s[0:1], s[0:1]
; %bb.339:                              ;   in Loop: Header=BB177_51 Depth=1
	v_or_b32_e32 v42, 0x10000, v43
	v_cmp_eq_u32_sdwa vcc, v43, v27 src0_sel:WORD_0 src1_sel:DWORD
	v_cndmask_b32_e32 v42, v42, v43, vcc
; %bb.340:                              ;   in Loop: Header=BB177_51 Depth=1
	s_or_b64 exec, exec, s[0:1]
	v_lshlrev_b32_e32 v4, 16, v4
	v_mul_f32_e32 v43, v56, v4
	v_and_b32_e32 v4, 0x7f800000, v43
	v_cmp_ne_u32_e32 vcc, s20, v4
                                        ; implicit-def: $vgpr4
	s_and_saveexec_b64 s[0:1], vcc
	s_xor_b64 s[0:1], exec, s[0:1]
; %bb.341:                              ;   in Loop: Header=BB177_51 Depth=1
	v_bfe_u32 v4, v43, 16, 1
	v_add3_u32 v4, v43, v4, s21
                                        ; implicit-def: $vgpr43
; %bb.342:                              ;   in Loop: Header=BB177_51 Depth=1
	s_andn2_saveexec_b64 s[0:1], s[0:1]
; %bb.343:                              ;   in Loop: Header=BB177_51 Depth=1
	v_or_b32_e32 v4, 0x10000, v43
	v_cmp_eq_u32_sdwa vcc, v43, v27 src0_sel:WORD_0 src1_sel:DWORD
	v_cndmask_b32_e32 v4, v4, v43, vcc
; %bb.344:                              ;   in Loop: Header=BB177_51 Depth=1
	s_or_b64 exec, exec, s[0:1]
	v_lshlrev_b32_e32 v43, 16, v50
	v_mul_f32_e32 v44, v57, v43
	v_and_b32_e32 v43, 0x7f800000, v44
	v_cmp_ne_u32_e32 vcc, s20, v43
                                        ; implicit-def: $vgpr43
	s_and_saveexec_b64 s[0:1], vcc
	s_xor_b64 s[0:1], exec, s[0:1]
; %bb.345:                              ;   in Loop: Header=BB177_51 Depth=1
	v_bfe_u32 v43, v44, 16, 1
	v_add3_u32 v43, v44, v43, s21
                                        ; implicit-def: $vgpr44
; %bb.346:                              ;   in Loop: Header=BB177_51 Depth=1
	s_andn2_saveexec_b64 s[0:1], s[0:1]
; %bb.347:                              ;   in Loop: Header=BB177_51 Depth=1
	v_or_b32_e32 v43, 0x10000, v44
	v_cmp_eq_u32_sdwa vcc, v44, v27 src0_sel:WORD_0 src1_sel:DWORD
	v_cndmask_b32_e32 v43, v43, v44, vcc
; %bb.348:                              ;   in Loop: Header=BB177_51 Depth=1
	s_or_b64 exec, exec, s[0:1]
	v_lshlrev_b32_e32 v5, 16, v5
	v_mul_f32_e32 v44, v58, v5
	v_and_b32_e32 v5, 0x7f800000, v44
	v_cmp_ne_u32_e32 vcc, s20, v5
                                        ; implicit-def: $vgpr5
	s_and_saveexec_b64 s[0:1], vcc
	s_xor_b64 s[0:1], exec, s[0:1]
; %bb.349:                              ;   in Loop: Header=BB177_51 Depth=1
	v_bfe_u32 v5, v44, 16, 1
	v_add3_u32 v5, v44, v5, s21
                                        ; implicit-def: $vgpr44
; %bb.350:                              ;   in Loop: Header=BB177_51 Depth=1
	s_andn2_saveexec_b64 s[0:1], s[0:1]
; %bb.351:                              ;   in Loop: Header=BB177_51 Depth=1
	v_or_b32_e32 v5, 0x10000, v44
	v_cmp_eq_u32_sdwa vcc, v44, v27 src0_sel:WORD_0 src1_sel:DWORD
	v_cndmask_b32_e32 v5, v5, v44, vcc
; %bb.352:                              ;   in Loop: Header=BB177_51 Depth=1
	s_or_b64 exec, exec, s[0:1]
	v_lshlrev_b32_e32 v44, 16, v49
	v_mul_f32_e32 v45, v59, v44
	v_and_b32_e32 v44, 0x7f800000, v45
	v_cmp_ne_u32_e32 vcc, s20, v44
                                        ; implicit-def: $vgpr44
	s_and_saveexec_b64 s[0:1], vcc
	s_xor_b64 s[0:1], exec, s[0:1]
; %bb.353:                              ;   in Loop: Header=BB177_51 Depth=1
	v_bfe_u32 v44, v45, 16, 1
	v_add3_u32 v44, v45, v44, s21
                                        ; implicit-def: $vgpr45
; %bb.354:                              ;   in Loop: Header=BB177_51 Depth=1
	s_andn2_saveexec_b64 s[0:1], s[0:1]
	s_cbranch_execz .LBB177_49
; %bb.355:                              ;   in Loop: Header=BB177_51 Depth=1
	v_or_b32_e32 v44, 0x10000, v45
	v_cmp_eq_u32_sdwa vcc, v45, v27 src0_sel:WORD_0 src1_sel:DWORD
	v_cndmask_b32_e32 v44, v44, v45, vcc
	s_branch .LBB177_49
.LBB177_356:
	s_or_b64 exec, exec, s[4:5]
.LBB177_357:
	s_or_b64 exec, exec, s[2:3]
	ds_bpermute_b32 v4, v23, v16
	ds_bpermute_b32 v5, v23, v17
	;; [unrolled: 1-line block ×6, first 2 shown]
	s_waitcnt lgkmcnt(4)
	v_pk_add_f32 v[4:5], v[16:17], v[4:5]
	ds_bpermute_b32 v16, v23, v12
	ds_bpermute_b32 v17, v23, v13
	s_waitcnt lgkmcnt(4)
	v_pk_add_f32 v[2:3], v[18:19], v[2:3]
	s_waitcnt lgkmcnt(2)
	v_pk_add_f32 v[14:15], v[14:15], v[8:9]
	ds_bpermute_b32 v6, v24, v2
	ds_bpermute_b32 v7, v24, v3
	s_waitcnt lgkmcnt(2)
	v_pk_add_f32 v[12:13], v[12:13], v[16:17]
	ds_bpermute_b32 v10, v24, v4
	ds_bpermute_b32 v11, v24, v5
	;; [unrolled: 1-line block ×6, first 2 shown]
	v_and_b32_e32 v1, 0x3c3, v0
	s_waitcnt lgkmcnt(6)
	v_pk_add_f32 v[8:9], v[2:3], v[6:7]
	s_waitcnt lgkmcnt(4)
	v_pk_add_f32 v[4:5], v[4:5], v[10:11]
	;; [unrolled: 2-line block ×4, first 2 shown]
	v_cmp_eq_u32_e32 vcc, 64, v1
	s_barrier
	s_and_saveexec_b64 s[0:1], vcc
	s_cbranch_execz .LBB177_359
; %bb.358:
	v_add_u32_e32 v1, 0x110, v22
	ds_write2_b32 v1, v8, v9 offset1:16
	ds_write2_b32 v1, v4, v5 offset0:32 offset1:48
	ds_write2_b32 v1, v2, v3 offset0:64 offset1:80
	;; [unrolled: 1-line block ×3, first 2 shown]
.LBB177_359:
	s_or_b64 exec, exec, s[0:1]
	v_cmp_gt_u32_e32 vcc, 64, v0
	s_waitcnt lgkmcnt(0)
	s_barrier
	s_and_saveexec_b64 s[2:3], vcc
	s_cbranch_execz .LBB177_370
; %bb.360:
	v_cmp_eq_u32_e64 s[0:1], 0, v25
	v_lshrrev_b32_e32 v1, 2, v0
	s_and_saveexec_b64 s[4:5], s[0:1]
	s_cbranch_execnz .LBB177_406
; %bb.361:
	s_or_b64 exec, exec, s[4:5]
	s_and_saveexec_b64 s[4:5], s[0:1]
	s_cbranch_execnz .LBB177_407
.LBB177_362:
	s_or_b64 exec, exec, s[4:5]
	s_and_saveexec_b64 s[4:5], s[0:1]
	s_cbranch_execnz .LBB177_408
.LBB177_363:
	s_or_b64 exec, exec, s[4:5]
	s_and_saveexec_b64 s[4:5], s[0:1]
	s_cbranch_execnz .LBB177_409
.LBB177_364:
	s_or_b64 exec, exec, s[4:5]
	s_and_saveexec_b64 s[4:5], s[0:1]
	s_cbranch_execnz .LBB177_410
.LBB177_365:
	s_or_b64 exec, exec, s[4:5]
	s_and_saveexec_b64 s[4:5], s[0:1]
	s_cbranch_execnz .LBB177_411
.LBB177_366:
	s_or_b64 exec, exec, s[4:5]
	s_and_saveexec_b64 s[4:5], s[0:1]
	s_cbranch_execnz .LBB177_412
.LBB177_367:
	s_or_b64 exec, exec, s[4:5]
	s_and_saveexec_b64 s[4:5], s[0:1]
	s_cbranch_execz .LBB177_369
.LBB177_368:
	v_mov_b32_e32 v10, 0x110
	v_lshl_add_u32 v1, v1, 2, v10
	ds_read_b32 v1, v1 offset:448
	s_waitcnt lgkmcnt(0)
	v_add_f32_e32 v7, v7, v1
.LBB177_369:
	s_or_b64 exec, exec, s[4:5]
.LBB177_370:
	s_or_b64 exec, exec, s[2:3]
	s_barrier
	s_and_saveexec_b64 s[0:1], vcc
	s_cbranch_execz .LBB177_405
; %bb.371:
	v_cmp_eq_u32_e32 vcc, 0, v25
	s_and_b64 exec, exec, vcc
	s_cbranch_execz .LBB177_405
; %bb.372:
	s_mov_b32 s0, 0x7f800000
	v_and_b32_e32 v1, 0x7f800000, v8
	v_cmp_ne_u32_e32 vcc, s0, v1
                                        ; implicit-def: $vgpr1
	s_and_saveexec_b64 s[0:1], vcc
	s_xor_b64 s[0:1], exec, s[0:1]
; %bb.373:
	v_bfe_u32 v1, v8, 16, 1
	s_movk_i32 s2, 0x7fff
	v_add3_u32 v1, v8, v1, s2
; %bb.374:
	s_andn2_saveexec_b64 s[0:1], s[0:1]
; %bb.375:
	v_mov_b32_e32 v1, 0
	v_or_b32_e32 v10, 0x10000, v8
	v_cmp_eq_u32_sdwa vcc, v8, v1 src0_sel:WORD_0 src1_sel:DWORD
	v_cndmask_b32_e32 v1, v10, v8, vcc
; %bb.376:
	s_or_b64 exec, exec, s[0:1]
	s_mul_i32 s0, s12, s24
	s_mul_i32 s0, s0, s25
	s_lshl_b32 s0, s0, 7
	s_ashr_i32 s1, s0, 31
	s_lshl_b64 s[0:1], s[0:1], 1
	s_add_u32 s2, s28, s0
	s_mul_i32 s0, s12, s26
	s_addc_u32 s3, s29, s1
	s_ashr_i32 s1, s0, 31
	s_lshl_b64 s[0:1], s[0:1], 1
	s_add_u32 s2, s2, s0
	s_addc_u32 s3, s3, s1
	s_lshl_b32 s0, s8, 7
	s_ashr_i32 s1, s0, 31
	s_lshl_b64 s[0:1], s[0:1], 1
	s_add_u32 s0, s2, s0
	v_lshrrev_b32_e32 v0, 1, v0
	s_addc_u32 s1, s3, s1
	v_and_b32_e32 v0, 0x1fe, v0
	v_mov_b32_e32 v8, s1
	v_add_co_u32_e32 v10, vcc, s0, v0
	v_addc_co_u32_e32 v11, vcc, 0, v8, vcc
	global_store_short_d16_hi v0, v1, s[0:1]
	s_mov_b32 s0, 0x7f800000
	v_and_b32_e32 v0, 0x7f800000, v9
	v_cmp_ne_u32_e32 vcc, s0, v0
                                        ; implicit-def: $vgpr0
	s_and_saveexec_b64 s[0:1], vcc
	s_xor_b64 s[0:1], exec, s[0:1]
; %bb.377:
	v_bfe_u32 v0, v9, 16, 1
	s_movk_i32 s2, 0x7fff
	v_add3_u32 v0, v9, v0, s2
; %bb.378:
	s_andn2_saveexec_b64 s[0:1], s[0:1]
; %bb.379:
	v_mov_b32_e32 v0, 0
	v_or_b32_e32 v1, 0x10000, v9
	v_cmp_eq_u32_sdwa vcc, v9, v0 src0_sel:WORD_0 src1_sel:DWORD
	v_cndmask_b32_e32 v0, v1, v9, vcc
; %bb.380:
	s_or_b64 exec, exec, s[0:1]
	global_store_short_d16_hi v[10:11], v0, off offset:32
	s_mov_b32 s0, 0x7f800000
	v_and_b32_e32 v0, 0x7f800000, v4
	v_cmp_ne_u32_e32 vcc, s0, v0
                                        ; implicit-def: $vgpr0
	s_and_saveexec_b64 s[0:1], vcc
	s_xor_b64 s[0:1], exec, s[0:1]
; %bb.381:
	v_bfe_u32 v0, v4, 16, 1
	s_movk_i32 s2, 0x7fff
	v_add3_u32 v0, v4, v0, s2
; %bb.382:
	s_andn2_saveexec_b64 s[0:1], s[0:1]
; %bb.383:
	v_mov_b32_e32 v0, 0
	v_or_b32_e32 v1, 0x10000, v4
	v_cmp_eq_u32_sdwa vcc, v4, v0 src0_sel:WORD_0 src1_sel:DWORD
	v_cndmask_b32_e32 v0, v1, v4, vcc
; %bb.384:
	s_or_b64 exec, exec, s[0:1]
	global_store_short_d16_hi v[10:11], v0, off offset:64
	;; [unrolled: 20-line block ×6, first 2 shown]
	s_mov_b32 s0, 0x7f800000
	v_and_b32_e32 v0, 0x7f800000, v7
	v_cmp_ne_u32_e32 vcc, s0, v0
                                        ; implicit-def: $vgpr8
	s_and_saveexec_b64 s[0:1], vcc
	s_xor_b64 s[0:1], exec, s[0:1]
; %bb.401:
	v_bfe_u32 v0, v7, 16, 1
	s_movk_i32 s2, 0x7fff
	v_add3_u32 v8, v7, v0, s2
                                        ; implicit-def: $vgpr0_vgpr1_vgpr2_vgpr3_vgpr4_vgpr5_vgpr6_vgpr7
; %bb.402:
	s_andn2_saveexec_b64 s[0:1], s[0:1]
; %bb.403:
	v_mov_b32_e32 v0, 0
	v_or_b32_e32 v1, 0x10000, v7
	v_cmp_eq_u32_sdwa vcc, v7, v0 src0_sel:WORD_0 src1_sel:DWORD
	v_cndmask_b32_e32 v8, v1, v7, vcc
; %bb.404:
	s_or_b64 exec, exec, s[0:1]
	global_store_short_d16_hi v[10:11], v8, off offset:224
.LBB177_405:
	s_endpgm
.LBB177_406:
	v_mov_b32_e32 v10, 0x110
	v_lshl_add_u32 v10, v1, 2, v10
	ds_read_b32 v10, v10
	s_waitcnt lgkmcnt(0)
	v_add_f32_e32 v8, v8, v10
	s_or_b64 exec, exec, s[4:5]
	s_and_saveexec_b64 s[4:5], s[0:1]
	s_cbranch_execz .LBB177_362
.LBB177_407:
	v_mov_b32_e32 v10, 0x110
	v_lshl_add_u32 v10, v1, 2, v10
	ds_read_b32 v10, v10 offset:64
	s_waitcnt lgkmcnt(0)
	v_add_f32_e32 v9, v9, v10
	s_or_b64 exec, exec, s[4:5]
	s_and_saveexec_b64 s[4:5], s[0:1]
	s_cbranch_execz .LBB177_363
.LBB177_408:
	v_mov_b32_e32 v10, 0x110
	v_lshl_add_u32 v10, v1, 2, v10
	ds_read_b32 v10, v10 offset:128
	s_waitcnt lgkmcnt(0)
	v_add_f32_e32 v4, v4, v10
	s_or_b64 exec, exec, s[4:5]
	s_and_saveexec_b64 s[4:5], s[0:1]
	s_cbranch_execz .LBB177_364
.LBB177_409:
	v_mov_b32_e32 v10, 0x110
	v_lshl_add_u32 v10, v1, 2, v10
	ds_read_b32 v10, v10 offset:192
	s_waitcnt lgkmcnt(0)
	v_add_f32_e32 v5, v5, v10
	s_or_b64 exec, exec, s[4:5]
	s_and_saveexec_b64 s[4:5], s[0:1]
	s_cbranch_execz .LBB177_365
.LBB177_410:
	v_mov_b32_e32 v10, 0x110
	v_lshl_add_u32 v10, v1, 2, v10
	ds_read_b32 v10, v10 offset:256
	s_waitcnt lgkmcnt(0)
	v_add_f32_e32 v2, v2, v10
	s_or_b64 exec, exec, s[4:5]
	s_and_saveexec_b64 s[4:5], s[0:1]
	s_cbranch_execz .LBB177_366
.LBB177_411:
	v_mov_b32_e32 v10, 0x110
	v_lshl_add_u32 v10, v1, 2, v10
	ds_read_b32 v10, v10 offset:320
	s_waitcnt lgkmcnt(0)
	v_add_f32_e32 v3, v3, v10
	s_or_b64 exec, exec, s[4:5]
	s_and_saveexec_b64 s[4:5], s[0:1]
	s_cbranch_execz .LBB177_367
.LBB177_412:
	v_mov_b32_e32 v10, 0x110
	v_lshl_add_u32 v10, v1, 2, v10
	ds_read_b32 v10, v10 offset:384
	s_waitcnt lgkmcnt(0)
	v_add_f32_e32 v6, v6, v10
	s_or_b64 exec, exec, s[4:5]
	s_and_saveexec_b64 s[4:5], s[0:1]
	s_cbranch_execnz .LBB177_368
	s_branch .LBB177_369
	.section	.rodata,"a",@progbits
	.p2align	6, 0x0
	.amdhsa_kernel _ZN4vllm25paged_attention_v2_kernelI14__hip_bfloat16S1_Li128ELi32ELi128ELNS_18Fp8KVCacheDataTypeE0ELb1ELi512EEEvPfS3_PT_PKS4_PKT0_SA_ifPKiSC_iPKfiiiSE_SE_iiiii
		.amdhsa_group_segment_fixed_size 272
		.amdhsa_private_segment_fixed_size 0
		.amdhsa_kernarg_size 400
		.amdhsa_user_sgpr_count 6
		.amdhsa_user_sgpr_private_segment_buffer 1
		.amdhsa_user_sgpr_dispatch_ptr 0
		.amdhsa_user_sgpr_queue_ptr 0
		.amdhsa_user_sgpr_kernarg_segment_ptr 1
		.amdhsa_user_sgpr_dispatch_id 0
		.amdhsa_user_sgpr_flat_scratch_init 0
		.amdhsa_user_sgpr_kernarg_preload_length 0
		.amdhsa_user_sgpr_kernarg_preload_offset 0
		.amdhsa_user_sgpr_private_segment_size 0
		.amdhsa_uses_dynamic_stack 0
		.amdhsa_system_sgpr_private_segment_wavefront_offset 0
		.amdhsa_system_sgpr_workgroup_id_x 1
		.amdhsa_system_sgpr_workgroup_id_y 1
		.amdhsa_system_sgpr_workgroup_id_z 1
		.amdhsa_system_sgpr_workgroup_info 0
		.amdhsa_system_vgpr_workitem_id 0
		.amdhsa_next_free_vgpr 106
		.amdhsa_next_free_sgpr 53
		.amdhsa_accum_offset 108
		.amdhsa_reserve_vcc 1
		.amdhsa_reserve_flat_scratch 0
		.amdhsa_float_round_mode_32 0
		.amdhsa_float_round_mode_16_64 0
		.amdhsa_float_denorm_mode_32 3
		.amdhsa_float_denorm_mode_16_64 3
		.amdhsa_dx10_clamp 1
		.amdhsa_ieee_mode 1
		.amdhsa_fp16_overflow 0
		.amdhsa_tg_split 0
		.amdhsa_exception_fp_ieee_invalid_op 0
		.amdhsa_exception_fp_denorm_src 0
		.amdhsa_exception_fp_ieee_div_zero 0
		.amdhsa_exception_fp_ieee_overflow 0
		.amdhsa_exception_fp_ieee_underflow 0
		.amdhsa_exception_fp_ieee_inexact 0
		.amdhsa_exception_int_div_zero 0
	.end_amdhsa_kernel
	.section	.text._ZN4vllm25paged_attention_v2_kernelI14__hip_bfloat16S1_Li128ELi32ELi128ELNS_18Fp8KVCacheDataTypeE0ELb1ELi512EEEvPfS3_PT_PKS4_PKT0_SA_ifPKiSC_iPKfiiiSE_SE_iiiii,"axG",@progbits,_ZN4vllm25paged_attention_v2_kernelI14__hip_bfloat16S1_Li128ELi32ELi128ELNS_18Fp8KVCacheDataTypeE0ELb1ELi512EEEvPfS3_PT_PKS4_PKT0_SA_ifPKiSC_iPKfiiiSE_SE_iiiii,comdat
.Lfunc_end177:
	.size	_ZN4vllm25paged_attention_v2_kernelI14__hip_bfloat16S1_Li128ELi32ELi128ELNS_18Fp8KVCacheDataTypeE0ELb1ELi512EEEvPfS3_PT_PKS4_PKT0_SA_ifPKiSC_iPKfiiiSE_SE_iiiii, .Lfunc_end177-_ZN4vllm25paged_attention_v2_kernelI14__hip_bfloat16S1_Li128ELi32ELi128ELNS_18Fp8KVCacheDataTypeE0ELb1ELi512EEEvPfS3_PT_PKS4_PKT0_SA_ifPKiSC_iPKfiiiSE_SE_iiiii
                                        ; -- End function
	.section	.AMDGPU.csdata,"",@progbits
; Kernel info:
; codeLenInByte = 14328
; NumSgprs: 57
; NumVgprs: 106
; NumAgprs: 0
; TotalNumVgprs: 106
; ScratchSize: 0
; MemoryBound: 0
; FloatMode: 240
; IeeeMode: 1
; LDSByteSize: 272 bytes/workgroup (compile time only)
; SGPRBlocks: 7
; VGPRBlocks: 13
; NumSGPRsForWavesPerEU: 57
; NumVGPRsForWavesPerEU: 106
; AccumOffset: 108
; Occupancy: 4
; WaveLimiterHint : 1
; COMPUTE_PGM_RSRC2:SCRATCH_EN: 0
; COMPUTE_PGM_RSRC2:USER_SGPR: 6
; COMPUTE_PGM_RSRC2:TRAP_HANDLER: 0
; COMPUTE_PGM_RSRC2:TGID_X_EN: 1
; COMPUTE_PGM_RSRC2:TGID_Y_EN: 1
; COMPUTE_PGM_RSRC2:TGID_Z_EN: 1
; COMPUTE_PGM_RSRC2:TIDIG_COMP_CNT: 0
; COMPUTE_PGM_RSRC3_GFX90A:ACCUM_OFFSET: 26
; COMPUTE_PGM_RSRC3_GFX90A:TG_SPLIT: 0
	.section	.text._ZN4vllm25paged_attention_v2_kernelI14__hip_bfloat16S1_Li192ELi32ELi128ELNS_18Fp8KVCacheDataTypeE0ELb1ELi512EEEvPfS3_PT_PKS4_PKT0_SA_ifPKiSC_iPKfiiiSE_SE_iiiii,"axG",@progbits,_ZN4vllm25paged_attention_v2_kernelI14__hip_bfloat16S1_Li192ELi32ELi128ELNS_18Fp8KVCacheDataTypeE0ELb1ELi512EEEvPfS3_PT_PKS4_PKT0_SA_ifPKiSC_iPKfiiiSE_SE_iiiii,comdat
	.protected	_ZN4vllm25paged_attention_v2_kernelI14__hip_bfloat16S1_Li192ELi32ELi128ELNS_18Fp8KVCacheDataTypeE0ELb1ELi512EEEvPfS3_PT_PKS4_PKT0_SA_ifPKiSC_iPKfiiiSE_SE_iiiii ; -- Begin function _ZN4vllm25paged_attention_v2_kernelI14__hip_bfloat16S1_Li192ELi32ELi128ELNS_18Fp8KVCacheDataTypeE0ELb1ELi512EEEvPfS3_PT_PKS4_PKT0_SA_ifPKiSC_iPKfiiiSE_SE_iiiii
	.globl	_ZN4vllm25paged_attention_v2_kernelI14__hip_bfloat16S1_Li192ELi32ELi128ELNS_18Fp8KVCacheDataTypeE0ELb1ELi512EEEvPfS3_PT_PKS4_PKT0_SA_ifPKiSC_iPKfiiiSE_SE_iiiii
	.p2align	8
	.type	_ZN4vllm25paged_attention_v2_kernelI14__hip_bfloat16S1_Li192ELi32ELi128ELNS_18Fp8KVCacheDataTypeE0ELb1ELi512EEEvPfS3_PT_PKS4_PKT0_SA_ifPKiSC_iPKfiiiSE_SE_iiiii,@function
_ZN4vllm25paged_attention_v2_kernelI14__hip_bfloat16S1_Li192ELi32ELi128ELNS_18Fp8KVCacheDataTypeE0ELb1ELi512EEEvPfS3_PT_PKS4_PKT0_SA_ifPKiSC_iPKfiiiSE_SE_iiiii: ; @_ZN4vllm25paged_attention_v2_kernelI14__hip_bfloat16S1_Li192ELi32ELi128ELNS_18Fp8KVCacheDataTypeE0ELb1ELi512EEEvPfS3_PT_PKS4_PKT0_SA_ifPKiSC_iPKfiiiSE_SE_iiiii
; %bb.0:
	s_mov_b64 s[58:59], s[2:3]
	s_mov_b64 s[56:57], s[0:1]
	s_load_dwordx2 s[0:1], s[4:5], 0x40
	s_add_u32 s56, s56, s9
	s_addc_u32 s57, s57, 0
	s_mov_b32 s24, s7
	s_ashr_i32 s25, s7, 31
	s_lshl_b64 s[2:3], s[24:25], 2
	s_waitcnt lgkmcnt(0)
	s_add_u32 s0, s0, s2
	s_addc_u32 s1, s1, s3
	s_load_dword s33, s[0:1], 0x0
	s_lshl_b32 s9, s8, 9
	buffer_store_dword v0, off, s[56:59], 0 offset:12 ; 4-byte Folded Spill
	s_waitcnt lgkmcnt(0)
	s_cmp_ge_i32 s9, s33
	s_cbranch_scc1 .LBB178_563
; %bb.1:
	s_load_dword s25, s[4:5], 0x90
	s_load_dwordx2 s[38:39], s[4:5], 0x30
	s_mov_b32 s49, 0
	s_waitcnt lgkmcnt(0)
	s_abs_i32 s2, s25
	s_abs_i32 s0, s38
	v_cvt_f32_u32_e32 v0, s0
	s_sub_i32 s3, 0, s0
	s_xor_b32 s1, s25, s38
	s_ashr_i32 s1, s1, 31
	v_rcp_iflag_f32_e32 v0, v0
	v_mul_f32_e32 v0, 0x4f7ffffe, v0
	v_cvt_u32_f32_e32 v0, v0
	v_readfirstlane_b32 s7, v0
	s_mul_i32 s3, s3, s7
	s_mul_hi_u32 s3, s7, s3
	s_add_i32 s7, s7, s3
	s_mul_hi_u32 s3, s2, s7
	s_mul_i32 s7, s3, s0
	s_sub_i32 s2, s2, s7
	s_add_i32 s10, s3, 1
	s_sub_i32 s7, s2, s0
	s_cmp_ge_u32 s2, s0
	s_cselect_b32 s3, s10, s3
	s_cselect_b32 s2, s7, s2
	s_add_i32 s7, s3, 1
	s_cmp_ge_u32 s2, s0
	s_cselect_b32 s0, s7, s3
	s_xor_b32 s0, s0, s1
	s_sub_i32 s11, s0, s1
	s_abs_i32 s2, s11
	v_cvt_f32_u32_e32 v0, s2
	s_load_dwordx2 s[0:1], s[4:5], 0x50
	s_sub_i32 s7, 0, s2
	s_abs_i32 s3, s6
	v_rcp_iflag_f32_e32 v0, v0
	v_mul_f32_e32 v0, 0x4f7ffffe, v0
	v_cvt_u32_f32_e32 v0, v0
	v_readfirstlane_b32 s10, v0
	s_mul_i32 s7, s7, s10
	s_mul_hi_u32 s7, s10, s7
	s_add_i32 s10, s10, s7
	s_waitcnt lgkmcnt(0)
	s_cmp_eq_u64 s[0:1], 0
	s_mul_hi_u32 s10, s3, s10
	s_cbranch_scc1 .LBB178_3
; %bb.2:
	s_ashr_i32 s7, s6, 31
	s_lshl_b64 s[12:13], s[6:7], 2
	s_add_u32 s0, s0, s12
	s_addc_u32 s1, s1, s13
	s_load_dword s49, s[0:1], 0x0
.LBB178_3:
	buffer_load_dword v1, off, s[56:59], 0 offset:12 ; 4-byte Folded Reload
	s_load_dwordx4 s[12:15], s[4:5], 0x58
	s_ashr_i32 s7, s6, 31
	s_ashr_i32 s11, s11, 31
	s_waitcnt lgkmcnt(0)
	s_movk_i32 s15, 0xc0
	s_mul_i32 s26, s6, 0xc0
	s_waitcnt vmcnt(0)
	v_and_b32_e32 v0, 1, v1
	v_cmp_gt_u32_e32 vcc, 48, v1
	v_lshlrev_b32_e32 v42, 3, v1
	s_and_saveexec_b64 s[0:1], vcc
	s_cbranch_execz .LBB178_5
; %bb.4:
	s_load_dwordx2 s[16:17], s[4:5], 0x18
	s_mul_i32 s18, s24, s12
	s_ashr_i32 s19, s18, 31
	s_lshl_b64 s[18:19], s[18:19], 1
	buffer_load_dword v1, off, s[56:59], 0 offset:12 ; 4-byte Folded Reload
	s_waitcnt lgkmcnt(0)
	s_add_u32 s12, s16, s18
	s_addc_u32 s18, s17, s19
	s_ashr_i32 s27, s26, 31
	s_lshl_b64 s[16:17], s[26:27], 1
	s_add_u32 s16, s12, s16
	s_addc_u32 s17, s18, s17
	global_load_dwordx2 v[2:3], v42, s[16:17]
	s_waitcnt vmcnt(1)
	v_lshlrev_b32_e32 v1, 2, v1
	v_and_b32_e32 v1, 0xff8, v1
	v_mad_u32_u24 v1, v0, s15, v1
	s_waitcnt vmcnt(0)
	ds_write_b64 v1, v[2:3]
.LBB178_5:
	s_or_b64 exec, exec, s[0:1]
	s_mul_i32 s1, s10, s2
	s_sub_i32 s1, s3, s1
	s_xor_b32 s0, s7, s11
	s_add_i32 s3, s10, 1
	s_sub_i32 s7, s1, s2
	s_load_dwordx4 s[16:19], s[4:5], 0x78
	s_cmp_ge_u32 s1, s2
	s_cselect_b32 s3, s3, s10
	s_load_dword s10, s[4:5], 0x88
	s_cselect_b32 s1, s7, s1
	s_add_i32 s7, s3, 1
	s_cmp_ge_u32 s1, s2
	s_cselect_b32 s1, s7, s3
	s_waitcnt lgkmcnt(0)
	s_abs_i32 s27, s19
	v_cvt_f32_u32_e32 v1, s27
	s_xor_b32 s1, s1, s0
	s_sub_i32 s2, s1, s0
	s_sub_i32 s0, 0, s27
	v_rcp_iflag_f32_e32 v1, v1
	s_add_i32 s11, s33, -1
	s_abs_i32 s3, s11
	v_mul_f32_e32 v1, 0x4f7ffffe, v1
	v_cvt_u32_f32_e32 v1, v1
	s_barrier
	v_readfirstlane_b32 s46, v1
	s_mul_i32 s0, s0, s46
	s_mul_hi_u32 s0, s46, s0
	s_add_i32 s46, s46, s0
	s_cmp_lt_i32 s10, 0
	s_mul_hi_u32 s7, s3, s46
	s_cbranch_scc0 .LBB178_7
; %bb.6:
	s_mul_i32 s0, s16, s38
	s_add_i32 s0, s2, s0
	s_mul_i32 s0, s0, s10
	s_sub_i32 s47, 1, s0
	s_mov_b64 s[0:1], 0
	s_branch .LBB178_8
.LBB178_7:
	s_mov_b64 s[0:1], -1
                                        ; implicit-def: $sgpr47
.LBB178_8:
	s_load_dwordx2 s[30:31], s[4:5], 0x38
	s_ashr_i32 s11, s11, 31
	s_andn2_b64 vcc, exec, s[0:1]
	s_ashr_i32 s19, s19, 31
	s_cbranch_vccnz .LBB178_10
; %bb.9:
	s_mul_i32 s0, s25, s16
	s_add_i32 s0, s0, s6
	s_mul_i32 s0, s0, s10
	s_add_i32 s47, s0, 1
.LBB178_10:
	s_load_dword s0, s[4:5], 0x48
	s_load_dwordx2 s[36:37], s[4:5], 0x28
	s_load_dword s12, s[4:5], 0x98
	s_load_dwordx4 s[20:23], s[4:5], 0x0
	s_load_dwordx2 s[28:29], s[4:5], 0x10
	buffer_load_dword v1, off, s[56:59], 0 offset:12 ; 4-byte Folded Reload
	s_mul_i32 s1, s7, s27
	s_waitcnt lgkmcnt(0)
	s_mul_i32 s34, s24, s0
	s_sub_i32 s1, s3, s1
	s_ashr_i32 s35, s34, 31
	s_xor_b32 s0, s11, s19
	s_add_i32 s3, s7, 1
	s_sub_i32 s10, s1, s27
	s_cmp_ge_u32 s1, s27
	s_cselect_b32 s3, s3, s7
	s_cselect_b32 s1, s10, s1
	s_add_i32 s7, s3, 1
	s_cmp_ge_u32 s1, s27
	s_cselect_b32 s1, s7, s3
	s_xor_b32 s1, s1, s0
	s_sub_i32 s48, s1, s0
	s_add_i32 s0, s33, 31
	s_ashr_i32 s1, s0, 31
	s_lshr_b32 s1, s1, 27
	s_add_i32 s0, s0, s1
	s_lshl_b32 s38, s8, 4
	s_ashr_i32 s7, s0, 5
	s_add_i32 s0, s38, 16
	s_min_i32 s16, s0, s7
	v_mov_b32_e32 v50, 0xff7fffff
	s_mul_i32 s14, s2, s14
	v_mbcnt_lo_u32_b32 v44, -1, 0
	s_waitcnt vmcnt(0)
	v_lshrrev_b32_e32 v43, 6, v1
	v_or_b32_e32 v10, s38, v43
	v_cmp_gt_i32_e64 s[0:1], s16, v10
	v_ashrrev_i32_e32 v11, 31, v10
	v_lshl_add_u32 v1, v43, 5, s9
	s_and_saveexec_b64 s[40:41], s[0:1]
	s_cbranch_execz .LBB178_20
; %bb.11:
	buffer_load_dword v2, off, s[56:59], 0 offset:12 ; 4-byte Folded Reload
	s_load_dwordx2 s[2:3], s[4:5], 0x20
	s_ashr_i32 s15, s14, 31
	s_sub_i32 s50, s48, s17
	s_lshl_b64 s[4:5], s[14:15], 1
	v_and_b32_e32 v5, 8, v42
	s_waitcnt lgkmcnt(0)
	s_add_u32 s2, s2, s4
	s_addc_u32 s3, s3, s5
	s_abs_i32 s15, s18
	v_cvt_f32_u32_e32 v4, s15
	v_mov_b32_e32 v3, s3
	s_sub_i32 s4, 0, s15
	v_cmp_eq_u32_e32 vcc, 0, v0
	v_rcp_iflag_f32_e32 v4, v4
	v_mul_u32_u24_e32 v48, 0xc0, v0
	v_mbcnt_hi_u32_b32 v55, -1, v44
	s_mov_b32 s51, s13
	v_lshl_add_u32 v51, v43, 5, s9
	s_mov_b64 s[42:43], 0
	v_mov_b32_e32 v54, 0xff7fffff
	s_movk_i32 s52, 0x1000
	s_movk_i32 s53, 0x2000
	v_xor_b32_e32 v56, 1, v55
	v_mov_b32_e32 v50, 0xff7fffff
	v_mov_b32_e32 v58, v10
	s_waitcnt vmcnt(0)
	v_bfe_u32 v45, v2, 1, 5
	v_lshlrev_b32_e32 v2, 4, v45
	v_add_co_u32_e64 v2, s[2:3], s2, v2
	v_addc_co_u32_e64 v3, s[2:3], 0, v3, s[2:3]
	v_add_co_u32_e64 v46, s[2:3], v2, v5
	v_mul_f32_e32 v2, 0x4f7ffffe, v4
	v_cvt_u32_f32_e32 v2, v2
	v_addc_co_u32_e64 v47, s[2:3], 0, v3, s[2:3]
	v_cmp_neq_f32_e64 s[2:3], s49, 0
	v_mul_lo_u32 v0, s4, v2
	s_lshl_b64 s[4:5], s[34:35], 2
	v_mul_hi_u32 v0, v2, v0
	s_add_u32 s4, s30, s4
	v_add_u32_e32 v49, v2, v0
	v_lshlrev_b64 v[2:3], 2, v[10:11]
	s_addc_u32 s5, s31, s5
	v_mov_b32_e32 v0, s5
	v_add_co_u32_e64 v12, s[4:5], s4, v2
	v_addc_co_u32_e64 v13, s[4:5], v0, v3, s[4:5]
	v_lshlrev_b32_e32 v0, 2, v45
	v_lshl_or_b32 v0, v43, 7, v0
	v_add_u32_e32 v52, 0x190, v0
	v_subrev_u32_e32 v0, s33, v45
	v_add_u32_e32 v53, 1, v0
	v_and_b32_e32 v0, 64, v55
	v_add_u32_e32 v57, 64, v0
	s_branch .LBB178_14
.LBB178_12:                             ;   in Loop: Header=BB178_14 Depth=1
	s_or_b64 exec, exec, s[44:45]
.LBB178_13:                             ;   in Loop: Header=BB178_14 Depth=1
	s_or_b64 exec, exec, s[10:11]
	v_add_co_u32_e64 v12, s[4:5], 8, v12
	v_add_u32_e32 v58, 2, v58
	v_addc_co_u32_e64 v13, s[4:5], 0, v13, s[4:5]
	v_cmp_le_i32_e64 s[4:5], s16, v58
	v_add_u32_e32 v51, 64, v51
	s_or_b64 s[42:43], s[4:5], s[42:43]
	v_add_u32_e32 v52, 0x100, v52
	s_andn2_b64 exec, exec, s[42:43]
	s_cbranch_execz .LBB178_19
.LBB178_14:                             ; =>This Inner Loop Header: Depth=1
	s_waitcnt lgkmcnt(0)
	v_sub_u32_e32 v2, 0, v51
	v_max_i32_e32 v2, v51, v2
	v_mul_hi_u32 v3, v2, s46
	v_mul_lo_u32 v4, v3, s27
	v_sub_u32_e32 v2, v2, v4
	v_add_u32_e32 v4, 1, v3
	v_cmp_le_u32_e64 s[4:5], s27, v2
	v_cndmask_b32_e64 v3, v3, v4, s[4:5]
	v_subrev_u32_e32 v4, s27, v2
	v_cndmask_b32_e64 v2, v2, v4, s[4:5]
	v_ashrrev_i32_e32 v0, 31, v51
	v_add_u32_e32 v4, 1, v3
	v_cmp_le_u32_e64 s[4:5], s27, v2
	v_xor_b32_e32 v0, s19, v0
	v_cndmask_b32_e64 v2, v3, v4, s[4:5]
	v_xor_b32_e32 v2, v2, v0
	v_sub_u32_e32 v0, v2, v0
	v_add_u32_e32 v2, s47, v0
	v_sub_u32_e32 v4, 0, v2
	v_ashrrev_i32_e32 v3, 31, v2
	v_max_i32_e32 v2, v2, v4
	v_mul_hi_u32 v4, v2, v49
	v_mul_lo_u32 v4, v4, s15
	v_sub_u32_e32 v2, v2, v4
	v_subrev_u32_e32 v4, s15, v2
	v_cmp_le_u32_e64 s[4:5], s15, v2
	v_cndmask_b32_e64 v2, v2, v4, s[4:5]
	v_subrev_u32_e32 v4, s15, v2
	v_cmp_le_u32_e64 s[4:5], s15, v2
	v_cndmask_b32_e64 v2, v2, v4, s[4:5]
	v_xor_b32_e32 v2, v2, v3
	v_sub_u32_e32 v2, v2, v3
	v_cmp_ne_u32_e64 s[4:5], 0, v2
	v_cmp_ge_i32_e64 s[10:11], s50, v0
	s_and_b64 s[4:5], s[4:5], s[10:11]
	s_and_b64 s[44:45], vcc, s[4:5]
	s_and_saveexec_b64 s[10:11], s[44:45]
	s_cbranch_execz .LBB178_16
; %bb.15:                               ;   in Loop: Header=BB178_14 Depth=1
	ds_write_b32 v52, v54
.LBB178_16:                             ;   in Loop: Header=BB178_14 Depth=1
	s_or_b64 exec, exec, s[10:11]
	s_xor_b64 s[4:5], s[4:5], -1
	s_and_saveexec_b64 s[10:11], s[4:5]
	s_cbranch_execz .LBB178_13
; %bb.17:                               ;   in Loop: Header=BB178_14 Depth=1
	global_load_dword v2, v[12:13], off
	ds_read_b128 v[14:17], v48
	ds_read_b128 v[18:21], v48 offset:16
	ds_read_b128 v[22:25], v48 offset:32
	;; [unrolled: 1-line block ×5, first 2 shown]
	s_waitcnt lgkmcnt(5)
	v_lshlrev_b32_e32 v39, 16, v14
	v_and_b32_e32 v62, 0xffff0000, v14
	v_lshlrev_b32_e32 v41, 16, v15
	v_and_b32_e32 v87, 0xffff0000, v15
	v_lshlrev_b32_e32 v59, 16, v16
	v_lshlrev_b32_e32 v61, 16, v17
	s_waitcnt lgkmcnt(4)
	v_lshlrev_b32_e32 v75, 16, v18
	v_lshlrev_b32_e32 v80, 16, v19
	v_and_b32_e32 v60, 0xffff0000, v16
	v_and_b32_e32 v88, 0xffff0000, v17
	;; [unrolled: 1-line block ×4, first 2 shown]
	v_lshlrev_b32_e32 v81, 16, v20
	v_and_b32_e32 v91, 0xffff0000, v20
	v_lshlrev_b32_e32 v82, 16, v21
	v_and_b32_e32 v92, 0xffff0000, v21
	s_waitcnt lgkmcnt(2)
	v_lshlrev_b32_e32 v6, 16, v26
	v_lshlrev_b32_e32 v5, 16, v27
	;; [unrolled: 1-line block ×4, first 2 shown]
	v_and_b32_e32 v8, 0xffff0000, v26
	v_and_b32_e32 v7, 0xffff0000, v27
	;; [unrolled: 1-line block ×4, first 2 shown]
	v_lshlrev_b32_e32 v84, 16, v23
	v_and_b32_e32 v93, 0xffff0000, v23
	s_waitcnt lgkmcnt(1)
	v_lshlrev_b32_e32 v74, 16, v32
	v_and_b32_e32 v73, 0xffff0000, v32
	v_lshlrev_b32_e32 v67, 16, v33
	v_and_b32_e32 v72, 0xffff0000, v33
	v_lshlrev_b32_e32 v35, 16, v30
	v_lshlrev_b32_e32 v34, 16, v31
	v_and_b32_e32 v37, 0xffff0000, v30
	v_and_b32_e32 v36, 0xffff0000, v31
	v_lshlrev_b32_e32 v85, 16, v24
	v_and_b32_e32 v94, 0xffff0000, v24
	v_lshlrev_b32_e32 v86, 16, v25
	;; [unrolled: 2-line block ×3, first 2 shown]
	v_and_b32_e32 v22, 0xffff0000, v22
	s_waitcnt lgkmcnt(0)
	v_lshlrev_b32_e32 v66, 16, v76
	v_and_b32_e32 v71, 0xffff0000, v76
	v_and_b32_e32 v70, 0xffff0000, v77
	v_lshlrev_b32_e32 v65, 16, v77
	v_and_b32_e32 v69, 0xffff0000, v78
	v_lshlrev_b32_e32 v64, 16, v78
	v_lshlrev_b32_e32 v63, 16, v79
	v_and_b32_e32 v68, 0xffff0000, v79
	s_waitcnt vmcnt(0)
	v_mad_i64_i32 v[2:3], s[4:5], v2, s51, 0
	v_lshlrev_b64 v[2:3], 1, v[2:3]
	v_add_co_u32_e64 v14, s[4:5], v46, v2
	v_addc_co_u32_e64 v15, s[4:5], v47, v3, s[4:5]
	global_load_dwordx2 v[2:3], v[14:15], off offset:512
	global_load_dwordx2 v[16:17], v[14:15], off offset:1024
	;; [unrolled: 1-line block ×3, first 2 shown]
	v_add_co_u32_e64 v32, s[4:5], s52, v14
	v_addc_co_u32_e64 v33, s[4:5], 0, v15, s[4:5]
	global_load_dwordx2 v[26:27], v[14:15], off offset:2560
	global_load_dwordx2 v[28:29], v[14:15], off offset:3584
	s_waitcnt vmcnt(4)
	v_lshlrev_b32_e32 v20, 16, v2
	v_mul_f32_e32 v59, v59, v20
	global_load_dwordx2 v[20:21], v[14:15], off
	v_and_b32_e32 v2, 0xffff0000, v2
	v_mul_f32_e32 v60, v60, v2
	s_waitcnt vmcnt(3)
	v_lshlrev_b32_e32 v24, 16, v19
	v_and_b32_e32 v19, 0xffff0000, v19
	s_waitcnt vmcnt(0)
	v_and_b32_e32 v2, 0xffff0000, v20
	v_fmac_f32_e32 v60, v62, v2
	v_lshlrev_b32_e32 v2, 16, v3
	v_mul_f32_e32 v61, v61, v2
	v_lshlrev_b32_e32 v2, 16, v21
	v_and_b32_e32 v3, 0xffff0000, v3
	v_fmac_f32_e32 v61, v41, v2
	v_and_b32_e32 v2, 0xffff0000, v21
	v_mul_f32_e32 v62, v88, v3
	v_lshlrev_b32_e32 v23, 16, v20
	v_fmac_f32_e32 v62, v87, v2
	v_lshlrev_b32_e32 v2, 16, v16
	v_and_b32_e32 v3, 0xffff0000, v16
	v_lshlrev_b32_e32 v20, 16, v17
	v_and_b32_e32 v21, 0xffff0000, v17
	global_load_dwordx2 v[16:17], v[14:15], off offset:2048
	v_fmac_f32_e32 v59, v39, v23
	v_fmac_f32_e32 v59, v75, v2
	;; [unrolled: 1-line block ×3, first 2 shown]
	global_load_dwordx2 v[2:3], v[14:15], off offset:3072
	v_fmac_f32_e32 v61, v80, v20
	v_add_co_u32_e64 v20, s[4:5], s53, v14
	v_fmac_f32_e32 v62, v90, v21
	v_addc_co_u32_e64 v21, s[4:5], 0, v15, s[4:5]
	global_load_dwordx2 v[30:31], v[20:21], off offset:-4096
	v_fmac_f32_e32 v61, v82, v24
	global_load_dwordx2 v[24:25], v[32:33], off offset:512
	v_lshlrev_b32_e32 v23, 16, v18
	v_and_b32_e32 v18, 0xffff0000, v18
	v_fmac_f32_e32 v60, v91, v18
	v_fmac_f32_e32 v59, v81, v23
	;; [unrolled: 1-line block ×3, first 2 shown]
	v_cmp_lt_i32_e64 s[4:5], v56, v57
	v_cndmask_b32_e64 v75, v55, v56, s[4:5]
	global_load_dwordx2 v[18:19], v[32:33], off offset:1536
	s_waitcnt vmcnt(4)
	v_and_b32_e32 v15, 0xffff0000, v16
	v_fmac_f32_e32 v60, v22, v15
	global_load_dwordx2 v[22:23], v[32:33], off offset:1024
	v_lshlrev_b32_e32 v14, 16, v16
	v_lshlrev_b32_e32 v16, 16, v17
	v_and_b32_e32 v17, 0xffff0000, v17
	v_fmac_f32_e32 v59, v83, v14
	v_lshlrev_b32_e32 v14, 16, v26
	v_fmac_f32_e32 v61, v84, v16
	v_fmac_f32_e32 v62, v93, v17
	;; [unrolled: 1-line block ×3, first 2 shown]
	global_load_dwordx2 v[16:17], v[32:33], off offset:2048
	v_and_b32_e32 v14, 0xffff0000, v26
	v_fmac_f32_e32 v60, v94, v14
	v_lshlrev_b32_e32 v14, 16, v27
	v_fmac_f32_e32 v61, v86, v14
	global_load_dwordx2 v[14:15], v[32:33], off offset:2560
	v_and_b32_e32 v26, 0xffff0000, v27
	v_fmac_f32_e32 v62, v9, v26
	s_waitcnt vmcnt(6)
	v_lshlrev_b32_e32 v9, 16, v2
	v_and_b32_e32 v2, 0xffff0000, v2
	global_load_dwordx2 v[26:27], v[32:33], off offset:3072
	v_fmac_f32_e32 v59, v6, v9
	v_lshlrev_b32_e32 v6, 16, v3
	v_fmac_f32_e32 v60, v8, v2
	v_and_b32_e32 v8, 0xffff0000, v28
	v_fmac_f32_e32 v61, v5, v6
	v_fmac_f32_e32 v60, v0, v8
	v_lshlrev_b32_e32 v0, 16, v29
	v_fmac_f32_e32 v61, v38, v0
	global_load_dwordx2 v[38:39], v[32:33], off offset:3584
	v_and_b32_e32 v3, 0xffff0000, v3
	v_lshlrev_b32_e32 v9, 16, v28
	v_fmac_f32_e32 v62, v7, v3
	v_and_b32_e32 v28, 0xffff0000, v29
	v_fmac_f32_e32 v59, v4, v9
	s_waitcnt vmcnt(7)
	v_lshlrev_b32_e32 v29, 16, v30
	v_fmac_f32_e32 v62, v40, v28
	v_and_b32_e32 v28, 0xffff0000, v30
	v_lshlrev_b32_e32 v30, 16, v31
	v_and_b32_e32 v31, 0xffff0000, v31
	ds_read_b128 v[2:5], v48 offset:96
	ds_read_b128 v[6:9], v48 offset:112
	v_fmac_f32_e32 v59, v35, v29
	v_fmac_f32_e32 v60, v37, v28
	;; [unrolled: 1-line block ×4, first 2 shown]
	global_load_dwordx2 v[40:41], v[20:21], off
	global_load_dwordx2 v[36:37], v[20:21], off offset:512
	global_load_dwordx2 v[34:35], v[20:21], off offset:1024
	;; [unrolled: 1-line block ×3, first 2 shown]
	s_waitcnt vmcnt(10)
	v_lshlrev_b32_e32 v28, 16, v24
	v_fmac_f32_e32 v59, v74, v28
	v_and_b32_e32 v24, 0xffff0000, v24
	v_lshlrev_b32_e32 v28, 16, v25
	v_and_b32_e32 v25, 0xffff0000, v25
	v_fmac_f32_e32 v60, v73, v24
	v_fmac_f32_e32 v61, v67, v28
	;; [unrolled: 1-line block ×3, first 2 shown]
	global_load_dwordx2 v[32:33], v[20:21], off offset:2048
	global_load_dwordx2 v[28:29], v[20:21], off offset:2560
	;; [unrolled: 1-line block ×3, first 2 shown]
	s_nop 0
	global_load_dwordx2 v[20:21], v[20:21], off offset:3584
	s_waitcnt lgkmcnt(1)
	v_lshlrev_b32_e32 v0, 16, v2
	v_and_b32_e32 v2, 0xffff0000, v2
	v_lshlrev_b32_e32 v76, 16, v3
	v_and_b32_e32 v3, 0xffff0000, v3
	s_waitcnt vmcnt(12)
	v_lshlrev_b32_e32 v67, 16, v22
	v_fmac_f32_e32 v59, v66, v67
	v_and_b32_e32 v22, 0xffff0000, v22
	v_lshlrev_b32_e32 v66, 16, v23
	v_and_b32_e32 v23, 0xffff0000, v23
	v_fmac_f32_e32 v60, v71, v22
	v_fmac_f32_e32 v62, v70, v23
	v_lshlrev_b32_e32 v23, 16, v18
	v_and_b32_e32 v18, 0xffff0000, v18
	v_fmac_f32_e32 v61, v65, v66
	v_fmac_f32_e32 v60, v69, v18
	v_lshlrev_b32_e32 v18, 16, v19
	v_fmac_f32_e32 v59, v64, v23
	v_and_b32_e32 v19, 0xffff0000, v19
	v_fmac_f32_e32 v61, v63, v18
	s_waitcnt vmcnt(11)
	v_lshlrev_b32_e32 v18, 16, v16
	v_and_b32_e32 v16, 0xffff0000, v16
	v_fmac_f32_e32 v62, v68, v19
	v_fmac_f32_e32 v59, v0, v18
	;; [unrolled: 1-line block ×3, first 2 shown]
	v_lshlrev_b32_e32 v0, 16, v17
	v_and_b32_e32 v2, 0xffff0000, v17
	v_fmac_f32_e32 v61, v76, v0
	v_fmac_f32_e32 v62, v3, v2
	v_lshlrev_b32_e32 v0, 16, v4
	v_and_b32_e32 v2, 0xffff0000, v4
	s_waitcnt vmcnt(10)
	v_lshlrev_b32_e32 v3, 16, v14
	v_and_b32_e32 v4, 0xffff0000, v14
	v_fmac_f32_e32 v59, v3, v0
	v_fmac_f32_e32 v60, v4, v2
	v_lshlrev_b32_e32 v0, 16, v5
	v_and_b32_e32 v2, 0xffff0000, v5
	v_lshlrev_b32_e32 v3, 16, v15
	v_and_b32_e32 v4, 0xffff0000, v15
	v_fmac_f32_e32 v61, v3, v0
	v_fmac_f32_e32 v62, v4, v2
	s_waitcnt lgkmcnt(0)
	v_lshlrev_b32_e32 v0, 16, v6
	v_and_b32_e32 v2, 0xffff0000, v6
	s_waitcnt vmcnt(9)
	v_lshlrev_b32_e32 v3, 16, v26
	v_and_b32_e32 v4, 0xffff0000, v26
	v_fmac_f32_e32 v59, v3, v0
	v_fmac_f32_e32 v60, v4, v2
	v_lshlrev_b32_e32 v0, 16, v7
	v_and_b32_e32 v2, 0xffff0000, v7
	v_lshlrev_b32_e32 v3, 16, v27
	v_and_b32_e32 v4, 0xffff0000, v27
	v_fmac_f32_e32 v61, v3, v0
	v_fmac_f32_e32 v62, v4, v2
	v_lshlrev_b32_e32 v0, 16, v8
	v_and_b32_e32 v2, 0xffff0000, v8
	s_waitcnt vmcnt(8)
	v_lshlrev_b32_e32 v3, 16, v38
	v_and_b32_e32 v4, 0xffff0000, v38
	v_fmac_f32_e32 v59, v3, v0
	v_fmac_f32_e32 v60, v4, v2
	ds_read_b128 v[2:5], v48 offset:128
	v_lshlrev_b32_e32 v0, 16, v9
	v_and_b32_e32 v6, 0xffff0000, v9
	v_lshlrev_b32_e32 v7, 16, v39
	v_and_b32_e32 v8, 0xffff0000, v39
	v_fmac_f32_e32 v61, v7, v0
	v_fmac_f32_e32 v62, v8, v6
	ds_read_b128 v[6:9], v48 offset:144
	s_waitcnt lgkmcnt(1)
	v_lshlrev_b32_e32 v0, 16, v2
	v_and_b32_e32 v2, 0xffff0000, v2
	s_waitcnt vmcnt(7)
	v_lshlrev_b32_e32 v14, 16, v40
	v_and_b32_e32 v15, 0xffff0000, v40
	v_fmac_f32_e32 v59, v14, v0
	v_fmac_f32_e32 v60, v15, v2
	v_lshlrev_b32_e32 v0, 16, v3
	v_and_b32_e32 v2, 0xffff0000, v3
	v_lshlrev_b32_e32 v3, 16, v41
	v_and_b32_e32 v14, 0xffff0000, v41
	v_fmac_f32_e32 v61, v3, v0
	v_fmac_f32_e32 v62, v14, v2
	v_lshlrev_b32_e32 v0, 16, v4
	v_and_b32_e32 v2, 0xffff0000, v4
	s_waitcnt vmcnt(6)
	v_lshlrev_b32_e32 v3, 16, v36
	v_and_b32_e32 v4, 0xffff0000, v36
	v_fmac_f32_e32 v59, v3, v0
	v_fmac_f32_e32 v60, v4, v2
	v_lshlrev_b32_e32 v0, 16, v5
	v_and_b32_e32 v2, 0xffff0000, v5
	v_lshlrev_b32_e32 v3, 16, v37
	v_and_b32_e32 v4, 0xffff0000, v37
	v_fmac_f32_e32 v61, v3, v0
	v_fmac_f32_e32 v62, v4, v2
	s_waitcnt lgkmcnt(0)
	v_lshlrev_b32_e32 v0, 16, v6
	v_and_b32_e32 v2, 0xffff0000, v6
	s_waitcnt vmcnt(5)
	v_lshlrev_b32_e32 v3, 16, v34
	v_and_b32_e32 v4, 0xffff0000, v34
	v_fmac_f32_e32 v59, v3, v0
	v_fmac_f32_e32 v60, v4, v2
	v_lshlrev_b32_e32 v0, 16, v7
	v_and_b32_e32 v2, 0xffff0000, v7
	v_lshlrev_b32_e32 v3, 16, v35
	v_and_b32_e32 v4, 0xffff0000, v35
	v_fmac_f32_e32 v61, v3, v0
	v_fmac_f32_e32 v62, v4, v2
	v_lshlrev_b32_e32 v0, 16, v8
	v_and_b32_e32 v2, 0xffff0000, v8
	s_waitcnt vmcnt(4)
	v_lshlrev_b32_e32 v3, 16, v30
	v_and_b32_e32 v4, 0xffff0000, v30
	v_fmac_f32_e32 v59, v3, v0
	v_fmac_f32_e32 v60, v4, v2
	ds_read_b128 v[2:5], v48 offset:160
	v_lshlrev_b32_e32 v0, 16, v9
	v_and_b32_e32 v6, 0xffff0000, v9
	v_lshlrev_b32_e32 v7, 16, v31
	v_and_b32_e32 v8, 0xffff0000, v31
	v_fmac_f32_e32 v61, v7, v0
	v_fmac_f32_e32 v62, v8, v6
	ds_read_b128 v[6:9], v48 offset:176
	s_waitcnt lgkmcnt(1)
	v_lshlrev_b32_e32 v0, 16, v2
	v_and_b32_e32 v2, 0xffff0000, v2
	s_waitcnt vmcnt(3)
	v_lshlrev_b32_e32 v14, 16, v32
	v_and_b32_e32 v15, 0xffff0000, v32
	v_fmac_f32_e32 v59, v14, v0
	v_fmac_f32_e32 v60, v15, v2
	v_lshlrev_b32_e32 v0, 16, v3
	v_and_b32_e32 v2, 0xffff0000, v3
	v_lshlrev_b32_e32 v3, 16, v33
	v_and_b32_e32 v14, 0xffff0000, v33
	v_fmac_f32_e32 v61, v3, v0
	v_fmac_f32_e32 v62, v14, v2
	v_lshlrev_b32_e32 v0, 16, v4
	v_and_b32_e32 v2, 0xffff0000, v4
	s_waitcnt vmcnt(2)
	v_lshlrev_b32_e32 v3, 16, v28
	v_and_b32_e32 v4, 0xffff0000, v28
	v_fmac_f32_e32 v59, v3, v0
	v_fmac_f32_e32 v60, v4, v2
	v_lshlrev_b32_e32 v0, 16, v5
	v_and_b32_e32 v2, 0xffff0000, v5
	v_lshlrev_b32_e32 v3, 16, v29
	v_and_b32_e32 v4, 0xffff0000, v29
	v_fmac_f32_e32 v61, v3, v0
	v_fmac_f32_e32 v62, v4, v2
	s_waitcnt lgkmcnt(0)
	v_lshlrev_b32_e32 v0, 16, v6
	v_and_b32_e32 v2, 0xffff0000, v6
	s_waitcnt vmcnt(1)
	v_lshlrev_b32_e32 v3, 16, v24
	v_and_b32_e32 v4, 0xffff0000, v24
	v_fmac_f32_e32 v59, v3, v0
	v_fmac_f32_e32 v60, v4, v2
	v_lshlrev_b32_e32 v0, 16, v7
	v_and_b32_e32 v2, 0xffff0000, v7
	v_lshlrev_b32_e32 v3, 16, v25
	v_and_b32_e32 v4, 0xffff0000, v25
	v_fmac_f32_e32 v61, v3, v0
	v_fmac_f32_e32 v62, v4, v2
	v_lshlrev_b32_e32 v0, 16, v8
	v_and_b32_e32 v2, 0xffff0000, v8
	s_waitcnt vmcnt(0)
	v_lshlrev_b32_e32 v3, 16, v20
	v_and_b32_e32 v4, 0xffff0000, v20
	v_fmac_f32_e32 v59, v3, v0
	v_fmac_f32_e32 v60, v4, v2
	v_lshlrev_b32_e32 v0, 16, v9
	v_lshlrev_b32_e32 v3, 16, v21
	v_and_b32_e32 v2, 0xffff0000, v9
	v_and_b32_e32 v4, 0xffff0000, v21
	v_fmac_f32_e32 v61, v3, v0
	v_add_f32_e32 v0, v59, v60
	v_fmac_f32_e32 v62, v4, v2
	v_add_f32_e32 v0, v0, v61
	v_lshlrev_b32_e32 v22, 2, v75
	v_add_f32_e32 v0, v62, v0
	ds_bpermute_b32 v2, v22, v0
	s_and_saveexec_b64 s[44:45], vcc
	s_cbranch_execz .LBB178_12
; %bb.18:                               ;   in Loop: Header=BB178_14 Depth=1
	v_add_u32_e32 v3, v53, v51
	v_cvt_f32_i32_e32 v3, v3
	s_waitcnt lgkmcnt(0)
	v_add_f32_e32 v0, v0, v2
	v_add_u32_e32 v4, v45, v51
	v_cmp_gt_i32_e64 s[4:5], s33, v4
	v_mul_f32_e32 v2, s49, v3
	v_cndmask_b32_e64 v2, 0, v2, s[2:3]
	v_fmac_f32_e32 v2, s39, v0
	v_cndmask_b32_e64 v0, 0, v2, s[4:5]
	ds_write_b32 v52, v0
	v_max_f32_e32 v0, v50, v50
	v_max_f32_e32 v0, v0, v2
	v_cndmask_b32_e64 v50, v50, v0, s[4:5]
	s_branch .LBB178_12
.LBB178_19:
	s_or_b64 exec, exec, s[42:43]
.LBB178_20:
	s_or_b64 exec, exec, s[40:41]
	v_mbcnt_hi_u32_b32 v4, -1, v44
	v_and_b32_e32 v0, 64, v4
	v_add_u32_e32 v8, 64, v0
	v_xor_b32_e32 v0, 32, v4
	v_cmp_lt_i32_e32 vcc, v0, v8
	v_cndmask_b32_e32 v0, v4, v0, vcc
	v_lshlrev_b32_e32 v0, 2, v0
	s_waitcnt lgkmcnt(0)
	ds_bpermute_b32 v2, v0, v50
	v_xor_b32_e32 v5, 16, v4
	v_max_f32_e32 v3, v50, v50
	v_cmp_lt_i32_e32 vcc, v5, v8
	v_xor_b32_e32 v6, 8, v4
	s_waitcnt lgkmcnt(0)
	v_max_f32_e32 v2, v2, v2
	v_max_f32_e32 v3, v3, v2
	v_cndmask_b32_e32 v2, v4, v5, vcc
	v_lshlrev_b32_e32 v2, 2, v2
	ds_bpermute_b32 v5, v2, v3
	v_cmp_lt_i32_e32 vcc, v6, v8
	v_xor_b32_e32 v7, 4, v4
	v_xor_b32_e32 v9, 2, v4
	s_waitcnt lgkmcnt(0)
	v_max_f32_e32 v5, v5, v5
	v_max_f32_e32 v5, v3, v5
	v_cndmask_b32_e32 v3, v4, v6, vcc
	v_lshlrev_b32_e32 v3, 2, v3
	ds_bpermute_b32 v6, v3, v5
	v_cmp_lt_i32_e32 vcc, v7, v8
	s_waitcnt lgkmcnt(0)
	v_max_f32_e32 v6, v6, v6
	v_max_f32_e32 v6, v5, v6
	v_cndmask_b32_e32 v5, v4, v7, vcc
	v_lshlrev_b32_e32 v5, 2, v5
	ds_bpermute_b32 v7, v5, v6
	v_cmp_lt_i32_e32 vcc, v9, v8
	s_waitcnt lgkmcnt(0)
	v_max_f32_e32 v7, v7, v7
	v_max_f32_e32 v7, v6, v7
	v_cndmask_b32_e32 v6, v4, v9, vcc
	v_lshlrev_b32_e32 v26, 2, v6
	buffer_load_dword v6, off, s[56:59], 0 offset:12 ; 4-byte Folded Reload
	ds_bpermute_b32 v9, v26, v7
	s_waitcnt vmcnt(0)
	v_and_b32_e32 v24, 63, v6
	v_cmp_eq_u32_e32 vcc, 0, v24
	v_lshlrev_b32_e32 v6, 2, v43
	s_and_saveexec_b64 s[2:3], vcc
	s_cbranch_execz .LBB178_22
; %bb.21:
	s_waitcnt lgkmcnt(0)
	v_max_f32_e32 v9, v9, v9
	v_max_f32_e32 v7, v7, v7
	;; [unrolled: 1-line block ×3, first 2 shown]
	ds_write_b32 v6, v7 offset:384
.LBB178_22:
	s_or_b64 exec, exec, s[2:3]
	v_cmp_gt_u32_e64 s[2:3], 2, v24
	s_waitcnt lgkmcnt(0)
	v_mov_b32_e32 v9, 0xff7fffff
	v_lshlrev_b32_e32 v7, 2, v24
	s_barrier
	s_and_saveexec_b64 s[4:5], s[2:3]
	s_cbranch_execz .LBB178_24
; %bb.23:
	ds_read_b32 v9, v7 offset:384
.LBB178_24:
	s_or_b64 exec, exec, s[4:5]
	v_xor_b32_e32 v12, 1, v4
	v_cmp_lt_i32_e64 s[4:5], v12, v8
	v_cndmask_b32_e64 v8, v4, v12, s[4:5]
	v_lshlrev_b32_e32 v27, 2, v8
	s_waitcnt lgkmcnt(0)
	ds_bpermute_b32 v8, v27, v9
	v_max_f32_e32 v9, v9, v9
	v_lshlrev_b32_e32 v4, 2, v4
	s_sub_i32 s4, s16, s38
	s_lshl_b32 s4, s4, 5
	s_waitcnt lgkmcnt(0)
	v_max_f32_e32 v8, v8, v8
	v_max_f32_e32 v9, v9, v8
	v_and_b32_e32 v8, 0x100, v4
	ds_bpermute_b32 v4, v8, v9
	buffer_load_dword v9, off, s[56:59], 0 offset:12 ; 4-byte Folded Reload
	s_add_i32 s4, s4, s9
	s_min_i32 s42, s4, s33
	s_sub_i32 s15, s42, s9
	s_waitcnt vmcnt(0)
	v_cmp_gt_i32_e64 s[4:5], s15, v9
	v_mov_b32_e32 v9, 0
	s_and_saveexec_b64 s[38:39], s[4:5]
	s_cbranch_execz .LBB178_28
; %bb.25:
	buffer_load_dword v13, off, s[56:59], 0 offset:12 ; 4-byte Folded Reload
	v_mov_b32_e32 v9, 0x190
	s_mov_b64 s[40:41], 0
	s_waitcnt vmcnt(0)
	v_lshl_add_u32 v12, v13, 2, v9
	v_mov_b32_e32 v9, 0
.LBB178_26:                             ; =>This Inner Loop Header: Depth=1
	ds_read_b32 v14, v12
	v_add_u32_e32 v13, 0x80, v13
	v_cmp_le_i32_e64 s[10:11], s15, v13
	s_or_b64 s[40:41], s[10:11], s[40:41]
	s_waitcnt lgkmcnt(0)
	v_sub_f32_e32 v14, v14, v4
	v_mul_f32_e32 v14, 0x3fb8aa3b, v14
	v_exp_f32_e32 v14, v14
	ds_write_b32 v12, v14
	v_add_f32_e32 v9, v9, v14
	v_add_u32_e32 v12, 0x200, v12
	s_andn2_b64 exec, exec, s[40:41]
	s_cbranch_execnz .LBB178_26
; %bb.27:
	s_or_b64 exec, exec, s[40:41]
.LBB178_28:
	s_or_b64 exec, exec, s[38:39]
	ds_bpermute_b32 v0, v0, v9
	s_waitcnt lgkmcnt(0)
	v_add_f32_e32 v0, v9, v0
	ds_bpermute_b32 v2, v2, v0
	s_waitcnt lgkmcnt(0)
	v_add_f32_e32 v0, v0, v2
	;; [unrolled: 3-line block ×6, first 2 shown]
	s_and_saveexec_b64 s[10:11], vcc
	s_cbranch_execz .LBB178_30
; %bb.29:
	ds_write_b32 v6, v0 offset:392
.LBB178_30:
	s_or_b64 exec, exec, s[10:11]
	s_waitcnt lgkmcnt(0)
	s_barrier
	s_and_saveexec_b64 s[10:11], s[2:3]
	s_cbranch_execz .LBB178_32
; %bb.31:
	ds_read_b32 v0, v7 offset:392
.LBB178_32:
	s_or_b64 exec, exec, s[10:11]
	s_waitcnt lgkmcnt(0)
	ds_bpermute_b32 v2, v27, v0
	s_waitcnt lgkmcnt(0)
	v_add_f32_e32 v0, v0, v2
	ds_bpermute_b32 v0, v8, v0
	s_and_saveexec_b64 s[2:3], s[4:5]
	s_cbranch_execz .LBB178_45
; %bb.33:
	s_waitcnt lgkmcnt(0)
	v_add_f32_e32 v2, 0x358637bd, v0
	v_div_scale_f32 v3, s[4:5], v2, v2, 1.0
	v_rcp_f32_e32 v5, v3
	v_div_scale_f32 v6, vcc, 1.0, v2, 1.0
	s_movk_i32 s4, 0x7f
	v_fma_f32 v7, -v3, v5, 1.0
	v_fmac_f32_e32 v5, v7, v5
	v_mul_f32_e32 v7, v6, v5
	v_fma_f32 v8, -v3, v7, v6
	v_fmac_f32_e32 v7, v8, v5
	v_fma_f32 v3, -v3, v7, v6
	buffer_load_dword v6, off, s[56:59], 0 offset:12 ; 4-byte Folded Reload
	v_div_fmas_f32 v3, v3, v5, v7
	v_div_fixup_f32 v2, v3, v2, 1.0
	s_mov_b64 s[10:11], -1
	s_waitcnt vmcnt(0)
	v_xad_u32 v3, v6, -1, s42
	v_subrev_u32_e32 v5, s9, v3
	v_cmp_lt_u32_e32 vcc, s4, v5
	v_mov_b32_e32 v3, v6
	s_and_saveexec_b64 s[4:5], vcc
	s_cbranch_execz .LBB178_42
; %bb.34:
	v_lshrrev_b32_e32 v5, 7, v5
	v_add_u32_e32 v7, -1, v5
	v_lshrrev_b32_e32 v6, 1, v7
	v_mov_b32_e32 v3, v2
	v_add_u32_e32 v6, 1, v6
	v_cmp_lt_u32_e32 vcc, 13, v7
	v_mov_b32_e32 v9, 0
	s_and_saveexec_b64 s[10:11], vcc
	s_cbranch_execz .LBB178_38
; %bb.35:
	buffer_load_dword v9, off, s[56:59], 0 offset:12 ; 4-byte Folded Reload
	v_mov_b32_e32 v8, 0x190
	v_and_b32_e32 v7, -8, v6
	s_mov_b32 s9, 0
	s_mov_b64 s[38:39], 0
	s_waitcnt vmcnt(0)
	v_lshl_add_u32 v8, v9, 2, v8
.LBB178_36:                             ; =>This Inner Loop Header: Depth=1
	ds_read2st64_b32 v[12:13], v8 offset1:2
	ds_read2st64_b32 v[14:15], v8 offset0:4 offset1:6
	ds_read2st64_b32 v[16:17], v8 offset0:8 offset1:10
	ds_read2st64_b32 v[18:19], v8 offset0:12 offset1:14
	v_add_u32_e32 v7, -8, v7
	s_waitcnt lgkmcnt(3)
	v_pk_mul_f32 v[12:13], v[2:3], v[12:13]
	s_waitcnt lgkmcnt(2)
	v_pk_mul_f32 v[14:15], v[2:3], v[14:15]
	ds_write2st64_b32 v8, v12, v13 offset1:2
	ds_write2st64_b32 v8, v14, v15 offset0:4 offset1:6
	ds_read2st64_b32 v[14:15], v8 offset0:16 offset1:18
	s_waitcnt lgkmcnt(4)
	v_pk_mul_f32 v[12:13], v[2:3], v[16:17]
	ds_write2st64_b32 v8, v12, v13 offset0:8 offset1:10
	s_waitcnt lgkmcnt(4)
	v_pk_mul_f32 v[12:13], v[2:3], v[18:19]
	ds_write2st64_b32 v8, v12, v13 offset0:12 offset1:14
	ds_read2st64_b32 v[12:13], v8 offset0:20 offset1:22
	s_waitcnt lgkmcnt(3)
	v_pk_mul_f32 v[14:15], v[2:3], v[14:15]
	ds_read2st64_b32 v[16:17], v8 offset0:24 offset1:26
	ds_write2st64_b32 v8, v14, v15 offset0:16 offset1:18
	ds_read2st64_b32 v[14:15], v8 offset0:28 offset1:30
	s_waitcnt lgkmcnt(3)
	v_pk_mul_f32 v[12:13], v[2:3], v[12:13]
	ds_write2st64_b32 v8, v12, v13 offset0:20 offset1:22
	s_waitcnt lgkmcnt(3)
	v_pk_mul_f32 v[12:13], v[2:3], v[16:17]
	ds_write2st64_b32 v8, v12, v13 offset0:24 offset1:26
	s_waitcnt lgkmcnt(2)
	v_pk_mul_f32 v[12:13], v[2:3], v[14:15]
	s_add_i32 s9, s9, 16
	v_cmp_eq_u32_e32 vcc, 0, v7
	ds_write2st64_b32 v8, v12, v13 offset0:28 offset1:30
	v_add_u32_e32 v8, 0x2000, v8
	s_or_b64 s[38:39], vcc, s[38:39]
	v_mov_b32_e32 v9, s9
	s_andn2_b64 exec, exec, s[38:39]
	s_cbranch_execnz .LBB178_36
; %bb.37:
	s_or_b64 exec, exec, s[38:39]
.LBB178_38:
	s_or_b64 exec, exec, s[10:11]
	v_and_b32_e32 v6, 7, v6
	v_cmp_ne_u32_e32 vcc, 0, v6
	s_and_saveexec_b64 s[10:11], vcc
	s_cbranch_execz .LBB178_41
; %bb.39:
	buffer_load_dword v8, off, s[56:59], 0 offset:12 ; 4-byte Folded Reload
	v_lshlrev_b32_e32 v7, 9, v9
	s_movk_i32 s9, 0x190
	s_mov_b64 s[38:39], 0
	s_waitcnt vmcnt(0)
	v_lshlrev_b32_e32 v8, 2, v8
	v_add3_u32 v7, v7, v8, s9
.LBB178_40:                             ; =>This Inner Loop Header: Depth=1
	ds_read2st64_b32 v[8:9], v7 offset1:2
	v_add_u32_e32 v6, -1, v6
	v_cmp_eq_u32_e32 vcc, 0, v6
	s_or_b64 s[38:39], vcc, s[38:39]
	s_waitcnt lgkmcnt(0)
	v_pk_mul_f32 v[8:9], v[2:3], v[8:9]
	ds_write2st64_b32 v7, v8, v9 offset1:2
	v_add_u32_e32 v7, 0x400, v7
	s_andn2_b64 exec, exec, s[38:39]
	s_cbranch_execnz .LBB178_40
.LBB178_41:
	s_or_b64 exec, exec, s[10:11]
	buffer_load_dword v3, off, s[56:59], 0 offset:12 ; 4-byte Folded Reload
	v_add_u32_e32 v5, 1, v5
	v_and_b32_e32 v6, 0x3fffffe, v5
	v_cmp_ne_u32_e32 vcc, v5, v6
	s_orn2_b64 s[10:11], vcc, exec
	s_waitcnt vmcnt(0)
	v_lshl_add_u32 v3, v6, 7, v3
.LBB178_42:
	s_or_b64 exec, exec, s[4:5]
	s_and_b64 exec, exec, s[10:11]
	s_cbranch_execz .LBB178_45
; %bb.43:
	v_mov_b32_e32 v5, 0x190
	v_lshl_add_u32 v5, v3, 2, v5
	s_mov_b64 s[4:5], 0
.LBB178_44:                             ; =>This Inner Loop Header: Depth=1
	ds_read_b32 v6, v5
	v_add_u32_e32 v3, 0x80, v3
	v_cmp_le_i32_e32 vcc, s15, v3
	s_or_b64 s[4:5], vcc, s[4:5]
	s_waitcnt lgkmcnt(0)
	v_mul_f32_e32 v6, v2, v6
	ds_write_b32 v5, v6
	v_add_u32_e32 v5, 0x200, v5
	s_andn2_b64 exec, exec, s[4:5]
	s_cbranch_execnz .LBB178_44
.LBB178_45:
	s_or_b64 exec, exec, s[2:3]
	s_waitcnt lgkmcnt(0)
	s_barrier
	buffer_load_dword v2, off, s[56:59], 0 offset:12 ; 4-byte Folded Reload
	s_waitcnt vmcnt(0)
	v_cmp_eq_u32_e32 vcc, 0, v2
	s_and_saveexec_b64 s[2:3], vcc
	s_cbranch_execz .LBB178_47
; %bb.46:
	s_mul_i32 s4, s12, s24
	s_mul_i32 s4, s4, s25
	s_ashr_i32 s5, s4, 31
	s_lshl_b64 s[4:5], s[4:5], 2
	s_add_u32 s9, s22, s4
	s_mul_i32 s10, s12, s6
	s_addc_u32 s15, s23, s5
	s_ashr_i32 s11, s10, 31
	s_lshl_b64 s[10:11], s[10:11], 2
	s_add_u32 s6, s9, s10
	s_addc_u32 s15, s15, s11
	s_ashr_i32 s9, s8, 31
	s_lshl_b64 s[22:23], s[8:9], 2
	s_add_u32 s38, s6, s22
	s_addc_u32 s39, s15, s23
	s_add_u32 s4, s20, s4
	s_addc_u32 s5, s21, s5
	;; [unrolled: 2-line block ×3, first 2 shown]
	s_add_u32 s4, s4, s22
	v_mov_b32_e32 v2, 0
	s_addc_u32 s5, s5, s23
	global_store_dword v2, v4, s[38:39]
	global_store_dword v2, v0, s[4:5]
.LBB178_47:
	s_or_b64 exec, exec, s[2:3]
	buffer_load_dword v0, off, s[56:59], 0 offset:12 ; 4-byte Folded Reload
	v_mov_b32_e32 v22, 0
	v_mov_b32_e32 v23, 0
	;; [unrolled: 1-line block ×12, first 2 shown]
	s_waitcnt vmcnt(0)
	v_and_b32_e32 v25, 3, v0
	s_and_saveexec_b64 s[2:3], s[0:1]
	s_cbranch_execz .LBB178_493
; %bb.48:
	s_ashr_i32 s15, s14, 31
	s_sub_i32 s9, s48, s17
	s_lshl_b64 s[0:1], s[14:15], 1
	s_add_u32 s14, s36, s0
	s_addc_u32 s15, s37, s1
	s_abs_i32 s18, s18
	v_cvt_f32_u32_e32 v3, s18
	v_and_b32_e32 v0, 24, v42
	buffer_store_dword v27, off, s[56:59], 0 offset:68 ; 4-byte Folded Spill
	buffer_store_dword v26, off, s[56:59], 0 offset:64 ; 4-byte Folded Spill
	;; [unrolled: 1-line block ×4, first 2 shown]
	v_rcp_iflag_f32_e32 v3, v3
	v_and_b32_e32 v0, 0x1f8, v42
	v_or_b32_e32 v2, 0x800, v0
	v_or_b32_e32 v4, 0xa00, v0
	v_mul_f32_e32 v3, 0x4f7ffffe, v3
	v_cvt_u32_f32_e32 v3, v3
	v_or_b32_e32 v6, 0xc00, v0
	v_or_b32_e32 v8, 0xe00, v0
	;; [unrolled: 1-line block ×6, first 2 shown]
	v_lshlrev_b32_e32 v0, 1, v0
	s_sub_i32 s0, 0, s18
	buffer_store_dword v0, off, s[56:59], 0 offset:20 ; 4-byte Folded Spill
	v_lshlrev_b32_e32 v0, 1, v2
	s_add_i32 s17, s7, -1
	v_mul_lo_u32 v5, s0, v3
	s_lshl_b64 s[0:1], s[34:35], 2
	buffer_store_dword v0, off, s[56:59], 0 offset:24 ; 4-byte Folded Spill
	v_lshlrev_b32_e32 v0, 1, v4
	v_mul_hi_u32 v5, v3, v5
	s_add_u32 s0, s30, s0
	buffer_store_dword v0, off, s[56:59], 0 offset:28 ; 4-byte Folded Spill
	v_lshlrev_b32_e32 v0, 1, v6
	v_add_u32_e32 v3, v3, v5
	v_lshlrev_b64 v[20:21], 2, v[10:11]
	s_addc_u32 s1, s31, s1
	buffer_store_dword v0, off, s[56:59], 0 offset:32 ; 4-byte Folded Spill
	v_lshlrev_b32_e32 v0, 1, v8
	buffer_store_dword v3, off, s[56:59], 0 ; 4-byte Folded Spill
	v_mov_b32_e32 v3, s1
	v_add_co_u32_e32 v24, vcc, s0, v20
	v_mov_b32_e32 v5, v25
	buffer_store_dword v0, off, s[56:59], 0 offset:36 ; 4-byte Folded Spill
	v_lshlrev_b32_e32 v0, 1, v12
	v_addc_co_u32_e32 v25, vcc, v3, v21, vcc
	v_lshlrev_b32_e32 v3, 5, v5
	buffer_store_dword v0, off, s[56:59], 0 offset:40 ; 4-byte Folded Spill
	v_lshlrev_b32_e32 v0, 1, v14
	v_lshl_or_b32 v3, v43, 7, v3
	buffer_store_dword v0, off, s[56:59], 0 offset:44 ; 4-byte Folded Spill
	v_lshlrev_b32_e32 v0, 1, v16
	v_mov_b32_e32 v31, 0
	v_add_u32_e32 v11, 0x190, v3
	s_mov_b64 s[4:5], 0
	s_mov_b32 s20, 0x7f800000
	s_movk_i32 s21, 0x7fff
	buffer_store_dword v0, off, s[56:59], 0 offset:48 ; 4-byte Folded Spill
	v_lshlrev_b32_e32 v0, 1, v18
	v_mov_b32_e32 v13, 0
	v_mov_b32_e32 v12, 0
	;; [unrolled: 1-line block ×12, first 2 shown]
	buffer_store_dword v5, off, s[56:59], 0 offset:60 ; 4-byte Folded Spill
	buffer_store_dword v0, off, s[56:59], 0 offset:52 ; 4-byte Folded Spill
	s_branch .LBB178_51
.LBB178_49:                             ;   in Loop: Header=BB178_51 Depth=1
	s_or_b64 exec, exec, s[0:1]
	v_and_b32_e32 v0, 0xffff0000, v29
	v_and_b32_e32 v9, 0xffff0000, v28
	;; [unrolled: 1-line block ×6, first 2 shown]
	v_add_f32_e32 v38, v38, v39
	v_add_f32_e32 v28, v29, v28
	v_and_b32_e32 v32, 0xffff0000, v32
	v_and_b32_e32 v8, 0xffff0000, v8
	v_add_f32_e32 v28, v38, v28
	v_add_f32_e32 v0, v9, v0
	v_add_f32_e32 v0, v28, v0
	v_add_f32_e32 v8, v32, v8
	v_add_f32_e32 v0, v0, v8
	v_and_b32_e32 v9, 0xffff0000, v33
	v_and_b32_e32 v28, 0xffff0000, v30
	v_and_b32_e32 v26, 0xffff0000, v26
	v_and_b32_e32 v27, 0xffff0000, v27
	v_add_f32_e32 v12, v12, v0
	v_and_b32_e32 v0, 0xffff0000, v35
	v_and_b32_e32 v8, 0xffff0000, v34
	v_add_f32_e32 v26, v27, v26
	v_add_f32_e32 v9, v28, v9
	v_and_b32_e32 v29, 0xffff0000, v36
	v_and_b32_e32 v30, 0xffff0000, v37
	v_add_f32_e32 v9, v26, v9
	v_add_f32_e32 v0, v8, v0
	v_add_f32_e32 v0, v9, v0
	v_add_f32_e32 v8, v29, v30
	v_add_f32_e32 v0, v0, v8
	v_and_b32_e32 v9, 0xffff0000, v123
	v_and_b32_e32 v26, 0xffff0000, v122
	v_and_b32_e32 v27, 0xffff0000, v121
	v_and_b32_e32 v28, 0xffff0000, v120
	v_add_f32_e32 v15, v15, v0
	v_and_b32_e32 v0, 0xffff0000, v125
	v_and_b32_e32 v8, 0xffff0000, v124
	;; [unrolled: 16-line block ×8, first 2 shown]
	v_add_f32_e32 v9, v26, v9
	v_add_f32_e32 v7, v8, v7
	;; [unrolled: 1-line block ×5, first 2 shown]
	v_and_b32_e32 v7, 0xffff0000, v69
	v_and_b32_e32 v8, 0xffff0000, v64
	;; [unrolled: 1-line block ×4, first 2 shown]
	v_add_f32_e32 v9, v26, v9
	v_add_f32_e32 v7, v8, v7
	;; [unrolled: 1-line block ×3, first 2 shown]
	buffer_load_dword v9, off, s[56:59], 0 offset:8 ; 4-byte Folded Reload
	buffer_load_dword v26, off, s[56:59], 0 offset:4 ; 4-byte Folded Reload
	v_and_b32_e32 v27, 0xffff0000, v80
	v_and_b32_e32 v28, 0xffff0000, v81
	v_add_f32_e32 v6, v27, v28
	v_add_f32_e32 v0, v0, v6
	;; [unrolled: 1-line block ×3, first 2 shown]
	v_and_b32_e32 v0, 0xffff0000, v71
	v_and_b32_e32 v6, 0xffff0000, v70
	;; [unrolled: 1-line block ×4, first 2 shown]
	v_add_f32_e32 v0, v6, v0
	v_add_f32_e32 v0, v7, v0
	;; [unrolled: 1-line block ×4, first 2 shown]
	v_and_b32_e32 v7, 0xffff0000, v43
	v_and_b32_e32 v8, 0xffff0000, v42
	v_add_f32_e32 v23, v23, v0
	v_and_b32_e32 v0, 0xffff0000, v45
	v_and_b32_e32 v6, 0xffff0000, v44
	v_add_f32_e32 v7, v8, v7
	;; [unrolled: 3-line block ×3, first 2 shown]
	v_add_f32_e32 v6, v27, v28
	v_and_b32_e32 v8, 0xffff0000, v49
	v_and_b32_e32 v3, 0xffff0000, v3
	v_and_b32_e32 v2, 0xffff0000, v2
	v_and_b32_e32 v5, 0xffff0000, v5
	v_and_b32_e32 v4, 0xffff0000, v4
	s_waitcnt vmcnt(1)
	v_and_b32_e32 v9, 0xffff0000, v9
	s_waitcnt vmcnt(0)
	v_and_b32_e32 v26, 0xffff0000, v26
	v_add_f32_e32 v9, v26, v9
	v_add_f32_e32 v7, v9, v7
	;; [unrolled: 1-line block ×3, first 2 shown]
	v_and_b32_e32 v9, 0xffff0000, v51
	v_add_f32_e32 v0, v0, v6
	v_and_b32_e32 v7, 0xffff0000, v53
	v_and_b32_e32 v6, 0xffff0000, v52
	v_pk_add_f32 v[2:3], v[2:3], v[8:9]
	v_add_f32_e32 v22, v22, v0
	v_pk_add_f32 v[4:5], v[4:5], v[6:7]
	v_add_f32_e32 v0, v2, v3
	v_add_f32_e32 v0, v0, v4
	;; [unrolled: 1-line block ×4, first 2 shown]
.LBB178_50:                             ;   in Loop: Header=BB178_51 Depth=1
	s_or_b64 exec, exec, s[6:7]
	v_add_co_u32_e32 v24, vcc, 8, v24
	v_add_u32_e32 v10, 2, v10
	v_addc_co_u32_e32 v25, vcc, 0, v25, vcc
	v_cmp_le_i32_e32 vcc, s16, v10
	v_add_u32_e32 v1, 64, v1
	s_or_b64 s[4:5], vcc, s[4:5]
	v_add_u32_e32 v11, 0x100, v11
	s_andn2_b64 exec, exec, s[4:5]
	s_cbranch_execz .LBB178_492
.LBB178_51:                             ; =>This Inner Loop Header: Depth=1
	v_sub_u32_e32 v2, 0, v1
	v_max_i32_e32 v2, v1, v2
	v_mul_hi_u32 v3, v2, s46
	v_mul_lo_u32 v4, v3, s27
	v_sub_u32_e32 v2, v2, v4
	v_add_u32_e32 v4, 1, v3
	v_cmp_le_u32_e32 vcc, s27, v2
	v_cndmask_b32_e32 v3, v3, v4, vcc
	v_subrev_u32_e32 v4, s27, v2
	v_cndmask_b32_e32 v2, v2, v4, vcc
	v_ashrrev_i32_e32 v0, 31, v1
	v_add_u32_e32 v4, 1, v3
	v_cmp_le_u32_e32 vcc, s27, v2
	v_xor_b32_e32 v0, s19, v0
	v_cndmask_b32_e32 v2, v3, v4, vcc
	v_xor_b32_e32 v2, v2, v0
	v_sub_u32_e32 v0, v2, v0
	v_add_u32_e32 v2, s47, v0
	v_sub_u32_e32 v4, 0, v2
	v_ashrrev_i32_e32 v3, 31, v2
	v_max_i32_e32 v2, v2, v4
	buffer_load_dword v4, off, s[56:59], 0  ; 4-byte Folded Reload
	v_cmp_lt_i32_e64 s[0:1], s9, v0
	s_waitcnt vmcnt(0)
	v_mul_hi_u32 v4, v2, v4
	v_mul_lo_u32 v4, v4, s18
	v_sub_u32_e32 v2, v2, v4
	v_subrev_u32_e32 v4, s18, v2
	v_cmp_le_u32_e32 vcc, s18, v2
	v_cndmask_b32_e32 v2, v2, v4, vcc
	v_subrev_u32_e32 v4, s18, v2
	v_cmp_le_u32_e32 vcc, s18, v2
	v_cndmask_b32_e32 v2, v2, v4, vcc
	v_xor_b32_e32 v2, v2, v3
	v_sub_u32_e32 v2, v2, v3
	v_cmp_eq_u32_e32 vcc, 0, v2
	s_or_b64 s[0:1], vcc, s[0:1]
	s_and_saveexec_b64 s[6:7], s[0:1]
	s_cbranch_execz .LBB178_50
; %bb.52:                               ;   in Loop: Header=BB178_51 Depth=1
	global_load_dword v33, v[24:25], off
	ds_read2_b64 v[6:9], v11 offset1:1
	ds_read2_b64 v[2:5], v11 offset0:2 offset1:3
	s_waitcnt lgkmcnt(1)
	v_and_b32_e32 v0, 0x7f800000, v6
	v_cmp_ne_u32_e32 vcc, s20, v0
                                        ; implicit-def: $vgpr0
	s_and_saveexec_b64 s[0:1], vcc
	s_xor_b64 s[0:1], exec, s[0:1]
; %bb.53:                               ;   in Loop: Header=BB178_51 Depth=1
	v_bfe_u32 v0, v6, 16, 1
	v_add3_u32 v0, v6, v0, s21
; %bb.54:                               ;   in Loop: Header=BB178_51 Depth=1
	s_andn2_saveexec_b64 s[0:1], s[0:1]
; %bb.55:                               ;   in Loop: Header=BB178_51 Depth=1
	v_or_b32_e32 v0, 0x10000, v6
	v_cmp_eq_u32_sdwa vcc, v6, v31 src0_sel:WORD_0 src1_sel:DWORD
	v_cndmask_b32_e32 v0, v0, v6, vcc
; %bb.56:                               ;   in Loop: Header=BB178_51 Depth=1
	s_or_b64 exec, exec, s[0:1]
	v_and_b32_e32 v6, 0x7f800000, v7
	v_cmp_ne_u32_e32 vcc, s20, v6
                                        ; implicit-def: $vgpr32
	s_and_saveexec_b64 s[0:1], vcc
	s_xor_b64 s[0:1], exec, s[0:1]
; %bb.57:                               ;   in Loop: Header=BB178_51 Depth=1
	v_bfe_u32 v6, v7, 16, 1
	v_add3_u32 v32, v7, v6, s21
; %bb.58:                               ;   in Loop: Header=BB178_51 Depth=1
	s_andn2_saveexec_b64 s[0:1], s[0:1]
; %bb.59:                               ;   in Loop: Header=BB178_51 Depth=1
	v_or_b32_e32 v6, 0x10000, v7
	v_cmp_eq_u32_sdwa vcc, v7, v31 src0_sel:WORD_0 src1_sel:DWORD
	v_cndmask_b32_e32 v32, v6, v7, vcc
; %bb.60:                               ;   in Loop: Header=BB178_51 Depth=1
	s_or_b64 exec, exec, s[0:1]
	v_and_b32_e32 v6, 0x7f800000, v8
	v_cmp_ne_u32_e32 vcc, s20, v6
                                        ; implicit-def: $vgpr30
	s_and_saveexec_b64 s[0:1], vcc
	s_xor_b64 s[0:1], exec, s[0:1]
; %bb.61:                               ;   in Loop: Header=BB178_51 Depth=1
	v_bfe_u32 v6, v8, 16, 1
	v_add3_u32 v30, v8, v6, s21
; %bb.62:                               ;   in Loop: Header=BB178_51 Depth=1
	s_andn2_saveexec_b64 s[0:1], s[0:1]
; %bb.63:                               ;   in Loop: Header=BB178_51 Depth=1
	v_or_b32_e32 v6, 0x10000, v8
	v_cmp_eq_u32_sdwa vcc, v8, v31 src0_sel:WORD_0 src1_sel:DWORD
	v_cndmask_b32_e32 v30, v6, v8, vcc
; %bb.64:                               ;   in Loop: Header=BB178_51 Depth=1
	s_or_b64 exec, exec, s[0:1]
	v_and_b32_e32 v6, 0x7f800000, v9
	v_cmp_ne_u32_e32 vcc, s20, v6
                                        ; implicit-def: $vgpr29
	s_and_saveexec_b64 s[0:1], vcc
	s_xor_b64 s[0:1], exec, s[0:1]
; %bb.65:                               ;   in Loop: Header=BB178_51 Depth=1
	v_bfe_u32 v6, v9, 16, 1
	v_add3_u32 v29, v9, v6, s21
                                        ; implicit-def: $vgpr6_vgpr7_vgpr8_vgpr9
; %bb.66:                               ;   in Loop: Header=BB178_51 Depth=1
	s_andn2_saveexec_b64 s[0:1], s[0:1]
; %bb.67:                               ;   in Loop: Header=BB178_51 Depth=1
	v_or_b32_e32 v6, 0x10000, v9
	v_cmp_eq_u32_sdwa vcc, v9, v31 src0_sel:WORD_0 src1_sel:DWORD
	v_cndmask_b32_e32 v29, v6, v9, vcc
; %bb.68:                               ;   in Loop: Header=BB178_51 Depth=1
	s_or_b64 exec, exec, s[0:1]
	s_waitcnt lgkmcnt(0)
	v_and_b32_e32 v6, 0x7f800000, v2
	v_cmp_ne_u32_e32 vcc, s20, v6
                                        ; implicit-def: $vgpr28
	s_and_saveexec_b64 s[0:1], vcc
	s_xor_b64 s[0:1], exec, s[0:1]
; %bb.69:                               ;   in Loop: Header=BB178_51 Depth=1
	v_bfe_u32 v6, v2, 16, 1
	v_add3_u32 v28, v2, v6, s21
; %bb.70:                               ;   in Loop: Header=BB178_51 Depth=1
	s_andn2_saveexec_b64 s[0:1], s[0:1]
; %bb.71:                               ;   in Loop: Header=BB178_51 Depth=1
	v_or_b32_e32 v6, 0x10000, v2
	v_cmp_eq_u32_sdwa vcc, v2, v31 src0_sel:WORD_0 src1_sel:DWORD
	v_cndmask_b32_e32 v28, v6, v2, vcc
; %bb.72:                               ;   in Loop: Header=BB178_51 Depth=1
	s_or_b64 exec, exec, s[0:1]
	v_and_b32_e32 v2, 0x7f800000, v3
	v_cmp_ne_u32_e32 vcc, s20, v2
                                        ; implicit-def: $vgpr27
	s_and_saveexec_b64 s[0:1], vcc
	s_xor_b64 s[0:1], exec, s[0:1]
; %bb.73:                               ;   in Loop: Header=BB178_51 Depth=1
	v_bfe_u32 v2, v3, 16, 1
	v_add3_u32 v27, v3, v2, s21
; %bb.74:                               ;   in Loop: Header=BB178_51 Depth=1
	s_andn2_saveexec_b64 s[0:1], s[0:1]
; %bb.75:                               ;   in Loop: Header=BB178_51 Depth=1
	v_or_b32_e32 v2, 0x10000, v3
	v_cmp_eq_u32_sdwa vcc, v3, v31 src0_sel:WORD_0 src1_sel:DWORD
	v_cndmask_b32_e32 v27, v2, v3, vcc
; %bb.76:                               ;   in Loop: Header=BB178_51 Depth=1
	s_or_b64 exec, exec, s[0:1]
	v_and_b32_e32 v2, 0x7f800000, v4
	v_cmp_ne_u32_e32 vcc, s20, v2
                                        ; implicit-def: $vgpr26
	s_and_saveexec_b64 s[0:1], vcc
	s_xor_b64 s[0:1], exec, s[0:1]
; %bb.77:                               ;   in Loop: Header=BB178_51 Depth=1
	v_bfe_u32 v2, v4, 16, 1
	v_add3_u32 v26, v4, v2, s21
; %bb.78:                               ;   in Loop: Header=BB178_51 Depth=1
	s_andn2_saveexec_b64 s[0:1], s[0:1]
; %bb.79:                               ;   in Loop: Header=BB178_51 Depth=1
	v_or_b32_e32 v2, 0x10000, v4
	v_cmp_eq_u32_sdwa vcc, v4, v31 src0_sel:WORD_0 src1_sel:DWORD
	v_cndmask_b32_e32 v26, v2, v4, vcc
; %bb.80:                               ;   in Loop: Header=BB178_51 Depth=1
	s_or_b64 exec, exec, s[0:1]
	v_and_b32_e32 v2, 0x7f800000, v5
	v_cmp_ne_u32_e32 vcc, s20, v2
                                        ; implicit-def: $vgpr8
	s_and_saveexec_b64 s[0:1], vcc
	s_xor_b64 s[0:1], exec, s[0:1]
; %bb.81:                               ;   in Loop: Header=BB178_51 Depth=1
	v_bfe_u32 v2, v5, 16, 1
	v_add3_u32 v8, v5, v2, s21
                                        ; implicit-def: $vgpr2_vgpr3_vgpr4_vgpr5
; %bb.82:                               ;   in Loop: Header=BB178_51 Depth=1
	s_andn2_saveexec_b64 s[0:1], s[0:1]
; %bb.83:                               ;   in Loop: Header=BB178_51 Depth=1
	v_or_b32_e32 v2, 0x10000, v5
	v_cmp_eq_u32_sdwa vcc, v5, v31 src0_sel:WORD_0 src1_sel:DWORD
	v_cndmask_b32_e32 v8, v2, v5, vcc
; %bb.84:                               ;   in Loop: Header=BB178_51 Depth=1
	s_or_b64 exec, exec, s[0:1]
	s_waitcnt vmcnt(0)
	v_mad_i64_i32 v[2:3], s[0:1], v33, s13, 0
	v_lshlrev_b64 v[2:3], 1, v[2:3]
	v_add_co_u32_e32 v58, vcc, s14, v2
	buffer_load_dword v2, off, s[56:59], 0 offset:20 ; 4-byte Folded Reload
	buffer_load_dword v9, off, s[56:59], 0 offset:16 ; 4-byte Folded Reload
	v_mov_b32_e32 v4, s15
	v_addc_co_u32_e32 v59, vcc, v4, v3, vcc
	s_waitcnt vmcnt(1)
	v_add_co_u32_e32 v6, vcc, v58, v2
	v_addc_co_u32_e32 v7, vcc, 0, v59, vcc
	global_load_dwordx4 v[2:5], v[6:7], off
	s_waitcnt vmcnt(1)
	v_add_u32_e32 v49, v9, v1
	v_cmp_eq_u32_e32 vcc, s17, v10
	v_add_u32_e32 v57, 1, v49
	v_add_u32_e32 v56, 2, v49
	;; [unrolled: 1-line block ×7, first 2 shown]
	s_waitcnt vmcnt(0)
	v_lshrrev_b32_e32 v9, 16, v2
	v_lshrrev_b32_e32 v35, 16, v3
	;; [unrolled: 1-line block ×4, first 2 shown]
	s_and_saveexec_b64 s[10:11], vcc
	s_cbranch_execz .LBB178_86
; %bb.85:                               ;   in Loop: Header=BB178_51 Depth=1
	v_cmp_gt_i32_e64 s[0:1], s33, v49
	v_cndmask_b32_e64 v2, 0, v2, s[0:1]
	v_cmp_gt_i32_e64 s[0:1], s33, v57
	v_cndmask_b32_e64 v9, 0, v9, s[0:1]
	;; [unrolled: 2-line block ×8, first 2 shown]
.LBB178_86:                             ;   in Loop: Header=BB178_51 Depth=1
	s_or_b64 exec, exec, s[10:11]
	v_and_b32_e32 v60, 0xffff0000, v0
	v_lshlrev_b32_e32 v0, 16, v2
	v_mul_f32_e32 v0, v60, v0
	v_and_b32_e32 v2, 0x7f800000, v0
	v_cmp_ne_u32_e64 s[0:1], s20, v2
                                        ; implicit-def: $vgpr2
                                        ; kill: killed $vgpr2
	s_and_saveexec_b64 s[10:11], s[0:1]
	s_xor_b64 s[0:1], exec, s[10:11]
	s_cbranch_execz .LBB178_88
; %bb.87:                               ;   in Loop: Header=BB178_51 Depth=1
	v_bfe_u32 v2, v0, 16, 1
	v_add3_u32 v0, v0, v2, s21
	buffer_store_dword v0, off, s[56:59], 0 offset:4 ; 4-byte Folded Spill
                                        ; implicit-def: $vgpr0
.LBB178_88:                             ;   in Loop: Header=BB178_51 Depth=1
	s_andn2_saveexec_b64 s[10:11], s[0:1]
	s_cbranch_execz .LBB178_90
; %bb.89:                               ;   in Loop: Header=BB178_51 Depth=1
	v_or_b32_e32 v2, 0x10000, v0
	v_cmp_eq_u32_sdwa s[0:1], v0, v31 src0_sel:WORD_0 src1_sel:DWORD
	v_cndmask_b32_e64 v0, v2, v0, s[0:1]
	buffer_store_dword v0, off, s[56:59], 0 offset:4 ; 4-byte Folded Spill
.LBB178_90:                             ;   in Loop: Header=BB178_51 Depth=1
	s_or_b64 exec, exec, s[10:11]
	v_and_b32_e32 v61, 0xffff0000, v32
	v_lshlrev_b32_e32 v0, 16, v9
	v_mul_f32_e32 v0, v61, v0
	v_and_b32_e32 v2, 0x7f800000, v0
	v_cmp_ne_u32_e64 s[0:1], s20, v2
                                        ; implicit-def: $vgpr2
                                        ; kill: killed $vgpr2
	s_and_saveexec_b64 s[10:11], s[0:1]
	s_xor_b64 s[0:1], exec, s[10:11]
	s_cbranch_execz .LBB178_92
; %bb.91:                               ;   in Loop: Header=BB178_51 Depth=1
	v_bfe_u32 v2, v0, 16, 1
	v_add3_u32 v0, v0, v2, s21
	buffer_store_dword v0, off, s[56:59], 0 offset:8 ; 4-byte Folded Spill
                                        ; implicit-def: $vgpr0
.LBB178_92:                             ;   in Loop: Header=BB178_51 Depth=1
	s_andn2_saveexec_b64 s[10:11], s[0:1]
	s_cbranch_execz .LBB178_94
; %bb.93:                               ;   in Loop: Header=BB178_51 Depth=1
	v_or_b32_e32 v2, 0x10000, v0
	v_cmp_eq_u32_sdwa s[0:1], v0, v31 src0_sel:WORD_0 src1_sel:DWORD
	v_cndmask_b32_e64 v0, v2, v0, s[0:1]
	buffer_store_dword v0, off, s[56:59], 0 offset:8 ; 4-byte Folded Spill
.LBB178_94:                             ;   in Loop: Header=BB178_51 Depth=1
	s_or_b64 exec, exec, s[10:11]
	v_and_b32_e32 v62, 0xffff0000, v30
	v_lshlrev_b32_e32 v0, 16, v3
	v_mul_f32_e32 v0, v62, v0
	v_and_b32_e32 v2, 0x7f800000, v0
	v_cmp_ne_u32_e64 s[0:1], s20, v2
                                        ; implicit-def: $vgpr42
	s_and_saveexec_b64 s[10:11], s[0:1]
	s_xor_b64 s[0:1], exec, s[10:11]
; %bb.95:                               ;   in Loop: Header=BB178_51 Depth=1
	v_bfe_u32 v2, v0, 16, 1
	v_add3_u32 v42, v0, v2, s21
                                        ; implicit-def: $vgpr0
; %bb.96:                               ;   in Loop: Header=BB178_51 Depth=1
	s_andn2_saveexec_b64 s[10:11], s[0:1]
; %bb.97:                               ;   in Loop: Header=BB178_51 Depth=1
	v_or_b32_e32 v2, 0x10000, v0
	v_cmp_eq_u32_sdwa s[0:1], v0, v31 src0_sel:WORD_0 src1_sel:DWORD
	v_cndmask_b32_e64 v42, v2, v0, s[0:1]
; %bb.98:                               ;   in Loop: Header=BB178_51 Depth=1
	s_or_b64 exec, exec, s[10:11]
	v_and_b32_e32 v63, 0xffff0000, v29
	v_lshlrev_b32_e32 v0, 16, v35
	v_mul_f32_e32 v0, v63, v0
	v_and_b32_e32 v2, 0x7f800000, v0
	v_cmp_ne_u32_e64 s[0:1], s20, v2
                                        ; implicit-def: $vgpr43
	s_and_saveexec_b64 s[10:11], s[0:1]
	s_xor_b64 s[0:1], exec, s[10:11]
; %bb.99:                               ;   in Loop: Header=BB178_51 Depth=1
	v_bfe_u32 v2, v0, 16, 1
	v_add3_u32 v43, v0, v2, s21
                                        ; implicit-def: $vgpr0
; %bb.100:                              ;   in Loop: Header=BB178_51 Depth=1
	s_andn2_saveexec_b64 s[10:11], s[0:1]
; %bb.101:                              ;   in Loop: Header=BB178_51 Depth=1
	v_or_b32_e32 v2, 0x10000, v0
	v_cmp_eq_u32_sdwa s[0:1], v0, v31 src0_sel:WORD_0 src1_sel:DWORD
	v_cndmask_b32_e64 v43, v2, v0, s[0:1]
; %bb.102:                              ;   in Loop: Header=BB178_51 Depth=1
	s_or_b64 exec, exec, s[10:11]
	v_and_b32_e32 v65, 0xffff0000, v28
	v_lshlrev_b32_e32 v0, 16, v4
	v_mul_f32_e32 v0, v65, v0
	v_and_b32_e32 v2, 0x7f800000, v0
	v_cmp_ne_u32_e64 s[0:1], s20, v2
                                        ; implicit-def: $vgpr44
	s_and_saveexec_b64 s[10:11], s[0:1]
	s_xor_b64 s[0:1], exec, s[10:11]
; %bb.103:                              ;   in Loop: Header=BB178_51 Depth=1
	v_bfe_u32 v2, v0, 16, 1
	v_add3_u32 v44, v0, v2, s21
                                        ; implicit-def: $vgpr0
; %bb.104:                              ;   in Loop: Header=BB178_51 Depth=1
	s_andn2_saveexec_b64 s[10:11], s[0:1]
; %bb.105:                              ;   in Loop: Header=BB178_51 Depth=1
	v_or_b32_e32 v2, 0x10000, v0
	v_cmp_eq_u32_sdwa s[0:1], v0, v31 src0_sel:WORD_0 src1_sel:DWORD
	v_cndmask_b32_e64 v44, v2, v0, s[0:1]
; %bb.106:                              ;   in Loop: Header=BB178_51 Depth=1
	s_or_b64 exec, exec, s[10:11]
	v_and_b32_e32 v66, 0xffff0000, v27
	v_lshlrev_b32_e32 v0, 16, v34
	v_mul_f32_e32 v0, v66, v0
	v_and_b32_e32 v2, 0x7f800000, v0
	v_cmp_ne_u32_e64 s[0:1], s20, v2
                                        ; implicit-def: $vgpr45
	s_and_saveexec_b64 s[10:11], s[0:1]
	s_xor_b64 s[0:1], exec, s[10:11]
; %bb.107:                              ;   in Loop: Header=BB178_51 Depth=1
	v_bfe_u32 v2, v0, 16, 1
	v_add3_u32 v45, v0, v2, s21
                                        ; implicit-def: $vgpr0
; %bb.108:                              ;   in Loop: Header=BB178_51 Depth=1
	s_andn2_saveexec_b64 s[10:11], s[0:1]
; %bb.109:                              ;   in Loop: Header=BB178_51 Depth=1
	v_or_b32_e32 v2, 0x10000, v0
	v_cmp_eq_u32_sdwa s[0:1], v0, v31 src0_sel:WORD_0 src1_sel:DWORD
	v_cndmask_b32_e64 v45, v2, v0, s[0:1]
; %bb.110:                              ;   in Loop: Header=BB178_51 Depth=1
	s_or_b64 exec, exec, s[10:11]
	v_and_b32_e32 v67, 0xffff0000, v26
	v_lshlrev_b32_e32 v0, 16, v5
	v_mul_f32_e32 v0, v67, v0
	v_and_b32_e32 v2, 0x7f800000, v0
	v_cmp_ne_u32_e64 s[0:1], s20, v2
                                        ; implicit-def: $vgpr46
	s_and_saveexec_b64 s[10:11], s[0:1]
	s_xor_b64 s[0:1], exec, s[10:11]
; %bb.111:                              ;   in Loop: Header=BB178_51 Depth=1
	v_bfe_u32 v2, v0, 16, 1
	v_add3_u32 v46, v0, v2, s21
                                        ; implicit-def: $vgpr0
; %bb.112:                              ;   in Loop: Header=BB178_51 Depth=1
	s_andn2_saveexec_b64 s[10:11], s[0:1]
; %bb.113:                              ;   in Loop: Header=BB178_51 Depth=1
	v_or_b32_e32 v2, 0x10000, v0
	v_cmp_eq_u32_sdwa s[0:1], v0, v31 src0_sel:WORD_0 src1_sel:DWORD
	v_cndmask_b32_e64 v46, v2, v0, s[0:1]
; %bb.114:                              ;   in Loop: Header=BB178_51 Depth=1
	s_or_b64 exec, exec, s[10:11]
	v_and_b32_e32 v68, 0xffff0000, v8
	v_lshlrev_b32_e32 v0, 16, v33
	v_mul_f32_e32 v0, v68, v0
	v_and_b32_e32 v2, 0x7f800000, v0
	v_cmp_ne_u32_e64 s[0:1], s20, v2
                                        ; implicit-def: $vgpr47
	s_and_saveexec_b64 s[10:11], s[0:1]
	s_xor_b64 s[0:1], exec, s[10:11]
; %bb.115:                              ;   in Loop: Header=BB178_51 Depth=1
	v_bfe_u32 v2, v0, 16, 1
	v_add3_u32 v47, v0, v2, s21
                                        ; implicit-def: $vgpr0
; %bb.116:                              ;   in Loop: Header=BB178_51 Depth=1
	s_andn2_saveexec_b64 s[10:11], s[0:1]
; %bb.117:                              ;   in Loop: Header=BB178_51 Depth=1
	v_or_b32_e32 v2, 0x10000, v0
	v_cmp_eq_u32_sdwa s[0:1], v0, v31 src0_sel:WORD_0 src1_sel:DWORD
	v_cndmask_b32_e64 v47, v2, v0, s[0:1]
; %bb.118:                              ;   in Loop: Header=BB178_51 Depth=1
	s_or_b64 exec, exec, s[10:11]
	global_load_dwordx4 v[2:5], v[6:7], off offset:1024
	s_waitcnt vmcnt(0)
	v_lshrrev_b32_e32 v0, 16, v2
	v_lshrrev_b32_e32 v27, 16, v3
	;; [unrolled: 1-line block ×4, first 2 shown]
	s_and_saveexec_b64 s[10:11], vcc
	s_cbranch_execz .LBB178_120
; %bb.119:                              ;   in Loop: Header=BB178_51 Depth=1
	v_cmp_gt_i32_e64 s[0:1], s33, v49
	v_cndmask_b32_e64 v2, 0, v2, s[0:1]
	v_cmp_gt_i32_e64 s[0:1], s33, v57
	v_cndmask_b32_e64 v0, 0, v0, s[0:1]
	;; [unrolled: 2-line block ×8, first 2 shown]
.LBB178_120:                            ;   in Loop: Header=BB178_51 Depth=1
	s_or_b64 exec, exec, s[10:11]
	v_lshlrev_b32_e32 v2, 16, v2
	v_mul_f32_e32 v2, v60, v2
	v_and_b32_e32 v9, 0x7f800000, v2
	v_cmp_ne_u32_e64 s[0:1], s20, v9
                                        ; implicit-def: $vgpr48
	s_and_saveexec_b64 s[10:11], s[0:1]
	s_xor_b64 s[0:1], exec, s[10:11]
; %bb.121:                              ;   in Loop: Header=BB178_51 Depth=1
	v_bfe_u32 v9, v2, 16, 1
	v_add3_u32 v48, v2, v9, s21
                                        ; implicit-def: $vgpr2
; %bb.122:                              ;   in Loop: Header=BB178_51 Depth=1
	s_andn2_saveexec_b64 s[10:11], s[0:1]
; %bb.123:                              ;   in Loop: Header=BB178_51 Depth=1
	v_or_b32_e32 v9, 0x10000, v2
	v_cmp_eq_u32_sdwa s[0:1], v2, v31 src0_sel:WORD_0 src1_sel:DWORD
	v_cndmask_b32_e64 v48, v9, v2, s[0:1]
; %bb.124:                              ;   in Loop: Header=BB178_51 Depth=1
	s_or_b64 exec, exec, s[10:11]
	v_lshlrev_b32_e32 v0, 16, v0
	v_mul_f32_e32 v0, v61, v0
	v_and_b32_e32 v2, 0x7f800000, v0
	v_cmp_ne_u32_e64 s[0:1], s20, v2
                                        ; implicit-def: $vgpr50
	s_and_saveexec_b64 s[10:11], s[0:1]
	s_xor_b64 s[0:1], exec, s[10:11]
; %bb.125:                              ;   in Loop: Header=BB178_51 Depth=1
	v_bfe_u32 v2, v0, 16, 1
	v_add3_u32 v50, v0, v2, s21
                                        ; implicit-def: $vgpr0
; %bb.126:                              ;   in Loop: Header=BB178_51 Depth=1
	s_andn2_saveexec_b64 s[10:11], s[0:1]
; %bb.127:                              ;   in Loop: Header=BB178_51 Depth=1
	v_or_b32_e32 v2, 0x10000, v0
	v_cmp_eq_u32_sdwa s[0:1], v0, v31 src0_sel:WORD_0 src1_sel:DWORD
	v_cndmask_b32_e64 v50, v2, v0, s[0:1]
; %bb.128:                              ;   in Loop: Header=BB178_51 Depth=1
	s_or_b64 exec, exec, s[10:11]
	v_lshlrev_b32_e32 v0, 16, v3
	v_mul_f32_e32 v0, v62, v0
	v_and_b32_e32 v2, 0x7f800000, v0
	v_cmp_ne_u32_e64 s[0:1], s20, v2
                                        ; implicit-def: $vgpr64
	s_and_saveexec_b64 s[10:11], s[0:1]
	s_xor_b64 s[0:1], exec, s[10:11]
; %bb.129:                              ;   in Loop: Header=BB178_51 Depth=1
	v_bfe_u32 v2, v0, 16, 1
	v_add3_u32 v64, v0, v2, s21
                                        ; implicit-def: $vgpr0
; %bb.130:                              ;   in Loop: Header=BB178_51 Depth=1
	s_andn2_saveexec_b64 s[10:11], s[0:1]
; %bb.131:                              ;   in Loop: Header=BB178_51 Depth=1
	v_or_b32_e32 v2, 0x10000, v0
	v_cmp_eq_u32_sdwa s[0:1], v0, v31 src0_sel:WORD_0 src1_sel:DWORD
	v_cndmask_b32_e64 v64, v2, v0, s[0:1]
; %bb.132:                              ;   in Loop: Header=BB178_51 Depth=1
	s_or_b64 exec, exec, s[10:11]
	v_lshlrev_b32_e32 v0, 16, v27
	v_mul_f32_e32 v0, v63, v0
	v_and_b32_e32 v2, 0x7f800000, v0
	v_cmp_ne_u32_e64 s[0:1], s20, v2
                                        ; implicit-def: $vgpr69
	s_and_saveexec_b64 s[10:11], s[0:1]
	s_xor_b64 s[0:1], exec, s[10:11]
; %bb.133:                              ;   in Loop: Header=BB178_51 Depth=1
	v_bfe_u32 v2, v0, 16, 1
	v_add3_u32 v69, v0, v2, s21
                                        ; implicit-def: $vgpr0
; %bb.134:                              ;   in Loop: Header=BB178_51 Depth=1
	s_andn2_saveexec_b64 s[10:11], s[0:1]
; %bb.135:                              ;   in Loop: Header=BB178_51 Depth=1
	v_or_b32_e32 v2, 0x10000, v0
	v_cmp_eq_u32_sdwa s[0:1], v0, v31 src0_sel:WORD_0 src1_sel:DWORD
	v_cndmask_b32_e64 v69, v2, v0, s[0:1]
; %bb.136:                              ;   in Loop: Header=BB178_51 Depth=1
	s_or_b64 exec, exec, s[10:11]
	v_lshlrev_b32_e32 v0, 16, v4
	v_mul_f32_e32 v0, v65, v0
	v_and_b32_e32 v2, 0x7f800000, v0
	v_cmp_ne_u32_e64 s[0:1], s20, v2
                                        ; implicit-def: $vgpr70
	s_and_saveexec_b64 s[10:11], s[0:1]
	s_xor_b64 s[0:1], exec, s[10:11]
; %bb.137:                              ;   in Loop: Header=BB178_51 Depth=1
	v_bfe_u32 v2, v0, 16, 1
	v_add3_u32 v70, v0, v2, s21
                                        ; implicit-def: $vgpr0
; %bb.138:                              ;   in Loop: Header=BB178_51 Depth=1
	s_andn2_saveexec_b64 s[10:11], s[0:1]
; %bb.139:                              ;   in Loop: Header=BB178_51 Depth=1
	v_or_b32_e32 v2, 0x10000, v0
	v_cmp_eq_u32_sdwa s[0:1], v0, v31 src0_sel:WORD_0 src1_sel:DWORD
	v_cndmask_b32_e64 v70, v2, v0, s[0:1]
; %bb.140:                              ;   in Loop: Header=BB178_51 Depth=1
	s_or_b64 exec, exec, s[10:11]
	v_lshlrev_b32_e32 v0, 16, v26
	v_mul_f32_e32 v0, v66, v0
	v_and_b32_e32 v2, 0x7f800000, v0
	v_cmp_ne_u32_e64 s[0:1], s20, v2
                                        ; implicit-def: $vgpr71
	s_and_saveexec_b64 s[10:11], s[0:1]
	s_xor_b64 s[0:1], exec, s[10:11]
; %bb.141:                              ;   in Loop: Header=BB178_51 Depth=1
	v_bfe_u32 v2, v0, 16, 1
	v_add3_u32 v71, v0, v2, s21
                                        ; implicit-def: $vgpr0
; %bb.142:                              ;   in Loop: Header=BB178_51 Depth=1
	s_andn2_saveexec_b64 s[10:11], s[0:1]
; %bb.143:                              ;   in Loop: Header=BB178_51 Depth=1
	v_or_b32_e32 v2, 0x10000, v0
	v_cmp_eq_u32_sdwa s[0:1], v0, v31 src0_sel:WORD_0 src1_sel:DWORD
	v_cndmask_b32_e64 v71, v2, v0, s[0:1]
; %bb.144:                              ;   in Loop: Header=BB178_51 Depth=1
	s_or_b64 exec, exec, s[10:11]
	v_lshlrev_b32_e32 v0, 16, v5
	v_mul_f32_e32 v0, v67, v0
	v_and_b32_e32 v2, 0x7f800000, v0
	v_cmp_ne_u32_e64 s[0:1], s20, v2
                                        ; implicit-def: $vgpr72
	s_and_saveexec_b64 s[10:11], s[0:1]
	s_xor_b64 s[0:1], exec, s[10:11]
; %bb.145:                              ;   in Loop: Header=BB178_51 Depth=1
	v_bfe_u32 v2, v0, 16, 1
	v_add3_u32 v72, v0, v2, s21
                                        ; implicit-def: $vgpr0
; %bb.146:                              ;   in Loop: Header=BB178_51 Depth=1
	s_andn2_saveexec_b64 s[10:11], s[0:1]
; %bb.147:                              ;   in Loop: Header=BB178_51 Depth=1
	v_or_b32_e32 v2, 0x10000, v0
	v_cmp_eq_u32_sdwa s[0:1], v0, v31 src0_sel:WORD_0 src1_sel:DWORD
	v_cndmask_b32_e64 v72, v2, v0, s[0:1]
; %bb.148:                              ;   in Loop: Header=BB178_51 Depth=1
	s_or_b64 exec, exec, s[10:11]
	v_lshlrev_b32_e32 v0, 16, v8
	v_mul_f32_e32 v0, v68, v0
	v_and_b32_e32 v2, 0x7f800000, v0
	v_cmp_ne_u32_e64 s[0:1], s20, v2
                                        ; implicit-def: $vgpr73
	s_and_saveexec_b64 s[10:11], s[0:1]
	s_xor_b64 s[0:1], exec, s[10:11]
; %bb.149:                              ;   in Loop: Header=BB178_51 Depth=1
	v_bfe_u32 v2, v0, 16, 1
	v_add3_u32 v73, v0, v2, s21
                                        ; implicit-def: $vgpr0
; %bb.150:                              ;   in Loop: Header=BB178_51 Depth=1
	s_andn2_saveexec_b64 s[10:11], s[0:1]
; %bb.151:                              ;   in Loop: Header=BB178_51 Depth=1
	v_or_b32_e32 v2, 0x10000, v0
	v_cmp_eq_u32_sdwa s[0:1], v0, v31 src0_sel:WORD_0 src1_sel:DWORD
	v_cndmask_b32_e64 v73, v2, v0, s[0:1]
; %bb.152:                              ;   in Loop: Header=BB178_51 Depth=1
	s_or_b64 exec, exec, s[10:11]
	global_load_dwordx4 v[2:5], v[6:7], off offset:2048
	s_waitcnt vmcnt(0)
	v_lshrrev_b32_e32 v0, 16, v2
	v_lshrrev_b32_e32 v27, 16, v3
	;; [unrolled: 1-line block ×4, first 2 shown]
	s_and_saveexec_b64 s[10:11], vcc
	s_cbranch_execz .LBB178_154
; %bb.153:                              ;   in Loop: Header=BB178_51 Depth=1
	v_cmp_gt_i32_e64 s[0:1], s33, v49
	v_cndmask_b32_e64 v2, 0, v2, s[0:1]
	v_cmp_gt_i32_e64 s[0:1], s33, v57
	v_cndmask_b32_e64 v0, 0, v0, s[0:1]
	;; [unrolled: 2-line block ×8, first 2 shown]
.LBB178_154:                            ;   in Loop: Header=BB178_51 Depth=1
	s_or_b64 exec, exec, s[10:11]
	v_lshlrev_b32_e32 v2, 16, v2
	v_mul_f32_e32 v2, v60, v2
	v_and_b32_e32 v9, 0x7f800000, v2
	v_cmp_ne_u32_e64 s[0:1], s20, v9
                                        ; implicit-def: $vgpr74
	s_and_saveexec_b64 s[10:11], s[0:1]
	s_xor_b64 s[0:1], exec, s[10:11]
; %bb.155:                              ;   in Loop: Header=BB178_51 Depth=1
	v_bfe_u32 v9, v2, 16, 1
	v_add3_u32 v74, v2, v9, s21
                                        ; implicit-def: $vgpr2
; %bb.156:                              ;   in Loop: Header=BB178_51 Depth=1
	s_andn2_saveexec_b64 s[10:11], s[0:1]
; %bb.157:                              ;   in Loop: Header=BB178_51 Depth=1
	v_or_b32_e32 v9, 0x10000, v2
	v_cmp_eq_u32_sdwa s[0:1], v2, v31 src0_sel:WORD_0 src1_sel:DWORD
	v_cndmask_b32_e64 v74, v9, v2, s[0:1]
; %bb.158:                              ;   in Loop: Header=BB178_51 Depth=1
	s_or_b64 exec, exec, s[10:11]
	v_lshlrev_b32_e32 v0, 16, v0
	v_mul_f32_e32 v0, v61, v0
	v_and_b32_e32 v2, 0x7f800000, v0
	v_cmp_ne_u32_e64 s[0:1], s20, v2
                                        ; implicit-def: $vgpr75
	s_and_saveexec_b64 s[10:11], s[0:1]
	s_xor_b64 s[0:1], exec, s[10:11]
; %bb.159:                              ;   in Loop: Header=BB178_51 Depth=1
	v_bfe_u32 v2, v0, 16, 1
	v_add3_u32 v75, v0, v2, s21
                                        ; implicit-def: $vgpr0
; %bb.160:                              ;   in Loop: Header=BB178_51 Depth=1
	s_andn2_saveexec_b64 s[10:11], s[0:1]
; %bb.161:                              ;   in Loop: Header=BB178_51 Depth=1
	v_or_b32_e32 v2, 0x10000, v0
	v_cmp_eq_u32_sdwa s[0:1], v0, v31 src0_sel:WORD_0 src1_sel:DWORD
	v_cndmask_b32_e64 v75, v2, v0, s[0:1]
; %bb.162:                              ;   in Loop: Header=BB178_51 Depth=1
	s_or_b64 exec, exec, s[10:11]
	v_lshlrev_b32_e32 v0, 16, v3
	v_mul_f32_e32 v0, v62, v0
	v_and_b32_e32 v2, 0x7f800000, v0
	v_cmp_ne_u32_e64 s[0:1], s20, v2
                                        ; implicit-def: $vgpr76
	s_and_saveexec_b64 s[10:11], s[0:1]
	s_xor_b64 s[0:1], exec, s[10:11]
; %bb.163:                              ;   in Loop: Header=BB178_51 Depth=1
	v_bfe_u32 v2, v0, 16, 1
	v_add3_u32 v76, v0, v2, s21
                                        ; implicit-def: $vgpr0
; %bb.164:                              ;   in Loop: Header=BB178_51 Depth=1
	s_andn2_saveexec_b64 s[10:11], s[0:1]
; %bb.165:                              ;   in Loop: Header=BB178_51 Depth=1
	v_or_b32_e32 v2, 0x10000, v0
	v_cmp_eq_u32_sdwa s[0:1], v0, v31 src0_sel:WORD_0 src1_sel:DWORD
	v_cndmask_b32_e64 v76, v2, v0, s[0:1]
; %bb.166:                              ;   in Loop: Header=BB178_51 Depth=1
	s_or_b64 exec, exec, s[10:11]
	v_lshlrev_b32_e32 v0, 16, v27
	v_mul_f32_e32 v0, v63, v0
	v_and_b32_e32 v2, 0x7f800000, v0
	v_cmp_ne_u32_e64 s[0:1], s20, v2
                                        ; implicit-def: $vgpr77
	s_and_saveexec_b64 s[10:11], s[0:1]
	s_xor_b64 s[0:1], exec, s[10:11]
; %bb.167:                              ;   in Loop: Header=BB178_51 Depth=1
	v_bfe_u32 v2, v0, 16, 1
	v_add3_u32 v77, v0, v2, s21
                                        ; implicit-def: $vgpr0
; %bb.168:                              ;   in Loop: Header=BB178_51 Depth=1
	s_andn2_saveexec_b64 s[10:11], s[0:1]
; %bb.169:                              ;   in Loop: Header=BB178_51 Depth=1
	v_or_b32_e32 v2, 0x10000, v0
	v_cmp_eq_u32_sdwa s[0:1], v0, v31 src0_sel:WORD_0 src1_sel:DWORD
	v_cndmask_b32_e64 v77, v2, v0, s[0:1]
; %bb.170:                              ;   in Loop: Header=BB178_51 Depth=1
	s_or_b64 exec, exec, s[10:11]
	v_lshlrev_b32_e32 v0, 16, v4
	v_mul_f32_e32 v0, v65, v0
	v_and_b32_e32 v2, 0x7f800000, v0
	v_cmp_ne_u32_e64 s[0:1], s20, v2
                                        ; implicit-def: $vgpr78
	s_and_saveexec_b64 s[10:11], s[0:1]
	s_xor_b64 s[0:1], exec, s[10:11]
; %bb.171:                              ;   in Loop: Header=BB178_51 Depth=1
	v_bfe_u32 v2, v0, 16, 1
	v_add3_u32 v78, v0, v2, s21
                                        ; implicit-def: $vgpr0
; %bb.172:                              ;   in Loop: Header=BB178_51 Depth=1
	s_andn2_saveexec_b64 s[10:11], s[0:1]
; %bb.173:                              ;   in Loop: Header=BB178_51 Depth=1
	v_or_b32_e32 v2, 0x10000, v0
	v_cmp_eq_u32_sdwa s[0:1], v0, v31 src0_sel:WORD_0 src1_sel:DWORD
	v_cndmask_b32_e64 v78, v2, v0, s[0:1]
; %bb.174:                              ;   in Loop: Header=BB178_51 Depth=1
	s_or_b64 exec, exec, s[10:11]
	v_lshlrev_b32_e32 v0, 16, v26
	v_mul_f32_e32 v0, v66, v0
	v_and_b32_e32 v2, 0x7f800000, v0
	v_cmp_ne_u32_e64 s[0:1], s20, v2
                                        ; implicit-def: $vgpr79
	s_and_saveexec_b64 s[10:11], s[0:1]
	s_xor_b64 s[0:1], exec, s[10:11]
; %bb.175:                              ;   in Loop: Header=BB178_51 Depth=1
	v_bfe_u32 v2, v0, 16, 1
	v_add3_u32 v79, v0, v2, s21
                                        ; implicit-def: $vgpr0
; %bb.176:                              ;   in Loop: Header=BB178_51 Depth=1
	s_andn2_saveexec_b64 s[10:11], s[0:1]
; %bb.177:                              ;   in Loop: Header=BB178_51 Depth=1
	v_or_b32_e32 v2, 0x10000, v0
	v_cmp_eq_u32_sdwa s[0:1], v0, v31 src0_sel:WORD_0 src1_sel:DWORD
	v_cndmask_b32_e64 v79, v2, v0, s[0:1]
; %bb.178:                              ;   in Loop: Header=BB178_51 Depth=1
	s_or_b64 exec, exec, s[10:11]
	v_lshlrev_b32_e32 v0, 16, v5
	v_mul_f32_e32 v0, v67, v0
	v_and_b32_e32 v2, 0x7f800000, v0
	v_cmp_ne_u32_e64 s[0:1], s20, v2
                                        ; implicit-def: $vgpr80
	s_and_saveexec_b64 s[10:11], s[0:1]
	s_xor_b64 s[0:1], exec, s[10:11]
; %bb.179:                              ;   in Loop: Header=BB178_51 Depth=1
	v_bfe_u32 v2, v0, 16, 1
	v_add3_u32 v80, v0, v2, s21
                                        ; implicit-def: $vgpr0
; %bb.180:                              ;   in Loop: Header=BB178_51 Depth=1
	s_andn2_saveexec_b64 s[10:11], s[0:1]
; %bb.181:                              ;   in Loop: Header=BB178_51 Depth=1
	v_or_b32_e32 v2, 0x10000, v0
	v_cmp_eq_u32_sdwa s[0:1], v0, v31 src0_sel:WORD_0 src1_sel:DWORD
	v_cndmask_b32_e64 v80, v2, v0, s[0:1]
; %bb.182:                              ;   in Loop: Header=BB178_51 Depth=1
	s_or_b64 exec, exec, s[10:11]
	v_lshlrev_b32_e32 v0, 16, v8
	v_mul_f32_e32 v0, v68, v0
	v_and_b32_e32 v2, 0x7f800000, v0
	v_cmp_ne_u32_e64 s[0:1], s20, v2
                                        ; implicit-def: $vgpr81
	s_and_saveexec_b64 s[10:11], s[0:1]
	s_xor_b64 s[0:1], exec, s[10:11]
; %bb.183:                              ;   in Loop: Header=BB178_51 Depth=1
	v_bfe_u32 v2, v0, 16, 1
	v_add3_u32 v81, v0, v2, s21
                                        ; implicit-def: $vgpr0
; %bb.184:                              ;   in Loop: Header=BB178_51 Depth=1
	s_andn2_saveexec_b64 s[10:11], s[0:1]
; %bb.185:                              ;   in Loop: Header=BB178_51 Depth=1
	v_or_b32_e32 v2, 0x10000, v0
	v_cmp_eq_u32_sdwa s[0:1], v0, v31 src0_sel:WORD_0 src1_sel:DWORD
	v_cndmask_b32_e64 v81, v2, v0, s[0:1]
; %bb.186:                              ;   in Loop: Header=BB178_51 Depth=1
	s_or_b64 exec, exec, s[10:11]
	global_load_dwordx4 v[2:5], v[6:7], off offset:3072
	s_waitcnt vmcnt(0)
	v_lshrrev_b32_e32 v0, 16, v2
	v_lshrrev_b32_e32 v27, 16, v3
	;; [unrolled: 1-line block ×4, first 2 shown]
	s_and_saveexec_b64 s[10:11], vcc
	s_cbranch_execz .LBB178_188
; %bb.187:                              ;   in Loop: Header=BB178_51 Depth=1
	v_cmp_gt_i32_e64 s[0:1], s33, v49
	v_cndmask_b32_e64 v2, 0, v2, s[0:1]
	v_cmp_gt_i32_e64 s[0:1], s33, v57
	v_cndmask_b32_e64 v0, 0, v0, s[0:1]
	;; [unrolled: 2-line block ×8, first 2 shown]
.LBB178_188:                            ;   in Loop: Header=BB178_51 Depth=1
	s_or_b64 exec, exec, s[10:11]
	v_lshlrev_b32_e32 v2, 16, v2
	v_mul_f32_e32 v2, v60, v2
	v_and_b32_e32 v6, 0x7f800000, v2
	v_cmp_ne_u32_e64 s[0:1], s20, v6
                                        ; implicit-def: $vgpr6
	s_and_saveexec_b64 s[10:11], s[0:1]
	s_xor_b64 s[0:1], exec, s[10:11]
; %bb.189:                              ;   in Loop: Header=BB178_51 Depth=1
	v_bfe_u32 v6, v2, 16, 1
	v_add3_u32 v6, v2, v6, s21
                                        ; implicit-def: $vgpr2
; %bb.190:                              ;   in Loop: Header=BB178_51 Depth=1
	s_andn2_saveexec_b64 s[10:11], s[0:1]
; %bb.191:                              ;   in Loop: Header=BB178_51 Depth=1
	v_or_b32_e32 v6, 0x10000, v2
	v_cmp_eq_u32_sdwa s[0:1], v2, v31 src0_sel:WORD_0 src1_sel:DWORD
	v_cndmask_b32_e64 v6, v6, v2, s[0:1]
; %bb.192:                              ;   in Loop: Header=BB178_51 Depth=1
	s_or_b64 exec, exec, s[10:11]
	v_lshlrev_b32_e32 v0, 16, v0
	v_mul_f32_e32 v0, v61, v0
	v_and_b32_e32 v2, 0x7f800000, v0
	v_cmp_ne_u32_e64 s[0:1], s20, v2
                                        ; implicit-def: $vgpr7
	s_and_saveexec_b64 s[10:11], s[0:1]
	s_xor_b64 s[0:1], exec, s[10:11]
; %bb.193:                              ;   in Loop: Header=BB178_51 Depth=1
	v_bfe_u32 v2, v0, 16, 1
	v_add3_u32 v7, v0, v2, s21
                                        ; implicit-def: $vgpr0
; %bb.194:                              ;   in Loop: Header=BB178_51 Depth=1
	s_andn2_saveexec_b64 s[10:11], s[0:1]
; %bb.195:                              ;   in Loop: Header=BB178_51 Depth=1
	v_or_b32_e32 v2, 0x10000, v0
	v_cmp_eq_u32_sdwa s[0:1], v0, v31 src0_sel:WORD_0 src1_sel:DWORD
	v_cndmask_b32_e64 v7, v2, v0, s[0:1]
; %bb.196:                              ;   in Loop: Header=BB178_51 Depth=1
	s_or_b64 exec, exec, s[10:11]
	v_lshlrev_b32_e32 v0, 16, v3
	v_mul_f32_e32 v0, v62, v0
	v_and_b32_e32 v2, 0x7f800000, v0
	v_cmp_ne_u32_e64 s[0:1], s20, v2
                                        ; implicit-def: $vgpr82
	s_and_saveexec_b64 s[10:11], s[0:1]
	s_xor_b64 s[0:1], exec, s[10:11]
; %bb.197:                              ;   in Loop: Header=BB178_51 Depth=1
	v_bfe_u32 v2, v0, 16, 1
	v_add3_u32 v82, v0, v2, s21
                                        ; implicit-def: $vgpr0
; %bb.198:                              ;   in Loop: Header=BB178_51 Depth=1
	s_andn2_saveexec_b64 s[10:11], s[0:1]
; %bb.199:                              ;   in Loop: Header=BB178_51 Depth=1
	v_or_b32_e32 v2, 0x10000, v0
	v_cmp_eq_u32_sdwa s[0:1], v0, v31 src0_sel:WORD_0 src1_sel:DWORD
	v_cndmask_b32_e64 v82, v2, v0, s[0:1]
; %bb.200:                              ;   in Loop: Header=BB178_51 Depth=1
	s_or_b64 exec, exec, s[10:11]
	v_lshlrev_b32_e32 v0, 16, v27
	v_mul_f32_e32 v0, v63, v0
	v_and_b32_e32 v2, 0x7f800000, v0
	v_cmp_ne_u32_e64 s[0:1], s20, v2
                                        ; implicit-def: $vgpr83
	s_and_saveexec_b64 s[10:11], s[0:1]
	s_xor_b64 s[0:1], exec, s[10:11]
; %bb.201:                              ;   in Loop: Header=BB178_51 Depth=1
	v_bfe_u32 v2, v0, 16, 1
	v_add3_u32 v83, v0, v2, s21
                                        ; implicit-def: $vgpr0
; %bb.202:                              ;   in Loop: Header=BB178_51 Depth=1
	s_andn2_saveexec_b64 s[10:11], s[0:1]
; %bb.203:                              ;   in Loop: Header=BB178_51 Depth=1
	v_or_b32_e32 v2, 0x10000, v0
	v_cmp_eq_u32_sdwa s[0:1], v0, v31 src0_sel:WORD_0 src1_sel:DWORD
	v_cndmask_b32_e64 v83, v2, v0, s[0:1]
; %bb.204:                              ;   in Loop: Header=BB178_51 Depth=1
	s_or_b64 exec, exec, s[10:11]
	v_lshlrev_b32_e32 v0, 16, v4
	v_mul_f32_e32 v0, v65, v0
	v_and_b32_e32 v2, 0x7f800000, v0
	v_cmp_ne_u32_e64 s[0:1], s20, v2
                                        ; implicit-def: $vgpr84
	s_and_saveexec_b64 s[10:11], s[0:1]
	s_xor_b64 s[0:1], exec, s[10:11]
; %bb.205:                              ;   in Loop: Header=BB178_51 Depth=1
	v_bfe_u32 v2, v0, 16, 1
	v_add3_u32 v84, v0, v2, s21
                                        ; implicit-def: $vgpr0
; %bb.206:                              ;   in Loop: Header=BB178_51 Depth=1
	s_andn2_saveexec_b64 s[10:11], s[0:1]
; %bb.207:                              ;   in Loop: Header=BB178_51 Depth=1
	v_or_b32_e32 v2, 0x10000, v0
	v_cmp_eq_u32_sdwa s[0:1], v0, v31 src0_sel:WORD_0 src1_sel:DWORD
	v_cndmask_b32_e64 v84, v2, v0, s[0:1]
; %bb.208:                              ;   in Loop: Header=BB178_51 Depth=1
	s_or_b64 exec, exec, s[10:11]
	v_lshlrev_b32_e32 v0, 16, v26
	v_mul_f32_e32 v0, v66, v0
	v_and_b32_e32 v2, 0x7f800000, v0
	v_cmp_ne_u32_e64 s[0:1], s20, v2
                                        ; implicit-def: $vgpr85
	s_and_saveexec_b64 s[10:11], s[0:1]
	s_xor_b64 s[0:1], exec, s[10:11]
; %bb.209:                              ;   in Loop: Header=BB178_51 Depth=1
	v_bfe_u32 v2, v0, 16, 1
	v_add3_u32 v85, v0, v2, s21
                                        ; implicit-def: $vgpr0
; %bb.210:                              ;   in Loop: Header=BB178_51 Depth=1
	s_andn2_saveexec_b64 s[10:11], s[0:1]
; %bb.211:                              ;   in Loop: Header=BB178_51 Depth=1
	v_or_b32_e32 v2, 0x10000, v0
	v_cmp_eq_u32_sdwa s[0:1], v0, v31 src0_sel:WORD_0 src1_sel:DWORD
	v_cndmask_b32_e64 v85, v2, v0, s[0:1]
; %bb.212:                              ;   in Loop: Header=BB178_51 Depth=1
	s_or_b64 exec, exec, s[10:11]
	v_lshlrev_b32_e32 v0, 16, v5
	v_mul_f32_e32 v0, v67, v0
	v_and_b32_e32 v2, 0x7f800000, v0
	v_cmp_ne_u32_e64 s[0:1], s20, v2
                                        ; implicit-def: $vgpr86
	s_and_saveexec_b64 s[10:11], s[0:1]
	s_xor_b64 s[0:1], exec, s[10:11]
; %bb.213:                              ;   in Loop: Header=BB178_51 Depth=1
	v_bfe_u32 v2, v0, 16, 1
	v_add3_u32 v86, v0, v2, s21
                                        ; implicit-def: $vgpr0
; %bb.214:                              ;   in Loop: Header=BB178_51 Depth=1
	s_andn2_saveexec_b64 s[10:11], s[0:1]
; %bb.215:                              ;   in Loop: Header=BB178_51 Depth=1
	v_or_b32_e32 v2, 0x10000, v0
	v_cmp_eq_u32_sdwa s[0:1], v0, v31 src0_sel:WORD_0 src1_sel:DWORD
	v_cndmask_b32_e64 v86, v2, v0, s[0:1]
; %bb.216:                              ;   in Loop: Header=BB178_51 Depth=1
	s_or_b64 exec, exec, s[10:11]
	v_lshlrev_b32_e32 v0, 16, v8
	v_mul_f32_e32 v0, v68, v0
	v_and_b32_e32 v2, 0x7f800000, v0
	v_cmp_ne_u32_e64 s[0:1], s20, v2
                                        ; implicit-def: $vgpr87
	s_and_saveexec_b64 s[10:11], s[0:1]
	s_xor_b64 s[0:1], exec, s[10:11]
; %bb.217:                              ;   in Loop: Header=BB178_51 Depth=1
	v_bfe_u32 v2, v0, 16, 1
	v_add3_u32 v87, v0, v2, s21
                                        ; implicit-def: $vgpr0
; %bb.218:                              ;   in Loop: Header=BB178_51 Depth=1
	s_andn2_saveexec_b64 s[10:11], s[0:1]
; %bb.219:                              ;   in Loop: Header=BB178_51 Depth=1
	v_or_b32_e32 v2, 0x10000, v0
	v_cmp_eq_u32_sdwa s[0:1], v0, v31 src0_sel:WORD_0 src1_sel:DWORD
	v_cndmask_b32_e64 v87, v2, v0, s[0:1]
; %bb.220:                              ;   in Loop: Header=BB178_51 Depth=1
	s_or_b64 exec, exec, s[10:11]
	buffer_load_dword v0, off, s[56:59], 0 offset:24 ; 4-byte Folded Reload
	s_waitcnt vmcnt(0)
	v_add_co_u32_e64 v2, s[0:1], v58, v0
	v_addc_co_u32_e64 v3, s[0:1], 0, v59, s[0:1]
	global_load_dwordx4 v[2:5], v[2:3], off
	s_waitcnt vmcnt(0)
	v_lshrrev_b32_e32 v0, 16, v2
	v_lshrrev_b32_e32 v27, 16, v3
	;; [unrolled: 1-line block ×4, first 2 shown]
	s_and_saveexec_b64 s[10:11], vcc
	s_cbranch_execz .LBB178_222
; %bb.221:                              ;   in Loop: Header=BB178_51 Depth=1
	v_cmp_gt_i32_e64 s[0:1], s33, v49
	v_cndmask_b32_e64 v2, 0, v2, s[0:1]
	v_cmp_gt_i32_e64 s[0:1], s33, v57
	v_cndmask_b32_e64 v0, 0, v0, s[0:1]
	;; [unrolled: 2-line block ×8, first 2 shown]
.LBB178_222:                            ;   in Loop: Header=BB178_51 Depth=1
	s_or_b64 exec, exec, s[10:11]
	v_lshlrev_b32_e32 v2, 16, v2
	v_mul_f32_e32 v2, v60, v2
	v_and_b32_e32 v9, 0x7f800000, v2
	v_cmp_ne_u32_e64 s[0:1], s20, v9
                                        ; implicit-def: $vgpr88
	s_and_saveexec_b64 s[10:11], s[0:1]
	s_xor_b64 s[0:1], exec, s[10:11]
; %bb.223:                              ;   in Loop: Header=BB178_51 Depth=1
	v_bfe_u32 v9, v2, 16, 1
	v_add3_u32 v88, v2, v9, s21
                                        ; implicit-def: $vgpr2
; %bb.224:                              ;   in Loop: Header=BB178_51 Depth=1
	s_andn2_saveexec_b64 s[10:11], s[0:1]
; %bb.225:                              ;   in Loop: Header=BB178_51 Depth=1
	v_or_b32_e32 v9, 0x10000, v2
	v_cmp_eq_u32_sdwa s[0:1], v2, v31 src0_sel:WORD_0 src1_sel:DWORD
	v_cndmask_b32_e64 v88, v9, v2, s[0:1]
; %bb.226:                              ;   in Loop: Header=BB178_51 Depth=1
	s_or_b64 exec, exec, s[10:11]
	v_lshlrev_b32_e32 v0, 16, v0
	v_mul_f32_e32 v0, v61, v0
	v_and_b32_e32 v2, 0x7f800000, v0
	v_cmp_ne_u32_e64 s[0:1], s20, v2
                                        ; implicit-def: $vgpr89
	s_and_saveexec_b64 s[10:11], s[0:1]
	s_xor_b64 s[0:1], exec, s[10:11]
; %bb.227:                              ;   in Loop: Header=BB178_51 Depth=1
	v_bfe_u32 v2, v0, 16, 1
	v_add3_u32 v89, v0, v2, s21
                                        ; implicit-def: $vgpr0
; %bb.228:                              ;   in Loop: Header=BB178_51 Depth=1
	s_andn2_saveexec_b64 s[10:11], s[0:1]
; %bb.229:                              ;   in Loop: Header=BB178_51 Depth=1
	v_or_b32_e32 v2, 0x10000, v0
	v_cmp_eq_u32_sdwa s[0:1], v0, v31 src0_sel:WORD_0 src1_sel:DWORD
	v_cndmask_b32_e64 v89, v2, v0, s[0:1]
; %bb.230:                              ;   in Loop: Header=BB178_51 Depth=1
	s_or_b64 exec, exec, s[10:11]
	v_lshlrev_b32_e32 v0, 16, v3
	v_mul_f32_e32 v0, v62, v0
	v_and_b32_e32 v2, 0x7f800000, v0
	v_cmp_ne_u32_e64 s[0:1], s20, v2
                                        ; implicit-def: $vgpr90
	s_and_saveexec_b64 s[10:11], s[0:1]
	s_xor_b64 s[0:1], exec, s[10:11]
; %bb.231:                              ;   in Loop: Header=BB178_51 Depth=1
	v_bfe_u32 v2, v0, 16, 1
	v_add3_u32 v90, v0, v2, s21
                                        ; implicit-def: $vgpr0
; %bb.232:                              ;   in Loop: Header=BB178_51 Depth=1
	s_andn2_saveexec_b64 s[10:11], s[0:1]
; %bb.233:                              ;   in Loop: Header=BB178_51 Depth=1
	v_or_b32_e32 v2, 0x10000, v0
	v_cmp_eq_u32_sdwa s[0:1], v0, v31 src0_sel:WORD_0 src1_sel:DWORD
	v_cndmask_b32_e64 v90, v2, v0, s[0:1]
; %bb.234:                              ;   in Loop: Header=BB178_51 Depth=1
	s_or_b64 exec, exec, s[10:11]
	v_lshlrev_b32_e32 v0, 16, v27
	v_mul_f32_e32 v0, v63, v0
	v_and_b32_e32 v2, 0x7f800000, v0
	v_cmp_ne_u32_e64 s[0:1], s20, v2
                                        ; implicit-def: $vgpr91
	s_and_saveexec_b64 s[10:11], s[0:1]
	s_xor_b64 s[0:1], exec, s[10:11]
; %bb.235:                              ;   in Loop: Header=BB178_51 Depth=1
	v_bfe_u32 v2, v0, 16, 1
	v_add3_u32 v91, v0, v2, s21
                                        ; implicit-def: $vgpr0
; %bb.236:                              ;   in Loop: Header=BB178_51 Depth=1
	s_andn2_saveexec_b64 s[10:11], s[0:1]
; %bb.237:                              ;   in Loop: Header=BB178_51 Depth=1
	v_or_b32_e32 v2, 0x10000, v0
	v_cmp_eq_u32_sdwa s[0:1], v0, v31 src0_sel:WORD_0 src1_sel:DWORD
	v_cndmask_b32_e64 v91, v2, v0, s[0:1]
; %bb.238:                              ;   in Loop: Header=BB178_51 Depth=1
	s_or_b64 exec, exec, s[10:11]
	v_lshlrev_b32_e32 v0, 16, v4
	v_mul_f32_e32 v0, v65, v0
	v_and_b32_e32 v2, 0x7f800000, v0
	v_cmp_ne_u32_e64 s[0:1], s20, v2
                                        ; implicit-def: $vgpr92
	s_and_saveexec_b64 s[10:11], s[0:1]
	s_xor_b64 s[0:1], exec, s[10:11]
; %bb.239:                              ;   in Loop: Header=BB178_51 Depth=1
	v_bfe_u32 v2, v0, 16, 1
	v_add3_u32 v92, v0, v2, s21
                                        ; implicit-def: $vgpr0
; %bb.240:                              ;   in Loop: Header=BB178_51 Depth=1
	s_andn2_saveexec_b64 s[10:11], s[0:1]
; %bb.241:                              ;   in Loop: Header=BB178_51 Depth=1
	v_or_b32_e32 v2, 0x10000, v0
	v_cmp_eq_u32_sdwa s[0:1], v0, v31 src0_sel:WORD_0 src1_sel:DWORD
	v_cndmask_b32_e64 v92, v2, v0, s[0:1]
; %bb.242:                              ;   in Loop: Header=BB178_51 Depth=1
	s_or_b64 exec, exec, s[10:11]
	v_lshlrev_b32_e32 v0, 16, v26
	v_mul_f32_e32 v0, v66, v0
	v_and_b32_e32 v2, 0x7f800000, v0
	v_cmp_ne_u32_e64 s[0:1], s20, v2
                                        ; implicit-def: $vgpr93
	s_and_saveexec_b64 s[10:11], s[0:1]
	s_xor_b64 s[0:1], exec, s[10:11]
; %bb.243:                              ;   in Loop: Header=BB178_51 Depth=1
	v_bfe_u32 v2, v0, 16, 1
	v_add3_u32 v93, v0, v2, s21
                                        ; implicit-def: $vgpr0
; %bb.244:                              ;   in Loop: Header=BB178_51 Depth=1
	s_andn2_saveexec_b64 s[10:11], s[0:1]
; %bb.245:                              ;   in Loop: Header=BB178_51 Depth=1
	v_or_b32_e32 v2, 0x10000, v0
	v_cmp_eq_u32_sdwa s[0:1], v0, v31 src0_sel:WORD_0 src1_sel:DWORD
	v_cndmask_b32_e64 v93, v2, v0, s[0:1]
; %bb.246:                              ;   in Loop: Header=BB178_51 Depth=1
	s_or_b64 exec, exec, s[10:11]
	v_lshlrev_b32_e32 v0, 16, v5
	v_mul_f32_e32 v0, v67, v0
	v_and_b32_e32 v2, 0x7f800000, v0
	v_cmp_ne_u32_e64 s[0:1], s20, v2
                                        ; implicit-def: $vgpr94
	s_and_saveexec_b64 s[10:11], s[0:1]
	s_xor_b64 s[0:1], exec, s[10:11]
; %bb.247:                              ;   in Loop: Header=BB178_51 Depth=1
	v_bfe_u32 v2, v0, 16, 1
	v_add3_u32 v94, v0, v2, s21
                                        ; implicit-def: $vgpr0
; %bb.248:                              ;   in Loop: Header=BB178_51 Depth=1
	s_andn2_saveexec_b64 s[10:11], s[0:1]
; %bb.249:                              ;   in Loop: Header=BB178_51 Depth=1
	v_or_b32_e32 v2, 0x10000, v0
	v_cmp_eq_u32_sdwa s[0:1], v0, v31 src0_sel:WORD_0 src1_sel:DWORD
	v_cndmask_b32_e64 v94, v2, v0, s[0:1]
; %bb.250:                              ;   in Loop: Header=BB178_51 Depth=1
	s_or_b64 exec, exec, s[10:11]
	v_lshlrev_b32_e32 v0, 16, v8
	v_mul_f32_e32 v0, v68, v0
	v_and_b32_e32 v2, 0x7f800000, v0
	v_cmp_ne_u32_e64 s[0:1], s20, v2
                                        ; implicit-def: $vgpr95
	s_and_saveexec_b64 s[10:11], s[0:1]
	s_xor_b64 s[0:1], exec, s[10:11]
; %bb.251:                              ;   in Loop: Header=BB178_51 Depth=1
	v_bfe_u32 v2, v0, 16, 1
	v_add3_u32 v95, v0, v2, s21
                                        ; implicit-def: $vgpr0
; %bb.252:                              ;   in Loop: Header=BB178_51 Depth=1
	s_andn2_saveexec_b64 s[10:11], s[0:1]
; %bb.253:                              ;   in Loop: Header=BB178_51 Depth=1
	v_or_b32_e32 v2, 0x10000, v0
	v_cmp_eq_u32_sdwa s[0:1], v0, v31 src0_sel:WORD_0 src1_sel:DWORD
	v_cndmask_b32_e64 v95, v2, v0, s[0:1]
; %bb.254:                              ;   in Loop: Header=BB178_51 Depth=1
	s_or_b64 exec, exec, s[10:11]
	buffer_load_dword v0, off, s[56:59], 0 offset:28 ; 4-byte Folded Reload
	s_waitcnt vmcnt(0)
	v_add_co_u32_e64 v2, s[0:1], v58, v0
	v_addc_co_u32_e64 v3, s[0:1], 0, v59, s[0:1]
	global_load_dwordx4 v[2:5], v[2:3], off
	s_waitcnt vmcnt(0)
	v_lshrrev_b32_e32 v0, 16, v2
	v_lshrrev_b32_e32 v27, 16, v3
	;; [unrolled: 1-line block ×4, first 2 shown]
	s_and_saveexec_b64 s[10:11], vcc
	s_cbranch_execz .LBB178_256
; %bb.255:                              ;   in Loop: Header=BB178_51 Depth=1
	v_cmp_gt_i32_e64 s[0:1], s33, v49
	v_cndmask_b32_e64 v2, 0, v2, s[0:1]
	v_cmp_gt_i32_e64 s[0:1], s33, v57
	v_cndmask_b32_e64 v0, 0, v0, s[0:1]
	;; [unrolled: 2-line block ×8, first 2 shown]
.LBB178_256:                            ;   in Loop: Header=BB178_51 Depth=1
	s_or_b64 exec, exec, s[10:11]
	v_lshlrev_b32_e32 v2, 16, v2
	v_mul_f32_e32 v2, v60, v2
	v_and_b32_e32 v9, 0x7f800000, v2
	v_cmp_ne_u32_e64 s[0:1], s20, v9
                                        ; implicit-def: $vgpr96
	s_and_saveexec_b64 s[10:11], s[0:1]
	s_xor_b64 s[0:1], exec, s[10:11]
; %bb.257:                              ;   in Loop: Header=BB178_51 Depth=1
	v_bfe_u32 v9, v2, 16, 1
	v_add3_u32 v96, v2, v9, s21
                                        ; implicit-def: $vgpr2
; %bb.258:                              ;   in Loop: Header=BB178_51 Depth=1
	s_andn2_saveexec_b64 s[10:11], s[0:1]
; %bb.259:                              ;   in Loop: Header=BB178_51 Depth=1
	v_or_b32_e32 v9, 0x10000, v2
	v_cmp_eq_u32_sdwa s[0:1], v2, v31 src0_sel:WORD_0 src1_sel:DWORD
	v_cndmask_b32_e64 v96, v9, v2, s[0:1]
; %bb.260:                              ;   in Loop: Header=BB178_51 Depth=1
	s_or_b64 exec, exec, s[10:11]
	v_lshlrev_b32_e32 v0, 16, v0
	v_mul_f32_e32 v0, v61, v0
	v_and_b32_e32 v2, 0x7f800000, v0
	v_cmp_ne_u32_e64 s[0:1], s20, v2
                                        ; implicit-def: $vgpr97
	s_and_saveexec_b64 s[10:11], s[0:1]
	s_xor_b64 s[0:1], exec, s[10:11]
; %bb.261:                              ;   in Loop: Header=BB178_51 Depth=1
	v_bfe_u32 v2, v0, 16, 1
	v_add3_u32 v97, v0, v2, s21
                                        ; implicit-def: $vgpr0
; %bb.262:                              ;   in Loop: Header=BB178_51 Depth=1
	s_andn2_saveexec_b64 s[10:11], s[0:1]
; %bb.263:                              ;   in Loop: Header=BB178_51 Depth=1
	v_or_b32_e32 v2, 0x10000, v0
	v_cmp_eq_u32_sdwa s[0:1], v0, v31 src0_sel:WORD_0 src1_sel:DWORD
	v_cndmask_b32_e64 v97, v2, v0, s[0:1]
; %bb.264:                              ;   in Loop: Header=BB178_51 Depth=1
	s_or_b64 exec, exec, s[10:11]
	v_lshlrev_b32_e32 v0, 16, v3
	v_mul_f32_e32 v0, v62, v0
	v_and_b32_e32 v2, 0x7f800000, v0
	v_cmp_ne_u32_e64 s[0:1], s20, v2
                                        ; implicit-def: $vgpr98
	s_and_saveexec_b64 s[10:11], s[0:1]
	s_xor_b64 s[0:1], exec, s[10:11]
; %bb.265:                              ;   in Loop: Header=BB178_51 Depth=1
	v_bfe_u32 v2, v0, 16, 1
	v_add3_u32 v98, v0, v2, s21
                                        ; implicit-def: $vgpr0
; %bb.266:                              ;   in Loop: Header=BB178_51 Depth=1
	s_andn2_saveexec_b64 s[10:11], s[0:1]
; %bb.267:                              ;   in Loop: Header=BB178_51 Depth=1
	v_or_b32_e32 v2, 0x10000, v0
	v_cmp_eq_u32_sdwa s[0:1], v0, v31 src0_sel:WORD_0 src1_sel:DWORD
	v_cndmask_b32_e64 v98, v2, v0, s[0:1]
; %bb.268:                              ;   in Loop: Header=BB178_51 Depth=1
	s_or_b64 exec, exec, s[10:11]
	v_lshlrev_b32_e32 v0, 16, v27
	v_mul_f32_e32 v0, v63, v0
	v_and_b32_e32 v2, 0x7f800000, v0
	v_cmp_ne_u32_e64 s[0:1], s20, v2
                                        ; implicit-def: $vgpr99
	s_and_saveexec_b64 s[10:11], s[0:1]
	s_xor_b64 s[0:1], exec, s[10:11]
; %bb.269:                              ;   in Loop: Header=BB178_51 Depth=1
	v_bfe_u32 v2, v0, 16, 1
	v_add3_u32 v99, v0, v2, s21
                                        ; implicit-def: $vgpr0
; %bb.270:                              ;   in Loop: Header=BB178_51 Depth=1
	s_andn2_saveexec_b64 s[10:11], s[0:1]
; %bb.271:                              ;   in Loop: Header=BB178_51 Depth=1
	v_or_b32_e32 v2, 0x10000, v0
	v_cmp_eq_u32_sdwa s[0:1], v0, v31 src0_sel:WORD_0 src1_sel:DWORD
	v_cndmask_b32_e64 v99, v2, v0, s[0:1]
; %bb.272:                              ;   in Loop: Header=BB178_51 Depth=1
	s_or_b64 exec, exec, s[10:11]
	v_lshlrev_b32_e32 v0, 16, v4
	v_mul_f32_e32 v0, v65, v0
	v_and_b32_e32 v2, 0x7f800000, v0
	v_cmp_ne_u32_e64 s[0:1], s20, v2
                                        ; implicit-def: $vgpr100
	s_and_saveexec_b64 s[10:11], s[0:1]
	s_xor_b64 s[0:1], exec, s[10:11]
; %bb.273:                              ;   in Loop: Header=BB178_51 Depth=1
	v_bfe_u32 v2, v0, 16, 1
	v_add3_u32 v100, v0, v2, s21
                                        ; implicit-def: $vgpr0
; %bb.274:                              ;   in Loop: Header=BB178_51 Depth=1
	s_andn2_saveexec_b64 s[10:11], s[0:1]
; %bb.275:                              ;   in Loop: Header=BB178_51 Depth=1
	v_or_b32_e32 v2, 0x10000, v0
	v_cmp_eq_u32_sdwa s[0:1], v0, v31 src0_sel:WORD_0 src1_sel:DWORD
	v_cndmask_b32_e64 v100, v2, v0, s[0:1]
; %bb.276:                              ;   in Loop: Header=BB178_51 Depth=1
	s_or_b64 exec, exec, s[10:11]
	v_lshlrev_b32_e32 v0, 16, v26
	v_mul_f32_e32 v0, v66, v0
	v_and_b32_e32 v2, 0x7f800000, v0
	v_cmp_ne_u32_e64 s[0:1], s20, v2
                                        ; implicit-def: $vgpr101
	s_and_saveexec_b64 s[10:11], s[0:1]
	s_xor_b64 s[0:1], exec, s[10:11]
; %bb.277:                              ;   in Loop: Header=BB178_51 Depth=1
	v_bfe_u32 v2, v0, 16, 1
	v_add3_u32 v101, v0, v2, s21
                                        ; implicit-def: $vgpr0
; %bb.278:                              ;   in Loop: Header=BB178_51 Depth=1
	s_andn2_saveexec_b64 s[10:11], s[0:1]
; %bb.279:                              ;   in Loop: Header=BB178_51 Depth=1
	v_or_b32_e32 v2, 0x10000, v0
	v_cmp_eq_u32_sdwa s[0:1], v0, v31 src0_sel:WORD_0 src1_sel:DWORD
	v_cndmask_b32_e64 v101, v2, v0, s[0:1]
; %bb.280:                              ;   in Loop: Header=BB178_51 Depth=1
	s_or_b64 exec, exec, s[10:11]
	v_lshlrev_b32_e32 v0, 16, v5
	v_mul_f32_e32 v0, v67, v0
	v_and_b32_e32 v2, 0x7f800000, v0
	v_cmp_ne_u32_e64 s[0:1], s20, v2
                                        ; implicit-def: $vgpr102
	s_and_saveexec_b64 s[10:11], s[0:1]
	s_xor_b64 s[0:1], exec, s[10:11]
; %bb.281:                              ;   in Loop: Header=BB178_51 Depth=1
	v_bfe_u32 v2, v0, 16, 1
	v_add3_u32 v102, v0, v2, s21
                                        ; implicit-def: $vgpr0
; %bb.282:                              ;   in Loop: Header=BB178_51 Depth=1
	s_andn2_saveexec_b64 s[10:11], s[0:1]
; %bb.283:                              ;   in Loop: Header=BB178_51 Depth=1
	v_or_b32_e32 v2, 0x10000, v0
	v_cmp_eq_u32_sdwa s[0:1], v0, v31 src0_sel:WORD_0 src1_sel:DWORD
	v_cndmask_b32_e64 v102, v2, v0, s[0:1]
; %bb.284:                              ;   in Loop: Header=BB178_51 Depth=1
	s_or_b64 exec, exec, s[10:11]
	v_lshlrev_b32_e32 v0, 16, v8
	v_mul_f32_e32 v0, v68, v0
	v_and_b32_e32 v2, 0x7f800000, v0
	v_cmp_ne_u32_e64 s[0:1], s20, v2
                                        ; implicit-def: $vgpr103
	s_and_saveexec_b64 s[10:11], s[0:1]
	s_xor_b64 s[0:1], exec, s[10:11]
; %bb.285:                              ;   in Loop: Header=BB178_51 Depth=1
	v_bfe_u32 v2, v0, 16, 1
	v_add3_u32 v103, v0, v2, s21
                                        ; implicit-def: $vgpr0
; %bb.286:                              ;   in Loop: Header=BB178_51 Depth=1
	s_andn2_saveexec_b64 s[10:11], s[0:1]
; %bb.287:                              ;   in Loop: Header=BB178_51 Depth=1
	v_or_b32_e32 v2, 0x10000, v0
	v_cmp_eq_u32_sdwa s[0:1], v0, v31 src0_sel:WORD_0 src1_sel:DWORD
	v_cndmask_b32_e64 v103, v2, v0, s[0:1]
; %bb.288:                              ;   in Loop: Header=BB178_51 Depth=1
	s_or_b64 exec, exec, s[10:11]
	buffer_load_dword v0, off, s[56:59], 0 offset:32 ; 4-byte Folded Reload
	s_waitcnt vmcnt(0)
	v_add_co_u32_e64 v2, s[0:1], v58, v0
	v_addc_co_u32_e64 v3, s[0:1], 0, v59, s[0:1]
	global_load_dwordx4 v[2:5], v[2:3], off
	s_waitcnt vmcnt(0)
	v_lshrrev_b32_e32 v0, 16, v2
	v_lshrrev_b32_e32 v27, 16, v3
	;; [unrolled: 1-line block ×4, first 2 shown]
	s_and_saveexec_b64 s[10:11], vcc
	s_cbranch_execz .LBB178_290
; %bb.289:                              ;   in Loop: Header=BB178_51 Depth=1
	v_cmp_gt_i32_e64 s[0:1], s33, v49
	v_cndmask_b32_e64 v2, 0, v2, s[0:1]
	v_cmp_gt_i32_e64 s[0:1], s33, v57
	v_cndmask_b32_e64 v0, 0, v0, s[0:1]
	;; [unrolled: 2-line block ×8, first 2 shown]
.LBB178_290:                            ;   in Loop: Header=BB178_51 Depth=1
	s_or_b64 exec, exec, s[10:11]
	v_lshlrev_b32_e32 v2, 16, v2
	v_mul_f32_e32 v2, v60, v2
	v_and_b32_e32 v9, 0x7f800000, v2
	v_cmp_ne_u32_e64 s[0:1], s20, v9
                                        ; implicit-def: $vgpr104
	s_and_saveexec_b64 s[10:11], s[0:1]
	s_xor_b64 s[0:1], exec, s[10:11]
; %bb.291:                              ;   in Loop: Header=BB178_51 Depth=1
	v_bfe_u32 v9, v2, 16, 1
	v_add3_u32 v104, v2, v9, s21
                                        ; implicit-def: $vgpr2
; %bb.292:                              ;   in Loop: Header=BB178_51 Depth=1
	s_andn2_saveexec_b64 s[10:11], s[0:1]
; %bb.293:                              ;   in Loop: Header=BB178_51 Depth=1
	v_or_b32_e32 v9, 0x10000, v2
	v_cmp_eq_u32_sdwa s[0:1], v2, v31 src0_sel:WORD_0 src1_sel:DWORD
	v_cndmask_b32_e64 v104, v9, v2, s[0:1]
; %bb.294:                              ;   in Loop: Header=BB178_51 Depth=1
	s_or_b64 exec, exec, s[10:11]
	v_lshlrev_b32_e32 v0, 16, v0
	v_mul_f32_e32 v0, v61, v0
	v_and_b32_e32 v2, 0x7f800000, v0
	v_cmp_ne_u32_e64 s[0:1], s20, v2
                                        ; implicit-def: $vgpr105
	s_and_saveexec_b64 s[10:11], s[0:1]
	s_xor_b64 s[0:1], exec, s[10:11]
; %bb.295:                              ;   in Loop: Header=BB178_51 Depth=1
	v_bfe_u32 v2, v0, 16, 1
	v_add3_u32 v105, v0, v2, s21
                                        ; implicit-def: $vgpr0
; %bb.296:                              ;   in Loop: Header=BB178_51 Depth=1
	s_andn2_saveexec_b64 s[10:11], s[0:1]
; %bb.297:                              ;   in Loop: Header=BB178_51 Depth=1
	v_or_b32_e32 v2, 0x10000, v0
	v_cmp_eq_u32_sdwa s[0:1], v0, v31 src0_sel:WORD_0 src1_sel:DWORD
	v_cndmask_b32_e64 v105, v2, v0, s[0:1]
; %bb.298:                              ;   in Loop: Header=BB178_51 Depth=1
	s_or_b64 exec, exec, s[10:11]
	v_lshlrev_b32_e32 v0, 16, v3
	v_mul_f32_e32 v0, v62, v0
	v_and_b32_e32 v2, 0x7f800000, v0
	v_cmp_ne_u32_e64 s[0:1], s20, v2
                                        ; implicit-def: $vgpr106
	s_and_saveexec_b64 s[10:11], s[0:1]
	s_xor_b64 s[0:1], exec, s[10:11]
; %bb.299:                              ;   in Loop: Header=BB178_51 Depth=1
	v_bfe_u32 v2, v0, 16, 1
	v_add3_u32 v106, v0, v2, s21
                                        ; implicit-def: $vgpr0
; %bb.300:                              ;   in Loop: Header=BB178_51 Depth=1
	s_andn2_saveexec_b64 s[10:11], s[0:1]
; %bb.301:                              ;   in Loop: Header=BB178_51 Depth=1
	v_or_b32_e32 v2, 0x10000, v0
	v_cmp_eq_u32_sdwa s[0:1], v0, v31 src0_sel:WORD_0 src1_sel:DWORD
	v_cndmask_b32_e64 v106, v2, v0, s[0:1]
; %bb.302:                              ;   in Loop: Header=BB178_51 Depth=1
	s_or_b64 exec, exec, s[10:11]
	v_lshlrev_b32_e32 v0, 16, v27
	v_mul_f32_e32 v0, v63, v0
	v_and_b32_e32 v2, 0x7f800000, v0
	v_cmp_ne_u32_e64 s[0:1], s20, v2
                                        ; implicit-def: $vgpr107
	s_and_saveexec_b64 s[10:11], s[0:1]
	s_xor_b64 s[0:1], exec, s[10:11]
; %bb.303:                              ;   in Loop: Header=BB178_51 Depth=1
	v_bfe_u32 v2, v0, 16, 1
	v_add3_u32 v107, v0, v2, s21
                                        ; implicit-def: $vgpr0
; %bb.304:                              ;   in Loop: Header=BB178_51 Depth=1
	s_andn2_saveexec_b64 s[10:11], s[0:1]
; %bb.305:                              ;   in Loop: Header=BB178_51 Depth=1
	v_or_b32_e32 v2, 0x10000, v0
	v_cmp_eq_u32_sdwa s[0:1], v0, v31 src0_sel:WORD_0 src1_sel:DWORD
	v_cndmask_b32_e64 v107, v2, v0, s[0:1]
; %bb.306:                              ;   in Loop: Header=BB178_51 Depth=1
	s_or_b64 exec, exec, s[10:11]
	v_lshlrev_b32_e32 v0, 16, v4
	v_mul_f32_e32 v0, v65, v0
	v_and_b32_e32 v2, 0x7f800000, v0
	v_cmp_ne_u32_e64 s[0:1], s20, v2
                                        ; implicit-def: $vgpr108
	s_and_saveexec_b64 s[10:11], s[0:1]
	s_xor_b64 s[0:1], exec, s[10:11]
; %bb.307:                              ;   in Loop: Header=BB178_51 Depth=1
	v_bfe_u32 v2, v0, 16, 1
	v_add3_u32 v108, v0, v2, s21
                                        ; implicit-def: $vgpr0
; %bb.308:                              ;   in Loop: Header=BB178_51 Depth=1
	s_andn2_saveexec_b64 s[10:11], s[0:1]
; %bb.309:                              ;   in Loop: Header=BB178_51 Depth=1
	v_or_b32_e32 v2, 0x10000, v0
	v_cmp_eq_u32_sdwa s[0:1], v0, v31 src0_sel:WORD_0 src1_sel:DWORD
	v_cndmask_b32_e64 v108, v2, v0, s[0:1]
; %bb.310:                              ;   in Loop: Header=BB178_51 Depth=1
	s_or_b64 exec, exec, s[10:11]
	v_lshlrev_b32_e32 v0, 16, v26
	v_mul_f32_e32 v0, v66, v0
	v_and_b32_e32 v2, 0x7f800000, v0
	v_cmp_ne_u32_e64 s[0:1], s20, v2
                                        ; implicit-def: $vgpr109
	s_and_saveexec_b64 s[10:11], s[0:1]
	s_xor_b64 s[0:1], exec, s[10:11]
; %bb.311:                              ;   in Loop: Header=BB178_51 Depth=1
	v_bfe_u32 v2, v0, 16, 1
	v_add3_u32 v109, v0, v2, s21
                                        ; implicit-def: $vgpr0
; %bb.312:                              ;   in Loop: Header=BB178_51 Depth=1
	s_andn2_saveexec_b64 s[10:11], s[0:1]
; %bb.313:                              ;   in Loop: Header=BB178_51 Depth=1
	v_or_b32_e32 v2, 0x10000, v0
	v_cmp_eq_u32_sdwa s[0:1], v0, v31 src0_sel:WORD_0 src1_sel:DWORD
	v_cndmask_b32_e64 v109, v2, v0, s[0:1]
; %bb.314:                              ;   in Loop: Header=BB178_51 Depth=1
	s_or_b64 exec, exec, s[10:11]
	v_lshlrev_b32_e32 v0, 16, v5
	v_mul_f32_e32 v0, v67, v0
	v_and_b32_e32 v2, 0x7f800000, v0
	v_cmp_ne_u32_e64 s[0:1], s20, v2
                                        ; implicit-def: $vgpr110
	s_and_saveexec_b64 s[10:11], s[0:1]
	s_xor_b64 s[0:1], exec, s[10:11]
; %bb.315:                              ;   in Loop: Header=BB178_51 Depth=1
	v_bfe_u32 v2, v0, 16, 1
	v_add3_u32 v110, v0, v2, s21
                                        ; implicit-def: $vgpr0
; %bb.316:                              ;   in Loop: Header=BB178_51 Depth=1
	s_andn2_saveexec_b64 s[10:11], s[0:1]
; %bb.317:                              ;   in Loop: Header=BB178_51 Depth=1
	v_or_b32_e32 v2, 0x10000, v0
	v_cmp_eq_u32_sdwa s[0:1], v0, v31 src0_sel:WORD_0 src1_sel:DWORD
	v_cndmask_b32_e64 v110, v2, v0, s[0:1]
; %bb.318:                              ;   in Loop: Header=BB178_51 Depth=1
	s_or_b64 exec, exec, s[10:11]
	v_lshlrev_b32_e32 v0, 16, v8
	v_mul_f32_e32 v0, v68, v0
	v_and_b32_e32 v2, 0x7f800000, v0
	v_cmp_ne_u32_e64 s[0:1], s20, v2
                                        ; implicit-def: $vgpr111
	s_and_saveexec_b64 s[10:11], s[0:1]
	s_xor_b64 s[0:1], exec, s[10:11]
; %bb.319:                              ;   in Loop: Header=BB178_51 Depth=1
	v_bfe_u32 v2, v0, 16, 1
	v_add3_u32 v111, v0, v2, s21
                                        ; implicit-def: $vgpr0
; %bb.320:                              ;   in Loop: Header=BB178_51 Depth=1
	s_andn2_saveexec_b64 s[10:11], s[0:1]
; %bb.321:                              ;   in Loop: Header=BB178_51 Depth=1
	v_or_b32_e32 v2, 0x10000, v0
	v_cmp_eq_u32_sdwa s[0:1], v0, v31 src0_sel:WORD_0 src1_sel:DWORD
	v_cndmask_b32_e64 v111, v2, v0, s[0:1]
; %bb.322:                              ;   in Loop: Header=BB178_51 Depth=1
	s_or_b64 exec, exec, s[10:11]
	buffer_load_dword v0, off, s[56:59], 0 offset:36 ; 4-byte Folded Reload
	s_waitcnt vmcnt(0)
	v_add_co_u32_e64 v2, s[0:1], v58, v0
	v_addc_co_u32_e64 v3, s[0:1], 0, v59, s[0:1]
	global_load_dwordx4 v[2:5], v[2:3], off
	s_waitcnt vmcnt(0)
	v_lshrrev_b32_e32 v0, 16, v2
	v_lshrrev_b32_e32 v27, 16, v3
	;; [unrolled: 1-line block ×4, first 2 shown]
	s_and_saveexec_b64 s[10:11], vcc
	s_cbranch_execz .LBB178_324
; %bb.323:                              ;   in Loop: Header=BB178_51 Depth=1
	v_cmp_gt_i32_e64 s[0:1], s33, v49
	v_cndmask_b32_e64 v2, 0, v2, s[0:1]
	v_cmp_gt_i32_e64 s[0:1], s33, v57
	v_cndmask_b32_e64 v0, 0, v0, s[0:1]
	v_cmp_gt_i32_e64 s[0:1], s33, v56
	v_cndmask_b32_e64 v3, 0, v3, s[0:1]
	v_cmp_gt_i32_e64 s[0:1], s33, v54
	v_cndmask_b32_e64 v27, 0, v27, s[0:1]
	v_cmp_gt_i32_e64 s[0:1], s33, v53
	v_cndmask_b32_e64 v4, 0, v4, s[0:1]
	v_cmp_gt_i32_e64 s[0:1], s33, v52
	v_cndmask_b32_e64 v26, 0, v26, s[0:1]
	v_cmp_gt_i32_e64 s[0:1], s33, v51
	v_cndmask_b32_e64 v5, 0, v5, s[0:1]
	v_cmp_gt_i32_e64 s[0:1], s33, v55
	v_cndmask_b32_e64 v8, 0, v8, s[0:1]
.LBB178_324:                            ;   in Loop: Header=BB178_51 Depth=1
	s_or_b64 exec, exec, s[10:11]
	v_lshlrev_b32_e32 v2, 16, v2
	v_mul_f32_e32 v2, v60, v2
	v_and_b32_e32 v9, 0x7f800000, v2
	v_cmp_ne_u32_e64 s[0:1], s20, v9
                                        ; implicit-def: $vgpr112
	s_and_saveexec_b64 s[10:11], s[0:1]
	s_xor_b64 s[0:1], exec, s[10:11]
; %bb.325:                              ;   in Loop: Header=BB178_51 Depth=1
	v_bfe_u32 v9, v2, 16, 1
	v_add3_u32 v112, v2, v9, s21
                                        ; implicit-def: $vgpr2
; %bb.326:                              ;   in Loop: Header=BB178_51 Depth=1
	s_andn2_saveexec_b64 s[10:11], s[0:1]
; %bb.327:                              ;   in Loop: Header=BB178_51 Depth=1
	v_or_b32_e32 v9, 0x10000, v2
	v_cmp_eq_u32_sdwa s[0:1], v2, v31 src0_sel:WORD_0 src1_sel:DWORD
	v_cndmask_b32_e64 v112, v9, v2, s[0:1]
; %bb.328:                              ;   in Loop: Header=BB178_51 Depth=1
	s_or_b64 exec, exec, s[10:11]
	v_lshlrev_b32_e32 v0, 16, v0
	v_mul_f32_e32 v0, v61, v0
	v_and_b32_e32 v2, 0x7f800000, v0
	v_cmp_ne_u32_e64 s[0:1], s20, v2
                                        ; implicit-def: $vgpr113
	s_and_saveexec_b64 s[10:11], s[0:1]
	s_xor_b64 s[0:1], exec, s[10:11]
; %bb.329:                              ;   in Loop: Header=BB178_51 Depth=1
	v_bfe_u32 v2, v0, 16, 1
	v_add3_u32 v113, v0, v2, s21
                                        ; implicit-def: $vgpr0
; %bb.330:                              ;   in Loop: Header=BB178_51 Depth=1
	s_andn2_saveexec_b64 s[10:11], s[0:1]
; %bb.331:                              ;   in Loop: Header=BB178_51 Depth=1
	v_or_b32_e32 v2, 0x10000, v0
	v_cmp_eq_u32_sdwa s[0:1], v0, v31 src0_sel:WORD_0 src1_sel:DWORD
	v_cndmask_b32_e64 v113, v2, v0, s[0:1]
; %bb.332:                              ;   in Loop: Header=BB178_51 Depth=1
	s_or_b64 exec, exec, s[10:11]
	v_lshlrev_b32_e32 v0, 16, v3
	v_mul_f32_e32 v0, v62, v0
	v_and_b32_e32 v2, 0x7f800000, v0
	v_cmp_ne_u32_e64 s[0:1], s20, v2
                                        ; implicit-def: $vgpr114
	s_and_saveexec_b64 s[10:11], s[0:1]
	s_xor_b64 s[0:1], exec, s[10:11]
; %bb.333:                              ;   in Loop: Header=BB178_51 Depth=1
	v_bfe_u32 v2, v0, 16, 1
	v_add3_u32 v114, v0, v2, s21
                                        ; implicit-def: $vgpr0
; %bb.334:                              ;   in Loop: Header=BB178_51 Depth=1
	s_andn2_saveexec_b64 s[10:11], s[0:1]
; %bb.335:                              ;   in Loop: Header=BB178_51 Depth=1
	v_or_b32_e32 v2, 0x10000, v0
	v_cmp_eq_u32_sdwa s[0:1], v0, v31 src0_sel:WORD_0 src1_sel:DWORD
	v_cndmask_b32_e64 v114, v2, v0, s[0:1]
; %bb.336:                              ;   in Loop: Header=BB178_51 Depth=1
	s_or_b64 exec, exec, s[10:11]
	v_lshlrev_b32_e32 v0, 16, v27
	v_mul_f32_e32 v0, v63, v0
	v_and_b32_e32 v2, 0x7f800000, v0
	v_cmp_ne_u32_e64 s[0:1], s20, v2
                                        ; implicit-def: $vgpr115
	s_and_saveexec_b64 s[10:11], s[0:1]
	s_xor_b64 s[0:1], exec, s[10:11]
; %bb.337:                              ;   in Loop: Header=BB178_51 Depth=1
	v_bfe_u32 v2, v0, 16, 1
	v_add3_u32 v115, v0, v2, s21
                                        ; implicit-def: $vgpr0
; %bb.338:                              ;   in Loop: Header=BB178_51 Depth=1
	s_andn2_saveexec_b64 s[10:11], s[0:1]
; %bb.339:                              ;   in Loop: Header=BB178_51 Depth=1
	v_or_b32_e32 v2, 0x10000, v0
	v_cmp_eq_u32_sdwa s[0:1], v0, v31 src0_sel:WORD_0 src1_sel:DWORD
	v_cndmask_b32_e64 v115, v2, v0, s[0:1]
; %bb.340:                              ;   in Loop: Header=BB178_51 Depth=1
	s_or_b64 exec, exec, s[10:11]
	v_lshlrev_b32_e32 v0, 16, v4
	v_mul_f32_e32 v0, v65, v0
	v_and_b32_e32 v2, 0x7f800000, v0
	v_cmp_ne_u32_e64 s[0:1], s20, v2
                                        ; implicit-def: $vgpr116
	s_and_saveexec_b64 s[10:11], s[0:1]
	s_xor_b64 s[0:1], exec, s[10:11]
; %bb.341:                              ;   in Loop: Header=BB178_51 Depth=1
	v_bfe_u32 v2, v0, 16, 1
	v_add3_u32 v116, v0, v2, s21
                                        ; implicit-def: $vgpr0
; %bb.342:                              ;   in Loop: Header=BB178_51 Depth=1
	s_andn2_saveexec_b64 s[10:11], s[0:1]
; %bb.343:                              ;   in Loop: Header=BB178_51 Depth=1
	v_or_b32_e32 v2, 0x10000, v0
	v_cmp_eq_u32_sdwa s[0:1], v0, v31 src0_sel:WORD_0 src1_sel:DWORD
	v_cndmask_b32_e64 v116, v2, v0, s[0:1]
; %bb.344:                              ;   in Loop: Header=BB178_51 Depth=1
	s_or_b64 exec, exec, s[10:11]
	v_lshlrev_b32_e32 v0, 16, v26
	v_mul_f32_e32 v0, v66, v0
	v_and_b32_e32 v2, 0x7f800000, v0
	v_cmp_ne_u32_e64 s[0:1], s20, v2
                                        ; implicit-def: $vgpr117
	s_and_saveexec_b64 s[10:11], s[0:1]
	s_xor_b64 s[0:1], exec, s[10:11]
; %bb.345:                              ;   in Loop: Header=BB178_51 Depth=1
	v_bfe_u32 v2, v0, 16, 1
	v_add3_u32 v117, v0, v2, s21
                                        ; implicit-def: $vgpr0
; %bb.346:                              ;   in Loop: Header=BB178_51 Depth=1
	s_andn2_saveexec_b64 s[10:11], s[0:1]
; %bb.347:                              ;   in Loop: Header=BB178_51 Depth=1
	v_or_b32_e32 v2, 0x10000, v0
	v_cmp_eq_u32_sdwa s[0:1], v0, v31 src0_sel:WORD_0 src1_sel:DWORD
	v_cndmask_b32_e64 v117, v2, v0, s[0:1]
; %bb.348:                              ;   in Loop: Header=BB178_51 Depth=1
	s_or_b64 exec, exec, s[10:11]
	v_lshlrev_b32_e32 v0, 16, v5
	v_mul_f32_e32 v0, v67, v0
	v_and_b32_e32 v2, 0x7f800000, v0
	v_cmp_ne_u32_e64 s[0:1], s20, v2
                                        ; implicit-def: $vgpr118
	s_and_saveexec_b64 s[10:11], s[0:1]
	s_xor_b64 s[0:1], exec, s[10:11]
; %bb.349:                              ;   in Loop: Header=BB178_51 Depth=1
	v_bfe_u32 v2, v0, 16, 1
	v_add3_u32 v118, v0, v2, s21
                                        ; implicit-def: $vgpr0
; %bb.350:                              ;   in Loop: Header=BB178_51 Depth=1
	s_andn2_saveexec_b64 s[10:11], s[0:1]
; %bb.351:                              ;   in Loop: Header=BB178_51 Depth=1
	v_or_b32_e32 v2, 0x10000, v0
	v_cmp_eq_u32_sdwa s[0:1], v0, v31 src0_sel:WORD_0 src1_sel:DWORD
	v_cndmask_b32_e64 v118, v2, v0, s[0:1]
; %bb.352:                              ;   in Loop: Header=BB178_51 Depth=1
	s_or_b64 exec, exec, s[10:11]
	v_lshlrev_b32_e32 v0, 16, v8
	v_mul_f32_e32 v0, v68, v0
	v_and_b32_e32 v2, 0x7f800000, v0
	v_cmp_ne_u32_e64 s[0:1], s20, v2
                                        ; implicit-def: $vgpr119
	s_and_saveexec_b64 s[10:11], s[0:1]
	s_xor_b64 s[0:1], exec, s[10:11]
; %bb.353:                              ;   in Loop: Header=BB178_51 Depth=1
	v_bfe_u32 v2, v0, 16, 1
	v_add3_u32 v119, v0, v2, s21
                                        ; implicit-def: $vgpr0
; %bb.354:                              ;   in Loop: Header=BB178_51 Depth=1
	s_andn2_saveexec_b64 s[10:11], s[0:1]
; %bb.355:                              ;   in Loop: Header=BB178_51 Depth=1
	v_or_b32_e32 v2, 0x10000, v0
	v_cmp_eq_u32_sdwa s[0:1], v0, v31 src0_sel:WORD_0 src1_sel:DWORD
	v_cndmask_b32_e64 v119, v2, v0, s[0:1]
; %bb.356:                              ;   in Loop: Header=BB178_51 Depth=1
	s_or_b64 exec, exec, s[10:11]
	buffer_load_dword v0, off, s[56:59], 0 offset:40 ; 4-byte Folded Reload
	s_waitcnt vmcnt(0)
	v_add_co_u32_e64 v2, s[0:1], v58, v0
	v_addc_co_u32_e64 v3, s[0:1], 0, v59, s[0:1]
	global_load_dwordx4 v[2:5], v[2:3], off
	s_waitcnt vmcnt(0)
	v_lshrrev_b32_e32 v0, 16, v2
	v_lshrrev_b32_e32 v27, 16, v3
	;; [unrolled: 1-line block ×4, first 2 shown]
	s_and_saveexec_b64 s[10:11], vcc
	s_cbranch_execz .LBB178_358
; %bb.357:                              ;   in Loop: Header=BB178_51 Depth=1
	v_cmp_gt_i32_e64 s[0:1], s33, v49
	v_cndmask_b32_e64 v2, 0, v2, s[0:1]
	v_cmp_gt_i32_e64 s[0:1], s33, v57
	v_cndmask_b32_e64 v0, 0, v0, s[0:1]
	;; [unrolled: 2-line block ×8, first 2 shown]
.LBB178_358:                            ;   in Loop: Header=BB178_51 Depth=1
	s_or_b64 exec, exec, s[10:11]
	v_lshlrev_b32_e32 v2, 16, v2
	v_mul_f32_e32 v2, v60, v2
	v_and_b32_e32 v9, 0x7f800000, v2
	v_cmp_ne_u32_e64 s[0:1], s20, v9
                                        ; implicit-def: $vgpr120
	s_and_saveexec_b64 s[10:11], s[0:1]
	s_xor_b64 s[0:1], exec, s[10:11]
; %bb.359:                              ;   in Loop: Header=BB178_51 Depth=1
	v_bfe_u32 v9, v2, 16, 1
	v_add3_u32 v120, v2, v9, s21
                                        ; implicit-def: $vgpr2
; %bb.360:                              ;   in Loop: Header=BB178_51 Depth=1
	s_andn2_saveexec_b64 s[10:11], s[0:1]
; %bb.361:                              ;   in Loop: Header=BB178_51 Depth=1
	v_or_b32_e32 v9, 0x10000, v2
	v_cmp_eq_u32_sdwa s[0:1], v2, v31 src0_sel:WORD_0 src1_sel:DWORD
	v_cndmask_b32_e64 v120, v9, v2, s[0:1]
; %bb.362:                              ;   in Loop: Header=BB178_51 Depth=1
	s_or_b64 exec, exec, s[10:11]
	v_lshlrev_b32_e32 v0, 16, v0
	v_mul_f32_e32 v0, v61, v0
	v_and_b32_e32 v2, 0x7f800000, v0
	v_cmp_ne_u32_e64 s[0:1], s20, v2
                                        ; implicit-def: $vgpr121
	s_and_saveexec_b64 s[10:11], s[0:1]
	s_xor_b64 s[0:1], exec, s[10:11]
; %bb.363:                              ;   in Loop: Header=BB178_51 Depth=1
	v_bfe_u32 v2, v0, 16, 1
	v_add3_u32 v121, v0, v2, s21
                                        ; implicit-def: $vgpr0
; %bb.364:                              ;   in Loop: Header=BB178_51 Depth=1
	s_andn2_saveexec_b64 s[10:11], s[0:1]
; %bb.365:                              ;   in Loop: Header=BB178_51 Depth=1
	v_or_b32_e32 v2, 0x10000, v0
	v_cmp_eq_u32_sdwa s[0:1], v0, v31 src0_sel:WORD_0 src1_sel:DWORD
	v_cndmask_b32_e64 v121, v2, v0, s[0:1]
; %bb.366:                              ;   in Loop: Header=BB178_51 Depth=1
	s_or_b64 exec, exec, s[10:11]
	v_lshlrev_b32_e32 v0, 16, v3
	v_mul_f32_e32 v0, v62, v0
	v_and_b32_e32 v2, 0x7f800000, v0
	v_cmp_ne_u32_e64 s[0:1], s20, v2
                                        ; implicit-def: $vgpr122
	s_and_saveexec_b64 s[10:11], s[0:1]
	s_xor_b64 s[0:1], exec, s[10:11]
; %bb.367:                              ;   in Loop: Header=BB178_51 Depth=1
	v_bfe_u32 v2, v0, 16, 1
	v_add3_u32 v122, v0, v2, s21
                                        ; implicit-def: $vgpr0
; %bb.368:                              ;   in Loop: Header=BB178_51 Depth=1
	s_andn2_saveexec_b64 s[10:11], s[0:1]
; %bb.369:                              ;   in Loop: Header=BB178_51 Depth=1
	v_or_b32_e32 v2, 0x10000, v0
	v_cmp_eq_u32_sdwa s[0:1], v0, v31 src0_sel:WORD_0 src1_sel:DWORD
	v_cndmask_b32_e64 v122, v2, v0, s[0:1]
; %bb.370:                              ;   in Loop: Header=BB178_51 Depth=1
	s_or_b64 exec, exec, s[10:11]
	v_lshlrev_b32_e32 v0, 16, v27
	v_mul_f32_e32 v0, v63, v0
	v_and_b32_e32 v2, 0x7f800000, v0
	v_cmp_ne_u32_e64 s[0:1], s20, v2
                                        ; implicit-def: $vgpr123
	s_and_saveexec_b64 s[10:11], s[0:1]
	s_xor_b64 s[0:1], exec, s[10:11]
; %bb.371:                              ;   in Loop: Header=BB178_51 Depth=1
	v_bfe_u32 v2, v0, 16, 1
	v_add3_u32 v123, v0, v2, s21
                                        ; implicit-def: $vgpr0
; %bb.372:                              ;   in Loop: Header=BB178_51 Depth=1
	s_andn2_saveexec_b64 s[10:11], s[0:1]
; %bb.373:                              ;   in Loop: Header=BB178_51 Depth=1
	v_or_b32_e32 v2, 0x10000, v0
	v_cmp_eq_u32_sdwa s[0:1], v0, v31 src0_sel:WORD_0 src1_sel:DWORD
	v_cndmask_b32_e64 v123, v2, v0, s[0:1]
; %bb.374:                              ;   in Loop: Header=BB178_51 Depth=1
	s_or_b64 exec, exec, s[10:11]
	v_lshlrev_b32_e32 v0, 16, v4
	v_mul_f32_e32 v0, v65, v0
	v_and_b32_e32 v2, 0x7f800000, v0
	v_cmp_ne_u32_e64 s[0:1], s20, v2
                                        ; implicit-def: $vgpr124
	s_and_saveexec_b64 s[10:11], s[0:1]
	s_xor_b64 s[0:1], exec, s[10:11]
; %bb.375:                              ;   in Loop: Header=BB178_51 Depth=1
	v_bfe_u32 v2, v0, 16, 1
	v_add3_u32 v124, v0, v2, s21
                                        ; implicit-def: $vgpr0
; %bb.376:                              ;   in Loop: Header=BB178_51 Depth=1
	s_andn2_saveexec_b64 s[10:11], s[0:1]
; %bb.377:                              ;   in Loop: Header=BB178_51 Depth=1
	v_or_b32_e32 v2, 0x10000, v0
	v_cmp_eq_u32_sdwa s[0:1], v0, v31 src0_sel:WORD_0 src1_sel:DWORD
	v_cndmask_b32_e64 v124, v2, v0, s[0:1]
; %bb.378:                              ;   in Loop: Header=BB178_51 Depth=1
	s_or_b64 exec, exec, s[10:11]
	v_lshlrev_b32_e32 v0, 16, v26
	v_mul_f32_e32 v0, v66, v0
	v_and_b32_e32 v2, 0x7f800000, v0
	v_cmp_ne_u32_e64 s[0:1], s20, v2
                                        ; implicit-def: $vgpr125
	s_and_saveexec_b64 s[10:11], s[0:1]
	s_xor_b64 s[0:1], exec, s[10:11]
; %bb.379:                              ;   in Loop: Header=BB178_51 Depth=1
	v_bfe_u32 v2, v0, 16, 1
	v_add3_u32 v125, v0, v2, s21
                                        ; implicit-def: $vgpr0
; %bb.380:                              ;   in Loop: Header=BB178_51 Depth=1
	s_andn2_saveexec_b64 s[10:11], s[0:1]
; %bb.381:                              ;   in Loop: Header=BB178_51 Depth=1
	v_or_b32_e32 v2, 0x10000, v0
	v_cmp_eq_u32_sdwa s[0:1], v0, v31 src0_sel:WORD_0 src1_sel:DWORD
	v_cndmask_b32_e64 v125, v2, v0, s[0:1]
; %bb.382:                              ;   in Loop: Header=BB178_51 Depth=1
	s_or_b64 exec, exec, s[10:11]
	v_lshlrev_b32_e32 v0, 16, v5
	v_mul_f32_e32 v0, v67, v0
	v_and_b32_e32 v2, 0x7f800000, v0
	v_cmp_ne_u32_e64 s[0:1], s20, v2
                                        ; implicit-def: $vgpr126
	s_and_saveexec_b64 s[10:11], s[0:1]
	s_xor_b64 s[0:1], exec, s[10:11]
; %bb.383:                              ;   in Loop: Header=BB178_51 Depth=1
	v_bfe_u32 v2, v0, 16, 1
	v_add3_u32 v126, v0, v2, s21
                                        ; implicit-def: $vgpr0
; %bb.384:                              ;   in Loop: Header=BB178_51 Depth=1
	s_andn2_saveexec_b64 s[10:11], s[0:1]
; %bb.385:                              ;   in Loop: Header=BB178_51 Depth=1
	v_or_b32_e32 v2, 0x10000, v0
	v_cmp_eq_u32_sdwa s[0:1], v0, v31 src0_sel:WORD_0 src1_sel:DWORD
	v_cndmask_b32_e64 v126, v2, v0, s[0:1]
; %bb.386:                              ;   in Loop: Header=BB178_51 Depth=1
	s_or_b64 exec, exec, s[10:11]
	v_lshlrev_b32_e32 v0, 16, v8
	v_mul_f32_e32 v0, v68, v0
	v_and_b32_e32 v2, 0x7f800000, v0
	v_cmp_ne_u32_e64 s[0:1], s20, v2
                                        ; implicit-def: $vgpr127
	s_and_saveexec_b64 s[10:11], s[0:1]
	s_xor_b64 s[0:1], exec, s[10:11]
; %bb.387:                              ;   in Loop: Header=BB178_51 Depth=1
	v_bfe_u32 v2, v0, 16, 1
	v_add3_u32 v127, v0, v2, s21
                                        ; implicit-def: $vgpr0
; %bb.388:                              ;   in Loop: Header=BB178_51 Depth=1
	s_andn2_saveexec_b64 s[10:11], s[0:1]
; %bb.389:                              ;   in Loop: Header=BB178_51 Depth=1
	v_or_b32_e32 v2, 0x10000, v0
	v_cmp_eq_u32_sdwa s[0:1], v0, v31 src0_sel:WORD_0 src1_sel:DWORD
	v_cndmask_b32_e64 v127, v2, v0, s[0:1]
; %bb.390:                              ;   in Loop: Header=BB178_51 Depth=1
	s_or_b64 exec, exec, s[10:11]
	buffer_load_dword v0, off, s[56:59], 0 offset:44 ; 4-byte Folded Reload
	s_waitcnt vmcnt(0)
	v_add_co_u32_e64 v2, s[0:1], v58, v0
	v_addc_co_u32_e64 v3, s[0:1], 0, v59, s[0:1]
	global_load_dwordx4 v[2:5], v[2:3], off
	s_waitcnt vmcnt(0)
	v_lshrrev_b32_e32 v0, 16, v2
	v_lshrrev_b32_e32 v29, 16, v3
	;; [unrolled: 1-line block ×4, first 2 shown]
	s_and_saveexec_b64 s[10:11], vcc
	s_cbranch_execz .LBB178_392
; %bb.391:                              ;   in Loop: Header=BB178_51 Depth=1
	v_cmp_gt_i32_e64 s[0:1], s33, v49
	v_cndmask_b32_e64 v2, 0, v2, s[0:1]
	v_cmp_gt_i32_e64 s[0:1], s33, v57
	v_cndmask_b32_e64 v0, 0, v0, s[0:1]
	;; [unrolled: 2-line block ×8, first 2 shown]
.LBB178_392:                            ;   in Loop: Header=BB178_51 Depth=1
	s_or_b64 exec, exec, s[10:11]
	v_lshlrev_b32_e32 v2, 16, v2
	v_mul_f32_e32 v2, v60, v2
	v_and_b32_e32 v9, 0x7f800000, v2
	v_cmp_ne_u32_e64 s[0:1], s20, v9
                                        ; implicit-def: $vgpr27
	s_and_saveexec_b64 s[10:11], s[0:1]
	s_xor_b64 s[0:1], exec, s[10:11]
; %bb.393:                              ;   in Loop: Header=BB178_51 Depth=1
	v_bfe_u32 v9, v2, 16, 1
	v_add3_u32 v27, v2, v9, s21
                                        ; implicit-def: $vgpr2
; %bb.394:                              ;   in Loop: Header=BB178_51 Depth=1
	s_andn2_saveexec_b64 s[10:11], s[0:1]
; %bb.395:                              ;   in Loop: Header=BB178_51 Depth=1
	v_or_b32_e32 v9, 0x10000, v2
	v_cmp_eq_u32_sdwa s[0:1], v2, v31 src0_sel:WORD_0 src1_sel:DWORD
	v_cndmask_b32_e64 v27, v9, v2, s[0:1]
; %bb.396:                              ;   in Loop: Header=BB178_51 Depth=1
	s_or_b64 exec, exec, s[10:11]
	v_lshlrev_b32_e32 v0, 16, v0
	v_mul_f32_e32 v0, v61, v0
	v_and_b32_e32 v2, 0x7f800000, v0
	v_cmp_ne_u32_e64 s[0:1], s20, v2
                                        ; implicit-def: $vgpr26
	s_and_saveexec_b64 s[10:11], s[0:1]
	s_xor_b64 s[0:1], exec, s[10:11]
; %bb.397:                              ;   in Loop: Header=BB178_51 Depth=1
	v_bfe_u32 v2, v0, 16, 1
	v_add3_u32 v26, v0, v2, s21
                                        ; implicit-def: $vgpr0
; %bb.398:                              ;   in Loop: Header=BB178_51 Depth=1
	s_andn2_saveexec_b64 s[10:11], s[0:1]
; %bb.399:                              ;   in Loop: Header=BB178_51 Depth=1
	v_or_b32_e32 v2, 0x10000, v0
	v_cmp_eq_u32_sdwa s[0:1], v0, v31 src0_sel:WORD_0 src1_sel:DWORD
	v_cndmask_b32_e64 v26, v2, v0, s[0:1]
; %bb.400:                              ;   in Loop: Header=BB178_51 Depth=1
	s_or_b64 exec, exec, s[10:11]
	v_lshlrev_b32_e32 v0, 16, v3
	v_mul_f32_e32 v0, v62, v0
	v_and_b32_e32 v2, 0x7f800000, v0
	v_cmp_ne_u32_e64 s[0:1], s20, v2
                                        ; implicit-def: $vgpr30
	s_and_saveexec_b64 s[10:11], s[0:1]
	s_xor_b64 s[0:1], exec, s[10:11]
; %bb.401:                              ;   in Loop: Header=BB178_51 Depth=1
	v_bfe_u32 v2, v0, 16, 1
	v_add3_u32 v30, v0, v2, s21
                                        ; implicit-def: $vgpr0
; %bb.402:                              ;   in Loop: Header=BB178_51 Depth=1
	s_andn2_saveexec_b64 s[10:11], s[0:1]
; %bb.403:                              ;   in Loop: Header=BB178_51 Depth=1
	v_or_b32_e32 v2, 0x10000, v0
	v_cmp_eq_u32_sdwa s[0:1], v0, v31 src0_sel:WORD_0 src1_sel:DWORD
	v_cndmask_b32_e64 v30, v2, v0, s[0:1]
; %bb.404:                              ;   in Loop: Header=BB178_51 Depth=1
	s_or_b64 exec, exec, s[10:11]
	v_lshlrev_b32_e32 v0, 16, v29
	v_mul_f32_e32 v0, v63, v0
	v_and_b32_e32 v2, 0x7f800000, v0
	v_cmp_ne_u32_e64 s[0:1], s20, v2
                                        ; implicit-def: $vgpr33
	s_and_saveexec_b64 s[10:11], s[0:1]
	s_xor_b64 s[0:1], exec, s[10:11]
; %bb.405:                              ;   in Loop: Header=BB178_51 Depth=1
	v_bfe_u32 v2, v0, 16, 1
	v_add3_u32 v33, v0, v2, s21
                                        ; implicit-def: $vgpr0
; %bb.406:                              ;   in Loop: Header=BB178_51 Depth=1
	s_andn2_saveexec_b64 s[10:11], s[0:1]
; %bb.407:                              ;   in Loop: Header=BB178_51 Depth=1
	v_or_b32_e32 v2, 0x10000, v0
	v_cmp_eq_u32_sdwa s[0:1], v0, v31 src0_sel:WORD_0 src1_sel:DWORD
	v_cndmask_b32_e64 v33, v2, v0, s[0:1]
; %bb.408:                              ;   in Loop: Header=BB178_51 Depth=1
	s_or_b64 exec, exec, s[10:11]
	v_lshlrev_b32_e32 v0, 16, v4
	v_mul_f32_e32 v0, v65, v0
	v_and_b32_e32 v2, 0x7f800000, v0
	v_cmp_ne_u32_e64 s[0:1], s20, v2
                                        ; implicit-def: $vgpr34
	s_and_saveexec_b64 s[10:11], s[0:1]
	s_xor_b64 s[0:1], exec, s[10:11]
; %bb.409:                              ;   in Loop: Header=BB178_51 Depth=1
	v_bfe_u32 v2, v0, 16, 1
	v_add3_u32 v34, v0, v2, s21
                                        ; implicit-def: $vgpr0
; %bb.410:                              ;   in Loop: Header=BB178_51 Depth=1
	s_andn2_saveexec_b64 s[10:11], s[0:1]
; %bb.411:                              ;   in Loop: Header=BB178_51 Depth=1
	v_or_b32_e32 v2, 0x10000, v0
	v_cmp_eq_u32_sdwa s[0:1], v0, v31 src0_sel:WORD_0 src1_sel:DWORD
	v_cndmask_b32_e64 v34, v2, v0, s[0:1]
; %bb.412:                              ;   in Loop: Header=BB178_51 Depth=1
	s_or_b64 exec, exec, s[10:11]
	v_lshlrev_b32_e32 v0, 16, v28
	v_mul_f32_e32 v0, v66, v0
	v_and_b32_e32 v2, 0x7f800000, v0
	v_cmp_ne_u32_e64 s[0:1], s20, v2
                                        ; implicit-def: $vgpr35
	s_and_saveexec_b64 s[10:11], s[0:1]
	s_xor_b64 s[0:1], exec, s[10:11]
; %bb.413:                              ;   in Loop: Header=BB178_51 Depth=1
	v_bfe_u32 v2, v0, 16, 1
	v_add3_u32 v35, v0, v2, s21
                                        ; implicit-def: $vgpr0
; %bb.414:                              ;   in Loop: Header=BB178_51 Depth=1
	s_andn2_saveexec_b64 s[10:11], s[0:1]
; %bb.415:                              ;   in Loop: Header=BB178_51 Depth=1
	v_or_b32_e32 v2, 0x10000, v0
	v_cmp_eq_u32_sdwa s[0:1], v0, v31 src0_sel:WORD_0 src1_sel:DWORD
	v_cndmask_b32_e64 v35, v2, v0, s[0:1]
; %bb.416:                              ;   in Loop: Header=BB178_51 Depth=1
	s_or_b64 exec, exec, s[10:11]
	v_lshlrev_b32_e32 v0, 16, v5
	v_mul_f32_e32 v0, v67, v0
	v_and_b32_e32 v2, 0x7f800000, v0
	v_cmp_ne_u32_e64 s[0:1], s20, v2
                                        ; implicit-def: $vgpr36
	s_and_saveexec_b64 s[10:11], s[0:1]
	s_xor_b64 s[0:1], exec, s[10:11]
; %bb.417:                              ;   in Loop: Header=BB178_51 Depth=1
	v_bfe_u32 v2, v0, 16, 1
	v_add3_u32 v36, v0, v2, s21
                                        ; implicit-def: $vgpr0
; %bb.418:                              ;   in Loop: Header=BB178_51 Depth=1
	s_andn2_saveexec_b64 s[10:11], s[0:1]
; %bb.419:                              ;   in Loop: Header=BB178_51 Depth=1
	v_or_b32_e32 v2, 0x10000, v0
	v_cmp_eq_u32_sdwa s[0:1], v0, v31 src0_sel:WORD_0 src1_sel:DWORD
	v_cndmask_b32_e64 v36, v2, v0, s[0:1]
; %bb.420:                              ;   in Loop: Header=BB178_51 Depth=1
	s_or_b64 exec, exec, s[10:11]
	v_lshlrev_b32_e32 v0, 16, v8
	v_mul_f32_e32 v0, v68, v0
	v_and_b32_e32 v2, 0x7f800000, v0
	v_cmp_ne_u32_e64 s[0:1], s20, v2
                                        ; implicit-def: $vgpr37
	s_and_saveexec_b64 s[10:11], s[0:1]
	s_xor_b64 s[0:1], exec, s[10:11]
; %bb.421:                              ;   in Loop: Header=BB178_51 Depth=1
	v_bfe_u32 v2, v0, 16, 1
	v_add3_u32 v37, v0, v2, s21
                                        ; implicit-def: $vgpr0
; %bb.422:                              ;   in Loop: Header=BB178_51 Depth=1
	s_andn2_saveexec_b64 s[10:11], s[0:1]
; %bb.423:                              ;   in Loop: Header=BB178_51 Depth=1
	v_or_b32_e32 v2, 0x10000, v0
	v_cmp_eq_u32_sdwa s[0:1], v0, v31 src0_sel:WORD_0 src1_sel:DWORD
	v_cndmask_b32_e64 v37, v2, v0, s[0:1]
; %bb.424:                              ;   in Loop: Header=BB178_51 Depth=1
	s_or_b64 exec, exec, s[10:11]
	buffer_load_dword v0, off, s[56:59], 0 offset:48 ; 4-byte Folded Reload
	s_waitcnt vmcnt(0)
	v_add_co_u32_e64 v2, s[0:1], v58, v0
	v_addc_co_u32_e64 v3, s[0:1], 0, v59, s[0:1]
	global_load_dwordx4 v[2:5], v[2:3], off
	s_waitcnt vmcnt(0)
	v_lshrrev_b32_e32 v0, 16, v2
	v_lshrrev_b32_e32 v28, 16, v3
	;; [unrolled: 1-line block ×4, first 2 shown]
	s_and_saveexec_b64 s[10:11], vcc
	s_cbranch_execz .LBB178_426
; %bb.425:                              ;   in Loop: Header=BB178_51 Depth=1
	v_cmp_gt_i32_e64 s[0:1], s33, v49
	v_cndmask_b32_e64 v2, 0, v2, s[0:1]
	v_cmp_gt_i32_e64 s[0:1], s33, v57
	v_cndmask_b32_e64 v0, 0, v0, s[0:1]
	;; [unrolled: 2-line block ×8, first 2 shown]
.LBB178_426:                            ;   in Loop: Header=BB178_51 Depth=1
	s_or_b64 exec, exec, s[10:11]
	v_lshlrev_b32_e32 v2, 16, v2
	v_mul_f32_e32 v2, v60, v2
	v_and_b32_e32 v9, 0x7f800000, v2
	v_cmp_ne_u32_e64 s[0:1], s20, v9
                                        ; implicit-def: $vgpr38
	s_and_saveexec_b64 s[10:11], s[0:1]
	s_xor_b64 s[0:1], exec, s[10:11]
; %bb.427:                              ;   in Loop: Header=BB178_51 Depth=1
	v_bfe_u32 v9, v2, 16, 1
	v_add3_u32 v38, v2, v9, s21
                                        ; implicit-def: $vgpr2
; %bb.428:                              ;   in Loop: Header=BB178_51 Depth=1
	s_andn2_saveexec_b64 s[10:11], s[0:1]
; %bb.429:                              ;   in Loop: Header=BB178_51 Depth=1
	v_or_b32_e32 v9, 0x10000, v2
	v_cmp_eq_u32_sdwa s[0:1], v2, v31 src0_sel:WORD_0 src1_sel:DWORD
	v_cndmask_b32_e64 v38, v9, v2, s[0:1]
; %bb.430:                              ;   in Loop: Header=BB178_51 Depth=1
	s_or_b64 exec, exec, s[10:11]
	v_lshlrev_b32_e32 v0, 16, v0
	v_mul_f32_e32 v0, v61, v0
	v_and_b32_e32 v2, 0x7f800000, v0
	v_cmp_ne_u32_e64 s[0:1], s20, v2
                                        ; implicit-def: $vgpr39
	s_and_saveexec_b64 s[10:11], s[0:1]
	s_xor_b64 s[0:1], exec, s[10:11]
; %bb.431:                              ;   in Loop: Header=BB178_51 Depth=1
	v_bfe_u32 v2, v0, 16, 1
	v_add3_u32 v39, v0, v2, s21
                                        ; implicit-def: $vgpr0
; %bb.432:                              ;   in Loop: Header=BB178_51 Depth=1
	s_andn2_saveexec_b64 s[10:11], s[0:1]
; %bb.433:                              ;   in Loop: Header=BB178_51 Depth=1
	v_or_b32_e32 v2, 0x10000, v0
	v_cmp_eq_u32_sdwa s[0:1], v0, v31 src0_sel:WORD_0 src1_sel:DWORD
	v_cndmask_b32_e64 v39, v2, v0, s[0:1]
; %bb.434:                              ;   in Loop: Header=BB178_51 Depth=1
	s_or_b64 exec, exec, s[10:11]
	v_lshlrev_b32_e32 v0, 16, v3
	v_mul_f32_e32 v0, v62, v0
	v_and_b32_e32 v2, 0x7f800000, v0
	v_cmp_ne_u32_e64 s[0:1], s20, v2
                                        ; implicit-def: $vgpr40
	s_and_saveexec_b64 s[10:11], s[0:1]
	s_xor_b64 s[0:1], exec, s[10:11]
; %bb.435:                              ;   in Loop: Header=BB178_51 Depth=1
	v_bfe_u32 v2, v0, 16, 1
	v_add3_u32 v40, v0, v2, s21
                                        ; implicit-def: $vgpr0
; %bb.436:                              ;   in Loop: Header=BB178_51 Depth=1
	s_andn2_saveexec_b64 s[10:11], s[0:1]
; %bb.437:                              ;   in Loop: Header=BB178_51 Depth=1
	v_or_b32_e32 v2, 0x10000, v0
	v_cmp_eq_u32_sdwa s[0:1], v0, v31 src0_sel:WORD_0 src1_sel:DWORD
	v_cndmask_b32_e64 v40, v2, v0, s[0:1]
; %bb.438:                              ;   in Loop: Header=BB178_51 Depth=1
	s_or_b64 exec, exec, s[10:11]
	v_lshlrev_b32_e32 v0, 16, v28
	v_mul_f32_e32 v0, v63, v0
	v_and_b32_e32 v2, 0x7f800000, v0
	v_cmp_ne_u32_e64 s[0:1], s20, v2
                                        ; implicit-def: $vgpr41
	s_and_saveexec_b64 s[10:11], s[0:1]
	s_xor_b64 s[0:1], exec, s[10:11]
; %bb.439:                              ;   in Loop: Header=BB178_51 Depth=1
	v_bfe_u32 v2, v0, 16, 1
	v_add3_u32 v41, v0, v2, s21
                                        ; implicit-def: $vgpr0
; %bb.440:                              ;   in Loop: Header=BB178_51 Depth=1
	s_andn2_saveexec_b64 s[10:11], s[0:1]
; %bb.441:                              ;   in Loop: Header=BB178_51 Depth=1
	v_or_b32_e32 v2, 0x10000, v0
	v_cmp_eq_u32_sdwa s[0:1], v0, v31 src0_sel:WORD_0 src1_sel:DWORD
	v_cndmask_b32_e64 v41, v2, v0, s[0:1]
; %bb.442:                              ;   in Loop: Header=BB178_51 Depth=1
	s_or_b64 exec, exec, s[10:11]
	v_lshlrev_b32_e32 v0, 16, v4
	v_mul_f32_e32 v0, v65, v0
	v_and_b32_e32 v2, 0x7f800000, v0
	v_cmp_ne_u32_e64 s[0:1], s20, v2
                                        ; implicit-def: $vgpr28
	s_and_saveexec_b64 s[10:11], s[0:1]
	s_xor_b64 s[0:1], exec, s[10:11]
; %bb.443:                              ;   in Loop: Header=BB178_51 Depth=1
	v_bfe_u32 v2, v0, 16, 1
	v_add3_u32 v28, v0, v2, s21
                                        ; implicit-def: $vgpr0
; %bb.444:                              ;   in Loop: Header=BB178_51 Depth=1
	s_andn2_saveexec_b64 s[10:11], s[0:1]
; %bb.445:                              ;   in Loop: Header=BB178_51 Depth=1
	v_or_b32_e32 v2, 0x10000, v0
	v_cmp_eq_u32_sdwa s[0:1], v0, v31 src0_sel:WORD_0 src1_sel:DWORD
	v_cndmask_b32_e64 v28, v2, v0, s[0:1]
; %bb.446:                              ;   in Loop: Header=BB178_51 Depth=1
	s_or_b64 exec, exec, s[10:11]
	v_lshlrev_b32_e32 v0, 16, v29
	v_mul_f32_e32 v0, v66, v0
	v_and_b32_e32 v2, 0x7f800000, v0
	v_cmp_ne_u32_e64 s[0:1], s20, v2
                                        ; implicit-def: $vgpr29
	s_and_saveexec_b64 s[10:11], s[0:1]
	s_xor_b64 s[0:1], exec, s[10:11]
; %bb.447:                              ;   in Loop: Header=BB178_51 Depth=1
	v_bfe_u32 v2, v0, 16, 1
	v_add3_u32 v29, v0, v2, s21
                                        ; implicit-def: $vgpr0
; %bb.448:                              ;   in Loop: Header=BB178_51 Depth=1
	s_andn2_saveexec_b64 s[10:11], s[0:1]
; %bb.449:                              ;   in Loop: Header=BB178_51 Depth=1
	v_or_b32_e32 v2, 0x10000, v0
	v_cmp_eq_u32_sdwa s[0:1], v0, v31 src0_sel:WORD_0 src1_sel:DWORD
	v_cndmask_b32_e64 v29, v2, v0, s[0:1]
; %bb.450:                              ;   in Loop: Header=BB178_51 Depth=1
	s_or_b64 exec, exec, s[10:11]
	v_lshlrev_b32_e32 v0, 16, v5
	v_mul_f32_e32 v0, v67, v0
	v_and_b32_e32 v2, 0x7f800000, v0
	v_cmp_ne_u32_e64 s[0:1], s20, v2
                                        ; implicit-def: $vgpr32
	s_and_saveexec_b64 s[10:11], s[0:1]
	s_xor_b64 s[0:1], exec, s[10:11]
; %bb.451:                              ;   in Loop: Header=BB178_51 Depth=1
	v_bfe_u32 v2, v0, 16, 1
	v_add3_u32 v32, v0, v2, s21
                                        ; implicit-def: $vgpr0
; %bb.452:                              ;   in Loop: Header=BB178_51 Depth=1
	s_andn2_saveexec_b64 s[10:11], s[0:1]
; %bb.453:                              ;   in Loop: Header=BB178_51 Depth=1
	v_or_b32_e32 v2, 0x10000, v0
	v_cmp_eq_u32_sdwa s[0:1], v0, v31 src0_sel:WORD_0 src1_sel:DWORD
	v_cndmask_b32_e64 v32, v2, v0, s[0:1]
; %bb.454:                              ;   in Loop: Header=BB178_51 Depth=1
	s_or_b64 exec, exec, s[10:11]
	v_lshlrev_b32_e32 v0, 16, v8
	v_mul_f32_e32 v0, v68, v0
	v_and_b32_e32 v2, 0x7f800000, v0
	v_cmp_ne_u32_e64 s[0:1], s20, v2
                                        ; implicit-def: $vgpr8
	s_and_saveexec_b64 s[10:11], s[0:1]
	s_xor_b64 s[0:1], exec, s[10:11]
; %bb.455:                              ;   in Loop: Header=BB178_51 Depth=1
	v_bfe_u32 v2, v0, 16, 1
	v_add3_u32 v8, v0, v2, s21
                                        ; implicit-def: $vgpr0
; %bb.456:                              ;   in Loop: Header=BB178_51 Depth=1
	s_andn2_saveexec_b64 s[10:11], s[0:1]
; %bb.457:                              ;   in Loop: Header=BB178_51 Depth=1
	v_or_b32_e32 v2, 0x10000, v0
	v_cmp_eq_u32_sdwa s[0:1], v0, v31 src0_sel:WORD_0 src1_sel:DWORD
	v_cndmask_b32_e64 v8, v2, v0, s[0:1]
; %bb.458:                              ;   in Loop: Header=BB178_51 Depth=1
	s_or_b64 exec, exec, s[10:11]
	buffer_load_dword v0, off, s[56:59], 0 offset:52 ; 4-byte Folded Reload
	s_waitcnt vmcnt(0)
	v_add_co_u32_e64 v2, s[0:1], v58, v0
	v_addc_co_u32_e64 v3, s[0:1], 0, v59, s[0:1]
	global_load_dwordx4 v[2:5], v[2:3], off
	s_waitcnt vmcnt(0)
	v_lshrrev_b32_e32 v9, 16, v2
	v_lshrrev_b32_e32 v0, 16, v3
	;; [unrolled: 1-line block ×4, first 2 shown]
	s_and_saveexec_b64 s[0:1], vcc
	s_cbranch_execz .LBB178_460
; %bb.459:                              ;   in Loop: Header=BB178_51 Depth=1
	v_cmp_gt_i32_e32 vcc, s33, v49
	v_cndmask_b32_e32 v2, 0, v2, vcc
	v_cmp_gt_i32_e32 vcc, s33, v57
	v_cndmask_b32_e32 v9, 0, v9, vcc
	;; [unrolled: 2-line block ×8, first 2 shown]
.LBB178_460:                            ;   in Loop: Header=BB178_51 Depth=1
	s_or_b64 exec, exec, s[0:1]
	v_lshlrev_b32_e32 v2, 16, v2
	v_mul_f32_e32 v49, v60, v2
	v_and_b32_e32 v2, 0x7f800000, v49
	v_cmp_ne_u32_e32 vcc, s20, v2
                                        ; implicit-def: $vgpr2
	s_and_saveexec_b64 s[0:1], vcc
	s_xor_b64 s[0:1], exec, s[0:1]
; %bb.461:                              ;   in Loop: Header=BB178_51 Depth=1
	v_bfe_u32 v2, v49, 16, 1
	v_add3_u32 v2, v49, v2, s21
                                        ; implicit-def: $vgpr49
; %bb.462:                              ;   in Loop: Header=BB178_51 Depth=1
	s_andn2_saveexec_b64 s[0:1], s[0:1]
; %bb.463:                              ;   in Loop: Header=BB178_51 Depth=1
	v_or_b32_e32 v2, 0x10000, v49
	v_cmp_eq_u32_sdwa vcc, v49, v31 src0_sel:WORD_0 src1_sel:DWORD
	v_cndmask_b32_e32 v2, v2, v49, vcc
; %bb.464:                              ;   in Loop: Header=BB178_51 Depth=1
	s_or_b64 exec, exec, s[0:1]
	v_lshlrev_b32_e32 v9, 16, v9
	v_mul_f32_e32 v9, v61, v9
	v_and_b32_e32 v49, 0x7f800000, v9
	v_cmp_ne_u32_e32 vcc, s20, v49
                                        ; implicit-def: $vgpr49
	s_and_saveexec_b64 s[0:1], vcc
	s_xor_b64 s[0:1], exec, s[0:1]
; %bb.465:                              ;   in Loop: Header=BB178_51 Depth=1
	v_bfe_u32 v49, v9, 16, 1
	v_add3_u32 v49, v9, v49, s21
                                        ; implicit-def: $vgpr9
; %bb.466:                              ;   in Loop: Header=BB178_51 Depth=1
	s_andn2_saveexec_b64 s[0:1], s[0:1]
; %bb.467:                              ;   in Loop: Header=BB178_51 Depth=1
	v_or_b32_e32 v49, 0x10000, v9
	v_cmp_eq_u32_sdwa vcc, v9, v31 src0_sel:WORD_0 src1_sel:DWORD
	v_cndmask_b32_e32 v49, v49, v9, vcc
; %bb.468:                              ;   in Loop: Header=BB178_51 Depth=1
	s_or_b64 exec, exec, s[0:1]
	v_lshlrev_b32_e32 v3, 16, v3
	v_mul_f32_e32 v9, v62, v3
	v_and_b32_e32 v3, 0x7f800000, v9
	v_cmp_ne_u32_e32 vcc, s20, v3
                                        ; implicit-def: $vgpr3
	s_and_saveexec_b64 s[0:1], vcc
	s_xor_b64 s[0:1], exec, s[0:1]
; %bb.469:                              ;   in Loop: Header=BB178_51 Depth=1
	v_bfe_u32 v3, v9, 16, 1
	v_add3_u32 v3, v9, v3, s21
                                        ; implicit-def: $vgpr9
; %bb.470:                              ;   in Loop: Header=BB178_51 Depth=1
	s_andn2_saveexec_b64 s[0:1], s[0:1]
; %bb.471:                              ;   in Loop: Header=BB178_51 Depth=1
	v_or_b32_e32 v3, 0x10000, v9
	v_cmp_eq_u32_sdwa vcc, v9, v31 src0_sel:WORD_0 src1_sel:DWORD
	v_cndmask_b32_e32 v3, v3, v9, vcc
; %bb.472:                              ;   in Loop: Header=BB178_51 Depth=1
	s_or_b64 exec, exec, s[0:1]
	v_lshlrev_b32_e32 v0, 16, v0
	v_mul_f32_e32 v0, v63, v0
	v_and_b32_e32 v9, 0x7f800000, v0
	v_cmp_ne_u32_e32 vcc, s20, v9
                                        ; implicit-def: $vgpr51
	s_and_saveexec_b64 s[0:1], vcc
	s_xor_b64 s[0:1], exec, s[0:1]
; %bb.473:                              ;   in Loop: Header=BB178_51 Depth=1
	v_bfe_u32 v9, v0, 16, 1
	v_add3_u32 v51, v0, v9, s21
                                        ; implicit-def: $vgpr0
; %bb.474:                              ;   in Loop: Header=BB178_51 Depth=1
	s_andn2_saveexec_b64 s[0:1], s[0:1]
; %bb.475:                              ;   in Loop: Header=BB178_51 Depth=1
	v_or_b32_e32 v9, 0x10000, v0
	v_cmp_eq_u32_sdwa vcc, v0, v31 src0_sel:WORD_0 src1_sel:DWORD
	v_cndmask_b32_e32 v51, v9, v0, vcc
; %bb.476:                              ;   in Loop: Header=BB178_51 Depth=1
	s_or_b64 exec, exec, s[0:1]
	v_lshlrev_b32_e32 v0, 16, v4
	v_mul_f32_e32 v0, v65, v0
	v_and_b32_e32 v4, 0x7f800000, v0
	v_cmp_ne_u32_e32 vcc, s20, v4
                                        ; implicit-def: $vgpr4
	s_and_saveexec_b64 s[0:1], vcc
	s_xor_b64 s[0:1], exec, s[0:1]
; %bb.477:                              ;   in Loop: Header=BB178_51 Depth=1
	v_bfe_u32 v4, v0, 16, 1
	v_add3_u32 v4, v0, v4, s21
                                        ; implicit-def: $vgpr0
; %bb.478:                              ;   in Loop: Header=BB178_51 Depth=1
	s_andn2_saveexec_b64 s[0:1], s[0:1]
; %bb.479:                              ;   in Loop: Header=BB178_51 Depth=1
	v_or_b32_e32 v4, 0x10000, v0
	v_cmp_eq_u32_sdwa vcc, v0, v31 src0_sel:WORD_0 src1_sel:DWORD
	v_cndmask_b32_e32 v4, v4, v0, vcc
; %bb.480:                              ;   in Loop: Header=BB178_51 Depth=1
	s_or_b64 exec, exec, s[0:1]
	v_lshlrev_b32_e32 v0, 16, v59
	v_mul_f32_e32 v0, v66, v0
	v_and_b32_e32 v9, 0x7f800000, v0
	v_cmp_ne_u32_e32 vcc, s20, v9
                                        ; implicit-def: $vgpr52
	s_and_saveexec_b64 s[0:1], vcc
	s_xor_b64 s[0:1], exec, s[0:1]
; %bb.481:                              ;   in Loop: Header=BB178_51 Depth=1
	v_bfe_u32 v9, v0, 16, 1
	v_add3_u32 v52, v0, v9, s21
                                        ; implicit-def: $vgpr0
; %bb.482:                              ;   in Loop: Header=BB178_51 Depth=1
	s_andn2_saveexec_b64 s[0:1], s[0:1]
; %bb.483:                              ;   in Loop: Header=BB178_51 Depth=1
	v_or_b32_e32 v9, 0x10000, v0
	v_cmp_eq_u32_sdwa vcc, v0, v31 src0_sel:WORD_0 src1_sel:DWORD
	v_cndmask_b32_e32 v52, v9, v0, vcc
; %bb.484:                              ;   in Loop: Header=BB178_51 Depth=1
	s_or_b64 exec, exec, s[0:1]
	v_lshlrev_b32_e32 v0, 16, v5
	v_mul_f32_e32 v0, v67, v0
	v_and_b32_e32 v5, 0x7f800000, v0
	v_cmp_ne_u32_e32 vcc, s20, v5
                                        ; implicit-def: $vgpr5
	s_and_saveexec_b64 s[0:1], vcc
	s_xor_b64 s[0:1], exec, s[0:1]
; %bb.485:                              ;   in Loop: Header=BB178_51 Depth=1
	v_bfe_u32 v5, v0, 16, 1
	v_add3_u32 v5, v0, v5, s21
                                        ; implicit-def: $vgpr0
; %bb.486:                              ;   in Loop: Header=BB178_51 Depth=1
	s_andn2_saveexec_b64 s[0:1], s[0:1]
; %bb.487:                              ;   in Loop: Header=BB178_51 Depth=1
	v_or_b32_e32 v5, 0x10000, v0
	v_cmp_eq_u32_sdwa vcc, v0, v31 src0_sel:WORD_0 src1_sel:DWORD
	v_cndmask_b32_e32 v5, v5, v0, vcc
; %bb.488:                              ;   in Loop: Header=BB178_51 Depth=1
	s_or_b64 exec, exec, s[0:1]
	v_lshlrev_b32_e32 v0, 16, v58
	v_mul_f32_e32 v0, v68, v0
	v_and_b32_e32 v9, 0x7f800000, v0
	v_cmp_ne_u32_e32 vcc, s20, v9
                                        ; implicit-def: $vgpr53
	s_and_saveexec_b64 s[0:1], vcc
	s_xor_b64 s[0:1], exec, s[0:1]
; %bb.489:                              ;   in Loop: Header=BB178_51 Depth=1
	v_bfe_u32 v9, v0, 16, 1
	v_add3_u32 v53, v0, v9, s21
                                        ; implicit-def: $vgpr0
; %bb.490:                              ;   in Loop: Header=BB178_51 Depth=1
	s_andn2_saveexec_b64 s[0:1], s[0:1]
	s_cbranch_execz .LBB178_49
; %bb.491:                              ;   in Loop: Header=BB178_51 Depth=1
	v_or_b32_e32 v9, 0x10000, v0
	v_cmp_eq_u32_sdwa vcc, v0, v31 src0_sel:WORD_0 src1_sel:DWORD
	v_cndmask_b32_e32 v53, v9, v0, vcc
	s_branch .LBB178_49
.LBB178_492:
	s_or_b64 exec, exec, s[4:5]
	buffer_load_dword v24, off, s[56:59], 0 offset:56 ; 4-byte Folded Reload
	buffer_load_dword v25, off, s[56:59], 0 offset:60 ; 4-byte Folded Reload
	;; [unrolled: 1-line block ×4, first 2 shown]
.LBB178_493:
	s_or_b64 exec, exec, s[2:3]
	s_waitcnt vmcnt(1)
	ds_bpermute_b32 v0, v26, v22
	ds_bpermute_b32 v1, v26, v23
	;; [unrolled: 1-line block ×6, first 2 shown]
	s_waitcnt lgkmcnt(4)
	v_pk_add_f32 v[0:1], v[22:23], v[0:1]
	s_waitcnt vmcnt(0)
	ds_bpermute_b32 v4, v27, v0
	ds_bpermute_b32 v5, v27, v1
	s_waitcnt lgkmcnt(4)
	v_pk_add_f32 v[2:3], v[20:21], v[2:3]
	ds_bpermute_b32 v8, v27, v2
	ds_bpermute_b32 v9, v27, v3
	;; [unrolled: 1-line block ×3, first 2 shown]
	s_waitcnt lgkmcnt(3)
	v_pk_add_f32 v[20:21], v[0:1], v[4:5]
	v_pk_add_f32 v[0:1], v[18:19], v[6:7]
	ds_bpermute_b32 v6, v27, v0
	ds_bpermute_b32 v11, v26, v15
	;; [unrolled: 1-line block ×3, first 2 shown]
	s_waitcnt lgkmcnt(0)
	s_barrier
	v_pk_add_f32 v[14:15], v[14:15], v[10:11]
	v_pk_add_f32 v[10:11], v[2:3], v[8:9]
	;; [unrolled: 1-line block ×3, first 2 shown]
	buffer_load_dword v0, off, s[56:59], 0 offset:12 ; 4-byte Folded Reload
	ds_bpermute_b32 v4, v26, v16
	ds_bpermute_b32 v5, v26, v17
	;; [unrolled: 1-line block ×6, first 2 shown]
	s_waitcnt lgkmcnt(4)
	v_pk_add_f32 v[4:5], v[16:17], v[4:5]
	ds_bpermute_b32 v16, v27, v4
	ds_bpermute_b32 v17, v27, v5
	s_waitcnt lgkmcnt(2)
	v_pk_add_f32 v[2:3], v[14:15], v[18:19]
	s_waitcnt lgkmcnt(0)
	v_pk_add_f32 v[6:7], v[4:5], v[16:17]
	v_pk_add_f32 v[4:5], v[12:13], v[22:23]
	ds_bpermute_b32 v12, v27, v4
	ds_bpermute_b32 v13, v27, v5
	s_waitcnt vmcnt(0)
	v_and_b32_e32 v0, 0x3c3, v0
	v_cmp_ne_u32_e32 vcc, 64, v0
	s_and_saveexec_b64 s[0:1], vcc
	s_xor_b64 s[0:1], exec, s[0:1]
; %bb.494:
                                        ; implicit-def: $vgpr24
; %bb.495:
	s_or_saveexec_b64 s[0:1], s[0:1]
	s_waitcnt lgkmcnt(0)
	v_pk_add_f32 v[4:5], v[4:5], v[12:13]
	s_xor_b64 exec, exec, s[0:1]
	s_cbranch_execz .LBB178_497
; %bb.496:
	v_add_u32_e32 v0, 0x190, v24
	ds_write2_b32 v0, v20, v21 offset1:16
	ds_write2_b32 v0, v10, v11 offset0:32 offset1:48
	ds_write2_b32 v0, v8, v9 offset0:64 offset1:80
	;; [unrolled: 1-line block ×5, first 2 shown]
.LBB178_497:
	s_or_b64 exec, exec, s[0:1]
	s_waitcnt lgkmcnt(0)
	s_barrier
	buffer_load_dword v0, off, s[56:59], 0 offset:12 ; 4-byte Folded Reload
	s_waitcnt vmcnt(0)
	v_cmp_gt_u32_e32 vcc, 64, v0
	v_cmp_lt_u32_e64 s[0:1], 63, v0
	s_and_saveexec_b64 s[2:3], s[0:1]
	s_xor_b64 s[0:1], exec, s[2:3]
	s_andn2_saveexec_b64 s[2:3], s[0:1]
	s_cbranch_execz .LBB178_512
; %bb.498:
	buffer_load_dword v0, off, s[56:59], 0 offset:12 ; 4-byte Folded Reload
	v_cmp_eq_u32_e64 s[0:1], 0, v25
	s_waitcnt vmcnt(0)
	v_lshrrev_b32_e32 v0, 2, v0
	s_and_saveexec_b64 s[4:5], s[0:1]
	s_cbranch_execnz .LBB178_564
; %bb.499:
	s_or_b64 exec, exec, s[4:5]
	s_and_saveexec_b64 s[4:5], s[0:1]
	s_cbranch_execnz .LBB178_565
.LBB178_500:
	s_or_b64 exec, exec, s[4:5]
	s_and_saveexec_b64 s[4:5], s[0:1]
	s_cbranch_execnz .LBB178_566
.LBB178_501:
	s_or_b64 exec, exec, s[4:5]
	s_and_saveexec_b64 s[4:5], s[0:1]
	s_cbranch_execnz .LBB178_567
.LBB178_502:
	s_or_b64 exec, exec, s[4:5]
	s_and_saveexec_b64 s[4:5], s[0:1]
	s_cbranch_execnz .LBB178_568
.LBB178_503:
	s_or_b64 exec, exec, s[4:5]
	s_and_saveexec_b64 s[4:5], s[0:1]
	s_cbranch_execnz .LBB178_569
.LBB178_504:
	s_or_b64 exec, exec, s[4:5]
	s_and_saveexec_b64 s[4:5], s[0:1]
	s_cbranch_execnz .LBB178_570
.LBB178_505:
	s_or_b64 exec, exec, s[4:5]
	s_and_saveexec_b64 s[4:5], s[0:1]
	s_cbranch_execnz .LBB178_571
.LBB178_506:
	s_or_b64 exec, exec, s[4:5]
	s_and_saveexec_b64 s[4:5], s[0:1]
	s_cbranch_execnz .LBB178_572
.LBB178_507:
	s_or_b64 exec, exec, s[4:5]
	s_and_saveexec_b64 s[4:5], s[0:1]
	s_cbranch_execnz .LBB178_573
.LBB178_508:
	s_or_b64 exec, exec, s[4:5]
	s_and_saveexec_b64 s[4:5], s[0:1]
	s_cbranch_execnz .LBB178_574
.LBB178_509:
	s_or_b64 exec, exec, s[4:5]
	s_and_saveexec_b64 s[4:5], s[0:1]
	s_cbranch_execz .LBB178_511
.LBB178_510:
	v_mov_b32_e32 v1, 0x190
	v_lshl_add_u32 v0, v0, 2, v1
	ds_read_b32 v0, v0 offset:704
	s_waitcnt lgkmcnt(0)
	v_add_f32_e32 v5, v5, v0
.LBB178_511:
	s_or_b64 exec, exec, s[4:5]
.LBB178_512:
	s_or_b64 exec, exec, s[2:3]
	s_barrier
	s_and_saveexec_b64 s[0:1], vcc
	s_cbranch_execz .LBB178_563
; %bb.513:
	v_cmp_eq_u32_e32 vcc, 0, v25
	s_and_b64 exec, exec, vcc
	s_cbranch_execz .LBB178_563
; %bb.514:
	s_mov_b32 s0, 0x7f800000
	v_and_b32_e32 v0, 0x7f800000, v20
	v_cmp_ne_u32_e32 vcc, s0, v0
                                        ; implicit-def: $vgpr12
	s_and_saveexec_b64 s[0:1], vcc
	s_xor_b64 s[0:1], exec, s[0:1]
; %bb.515:
	v_bfe_u32 v0, v20, 16, 1
	s_movk_i32 s2, 0x7fff
	v_add3_u32 v12, v20, v0, s2
; %bb.516:
	s_andn2_saveexec_b64 s[0:1], s[0:1]
; %bb.517:
	v_mov_b32_e32 v0, 0
	v_or_b32_e32 v1, 0x10000, v20
	v_cmp_eq_u32_sdwa vcc, v20, v0 src0_sel:WORD_0 src1_sel:DWORD
	v_cndmask_b32_e32 v12, v1, v20, vcc
; %bb.518:
	s_or_b64 exec, exec, s[0:1]
	buffer_load_dword v0, off, s[56:59], 0 offset:12 ; 4-byte Folded Reload
	s_mul_i32 s0, s12, s24
	s_mul_i32 s0, s0, s25
	s_mulk_i32 s0, 0xc0
	s_ashr_i32 s1, s0, 31
	s_lshl_b64 s[0:1], s[0:1], 1
	s_add_u32 s2, s28, s0
	s_mul_i32 s0, s12, s26
	s_addc_u32 s3, s29, s1
	s_ashr_i32 s1, s0, 31
	s_lshl_b64 s[0:1], s[0:1], 1
	s_add_u32 s2, s2, s0
	s_mul_i32 s0, s8, 0xc0
	s_addc_u32 s3, s3, s1
	s_ashr_i32 s1, s0, 31
	s_lshl_b64 s[0:1], s[0:1], 1
	s_add_u32 s0, s2, s0
	s_addc_u32 s1, s3, s1
	v_mov_b32_e32 v1, s1
	s_waitcnt vmcnt(0)
	v_lshrrev_b32_e32 v0, 1, v0
	v_and_b32_e32 v13, 0x1fe, v0
	v_add_co_u32_e32 v0, vcc, s0, v13
	v_addc_co_u32_e32 v1, vcc, 0, v1, vcc
	global_store_short_d16_hi v13, v12, s[0:1]
	s_mov_b32 s0, 0x7f800000
	v_and_b32_e32 v12, 0x7f800000, v21
	v_cmp_ne_u32_e32 vcc, s0, v12
                                        ; implicit-def: $vgpr12
	s_and_saveexec_b64 s[0:1], vcc
	s_xor_b64 s[0:1], exec, s[0:1]
; %bb.519:
	v_bfe_u32 v12, v21, 16, 1
	s_movk_i32 s2, 0x7fff
	v_add3_u32 v12, v21, v12, s2
                                        ; implicit-def: $vgpr20_vgpr21
; %bb.520:
	s_andn2_saveexec_b64 s[0:1], s[0:1]
; %bb.521:
	v_mov_b32_e32 v12, 0
	v_or_b32_e32 v13, 0x10000, v21
	v_cmp_eq_u32_sdwa vcc, v21, v12 src0_sel:WORD_0 src1_sel:DWORD
	v_cndmask_b32_e32 v12, v13, v21, vcc
; %bb.522:
	s_or_b64 exec, exec, s[0:1]
	global_store_short_d16_hi v[0:1], v12, off offset:32
	s_mov_b32 s0, 0x7f800000
	v_and_b32_e32 v12, 0x7f800000, v10
	v_cmp_ne_u32_e32 vcc, s0, v12
                                        ; implicit-def: $vgpr12
	s_and_saveexec_b64 s[0:1], vcc
	s_xor_b64 s[0:1], exec, s[0:1]
; %bb.523:
	v_bfe_u32 v12, v10, 16, 1
	s_movk_i32 s2, 0x7fff
	v_add3_u32 v12, v10, v12, s2
; %bb.524:
	s_andn2_saveexec_b64 s[0:1], s[0:1]
; %bb.525:
	v_mov_b32_e32 v12, 0
	v_or_b32_e32 v13, 0x10000, v10
	v_cmp_eq_u32_sdwa vcc, v10, v12 src0_sel:WORD_0 src1_sel:DWORD
	v_cndmask_b32_e32 v12, v13, v10, vcc
; %bb.526:
	s_or_b64 exec, exec, s[0:1]
	s_mov_b32 s0, 0x7f800000
	v_and_b32_e32 v10, 0x7f800000, v11
	v_cmp_ne_u32_e32 vcc, s0, v10
	global_store_short_d16_hi v[0:1], v12, off offset:64
                                        ; implicit-def: $vgpr12
	s_and_saveexec_b64 s[0:1], vcc
	s_xor_b64 s[0:1], exec, s[0:1]
; %bb.527:
	v_bfe_u32 v10, v11, 16, 1
	s_movk_i32 s2, 0x7fff
	v_add3_u32 v12, v11, v10, s2
                                        ; implicit-def: $vgpr10_vgpr11
; %bb.528:
	s_andn2_saveexec_b64 s[0:1], s[0:1]
; %bb.529:
	v_mov_b32_e32 v10, 0
	v_or_b32_e32 v12, 0x10000, v11
	v_cmp_eq_u32_sdwa vcc, v11, v10 src0_sel:WORD_0 src1_sel:DWORD
	v_cndmask_b32_e32 v12, v12, v11, vcc
; %bb.530:
	s_or_b64 exec, exec, s[0:1]
	s_mov_b32 s0, 0x7f800000
	v_and_b32_e32 v10, 0x7f800000, v8
	v_cmp_ne_u32_e32 vcc, s0, v10
	global_store_short_d16_hi v[0:1], v12, off offset:96
                                        ; implicit-def: $vgpr10
	s_and_saveexec_b64 s[0:1], vcc
	s_xor_b64 s[0:1], exec, s[0:1]
; %bb.531:
	v_bfe_u32 v10, v8, 16, 1
	s_movk_i32 s2, 0x7fff
	v_add3_u32 v10, v8, v10, s2
; %bb.532:
	s_andn2_saveexec_b64 s[0:1], s[0:1]
; %bb.533:
	v_mov_b32_e32 v10, 0
	v_or_b32_e32 v11, 0x10000, v8
	v_cmp_eq_u32_sdwa vcc, v8, v10 src0_sel:WORD_0 src1_sel:DWORD
	v_cndmask_b32_e32 v10, v11, v8, vcc
; %bb.534:
	s_or_b64 exec, exec, s[0:1]
	s_mov_b32 s0, 0x7f800000
	v_and_b32_e32 v8, 0x7f800000, v9
	v_cmp_ne_u32_e32 vcc, s0, v8
	global_store_short_d16_hi v[0:1], v10, off offset:128
                                        ; implicit-def: $vgpr10
	s_and_saveexec_b64 s[0:1], vcc
	s_xor_b64 s[0:1], exec, s[0:1]
; %bb.535:
	v_bfe_u32 v8, v9, 16, 1
	s_movk_i32 s2, 0x7fff
	v_add3_u32 v10, v9, v8, s2
                                        ; implicit-def: $vgpr8_vgpr9
; %bb.536:
	s_andn2_saveexec_b64 s[0:1], s[0:1]
; %bb.537:
	v_mov_b32_e32 v8, 0
	v_or_b32_e32 v10, 0x10000, v9
	v_cmp_eq_u32_sdwa vcc, v9, v8 src0_sel:WORD_0 src1_sel:DWORD
	v_cndmask_b32_e32 v10, v10, v9, vcc
; %bb.538:
	s_or_b64 exec, exec, s[0:1]
	s_mov_b32 s0, 0x7f800000
	v_and_b32_e32 v8, 0x7f800000, v6
	v_cmp_ne_u32_e32 vcc, s0, v8
	global_store_short_d16_hi v[0:1], v10, off offset:160
                                        ; implicit-def: $vgpr8
	s_and_saveexec_b64 s[0:1], vcc
	s_xor_b64 s[0:1], exec, s[0:1]
; %bb.539:
	v_bfe_u32 v8, v6, 16, 1
	s_movk_i32 s2, 0x7fff
	v_add3_u32 v8, v6, v8, s2
; %bb.540:
	s_andn2_saveexec_b64 s[0:1], s[0:1]
; %bb.541:
	v_mov_b32_e32 v8, 0
	v_or_b32_e32 v9, 0x10000, v6
	v_cmp_eq_u32_sdwa vcc, v6, v8 src0_sel:WORD_0 src1_sel:DWORD
	v_cndmask_b32_e32 v8, v9, v6, vcc
; %bb.542:
	s_or_b64 exec, exec, s[0:1]
	s_mov_b32 s0, 0x7f800000
	v_and_b32_e32 v6, 0x7f800000, v7
	v_cmp_ne_u32_e32 vcc, s0, v6
	global_store_short_d16_hi v[0:1], v8, off offset:192
                                        ; implicit-def: $vgpr8
	s_and_saveexec_b64 s[0:1], vcc
	s_xor_b64 s[0:1], exec, s[0:1]
; %bb.543:
	v_bfe_u32 v6, v7, 16, 1
	s_movk_i32 s2, 0x7fff
	v_add3_u32 v8, v7, v6, s2
                                        ; implicit-def: $vgpr6_vgpr7
; %bb.544:
	s_andn2_saveexec_b64 s[0:1], s[0:1]
; %bb.545:
	v_mov_b32_e32 v6, 0
	v_or_b32_e32 v8, 0x10000, v7
	v_cmp_eq_u32_sdwa vcc, v7, v6 src0_sel:WORD_0 src1_sel:DWORD
	v_cndmask_b32_e32 v8, v8, v7, vcc
; %bb.546:
	s_or_b64 exec, exec, s[0:1]
	s_mov_b32 s0, 0x7f800000
	v_and_b32_e32 v6, 0x7f800000, v2
	v_cmp_ne_u32_e32 vcc, s0, v6
	global_store_short_d16_hi v[0:1], v8, off offset:224
                                        ; implicit-def: $vgpr6
	s_and_saveexec_b64 s[0:1], vcc
	s_xor_b64 s[0:1], exec, s[0:1]
; %bb.547:
	v_bfe_u32 v6, v2, 16, 1
	s_movk_i32 s2, 0x7fff
	v_add3_u32 v6, v2, v6, s2
; %bb.548:
	s_andn2_saveexec_b64 s[0:1], s[0:1]
; %bb.549:
	v_mov_b32_e32 v6, 0
	v_or_b32_e32 v7, 0x10000, v2
	v_cmp_eq_u32_sdwa vcc, v2, v6 src0_sel:WORD_0 src1_sel:DWORD
	v_cndmask_b32_e32 v6, v7, v2, vcc
; %bb.550:
	s_or_b64 exec, exec, s[0:1]
	s_mov_b32 s0, 0x7f800000
	v_and_b32_e32 v2, 0x7f800000, v3
	v_cmp_ne_u32_e32 vcc, s0, v2
	global_store_short_d16_hi v[0:1], v6, off offset:256
                                        ; implicit-def: $vgpr6
	s_and_saveexec_b64 s[0:1], vcc
	s_xor_b64 s[0:1], exec, s[0:1]
; %bb.551:
	v_bfe_u32 v2, v3, 16, 1
	s_movk_i32 s2, 0x7fff
	v_add3_u32 v6, v3, v2, s2
                                        ; implicit-def: $vgpr2_vgpr3
; %bb.552:
	s_andn2_saveexec_b64 s[0:1], s[0:1]
; %bb.553:
	v_mov_b32_e32 v2, 0
	v_or_b32_e32 v6, 0x10000, v3
	v_cmp_eq_u32_sdwa vcc, v3, v2 src0_sel:WORD_0 src1_sel:DWORD
	v_cndmask_b32_e32 v6, v6, v3, vcc
; %bb.554:
	s_or_b64 exec, exec, s[0:1]
	s_mov_b32 s0, 0x7f800000
	v_and_b32_e32 v2, 0x7f800000, v4
	v_cmp_ne_u32_e32 vcc, s0, v2
	global_store_short_d16_hi v[0:1], v6, off offset:288
                                        ; implicit-def: $vgpr2
	s_and_saveexec_b64 s[0:1], vcc
	s_xor_b64 s[0:1], exec, s[0:1]
; %bb.555:
	v_bfe_u32 v2, v4, 16, 1
	s_movk_i32 s2, 0x7fff
	v_add3_u32 v2, v4, v2, s2
; %bb.556:
	s_andn2_saveexec_b64 s[0:1], s[0:1]
; %bb.557:
	v_mov_b32_e32 v2, 0
	v_or_b32_e32 v3, 0x10000, v4
	v_cmp_eq_u32_sdwa vcc, v4, v2 src0_sel:WORD_0 src1_sel:DWORD
	v_cndmask_b32_e32 v2, v3, v4, vcc
; %bb.558:
	s_or_b64 exec, exec, s[0:1]
	global_store_short_d16_hi v[0:1], v2, off offset:320
	s_mov_b32 s0, 0x7f800000
	v_and_b32_e32 v2, 0x7f800000, v5
	v_cmp_ne_u32_e32 vcc, s0, v2
                                        ; implicit-def: $vgpr2
	s_and_saveexec_b64 s[0:1], vcc
	s_xor_b64 s[0:1], exec, s[0:1]
; %bb.559:
	v_bfe_u32 v2, v5, 16, 1
	s_movk_i32 s2, 0x7fff
	v_add3_u32 v2, v5, v2, s2
                                        ; implicit-def: $vgpr4_vgpr5
; %bb.560:
	s_andn2_saveexec_b64 s[0:1], s[0:1]
; %bb.561:
	v_mov_b32_e32 v2, 0
	v_or_b32_e32 v3, 0x10000, v5
	v_cmp_eq_u32_sdwa vcc, v5, v2 src0_sel:WORD_0 src1_sel:DWORD
	v_cndmask_b32_e32 v2, v3, v5, vcc
; %bb.562:
	s_or_b64 exec, exec, s[0:1]
	global_store_short_d16_hi v[0:1], v2, off offset:352
.LBB178_563:
	s_endpgm
.LBB178_564:
	v_mov_b32_e32 v1, 0x190
	v_lshl_add_u32 v1, v0, 2, v1
	ds_read_b32 v1, v1
	s_waitcnt lgkmcnt(0)
	v_add_f32_e32 v20, v20, v1
	s_or_b64 exec, exec, s[4:5]
	s_and_saveexec_b64 s[4:5], s[0:1]
	s_cbranch_execz .LBB178_500
.LBB178_565:
	v_mov_b32_e32 v1, 0x190
	v_lshl_add_u32 v1, v0, 2, v1
	ds_read_b32 v1, v1 offset:64
	s_waitcnt lgkmcnt(0)
	v_add_f32_e32 v21, v21, v1
	s_or_b64 exec, exec, s[4:5]
	s_and_saveexec_b64 s[4:5], s[0:1]
	s_cbranch_execz .LBB178_501
.LBB178_566:
	v_mov_b32_e32 v1, 0x190
	v_lshl_add_u32 v1, v0, 2, v1
	ds_read_b32 v1, v1 offset:128
	s_waitcnt lgkmcnt(0)
	v_add_f32_e32 v10, v10, v1
	s_or_b64 exec, exec, s[4:5]
	s_and_saveexec_b64 s[4:5], s[0:1]
	s_cbranch_execz .LBB178_502
.LBB178_567:
	v_mov_b32_e32 v1, 0x190
	v_lshl_add_u32 v1, v0, 2, v1
	ds_read_b32 v1, v1 offset:192
	s_waitcnt lgkmcnt(0)
	v_add_f32_e32 v11, v11, v1
	s_or_b64 exec, exec, s[4:5]
	s_and_saveexec_b64 s[4:5], s[0:1]
	s_cbranch_execz .LBB178_503
.LBB178_568:
	v_mov_b32_e32 v1, 0x190
	v_lshl_add_u32 v1, v0, 2, v1
	ds_read_b32 v1, v1 offset:256
	s_waitcnt lgkmcnt(0)
	v_add_f32_e32 v8, v8, v1
	s_or_b64 exec, exec, s[4:5]
	s_and_saveexec_b64 s[4:5], s[0:1]
	s_cbranch_execz .LBB178_504
.LBB178_569:
	v_mov_b32_e32 v1, 0x190
	v_lshl_add_u32 v1, v0, 2, v1
	ds_read_b32 v1, v1 offset:320
	s_waitcnt lgkmcnt(0)
	v_add_f32_e32 v9, v9, v1
	s_or_b64 exec, exec, s[4:5]
	s_and_saveexec_b64 s[4:5], s[0:1]
	s_cbranch_execz .LBB178_505
.LBB178_570:
	v_mov_b32_e32 v1, 0x190
	v_lshl_add_u32 v1, v0, 2, v1
	ds_read_b32 v1, v1 offset:384
	s_waitcnt lgkmcnt(0)
	v_add_f32_e32 v6, v6, v1
	s_or_b64 exec, exec, s[4:5]
	s_and_saveexec_b64 s[4:5], s[0:1]
	s_cbranch_execz .LBB178_506
.LBB178_571:
	v_mov_b32_e32 v1, 0x190
	v_lshl_add_u32 v1, v0, 2, v1
	ds_read_b32 v1, v1 offset:448
	s_waitcnt lgkmcnt(0)
	v_add_f32_e32 v7, v7, v1
	s_or_b64 exec, exec, s[4:5]
	s_and_saveexec_b64 s[4:5], s[0:1]
	s_cbranch_execz .LBB178_507
.LBB178_572:
	v_mov_b32_e32 v1, 0x190
	v_lshl_add_u32 v1, v0, 2, v1
	ds_read_b32 v1, v1 offset:512
	s_waitcnt lgkmcnt(0)
	v_add_f32_e32 v2, v2, v1
	s_or_b64 exec, exec, s[4:5]
	s_and_saveexec_b64 s[4:5], s[0:1]
	s_cbranch_execz .LBB178_508
.LBB178_573:
	v_mov_b32_e32 v1, 0x190
	v_lshl_add_u32 v1, v0, 2, v1
	ds_read_b32 v1, v1 offset:576
	s_waitcnt lgkmcnt(0)
	v_add_f32_e32 v3, v3, v1
	s_or_b64 exec, exec, s[4:5]
	s_and_saveexec_b64 s[4:5], s[0:1]
	s_cbranch_execz .LBB178_509
.LBB178_574:
	v_mov_b32_e32 v1, 0x190
	v_lshl_add_u32 v1, v0, 2, v1
	ds_read_b32 v1, v1 offset:640
	s_waitcnt lgkmcnt(0)
	v_add_f32_e32 v4, v4, v1
	s_or_b64 exec, exec, s[4:5]
	s_and_saveexec_b64 s[4:5], s[0:1]
	s_cbranch_execnz .LBB178_510
	s_branch .LBB178_511
	.section	.rodata,"a",@progbits
	.p2align	6, 0x0
	.amdhsa_kernel _ZN4vllm25paged_attention_v2_kernelI14__hip_bfloat16S1_Li192ELi32ELi128ELNS_18Fp8KVCacheDataTypeE0ELb1ELi512EEEvPfS3_PT_PKS4_PKT0_SA_ifPKiSC_iPKfiiiSE_SE_iiiii
		.amdhsa_group_segment_fixed_size 400
		.amdhsa_private_segment_fixed_size 76
		.amdhsa_kernarg_size 400
		.amdhsa_user_sgpr_count 6
		.amdhsa_user_sgpr_private_segment_buffer 1
		.amdhsa_user_sgpr_dispatch_ptr 0
		.amdhsa_user_sgpr_queue_ptr 0
		.amdhsa_user_sgpr_kernarg_segment_ptr 1
		.amdhsa_user_sgpr_dispatch_id 0
		.amdhsa_user_sgpr_flat_scratch_init 0
		.amdhsa_user_sgpr_kernarg_preload_length 0
		.amdhsa_user_sgpr_kernarg_preload_offset 0
		.amdhsa_user_sgpr_private_segment_size 0
		.amdhsa_uses_dynamic_stack 0
		.amdhsa_system_sgpr_private_segment_wavefront_offset 1
		.amdhsa_system_sgpr_workgroup_id_x 1
		.amdhsa_system_sgpr_workgroup_id_y 1
		.amdhsa_system_sgpr_workgroup_id_z 1
		.amdhsa_system_sgpr_workgroup_info 0
		.amdhsa_system_vgpr_workitem_id 0
		.amdhsa_next_free_vgpr 128
		.amdhsa_next_free_sgpr 60
		.amdhsa_accum_offset 128
		.amdhsa_reserve_vcc 1
		.amdhsa_reserve_flat_scratch 0
		.amdhsa_float_round_mode_32 0
		.amdhsa_float_round_mode_16_64 0
		.amdhsa_float_denorm_mode_32 3
		.amdhsa_float_denorm_mode_16_64 3
		.amdhsa_dx10_clamp 1
		.amdhsa_ieee_mode 1
		.amdhsa_fp16_overflow 0
		.amdhsa_tg_split 0
		.amdhsa_exception_fp_ieee_invalid_op 0
		.amdhsa_exception_fp_denorm_src 0
		.amdhsa_exception_fp_ieee_div_zero 0
		.amdhsa_exception_fp_ieee_overflow 0
		.amdhsa_exception_fp_ieee_underflow 0
		.amdhsa_exception_fp_ieee_inexact 0
		.amdhsa_exception_int_div_zero 0
	.end_amdhsa_kernel
	.section	.text._ZN4vllm25paged_attention_v2_kernelI14__hip_bfloat16S1_Li192ELi32ELi128ELNS_18Fp8KVCacheDataTypeE0ELb1ELi512EEEvPfS3_PT_PKS4_PKT0_SA_ifPKiSC_iPKfiiiSE_SE_iiiii,"axG",@progbits,_ZN4vllm25paged_attention_v2_kernelI14__hip_bfloat16S1_Li192ELi32ELi128ELNS_18Fp8KVCacheDataTypeE0ELb1ELi512EEEvPfS3_PT_PKS4_PKT0_SA_ifPKiSC_iPKfiiiSE_SE_iiiii,comdat
.Lfunc_end178:
	.size	_ZN4vllm25paged_attention_v2_kernelI14__hip_bfloat16S1_Li192ELi32ELi128ELNS_18Fp8KVCacheDataTypeE0ELb1ELi512EEEvPfS3_PT_PKS4_PKT0_SA_ifPKiSC_iPKfiiiSE_SE_iiiii, .Lfunc_end178-_ZN4vllm25paged_attention_v2_kernelI14__hip_bfloat16S1_Li192ELi32ELi128ELNS_18Fp8KVCacheDataTypeE0ELb1ELi512EEEvPfS3_PT_PKS4_PKT0_SA_ifPKiSC_iPKfiiiSE_SE_iiiii
                                        ; -- End function
	.section	.AMDGPU.csdata,"",@progbits
; Kernel info:
; codeLenInByte = 20104
; NumSgprs: 64
; NumVgprs: 128
; NumAgprs: 0
; TotalNumVgprs: 128
; ScratchSize: 76
; MemoryBound: 0
; FloatMode: 240
; IeeeMode: 1
; LDSByteSize: 400 bytes/workgroup (compile time only)
; SGPRBlocks: 7
; VGPRBlocks: 15
; NumSGPRsForWavesPerEU: 64
; NumVGPRsForWavesPerEU: 128
; AccumOffset: 128
; Occupancy: 4
; WaveLimiterHint : 1
; COMPUTE_PGM_RSRC2:SCRATCH_EN: 1
; COMPUTE_PGM_RSRC2:USER_SGPR: 6
; COMPUTE_PGM_RSRC2:TRAP_HANDLER: 0
; COMPUTE_PGM_RSRC2:TGID_X_EN: 1
; COMPUTE_PGM_RSRC2:TGID_Y_EN: 1
; COMPUTE_PGM_RSRC2:TGID_Z_EN: 1
; COMPUTE_PGM_RSRC2:TIDIG_COMP_CNT: 0
; COMPUTE_PGM_RSRC3_GFX90A:ACCUM_OFFSET: 31
; COMPUTE_PGM_RSRC3_GFX90A:TG_SPLIT: 0
	.text
	.p2align	2                               ; -- Begin function _ZN4vllm22paged_attention_kernelI14__hip_bfloat16S1_Li256ELi32ELi128ELNS_18Fp8KVCacheDataTypeE0ELb1ELi512EEEvPfS3_PT_PKS4_PKT0_SA_ifPKiSC_iPKfiiiSE_SE_iiiii
	.type	_ZN4vllm22paged_attention_kernelI14__hip_bfloat16S1_Li256ELi32ELi128ELNS_18Fp8KVCacheDataTypeE0ELb1ELi512EEEvPfS3_PT_PKS4_PKT0_SA_ifPKiSC_iPKfiiiSE_SE_iiiii,@function
_ZN4vllm22paged_attention_kernelI14__hip_bfloat16S1_Li256ELi32ELi128ELNS_18Fp8KVCacheDataTypeE0ELb1ELi512EEEvPfS3_PT_PKS4_PKT0_SA_ifPKiSC_iPKfiiiSE_SE_iiiii: ; @_ZN4vllm22paged_attention_kernelI14__hip_bfloat16S1_Li256ELi32ELi128ELNS_18Fp8KVCacheDataTypeE0ELb1ELi512EEEvPfS3_PT_PKS4_PKT0_SA_ifPKiSC_iPKfiiiSE_SE_iiiii
; %bb.0:
	s_waitcnt vmcnt(0) expcnt(0) lgkmcnt(0)
	s_or_saveexec_b64 s[4:5], -1
	buffer_store_dword v63, off, s[0:3], s32 offset:488 ; 4-byte Folded Spill
	s_mov_b64 exec, s[4:5]
	buffer_store_dword v40, off, s[0:3], s32 offset:184 ; 4-byte Folded Spill
	buffer_store_dword v41, off, s[0:3], s32 offset:180 ; 4-byte Folded Spill
	;; [unrolled: 1-line block ×46, first 2 shown]
	buffer_store_dword a63, off, s[0:3], s32 ; 4-byte Folded Spill
	v_writelane_b32 v63, s34, 0
	v_writelane_b32 v63, s35, 1
	;; [unrolled: 1-line block ×10, first 2 shown]
	s_mov_b32 s22, s13
	s_ashr_i32 s23, s13, 31
	s_lshl_b64 s[4:5], s[22:23], 2
	v_mov_b32_e32 v33, v20
	v_mov_b32_e32 v20, v1
	;; [unrolled: 1-line block ×4, first 2 shown]
	v_add_co_u32_e32 v0, vcc, s4, v16
	buffer_store_dword v22, off, s[0:3], s32 offset:208 ; 4-byte Folded Spill
	s_nop 0
	buffer_store_dword v23, off, s[0:3], s32 offset:212 ; 4-byte Folded Spill
	buffer_store_dword v5, off, s[0:3], s32 offset:464 ; 4-byte Folded Spill
	;; [unrolled: 1-line block ×3, first 2 shown]
	v_addc_co_u32_e32 v1, vcc, v17, v1, vcc
	flat_load_dword v62, v[0:1]
	s_mov_b32 s26, s15
	s_lshl_b32 s15, s14, 9
	v_mov_b32_e32 v32, v19
	v_mov_b32_e32 v34, v14
	v_accvgpr_write_b32 a19, v13
	v_mov_b32_e32 v22, v11
	v_mov_b32_e32 v35, v10
	;; [unrolled: 1-line block ×4, first 2 shown]
	s_waitcnt vmcnt(0) lgkmcnt(0)
	v_cmp_lt_i32_e32 vcc, s15, v62
	s_and_saveexec_b64 s[20:21], vcc
	s_cbranch_execz .LBB179_718
; %bb.1:
	v_sub_u32_e32 v0, 0, v12
	v_max_i32_e32 v0, v12, v0
	v_cvt_f32_u32_e32 v1, v0
	s_load_dword s4, s[8:9], 0x10
	s_load_dword s6, s[8:9], 0x0
	v_sub_u32_e32 v3, 0, v0
	v_rcp_iflag_f32_e32 v1, v1
	s_waitcnt lgkmcnt(0)
	s_lshr_b32 s4, s4, 16
	s_cmp_lg_u32 s4, 0
	s_cselect_b64 s[4:5], -1, 0
	v_mul_f32_e32 v1, 0x4f7ffffe, v1
	v_cvt_u32_f32_e32 v1, v1
	s_cmp_lg_u64 s[4:5], 0
	s_addc_u32 s23, s6, 0
	s_abs_i32 s4, s23
	v_mul_lo_u32 v3, v3, v1
	v_mul_hi_u32 v3, v1, v3
	v_add_u32_e32 v1, v1, v3
	v_mul_hi_u32 v1, s4, v1
	v_mul_lo_u32 v3, v1, v0
	v_sub_u32_e32 v3, s4, v3
	v_add_u32_e32 v4, 1, v1
	v_cmp_ge_u32_e32 vcc, v3, v0
	v_cndmask_b32_e32 v1, v1, v4, vcc
	v_sub_u32_e32 v4, v3, v0
	v_cndmask_b32_e32 v3, v3, v4, vcc
	v_xor_b32_e32 v2, s23, v12
	v_add_u32_e32 v4, 1, v1
	v_cmp_ge_u32_e32 vcc, v3, v0
	v_ashrrev_i32_e32 v2, 31, v2
	v_cndmask_b32_e32 v0, v1, v4, vcc
	v_xor_b32_e32 v0, v0, v2
	v_sub_u32_e32 v1, v0, v2
	v_sub_u32_e32 v0, 0, v1
	v_max_i32_e32 v0, v1, v0
	v_cvt_f32_u32_e32 v2, v0
	v_sub_u32_e32 v3, 0, v0
	s_abs_i32 s16, s12
	v_cmp_ne_u64_e32 vcc, 0, v[32:33]
	v_rcp_iflag_f32_e32 v2, v2
	v_mul_f32_e32 v2, 0x4f7ffffe, v2
	v_cvt_u32_f32_e32 v2, v2
	v_mul_lo_u32 v3, v3, v2
	v_mul_hi_u32 v3, v2, v3
	v_add_u32_e32 v2, v2, v3
	v_mad_u64_u32 v[4:5], s[4:5], s16, v2, 0
	v_mov_b32_e32 v2, 0
	buffer_store_dword v2, off, s[0:3], s32 offset:224 ; 4-byte Folded Spill
	s_and_saveexec_b64 s[4:5], vcc
	s_cbranch_execz .LBB179_3
; %bb.2:
	s_ashr_i32 s13, s12, 31
	s_lshl_b64 s[6:7], s[12:13], 2
	v_mov_b32_e32 v3, s7
	v_add_co_u32_e32 v2, vcc, s6, v32
	v_addc_co_u32_e32 v3, vcc, v33, v3, vcc
	flat_load_dword v2, v[2:3]
	s_waitcnt vmcnt(0) lgkmcnt(0)
	buffer_store_dword v2, off, s[0:3], s32 offset:224 ; 4-byte Folded Spill
.LBB179_3:
	s_or_b64 exec, exec, s[4:5]
	v_and_b32_e32 v14, 0x3ff, v31
	s_ashr_i32 s13, s12, 31
	v_ashrrev_i32_e32 v2, 31, v1
	v_and_b32_e32 v1, 1, v14
	s_lshl_b32 s24, s12, 8
	v_cmp_lt_u32_e64 s[6:7], 63, v14
	v_cmp_gt_u32_e64 s[4:5], 64, v14
	v_lshlrev_b32_e32 v32, 3, v14
	s_and_saveexec_b64 s[10:11], s[4:5]
	s_cbranch_execz .LBB179_5
; %bb.4:
	v_mul_lo_u32 v10, s22, v21
	v_ashrrev_i32_e32 v11, 31, v10
	v_lshlrev_b64 v[10:11], 1, v[10:11]
	v_add_co_u32_e32 v3, vcc, v6, v10
	s_ashr_i32 s25, s24, 31
	v_addc_co_u32_e32 v4, vcc, v7, v11, vcc
	s_lshl_b64 s[18:19], s[24:25], 1
	v_mov_b32_e32 v6, s19
	v_add_co_u32_e32 v3, vcc, s18, v3
	v_addc_co_u32_e32 v4, vcc, v4, v6, vcc
	v_add_co_u32_e32 v6, vcc, v3, v32
	v_addc_co_u32_e32 v7, vcc, 0, v4, vcc
	flat_load_dwordx2 v[6:7], v[6:7]
	v_lshlrev_b32_e32 v3, 2, v14
	v_and_b32_e32 v3, 0xff8, v3
	v_lshl_add_u32 v3, v1, 8, v3
	s_waitcnt vmcnt(0) lgkmcnt(0)
	ds_write_b64 v3, v[6:7]
.LBB179_5:
	s_or_b64 exec, exec, s[10:11]
	v_mul_lo_u32 v3, v5, v0
	v_sub_u32_e32 v3, s16, v3
	v_add_u32_e32 v4, 1, v5
	v_cmp_ge_u32_e32 vcc, v3, v0
	v_cndmask_b32_e32 v4, v5, v4, vcc
	v_sub_u32_e32 v5, v3, v0
	v_cndmask_b32_e32 v3, v3, v5, vcc
	v_add_u32_e32 v5, 1, v4
	v_cmp_ge_u32_e32 vcc, v3, v0
	v_sub_u32_e32 v3, 0, v27
	v_cndmask_b32_e32 v0, v4, v5, vcc
	v_max_i32_e32 v5, v27, v3
	v_cvt_f32_u32_e32 v3, v5
	v_xor_b32_e32 v2, s13, v2
	v_xor_b32_e32 v0, v0, v2
	v_sub_u32_e32 v4, v0, v2
	v_rcp_iflag_f32_e32 v0, v3
	s_waitcnt lgkmcnt(0)
	s_barrier
	v_mul_f32_e32 v0, 0x4f7ffffe, v0
	v_cvt_u32_f32_e32 v3, v0
	buffer_store_dword v5, off, s[0:3], s32 offset:188 ; 4-byte Folded Spill
	v_sub_u32_e32 v5, 0, v5
	v_add_u32_e32 v2, -1, v62
	v_mul_lo_u32 v5, v5, v3
	v_sub_u32_e32 v0, 0, v2
	v_mul_hi_u32 v5, v3, v5
	v_max_i32_e32 v0, v2, v0
	v_add_u32_e32 v3, v3, v5
	v_mad_u64_u32 v[6:7], s[10:11], v0, v3, 0
	v_cmp_gt_i32_e32 vcc, 0, v28
	buffer_store_dword v3, off, s[0:3], s32 offset:200 ; 4-byte Folded Spill
                                        ; implicit-def: $agpr6
	s_and_saveexec_b64 s[10:11], vcc
	s_xor_b64 s[10:11], exec, s[10:11]
; %bb.6:
	v_mad_u64_u32 v[10:11], s[16:17], v24, v12, v[4:5]
	v_mul_lo_u32 v3, v10, v28
	v_sub_u32_e32 v6, 1, v3
	v_accvgpr_write_b32 a6, v6
                                        ; implicit-def: $vgpr24
                                        ; implicit-def: $vgpr28
; %bb.7:
	s_or_saveexec_b64 s[10:11], s[10:11]
	v_ashrrev_i32_e32 v2, 31, v2
	v_ashrrev_i32_e32 v3, 31, v27
	buffer_store_dword v3, off, s[0:3], s32 offset:192 ; 4-byte Folded Spill
	s_xor_b64 exec, exec, s[10:11]
; %bb.8:
	v_mul_lo_u32 v3, s23, v24
	v_add_u32_e32 v3, s12, v3
	v_mad_u64_u32 v[10:11], s[16:17], v3, v28, 1
	v_accvgpr_write_b32 a6, v10
; %bb.9:
	s_or_b64 exec, exec, s[10:11]
	s_load_dword s38, s[8:9], 0x14
	s_load_dword s13, s[8:9], 0x8
	buffer_load_dword v3, off, s[0:3], s32 offset:192 ; 4-byte Folded Reload
	buffer_load_dword v6, off, s[0:3], s32 offset:188 ; 4-byte Folded Reload
	s_lshl_b32 s25, s14, 4
	v_lshrrev_b32_e32 v33, 6, v14
	v_mul_lo_u32 v10, s22, v18
	s_add_i32 s8, s25, 16
	v_ashrrev_i32_e32 v11, 31, v10
	v_mul_lo_u32 v48, v4, v23
	v_ashrrev_i32_e32 v49, 31, v48
	v_sub_u32_e32 v23, 0, v26
	v_lshlrev_b64 v[38:39], 2, v[10:11]
	s_waitcnt vmcnt(1)
	v_xor_b32_e32 v2, v2, v3
	s_waitcnt vmcnt(0)
	v_mul_lo_u32 v3, v7, v6
	v_sub_u32_e32 v0, v0, v3
	v_add_u32_e32 v3, 1, v7
	v_cmp_ge_u32_e32 vcc, v0, v6
	v_sub_u32_e32 v5, v0, v6
	v_cndmask_b32_e32 v3, v7, v3, vcc
	v_cndmask_b32_e32 v0, v0, v5, vcc
	v_add_u32_e32 v5, 1, v3
	v_cmp_ge_u32_e32 vcc, v0, v6
	v_cndmask_b32_e32 v0, v3, v5, vcc
	v_xor_b32_e32 v0, v0, v2
	v_sub_u32_e32 v0, v0, v2
	v_add_u32_e32 v2, 31, v62
	v_ashrrev_i32_e32 v3, 31, v2
	v_lshrrev_b32_e32 v3, 27, v3
	v_add_u32_e32 v2, v2, v3
	v_or_b32_e32 v6, s25, v33
	v_ashrrev_i32_e32 v24, 5, v2
	v_ashrrev_i32_e32 v7, 31, v6
	v_min_i32_e32 v2, s8, v24
	v_accvgpr_write_b32 a11, v7
	buffer_store_dword v2, off, s[0:3], s32 offset:196 ; 4-byte Folded Spill
	v_cmp_lt_i32_e64 s[8:9], v6, v2
	v_mov_b32_e32 v5, 0xff7fffff
	v_sub_u32_e32 v0, v0, v25
	v_accvgpr_write_b32 a10, v6
	v_mbcnt_lo_u32_b32 v2, -1, 0
	buffer_store_dword v0, off, s[0:3], s32 offset:204 ; 4-byte Folded Spill
	v_lshl_add_u32 v0, v33, 5, s15
	s_mov_b64 s[28:29], exec
	s_and_b64 s[10:11], s[28:29], s[8:9]
	v_accvgpr_write_b32 a12, v0
	buffer_store_dword v14, off, s[0:3], s32 offset:460 ; 4-byte Folded Spill
	s_mov_b64 exec, s[10:11]
	s_cbranch_execz .LBB179_19
; %bb.10:
	v_cmp_eq_u32_e32 vcc, 0, v1
	v_lshlrev_b32_e32 v1, 8, v1
	v_accvgpr_write_b32 a27, v1
	buffer_load_dword v1, off, s[0:3], s32 offset:224 ; 4-byte Folded Reload
	v_mov_b32_e32 v6, v2
	v_lshlrev_b64 v[2:3], 1, v[48:49]
	v_bfe_u32 v7, v14, 1, 5
	v_add_co_u32_e64 v0, s[10:11], v8, v2
	v_addc_co_u32_e64 v2, s[10:11], v9, v3, s[10:11]
	v_lshlrev_b32_e32 v3, 4, v7
	v_add_co_u32_e64 v0, s[10:11], v0, v3
	v_addc_co_u32_e64 v2, s[10:11], 0, v2, s[10:11]
	v_and_b32_e32 v3, 8, v32
	v_add_co_u32_e64 v0, s[10:11], v0, v3
	v_accvgpr_write_b32 a24, v0
	v_addc_co_u32_e64 v0, s[10:11], 0, v2, s[10:11]
	v_max_i32_e32 v8, v26, v23
	v_accvgpr_write_b32 a25, v0
	v_cvt_f32_u32_e32 v0, v8
	s_ashr_i32 s27, s26, 31
	v_sub_u32_e32 v2, 0, v8
	s_lshl_b64 s[16:17], s[26:27], 2
	v_rcp_iflag_f32_e32 v0, v0
	v_accvgpr_read_b32 v4, a10
	s_getpc_b64 s[18:19]
	s_add_u32 s18, s18, llvm.amdgcn.dynlds.offset.table@rel32@lo+4
	s_addc_u32 s19, s19, llvm.amdgcn.dynlds.offset.table@rel32@hi+12
	v_accvgpr_read_b32 v5, a11
	v_mul_f32_e32 v0, 0x4f7ffffe, v0
	v_cvt_u32_f32_e32 v0, v0
	s_add_u32 s30, s16, s18
	s_addc_u32 s31, s17, s19
	s_load_dword s27, s[30:31], 0x0
	v_mul_lo_u32 v2, v2, v0
	v_mul_hi_u32 v2, v0, v2
	v_add_u32_e32 v10, v0, v2
	v_lshlrev_b64 v[2:3], 2, v[4:5]
	v_add_co_u32_e64 v0, s[16:17], v38, v2
	v_addc_co_u32_e64 v2, s[16:17], v39, v3, s[16:17]
	v_add_co_u32_e64 v40, s[16:17], v34, v0
	v_lshlrev_b32_e32 v0, 2, v7
	v_lshl_or_b32 v21, v33, 7, v0
	v_sub_u32_e32 v0, v7, v62
	v_add_u32_e32 v0, 1, v0
	v_accvgpr_write_b32 a20, v48
	v_accvgpr_write_b32 a16, v38
	;; [unrolled: 1-line block ×3, first 2 shown]
	v_mbcnt_hi_u32_b32 v0, -1, v6
	v_accvgpr_write_b32 a18, v24
	v_accvgpr_write_b32 a9, v37
	;; [unrolled: 1-line block ×14, first 2 shown]
	v_addc_co_u32_e64 v41, s[16:17], v15, v2, s[16:17]
	v_lshl_add_u32 v15, v33, 5, s15
	v_accvgpr_write_b32 a14, v33
	v_accvgpr_write_b32 a23, v7
	s_mov_b64 s[34:35], 0
	s_movk_i32 s39, 0x1000
	s_movk_i32 s40, 0x2000
	;; [unrolled: 1-line block ×3, first 2 shown]
	v_accvgpr_write_b32 a22, v6
	v_accvgpr_write_b32 a30, v0
	v_mov_b32_e32 v0, 0xff7fffff
	v_mov_b32_e32 v20, v4
	buffer_store_dword v0, off, s[0:3], s32 offset:216 ; 4-byte Folded Spill
	s_waitcnt vmcnt(1)
	v_cmp_neq_f32_e64 s[10:11], 0, v1
	s_branch .LBB179_13
.LBB179_11:                             ;   in Loop: Header=BB179_13 Depth=1
	s_or_b64 exec, exec, s[36:37]
	v_accvgpr_read_b32 v8, a26
	v_accvgpr_read_b32 v10, a28
.LBB179_12:                             ;   in Loop: Header=BB179_13 Depth=1
	s_or_b64 exec, exec, s[18:19]
	buffer_load_dword v0, off, s[0:3], s32 offset:196 ; 4-byte Folded Reload
	v_add_co_u32_e64 v40, s[16:17], 8, v40
	v_add_u32_e32 v20, 2, v20
	v_addc_co_u32_e64 v41, s[16:17], 0, v41, s[16:17]
	v_add_u32_e32 v15, 64, v15
	v_add_u32_e32 v21, 0x100, v21
	s_waitcnt vmcnt(0)
	v_cmp_ge_i32_e64 s[16:17], v20, v0
	s_or_b64 s[34:35], s[16:17], s[34:35]
	s_andn2_b64 exec, exec, s[34:35]
	s_cbranch_execz .LBB179_18
.LBB179_13:                             ; =>This Inner Loop Header: Depth=1
	buffer_load_dword v1, off, s[0:3], s32 offset:192 ; 4-byte Folded Reload
	v_ashrrev_i32_e32 v0, 31, v15
	s_waitcnt lgkmcnt(0)
	v_sub_u32_e32 v2, 0, v15
	v_max_i32_e32 v2, v15, v2
	s_waitcnt vmcnt(0)
	v_xor_b32_e32 v0, v0, v1
	buffer_load_dword v1, off, s[0:3], s32 offset:200 ; 4-byte Folded Reload
	s_waitcnt vmcnt(0)
	v_mul_hi_u32 v3, v2, v1
	buffer_load_dword v1, off, s[0:3], s32 offset:188 ; 4-byte Folded Reload
	s_waitcnt vmcnt(0)
	v_mul_lo_u32 v4, v3, v1
	v_sub_u32_e32 v2, v2, v4
	v_add_u32_e32 v4, 1, v3
	v_cmp_ge_u32_e64 s[16:17], v2, v1
	v_cndmask_b32_e64 v3, v3, v4, s[16:17]
	v_sub_u32_e32 v4, v2, v1
	v_cndmask_b32_e64 v2, v2, v4, s[16:17]
	v_cmp_ge_u32_e64 s[16:17], v2, v1
	buffer_load_dword v1, off, s[0:3], s32 offset:204 ; 4-byte Folded Reload
	v_add_u32_e32 v4, 1, v3
	v_cndmask_b32_e64 v2, v3, v4, s[16:17]
	v_xor_b32_e32 v2, v2, v0
	v_sub_u32_e32 v0, v2, v0
	v_accvgpr_read_b32 v2, a6
	v_add_u32_e32 v2, v0, v2
	v_sub_u32_e32 v4, 0, v2
	v_ashrrev_i32_e32 v3, 31, v2
	v_max_i32_e32 v2, v2, v4
	v_mul_hi_u32 v4, v2, v10
	v_mul_lo_u32 v4, v4, v8
	v_sub_u32_e32 v2, v2, v4
	v_sub_u32_e32 v4, v2, v8
	v_cmp_ge_u32_e64 s[16:17], v2, v8
	v_cndmask_b32_e64 v2, v2, v4, s[16:17]
	v_sub_u32_e32 v4, v2, v8
	v_cmp_ge_u32_e64 s[16:17], v2, v8
	v_cndmask_b32_e64 v2, v2, v4, s[16:17]
	v_xor_b32_e32 v2, v2, v3
	v_sub_u32_e32 v2, v2, v3
	v_cmp_ne_u32_e64 s[16:17], 0, v2
	s_waitcnt vmcnt(0)
	v_cmp_le_i32_e64 s[18:19], v0, v1
	s_and_b64 s[16:17], s[16:17], s[18:19]
	s_and_b64 s[36:37], vcc, s[16:17]
	s_and_saveexec_b64 s[18:19], s[36:37]
	s_cbranch_execz .LBB179_15
; %bb.14:                               ;   in Loop: Header=BB179_13 Depth=1
	s_waitcnt lgkmcnt(0)
	v_add_u32_e32 v0, s27, v21
	v_mov_b32_e32 v1, 0xff7fffff
	ds_write_b32 v0, v1
.LBB179_15:                             ;   in Loop: Header=BB179_13 Depth=1
	s_or_b64 exec, exec, s[18:19]
	s_xor_b64 s[16:17], s[16:17], -1
	s_and_saveexec_b64 s[18:19], s[16:17]
	s_cbranch_execz .LBB179_12
; %bb.16:                               ;   in Loop: Header=BB179_13 Depth=1
	v_accvgpr_read_b32 v13, a27
	v_accvgpr_write_b32 a26, v8
	flat_load_dword v2, v[40:41]
	ds_read_b128 v[32:35], v13
	ds_read_b128 v[28:31], v13 offset:16
	ds_read_b128 v[16:19], v13 offset:32
	;; [unrolled: 1-line block ×5, first 2 shown]
	buffer_load_dword v4, off, s[0:3], s32 offset:208 ; 4-byte Folded Reload
	buffer_load_dword v5, off, s[0:3], s32 offset:212 ; 4-byte Folded Reload
	s_waitcnt lgkmcnt(0)
	v_lshlrev_b32_e32 v52, 16, v28
	v_lshlrev_b32_e32 v0, 16, v9
	v_and_b32_e32 v3, 0xffff0000, v39
	v_accvgpr_write_b32 a39, v0
	v_lshlrev_b32_e32 v0, 16, v36
	v_accvgpr_write_b32 a44, v3
	v_and_b32_e32 v3, 0xffff0000, v48
	v_accvgpr_write_b32 a38, v0
	v_lshlrev_b32_e32 v0, 16, v37
	v_accvgpr_write_b32 a43, v3
	;; [unrolled: 4-line block ×5, first 2 shown]
	v_accvgpr_write_b32 a34, v0
	v_lshlrev_b32_e32 v0, 16, v49
	v_accvgpr_write_b32 a33, v0
	v_lshlrev_b32_e32 v0, 16, v50
	v_accvgpr_write_b32 a32, v0
	v_lshlrev_b32_e32 v0, 16, v51
	v_lshlrev_b32_e32 v54, 16, v29
	v_lshlrev_b32_e32 v47, 16, v30
	;; [unrolled: 1-line block ×6, first 2 shown]
	v_accvgpr_write_b32 a31, v0
	v_and_b32_e32 v0, 0xffff0000, v28
	v_and_b32_e32 v1, 0xffff0000, v29
	;; [unrolled: 1-line block ×8, first 2 shown]
	v_lshlrev_b32_e32 v12, 16, v34
	v_accvgpr_write_b32 a28, v10
	v_lshlrev_b32_e32 v10, 16, v32
	v_and_b32_e32 v34, 0xffff0000, v34
	v_and_b32_e32 v32, 0xffff0000, v32
	v_lshlrev_b32_e32 v24, 16, v35
	v_lshlrev_b32_e32 v25, 16, v33
	;; [unrolled: 1-line block ×4, first 2 shown]
	v_and_b32_e32 v35, 0xffff0000, v35
	v_and_b32_e32 v26, 0xffff0000, v6
	;; [unrolled: 1-line block ×7, first 2 shown]
	v_lshlrev_b32_e32 v55, 16, v16
	v_and_b32_e32 v16, 0xffff0000, v16
	v_lshlrev_b32_e32 v61, 16, v17
	v_and_b32_e32 v17, 0xffff0000, v17
	s_waitcnt vmcnt(0)
	v_mad_i64_i32 v[2:3], s[16:17], v2, v4, 0
	v_lshlrev_b64 v[2:3], 1, v[2:3]
	v_accvgpr_read_b32 v4, a24
	v_add_co_u32_e64 v4, s[16:17], v4, v2
	v_accvgpr_read_b32 v2, a25
	v_addc_co_u32_e64 v5, s[16:17], v2, v3, s[16:17]
	flat_load_dwordx2 v[8:9], v[4:5] offset:512
	flat_load_dwordx2 v[18:19], v[4:5] offset:1024
	;; [unrolled: 1-line block ×3, first 2 shown]
	flat_load_dwordx2 v[30:31], v[4:5]
	v_add_co_u32_e64 v36, s[16:17], s39, v4
	v_addc_co_u32_e64 v37, s[16:17], 0, v5, s[16:17]
	flat_load_dwordx2 v[50:51], v[36:37]
	flat_load_dwordx2 v[38:39], v[36:37] offset:512
	flat_load_dwordx2 v[48:49], v[4:5] offset:3584
	s_waitcnt vmcnt(0) lgkmcnt(0)
	v_lshlrev_b32_e32 v2, 16, v8
	v_mul_f32_e32 v12, v12, v2
	v_and_b32_e32 v7, 0xffff0000, v9
	v_lshlrev_b32_e32 v2, 16, v30
	v_fmac_f32_e32 v12, v10, v2
	v_and_b32_e32 v2, 0xffff0000, v8
	v_mul_f32_e32 v3, v34, v2
	v_and_b32_e32 v2, 0xffff0000, v30
	v_fmac_f32_e32 v3, v32, v2
	v_lshlrev_b32_e32 v2, 16, v9
	v_mul_f32_e32 v2, v24, v2
	v_lshlrev_b32_e32 v6, 16, v31
	v_fmac_f32_e32 v2, v25, v6
	v_and_b32_e32 v6, 0xffff0000, v31
	v_mul_f32_e32 v10, v35, v7
	flat_load_dwordx2 v[34:35], v[36:37] offset:1024
	v_fmac_f32_e32 v10, v33, v6
	flat_load_dwordx2 v[32:33], v[36:37] offset:1536
	v_lshlrev_b32_e32 v6, 16, v18
	v_and_b32_e32 v7, 0xffff0000, v18
	v_lshlrev_b32_e32 v18, 16, v19
	flat_load_dwordx2 v[8:9], v[4:5] offset:2048
	v_and_b32_e32 v24, 0xffff0000, v19
	v_fmac_f32_e32 v2, v54, v18
	flat_load_dwordx2 v[18:19], v[4:5] offset:2560
	v_fmac_f32_e32 v12, v52, v6
	v_fmac_f32_e32 v3, v0, v7
	flat_load_dwordx2 v[6:7], v[4:5] offset:3072
	v_lshlrev_b32_e32 v25, 16, v28
	v_and_b32_e32 v28, 0xffff0000, v28
	v_lshlrev_b32_e32 v30, 16, v29
	v_and_b32_e32 v31, 0xffff0000, v29
	v_fmac_f32_e32 v10, v1, v24
	v_fmac_f32_e32 v12, v47, v25
	;; [unrolled: 1-line block ×3, first 2 shown]
	v_add_co_u32_e64 v28, s[16:17], s40, v4
	v_addc_co_u32_e64 v29, s[16:17], 0, v5, s[16:17]
	v_fmac_f32_e32 v2, v46, v30
	v_fmac_f32_e32 v10, v14, v31
	flat_load_dwordx2 v[30:31], v[36:37] offset:2048
	v_add_co_u32_e64 v46, s[16:17], s41, v4
	v_addc_co_u32_e64 v47, s[16:17], 0, v5, s[16:17]
	v_accvgpr_read_b32 v14, a30
	v_and_b32_e32 v11, 64, v14
	v_accvgpr_read_b32 v25, a37
	v_lshlrev_b32_e32 v24, 16, v38
	s_waitcnt vmcnt(0) lgkmcnt(0)
	v_lshlrev_b32_e32 v0, 16, v8
	v_and_b32_e32 v1, 0xffff0000, v8
	v_fmac_f32_e32 v12, v55, v0
	v_lshlrev_b32_e32 v0, 16, v18
	v_lshlrev_b32_e32 v4, 16, v9
	v_fmac_f32_e32 v3, v16, v1
	v_fmac_f32_e32 v12, v59, v0
	v_and_b32_e32 v0, 0xffff0000, v18
	v_fmac_f32_e32 v2, v61, v4
	v_fmac_f32_e32 v3, v22, v0
	v_lshlrev_b32_e32 v0, 16, v19
	v_fmac_f32_e32 v2, v58, v0
	flat_load_dwordx2 v[58:59], v[36:37] offset:2560
	v_and_b32_e32 v5, 0xffff0000, v9
	v_fmac_f32_e32 v10, v17, v5
	v_and_b32_e32 v1, 0xffff0000, v19
	v_fmac_f32_e32 v10, v23, v1
	v_lshlrev_b32_e32 v1, 16, v6
	v_fmac_f32_e32 v12, v60, v1
	v_and_b32_e32 v1, 0xffff0000, v6
	v_fmac_f32_e32 v3, v26, v1
	v_and_b32_e32 v6, 0xffff0000, v48
	v_lshlrev_b32_e32 v4, 16, v7
	v_and_b32_e32 v5, 0xffff0000, v7
	v_fmac_f32_e32 v3, v53, v6
	ds_read_b128 v[6:9], v13 offset:96
	ds_read_b128 v[16:19], v13 offset:112
	flat_load_dwordx2 v[22:23], v[36:37] offset:3072
	v_fmac_f32_e32 v10, v27, v5
	flat_load_dwordx2 v[26:27], v[36:37] offset:3584
	v_lshlrev_b32_e32 v1, 16, v48
	v_xor_b32_e32 v0, 1, v14
	v_fmac_f32_e32 v12, v43, v1
	v_add_u32_e32 v1, 64, v11
	v_fmac_f32_e32 v2, v42, v4
	v_cmp_lt_i32_e64 s[16:17], v0, v1
	v_lshlrev_b32_e32 v1, 16, v49
	v_accvgpr_read_b32 v4, a39
	v_fmac_f32_e32 v2, v4, v1
	v_lshlrev_b32_e32 v4, 16, v50
	v_accvgpr_read_b32 v5, a38
	v_fmac_f32_e32 v12, v5, v4
	v_and_b32_e32 v4, 0xffff0000, v50
	v_lshlrev_b32_e32 v5, 16, v51
	v_fmac_f32_e32 v3, v57, v4
	v_and_b32_e32 v4, 0xffff0000, v38
	v_fmac_f32_e32 v2, v25, v5
	v_accvgpr_read_b32 v5, a36
	v_fmac_f32_e32 v12, v5, v24
	v_fmac_f32_e32 v3, v45, v4
	flat_load_dwordx2 v[54:55], v[28:29]
	flat_load_dwordx2 v[4:5], v[28:29] offset:512
	flat_load_dwordx2 v[52:53], v[28:29] offset:1024
	;; [unrolled: 1-line block ×3, first 2 shown]
	v_and_b32_e32 v1, 0xffff0000, v49
	v_cndmask_b32_e64 v0, v14, v0, s[16:17]
	v_fmac_f32_e32 v10, v44, v1
	v_and_b32_e32 v14, 0xffff0000, v51
	v_fmac_f32_e32 v10, v56, v14
	flat_load_dwordx2 v[56:57], v[28:29] offset:2048
	flat_load_dwordx2 v[44:45], v[28:29] offset:2560
	flat_load_dwordx2 v[42:43], v[28:29] offset:3072
	flat_load_dwordx2 v[50:51], v[28:29] offset:3584
	v_lshlrev_b32_e32 v14, 16, v39
	v_accvgpr_read_b32 v25, a35
	v_and_b32_e32 v24, 0xffff0000, v39
	v_fmac_f32_e32 v2, v25, v14
	v_accvgpr_read_b32 v14, a44
	v_fmac_f32_e32 v10, v14, v24
	v_lshlrev_b32_e32 v14, 16, v34
	v_accvgpr_read_b32 v25, a34
	v_and_b32_e32 v24, 0xffff0000, v34
	v_fmac_f32_e32 v12, v25, v14
	v_accvgpr_read_b32 v14, a43
	v_fmac_f32_e32 v3, v14, v24
	;; [unrolled: 6-line block ×3, first 2 shown]
	v_lshlrev_b32_e32 v14, 16, v32
	v_accvgpr_read_b32 v25, a32
	flat_load_dwordx2 v[48:49], v[46:47]
	flat_load_dwordx2 v[38:39], v[46:47] offset:512
	flat_load_dwordx2 v[36:37], v[46:47] offset:1024
	flat_load_dwordx2 v[34:35], v[46:47] offset:1536
	v_and_b32_e32 v24, 0xffff0000, v32
	v_fmac_f32_e32 v12, v25, v14
	v_accvgpr_read_b32 v14, a41
	v_fmac_f32_e32 v3, v14, v24
	v_lshlrev_b32_e32 v14, 16, v33
	v_accvgpr_read_b32 v24, a31
	v_fmac_f32_e32 v2, v24, v14
	v_and_b32_e32 v14, 0xffff0000, v33
	v_accvgpr_read_b32 v24, a40
	s_waitcnt lgkmcnt(0)
	v_lshlrev_b32_e32 v11, 16, v6
	v_fmac_f32_e32 v10, v24, v14
	v_lshlrev_b32_e32 v14, 16, v30
	v_and_b32_e32 v6, 0xffff0000, v6
	v_fmac_f32_e32 v12, v11, v14
	v_and_b32_e32 v11, 0xffff0000, v30
	v_lshlrev_b32_e32 v1, 16, v7
	v_and_b32_e32 v7, 0xffff0000, v7
	v_fmac_f32_e32 v3, v6, v11
	v_lshlrev_b32_e32 v6, 16, v31
	v_and_b32_e32 v11, 0xffff0000, v31
	v_fmac_f32_e32 v2, v1, v6
	v_fmac_f32_e32 v10, v7, v11
	v_lshlrev_b32_e32 v1, 16, v8
	v_and_b32_e32 v6, 0xffff0000, v8
	s_waitcnt vmcnt(0)
	v_lshlrev_b32_e32 v7, 16, v58
	v_and_b32_e32 v8, 0xffff0000, v58
	v_fmac_f32_e32 v12, v1, v7
	v_fmac_f32_e32 v3, v6, v8
	flat_load_dwordx2 v[32:33], v[46:47] offset:2048
	flat_load_dwordx2 v[30:31], v[46:47] offset:2560
	;; [unrolled: 1-line block ×4, first 2 shown]
	v_lshlrev_b32_e32 v8, 2, v0
	v_lshlrev_b32_e32 v0, 16, v9
	v_and_b32_e32 v1, 0xffff0000, v9
	v_lshlrev_b32_e32 v9, 16, v59
	v_and_b32_e32 v11, 0xffff0000, v59
	v_fmac_f32_e32 v2, v0, v9
	v_fmac_f32_e32 v10, v1, v11
	v_lshlrev_b32_e32 v0, 16, v16
	v_and_b32_e32 v1, 0xffff0000, v16
	v_lshlrev_b32_e32 v9, 16, v22
	v_and_b32_e32 v11, 0xffff0000, v22
	v_fmac_f32_e32 v12, v0, v9
	v_fmac_f32_e32 v3, v1, v11
	;; [unrolled: 6-line block ×4, first 2 shown]
	v_lshlrev_b32_e32 v0, 16, v19
	v_and_b32_e32 v1, 0xffff0000, v19
	ds_read_b128 v[16:19], v13 offset:128
	ds_read_b128 v[22:25], v13 offset:144
	v_lshlrev_b32_e32 v9, 16, v27
	v_and_b32_e32 v11, 0xffff0000, v27
	v_fmac_f32_e32 v2, v0, v9
	v_fmac_f32_e32 v10, v1, v11
	s_waitcnt lgkmcnt(0)
	v_lshlrev_b32_e32 v0, 16, v16
	v_and_b32_e32 v1, 0xffff0000, v16
	v_lshlrev_b32_e32 v9, 16, v54
	v_and_b32_e32 v11, 0xffff0000, v54
	v_fmac_f32_e32 v12, v0, v9
	v_fmac_f32_e32 v3, v1, v11
	v_lshlrev_b32_e32 v0, 16, v17
	v_and_b32_e32 v1, 0xffff0000, v17
	v_lshlrev_b32_e32 v9, 16, v55
	v_and_b32_e32 v11, 0xffff0000, v55
	v_fmac_f32_e32 v2, v0, v9
	v_fmac_f32_e32 v10, v1, v11
	v_lshlrev_b32_e32 v0, 16, v18
	v_and_b32_e32 v1, 0xffff0000, v18
	v_lshlrev_b32_e32 v9, 16, v4
	v_and_b32_e32 v4, 0xffff0000, v4
	v_fmac_f32_e32 v12, v0, v9
	v_fmac_f32_e32 v3, v1, v4
	v_lshlrev_b32_e32 v0, 16, v19
	v_and_b32_e32 v1, 0xffff0000, v19
	v_lshlrev_b32_e32 v4, 16, v5
	v_and_b32_e32 v5, 0xffff0000, v5
	ds_read_b128 v[16:19], v13 offset:160
	v_fmac_f32_e32 v2, v0, v4
	v_fmac_f32_e32 v10, v1, v5
	v_lshlrev_b32_e32 v0, 16, v22
	v_and_b32_e32 v1, 0xffff0000, v22
	v_lshlrev_b32_e32 v4, 16, v52
	v_and_b32_e32 v5, 0xffff0000, v52
	v_fmac_f32_e32 v12, v0, v4
	v_fmac_f32_e32 v3, v1, v5
	v_lshlrev_b32_e32 v0, 16, v23
	v_and_b32_e32 v1, 0xffff0000, v23
	v_lshlrev_b32_e32 v4, 16, v53
	v_and_b32_e32 v5, 0xffff0000, v53
	v_fmac_f32_e32 v2, v0, v4
	v_fmac_f32_e32 v10, v1, v5
	v_lshlrev_b32_e32 v0, 16, v24
	v_and_b32_e32 v1, 0xffff0000, v24
	v_lshlrev_b32_e32 v4, 16, v60
	v_and_b32_e32 v5, 0xffff0000, v60
	v_fmac_f32_e32 v12, v0, v4
	v_fmac_f32_e32 v3, v1, v5
	v_lshlrev_b32_e32 v0, 16, v25
	v_and_b32_e32 v1, 0xffff0000, v25
	ds_read_b128 v[22:25], v13 offset:176
	v_lshlrev_b32_e32 v4, 16, v61
	v_and_b32_e32 v5, 0xffff0000, v61
	v_fmac_f32_e32 v2, v0, v4
	v_fmac_f32_e32 v10, v1, v5
	s_waitcnt lgkmcnt(0)
	v_lshlrev_b32_e32 v0, 16, v16
	v_and_b32_e32 v1, 0xffff0000, v16
	v_lshlrev_b32_e32 v4, 16, v56
	v_and_b32_e32 v5, 0xffff0000, v56
	v_fmac_f32_e32 v12, v0, v4
	v_fmac_f32_e32 v3, v1, v5
	v_lshlrev_b32_e32 v0, 16, v17
	v_and_b32_e32 v1, 0xffff0000, v17
	v_lshlrev_b32_e32 v4, 16, v57
	v_and_b32_e32 v5, 0xffff0000, v57
	v_fmac_f32_e32 v2, v0, v4
	v_fmac_f32_e32 v10, v1, v5
	v_lshlrev_b32_e32 v0, 16, v18
	v_and_b32_e32 v1, 0xffff0000, v18
	v_lshlrev_b32_e32 v4, 16, v44
	v_and_b32_e32 v5, 0xffff0000, v44
	v_fmac_f32_e32 v12, v0, v4
	v_fmac_f32_e32 v3, v1, v5
	v_lshlrev_b32_e32 v0, 16, v19
	v_and_b32_e32 v1, 0xffff0000, v19
	v_lshlrev_b32_e32 v4, 16, v45
	v_and_b32_e32 v5, 0xffff0000, v45
	ds_read_b128 v[16:19], v13 offset:192
	v_fmac_f32_e32 v2, v0, v4
	v_fmac_f32_e32 v10, v1, v5
	v_lshlrev_b32_e32 v0, 16, v22
	v_and_b32_e32 v1, 0xffff0000, v22
	v_lshlrev_b32_e32 v4, 16, v42
	v_and_b32_e32 v5, 0xffff0000, v42
	v_fmac_f32_e32 v12, v0, v4
	v_fmac_f32_e32 v3, v1, v5
	v_lshlrev_b32_e32 v0, 16, v23
	v_and_b32_e32 v1, 0xffff0000, v23
	v_lshlrev_b32_e32 v4, 16, v43
	v_and_b32_e32 v5, 0xffff0000, v43
	v_fmac_f32_e32 v2, v0, v4
	v_fmac_f32_e32 v10, v1, v5
	v_lshlrev_b32_e32 v0, 16, v24
	v_and_b32_e32 v1, 0xffff0000, v24
	v_lshlrev_b32_e32 v4, 16, v50
	v_and_b32_e32 v5, 0xffff0000, v50
	v_fmac_f32_e32 v12, v0, v4
	v_fmac_f32_e32 v3, v1, v5
	v_lshlrev_b32_e32 v0, 16, v25
	v_and_b32_e32 v1, 0xffff0000, v25
	;; [unrolled: 51-line block ×3, first 2 shown]
	ds_read_b128 v[22:25], v13 offset:240
	v_lshlrev_b32_e32 v4, 16, v35
	v_and_b32_e32 v5, 0xffff0000, v35
	v_fmac_f32_e32 v2, v0, v4
	v_fmac_f32_e32 v10, v1, v5
	s_waitcnt lgkmcnt(0)
	v_lshlrev_b32_e32 v0, 16, v16
	v_and_b32_e32 v1, 0xffff0000, v16
	s_waitcnt vmcnt(0)
	v_lshlrev_b32_e32 v4, 16, v32
	v_and_b32_e32 v5, 0xffff0000, v32
	v_fmac_f32_e32 v12, v0, v4
	v_fmac_f32_e32 v3, v1, v5
	v_lshlrev_b32_e32 v0, 16, v17
	v_and_b32_e32 v1, 0xffff0000, v17
	v_lshlrev_b32_e32 v4, 16, v33
	v_and_b32_e32 v5, 0xffff0000, v33
	v_fmac_f32_e32 v2, v0, v4
	v_fmac_f32_e32 v10, v1, v5
	v_lshlrev_b32_e32 v0, 16, v18
	v_and_b32_e32 v1, 0xffff0000, v18
	;; [unrolled: 6-line block ×6, first 2 shown]
	v_lshlrev_b32_e32 v4, 16, v6
	v_and_b32_e32 v5, 0xffff0000, v6
	v_fmac_f32_e32 v12, v0, v4
	v_fmac_f32_e32 v3, v1, v5
	v_lshlrev_b32_e32 v0, 16, v25
	v_lshlrev_b32_e32 v4, 16, v7
	v_and_b32_e32 v1, 0xffff0000, v25
	v_and_b32_e32 v5, 0xffff0000, v7
	v_fmac_f32_e32 v2, v0, v4
	v_add_f32_e32 v0, v12, v3
	v_fmac_f32_e32 v10, v1, v5
	v_add_f32_e32 v0, v0, v2
	v_add_f32_e32 v0, v10, v0
	ds_bpermute_b32 v2, v8, v0
	s_and_saveexec_b64 s[36:37], vcc
	s_cbranch_execz .LBB179_11
; %bb.17:                               ;   in Loop: Header=BB179_13 Depth=1
	buffer_load_dword v5, off, s[0:3], s32 offset:224 ; 4-byte Folded Reload
	v_accvgpr_read_b32 v1, a29
	v_add_u32_e32 v1, v1, v15
	v_cvt_f32_i32_e32 v1, v1
	s_waitcnt lgkmcnt(0)
	v_add_f32_e32 v0, v0, v2
	v_accvgpr_read_b32 v2, a19
	s_load_dword s16, s[30:31], 0x0
	v_accvgpr_read_b32 v3, a23
	v_add_u32_e32 v3, v3, v15
	s_waitcnt lgkmcnt(0)
	v_add_u32_e32 v4, s16, v21
	v_cmp_lt_i32_e64 s[16:17], v3, v62
	s_waitcnt vmcnt(0)
	v_mul_f32_e32 v1, v5, v1
	v_cndmask_b32_e64 v1, 0, v1, s[10:11]
	v_fmac_f32_e32 v1, v0, v2
	buffer_load_dword v2, off, s[0:3], s32 offset:216 ; 4-byte Folded Reload
	v_cndmask_b32_e64 v0, 0, v1, s[16:17]
	ds_write_b32 v4, v0
	s_waitcnt vmcnt(0)
	v_max_f32_e32 v0, v2, v2
	v_max_f32_e32 v0, v0, v1
	v_cndmask_b32_e64 v2, v2, v0, s[16:17]
	buffer_store_dword v2, off, s[0:3], s32 offset:216 ; 4-byte Folded Spill
	s_branch .LBB179_11
.LBB179_18:
	s_or_b64 exec, exec, s[34:35]
	buffer_load_dword v14, off, s[0:3], s32 offset:460 ; 4-byte Folded Reload
	buffer_load_dword v5, off, s[0:3], s32 offset:216 ; 4-byte Folded Reload
	v_accvgpr_read_b32 v39, a17
	v_accvgpr_read_b32 v49, a21
	;; [unrolled: 1-line block ×17, first 2 shown]
	s_waitcnt lgkmcnt(0)
	v_accvgpr_read_b32 v2, a22
.LBB179_19:
	s_or_b64 exec, exec, s[28:29]
	v_mbcnt_hi_u32_b32 v0, -1, v2
	v_and_b32_e32 v1, 64, v0
	v_add_u32_e32 v1, 64, v1
	v_xor_b32_e32 v2, 32, v0
	v_cmp_lt_i32_e32 vcc, v2, v1
	v_cndmask_b32_e32 v2, v0, v2, vcc
	v_lshlrev_b32_e32 v2, 2, v2
	s_waitcnt vmcnt(0)
	ds_bpermute_b32 v3, v2, v5
	v_max_f32_e32 v4, v5, v5
	v_xor_b32_e32 v5, 16, v0
	v_cmp_lt_i32_e32 vcc, v5, v1
	v_xor_b32_e32 v6, 8, v0
	s_waitcnt lgkmcnt(0)
	v_max_f32_e32 v3, v3, v3
	v_max_f32_e32 v4, v4, v3
	v_cndmask_b32_e32 v3, v0, v5, vcc
	v_lshlrev_b32_e32 v3, 2, v3
	ds_bpermute_b32 v5, v3, v4
	v_cmp_lt_i32_e32 vcc, v6, v1
	v_xor_b32_e32 v7, 4, v0
	v_xor_b32_e32 v8, 2, v0
	v_and_b32_e32 v29, 63, v14
	s_waitcnt lgkmcnt(0)
	v_max_f32_e32 v5, v5, v5
	v_max_f32_e32 v5, v4, v5
	v_cndmask_b32_e32 v4, v0, v6, vcc
	v_lshlrev_b32_e32 v4, 2, v4
	ds_bpermute_b32 v6, v4, v5
	v_cmp_lt_i32_e32 vcc, v7, v1
	s_lshr_b32 s34, s38, 16
	s_waitcnt lgkmcnt(0)
	v_max_f32_e32 v6, v6, v6
	v_max_f32_e32 v6, v5, v6
	v_cndmask_b32_e32 v5, v0, v7, vcc
	v_lshlrev_b32_e32 v5, 2, v5
	ds_bpermute_b32 v7, v5, v6
	v_cmp_lt_i32_e32 vcc, v8, v1
	s_waitcnt lgkmcnt(0)
	v_max_f32_e32 v7, v7, v7
	v_max_f32_e32 v7, v6, v7
	v_cndmask_b32_e32 v6, v0, v8, vcc
	v_lshlrev_b32_e32 v25, 2, v6
	ds_bpermute_b32 v8, v25, v7
	v_cmp_eq_u32_e32 vcc, 0, v29
	v_lshlrev_b32_e32 v6, 2, v33
	s_and_saveexec_b64 s[10:11], vcc
	s_cbranch_execz .LBB179_21
; %bb.20:
	s_waitcnt lgkmcnt(0)
	v_max_f32_e32 v8, v8, v8
	v_max_f32_e32 v7, v7, v7
	;; [unrolled: 1-line block ×3, first 2 shown]
	ds_write_b32 v6, v7 offset:512
.LBB179_21:
	s_or_b64 exec, exec, s[10:11]
	v_cmp_gt_u32_e64 s[10:11], 2, v29
	s_waitcnt lgkmcnt(0)
	v_mov_b32_e32 v8, 0xff7fffff
	v_lshlrev_b32_e32 v7, 2, v29
	s_barrier
	s_and_saveexec_b64 s[16:17], s[10:11]
	s_cbranch_execz .LBB179_23
; %bb.22:
	ds_read_b32 v8, v7 offset:512
.LBB179_23:
	s_or_b64 exec, exec, s[16:17]
	v_xor_b32_e32 v9, 1, v0
	v_cmp_lt_i32_e64 s[16:17], v9, v1
	v_cndmask_b32_e64 v1, v0, v9, s[16:17]
	buffer_load_dword v9, off, s[0:3], s32 offset:196 ; 4-byte Folded Reload
	v_lshlrev_b32_e32 v28, 2, v1
	s_waitcnt lgkmcnt(0)
	ds_bpermute_b32 v1, v28, v8
	v_max_f32_e32 v8, v8, v8
	v_lshlrev_b32_e32 v0, 2, v0
	s_waitcnt lgkmcnt(0)
	v_max_f32_e32 v1, v1, v1
	v_max_f32_e32 v1, v8, v1
	s_waitcnt vmcnt(0)
	v_subrev_u32_e32 v9, s25, v9
	v_lshl_add_u32 v10, v9, 5, s15
	v_and_b32_e32 v9, 0x100, v0
	ds_bpermute_b32 v0, v9, v1
	v_min_i32_e32 v8, v10, v62
	v_subrev_u32_e32 v1, s15, v8
	v_cmp_lt_i32_e64 s[16:17], v14, v1
	v_mov_b32_e32 v10, 0
	s_and_saveexec_b64 s[28:29], s[16:17]
	s_cbranch_execz .LBB179_27
; %bb.24:
	s_ashr_i32 s27, s26, 31
	s_lshl_b64 s[18:19], s[26:27], 2
	s_getpc_b64 s[30:31]
	s_add_u32 s30, s30, llvm.amdgcn.dynlds.offset.table@rel32@lo+4
	s_addc_u32 s31, s31, llvm.amdgcn.dynlds.offset.table@rel32@hi+12
	s_add_u32 s18, s18, s30
	s_addc_u32 s19, s19, s31
	s_load_dword s18, s[18:19], 0x0
	s_mov_b64 s[30:31], 0
	v_mov_b32_e32 v10, 0
	v_mov_b32_e32 v12, v14
	s_waitcnt lgkmcnt(0)
	v_lshl_add_u32 v11, v14, 2, s18
.LBB179_25:                             ; =>This Inner Loop Header: Depth=1
	ds_read_b32 v13, v11
	v_add_u32_e32 v12, 0x80, v12
	v_cmp_ge_i32_e64 s[18:19], v12, v1
	s_or_b64 s[30:31], s[18:19], s[30:31]
	s_waitcnt lgkmcnt(0)
	v_sub_f32_e32 v13, v13, v0
	v_mul_f32_e32 v13, 0x3fb8aa3b, v13
	v_exp_f32_e32 v13, v13
	ds_write_b32 v11, v13
	v_add_f32_e32 v10, v10, v13
	v_add_u32_e32 v11, 0x200, v11
	s_andn2_b64 exec, exec, s[30:31]
	s_cbranch_execnz .LBB179_25
; %bb.26:
	s_or_b64 exec, exec, s[30:31]
.LBB179_27:
	s_or_b64 exec, exec, s[28:29]
	ds_bpermute_b32 v2, v2, v10
	s_waitcnt lgkmcnt(0)
	v_add_f32_e32 v2, v10, v2
	ds_bpermute_b32 v3, v3, v2
	s_waitcnt lgkmcnt(0)
	v_add_f32_e32 v2, v2, v3
	;; [unrolled: 3-line block ×6, first 2 shown]
	s_and_saveexec_b64 s[18:19], vcc
	s_cbranch_execz .LBB179_29
; %bb.28:
	ds_write_b32 v6, v2 offset:520
.LBB179_29:
	s_or_b64 exec, exec, s[18:19]
	s_waitcnt lgkmcnt(0)
	s_barrier
	s_and_saveexec_b64 s[18:19], s[10:11]
	s_cbranch_execz .LBB179_31
; %bb.30:
	ds_read_b32 v2, v7 offset:520
.LBB179_31:
	s_or_b64 exec, exec, s[18:19]
	s_waitcnt lgkmcnt(0)
	ds_bpermute_b32 v3, v28, v2
	s_waitcnt lgkmcnt(0)
	v_add_f32_e32 v2, v2, v3
	ds_bpermute_b32 v2, v9, v2
	s_and_saveexec_b64 s[10:11], s[16:17]
	s_cbranch_execz .LBB179_44
; %bb.32:
	s_waitcnt lgkmcnt(0)
	v_add_f32_e32 v3, 0x358637bd, v2
	v_div_scale_f32 v4, s[16:17], v3, v3, 1.0
	v_rcp_f32_e32 v5, v4
	v_div_scale_f32 v6, vcc, 1.0, v3, 1.0
	s_mov_b64 s[18:19], -1
	v_fma_f32 v7, -v4, v5, 1.0
	v_fmac_f32_e32 v5, v7, v5
	v_mul_f32_e32 v7, v6, v5
	v_fma_f32 v9, -v4, v7, v6
	v_fmac_f32_e32 v7, v9, v5
	v_fma_f32 v4, -v4, v7, v6
	v_div_fmas_f32 v4, v4, v5, v7
	v_div_fixup_f32 v6, v4, v3, 1.0
	v_xad_u32 v3, v14, -1, v8
	v_subrev_u32_e32 v4, s15, v3
	s_movk_i32 s15, 0x7f
	v_cmp_lt_u32_e32 vcc, s15, v4
	v_mov_b32_e32 v3, v14
	s_and_saveexec_b64 s[16:17], vcc
	s_cbranch_execz .LBB179_41
; %bb.33:
	v_lshrrev_b32_e32 v3, 7, v4
	v_add_u32_e32 v5, -1, v3
	v_lshrrev_b32_e32 v4, 1, v5
	v_mov_b32_e32 v7, v6
	v_add_u32_e32 v4, 1, v4
	v_cmp_lt_u32_e32 vcc, 13, v5
	v_mov_b32_e32 v9, 0
	s_and_saveexec_b64 s[18:19], vcc
	s_cbranch_execz .LBB179_37
; %bb.34:
	s_ashr_i32 s27, s26, 31
	s_lshl_b64 s[28:29], s[26:27], 2
	s_getpc_b64 vcc
	s_add_u32 vcc_lo, vcc_lo, llvm.amdgcn.dynlds.offset.table@rel32@lo+4
	s_addc_u32 vcc_hi, vcc_hi, llvm.amdgcn.dynlds.offset.table@rel32@hi+12
	s_add_u32 s28, s28, vcc_lo
	s_addc_u32 s29, s29, vcc_hi
	s_load_dword s25, s[28:29], 0x0
	v_and_b32_e32 v5, -8, v4
	s_mov_b32 s15, 0
	s_mov_b64 s[28:29], 0
	s_waitcnt lgkmcnt(0)
	v_lshl_add_u32 v8, v14, 2, s25
.LBB179_35:                             ; =>This Inner Loop Header: Depth=1
	ds_read2st64_b32 v[10:11], v8 offset1:2
	ds_read2st64_b32 v[12:13], v8 offset0:4 offset1:6
	ds_read2st64_b32 v[18:19], v8 offset0:8 offset1:10
	;; [unrolled: 1-line block ×3, first 2 shown]
	v_add_u32_e32 v5, -8, v5
	s_waitcnt lgkmcnt(3)
	v_pk_mul_f32 v[10:11], v[6:7], v[10:11]
	s_waitcnt lgkmcnt(2)
	v_pk_mul_f32 v[12:13], v[6:7], v[12:13]
	ds_write2st64_b32 v8, v10, v11 offset1:2
	ds_write2st64_b32 v8, v12, v13 offset0:4 offset1:6
	ds_read2st64_b32 v[12:13], v8 offset0:16 offset1:18
	s_waitcnt lgkmcnt(4)
	v_pk_mul_f32 v[10:11], v[6:7], v[18:19]
	ds_write2st64_b32 v8, v10, v11 offset0:8 offset1:10
	s_waitcnt lgkmcnt(4)
	v_pk_mul_f32 v[10:11], v[6:7], v[16:17]
	ds_write2st64_b32 v8, v10, v11 offset0:12 offset1:14
	ds_read2st64_b32 v[10:11], v8 offset0:20 offset1:22
	s_waitcnt lgkmcnt(3)
	v_pk_mul_f32 v[12:13], v[6:7], v[12:13]
	ds_read2st64_b32 v[16:17], v8 offset0:24 offset1:26
	ds_write2st64_b32 v8, v12, v13 offset0:16 offset1:18
	ds_read2st64_b32 v[12:13], v8 offset0:28 offset1:30
	s_waitcnt lgkmcnt(3)
	v_pk_mul_f32 v[10:11], v[6:7], v[10:11]
	ds_write2st64_b32 v8, v10, v11 offset0:20 offset1:22
	s_waitcnt lgkmcnt(3)
	v_pk_mul_f32 v[10:11], v[6:7], v[16:17]
	ds_write2st64_b32 v8, v10, v11 offset0:24 offset1:26
	s_waitcnt lgkmcnt(2)
	v_pk_mul_f32 v[10:11], v[6:7], v[12:13]
	s_add_i32 s15, s15, 16
	v_cmp_eq_u32_e32 vcc, 0, v5
	ds_write2st64_b32 v8, v10, v11 offset0:28 offset1:30
	v_add_u32_e32 v8, 0x2000, v8
	s_or_b64 s[28:29], vcc, s[28:29]
	v_mov_b32_e32 v9, s15
	s_andn2_b64 exec, exec, s[28:29]
	s_cbranch_execnz .LBB179_35
; %bb.36:
	s_or_b64 exec, exec, s[28:29]
	buffer_load_dword v14, off, s[0:3], s32 offset:460 ; 4-byte Folded Reload
.LBB179_37:
	s_or_b64 exec, exec, s[18:19]
	v_and_b32_e32 v4, 7, v4
	v_cmp_ne_u32_e32 vcc, 0, v4
	s_and_saveexec_b64 s[18:19], vcc
	s_cbranch_execz .LBB179_40
; %bb.38:
	s_ashr_i32 s27, s26, 31
	s_lshl_b64 s[28:29], s[26:27], 2
	s_getpc_b64 vcc
	s_add_u32 vcc_lo, vcc_lo, llvm.amdgcn.dynlds.offset.table@rel32@lo+4
	s_addc_u32 vcc_hi, vcc_hi, llvm.amdgcn.dynlds.offset.table@rel32@hi+12
	s_add_u32 s28, s28, vcc_lo
	s_addc_u32 s29, s29, vcc_hi
	s_load_dword s15, s[28:29], 0x0
	v_lshlrev_b32_e32 v5, 9, v9
	s_waitcnt vmcnt(0)
	v_lshlrev_b32_e32 v8, 2, v14
	s_mov_b64 s[28:29], 0
	s_waitcnt lgkmcnt(0)
	v_add3_u32 v5, v5, v8, s15
.LBB179_39:                             ; =>This Inner Loop Header: Depth=1
	ds_read2st64_b32 v[8:9], v5 offset1:2
	v_add_u32_e32 v4, -1, v4
	v_cmp_eq_u32_e32 vcc, 0, v4
	s_or_b64 s[28:29], vcc, s[28:29]
	s_waitcnt lgkmcnt(0)
	v_pk_mul_f32 v[8:9], v[6:7], v[8:9]
	ds_write2st64_b32 v5, v8, v9 offset1:2
	v_add_u32_e32 v5, 0x400, v5
	s_andn2_b64 exec, exec, s[28:29]
	s_cbranch_execnz .LBB179_39
.LBB179_40:
	s_or_b64 exec, exec, s[18:19]
	v_add_u32_e32 v4, 1, v3
	v_and_b32_e32 v5, 0x3fffffe, v4
	v_cmp_ne_u32_e32 vcc, v4, v5
	s_waitcnt vmcnt(0)
	v_lshl_add_u32 v3, v5, 7, v14
	s_orn2_b64 s[18:19], vcc, exec
.LBB179_41:
	s_or_b64 exec, exec, s[16:17]
	s_and_b64 exec, exec, s[18:19]
	s_cbranch_execz .LBB179_44
; %bb.42:
	s_ashr_i32 s27, s26, 31
	s_lshl_b64 s[16:17], s[26:27], 2
	s_getpc_b64 s[18:19]
	s_add_u32 s18, s18, llvm.amdgcn.dynlds.offset.table@rel32@lo+4
	s_addc_u32 s19, s19, llvm.amdgcn.dynlds.offset.table@rel32@hi+12
	s_add_u32 s16, s16, s18
	s_addc_u32 s17, s17, s19
	s_load_dword s15, s[16:17], 0x0
	s_mov_b64 s[16:17], 0
	s_waitcnt lgkmcnt(0)
	v_lshl_add_u32 v4, v3, 2, s15
.LBB179_43:                             ; =>This Inner Loop Header: Depth=1
	ds_read_b32 v5, v4
	v_add_u32_e32 v3, 0x80, v3
	v_cmp_ge_i32_e32 vcc, v3, v1
	s_or_b64 s[16:17], vcc, s[16:17]
	s_waitcnt lgkmcnt(0)
	v_mul_f32_e32 v5, v6, v5
	ds_write_b32 v4, v5
	v_add_u32_e32 v4, 0x200, v4
	s_andn2_b64 exec, exec, s[16:17]
	s_cbranch_execnz .LBB179_43
.LBB179_44:
	s_or_b64 exec, exec, s[10:11]
	v_cmp_ne_u16_e64 s[10:11], s34, 0
	s_cmp_lg_u64 s[10:11], 0
	s_addc_u32 s25, s13, 0
	v_cmp_eq_u32_e32 vcc, 0, v14
	s_waitcnt lgkmcnt(0)
	s_barrier
	s_and_saveexec_b64 s[10:11], vcc
	s_cbranch_execz .LBB179_46
; %bb.45:
	s_mul_i32 s13, s25, s22
	s_mul_i32 s16, s13, s23
	;; [unrolled: 1-line block ×3, first 2 shown]
	s_ashr_i32 s17, s16, 31
	s_ashr_i32 s13, s12, 31
	;; [unrolled: 1-line block ×3, first 2 shown]
	s_lshl_b64 s[16:17], s[16:17], 2
	s_lshl_b64 s[12:13], s[12:13], 2
	;; [unrolled: 1-line block ×3, first 2 shown]
	s_add_u32 s12, s18, s12
	s_addc_u32 s13, s19, s13
	s_add_u32 s12, s12, s16
	s_addc_u32 s13, s13, s17
	v_mov_b32_e32 v1, s13
	v_add_co_u32_e32 v4, vcc, s12, v37
	v_addc_co_u32_e32 v5, vcc, v1, v36, vcc
	flat_store_dword v[4:5], v0
	v_add_co_u32_e32 v0, vcc, s12, v30
	v_addc_co_u32_e32 v1, vcc, v1, v20, vcc
	flat_store_dword v[0:1], v2
.LBB179_46:
	s_or_b64 exec, exec, s[10:11]
	s_ashr_i32 s27, s26, 31
	s_lshl_b64 s[10:11], s[26:27], 2
	s_getpc_b64 s[12:13]
	s_add_u32 s12, s12, llvm.amdgcn.dynlds.offset.table@rel32@lo+4
	s_addc_u32 s13, s13, llvm.amdgcn.dynlds.offset.table@rel32@hi+12
	s_add_u32 s10, s10, s12
	s_addc_u32 s11, s11, s13
	v_mov_b32_e32 v4, 0
	v_and_b32_e32 v27, 3, v14
	v_mov_b32_e32 v5, 0
	v_mov_b32_e32 v8, 0
	;; [unrolled: 1-line block ×15, first 2 shown]
	s_and_saveexec_b64 s[12:13], s[8:9]
	s_cbranch_execz .LBB179_628
; %bb.47:
	v_and_b32_e32 v0, 24, v32
	buffer_store_dword v28, off, s[0:3], s32 offset:476 ; 4-byte Folded Spill
	buffer_store_dword v25, off, s[0:3], s32 offset:472 ; 4-byte Folded Spill
	;; [unrolled: 1-line block ×4, first 2 shown]
	v_lshlrev_b64 v[0:1], 1, v[48:49]
	v_add_co_u32_e32 v0, vcc, v35, v0
	v_max_i32_e32 v3, v26, v23
	buffer_store_dword v0, off, s[0:3], s32 offset:452 ; 4-byte Folded Spill
	v_addc_co_u32_e32 v0, vcc, v22, v1, vcc
	v_cvt_f32_u32_e32 v1, v3
	buffer_store_dword v3, off, s[0:3], s32 offset:280 ; 4-byte Folded Spill
	v_sub_u32_e32 v3, 0, v3
	buffer_store_dword v0, off, s[0:3], s32 offset:456 ; 4-byte Folded Spill
	v_rcp_iflag_f32_e32 v1, v1
	v_add_u32_e32 v0, -1, v24
	s_load_dword s8, s[10:11], 0x0
	buffer_store_dword v0, off, s[0:3], s32 offset:396 ; 4-byte Folded Spill
	v_mul_f32_e32 v1, 0x4f7ffffe, v1
	v_cvt_u32_f32_e32 v1, v1
	v_and_b32_e32 v0, 0x1f8, v32
	v_or_b32_e32 v2, 0x800, v0
	v_or_b32_e32 v4, 0xa00, v0
	v_mul_lo_u32 v3, v3, v1
	v_mul_hi_u32 v3, v1, v3
	v_add_u32_e32 v14, v1, v3
	buffer_store_dword v14, off, s[0:3], s32 offset:284 ; 4-byte Folded Spill
	s_nop 0
	buffer_store_dword v15, off, s[0:3], s32 offset:288 ; 4-byte Folded Spill
	v_or_b32_e32 v6, 0xc00, v0
	v_or_b32_e32 v8, 0xe00, v0
	;; [unrolled: 1-line block ×9, first 2 shown]
	v_lshlrev_b32_e32 v0, 1, v0
	buffer_store_dword v0, off, s[0:3], s32 offset:400 ; 4-byte Folded Spill
	v_lshlrev_b32_e32 v0, 1, v2
	buffer_store_dword v0, off, s[0:3], s32 offset:404 ; 4-byte Folded Spill
	;; [unrolled: 2-line block ×5, first 2 shown]
	v_lshlrev_b32_e32 v0, 1, v10
	v_accvgpr_read_b32 v29, a11
	buffer_store_dword v0, off, s[0:3], s32 offset:420 ; 4-byte Folded Spill
	v_lshlrev_b32_e32 v0, 1, v12
	v_accvgpr_read_b32 v28, a10
	buffer_store_dword v0, off, s[0:3], s32 offset:424 ; 4-byte Folded Spill
	v_lshlrev_b32_e32 v0, 1, v16
	v_lshlrev_b64 v[28:29], 2, v[28:29]
	buffer_store_dword v0, off, s[0:3], s32 offset:428 ; 4-byte Folded Spill
	v_lshlrev_b32_e32 v0, 1, v18
	v_add_co_u32_e32 v1, vcc, v38, v28
	buffer_store_dword v0, off, s[0:3], s32 offset:432 ; 4-byte Folded Spill
	v_lshlrev_b32_e32 v0, 1, v20
	v_addc_co_u32_e32 v3, vcc, v39, v29, vcc
	buffer_store_dword v0, off, s[0:3], s32 offset:436 ; 4-byte Folded Spill
	v_lshlrev_b32_e32 v0, 1, v22
	v_or_b32_e32 v26, 0x1e00, v32
	v_add_co_u32_e32 v14, vcc, v34, v1
	v_lshlrev_b32_e32 v1, 5, v27
	buffer_store_dword v0, off, s[0:3], s32 offset:440 ; 4-byte Folded Spill
	v_lshlrev_b32_e32 v0, 1, v24
	v_lshl_or_b32 v1, v33, 7, v1
	buffer_store_dword v0, off, s[0:3], s32 offset:444 ; 4-byte Folded Spill
	v_lshlrev_b32_e32 v0, 1, v26
	s_waitcnt lgkmcnt(0)
	v_add_u32_e32 v25, s8, v1
	buffer_store_dword v0, off, s[0:3], s32 offset:448 ; 4-byte Folded Spill
	v_mov_b32_e32 v1, 0
	v_mov_b32_e32 v0, 0
	buffer_store_dword v27, off, s[0:3], s32 offset:484 ; 4-byte Folded Spill
	buffer_store_dword v0, off, s[0:3], s32 offset:272 ; 4-byte Folded Spill
	s_nop 0
	buffer_store_dword v1, off, s[0:3], s32 offset:276 ; 4-byte Folded Spill
	v_mov_b32_e32 v1, 0
	v_mov_b32_e32 v0, 0
	buffer_store_dword v0, off, s[0:3], s32 offset:216 ; 4-byte Folded Spill
	s_nop 0
	buffer_store_dword v1, off, s[0:3], s32 offset:220 ; 4-byte Folded Spill
	v_mov_b32_e32 v1, 0
	v_mov_b32_e32 v0, 0
	;; [unrolled: 5-line block ×6, first 2 shown]
	buffer_store_dword v0, off, s[0:3], s32 offset:232 ; 4-byte Folded Spill
	s_nop 0
	buffer_store_dword v1, off, s[0:3], s32 offset:236 ; 4-byte Folded Spill
	v_mov_b32_e32 v49, 0
	s_mov_b64 s[16:17], 0
	s_mov_b32 s15, 0x7f800000
	s_movk_i32 s28, 0x7fff
	v_mov_b32_e32 v1, 0
	v_mov_b32_e32 v0, 0
	buffer_store_dword v0, off, s[0:3], s32 offset:248 ; 4-byte Folded Spill
	s_nop 0
	buffer_store_dword v1, off, s[0:3], s32 offset:252 ; 4-byte Folded Spill
	v_addc_co_u32_e32 v15, vcc, v15, v3, vcc
	v_accvgpr_read_b32 v3, a12
	s_branch .LBB179_50
.LBB179_48:                             ;   in Loop: Header=BB179_50 Depth=1
	s_or_b64 exec, exec, s[8:9]
	buffer_load_dword v38, off, s[0:3], s32 offset:272 ; 4-byte Folded Reload
	buffer_load_dword v39, off, s[0:3], s32 offset:276 ; 4-byte Folded Reload
	v_and_b32_e32 v9, 0xffff0000, v40
	v_and_b32_e32 v10, 0xffff0000, v10
	v_add_f32_e32 v9, v10, v9
	v_and_b32_e32 v10, 0xffff0000, v42
	v_and_b32_e32 v11, 0xffff0000, v41
	v_add_f32_e32 v10, v11, v10
	v_add_f32_e32 v9, v9, v10
	v_and_b32_e32 v10, 0xffff0000, v44
	v_and_b32_e32 v11, 0xffff0000, v43
	v_add_f32_e32 v10, v11, v10
	;; [unrolled: 4-line block ×3, first 2 shown]
	v_add_f32_e32 v9, v9, v10
	v_and_b32_e32 v10, 0xffff0000, v50
	v_and_b32_e32 v11, 0xffff0000, v48
	;; [unrolled: 1-line block ×10, first 2 shown]
	v_pk_add_f32 v[0:1], v[0:1], v[4:5]
	v_add_f32_e32 v0, v0, v1
	s_waitcnt vmcnt(1)
	v_add_f32_e32 v38, v38, v9
	v_and_b32_e32 v9, 0xffff0000, v20
	v_add_f32_e32 v9, v10, v9
	v_and_b32_e32 v10, 0xffff0000, v51
	buffer_load_dword v50, off, s[0:3], s32 offset:216 ; 4-byte Folded Reload
	buffer_load_dword v51, off, s[0:3], s32 offset:220 ; 4-byte Folded Reload
	v_add_f32_e32 v10, v11, v10
	v_add_f32_e32 v9, v9, v10
	v_and_b32_e32 v10, 0xffff0000, v47
	v_and_b32_e32 v11, 0xffff0000, v53
	v_add_f32_e32 v10, v11, v10
	v_add_f32_e32 v9, v9, v10
	v_and_b32_e32 v10, 0xffff0000, v54
	v_and_b32_e32 v11, 0xffff0000, v55
	;; [unrolled: 4-line block ×3, first 2 shown]
	s_waitcnt vmcnt(0)
	v_add_f32_e32 v51, v51, v9
	v_and_b32_e32 v9, 0xffff0000, v31
	v_add_f32_e32 v9, v10, v9
	v_and_b32_e32 v10, 0xffff0000, v33
	v_add_f32_e32 v10, v11, v10
	v_add_f32_e32 v9, v9, v10
	v_and_b32_e32 v10, 0xffff0000, v35
	v_and_b32_e32 v11, 0xffff0000, v34
	v_add_f32_e32 v10, v11, v10
	v_add_f32_e32 v9, v9, v10
	v_and_b32_e32 v10, 0xffff0000, v36
	v_and_b32_e32 v11, 0xffff0000, v37
	v_add_f32_e32 v10, v10, v11
	v_add_f32_e32 v9, v9, v10
	;; [unrolled: 1-line block ×3, first 2 shown]
	buffer_store_dword v50, off, s[0:3], s32 offset:216 ; 4-byte Folded Spill
	s_nop 0
	buffer_store_dword v51, off, s[0:3], s32 offset:220 ; 4-byte Folded Spill
	v_and_b32_e32 v9, 0xffff0000, v16
	v_and_b32_e32 v11, 0xffff0000, v17
	buffer_load_dword v16, off, s[0:3], s32 offset:224 ; 4-byte Folded Reload
	buffer_load_dword v17, off, s[0:3], s32 offset:228 ; 4-byte Folded Reload
	v_and_b32_e32 v10, 0xffff0000, v13
	v_add_f32_e32 v9, v10, v9
	v_and_b32_e32 v10, 0xffff0000, v18
	v_add_f32_e32 v10, v11, v10
	v_add_f32_e32 v9, v9, v10
	v_and_b32_e32 v10, 0xffff0000, v19
	v_add_f32_e32 v7, v10, v7
	v_add_f32_e32 v7, v9, v7
	v_and_b32_e32 v9, 0xffff0000, v28
	v_and_b32_e32 v10, 0xffff0000, v29
	v_add_f32_e32 v9, v9, v10
	v_add_f32_e32 v7, v7, v9
	v_and_b32_e32 v9, 0xffff0000, v59
	v_and_b32_e32 v10, 0xffff0000, v61
	s_waitcnt vmcnt(0)
	v_add_f32_e32 v17, v17, v7
	v_and_b32_e32 v7, 0xffff0000, v60
	v_add_f32_e32 v7, v9, v7
	v_and_b32_e32 v9, 0xffff0000, v27
	v_add_f32_e32 v9, v10, v9
	v_add_f32_e32 v7, v7, v9
	v_and_b32_e32 v9, 0xffff0000, v22
	v_and_b32_e32 v10, 0xffff0000, v26
	v_add_f32_e32 v9, v10, v9
	v_add_f32_e32 v7, v7, v9
	v_and_b32_e32 v9, 0xffff0000, v12
	v_add_f32_e32 v6, v6, v9
	v_add_f32_e32 v6, v7, v6
	;; [unrolled: 1-line block ×3, first 2 shown]
	buffer_store_dword v16, off, s[0:3], s32 offset:224 ; 4-byte Folded Spill
	s_nop 0
	buffer_store_dword v17, off, s[0:3], s32 offset:228 ; 4-byte Folded Spill
	buffer_load_dword v10, off, s[0:3], s32 offset:240 ; 4-byte Folded Reload
	buffer_load_dword v11, off, s[0:3], s32 offset:244 ; 4-byte Folded Reload
	v_accvgpr_read_b32 v6, a43
	v_accvgpr_read_b32 v7, a42
	v_and_b32_e32 v6, 0xffff0000, v6
	v_and_b32_e32 v7, 0xffff0000, v7
	v_add_f32_e32 v6, v7, v6
	v_accvgpr_read_b32 v7, a45
	v_accvgpr_read_b32 v9, a44
	v_and_b32_e32 v7, 0xffff0000, v7
	v_and_b32_e32 v9, 0xffff0000, v9
	v_add_f32_e32 v7, v9, v7
	v_add_f32_e32 v6, v6, v7
	v_accvgpr_read_b32 v7, a47
	v_accvgpr_read_b32 v9, a46
	v_and_b32_e32 v7, 0xffff0000, v7
	v_and_b32_e32 v9, 0xffff0000, v9
	v_add_f32_e32 v7, v9, v7
	v_add_f32_e32 v6, v6, v7
	v_accvgpr_read_b32 v7, a48
	v_and_b32_e32 v7, 0xffff0000, v7
	v_and_b32_e32 v9, 0xffff0000, v58
	v_add_f32_e32 v7, v7, v9
	v_add_f32_e32 v6, v6, v7
	v_accvgpr_read_b32 v7, a61
	v_and_b32_e32 v7, 0xffff0000, v7
	v_accvgpr_read_b32 v9, a63
	v_and_b32_e32 v9, 0xffff0000, v9
	;; [unrolled: 2-line block ×3, first 2 shown]
	s_waitcnt vmcnt(0)
	v_add_f32_e32 v11, v11, v6
	v_accvgpr_read_b32 v6, a62
	v_and_b32_e32 v6, 0xffff0000, v6
	v_add_f32_e32 v6, v7, v6
	v_accvgpr_read_b32 v7, a15
	v_and_b32_e32 v7, 0xffff0000, v7
	v_add_f32_e32 v7, v9, v7
	v_add_f32_e32 v6, v6, v7
	v_accvgpr_read_b32 v7, a39
	v_accvgpr_read_b32 v9, a32
	v_and_b32_e32 v7, 0xffff0000, v7
	v_and_b32_e32 v9, 0xffff0000, v9
	v_add_f32_e32 v7, v9, v7
	v_add_f32_e32 v6, v6, v7
	v_accvgpr_read_b32 v7, a40
	v_accvgpr_read_b32 v9, a41
	v_and_b32_e32 v7, 0xffff0000, v7
	v_and_b32_e32 v9, 0xffff0000, v9
	v_add_f32_e32 v7, v7, v9
	v_add_f32_e32 v6, v6, v7
	;; [unrolled: 1-line block ×3, first 2 shown]
	buffer_store_dword v10, off, s[0:3], s32 offset:240 ; 4-byte Folded Spill
	s_nop 0
	buffer_store_dword v11, off, s[0:3], s32 offset:244 ; 4-byte Folded Spill
	buffer_load_dword v10, off, s[0:3], s32 offset:256 ; 4-byte Folded Reload
	s_nop 0
	buffer_load_dword v11, off, s[0:3], s32 offset:260 ; 4-byte Folded Reload
	v_accvgpr_read_b32 v6, a54
	v_accvgpr_read_b32 v7, a19
	v_and_b32_e32 v6, 0xffff0000, v6
	v_and_b32_e32 v7, 0xffff0000, v7
	v_add_f32_e32 v6, v7, v6
	v_accvgpr_read_b32 v7, a56
	v_accvgpr_read_b32 v9, a55
	v_and_b32_e32 v7, 0xffff0000, v7
	v_and_b32_e32 v9, 0xffff0000, v9
	v_add_f32_e32 v7, v9, v7
	v_add_f32_e32 v6, v6, v7
	v_accvgpr_read_b32 v7, a58
	v_accvgpr_read_b32 v9, a57
	v_and_b32_e32 v7, 0xffff0000, v7
	v_and_b32_e32 v9, 0xffff0000, v9
	v_add_f32_e32 v7, v9, v7
	;; [unrolled: 6-line block ×3, first 2 shown]
	v_add_f32_e32 v6, v6, v7
	v_accvgpr_read_b32 v7, a26
	v_and_b32_e32 v7, 0xffff0000, v7
	v_accvgpr_read_b32 v9, a28
	v_and_b32_e32 v9, 0xffff0000, v9
	s_waitcnt vmcnt(0)
	v_add_f32_e32 v11, v11, v6
	v_accvgpr_read_b32 v6, a27
	v_and_b32_e32 v6, 0xffff0000, v6
	v_add_f32_e32 v6, v7, v6
	v_accvgpr_read_b32 v7, a29
	v_and_b32_e32 v7, 0xffff0000, v7
	v_add_f32_e32 v7, v9, v7
	v_add_f32_e32 v6, v6, v7
	v_accvgpr_read_b32 v7, a52
	v_accvgpr_read_b32 v9, a12
	v_and_b32_e32 v7, 0xffff0000, v7
	v_and_b32_e32 v9, 0xffff0000, v9
	v_add_f32_e32 v7, v9, v7
	v_add_f32_e32 v6, v6, v7
	v_accvgpr_read_b32 v7, a53
	v_accvgpr_read_b32 v9, a18
	v_and_b32_e32 v7, 0xffff0000, v7
	v_and_b32_e32 v9, 0xffff0000, v9
	v_add_f32_e32 v7, v7, v9
	v_add_f32_e32 v6, v6, v7
	;; [unrolled: 1-line block ×3, first 2 shown]
	buffer_store_dword v10, off, s[0:3], s32 offset:256 ; 4-byte Folded Spill
	s_nop 0
	buffer_store_dword v11, off, s[0:3], s32 offset:260 ; 4-byte Folded Spill
	buffer_load_dword v12, off, s[0:3], s32 offset:264 ; 4-byte Folded Reload
	buffer_load_dword v13, off, s[0:3], s32 offset:268 ; 4-byte Folded Reload
	v_accvgpr_read_b32 v6, a23
	v_accvgpr_read_b32 v7, a22
	v_and_b32_e32 v6, 0xffff0000, v6
	v_and_b32_e32 v7, 0xffff0000, v7
	v_add_f32_e32 v6, v7, v6
	v_accvgpr_read_b32 v7, a35
	v_accvgpr_read_b32 v9, a34
	v_and_b32_e32 v7, 0xffff0000, v7
	v_and_b32_e32 v9, 0xffff0000, v9
	v_add_f32_e32 v7, v9, v7
	v_add_f32_e32 v6, v6, v7
	v_accvgpr_read_b32 v7, a25
	v_accvgpr_read_b32 v9, a24
	v_and_b32_e32 v7, 0xffff0000, v7
	v_and_b32_e32 v9, 0xffff0000, v9
	v_add_f32_e32 v7, v9, v7
	;; [unrolled: 6-line block ×3, first 2 shown]
	v_add_f32_e32 v6, v6, v7
	v_accvgpr_read_b32 v7, a9
	v_and_b32_e32 v7, 0xffff0000, v7
	v_accvgpr_read_b32 v9, a7
	v_and_b32_e32 v9, 0xffff0000, v9
	;; [unrolled: 2-line block ×4, first 2 shown]
	s_waitcnt vmcnt(0)
	v_add_f32_e32 v13, v13, v6
	v_accvgpr_read_b32 v6, a3
	v_and_b32_e32 v6, 0xffff0000, v6
	v_add_f32_e32 v6, v7, v6
	v_accvgpr_read_b32 v7, a8
	v_and_b32_e32 v7, 0xffff0000, v7
	v_add_f32_e32 v7, v9, v7
	v_add_f32_e32 v6, v6, v7
	v_accvgpr_read_b32 v7, a38
	v_accvgpr_read_b32 v9, a4
	v_and_b32_e32 v7, 0xffff0000, v7
	v_and_b32_e32 v9, 0xffff0000, v9
	v_add_f32_e32 v7, v9, v7
	v_accvgpr_read_b32 v9, a20
	v_and_b32_e32 v9, 0xffff0000, v9
	v_add_f32_e32 v6, v6, v7
	v_add_f32_e32 v7, v9, v10
	;; [unrolled: 1-line block ×4, first 2 shown]
	buffer_store_dword v12, off, s[0:3], s32 offset:264 ; 4-byte Folded Spill
	s_nop 0
	buffer_store_dword v13, off, s[0:3], s32 offset:268 ; 4-byte Folded Spill
	buffer_load_dword v12, off, s[0:3], s32 offset:388 ; 4-byte Folded Reload
	s_nop 0
	buffer_load_dword v18, off, s[0:3], s32 offset:232 ; 4-byte Folded Reload
	buffer_load_dword v19, off, s[0:3], s32 offset:236 ; 4-byte Folded Reload
	v_accvgpr_read_b32 v9, a51
	v_accvgpr_read_b32 v10, a50
	;; [unrolled: 1-line block ×4, first 2 shown]
	v_and_b32_e32 v9, 0xffff0000, v9
	v_and_b32_e32 v10, 0xffff0000, v10
	;; [unrolled: 1-line block ×4, first 2 shown]
	v_accvgpr_read_b32 v13, a31
	v_add_f32_e32 v9, v10, v9
	v_and_b32_e32 v13, 0xffff0000, v13
	v_add_f32_e32 v6, v7, v6
	v_add_f32_e32 v7, v13, v16
	buffer_load_dword v10, off, s[0:3], s32 offset:364 ; 4-byte Folded Reload
	buffer_load_dword v13, off, s[0:3], s32 offset:380 ; 4-byte Folded Reload
	;; [unrolled: 1-line block ×3, first 2 shown]
	s_waitcnt vmcnt(5)
	v_and_b32_e32 v12, 0xffff0000, v12
	v_add_f32_e32 v11, v12, v11
	v_add_f32_e32 v9, v11, v9
	;; [unrolled: 1-line block ×4, first 2 shown]
	s_waitcnt vmcnt(3)
	v_add_f32_e32 v19, v19, v6
	buffer_load_dword v6, off, s[0:3], s32 offset:376 ; 4-byte Folded Reload
	buffer_load_dword v7, off, s[0:3], s32 offset:372 ; 4-byte Folded Reload
	;; [unrolled: 1-line block ×5, first 2 shown]
	s_waitcnt vmcnt(7)
	v_and_b32_e32 v10, 0xffff0000, v10
	s_waitcnt vmcnt(6)
	v_and_b32_e32 v13, 0xffff0000, v13
	;; [unrolled: 2-line block ×8, first 2 shown]
	v_add_f32_e32 v11, v12, v11
	v_add_f32_e32 v9, v10, v9
	;; [unrolled: 1-line block ×8, first 2 shown]
	buffer_store_dword v18, off, s[0:3], s32 offset:232 ; 4-byte Folded Spill
	s_nop 0
	buffer_store_dword v19, off, s[0:3], s32 offset:236 ; 4-byte Folded Spill
	buffer_load_dword v6, off, s[0:3], s32 offset:344 ; 4-byte Folded Reload
	buffer_load_dword v13, off, s[0:3], s32 offset:348 ; 4-byte Folded Reload
	buffer_load_dword v16, off, s[0:3], s32 offset:352 ; 4-byte Folded Reload
	buffer_load_dword v7, off, s[0:3], s32 offset:340 ; 4-byte Folded Reload
	buffer_load_dword v9, off, s[0:3], s32 offset:336 ; 4-byte Folded Reload
	buffer_load_dword v10, off, s[0:3], s32 offset:332 ; 4-byte Folded Reload
	buffer_load_dword v11, off, s[0:3], s32 offset:328 ; 4-byte Folded Reload
	buffer_load_dword v12, off, s[0:3], s32 offset:324 ; 4-byte Folded Reload
	s_nop 0
	buffer_load_dword v18, off, s[0:3], s32 offset:248 ; 4-byte Folded Reload
	buffer_load_dword v19, off, s[0:3], s32 offset:252 ; 4-byte Folded Reload
	s_waitcnt vmcnt(9)
	v_and_b32_e32 v6, 0xffff0000, v6
	s_waitcnt vmcnt(8)
	v_and_b32_e32 v13, 0xffff0000, v13
	;; [unrolled: 2-line block ×8, first 2 shown]
	v_add_f32_e32 v11, v12, v11
	v_add_f32_e32 v9, v10, v9
	;; [unrolled: 1-line block ×7, first 2 shown]
	s_waitcnt vmcnt(0)
	v_add_f32_e32 v19, v19, v6
	buffer_load_dword v6, off, s[0:3], s32 offset:312 ; 4-byte Folded Reload
	buffer_load_dword v13, off, s[0:3], s32 offset:316 ; 4-byte Folded Reload
	buffer_load_dword v16, off, s[0:3], s32 offset:320 ; 4-byte Folded Reload
	buffer_load_dword v7, off, s[0:3], s32 offset:308 ; 4-byte Folded Reload
	buffer_load_dword v9, off, s[0:3], s32 offset:304 ; 4-byte Folded Reload
	buffer_load_dword v10, off, s[0:3], s32 offset:300 ; 4-byte Folded Reload
	buffer_load_dword v11, off, s[0:3], s32 offset:296 ; 4-byte Folded Reload
	buffer_load_dword v12, off, s[0:3], s32 offset:292 ; 4-byte Folded Reload
	s_waitcnt vmcnt(7)
	v_and_b32_e32 v6, 0xffff0000, v6
	s_waitcnt vmcnt(6)
	v_and_b32_e32 v13, 0xffff0000, v13
	;; [unrolled: 2-line block ×8, first 2 shown]
	v_add_f32_e32 v11, v12, v11
	v_add_f32_e32 v9, v10, v9
	;; [unrolled: 1-line block ×8, first 2 shown]
	v_and_b32_e32 v7, 0xffff0000, v8
	v_and_b32_e32 v6, 0xffff0000, v21
	v_pk_add_f32 v[2:3], v[2:3], v[6:7]
	v_add_f32_e32 v0, v0, v2
	v_add_f32_e32 v0, v0, v3
	;; [unrolled: 1-line block ×3, first 2 shown]
	buffer_store_dword v18, off, s[0:3], s32 offset:248 ; 4-byte Folded Spill
	s_nop 0
	buffer_store_dword v19, off, s[0:3], s32 offset:252 ; 4-byte Folded Spill
	buffer_store_dword v38, off, s[0:3], s32 offset:272 ; 4-byte Folded Spill
	s_nop 0
	buffer_store_dword v39, off, s[0:3], s32 offset:276 ; 4-byte Folded Spill
.LBB179_49:                             ;   in Loop: Header=BB179_50 Depth=1
	s_or_b64 exec, exec, s[18:19]
	buffer_load_dword v0, off, s[0:3], s32 offset:196 ; 4-byte Folded Reload
	v_accvgpr_read_b32 v2, a10
	v_add_co_u32_e32 v14, vcc, 8, v14
	v_add_u32_e32 v2, 2, v2
	v_addc_co_u32_e32 v15, vcc, 0, v15, vcc
	v_accvgpr_read_b32 v3, a11
	v_add_u32_e32 v3, 64, v3
	v_accvgpr_write_b32 a10, v2
	v_add_u32_e32 v25, 0x100, v25
	s_waitcnt vmcnt(0)
	v_cmp_ge_i32_e32 vcc, v2, v0
	s_or_b64 s[16:17], vcc, s[16:17]
	s_andn2_b64 exec, exec, s[16:17]
	s_cbranch_execz .LBB179_627
.LBB179_50:                             ; =>This Inner Loop Header: Depth=1
	buffer_load_dword v1, off, s[0:3], s32 offset:192 ; 4-byte Folded Reload
	buffer_load_dword v2, off, s[0:3], s32 offset:200 ; 4-byte Folded Reload
	;; [unrolled: 1-line block ×3, first 2 shown]
	v_ashrrev_i32_e32 v0, 31, v3
	v_accvgpr_write_b32 a11, v3
	s_waitcnt vmcnt(0)
	v_xor_b32_e32 v0, v0, v1
	v_sub_u32_e32 v1, 0, v3
	v_max_i32_e32 v1, v3, v1
	v_mul_hi_u32 v2, v1, v2
	v_mul_lo_u32 v3, v2, v4
	v_sub_u32_e32 v1, v1, v3
	v_add_u32_e32 v3, 1, v2
	v_cmp_ge_u32_e32 vcc, v1, v4
	v_cndmask_b32_e32 v2, v2, v3, vcc
	v_sub_u32_e32 v3, v1, v4
	v_cndmask_b32_e32 v1, v1, v3, vcc
	v_cmp_ge_u32_e32 vcc, v1, v4
	buffer_load_dword v4, off, s[0:3], s32 offset:284 ; 4-byte Folded Reload
	buffer_load_dword v5, off, s[0:3], s32 offset:288 ; 4-byte Folded Reload
	v_add_u32_e32 v3, 1, v2
	v_cndmask_b32_e32 v1, v2, v3, vcc
	v_xor_b32_e32 v1, v1, v0
	v_sub_u32_e32 v0, v1, v0
	v_accvgpr_read_b32 v2, a6
	v_add_u32_e32 v1, v0, v2
	v_sub_u32_e32 v3, 0, v1
	v_ashrrev_i32_e32 v2, 31, v1
	v_max_i32_e32 v1, v1, v3
	s_waitcnt vmcnt(1)
	v_mul_hi_u32 v3, v1, v4
	buffer_load_dword v4, off, s[0:3], s32 offset:280 ; 4-byte Folded Reload
	s_waitcnt vmcnt(0)
	v_mul_lo_u32 v3, v3, v4
	v_sub_u32_e32 v1, v1, v3
	v_sub_u32_e32 v3, v1, v4
	v_cmp_ge_u32_e32 vcc, v1, v4
	v_cndmask_b32_e32 v1, v1, v3, vcc
	v_sub_u32_e32 v3, v1, v4
	v_cmp_ge_u32_e32 vcc, v1, v4
	v_cndmask_b32_e32 v1, v1, v3, vcc
	v_xor_b32_e32 v1, v1, v2
	v_sub_u32_e32 v1, v1, v2
	v_cmp_eq_u32_e32 vcc, 0, v1
	buffer_load_dword v1, off, s[0:3], s32 offset:204 ; 4-byte Folded Reload
	s_waitcnt vmcnt(0)
	v_cmp_gt_i32_e64 s[8:9], v0, v1
	s_or_b64 s[8:9], vcc, s[8:9]
	s_and_saveexec_b64 s[18:19], s[8:9]
	s_cbranch_execz .LBB179_49
; %bb.51:                               ;   in Loop: Header=BB179_50 Depth=1
	flat_load_dword v11, v[14:15]
	ds_read2_b64 v[6:9], v25 offset1:1
	ds_read2_b64 v[0:3], v25 offset0:2 offset1:3
	s_waitcnt lgkmcnt(0)
	v_and_b32_e32 v4, 0x7f800000, v6
	v_cmp_ne_u32_e32 vcc, s15, v4
                                        ; implicit-def: $vgpr4
	s_and_saveexec_b64 s[8:9], vcc
	s_xor_b64 s[8:9], exec, s[8:9]
; %bb.52:                               ;   in Loop: Header=BB179_50 Depth=1
	v_bfe_u32 v4, v6, 16, 1
	v_add3_u32 v4, v6, v4, s28
; %bb.53:                               ;   in Loop: Header=BB179_50 Depth=1
	s_andn2_saveexec_b64 s[8:9], s[8:9]
; %bb.54:                               ;   in Loop: Header=BB179_50 Depth=1
	v_or_b32_e32 v4, 0x10000, v6
	v_cmp_eq_u32_sdwa vcc, v6, v49 src0_sel:WORD_0 src1_sel:DWORD
	v_cndmask_b32_e32 v4, v4, v6, vcc
; %bb.55:                               ;   in Loop: Header=BB179_50 Depth=1
	s_or_b64 exec, exec, s[8:9]
	v_and_b32_e32 v5, 0x7f800000, v7
	v_cmp_ne_u32_e32 vcc, s15, v5
                                        ; implicit-def: $vgpr16
	s_and_saveexec_b64 s[8:9], vcc
	s_xor_b64 s[8:9], exec, s[8:9]
; %bb.56:                               ;   in Loop: Header=BB179_50 Depth=1
	v_bfe_u32 v5, v7, 16, 1
	v_add3_u32 v16, v7, v5, s28
; %bb.57:                               ;   in Loop: Header=BB179_50 Depth=1
	s_andn2_saveexec_b64 s[8:9], s[8:9]
; %bb.58:                               ;   in Loop: Header=BB179_50 Depth=1
	v_or_b32_e32 v5, 0x10000, v7
	v_cmp_eq_u32_sdwa vcc, v7, v49 src0_sel:WORD_0 src1_sel:DWORD
	v_cndmask_b32_e32 v16, v5, v7, vcc
; %bb.59:                               ;   in Loop: Header=BB179_50 Depth=1
	s_or_b64 exec, exec, s[8:9]
	v_and_b32_e32 v5, 0x7f800000, v8
	v_cmp_ne_u32_e32 vcc, s15, v5
                                        ; implicit-def: $vgpr13
	s_and_saveexec_b64 s[8:9], vcc
	s_xor_b64 s[8:9], exec, s[8:9]
; %bb.60:                               ;   in Loop: Header=BB179_50 Depth=1
	v_bfe_u32 v5, v8, 16, 1
	v_add3_u32 v13, v8, v5, s28
; %bb.61:                               ;   in Loop: Header=BB179_50 Depth=1
	s_andn2_saveexec_b64 s[8:9], s[8:9]
; %bb.62:                               ;   in Loop: Header=BB179_50 Depth=1
	v_or_b32_e32 v5, 0x10000, v8
	v_cmp_eq_u32_sdwa vcc, v8, v49 src0_sel:WORD_0 src1_sel:DWORD
	v_cndmask_b32_e32 v13, v5, v8, vcc
; %bb.63:                               ;   in Loop: Header=BB179_50 Depth=1
	s_or_b64 exec, exec, s[8:9]
	v_and_b32_e32 v5, 0x7f800000, v9
	v_cmp_ne_u32_e32 vcc, s15, v5
                                        ; implicit-def: $vgpr5
	s_and_saveexec_b64 s[8:9], vcc
	s_xor_b64 s[8:9], exec, s[8:9]
; %bb.64:                               ;   in Loop: Header=BB179_50 Depth=1
	v_bfe_u32 v5, v9, 16, 1
	v_add3_u32 v5, v9, v5, s28
                                        ; implicit-def: $vgpr6_vgpr7_vgpr8_vgpr9
; %bb.65:                               ;   in Loop: Header=BB179_50 Depth=1
	s_andn2_saveexec_b64 s[8:9], s[8:9]
; %bb.66:                               ;   in Loop: Header=BB179_50 Depth=1
	v_or_b32_e32 v5, 0x10000, v9
	v_cmp_eq_u32_sdwa vcc, v9, v49 src0_sel:WORD_0 src1_sel:DWORD
	v_cndmask_b32_e32 v5, v5, v9, vcc
; %bb.67:                               ;   in Loop: Header=BB179_50 Depth=1
	s_or_b64 exec, exec, s[8:9]
	v_and_b32_e32 v6, 0x7f800000, v0
	v_cmp_ne_u32_e32 vcc, s15, v6
                                        ; implicit-def: $vgpr12
	s_and_saveexec_b64 s[8:9], vcc
	s_xor_b64 s[8:9], exec, s[8:9]
; %bb.68:                               ;   in Loop: Header=BB179_50 Depth=1
	v_bfe_u32 v6, v0, 16, 1
	v_add3_u32 v12, v0, v6, s28
; %bb.69:                               ;   in Loop: Header=BB179_50 Depth=1
	s_andn2_saveexec_b64 s[8:9], s[8:9]
; %bb.70:                               ;   in Loop: Header=BB179_50 Depth=1
	v_or_b32_e32 v6, 0x10000, v0
	v_cmp_eq_u32_sdwa vcc, v0, v49 src0_sel:WORD_0 src1_sel:DWORD
	v_cndmask_b32_e32 v12, v6, v0, vcc
; %bb.71:                               ;   in Loop: Header=BB179_50 Depth=1
	s_or_b64 exec, exec, s[8:9]
	v_and_b32_e32 v0, 0x7f800000, v1
	v_cmp_ne_u32_e32 vcc, s15, v0
                                        ; implicit-def: $vgpr10
	s_and_saveexec_b64 s[8:9], vcc
	s_xor_b64 s[8:9], exec, s[8:9]
; %bb.72:                               ;   in Loop: Header=BB179_50 Depth=1
	v_bfe_u32 v0, v1, 16, 1
	v_add3_u32 v10, v1, v0, s28
; %bb.73:                               ;   in Loop: Header=BB179_50 Depth=1
	s_andn2_saveexec_b64 s[8:9], s[8:9]
; %bb.74:                               ;   in Loop: Header=BB179_50 Depth=1
	v_or_b32_e32 v0, 0x10000, v1
	v_cmp_eq_u32_sdwa vcc, v1, v49 src0_sel:WORD_0 src1_sel:DWORD
	v_cndmask_b32_e32 v10, v0, v1, vcc
; %bb.75:                               ;   in Loop: Header=BB179_50 Depth=1
	s_or_b64 exec, exec, s[8:9]
	v_and_b32_e32 v0, 0x7f800000, v2
	v_cmp_ne_u32_e32 vcc, s15, v0
                                        ; implicit-def: $vgpr8
	s_and_saveexec_b64 s[8:9], vcc
	s_xor_b64 s[8:9], exec, s[8:9]
; %bb.76:                               ;   in Loop: Header=BB179_50 Depth=1
	v_bfe_u32 v0, v2, 16, 1
	v_add3_u32 v8, v2, v0, s28
; %bb.77:                               ;   in Loop: Header=BB179_50 Depth=1
	s_andn2_saveexec_b64 s[8:9], s[8:9]
; %bb.78:                               ;   in Loop: Header=BB179_50 Depth=1
	v_or_b32_e32 v0, 0x10000, v2
	v_cmp_eq_u32_sdwa vcc, v2, v49 src0_sel:WORD_0 src1_sel:DWORD
	v_cndmask_b32_e32 v8, v0, v2, vcc
; %bb.79:                               ;   in Loop: Header=BB179_50 Depth=1
	s_or_b64 exec, exec, s[8:9]
	v_and_b32_e32 v0, 0x7f800000, v3
	v_cmp_ne_u32_e32 vcc, s15, v0
                                        ; implicit-def: $vgpr9
	s_and_saveexec_b64 s[8:9], vcc
	s_xor_b64 s[8:9], exec, s[8:9]
; %bb.80:                               ;   in Loop: Header=BB179_50 Depth=1
	v_bfe_u32 v0, v3, 16, 1
	v_add3_u32 v9, v3, v0, s28
                                        ; implicit-def: $vgpr0_vgpr1_vgpr2_vgpr3
; %bb.81:                               ;   in Loop: Header=BB179_50 Depth=1
	s_andn2_saveexec_b64 s[8:9], s[8:9]
; %bb.82:                               ;   in Loop: Header=BB179_50 Depth=1
	v_or_b32_e32 v0, 0x10000, v3
	v_cmp_eq_u32_sdwa vcc, v3, v49 src0_sel:WORD_0 src1_sel:DWORD
	v_cndmask_b32_e32 v9, v0, v3, vcc
; %bb.83:                               ;   in Loop: Header=BB179_50 Depth=1
	s_or_b64 exec, exec, s[8:9]
	buffer_load_dword v0, off, s[0:3], s32 offset:208 ; 4-byte Folded Reload
	buffer_load_dword v1, off, s[0:3], s32 offset:212 ; 4-byte Folded Reload
	;; [unrolled: 1-line block ×3, first 2 shown]
	v_accvgpr_read_b32 v18, a10
	buffer_load_dword v17, off, s[0:3], s32 offset:392 ; 4-byte Folded Reload
	s_waitcnt vmcnt(0)
	v_mad_i64_i32 v[0:1], s[8:9], v11, v0, 0
	v_lshlrev_b64 v[0:1], 1, v[0:1]
	v_add_co_u32_e32 v45, vcc, v2, v0
	buffer_load_dword v0, off, s[0:3], s32 offset:456 ; 4-byte Folded Reload
	v_accvgpr_read_b32 v11, a11
	v_add_u32_e32 v52, v17, v11
	buffer_load_dword v11, off, s[0:3], s32 offset:396 ; 4-byte Folded Reload
	v_add_u32_e32 v20, 7, v52
	v_accvgpr_write_b32 a0, v20
	s_waitcnt vmcnt(1)
	v_addc_co_u32_e32 v46, vcc, v0, v1, vcc
	buffer_load_dword v0, off, s[0:3], s32 offset:400 ; 4-byte Folded Reload
	s_waitcnt vmcnt(0)
	v_add_co_u32_e32 v6, vcc, v45, v0
	v_addc_co_u32_e32 v7, vcc, 0, v46, vcc
	flat_load_dwordx4 v[0:3], v[6:7]
	v_cmp_eq_u32_e32 vcc, v11, v18
	v_add_u32_e32 v11, 1, v52
	v_accvgpr_write_b32 a17, v11
	v_add_u32_e32 v11, 2, v52
	v_accvgpr_write_b32 a1, v11
	;; [unrolled: 2-line block ×6, first 2 shown]
	s_waitcnt vmcnt(0) lgkmcnt(0)
	v_lshrrev_b32_e32 v19, 16, v0
	v_lshrrev_b32_e32 v18, 16, v1
	;; [unrolled: 1-line block ×4, first 2 shown]
	s_and_saveexec_b64 s[26:27], vcc
	s_cbranch_execz .LBB179_85
; %bb.84:                               ;   in Loop: Header=BB179_50 Depth=1
	v_cmp_lt_i32_e64 s[8:9], v52, v62
	v_accvgpr_read_b32 v20, a17
	v_cndmask_b32_e64 v0, 0, v0, s[8:9]
	v_cmp_lt_i32_e64 s[8:9], v20, v62
	v_accvgpr_read_b32 v20, a1
	v_cndmask_b32_e64 v19, 0, v19, s[8:9]
	;; [unrolled: 3-line block ×7, first 2 shown]
	v_cmp_lt_i32_e64 s[8:9], v20, v62
	v_cndmask_b32_e64 v17, 0, v17, s[8:9]
.LBB179_85:                             ;   in Loop: Header=BB179_50 Depth=1
	s_or_b64 exec, exec, s[26:27]
	v_and_b32_e32 v4, 0xffff0000, v4
	v_lshlrev_b32_e32 v0, 16, v0
	v_mul_f32_e32 v0, v4, v0
	v_and_b32_e32 v20, 0x7f800000, v0
	v_cmp_ne_u32_e64 s[8:9], s15, v20
                                        ; implicit-def: $vgpr20
                                        ; kill: killed $vgpr20
	s_and_saveexec_b64 s[26:27], s[8:9]
	s_xor_b64 s[8:9], exec, s[26:27]
	s_cbranch_execz .LBB179_87
; %bb.86:                               ;   in Loop: Header=BB179_50 Depth=1
	v_bfe_u32 v20, v0, 16, 1
	v_add3_u32 v0, v0, v20, s28
	buffer_store_dword v0, off, s[0:3], s32 offset:292 ; 4-byte Folded Spill
                                        ; implicit-def: $vgpr0
.LBB179_87:                             ;   in Loop: Header=BB179_50 Depth=1
	s_andn2_saveexec_b64 s[26:27], s[8:9]
	s_cbranch_execz .LBB179_89
; %bb.88:                               ;   in Loop: Header=BB179_50 Depth=1
	v_or_b32_e32 v20, 0x10000, v0
	v_cmp_eq_u32_sdwa s[8:9], v0, v49 src0_sel:WORD_0 src1_sel:DWORD
	v_cndmask_b32_e64 v0, v20, v0, s[8:9]
	buffer_store_dword v0, off, s[0:3], s32 offset:292 ; 4-byte Folded Spill
.LBB179_89:                             ;   in Loop: Header=BB179_50 Depth=1
	s_or_b64 exec, exec, s[26:27]
	v_and_b32_e32 v23, 0xffff0000, v16
	v_lshlrev_b32_e32 v0, 16, v19
	v_mul_f32_e32 v0, v23, v0
	v_and_b32_e32 v16, 0x7f800000, v0
	v_cmp_ne_u32_e64 s[8:9], s15, v16
                                        ; implicit-def: $vgpr16
                                        ; kill: killed $vgpr16
	s_and_saveexec_b64 s[26:27], s[8:9]
	s_xor_b64 s[8:9], exec, s[26:27]
	s_cbranch_execz .LBB179_91
; %bb.90:                               ;   in Loop: Header=BB179_50 Depth=1
	v_bfe_u32 v16, v0, 16, 1
	v_add3_u32 v0, v0, v16, s28
	buffer_store_dword v0, off, s[0:3], s32 offset:296 ; 4-byte Folded Spill
                                        ; implicit-def: $vgpr0
.LBB179_91:                             ;   in Loop: Header=BB179_50 Depth=1
	s_andn2_saveexec_b64 s[26:27], s[8:9]
	s_cbranch_execz .LBB179_93
; %bb.92:                               ;   in Loop: Header=BB179_50 Depth=1
	v_or_b32_e32 v16, 0x10000, v0
	v_cmp_eq_u32_sdwa s[8:9], v0, v49 src0_sel:WORD_0 src1_sel:DWORD
	v_cndmask_b32_e64 v0, v16, v0, s[8:9]
	buffer_store_dword v0, off, s[0:3], s32 offset:296 ; 4-byte Folded Spill
.LBB179_93:                             ;   in Loop: Header=BB179_50 Depth=1
	s_or_b64 exec, exec, s[26:27]
	v_and_b32_e32 v39, 0xffff0000, v13
	v_lshlrev_b32_e32 v0, 16, v1
	v_mul_f32_e32 v0, v39, v0
	v_and_b32_e32 v1, 0x7f800000, v0
	v_cmp_ne_u32_e64 s[8:9], s15, v1
                                        ; implicit-def: $vgpr1
                                        ; kill: killed $vgpr1
	s_and_saveexec_b64 s[26:27], s[8:9]
	s_xor_b64 s[8:9], exec, s[26:27]
	s_cbranch_execz .LBB179_95
; %bb.94:                               ;   in Loop: Header=BB179_50 Depth=1
	v_bfe_u32 v1, v0, 16, 1
	v_add3_u32 v0, v0, v1, s28
	buffer_store_dword v0, off, s[0:3], s32 offset:300 ; 4-byte Folded Spill
                                        ; implicit-def: $vgpr0
.LBB179_95:                             ;   in Loop: Header=BB179_50 Depth=1
	s_andn2_saveexec_b64 s[26:27], s[8:9]
	s_cbranch_execz .LBB179_97
; %bb.96:                               ;   in Loop: Header=BB179_50 Depth=1
	v_or_b32_e32 v1, 0x10000, v0
	v_cmp_eq_u32_sdwa s[8:9], v0, v49 src0_sel:WORD_0 src1_sel:DWORD
	v_cndmask_b32_e64 v0, v1, v0, s[8:9]
	buffer_store_dword v0, off, s[0:3], s32 offset:300 ; 4-byte Folded Spill
.LBB179_97:                             ;   in Loop: Header=BB179_50 Depth=1
	s_or_b64 exec, exec, s[26:27]
	v_and_b32_e32 v5, 0xffff0000, v5
	v_lshlrev_b32_e32 v0, 16, v18
	v_mul_f32_e32 v0, v5, v0
	v_and_b32_e32 v1, 0x7f800000, v0
	v_cmp_ne_u32_e64 s[8:9], s15, v1
                                        ; implicit-def: $vgpr1
                                        ; kill: killed $vgpr1
	s_and_saveexec_b64 s[26:27], s[8:9]
	s_xor_b64 s[8:9], exec, s[26:27]
	s_cbranch_execz .LBB179_99
; %bb.98:                               ;   in Loop: Header=BB179_50 Depth=1
	v_bfe_u32 v1, v0, 16, 1
	v_add3_u32 v0, v0, v1, s28
	buffer_store_dword v0, off, s[0:3], s32 offset:304 ; 4-byte Folded Spill
                                        ; implicit-def: $vgpr0
.LBB179_99:                             ;   in Loop: Header=BB179_50 Depth=1
	s_andn2_saveexec_b64 s[26:27], s[8:9]
	s_cbranch_execz .LBB179_101
; %bb.100:                              ;   in Loop: Header=BB179_50 Depth=1
	v_or_b32_e32 v1, 0x10000, v0
	v_cmp_eq_u32_sdwa s[8:9], v0, v49 src0_sel:WORD_0 src1_sel:DWORD
	v_cndmask_b32_e64 v0, v1, v0, s[8:9]
	buffer_store_dword v0, off, s[0:3], s32 offset:304 ; 4-byte Folded Spill
.LBB179_101:                            ;   in Loop: Header=BB179_50 Depth=1
	s_or_b64 exec, exec, s[26:27]
	v_and_b32_e32 v38, 0xffff0000, v12
	v_lshlrev_b32_e32 v0, 16, v2
	v_mul_f32_e32 v0, v38, v0
	v_and_b32_e32 v1, 0x7f800000, v0
	v_cmp_ne_u32_e64 s[8:9], s15, v1
                                        ; implicit-def: $vgpr1
                                        ; kill: killed $vgpr1
	s_and_saveexec_b64 s[26:27], s[8:9]
	s_xor_b64 s[8:9], exec, s[26:27]
	s_cbranch_execz .LBB179_103
; %bb.102:                              ;   in Loop: Header=BB179_50 Depth=1
	v_bfe_u32 v1, v0, 16, 1
	v_add3_u32 v0, v0, v1, s28
	buffer_store_dword v0, off, s[0:3], s32 offset:308 ; 4-byte Folded Spill
                                        ; implicit-def: $vgpr0
.LBB179_103:                            ;   in Loop: Header=BB179_50 Depth=1
	s_andn2_saveexec_b64 s[26:27], s[8:9]
	s_cbranch_execz .LBB179_105
; %bb.104:                              ;   in Loop: Header=BB179_50 Depth=1
	v_or_b32_e32 v1, 0x10000, v0
	v_cmp_eq_u32_sdwa s[8:9], v0, v49 src0_sel:WORD_0 src1_sel:DWORD
	v_cndmask_b32_e64 v0, v1, v0, s[8:9]
	buffer_store_dword v0, off, s[0:3], s32 offset:308 ; 4-byte Folded Spill
.LBB179_105:                            ;   in Loop: Header=BB179_50 Depth=1
	s_or_b64 exec, exec, s[26:27]
	v_and_b32_e32 v21, 0xffff0000, v10
	v_lshlrev_b32_e32 v0, 16, v11
	v_mul_f32_e32 v0, v21, v0
	v_and_b32_e32 v1, 0x7f800000, v0
	v_cmp_ne_u32_e64 s[8:9], s15, v1
                                        ; implicit-def: $vgpr1
                                        ; kill: killed $vgpr1
	s_and_saveexec_b64 s[26:27], s[8:9]
	s_xor_b64 s[8:9], exec, s[26:27]
	s_cbranch_execz .LBB179_107
; %bb.106:                              ;   in Loop: Header=BB179_50 Depth=1
	v_bfe_u32 v1, v0, 16, 1
	v_add3_u32 v0, v0, v1, s28
	buffer_store_dword v0, off, s[0:3], s32 offset:312 ; 4-byte Folded Spill
                                        ; implicit-def: $vgpr0
.LBB179_107:                            ;   in Loop: Header=BB179_50 Depth=1
	s_andn2_saveexec_b64 s[26:27], s[8:9]
	s_cbranch_execz .LBB179_109
; %bb.108:                              ;   in Loop: Header=BB179_50 Depth=1
	v_or_b32_e32 v1, 0x10000, v0
	v_cmp_eq_u32_sdwa s[8:9], v0, v49 src0_sel:WORD_0 src1_sel:DWORD
	v_cndmask_b32_e64 v0, v1, v0, s[8:9]
	buffer_store_dword v0, off, s[0:3], s32 offset:312 ; 4-byte Folded Spill
.LBB179_109:                            ;   in Loop: Header=BB179_50 Depth=1
	s_or_b64 exec, exec, s[26:27]
	v_and_b32_e32 v8, 0xffff0000, v8
	v_lshlrev_b32_e32 v0, 16, v3
	v_mul_f32_e32 v0, v8, v0
	v_and_b32_e32 v1, 0x7f800000, v0
	v_cmp_ne_u32_e64 s[8:9], s15, v1
                                        ; implicit-def: $vgpr1
                                        ; kill: killed $vgpr1
	s_and_saveexec_b64 s[26:27], s[8:9]
	s_xor_b64 s[8:9], exec, s[26:27]
	s_cbranch_execz .LBB179_111
; %bb.110:                              ;   in Loop: Header=BB179_50 Depth=1
	v_bfe_u32 v1, v0, 16, 1
	v_add3_u32 v0, v0, v1, s28
	buffer_store_dword v0, off, s[0:3], s32 offset:316 ; 4-byte Folded Spill
                                        ; implicit-def: $vgpr0
.LBB179_111:                            ;   in Loop: Header=BB179_50 Depth=1
	s_andn2_saveexec_b64 s[26:27], s[8:9]
	s_cbranch_execz .LBB179_113
; %bb.112:                              ;   in Loop: Header=BB179_50 Depth=1
	v_or_b32_e32 v1, 0x10000, v0
	v_cmp_eq_u32_sdwa s[8:9], v0, v49 src0_sel:WORD_0 src1_sel:DWORD
	v_cndmask_b32_e64 v0, v1, v0, s[8:9]
	buffer_store_dword v0, off, s[0:3], s32 offset:316 ; 4-byte Folded Spill
.LBB179_113:                            ;   in Loop: Header=BB179_50 Depth=1
	s_or_b64 exec, exec, s[26:27]
	v_and_b32_e32 v9, 0xffff0000, v9
	v_lshlrev_b32_e32 v0, 16, v17
	v_mul_f32_e32 v0, v9, v0
	v_and_b32_e32 v1, 0x7f800000, v0
	v_cmp_ne_u32_e64 s[8:9], s15, v1
                                        ; implicit-def: $vgpr1
                                        ; kill: killed $vgpr1
	s_and_saveexec_b64 s[26:27], s[8:9]
	s_xor_b64 s[8:9], exec, s[26:27]
	s_cbranch_execz .LBB179_115
; %bb.114:                              ;   in Loop: Header=BB179_50 Depth=1
	v_bfe_u32 v1, v0, 16, 1
	v_add3_u32 v0, v0, v1, s28
	buffer_store_dword v0, off, s[0:3], s32 offset:320 ; 4-byte Folded Spill
                                        ; implicit-def: $vgpr0
.LBB179_115:                            ;   in Loop: Header=BB179_50 Depth=1
	s_andn2_saveexec_b64 s[26:27], s[8:9]
	s_cbranch_execz .LBB179_117
; %bb.116:                              ;   in Loop: Header=BB179_50 Depth=1
	v_or_b32_e32 v1, 0x10000, v0
	v_cmp_eq_u32_sdwa s[8:9], v0, v49 src0_sel:WORD_0 src1_sel:DWORD
	v_cndmask_b32_e64 v0, v1, v0, s[8:9]
	buffer_store_dword v0, off, s[0:3], s32 offset:320 ; 4-byte Folded Spill
.LBB179_117:                            ;   in Loop: Header=BB179_50 Depth=1
	s_or_b64 exec, exec, s[26:27]
	flat_load_dwordx4 v[0:3], v[6:7] offset:1024
	s_waitcnt vmcnt(0) lgkmcnt(0)
	v_lshrrev_b32_e32 v13, 16, v0
	v_lshrrev_b32_e32 v12, 16, v1
	;; [unrolled: 1-line block ×4, first 2 shown]
	s_and_saveexec_b64 s[26:27], vcc
	s_cbranch_execz .LBB179_119
; %bb.118:                              ;   in Loop: Header=BB179_50 Depth=1
	v_cmp_lt_i32_e64 s[8:9], v52, v62
	v_accvgpr_read_b32 v16, a17
	v_cndmask_b32_e64 v0, 0, v0, s[8:9]
	v_cmp_lt_i32_e64 s[8:9], v16, v62
	v_accvgpr_read_b32 v16, a1
	v_cndmask_b32_e64 v13, 0, v13, s[8:9]
	;; [unrolled: 3-line block ×7, first 2 shown]
	v_cmp_lt_i32_e64 s[8:9], v16, v62
	v_cndmask_b32_e64 v10, 0, v10, s[8:9]
.LBB179_119:                            ;   in Loop: Header=BB179_50 Depth=1
	s_or_b64 exec, exec, s[26:27]
	v_lshlrev_b32_e32 v0, 16, v0
	v_mul_f32_e32 v0, v4, v0
	v_and_b32_e32 v16, 0x7f800000, v0
	v_cmp_ne_u32_e64 s[8:9], s15, v16
                                        ; implicit-def: $vgpr16
                                        ; kill: killed $vgpr16
	s_and_saveexec_b64 s[26:27], s[8:9]
	s_xor_b64 s[8:9], exec, s[26:27]
	s_cbranch_execz .LBB179_121
; %bb.120:                              ;   in Loop: Header=BB179_50 Depth=1
	v_bfe_u32 v16, v0, 16, 1
	v_add3_u32 v0, v0, v16, s28
	buffer_store_dword v0, off, s[0:3], s32 offset:324 ; 4-byte Folded Spill
                                        ; implicit-def: $vgpr0
.LBB179_121:                            ;   in Loop: Header=BB179_50 Depth=1
	s_andn2_saveexec_b64 s[26:27], s[8:9]
	s_cbranch_execz .LBB179_123
; %bb.122:                              ;   in Loop: Header=BB179_50 Depth=1
	v_or_b32_e32 v16, 0x10000, v0
	v_cmp_eq_u32_sdwa s[8:9], v0, v49 src0_sel:WORD_0 src1_sel:DWORD
	v_cndmask_b32_e64 v0, v16, v0, s[8:9]
	buffer_store_dword v0, off, s[0:3], s32 offset:324 ; 4-byte Folded Spill
.LBB179_123:                            ;   in Loop: Header=BB179_50 Depth=1
	s_or_b64 exec, exec, s[26:27]
	v_lshlrev_b32_e32 v0, 16, v13
	v_mul_f32_e32 v0, v23, v0
	v_and_b32_e32 v13, 0x7f800000, v0
	v_cmp_ne_u32_e64 s[8:9], s15, v13
                                        ; implicit-def: $vgpr13
                                        ; kill: killed $vgpr13
	s_and_saveexec_b64 s[26:27], s[8:9]
	s_xor_b64 s[8:9], exec, s[26:27]
	s_cbranch_execz .LBB179_125
; %bb.124:                              ;   in Loop: Header=BB179_50 Depth=1
	v_bfe_u32 v13, v0, 16, 1
	v_add3_u32 v0, v0, v13, s28
	buffer_store_dword v0, off, s[0:3], s32 offset:328 ; 4-byte Folded Spill
                                        ; implicit-def: $vgpr0
.LBB179_125:                            ;   in Loop: Header=BB179_50 Depth=1
	s_andn2_saveexec_b64 s[26:27], s[8:9]
	s_cbranch_execz .LBB179_127
; %bb.126:                              ;   in Loop: Header=BB179_50 Depth=1
	v_or_b32_e32 v13, 0x10000, v0
	v_cmp_eq_u32_sdwa s[8:9], v0, v49 src0_sel:WORD_0 src1_sel:DWORD
	v_cndmask_b32_e64 v0, v13, v0, s[8:9]
	buffer_store_dword v0, off, s[0:3], s32 offset:328 ; 4-byte Folded Spill
.LBB179_127:                            ;   in Loop: Header=BB179_50 Depth=1
	s_or_b64 exec, exec, s[26:27]
	v_lshlrev_b32_e32 v0, 16, v1
	v_mul_f32_e32 v0, v39, v0
	v_and_b32_e32 v1, 0x7f800000, v0
	v_cmp_ne_u32_e64 s[8:9], s15, v1
                                        ; implicit-def: $vgpr1
                                        ; kill: killed $vgpr1
	s_and_saveexec_b64 s[26:27], s[8:9]
	s_xor_b64 s[8:9], exec, s[26:27]
	s_cbranch_execz .LBB179_129
; %bb.128:                              ;   in Loop: Header=BB179_50 Depth=1
	v_bfe_u32 v1, v0, 16, 1
	v_add3_u32 v0, v0, v1, s28
	buffer_store_dword v0, off, s[0:3], s32 offset:332 ; 4-byte Folded Spill
                                        ; implicit-def: $vgpr0
.LBB179_129:                            ;   in Loop: Header=BB179_50 Depth=1
	s_andn2_saveexec_b64 s[26:27], s[8:9]
	s_cbranch_execz .LBB179_131
; %bb.130:                              ;   in Loop: Header=BB179_50 Depth=1
	v_or_b32_e32 v1, 0x10000, v0
	v_cmp_eq_u32_sdwa s[8:9], v0, v49 src0_sel:WORD_0 src1_sel:DWORD
	v_cndmask_b32_e64 v0, v1, v0, s[8:9]
	buffer_store_dword v0, off, s[0:3], s32 offset:332 ; 4-byte Folded Spill
.LBB179_131:                            ;   in Loop: Header=BB179_50 Depth=1
	s_or_b64 exec, exec, s[26:27]
	v_lshlrev_b32_e32 v0, 16, v12
	v_mul_f32_e32 v0, v5, v0
	v_and_b32_e32 v1, 0x7f800000, v0
	v_cmp_ne_u32_e64 s[8:9], s15, v1
                                        ; implicit-def: $vgpr1
                                        ; kill: killed $vgpr1
	;; [unrolled: 24-line block ×6, first 2 shown]
	s_and_saveexec_b64 s[26:27], s[8:9]
	s_xor_b64 s[8:9], exec, s[26:27]
	s_cbranch_execz .LBB179_149
; %bb.148:                              ;   in Loop: Header=BB179_50 Depth=1
	v_bfe_u32 v1, v0, 16, 1
	v_add3_u32 v0, v0, v1, s28
	buffer_store_dword v0, off, s[0:3], s32 offset:352 ; 4-byte Folded Spill
                                        ; implicit-def: $vgpr0
.LBB179_149:                            ;   in Loop: Header=BB179_50 Depth=1
	s_andn2_saveexec_b64 s[26:27], s[8:9]
	s_cbranch_execz .LBB179_151
; %bb.150:                              ;   in Loop: Header=BB179_50 Depth=1
	v_or_b32_e32 v1, 0x10000, v0
	v_cmp_eq_u32_sdwa s[8:9], v0, v49 src0_sel:WORD_0 src1_sel:DWORD
	v_cndmask_b32_e64 v0, v1, v0, s[8:9]
	buffer_store_dword v0, off, s[0:3], s32 offset:352 ; 4-byte Folded Spill
.LBB179_151:                            ;   in Loop: Header=BB179_50 Depth=1
	s_or_b64 exec, exec, s[26:27]
	flat_load_dwordx4 v[0:3], v[6:7] offset:2048
	s_waitcnt vmcnt(0) lgkmcnt(0)
	v_lshrrev_b32_e32 v13, 16, v0
	v_lshrrev_b32_e32 v12, 16, v1
	;; [unrolled: 1-line block ×4, first 2 shown]
	s_and_saveexec_b64 s[26:27], vcc
	s_cbranch_execz .LBB179_153
; %bb.152:                              ;   in Loop: Header=BB179_50 Depth=1
	v_cmp_lt_i32_e64 s[8:9], v52, v62
	v_accvgpr_read_b32 v16, a17
	v_cndmask_b32_e64 v0, 0, v0, s[8:9]
	v_cmp_lt_i32_e64 s[8:9], v16, v62
	v_accvgpr_read_b32 v16, a1
	v_cndmask_b32_e64 v13, 0, v13, s[8:9]
	;; [unrolled: 3-line block ×7, first 2 shown]
	v_cmp_lt_i32_e64 s[8:9], v16, v62
	v_cndmask_b32_e64 v10, 0, v10, s[8:9]
.LBB179_153:                            ;   in Loop: Header=BB179_50 Depth=1
	s_or_b64 exec, exec, s[26:27]
	v_lshlrev_b32_e32 v0, 16, v0
	v_mul_f32_e32 v0, v4, v0
	v_and_b32_e32 v16, 0x7f800000, v0
	v_cmp_ne_u32_e64 s[8:9], s15, v16
                                        ; implicit-def: $vgpr16
                                        ; kill: killed $vgpr16
	s_and_saveexec_b64 s[26:27], s[8:9]
	s_xor_b64 s[8:9], exec, s[26:27]
	s_cbranch_execz .LBB179_155
; %bb.154:                              ;   in Loop: Header=BB179_50 Depth=1
	v_bfe_u32 v16, v0, 16, 1
	v_add3_u32 v0, v0, v16, s28
	buffer_store_dword v0, off, s[0:3], s32 offset:356 ; 4-byte Folded Spill
                                        ; implicit-def: $vgpr0
.LBB179_155:                            ;   in Loop: Header=BB179_50 Depth=1
	s_andn2_saveexec_b64 s[26:27], s[8:9]
	s_cbranch_execz .LBB179_157
; %bb.156:                              ;   in Loop: Header=BB179_50 Depth=1
	v_or_b32_e32 v16, 0x10000, v0
	v_cmp_eq_u32_sdwa s[8:9], v0, v49 src0_sel:WORD_0 src1_sel:DWORD
	v_cndmask_b32_e64 v0, v16, v0, s[8:9]
	buffer_store_dword v0, off, s[0:3], s32 offset:356 ; 4-byte Folded Spill
.LBB179_157:                            ;   in Loop: Header=BB179_50 Depth=1
	s_or_b64 exec, exec, s[26:27]
	v_lshlrev_b32_e32 v0, 16, v13
	v_mul_f32_e32 v0, v23, v0
	v_and_b32_e32 v13, 0x7f800000, v0
	v_cmp_ne_u32_e64 s[8:9], s15, v13
                                        ; implicit-def: $vgpr13
                                        ; kill: killed $vgpr13
	s_and_saveexec_b64 s[26:27], s[8:9]
	s_xor_b64 s[8:9], exec, s[26:27]
	s_cbranch_execz .LBB179_159
; %bb.158:                              ;   in Loop: Header=BB179_50 Depth=1
	v_bfe_u32 v13, v0, 16, 1
	v_add3_u32 v0, v0, v13, s28
	buffer_store_dword v0, off, s[0:3], s32 offset:360 ; 4-byte Folded Spill
                                        ; implicit-def: $vgpr0
.LBB179_159:                            ;   in Loop: Header=BB179_50 Depth=1
	s_andn2_saveexec_b64 s[26:27], s[8:9]
	s_cbranch_execz .LBB179_161
; %bb.160:                              ;   in Loop: Header=BB179_50 Depth=1
	v_or_b32_e32 v13, 0x10000, v0
	v_cmp_eq_u32_sdwa s[8:9], v0, v49 src0_sel:WORD_0 src1_sel:DWORD
	v_cndmask_b32_e64 v0, v13, v0, s[8:9]
	buffer_store_dword v0, off, s[0:3], s32 offset:360 ; 4-byte Folded Spill
.LBB179_161:                            ;   in Loop: Header=BB179_50 Depth=1
	s_or_b64 exec, exec, s[26:27]
	v_lshlrev_b32_e32 v0, 16, v1
	v_mul_f32_e32 v0, v39, v0
	v_and_b32_e32 v1, 0x7f800000, v0
	v_cmp_ne_u32_e64 s[8:9], s15, v1
                                        ; implicit-def: $vgpr1
                                        ; kill: killed $vgpr1
	s_and_saveexec_b64 s[26:27], s[8:9]
	s_xor_b64 s[8:9], exec, s[26:27]
	s_cbranch_execz .LBB179_163
; %bb.162:                              ;   in Loop: Header=BB179_50 Depth=1
	v_bfe_u32 v1, v0, 16, 1
	v_add3_u32 v0, v0, v1, s28
	buffer_store_dword v0, off, s[0:3], s32 offset:364 ; 4-byte Folded Spill
                                        ; implicit-def: $vgpr0
.LBB179_163:                            ;   in Loop: Header=BB179_50 Depth=1
	s_andn2_saveexec_b64 s[26:27], s[8:9]
	s_cbranch_execz .LBB179_165
; %bb.164:                              ;   in Loop: Header=BB179_50 Depth=1
	v_or_b32_e32 v1, 0x10000, v0
	v_cmp_eq_u32_sdwa s[8:9], v0, v49 src0_sel:WORD_0 src1_sel:DWORD
	v_cndmask_b32_e64 v0, v1, v0, s[8:9]
	buffer_store_dword v0, off, s[0:3], s32 offset:364 ; 4-byte Folded Spill
.LBB179_165:                            ;   in Loop: Header=BB179_50 Depth=1
	s_or_b64 exec, exec, s[26:27]
	v_lshlrev_b32_e32 v0, 16, v12
	v_mul_f32_e32 v0, v5, v0
	v_and_b32_e32 v1, 0x7f800000, v0
	v_cmp_ne_u32_e64 s[8:9], s15, v1
                                        ; implicit-def: $vgpr1
                                        ; kill: killed $vgpr1
	;; [unrolled: 24-line block ×6, first 2 shown]
	s_and_saveexec_b64 s[26:27], s[8:9]
	s_xor_b64 s[8:9], exec, s[26:27]
	s_cbranch_execz .LBB179_183
; %bb.182:                              ;   in Loop: Header=BB179_50 Depth=1
	v_bfe_u32 v1, v0, 16, 1
	v_add3_u32 v0, v0, v1, s28
	buffer_store_dword v0, off, s[0:3], s32 offset:384 ; 4-byte Folded Spill
                                        ; implicit-def: $vgpr0
.LBB179_183:                            ;   in Loop: Header=BB179_50 Depth=1
	s_andn2_saveexec_b64 s[26:27], s[8:9]
	s_cbranch_execz .LBB179_185
; %bb.184:                              ;   in Loop: Header=BB179_50 Depth=1
	v_or_b32_e32 v1, 0x10000, v0
	v_cmp_eq_u32_sdwa s[8:9], v0, v49 src0_sel:WORD_0 src1_sel:DWORD
	v_cndmask_b32_e64 v0, v1, v0, s[8:9]
	buffer_store_dword v0, off, s[0:3], s32 offset:384 ; 4-byte Folded Spill
.LBB179_185:                            ;   in Loop: Header=BB179_50 Depth=1
	s_or_b64 exec, exec, s[26:27]
	flat_load_dwordx4 v[0:3], v[6:7] offset:3072
	s_waitcnt vmcnt(0) lgkmcnt(0)
	v_lshrrev_b32_e32 v11, 16, v0
	v_lshrrev_b32_e32 v10, 16, v1
	v_lshrrev_b32_e32 v7, 16, v2
	v_lshrrev_b32_e32 v6, 16, v3
	s_and_saveexec_b64 s[26:27], vcc
	s_cbranch_execz .LBB179_187
; %bb.186:                              ;   in Loop: Header=BB179_50 Depth=1
	v_cmp_lt_i32_e64 s[8:9], v52, v62
	v_accvgpr_read_b32 v12, a17
	v_cndmask_b32_e64 v0, 0, v0, s[8:9]
	v_cmp_lt_i32_e64 s[8:9], v12, v62
	v_accvgpr_read_b32 v12, a1
	v_cndmask_b32_e64 v11, 0, v11, s[8:9]
	;; [unrolled: 3-line block ×7, first 2 shown]
	v_cmp_lt_i32_e64 s[8:9], v12, v62
	v_cndmask_b32_e64 v6, 0, v6, s[8:9]
.LBB179_187:                            ;   in Loop: Header=BB179_50 Depth=1
	s_or_b64 exec, exec, s[26:27]
	v_lshlrev_b32_e32 v0, 16, v0
	v_mul_f32_e32 v0, v4, v0
	v_and_b32_e32 v12, 0x7f800000, v0
	v_cmp_ne_u32_e64 s[8:9], s15, v12
                                        ; implicit-def: $vgpr12
                                        ; kill: killed $vgpr12
	s_and_saveexec_b64 s[26:27], s[8:9]
	s_xor_b64 s[8:9], exec, s[26:27]
	s_cbranch_execz .LBB179_189
; %bb.188:                              ;   in Loop: Header=BB179_50 Depth=1
	v_bfe_u32 v12, v0, 16, 1
	v_add3_u32 v0, v0, v12, s28
	buffer_store_dword v0, off, s[0:3], s32 offset:388 ; 4-byte Folded Spill
                                        ; implicit-def: $vgpr0
.LBB179_189:                            ;   in Loop: Header=BB179_50 Depth=1
	s_andn2_saveexec_b64 s[26:27], s[8:9]
	s_cbranch_execz .LBB179_191
; %bb.190:                              ;   in Loop: Header=BB179_50 Depth=1
	v_or_b32_e32 v12, 0x10000, v0
	v_cmp_eq_u32_sdwa s[8:9], v0, v49 src0_sel:WORD_0 src1_sel:DWORD
	v_cndmask_b32_e64 v0, v12, v0, s[8:9]
	buffer_store_dword v0, off, s[0:3], s32 offset:388 ; 4-byte Folded Spill
.LBB179_191:                            ;   in Loop: Header=BB179_50 Depth=1
	s_or_b64 exec, exec, s[26:27]
	v_lshlrev_b32_e32 v0, 16, v11
	v_mul_f32_e32 v0, v23, v0
	v_and_b32_e32 v11, 0x7f800000, v0
	v_cmp_ne_u32_e64 s[8:9], s15, v11
                                        ; implicit-def: $agpr49
	s_and_saveexec_b64 s[26:27], s[8:9]
	s_xor_b64 s[8:9], exec, s[26:27]
; %bb.192:                              ;   in Loop: Header=BB179_50 Depth=1
	v_bfe_u32 v11, v0, 16, 1
	v_add3_u32 v0, v0, v11, s28
	v_accvgpr_write_b32 a49, v0
                                        ; implicit-def: $vgpr0
; %bb.193:                              ;   in Loop: Header=BB179_50 Depth=1
	s_andn2_saveexec_b64 s[26:27], s[8:9]
; %bb.194:                              ;   in Loop: Header=BB179_50 Depth=1
	v_or_b32_e32 v11, 0x10000, v0
	v_cmp_eq_u32_sdwa s[8:9], v0, v49 src0_sel:WORD_0 src1_sel:DWORD
	v_cndmask_b32_e64 v0, v11, v0, s[8:9]
	v_accvgpr_write_b32 a49, v0
; %bb.195:                              ;   in Loop: Header=BB179_50 Depth=1
	s_or_b64 exec, exec, s[26:27]
	v_lshlrev_b32_e32 v0, 16, v1
	v_mul_f32_e32 v0, v39, v0
	v_and_b32_e32 v1, 0x7f800000, v0
	v_cmp_ne_u32_e64 s[8:9], s15, v1
                                        ; implicit-def: $agpr50
	s_and_saveexec_b64 s[26:27], s[8:9]
	s_xor_b64 s[8:9], exec, s[26:27]
; %bb.196:                              ;   in Loop: Header=BB179_50 Depth=1
	v_bfe_u32 v1, v0, 16, 1
	v_add3_u32 v0, v0, v1, s28
	v_accvgpr_write_b32 a50, v0
                                        ; implicit-def: $vgpr0
; %bb.197:                              ;   in Loop: Header=BB179_50 Depth=1
	s_andn2_saveexec_b64 s[26:27], s[8:9]
; %bb.198:                              ;   in Loop: Header=BB179_50 Depth=1
	v_or_b32_e32 v1, 0x10000, v0
	v_cmp_eq_u32_sdwa s[8:9], v0, v49 src0_sel:WORD_0 src1_sel:DWORD
	v_cndmask_b32_e64 v0, v1, v0, s[8:9]
	v_accvgpr_write_b32 a50, v0
; %bb.199:                              ;   in Loop: Header=BB179_50 Depth=1
	s_or_b64 exec, exec, s[26:27]
	v_lshlrev_b32_e32 v0, 16, v10
	v_mul_f32_e32 v0, v5, v0
	v_and_b32_e32 v1, 0x7f800000, v0
	v_cmp_ne_u32_e64 s[8:9], s15, v1
                                        ; implicit-def: $agpr51
	s_and_saveexec_b64 s[26:27], s[8:9]
	s_xor_b64 s[8:9], exec, s[26:27]
; %bb.200:                              ;   in Loop: Header=BB179_50 Depth=1
	v_bfe_u32 v1, v0, 16, 1
	v_add3_u32 v0, v0, v1, s28
	v_accvgpr_write_b32 a51, v0
                                        ; implicit-def: $vgpr0
; %bb.201:                              ;   in Loop: Header=BB179_50 Depth=1
	s_andn2_saveexec_b64 s[26:27], s[8:9]
; %bb.202:                              ;   in Loop: Header=BB179_50 Depth=1
	v_or_b32_e32 v1, 0x10000, v0
	v_cmp_eq_u32_sdwa s[8:9], v0, v49 src0_sel:WORD_0 src1_sel:DWORD
	v_cndmask_b32_e64 v0, v1, v0, s[8:9]
	v_accvgpr_write_b32 a51, v0
; %bb.203:                              ;   in Loop: Header=BB179_50 Depth=1
	s_or_b64 exec, exec, s[26:27]
	v_lshlrev_b32_e32 v0, 16, v2
	v_mul_f32_e32 v0, v38, v0
	v_and_b32_e32 v1, 0x7f800000, v0
	v_cmp_ne_u32_e64 s[8:9], s15, v1
                                        ; implicit-def: $agpr33
	s_and_saveexec_b64 s[26:27], s[8:9]
	s_xor_b64 s[8:9], exec, s[26:27]
; %bb.204:                              ;   in Loop: Header=BB179_50 Depth=1
	v_bfe_u32 v1, v0, 16, 1
	v_add3_u32 v0, v0, v1, s28
	v_accvgpr_write_b32 a33, v0
                                        ; implicit-def: $vgpr0
; %bb.205:                              ;   in Loop: Header=BB179_50 Depth=1
	s_andn2_saveexec_b64 s[26:27], s[8:9]
; %bb.206:                              ;   in Loop: Header=BB179_50 Depth=1
	v_or_b32_e32 v1, 0x10000, v0
	v_cmp_eq_u32_sdwa s[8:9], v0, v49 src0_sel:WORD_0 src1_sel:DWORD
	v_cndmask_b32_e64 v0, v1, v0, s[8:9]
	v_accvgpr_write_b32 a33, v0
; %bb.207:                              ;   in Loop: Header=BB179_50 Depth=1
	s_or_b64 exec, exec, s[26:27]
	v_lshlrev_b32_e32 v0, 16, v7
	v_mul_f32_e32 v0, v21, v0
	v_and_b32_e32 v1, 0x7f800000, v0
	v_cmp_ne_u32_e64 s[8:9], s15, v1
                                        ; implicit-def: $agpr30
	s_and_saveexec_b64 s[26:27], s[8:9]
	s_xor_b64 s[8:9], exec, s[26:27]
; %bb.208:                              ;   in Loop: Header=BB179_50 Depth=1
	v_bfe_u32 v1, v0, 16, 1
	v_add3_u32 v0, v0, v1, s28
	v_accvgpr_write_b32 a30, v0
                                        ; implicit-def: $vgpr0
; %bb.209:                              ;   in Loop: Header=BB179_50 Depth=1
	s_andn2_saveexec_b64 s[26:27], s[8:9]
; %bb.210:                              ;   in Loop: Header=BB179_50 Depth=1
	v_or_b32_e32 v1, 0x10000, v0
	v_cmp_eq_u32_sdwa s[8:9], v0, v49 src0_sel:WORD_0 src1_sel:DWORD
	v_cndmask_b32_e64 v0, v1, v0, s[8:9]
	v_accvgpr_write_b32 a30, v0
; %bb.211:                              ;   in Loop: Header=BB179_50 Depth=1
	s_or_b64 exec, exec, s[26:27]
	v_lshlrev_b32_e32 v0, 16, v3
	v_mul_f32_e32 v0, v8, v0
	v_and_b32_e32 v1, 0x7f800000, v0
	v_cmp_ne_u32_e64 s[8:9], s15, v1
                                        ; implicit-def: $agpr31
	s_and_saveexec_b64 s[26:27], s[8:9]
	s_xor_b64 s[8:9], exec, s[26:27]
; %bb.212:                              ;   in Loop: Header=BB179_50 Depth=1
	v_bfe_u32 v1, v0, 16, 1
	v_add3_u32 v0, v0, v1, s28
	v_accvgpr_write_b32 a31, v0
                                        ; implicit-def: $vgpr0
; %bb.213:                              ;   in Loop: Header=BB179_50 Depth=1
	s_andn2_saveexec_b64 s[26:27], s[8:9]
; %bb.214:                              ;   in Loop: Header=BB179_50 Depth=1
	v_or_b32_e32 v1, 0x10000, v0
	v_cmp_eq_u32_sdwa s[8:9], v0, v49 src0_sel:WORD_0 src1_sel:DWORD
	v_cndmask_b32_e64 v0, v1, v0, s[8:9]
	v_accvgpr_write_b32 a31, v0
; %bb.215:                              ;   in Loop: Header=BB179_50 Depth=1
	s_or_b64 exec, exec, s[26:27]
	v_lshlrev_b32_e32 v0, 16, v6
	v_mul_f32_e32 v0, v9, v0
	v_and_b32_e32 v1, 0x7f800000, v0
	v_cmp_ne_u32_e64 s[8:9], s15, v1
                                        ; implicit-def: $agpr5
	s_and_saveexec_b64 s[26:27], s[8:9]
	s_xor_b64 s[8:9], exec, s[26:27]
; %bb.216:                              ;   in Loop: Header=BB179_50 Depth=1
	v_bfe_u32 v1, v0, 16, 1
	v_add3_u32 v0, v0, v1, s28
	v_accvgpr_write_b32 a5, v0
                                        ; implicit-def: $vgpr0
; %bb.217:                              ;   in Loop: Header=BB179_50 Depth=1
	s_andn2_saveexec_b64 s[26:27], s[8:9]
; %bb.218:                              ;   in Loop: Header=BB179_50 Depth=1
	v_or_b32_e32 v1, 0x10000, v0
	v_cmp_eq_u32_sdwa s[8:9], v0, v49 src0_sel:WORD_0 src1_sel:DWORD
	v_cndmask_b32_e64 v0, v1, v0, s[8:9]
	v_accvgpr_write_b32 a5, v0
; %bb.219:                              ;   in Loop: Header=BB179_50 Depth=1
	s_or_b64 exec, exec, s[26:27]
	buffer_load_dword v0, off, s[0:3], s32 offset:404 ; 4-byte Folded Reload
	s_waitcnt vmcnt(0)
	v_add_co_u32_e64 v0, s[8:9], v45, v0
	v_addc_co_u32_e64 v1, s[8:9], 0, v46, s[8:9]
	flat_load_dwordx4 v[0:3], v[0:1]
	s_waitcnt vmcnt(0) lgkmcnt(0)
	v_lshrrev_b32_e32 v11, 16, v0
	v_lshrrev_b32_e32 v10, 16, v1
	;; [unrolled: 1-line block ×4, first 2 shown]
	s_and_saveexec_b64 s[26:27], vcc
	s_cbranch_execz .LBB179_221
; %bb.220:                              ;   in Loop: Header=BB179_50 Depth=1
	v_cmp_lt_i32_e64 s[8:9], v52, v62
	v_accvgpr_read_b32 v12, a17
	v_cndmask_b32_e64 v0, 0, v0, s[8:9]
	v_cmp_lt_i32_e64 s[8:9], v12, v62
	v_accvgpr_read_b32 v12, a1
	v_cndmask_b32_e64 v11, 0, v11, s[8:9]
	;; [unrolled: 3-line block ×7, first 2 shown]
	v_cmp_lt_i32_e64 s[8:9], v12, v62
	v_cndmask_b32_e64 v6, 0, v6, s[8:9]
.LBB179_221:                            ;   in Loop: Header=BB179_50 Depth=1
	s_or_b64 exec, exec, s[26:27]
	v_lshlrev_b32_e32 v0, 16, v0
	v_mul_f32_e32 v0, v4, v0
	v_and_b32_e32 v12, 0x7f800000, v0
	v_cmp_ne_u32_e64 s[8:9], s15, v12
                                        ; implicit-def: $agpr9
	s_and_saveexec_b64 s[26:27], s[8:9]
	s_xor_b64 s[8:9], exec, s[26:27]
; %bb.222:                              ;   in Loop: Header=BB179_50 Depth=1
	v_bfe_u32 v12, v0, 16, 1
	v_add3_u32 v0, v0, v12, s28
	v_accvgpr_write_b32 a9, v0
                                        ; implicit-def: $vgpr0
; %bb.223:                              ;   in Loop: Header=BB179_50 Depth=1
	s_andn2_saveexec_b64 s[26:27], s[8:9]
; %bb.224:                              ;   in Loop: Header=BB179_50 Depth=1
	v_or_b32_e32 v12, 0x10000, v0
	v_cmp_eq_u32_sdwa s[8:9], v0, v49 src0_sel:WORD_0 src1_sel:DWORD
	v_cndmask_b32_e64 v0, v12, v0, s[8:9]
	v_accvgpr_write_b32 a9, v0
; %bb.225:                              ;   in Loop: Header=BB179_50 Depth=1
	s_or_b64 exec, exec, s[26:27]
	v_lshlrev_b32_e32 v0, 16, v11
	v_mul_f32_e32 v0, v23, v0
	v_and_b32_e32 v11, 0x7f800000, v0
	v_cmp_ne_u32_e64 s[8:9], s15, v11
                                        ; implicit-def: $agpr3
	s_and_saveexec_b64 s[26:27], s[8:9]
	s_xor_b64 s[8:9], exec, s[26:27]
; %bb.226:                              ;   in Loop: Header=BB179_50 Depth=1
	v_bfe_u32 v11, v0, 16, 1
	v_add3_u32 v0, v0, v11, s28
	v_accvgpr_write_b32 a3, v0
                                        ; implicit-def: $vgpr0
; %bb.227:                              ;   in Loop: Header=BB179_50 Depth=1
	s_andn2_saveexec_b64 s[26:27], s[8:9]
; %bb.228:                              ;   in Loop: Header=BB179_50 Depth=1
	v_or_b32_e32 v11, 0x10000, v0
	v_cmp_eq_u32_sdwa s[8:9], v0, v49 src0_sel:WORD_0 src1_sel:DWORD
	v_cndmask_b32_e64 v0, v11, v0, s[8:9]
	v_accvgpr_write_b32 a3, v0
; %bb.229:                              ;   in Loop: Header=BB179_50 Depth=1
	s_or_b64 exec, exec, s[26:27]
	v_lshlrev_b32_e32 v0, 16, v1
	v_mul_f32_e32 v0, v39, v0
	v_and_b32_e32 v1, 0x7f800000, v0
	v_cmp_ne_u32_e64 s[8:9], s15, v1
                                        ; implicit-def: $agpr7
	s_and_saveexec_b64 s[26:27], s[8:9]
	s_xor_b64 s[8:9], exec, s[26:27]
; %bb.230:                              ;   in Loop: Header=BB179_50 Depth=1
	v_bfe_u32 v1, v0, 16, 1
	v_add3_u32 v0, v0, v1, s28
	v_accvgpr_write_b32 a7, v0
                                        ; implicit-def: $vgpr0
; %bb.231:                              ;   in Loop: Header=BB179_50 Depth=1
	s_andn2_saveexec_b64 s[26:27], s[8:9]
; %bb.232:                              ;   in Loop: Header=BB179_50 Depth=1
	v_or_b32_e32 v1, 0x10000, v0
	v_cmp_eq_u32_sdwa s[8:9], v0, v49 src0_sel:WORD_0 src1_sel:DWORD
	v_cndmask_b32_e64 v0, v1, v0, s[8:9]
	v_accvgpr_write_b32 a7, v0
; %bb.233:                              ;   in Loop: Header=BB179_50 Depth=1
	s_or_b64 exec, exec, s[26:27]
	v_lshlrev_b32_e32 v0, 16, v10
	v_mul_f32_e32 v0, v5, v0
	v_and_b32_e32 v1, 0x7f800000, v0
	v_cmp_ne_u32_e64 s[8:9], s15, v1
                                        ; implicit-def: $agpr8
	s_and_saveexec_b64 s[26:27], s[8:9]
	s_xor_b64 s[8:9], exec, s[26:27]
; %bb.234:                              ;   in Loop: Header=BB179_50 Depth=1
	v_bfe_u32 v1, v0, 16, 1
	v_add3_u32 v0, v0, v1, s28
	v_accvgpr_write_b32 a8, v0
                                        ; implicit-def: $vgpr0
; %bb.235:                              ;   in Loop: Header=BB179_50 Depth=1
	s_andn2_saveexec_b64 s[26:27], s[8:9]
; %bb.236:                              ;   in Loop: Header=BB179_50 Depth=1
	v_or_b32_e32 v1, 0x10000, v0
	v_cmp_eq_u32_sdwa s[8:9], v0, v49 src0_sel:WORD_0 src1_sel:DWORD
	v_cndmask_b32_e64 v0, v1, v0, s[8:9]
	v_accvgpr_write_b32 a8, v0
; %bb.237:                              ;   in Loop: Header=BB179_50 Depth=1
	s_or_b64 exec, exec, s[26:27]
	v_lshlrev_b32_e32 v0, 16, v2
	v_mul_f32_e32 v0, v38, v0
	v_and_b32_e32 v1, 0x7f800000, v0
	v_cmp_ne_u32_e64 s[8:9], s15, v1
                                        ; implicit-def: $agpr4
	s_and_saveexec_b64 s[26:27], s[8:9]
	s_xor_b64 s[8:9], exec, s[26:27]
; %bb.238:                              ;   in Loop: Header=BB179_50 Depth=1
	v_bfe_u32 v1, v0, 16, 1
	v_add3_u32 v0, v0, v1, s28
	v_accvgpr_write_b32 a4, v0
                                        ; implicit-def: $vgpr0
; %bb.239:                              ;   in Loop: Header=BB179_50 Depth=1
	s_andn2_saveexec_b64 s[26:27], s[8:9]
; %bb.240:                              ;   in Loop: Header=BB179_50 Depth=1
	v_or_b32_e32 v1, 0x10000, v0
	v_cmp_eq_u32_sdwa s[8:9], v0, v49 src0_sel:WORD_0 src1_sel:DWORD
	v_cndmask_b32_e64 v0, v1, v0, s[8:9]
	v_accvgpr_write_b32 a4, v0
; %bb.241:                              ;   in Loop: Header=BB179_50 Depth=1
	s_or_b64 exec, exec, s[26:27]
	v_lshlrev_b32_e32 v0, 16, v7
	v_mul_f32_e32 v0, v21, v0
	v_and_b32_e32 v1, 0x7f800000, v0
	v_cmp_ne_u32_e64 s[8:9], s15, v1
                                        ; implicit-def: $agpr38
	s_and_saveexec_b64 s[26:27], s[8:9]
	s_xor_b64 s[8:9], exec, s[26:27]
; %bb.242:                              ;   in Loop: Header=BB179_50 Depth=1
	v_bfe_u32 v1, v0, 16, 1
	v_add3_u32 v0, v0, v1, s28
	v_accvgpr_write_b32 a38, v0
                                        ; implicit-def: $vgpr0
; %bb.243:                              ;   in Loop: Header=BB179_50 Depth=1
	s_andn2_saveexec_b64 s[26:27], s[8:9]
; %bb.244:                              ;   in Loop: Header=BB179_50 Depth=1
	v_or_b32_e32 v1, 0x10000, v0
	v_cmp_eq_u32_sdwa s[8:9], v0, v49 src0_sel:WORD_0 src1_sel:DWORD
	v_cndmask_b32_e64 v0, v1, v0, s[8:9]
	v_accvgpr_write_b32 a38, v0
; %bb.245:                              ;   in Loop: Header=BB179_50 Depth=1
	s_or_b64 exec, exec, s[26:27]
	v_lshlrev_b32_e32 v0, 16, v3
	v_mul_f32_e32 v0, v8, v0
	v_and_b32_e32 v1, 0x7f800000, v0
	v_cmp_ne_u32_e64 s[8:9], s15, v1
                                        ; implicit-def: $agpr20
	s_and_saveexec_b64 s[26:27], s[8:9]
	s_xor_b64 s[8:9], exec, s[26:27]
; %bb.246:                              ;   in Loop: Header=BB179_50 Depth=1
	v_bfe_u32 v1, v0, 16, 1
	v_add3_u32 v0, v0, v1, s28
	v_accvgpr_write_b32 a20, v0
                                        ; implicit-def: $vgpr0
; %bb.247:                              ;   in Loop: Header=BB179_50 Depth=1
	s_andn2_saveexec_b64 s[26:27], s[8:9]
; %bb.248:                              ;   in Loop: Header=BB179_50 Depth=1
	v_or_b32_e32 v1, 0x10000, v0
	v_cmp_eq_u32_sdwa s[8:9], v0, v49 src0_sel:WORD_0 src1_sel:DWORD
	v_cndmask_b32_e64 v0, v1, v0, s[8:9]
	v_accvgpr_write_b32 a20, v0
; %bb.249:                              ;   in Loop: Header=BB179_50 Depth=1
	s_or_b64 exec, exec, s[26:27]
	v_lshlrev_b32_e32 v0, 16, v6
	v_mul_f32_e32 v0, v9, v0
	v_and_b32_e32 v1, 0x7f800000, v0
	v_cmp_ne_u32_e64 s[8:9], s15, v1
                                        ; implicit-def: $agpr21
	s_and_saveexec_b64 s[26:27], s[8:9]
	s_xor_b64 s[8:9], exec, s[26:27]
; %bb.250:                              ;   in Loop: Header=BB179_50 Depth=1
	v_bfe_u32 v1, v0, 16, 1
	v_add3_u32 v0, v0, v1, s28
	v_accvgpr_write_b32 a21, v0
                                        ; implicit-def: $vgpr0
; %bb.251:                              ;   in Loop: Header=BB179_50 Depth=1
	s_andn2_saveexec_b64 s[26:27], s[8:9]
; %bb.252:                              ;   in Loop: Header=BB179_50 Depth=1
	v_or_b32_e32 v1, 0x10000, v0
	v_cmp_eq_u32_sdwa s[8:9], v0, v49 src0_sel:WORD_0 src1_sel:DWORD
	v_cndmask_b32_e64 v0, v1, v0, s[8:9]
	v_accvgpr_write_b32 a21, v0
; %bb.253:                              ;   in Loop: Header=BB179_50 Depth=1
	s_or_b64 exec, exec, s[26:27]
	buffer_load_dword v0, off, s[0:3], s32 offset:408 ; 4-byte Folded Reload
	s_waitcnt vmcnt(0)
	v_add_co_u32_e64 v0, s[8:9], v45, v0
	v_addc_co_u32_e64 v1, s[8:9], 0, v46, s[8:9]
	flat_load_dwordx4 v[0:3], v[0:1]
	s_waitcnt vmcnt(0) lgkmcnt(0)
	v_lshrrev_b32_e32 v11, 16, v0
	v_lshrrev_b32_e32 v10, 16, v1
	v_lshrrev_b32_e32 v7, 16, v2
	v_lshrrev_b32_e32 v6, 16, v3
	s_and_saveexec_b64 s[26:27], vcc
	s_cbranch_execz .LBB179_255
; %bb.254:                              ;   in Loop: Header=BB179_50 Depth=1
	v_cmp_lt_i32_e64 s[8:9], v52, v62
	v_accvgpr_read_b32 v12, a17
	v_cndmask_b32_e64 v0, 0, v0, s[8:9]
	v_cmp_lt_i32_e64 s[8:9], v12, v62
	v_accvgpr_read_b32 v12, a1
	v_cndmask_b32_e64 v11, 0, v11, s[8:9]
	;; [unrolled: 3-line block ×7, first 2 shown]
	v_cmp_lt_i32_e64 s[8:9], v12, v62
	v_cndmask_b32_e64 v6, 0, v6, s[8:9]
.LBB179_255:                            ;   in Loop: Header=BB179_50 Depth=1
	s_or_b64 exec, exec, s[26:27]
	v_lshlrev_b32_e32 v0, 16, v0
	v_mul_f32_e32 v0, v4, v0
	v_and_b32_e32 v12, 0x7f800000, v0
	v_cmp_ne_u32_e64 s[8:9], s15, v12
                                        ; implicit-def: $agpr22
	s_and_saveexec_b64 s[26:27], s[8:9]
	s_xor_b64 s[8:9], exec, s[26:27]
; %bb.256:                              ;   in Loop: Header=BB179_50 Depth=1
	v_bfe_u32 v12, v0, 16, 1
	v_add3_u32 v0, v0, v12, s28
	v_accvgpr_write_b32 a22, v0
                                        ; implicit-def: $vgpr0
; %bb.257:                              ;   in Loop: Header=BB179_50 Depth=1
	s_andn2_saveexec_b64 s[26:27], s[8:9]
; %bb.258:                              ;   in Loop: Header=BB179_50 Depth=1
	v_or_b32_e32 v12, 0x10000, v0
	v_cmp_eq_u32_sdwa s[8:9], v0, v49 src0_sel:WORD_0 src1_sel:DWORD
	v_cndmask_b32_e64 v0, v12, v0, s[8:9]
	v_accvgpr_write_b32 a22, v0
; %bb.259:                              ;   in Loop: Header=BB179_50 Depth=1
	s_or_b64 exec, exec, s[26:27]
	v_lshlrev_b32_e32 v0, 16, v11
	v_mul_f32_e32 v0, v23, v0
	v_and_b32_e32 v11, 0x7f800000, v0
	v_cmp_ne_u32_e64 s[8:9], s15, v11
                                        ; implicit-def: $agpr23
	s_and_saveexec_b64 s[26:27], s[8:9]
	s_xor_b64 s[8:9], exec, s[26:27]
; %bb.260:                              ;   in Loop: Header=BB179_50 Depth=1
	v_bfe_u32 v11, v0, 16, 1
	v_add3_u32 v0, v0, v11, s28
	v_accvgpr_write_b32 a23, v0
                                        ; implicit-def: $vgpr0
; %bb.261:                              ;   in Loop: Header=BB179_50 Depth=1
	s_andn2_saveexec_b64 s[26:27], s[8:9]
; %bb.262:                              ;   in Loop: Header=BB179_50 Depth=1
	v_or_b32_e32 v11, 0x10000, v0
	v_cmp_eq_u32_sdwa s[8:9], v0, v49 src0_sel:WORD_0 src1_sel:DWORD
	v_cndmask_b32_e64 v0, v11, v0, s[8:9]
	v_accvgpr_write_b32 a23, v0
; %bb.263:                              ;   in Loop: Header=BB179_50 Depth=1
	s_or_b64 exec, exec, s[26:27]
	v_lshlrev_b32_e32 v0, 16, v1
	v_mul_f32_e32 v0, v39, v0
	v_and_b32_e32 v1, 0x7f800000, v0
	v_cmp_ne_u32_e64 s[8:9], s15, v1
                                        ; implicit-def: $agpr34
	s_and_saveexec_b64 s[26:27], s[8:9]
	s_xor_b64 s[8:9], exec, s[26:27]
; %bb.264:                              ;   in Loop: Header=BB179_50 Depth=1
	v_bfe_u32 v1, v0, 16, 1
	v_add3_u32 v0, v0, v1, s28
	v_accvgpr_write_b32 a34, v0
                                        ; implicit-def: $vgpr0
; %bb.265:                              ;   in Loop: Header=BB179_50 Depth=1
	s_andn2_saveexec_b64 s[26:27], s[8:9]
; %bb.266:                              ;   in Loop: Header=BB179_50 Depth=1
	v_or_b32_e32 v1, 0x10000, v0
	v_cmp_eq_u32_sdwa s[8:9], v0, v49 src0_sel:WORD_0 src1_sel:DWORD
	v_cndmask_b32_e64 v0, v1, v0, s[8:9]
	v_accvgpr_write_b32 a34, v0
; %bb.267:                              ;   in Loop: Header=BB179_50 Depth=1
	s_or_b64 exec, exec, s[26:27]
	v_lshlrev_b32_e32 v0, 16, v10
	v_mul_f32_e32 v0, v5, v0
	v_and_b32_e32 v1, 0x7f800000, v0
	v_cmp_ne_u32_e64 s[8:9], s15, v1
                                        ; implicit-def: $agpr35
	s_and_saveexec_b64 s[26:27], s[8:9]
	s_xor_b64 s[8:9], exec, s[26:27]
; %bb.268:                              ;   in Loop: Header=BB179_50 Depth=1
	v_bfe_u32 v1, v0, 16, 1
	v_add3_u32 v0, v0, v1, s28
	v_accvgpr_write_b32 a35, v0
                                        ; implicit-def: $vgpr0
; %bb.269:                              ;   in Loop: Header=BB179_50 Depth=1
	s_andn2_saveexec_b64 s[26:27], s[8:9]
; %bb.270:                              ;   in Loop: Header=BB179_50 Depth=1
	v_or_b32_e32 v1, 0x10000, v0
	v_cmp_eq_u32_sdwa s[8:9], v0, v49 src0_sel:WORD_0 src1_sel:DWORD
	v_cndmask_b32_e64 v0, v1, v0, s[8:9]
	v_accvgpr_write_b32 a35, v0
; %bb.271:                              ;   in Loop: Header=BB179_50 Depth=1
	s_or_b64 exec, exec, s[26:27]
	v_lshlrev_b32_e32 v0, 16, v2
	v_mul_f32_e32 v0, v38, v0
	v_and_b32_e32 v1, 0x7f800000, v0
	v_cmp_ne_u32_e64 s[8:9], s15, v1
                                        ; implicit-def: $agpr24
	s_and_saveexec_b64 s[26:27], s[8:9]
	s_xor_b64 s[8:9], exec, s[26:27]
; %bb.272:                              ;   in Loop: Header=BB179_50 Depth=1
	v_bfe_u32 v1, v0, 16, 1
	v_add3_u32 v0, v0, v1, s28
	v_accvgpr_write_b32 a24, v0
                                        ; implicit-def: $vgpr0
; %bb.273:                              ;   in Loop: Header=BB179_50 Depth=1
	s_andn2_saveexec_b64 s[26:27], s[8:9]
; %bb.274:                              ;   in Loop: Header=BB179_50 Depth=1
	v_or_b32_e32 v1, 0x10000, v0
	v_cmp_eq_u32_sdwa s[8:9], v0, v49 src0_sel:WORD_0 src1_sel:DWORD
	v_cndmask_b32_e64 v0, v1, v0, s[8:9]
	v_accvgpr_write_b32 a24, v0
; %bb.275:                              ;   in Loop: Header=BB179_50 Depth=1
	s_or_b64 exec, exec, s[26:27]
	v_lshlrev_b32_e32 v0, 16, v7
	v_mul_f32_e32 v0, v21, v0
	v_and_b32_e32 v1, 0x7f800000, v0
	v_cmp_ne_u32_e64 s[8:9], s15, v1
                                        ; implicit-def: $agpr25
	s_and_saveexec_b64 s[26:27], s[8:9]
	s_xor_b64 s[8:9], exec, s[26:27]
; %bb.276:                              ;   in Loop: Header=BB179_50 Depth=1
	v_bfe_u32 v1, v0, 16, 1
	v_add3_u32 v0, v0, v1, s28
	v_accvgpr_write_b32 a25, v0
                                        ; implicit-def: $vgpr0
; %bb.277:                              ;   in Loop: Header=BB179_50 Depth=1
	s_andn2_saveexec_b64 s[26:27], s[8:9]
; %bb.278:                              ;   in Loop: Header=BB179_50 Depth=1
	v_or_b32_e32 v1, 0x10000, v0
	v_cmp_eq_u32_sdwa s[8:9], v0, v49 src0_sel:WORD_0 src1_sel:DWORD
	v_cndmask_b32_e64 v0, v1, v0, s[8:9]
	v_accvgpr_write_b32 a25, v0
; %bb.279:                              ;   in Loop: Header=BB179_50 Depth=1
	s_or_b64 exec, exec, s[26:27]
	v_lshlrev_b32_e32 v0, 16, v3
	v_mul_f32_e32 v0, v8, v0
	v_and_b32_e32 v1, 0x7f800000, v0
	v_cmp_ne_u32_e64 s[8:9], s15, v1
                                        ; implicit-def: $agpr36
	s_and_saveexec_b64 s[26:27], s[8:9]
	s_xor_b64 s[8:9], exec, s[26:27]
; %bb.280:                              ;   in Loop: Header=BB179_50 Depth=1
	v_bfe_u32 v1, v0, 16, 1
	v_add3_u32 v0, v0, v1, s28
	v_accvgpr_write_b32 a36, v0
                                        ; implicit-def: $vgpr0
; %bb.281:                              ;   in Loop: Header=BB179_50 Depth=1
	s_andn2_saveexec_b64 s[26:27], s[8:9]
; %bb.282:                              ;   in Loop: Header=BB179_50 Depth=1
	v_or_b32_e32 v1, 0x10000, v0
	v_cmp_eq_u32_sdwa s[8:9], v0, v49 src0_sel:WORD_0 src1_sel:DWORD
	v_cndmask_b32_e64 v0, v1, v0, s[8:9]
	v_accvgpr_write_b32 a36, v0
; %bb.283:                              ;   in Loop: Header=BB179_50 Depth=1
	s_or_b64 exec, exec, s[26:27]
	v_lshlrev_b32_e32 v0, 16, v6
	v_mul_f32_e32 v0, v9, v0
	v_and_b32_e32 v1, 0x7f800000, v0
	v_cmp_ne_u32_e64 s[8:9], s15, v1
                                        ; implicit-def: $agpr37
	s_and_saveexec_b64 s[26:27], s[8:9]
	s_xor_b64 s[8:9], exec, s[26:27]
; %bb.284:                              ;   in Loop: Header=BB179_50 Depth=1
	v_bfe_u32 v1, v0, 16, 1
	v_add3_u32 v0, v0, v1, s28
	v_accvgpr_write_b32 a37, v0
                                        ; implicit-def: $vgpr0
; %bb.285:                              ;   in Loop: Header=BB179_50 Depth=1
	s_andn2_saveexec_b64 s[26:27], s[8:9]
; %bb.286:                              ;   in Loop: Header=BB179_50 Depth=1
	v_or_b32_e32 v1, 0x10000, v0
	v_cmp_eq_u32_sdwa s[8:9], v0, v49 src0_sel:WORD_0 src1_sel:DWORD
	v_cndmask_b32_e64 v0, v1, v0, s[8:9]
	v_accvgpr_write_b32 a37, v0
; %bb.287:                              ;   in Loop: Header=BB179_50 Depth=1
	s_or_b64 exec, exec, s[26:27]
	buffer_load_dword v0, off, s[0:3], s32 offset:412 ; 4-byte Folded Reload
	s_waitcnt vmcnt(0)
	v_add_co_u32_e64 v0, s[8:9], v45, v0
	v_addc_co_u32_e64 v1, s[8:9], 0, v46, s[8:9]
	flat_load_dwordx4 v[0:3], v[0:1]
	s_waitcnt vmcnt(0) lgkmcnt(0)
	v_lshrrev_b32_e32 v11, 16, v0
	v_lshrrev_b32_e32 v10, 16, v1
	;; [unrolled: 1-line block ×4, first 2 shown]
	s_and_saveexec_b64 s[26:27], vcc
	s_cbranch_execz .LBB179_289
; %bb.288:                              ;   in Loop: Header=BB179_50 Depth=1
	v_cmp_lt_i32_e64 s[8:9], v52, v62
	v_accvgpr_read_b32 v12, a17
	v_cndmask_b32_e64 v0, 0, v0, s[8:9]
	v_cmp_lt_i32_e64 s[8:9], v12, v62
	v_accvgpr_read_b32 v12, a1
	v_cndmask_b32_e64 v11, 0, v11, s[8:9]
	;; [unrolled: 3-line block ×7, first 2 shown]
	v_cmp_lt_i32_e64 s[8:9], v12, v62
	v_cndmask_b32_e64 v6, 0, v6, s[8:9]
.LBB179_289:                            ;   in Loop: Header=BB179_50 Depth=1
	s_or_b64 exec, exec, s[26:27]
	v_lshlrev_b32_e32 v0, 16, v0
	v_mul_f32_e32 v0, v4, v0
	v_and_b32_e32 v12, 0x7f800000, v0
	v_cmp_ne_u32_e64 s[8:9], s15, v12
                                        ; implicit-def: $agpr26
	s_and_saveexec_b64 s[26:27], s[8:9]
	s_xor_b64 s[8:9], exec, s[26:27]
; %bb.290:                              ;   in Loop: Header=BB179_50 Depth=1
	v_bfe_u32 v12, v0, 16, 1
	v_add3_u32 v0, v0, v12, s28
	v_accvgpr_write_b32 a26, v0
                                        ; implicit-def: $vgpr0
; %bb.291:                              ;   in Loop: Header=BB179_50 Depth=1
	s_andn2_saveexec_b64 s[26:27], s[8:9]
; %bb.292:                              ;   in Loop: Header=BB179_50 Depth=1
	v_or_b32_e32 v12, 0x10000, v0
	v_cmp_eq_u32_sdwa s[8:9], v0, v49 src0_sel:WORD_0 src1_sel:DWORD
	v_cndmask_b32_e64 v0, v12, v0, s[8:9]
	v_accvgpr_write_b32 a26, v0
; %bb.293:                              ;   in Loop: Header=BB179_50 Depth=1
	s_or_b64 exec, exec, s[26:27]
	v_lshlrev_b32_e32 v0, 16, v11
	v_mul_f32_e32 v0, v23, v0
	v_and_b32_e32 v11, 0x7f800000, v0
	v_cmp_ne_u32_e64 s[8:9], s15, v11
                                        ; implicit-def: $agpr27
	s_and_saveexec_b64 s[26:27], s[8:9]
	s_xor_b64 s[8:9], exec, s[26:27]
; %bb.294:                              ;   in Loop: Header=BB179_50 Depth=1
	v_bfe_u32 v11, v0, 16, 1
	v_add3_u32 v0, v0, v11, s28
	v_accvgpr_write_b32 a27, v0
                                        ; implicit-def: $vgpr0
; %bb.295:                              ;   in Loop: Header=BB179_50 Depth=1
	s_andn2_saveexec_b64 s[26:27], s[8:9]
; %bb.296:                              ;   in Loop: Header=BB179_50 Depth=1
	v_or_b32_e32 v11, 0x10000, v0
	v_cmp_eq_u32_sdwa s[8:9], v0, v49 src0_sel:WORD_0 src1_sel:DWORD
	v_cndmask_b32_e64 v0, v11, v0, s[8:9]
	v_accvgpr_write_b32 a27, v0
; %bb.297:                              ;   in Loop: Header=BB179_50 Depth=1
	s_or_b64 exec, exec, s[26:27]
	v_lshlrev_b32_e32 v0, 16, v1
	v_mul_f32_e32 v0, v39, v0
	v_and_b32_e32 v1, 0x7f800000, v0
	v_cmp_ne_u32_e64 s[8:9], s15, v1
                                        ; implicit-def: $agpr28
	s_and_saveexec_b64 s[26:27], s[8:9]
	s_xor_b64 s[8:9], exec, s[26:27]
; %bb.298:                              ;   in Loop: Header=BB179_50 Depth=1
	v_bfe_u32 v1, v0, 16, 1
	v_add3_u32 v0, v0, v1, s28
	v_accvgpr_write_b32 a28, v0
                                        ; implicit-def: $vgpr0
; %bb.299:                              ;   in Loop: Header=BB179_50 Depth=1
	s_andn2_saveexec_b64 s[26:27], s[8:9]
; %bb.300:                              ;   in Loop: Header=BB179_50 Depth=1
	v_or_b32_e32 v1, 0x10000, v0
	v_cmp_eq_u32_sdwa s[8:9], v0, v49 src0_sel:WORD_0 src1_sel:DWORD
	v_cndmask_b32_e64 v0, v1, v0, s[8:9]
	v_accvgpr_write_b32 a28, v0
; %bb.301:                              ;   in Loop: Header=BB179_50 Depth=1
	s_or_b64 exec, exec, s[26:27]
	v_lshlrev_b32_e32 v0, 16, v10
	v_mul_f32_e32 v0, v5, v0
	v_and_b32_e32 v1, 0x7f800000, v0
	v_cmp_ne_u32_e64 s[8:9], s15, v1
                                        ; implicit-def: $agpr29
	s_and_saveexec_b64 s[26:27], s[8:9]
	s_xor_b64 s[8:9], exec, s[26:27]
; %bb.302:                              ;   in Loop: Header=BB179_50 Depth=1
	v_bfe_u32 v1, v0, 16, 1
	v_add3_u32 v0, v0, v1, s28
	v_accvgpr_write_b32 a29, v0
                                        ; implicit-def: $vgpr0
; %bb.303:                              ;   in Loop: Header=BB179_50 Depth=1
	s_andn2_saveexec_b64 s[26:27], s[8:9]
; %bb.304:                              ;   in Loop: Header=BB179_50 Depth=1
	v_or_b32_e32 v1, 0x10000, v0
	v_cmp_eq_u32_sdwa s[8:9], v0, v49 src0_sel:WORD_0 src1_sel:DWORD
	v_cndmask_b32_e64 v0, v1, v0, s[8:9]
	v_accvgpr_write_b32 a29, v0
; %bb.305:                              ;   in Loop: Header=BB179_50 Depth=1
	s_or_b64 exec, exec, s[26:27]
	v_lshlrev_b32_e32 v0, 16, v2
	v_mul_f32_e32 v0, v38, v0
	v_and_b32_e32 v1, 0x7f800000, v0
	v_cmp_ne_u32_e64 s[8:9], s15, v1
                                        ; implicit-def: $agpr12
	s_and_saveexec_b64 s[26:27], s[8:9]
	s_xor_b64 s[8:9], exec, s[26:27]
; %bb.306:                              ;   in Loop: Header=BB179_50 Depth=1
	v_bfe_u32 v1, v0, 16, 1
	v_add3_u32 v0, v0, v1, s28
	v_accvgpr_write_b32 a12, v0
                                        ; implicit-def: $vgpr0
; %bb.307:                              ;   in Loop: Header=BB179_50 Depth=1
	s_andn2_saveexec_b64 s[26:27], s[8:9]
; %bb.308:                              ;   in Loop: Header=BB179_50 Depth=1
	v_or_b32_e32 v1, 0x10000, v0
	v_cmp_eq_u32_sdwa s[8:9], v0, v49 src0_sel:WORD_0 src1_sel:DWORD
	v_cndmask_b32_e64 v0, v1, v0, s[8:9]
	v_accvgpr_write_b32 a12, v0
; %bb.309:                              ;   in Loop: Header=BB179_50 Depth=1
	s_or_b64 exec, exec, s[26:27]
	v_lshlrev_b32_e32 v0, 16, v7
	v_mul_f32_e32 v0, v21, v0
	v_and_b32_e32 v1, 0x7f800000, v0
	v_cmp_ne_u32_e64 s[8:9], s15, v1
                                        ; implicit-def: $agpr52
	s_and_saveexec_b64 s[26:27], s[8:9]
	s_xor_b64 s[8:9], exec, s[26:27]
; %bb.310:                              ;   in Loop: Header=BB179_50 Depth=1
	v_bfe_u32 v1, v0, 16, 1
	v_add3_u32 v0, v0, v1, s28
	v_accvgpr_write_b32 a52, v0
                                        ; implicit-def: $vgpr0
; %bb.311:                              ;   in Loop: Header=BB179_50 Depth=1
	s_andn2_saveexec_b64 s[26:27], s[8:9]
; %bb.312:                              ;   in Loop: Header=BB179_50 Depth=1
	v_or_b32_e32 v1, 0x10000, v0
	v_cmp_eq_u32_sdwa s[8:9], v0, v49 src0_sel:WORD_0 src1_sel:DWORD
	v_cndmask_b32_e64 v0, v1, v0, s[8:9]
	v_accvgpr_write_b32 a52, v0
; %bb.313:                              ;   in Loop: Header=BB179_50 Depth=1
	s_or_b64 exec, exec, s[26:27]
	v_lshlrev_b32_e32 v0, 16, v3
	v_mul_f32_e32 v0, v8, v0
	v_and_b32_e32 v1, 0x7f800000, v0
	v_cmp_ne_u32_e64 s[8:9], s15, v1
                                        ; implicit-def: $agpr53
	s_and_saveexec_b64 s[26:27], s[8:9]
	s_xor_b64 s[8:9], exec, s[26:27]
; %bb.314:                              ;   in Loop: Header=BB179_50 Depth=1
	v_bfe_u32 v1, v0, 16, 1
	v_add3_u32 v0, v0, v1, s28
	v_accvgpr_write_b32 a53, v0
                                        ; implicit-def: $vgpr0
; %bb.315:                              ;   in Loop: Header=BB179_50 Depth=1
	s_andn2_saveexec_b64 s[26:27], s[8:9]
; %bb.316:                              ;   in Loop: Header=BB179_50 Depth=1
	v_or_b32_e32 v1, 0x10000, v0
	v_cmp_eq_u32_sdwa s[8:9], v0, v49 src0_sel:WORD_0 src1_sel:DWORD
	v_cndmask_b32_e64 v0, v1, v0, s[8:9]
	v_accvgpr_write_b32 a53, v0
; %bb.317:                              ;   in Loop: Header=BB179_50 Depth=1
	s_or_b64 exec, exec, s[26:27]
	v_lshlrev_b32_e32 v0, 16, v6
	v_mul_f32_e32 v0, v9, v0
	v_and_b32_e32 v1, 0x7f800000, v0
	v_cmp_ne_u32_e64 s[8:9], s15, v1
                                        ; implicit-def: $agpr18
	s_and_saveexec_b64 s[26:27], s[8:9]
	s_xor_b64 s[8:9], exec, s[26:27]
; %bb.318:                              ;   in Loop: Header=BB179_50 Depth=1
	v_bfe_u32 v1, v0, 16, 1
	v_add3_u32 v0, v0, v1, s28
	v_accvgpr_write_b32 a18, v0
                                        ; implicit-def: $vgpr0
; %bb.319:                              ;   in Loop: Header=BB179_50 Depth=1
	s_andn2_saveexec_b64 s[26:27], s[8:9]
; %bb.320:                              ;   in Loop: Header=BB179_50 Depth=1
	v_or_b32_e32 v1, 0x10000, v0
	v_cmp_eq_u32_sdwa s[8:9], v0, v49 src0_sel:WORD_0 src1_sel:DWORD
	v_cndmask_b32_e64 v0, v1, v0, s[8:9]
	v_accvgpr_write_b32 a18, v0
; %bb.321:                              ;   in Loop: Header=BB179_50 Depth=1
	s_or_b64 exec, exec, s[26:27]
	buffer_load_dword v0, off, s[0:3], s32 offset:416 ; 4-byte Folded Reload
	s_waitcnt vmcnt(0)
	v_add_co_u32_e64 v0, s[8:9], v45, v0
	v_addc_co_u32_e64 v1, s[8:9], 0, v46, s[8:9]
	flat_load_dwordx4 v[0:3], v[0:1]
	s_waitcnt vmcnt(0) lgkmcnt(0)
	v_lshrrev_b32_e32 v11, 16, v0
	v_lshrrev_b32_e32 v10, 16, v1
	;; [unrolled: 1-line block ×4, first 2 shown]
	s_and_saveexec_b64 s[26:27], vcc
	s_cbranch_execz .LBB179_323
; %bb.322:                              ;   in Loop: Header=BB179_50 Depth=1
	v_cmp_lt_i32_e64 s[8:9], v52, v62
	v_accvgpr_read_b32 v12, a17
	v_cndmask_b32_e64 v0, 0, v0, s[8:9]
	v_cmp_lt_i32_e64 s[8:9], v12, v62
	v_accvgpr_read_b32 v12, a1
	v_cndmask_b32_e64 v11, 0, v11, s[8:9]
	;; [unrolled: 3-line block ×7, first 2 shown]
	v_cmp_lt_i32_e64 s[8:9], v12, v62
	v_cndmask_b32_e64 v6, 0, v6, s[8:9]
.LBB179_323:                            ;   in Loop: Header=BB179_50 Depth=1
	s_or_b64 exec, exec, s[26:27]
	v_lshlrev_b32_e32 v0, 16, v0
	v_mul_f32_e32 v0, v4, v0
	v_and_b32_e32 v12, 0x7f800000, v0
	v_cmp_ne_u32_e64 s[8:9], s15, v12
                                        ; implicit-def: $agpr19
	s_and_saveexec_b64 s[26:27], s[8:9]
	s_xor_b64 s[8:9], exec, s[26:27]
; %bb.324:                              ;   in Loop: Header=BB179_50 Depth=1
	v_bfe_u32 v12, v0, 16, 1
	v_add3_u32 v0, v0, v12, s28
	v_accvgpr_write_b32 a19, v0
                                        ; implicit-def: $vgpr0
; %bb.325:                              ;   in Loop: Header=BB179_50 Depth=1
	s_andn2_saveexec_b64 s[26:27], s[8:9]
; %bb.326:                              ;   in Loop: Header=BB179_50 Depth=1
	v_or_b32_e32 v12, 0x10000, v0
	v_cmp_eq_u32_sdwa s[8:9], v0, v49 src0_sel:WORD_0 src1_sel:DWORD
	v_cndmask_b32_e64 v0, v12, v0, s[8:9]
	v_accvgpr_write_b32 a19, v0
; %bb.327:                              ;   in Loop: Header=BB179_50 Depth=1
	s_or_b64 exec, exec, s[26:27]
	v_lshlrev_b32_e32 v0, 16, v11
	v_mul_f32_e32 v0, v23, v0
	v_and_b32_e32 v11, 0x7f800000, v0
	v_cmp_ne_u32_e64 s[8:9], s15, v11
                                        ; implicit-def: $agpr54
	s_and_saveexec_b64 s[26:27], s[8:9]
	s_xor_b64 s[8:9], exec, s[26:27]
; %bb.328:                              ;   in Loop: Header=BB179_50 Depth=1
	v_bfe_u32 v11, v0, 16, 1
	v_add3_u32 v0, v0, v11, s28
	v_accvgpr_write_b32 a54, v0
                                        ; implicit-def: $vgpr0
; %bb.329:                              ;   in Loop: Header=BB179_50 Depth=1
	s_andn2_saveexec_b64 s[26:27], s[8:9]
; %bb.330:                              ;   in Loop: Header=BB179_50 Depth=1
	v_or_b32_e32 v11, 0x10000, v0
	v_cmp_eq_u32_sdwa s[8:9], v0, v49 src0_sel:WORD_0 src1_sel:DWORD
	v_cndmask_b32_e64 v0, v11, v0, s[8:9]
	v_accvgpr_write_b32 a54, v0
; %bb.331:                              ;   in Loop: Header=BB179_50 Depth=1
	s_or_b64 exec, exec, s[26:27]
	v_lshlrev_b32_e32 v0, 16, v1
	v_mul_f32_e32 v0, v39, v0
	v_and_b32_e32 v1, 0x7f800000, v0
	v_cmp_ne_u32_e64 s[8:9], s15, v1
                                        ; implicit-def: $agpr55
	s_and_saveexec_b64 s[26:27], s[8:9]
	s_xor_b64 s[8:9], exec, s[26:27]
; %bb.332:                              ;   in Loop: Header=BB179_50 Depth=1
	v_bfe_u32 v1, v0, 16, 1
	v_add3_u32 v0, v0, v1, s28
	v_accvgpr_write_b32 a55, v0
                                        ; implicit-def: $vgpr0
; %bb.333:                              ;   in Loop: Header=BB179_50 Depth=1
	s_andn2_saveexec_b64 s[26:27], s[8:9]
; %bb.334:                              ;   in Loop: Header=BB179_50 Depth=1
	v_or_b32_e32 v1, 0x10000, v0
	v_cmp_eq_u32_sdwa s[8:9], v0, v49 src0_sel:WORD_0 src1_sel:DWORD
	v_cndmask_b32_e64 v0, v1, v0, s[8:9]
	v_accvgpr_write_b32 a55, v0
; %bb.335:                              ;   in Loop: Header=BB179_50 Depth=1
	s_or_b64 exec, exec, s[26:27]
	v_lshlrev_b32_e32 v0, 16, v10
	v_mul_f32_e32 v0, v5, v0
	v_and_b32_e32 v1, 0x7f800000, v0
	v_cmp_ne_u32_e64 s[8:9], s15, v1
                                        ; implicit-def: $agpr56
	s_and_saveexec_b64 s[26:27], s[8:9]
	s_xor_b64 s[8:9], exec, s[26:27]
; %bb.336:                              ;   in Loop: Header=BB179_50 Depth=1
	v_bfe_u32 v1, v0, 16, 1
	v_add3_u32 v0, v0, v1, s28
	v_accvgpr_write_b32 a56, v0
                                        ; implicit-def: $vgpr0
; %bb.337:                              ;   in Loop: Header=BB179_50 Depth=1
	s_andn2_saveexec_b64 s[26:27], s[8:9]
; %bb.338:                              ;   in Loop: Header=BB179_50 Depth=1
	v_or_b32_e32 v1, 0x10000, v0
	v_cmp_eq_u32_sdwa s[8:9], v0, v49 src0_sel:WORD_0 src1_sel:DWORD
	v_cndmask_b32_e64 v0, v1, v0, s[8:9]
	v_accvgpr_write_b32 a56, v0
; %bb.339:                              ;   in Loop: Header=BB179_50 Depth=1
	s_or_b64 exec, exec, s[26:27]
	v_lshlrev_b32_e32 v0, 16, v2
	v_mul_f32_e32 v0, v38, v0
	v_and_b32_e32 v1, 0x7f800000, v0
	v_cmp_ne_u32_e64 s[8:9], s15, v1
                                        ; implicit-def: $agpr57
	s_and_saveexec_b64 s[26:27], s[8:9]
	s_xor_b64 s[8:9], exec, s[26:27]
; %bb.340:                              ;   in Loop: Header=BB179_50 Depth=1
	v_bfe_u32 v1, v0, 16, 1
	v_add3_u32 v0, v0, v1, s28
	v_accvgpr_write_b32 a57, v0
                                        ; implicit-def: $vgpr0
; %bb.341:                              ;   in Loop: Header=BB179_50 Depth=1
	s_andn2_saveexec_b64 s[26:27], s[8:9]
; %bb.342:                              ;   in Loop: Header=BB179_50 Depth=1
	v_or_b32_e32 v1, 0x10000, v0
	v_cmp_eq_u32_sdwa s[8:9], v0, v49 src0_sel:WORD_0 src1_sel:DWORD
	v_cndmask_b32_e64 v0, v1, v0, s[8:9]
	v_accvgpr_write_b32 a57, v0
; %bb.343:                              ;   in Loop: Header=BB179_50 Depth=1
	s_or_b64 exec, exec, s[26:27]
	v_lshlrev_b32_e32 v0, 16, v7
	v_mul_f32_e32 v0, v21, v0
	v_and_b32_e32 v1, 0x7f800000, v0
	v_cmp_ne_u32_e64 s[8:9], s15, v1
                                        ; implicit-def: $agpr58
	s_and_saveexec_b64 s[26:27], s[8:9]
	s_xor_b64 s[8:9], exec, s[26:27]
; %bb.344:                              ;   in Loop: Header=BB179_50 Depth=1
	v_bfe_u32 v1, v0, 16, 1
	v_add3_u32 v0, v0, v1, s28
	v_accvgpr_write_b32 a58, v0
                                        ; implicit-def: $vgpr0
; %bb.345:                              ;   in Loop: Header=BB179_50 Depth=1
	s_andn2_saveexec_b64 s[26:27], s[8:9]
; %bb.346:                              ;   in Loop: Header=BB179_50 Depth=1
	v_or_b32_e32 v1, 0x10000, v0
	v_cmp_eq_u32_sdwa s[8:9], v0, v49 src0_sel:WORD_0 src1_sel:DWORD
	v_cndmask_b32_e64 v0, v1, v0, s[8:9]
	v_accvgpr_write_b32 a58, v0
; %bb.347:                              ;   in Loop: Header=BB179_50 Depth=1
	s_or_b64 exec, exec, s[26:27]
	v_lshlrev_b32_e32 v0, 16, v3
	v_mul_f32_e32 v0, v8, v0
	v_and_b32_e32 v1, 0x7f800000, v0
	v_cmp_ne_u32_e64 s[8:9], s15, v1
                                        ; implicit-def: $agpr59
	s_and_saveexec_b64 s[26:27], s[8:9]
	s_xor_b64 s[8:9], exec, s[26:27]
; %bb.348:                              ;   in Loop: Header=BB179_50 Depth=1
	v_bfe_u32 v1, v0, 16, 1
	v_add3_u32 v0, v0, v1, s28
	v_accvgpr_write_b32 a59, v0
                                        ; implicit-def: $vgpr0
; %bb.349:                              ;   in Loop: Header=BB179_50 Depth=1
	s_andn2_saveexec_b64 s[26:27], s[8:9]
; %bb.350:                              ;   in Loop: Header=BB179_50 Depth=1
	v_or_b32_e32 v1, 0x10000, v0
	v_cmp_eq_u32_sdwa s[8:9], v0, v49 src0_sel:WORD_0 src1_sel:DWORD
	v_cndmask_b32_e64 v0, v1, v0, s[8:9]
	v_accvgpr_write_b32 a59, v0
; %bb.351:                              ;   in Loop: Header=BB179_50 Depth=1
	s_or_b64 exec, exec, s[26:27]
	v_lshlrev_b32_e32 v0, 16, v6
	v_mul_f32_e32 v0, v9, v0
	v_and_b32_e32 v1, 0x7f800000, v0
	v_cmp_ne_u32_e64 s[8:9], s15, v1
                                        ; implicit-def: $agpr60
	s_and_saveexec_b64 s[26:27], s[8:9]
	s_xor_b64 s[8:9], exec, s[26:27]
; %bb.352:                              ;   in Loop: Header=BB179_50 Depth=1
	v_bfe_u32 v1, v0, 16, 1
	v_add3_u32 v0, v0, v1, s28
	v_accvgpr_write_b32 a60, v0
                                        ; implicit-def: $vgpr0
; %bb.353:                              ;   in Loop: Header=BB179_50 Depth=1
	s_andn2_saveexec_b64 s[26:27], s[8:9]
; %bb.354:                              ;   in Loop: Header=BB179_50 Depth=1
	v_or_b32_e32 v1, 0x10000, v0
	v_cmp_eq_u32_sdwa s[8:9], v0, v49 src0_sel:WORD_0 src1_sel:DWORD
	v_cndmask_b32_e64 v0, v1, v0, s[8:9]
	v_accvgpr_write_b32 a60, v0
; %bb.355:                              ;   in Loop: Header=BB179_50 Depth=1
	s_or_b64 exec, exec, s[26:27]
	buffer_load_dword v0, off, s[0:3], s32 offset:420 ; 4-byte Folded Reload
	s_waitcnt vmcnt(0)
	v_add_co_u32_e64 v0, s[8:9], v45, v0
	v_addc_co_u32_e64 v1, s[8:9], 0, v46, s[8:9]
	flat_load_dwordx4 v[0:3], v[0:1]
	s_waitcnt vmcnt(0) lgkmcnt(0)
	v_lshrrev_b32_e32 v11, 16, v0
	v_lshrrev_b32_e32 v10, 16, v1
	;; [unrolled: 1-line block ×4, first 2 shown]
	s_and_saveexec_b64 s[26:27], vcc
	s_cbranch_execz .LBB179_357
; %bb.356:                              ;   in Loop: Header=BB179_50 Depth=1
	v_cmp_lt_i32_e64 s[8:9], v52, v62
	v_accvgpr_read_b32 v12, a17
	v_cndmask_b32_e64 v0, 0, v0, s[8:9]
	v_cmp_lt_i32_e64 s[8:9], v12, v62
	v_accvgpr_read_b32 v12, a1
	v_cndmask_b32_e64 v11, 0, v11, s[8:9]
	;; [unrolled: 3-line block ×7, first 2 shown]
	v_cmp_lt_i32_e64 s[8:9], v12, v62
	v_cndmask_b32_e64 v6, 0, v6, s[8:9]
.LBB179_357:                            ;   in Loop: Header=BB179_50 Depth=1
	s_or_b64 exec, exec, s[26:27]
	v_lshlrev_b32_e32 v0, 16, v0
	v_mul_f32_e32 v0, v4, v0
	v_and_b32_e32 v12, 0x7f800000, v0
	v_cmp_ne_u32_e64 s[8:9], s15, v12
                                        ; implicit-def: $agpr61
	s_and_saveexec_b64 s[26:27], s[8:9]
	s_xor_b64 s[8:9], exec, s[26:27]
; %bb.358:                              ;   in Loop: Header=BB179_50 Depth=1
	v_bfe_u32 v12, v0, 16, 1
	v_add3_u32 v0, v0, v12, s28
	v_accvgpr_write_b32 a61, v0
                                        ; implicit-def: $vgpr0
; %bb.359:                              ;   in Loop: Header=BB179_50 Depth=1
	s_andn2_saveexec_b64 s[26:27], s[8:9]
; %bb.360:                              ;   in Loop: Header=BB179_50 Depth=1
	v_or_b32_e32 v12, 0x10000, v0
	v_cmp_eq_u32_sdwa s[8:9], v0, v49 src0_sel:WORD_0 src1_sel:DWORD
	v_cndmask_b32_e64 v0, v12, v0, s[8:9]
	v_accvgpr_write_b32 a61, v0
; %bb.361:                              ;   in Loop: Header=BB179_50 Depth=1
	s_or_b64 exec, exec, s[26:27]
	v_lshlrev_b32_e32 v0, 16, v11
	v_mul_f32_e32 v0, v23, v0
	v_and_b32_e32 v11, 0x7f800000, v0
	v_cmp_ne_u32_e64 s[8:9], s15, v11
                                        ; implicit-def: $agpr62
	s_and_saveexec_b64 s[26:27], s[8:9]
	s_xor_b64 s[8:9], exec, s[26:27]
; %bb.362:                              ;   in Loop: Header=BB179_50 Depth=1
	v_bfe_u32 v11, v0, 16, 1
	v_add3_u32 v0, v0, v11, s28
	v_accvgpr_write_b32 a62, v0
                                        ; implicit-def: $vgpr0
; %bb.363:                              ;   in Loop: Header=BB179_50 Depth=1
	s_andn2_saveexec_b64 s[26:27], s[8:9]
; %bb.364:                              ;   in Loop: Header=BB179_50 Depth=1
	v_or_b32_e32 v11, 0x10000, v0
	v_cmp_eq_u32_sdwa s[8:9], v0, v49 src0_sel:WORD_0 src1_sel:DWORD
	v_cndmask_b32_e64 v0, v11, v0, s[8:9]
	v_accvgpr_write_b32 a62, v0
; %bb.365:                              ;   in Loop: Header=BB179_50 Depth=1
	s_or_b64 exec, exec, s[26:27]
	v_lshlrev_b32_e32 v0, 16, v1
	v_mul_f32_e32 v0, v39, v0
	v_and_b32_e32 v1, 0x7f800000, v0
	v_cmp_ne_u32_e64 s[8:9], s15, v1
                                        ; implicit-def: $agpr63
	s_and_saveexec_b64 s[26:27], s[8:9]
	s_xor_b64 s[8:9], exec, s[26:27]
; %bb.366:                              ;   in Loop: Header=BB179_50 Depth=1
	v_bfe_u32 v1, v0, 16, 1
	v_add3_u32 v0, v0, v1, s28
	v_accvgpr_write_b32 a63, v0
                                        ; implicit-def: $vgpr0
; %bb.367:                              ;   in Loop: Header=BB179_50 Depth=1
	s_andn2_saveexec_b64 s[26:27], s[8:9]
; %bb.368:                              ;   in Loop: Header=BB179_50 Depth=1
	v_or_b32_e32 v1, 0x10000, v0
	v_cmp_eq_u32_sdwa s[8:9], v0, v49 src0_sel:WORD_0 src1_sel:DWORD
	v_cndmask_b32_e64 v0, v1, v0, s[8:9]
	v_accvgpr_write_b32 a63, v0
; %bb.369:                              ;   in Loop: Header=BB179_50 Depth=1
	s_or_b64 exec, exec, s[26:27]
	v_lshlrev_b32_e32 v0, 16, v10
	v_mul_f32_e32 v0, v5, v0
	v_and_b32_e32 v1, 0x7f800000, v0
	v_cmp_ne_u32_e64 s[8:9], s15, v1
                                        ; implicit-def: $agpr15
	s_and_saveexec_b64 s[26:27], s[8:9]
	s_xor_b64 s[8:9], exec, s[26:27]
; %bb.370:                              ;   in Loop: Header=BB179_50 Depth=1
	v_bfe_u32 v1, v0, 16, 1
	v_add3_u32 v0, v0, v1, s28
	v_accvgpr_write_b32 a15, v0
                                        ; implicit-def: $vgpr0
; %bb.371:                              ;   in Loop: Header=BB179_50 Depth=1
	s_andn2_saveexec_b64 s[26:27], s[8:9]
; %bb.372:                              ;   in Loop: Header=BB179_50 Depth=1
	v_or_b32_e32 v1, 0x10000, v0
	v_cmp_eq_u32_sdwa s[8:9], v0, v49 src0_sel:WORD_0 src1_sel:DWORD
	v_cndmask_b32_e64 v0, v1, v0, s[8:9]
	v_accvgpr_write_b32 a15, v0
; %bb.373:                              ;   in Loop: Header=BB179_50 Depth=1
	s_or_b64 exec, exec, s[26:27]
	v_lshlrev_b32_e32 v0, 16, v2
	v_mul_f32_e32 v0, v38, v0
	v_and_b32_e32 v1, 0x7f800000, v0
	v_cmp_ne_u32_e64 s[8:9], s15, v1
                                        ; implicit-def: $agpr32
	s_and_saveexec_b64 s[26:27], s[8:9]
	s_xor_b64 s[8:9], exec, s[26:27]
; %bb.374:                              ;   in Loop: Header=BB179_50 Depth=1
	v_bfe_u32 v1, v0, 16, 1
	v_add3_u32 v0, v0, v1, s28
	v_accvgpr_write_b32 a32, v0
                                        ; implicit-def: $vgpr0
; %bb.375:                              ;   in Loop: Header=BB179_50 Depth=1
	s_andn2_saveexec_b64 s[26:27], s[8:9]
; %bb.376:                              ;   in Loop: Header=BB179_50 Depth=1
	v_or_b32_e32 v1, 0x10000, v0
	v_cmp_eq_u32_sdwa s[8:9], v0, v49 src0_sel:WORD_0 src1_sel:DWORD
	v_cndmask_b32_e64 v0, v1, v0, s[8:9]
	v_accvgpr_write_b32 a32, v0
; %bb.377:                              ;   in Loop: Header=BB179_50 Depth=1
	s_or_b64 exec, exec, s[26:27]
	v_lshlrev_b32_e32 v0, 16, v7
	v_mul_f32_e32 v0, v21, v0
	v_and_b32_e32 v1, 0x7f800000, v0
	v_cmp_ne_u32_e64 s[8:9], s15, v1
                                        ; implicit-def: $agpr39
	s_and_saveexec_b64 s[26:27], s[8:9]
	s_xor_b64 s[8:9], exec, s[26:27]
; %bb.378:                              ;   in Loop: Header=BB179_50 Depth=1
	v_bfe_u32 v1, v0, 16, 1
	v_add3_u32 v0, v0, v1, s28
	v_accvgpr_write_b32 a39, v0
                                        ; implicit-def: $vgpr0
; %bb.379:                              ;   in Loop: Header=BB179_50 Depth=1
	s_andn2_saveexec_b64 s[26:27], s[8:9]
; %bb.380:                              ;   in Loop: Header=BB179_50 Depth=1
	v_or_b32_e32 v1, 0x10000, v0
	v_cmp_eq_u32_sdwa s[8:9], v0, v49 src0_sel:WORD_0 src1_sel:DWORD
	v_cndmask_b32_e64 v0, v1, v0, s[8:9]
	v_accvgpr_write_b32 a39, v0
; %bb.381:                              ;   in Loop: Header=BB179_50 Depth=1
	s_or_b64 exec, exec, s[26:27]
	v_lshlrev_b32_e32 v0, 16, v3
	v_mul_f32_e32 v0, v8, v0
	v_and_b32_e32 v1, 0x7f800000, v0
	v_cmp_ne_u32_e64 s[8:9], s15, v1
                                        ; implicit-def: $agpr40
	s_and_saveexec_b64 s[26:27], s[8:9]
	s_xor_b64 s[8:9], exec, s[26:27]
; %bb.382:                              ;   in Loop: Header=BB179_50 Depth=1
	v_bfe_u32 v1, v0, 16, 1
	v_add3_u32 v0, v0, v1, s28
	v_accvgpr_write_b32 a40, v0
                                        ; implicit-def: $vgpr0
; %bb.383:                              ;   in Loop: Header=BB179_50 Depth=1
	s_andn2_saveexec_b64 s[26:27], s[8:9]
; %bb.384:                              ;   in Loop: Header=BB179_50 Depth=1
	v_or_b32_e32 v1, 0x10000, v0
	v_cmp_eq_u32_sdwa s[8:9], v0, v49 src0_sel:WORD_0 src1_sel:DWORD
	v_cndmask_b32_e64 v0, v1, v0, s[8:9]
	v_accvgpr_write_b32 a40, v0
; %bb.385:                              ;   in Loop: Header=BB179_50 Depth=1
	s_or_b64 exec, exec, s[26:27]
	v_lshlrev_b32_e32 v0, 16, v6
	v_mul_f32_e32 v0, v9, v0
	v_and_b32_e32 v1, 0x7f800000, v0
	v_cmp_ne_u32_e64 s[8:9], s15, v1
                                        ; implicit-def: $agpr41
	s_and_saveexec_b64 s[26:27], s[8:9]
	s_xor_b64 s[8:9], exec, s[26:27]
; %bb.386:                              ;   in Loop: Header=BB179_50 Depth=1
	v_bfe_u32 v1, v0, 16, 1
	v_add3_u32 v0, v0, v1, s28
	v_accvgpr_write_b32 a41, v0
                                        ; implicit-def: $vgpr0
; %bb.387:                              ;   in Loop: Header=BB179_50 Depth=1
	s_andn2_saveexec_b64 s[26:27], s[8:9]
; %bb.388:                              ;   in Loop: Header=BB179_50 Depth=1
	v_or_b32_e32 v1, 0x10000, v0
	v_cmp_eq_u32_sdwa s[8:9], v0, v49 src0_sel:WORD_0 src1_sel:DWORD
	v_cndmask_b32_e64 v0, v1, v0, s[8:9]
	v_accvgpr_write_b32 a41, v0
; %bb.389:                              ;   in Loop: Header=BB179_50 Depth=1
	s_or_b64 exec, exec, s[26:27]
	buffer_load_dword v0, off, s[0:3], s32 offset:424 ; 4-byte Folded Reload
	s_waitcnt vmcnt(0)
	v_add_co_u32_e64 v0, s[8:9], v45, v0
	v_addc_co_u32_e64 v1, s[8:9], 0, v46, s[8:9]
	flat_load_dwordx4 v[0:3], v[0:1]
	s_waitcnt vmcnt(0) lgkmcnt(0)
	v_lshrrev_b32_e32 v11, 16, v0
	v_lshrrev_b32_e32 v10, 16, v1
	v_lshrrev_b32_e32 v7, 16, v2
	v_lshrrev_b32_e32 v6, 16, v3
	s_and_saveexec_b64 s[26:27], vcc
	s_cbranch_execz .LBB179_391
; %bb.390:                              ;   in Loop: Header=BB179_50 Depth=1
	v_cmp_lt_i32_e64 s[8:9], v52, v62
	v_accvgpr_read_b32 v12, a17
	v_cndmask_b32_e64 v0, 0, v0, s[8:9]
	v_cmp_lt_i32_e64 s[8:9], v12, v62
	v_accvgpr_read_b32 v12, a1
	v_cndmask_b32_e64 v11, 0, v11, s[8:9]
	;; [unrolled: 3-line block ×7, first 2 shown]
	v_cmp_lt_i32_e64 s[8:9], v12, v62
	v_cndmask_b32_e64 v6, 0, v6, s[8:9]
.LBB179_391:                            ;   in Loop: Header=BB179_50 Depth=1
	s_or_b64 exec, exec, s[26:27]
	v_lshlrev_b32_e32 v0, 16, v0
	v_mul_f32_e32 v0, v4, v0
	v_and_b32_e32 v12, 0x7f800000, v0
	v_cmp_ne_u32_e64 s[8:9], s15, v12
                                        ; implicit-def: $agpr42
	s_and_saveexec_b64 s[26:27], s[8:9]
	s_xor_b64 s[8:9], exec, s[26:27]
; %bb.392:                              ;   in Loop: Header=BB179_50 Depth=1
	v_bfe_u32 v12, v0, 16, 1
	v_add3_u32 v0, v0, v12, s28
	v_accvgpr_write_b32 a42, v0
                                        ; implicit-def: $vgpr0
; %bb.393:                              ;   in Loop: Header=BB179_50 Depth=1
	s_andn2_saveexec_b64 s[26:27], s[8:9]
; %bb.394:                              ;   in Loop: Header=BB179_50 Depth=1
	v_or_b32_e32 v12, 0x10000, v0
	v_cmp_eq_u32_sdwa s[8:9], v0, v49 src0_sel:WORD_0 src1_sel:DWORD
	v_cndmask_b32_e64 v0, v12, v0, s[8:9]
	v_accvgpr_write_b32 a42, v0
; %bb.395:                              ;   in Loop: Header=BB179_50 Depth=1
	s_or_b64 exec, exec, s[26:27]
	v_lshlrev_b32_e32 v0, 16, v11
	v_mul_f32_e32 v0, v23, v0
	v_and_b32_e32 v11, 0x7f800000, v0
	v_cmp_ne_u32_e64 s[8:9], s15, v11
                                        ; implicit-def: $agpr43
	s_and_saveexec_b64 s[26:27], s[8:9]
	s_xor_b64 s[8:9], exec, s[26:27]
; %bb.396:                              ;   in Loop: Header=BB179_50 Depth=1
	v_bfe_u32 v11, v0, 16, 1
	v_add3_u32 v0, v0, v11, s28
	v_accvgpr_write_b32 a43, v0
                                        ; implicit-def: $vgpr0
; %bb.397:                              ;   in Loop: Header=BB179_50 Depth=1
	s_andn2_saveexec_b64 s[26:27], s[8:9]
; %bb.398:                              ;   in Loop: Header=BB179_50 Depth=1
	v_or_b32_e32 v11, 0x10000, v0
	v_cmp_eq_u32_sdwa s[8:9], v0, v49 src0_sel:WORD_0 src1_sel:DWORD
	v_cndmask_b32_e64 v0, v11, v0, s[8:9]
	v_accvgpr_write_b32 a43, v0
; %bb.399:                              ;   in Loop: Header=BB179_50 Depth=1
	s_or_b64 exec, exec, s[26:27]
	v_lshlrev_b32_e32 v0, 16, v1
	v_mul_f32_e32 v0, v39, v0
	v_and_b32_e32 v1, 0x7f800000, v0
	v_cmp_ne_u32_e64 s[8:9], s15, v1
                                        ; implicit-def: $agpr44
	s_and_saveexec_b64 s[26:27], s[8:9]
	s_xor_b64 s[8:9], exec, s[26:27]
; %bb.400:                              ;   in Loop: Header=BB179_50 Depth=1
	v_bfe_u32 v1, v0, 16, 1
	v_add3_u32 v0, v0, v1, s28
	v_accvgpr_write_b32 a44, v0
                                        ; implicit-def: $vgpr0
; %bb.401:                              ;   in Loop: Header=BB179_50 Depth=1
	s_andn2_saveexec_b64 s[26:27], s[8:9]
; %bb.402:                              ;   in Loop: Header=BB179_50 Depth=1
	v_or_b32_e32 v1, 0x10000, v0
	v_cmp_eq_u32_sdwa s[8:9], v0, v49 src0_sel:WORD_0 src1_sel:DWORD
	v_cndmask_b32_e64 v0, v1, v0, s[8:9]
	v_accvgpr_write_b32 a44, v0
; %bb.403:                              ;   in Loop: Header=BB179_50 Depth=1
	s_or_b64 exec, exec, s[26:27]
	v_lshlrev_b32_e32 v0, 16, v10
	v_mul_f32_e32 v0, v5, v0
	v_and_b32_e32 v1, 0x7f800000, v0
	v_cmp_ne_u32_e64 s[8:9], s15, v1
                                        ; implicit-def: $agpr45
	s_and_saveexec_b64 s[26:27], s[8:9]
	s_xor_b64 s[8:9], exec, s[26:27]
; %bb.404:                              ;   in Loop: Header=BB179_50 Depth=1
	v_bfe_u32 v1, v0, 16, 1
	v_add3_u32 v0, v0, v1, s28
	v_accvgpr_write_b32 a45, v0
                                        ; implicit-def: $vgpr0
; %bb.405:                              ;   in Loop: Header=BB179_50 Depth=1
	s_andn2_saveexec_b64 s[26:27], s[8:9]
; %bb.406:                              ;   in Loop: Header=BB179_50 Depth=1
	v_or_b32_e32 v1, 0x10000, v0
	v_cmp_eq_u32_sdwa s[8:9], v0, v49 src0_sel:WORD_0 src1_sel:DWORD
	v_cndmask_b32_e64 v0, v1, v0, s[8:9]
	v_accvgpr_write_b32 a45, v0
; %bb.407:                              ;   in Loop: Header=BB179_50 Depth=1
	s_or_b64 exec, exec, s[26:27]
	v_lshlrev_b32_e32 v0, 16, v2
	v_mul_f32_e32 v0, v38, v0
	v_and_b32_e32 v1, 0x7f800000, v0
	v_cmp_ne_u32_e64 s[8:9], s15, v1
                                        ; implicit-def: $agpr46
	s_and_saveexec_b64 s[26:27], s[8:9]
	s_xor_b64 s[8:9], exec, s[26:27]
; %bb.408:                              ;   in Loop: Header=BB179_50 Depth=1
	v_bfe_u32 v1, v0, 16, 1
	v_add3_u32 v0, v0, v1, s28
	v_accvgpr_write_b32 a46, v0
                                        ; implicit-def: $vgpr0
; %bb.409:                              ;   in Loop: Header=BB179_50 Depth=1
	s_andn2_saveexec_b64 s[26:27], s[8:9]
; %bb.410:                              ;   in Loop: Header=BB179_50 Depth=1
	v_or_b32_e32 v1, 0x10000, v0
	v_cmp_eq_u32_sdwa s[8:9], v0, v49 src0_sel:WORD_0 src1_sel:DWORD
	v_cndmask_b32_e64 v0, v1, v0, s[8:9]
	v_accvgpr_write_b32 a46, v0
; %bb.411:                              ;   in Loop: Header=BB179_50 Depth=1
	s_or_b64 exec, exec, s[26:27]
	v_lshlrev_b32_e32 v0, 16, v7
	v_mul_f32_e32 v0, v21, v0
	v_and_b32_e32 v1, 0x7f800000, v0
	v_cmp_ne_u32_e64 s[8:9], s15, v1
                                        ; implicit-def: $agpr47
	s_and_saveexec_b64 s[26:27], s[8:9]
	s_xor_b64 s[8:9], exec, s[26:27]
; %bb.412:                              ;   in Loop: Header=BB179_50 Depth=1
	v_bfe_u32 v1, v0, 16, 1
	v_add3_u32 v0, v0, v1, s28
	v_accvgpr_write_b32 a47, v0
                                        ; implicit-def: $vgpr0
; %bb.413:                              ;   in Loop: Header=BB179_50 Depth=1
	s_andn2_saveexec_b64 s[26:27], s[8:9]
; %bb.414:                              ;   in Loop: Header=BB179_50 Depth=1
	v_or_b32_e32 v1, 0x10000, v0
	v_cmp_eq_u32_sdwa s[8:9], v0, v49 src0_sel:WORD_0 src1_sel:DWORD
	v_cndmask_b32_e64 v0, v1, v0, s[8:9]
	v_accvgpr_write_b32 a47, v0
; %bb.415:                              ;   in Loop: Header=BB179_50 Depth=1
	s_or_b64 exec, exec, s[26:27]
	v_lshlrev_b32_e32 v0, 16, v3
	v_mul_f32_e32 v0, v8, v0
	v_and_b32_e32 v1, 0x7f800000, v0
	v_cmp_ne_u32_e64 s[8:9], s15, v1
                                        ; implicit-def: $agpr48
	s_and_saveexec_b64 s[26:27], s[8:9]
	s_xor_b64 s[8:9], exec, s[26:27]
; %bb.416:                              ;   in Loop: Header=BB179_50 Depth=1
	v_bfe_u32 v1, v0, 16, 1
	v_add3_u32 v0, v0, v1, s28
	v_accvgpr_write_b32 a48, v0
                                        ; implicit-def: $vgpr0
; %bb.417:                              ;   in Loop: Header=BB179_50 Depth=1
	s_andn2_saveexec_b64 s[26:27], s[8:9]
; %bb.418:                              ;   in Loop: Header=BB179_50 Depth=1
	v_or_b32_e32 v1, 0x10000, v0
	v_cmp_eq_u32_sdwa s[8:9], v0, v49 src0_sel:WORD_0 src1_sel:DWORD
	v_cndmask_b32_e64 v0, v1, v0, s[8:9]
	v_accvgpr_write_b32 a48, v0
; %bb.419:                              ;   in Loop: Header=BB179_50 Depth=1
	s_or_b64 exec, exec, s[26:27]
	v_lshlrev_b32_e32 v0, 16, v6
	v_mul_f32_e32 v0, v9, v0
	v_and_b32_e32 v1, 0x7f800000, v0
	v_cmp_ne_u32_e64 s[8:9], s15, v1
                                        ; implicit-def: $vgpr58
	s_and_saveexec_b64 s[26:27], s[8:9]
	s_xor_b64 s[8:9], exec, s[26:27]
; %bb.420:                              ;   in Loop: Header=BB179_50 Depth=1
	v_bfe_u32 v1, v0, 16, 1
	v_add3_u32 v58, v0, v1, s28
                                        ; implicit-def: $vgpr0
; %bb.421:                              ;   in Loop: Header=BB179_50 Depth=1
	s_andn2_saveexec_b64 s[26:27], s[8:9]
; %bb.422:                              ;   in Loop: Header=BB179_50 Depth=1
	v_or_b32_e32 v1, 0x10000, v0
	v_cmp_eq_u32_sdwa s[8:9], v0, v49 src0_sel:WORD_0 src1_sel:DWORD
	v_cndmask_b32_e64 v58, v1, v0, s[8:9]
; %bb.423:                              ;   in Loop: Header=BB179_50 Depth=1
	s_or_b64 exec, exec, s[26:27]
	buffer_load_dword v0, off, s[0:3], s32 offset:428 ; 4-byte Folded Reload
	s_waitcnt vmcnt(0)
	v_add_co_u32_e64 v0, s[8:9], v45, v0
	v_addc_co_u32_e64 v1, s[8:9], 0, v46, s[8:9]
	flat_load_dwordx4 v[0:3], v[0:1]
	s_waitcnt vmcnt(0) lgkmcnt(0)
	v_lshrrev_b32_e32 v11, 16, v0
	v_lshrrev_b32_e32 v10, 16, v1
	;; [unrolled: 1-line block ×4, first 2 shown]
	s_and_saveexec_b64 s[26:27], vcc
	s_cbranch_execz .LBB179_425
; %bb.424:                              ;   in Loop: Header=BB179_50 Depth=1
	v_cmp_lt_i32_e64 s[8:9], v52, v62
	v_accvgpr_read_b32 v12, a17
	v_cndmask_b32_e64 v0, 0, v0, s[8:9]
	v_cmp_lt_i32_e64 s[8:9], v12, v62
	v_accvgpr_read_b32 v12, a1
	v_cndmask_b32_e64 v11, 0, v11, s[8:9]
	;; [unrolled: 3-line block ×7, first 2 shown]
	v_cmp_lt_i32_e64 s[8:9], v12, v62
	v_cndmask_b32_e64 v7, 0, v7, s[8:9]
.LBB179_425:                            ;   in Loop: Header=BB179_50 Depth=1
	s_or_b64 exec, exec, s[26:27]
	v_lshlrev_b32_e32 v0, 16, v0
	v_mul_f32_e32 v0, v4, v0
	v_and_b32_e32 v12, 0x7f800000, v0
	v_cmp_ne_u32_e64 s[8:9], s15, v12
                                        ; implicit-def: $vgpr59
	s_and_saveexec_b64 s[26:27], s[8:9]
	s_xor_b64 s[8:9], exec, s[26:27]
; %bb.426:                              ;   in Loop: Header=BB179_50 Depth=1
	v_bfe_u32 v12, v0, 16, 1
	v_add3_u32 v59, v0, v12, s28
                                        ; implicit-def: $vgpr0
; %bb.427:                              ;   in Loop: Header=BB179_50 Depth=1
	s_andn2_saveexec_b64 s[26:27], s[8:9]
; %bb.428:                              ;   in Loop: Header=BB179_50 Depth=1
	v_or_b32_e32 v12, 0x10000, v0
	v_cmp_eq_u32_sdwa s[8:9], v0, v49 src0_sel:WORD_0 src1_sel:DWORD
	v_cndmask_b32_e64 v59, v12, v0, s[8:9]
; %bb.429:                              ;   in Loop: Header=BB179_50 Depth=1
	s_or_b64 exec, exec, s[26:27]
	v_lshlrev_b32_e32 v0, 16, v11
	v_mul_f32_e32 v0, v23, v0
	v_and_b32_e32 v11, 0x7f800000, v0
	v_cmp_ne_u32_e64 s[8:9], s15, v11
                                        ; implicit-def: $vgpr60
	s_and_saveexec_b64 s[26:27], s[8:9]
	s_xor_b64 s[8:9], exec, s[26:27]
; %bb.430:                              ;   in Loop: Header=BB179_50 Depth=1
	v_bfe_u32 v11, v0, 16, 1
	v_add3_u32 v60, v0, v11, s28
                                        ; implicit-def: $vgpr0
; %bb.431:                              ;   in Loop: Header=BB179_50 Depth=1
	s_andn2_saveexec_b64 s[26:27], s[8:9]
; %bb.432:                              ;   in Loop: Header=BB179_50 Depth=1
	v_or_b32_e32 v11, 0x10000, v0
	v_cmp_eq_u32_sdwa s[8:9], v0, v49 src0_sel:WORD_0 src1_sel:DWORD
	v_cndmask_b32_e64 v60, v11, v0, s[8:9]
; %bb.433:                              ;   in Loop: Header=BB179_50 Depth=1
	s_or_b64 exec, exec, s[26:27]
	v_lshlrev_b32_e32 v0, 16, v1
	v_mul_f32_e32 v0, v39, v0
	v_and_b32_e32 v1, 0x7f800000, v0
	v_cmp_ne_u32_e64 s[8:9], s15, v1
                                        ; implicit-def: $vgpr61
	s_and_saveexec_b64 s[26:27], s[8:9]
	s_xor_b64 s[8:9], exec, s[26:27]
; %bb.434:                              ;   in Loop: Header=BB179_50 Depth=1
	v_bfe_u32 v1, v0, 16, 1
	v_add3_u32 v61, v0, v1, s28
                                        ; implicit-def: $vgpr0
; %bb.435:                              ;   in Loop: Header=BB179_50 Depth=1
	s_andn2_saveexec_b64 s[26:27], s[8:9]
; %bb.436:                              ;   in Loop: Header=BB179_50 Depth=1
	v_or_b32_e32 v1, 0x10000, v0
	v_cmp_eq_u32_sdwa s[8:9], v0, v49 src0_sel:WORD_0 src1_sel:DWORD
	v_cndmask_b32_e64 v61, v1, v0, s[8:9]
; %bb.437:                              ;   in Loop: Header=BB179_50 Depth=1
	s_or_b64 exec, exec, s[26:27]
	v_lshlrev_b32_e32 v0, 16, v10
	v_mul_f32_e32 v0, v5, v0
	v_and_b32_e32 v1, 0x7f800000, v0
	v_cmp_ne_u32_e64 s[8:9], s15, v1
                                        ; implicit-def: $vgpr27
	s_and_saveexec_b64 s[26:27], s[8:9]
	s_xor_b64 s[8:9], exec, s[26:27]
; %bb.438:                              ;   in Loop: Header=BB179_50 Depth=1
	v_bfe_u32 v1, v0, 16, 1
	v_add3_u32 v27, v0, v1, s28
                                        ; implicit-def: $vgpr0
; %bb.439:                              ;   in Loop: Header=BB179_50 Depth=1
	s_andn2_saveexec_b64 s[26:27], s[8:9]
; %bb.440:                              ;   in Loop: Header=BB179_50 Depth=1
	v_or_b32_e32 v1, 0x10000, v0
	v_cmp_eq_u32_sdwa s[8:9], v0, v49 src0_sel:WORD_0 src1_sel:DWORD
	v_cndmask_b32_e64 v27, v1, v0, s[8:9]
; %bb.441:                              ;   in Loop: Header=BB179_50 Depth=1
	s_or_b64 exec, exec, s[26:27]
	v_lshlrev_b32_e32 v0, 16, v2
	v_mul_f32_e32 v0, v38, v0
	v_and_b32_e32 v1, 0x7f800000, v0
	v_cmp_ne_u32_e64 s[8:9], s15, v1
                                        ; implicit-def: $vgpr26
	s_and_saveexec_b64 s[26:27], s[8:9]
	s_xor_b64 s[8:9], exec, s[26:27]
; %bb.442:                              ;   in Loop: Header=BB179_50 Depth=1
	v_bfe_u32 v1, v0, 16, 1
	v_add3_u32 v26, v0, v1, s28
                                        ; implicit-def: $vgpr0
; %bb.443:                              ;   in Loop: Header=BB179_50 Depth=1
	s_andn2_saveexec_b64 s[26:27], s[8:9]
; %bb.444:                              ;   in Loop: Header=BB179_50 Depth=1
	v_or_b32_e32 v1, 0x10000, v0
	v_cmp_eq_u32_sdwa s[8:9], v0, v49 src0_sel:WORD_0 src1_sel:DWORD
	v_cndmask_b32_e64 v26, v1, v0, s[8:9]
; %bb.445:                              ;   in Loop: Header=BB179_50 Depth=1
	s_or_b64 exec, exec, s[26:27]
	v_lshlrev_b32_e32 v0, 16, v6
	v_mul_f32_e32 v0, v21, v0
	v_and_b32_e32 v1, 0x7f800000, v0
	v_cmp_ne_u32_e64 s[8:9], s15, v1
                                        ; implicit-def: $vgpr22
	s_and_saveexec_b64 s[26:27], s[8:9]
	s_xor_b64 s[8:9], exec, s[26:27]
; %bb.446:                              ;   in Loop: Header=BB179_50 Depth=1
	v_bfe_u32 v1, v0, 16, 1
	v_add3_u32 v22, v0, v1, s28
                                        ; implicit-def: $vgpr0
; %bb.447:                              ;   in Loop: Header=BB179_50 Depth=1
	s_andn2_saveexec_b64 s[26:27], s[8:9]
; %bb.448:                              ;   in Loop: Header=BB179_50 Depth=1
	v_or_b32_e32 v1, 0x10000, v0
	v_cmp_eq_u32_sdwa s[8:9], v0, v49 src0_sel:WORD_0 src1_sel:DWORD
	v_cndmask_b32_e64 v22, v1, v0, s[8:9]
; %bb.449:                              ;   in Loop: Header=BB179_50 Depth=1
	s_or_b64 exec, exec, s[26:27]
	v_lshlrev_b32_e32 v0, 16, v3
	v_mul_f32_e32 v0, v8, v0
	v_and_b32_e32 v1, 0x7f800000, v0
	v_cmp_ne_u32_e64 s[8:9], s15, v1
                                        ; implicit-def: $vgpr6
	s_and_saveexec_b64 s[26:27], s[8:9]
	s_xor_b64 s[8:9], exec, s[26:27]
; %bb.450:                              ;   in Loop: Header=BB179_50 Depth=1
	v_bfe_u32 v1, v0, 16, 1
	v_add3_u32 v6, v0, v1, s28
                                        ; implicit-def: $vgpr0
; %bb.451:                              ;   in Loop: Header=BB179_50 Depth=1
	s_andn2_saveexec_b64 s[26:27], s[8:9]
; %bb.452:                              ;   in Loop: Header=BB179_50 Depth=1
	v_or_b32_e32 v1, 0x10000, v0
	v_cmp_eq_u32_sdwa s[8:9], v0, v49 src0_sel:WORD_0 src1_sel:DWORD
	v_cndmask_b32_e64 v6, v1, v0, s[8:9]
; %bb.453:                              ;   in Loop: Header=BB179_50 Depth=1
	s_or_b64 exec, exec, s[26:27]
	v_lshlrev_b32_e32 v0, 16, v7
	v_mul_f32_e32 v0, v9, v0
	v_and_b32_e32 v1, 0x7f800000, v0
	v_cmp_ne_u32_e64 s[8:9], s15, v1
                                        ; implicit-def: $vgpr12
	s_and_saveexec_b64 s[26:27], s[8:9]
	s_xor_b64 s[8:9], exec, s[26:27]
; %bb.454:                              ;   in Loop: Header=BB179_50 Depth=1
	v_bfe_u32 v1, v0, 16, 1
	v_add3_u32 v12, v0, v1, s28
                                        ; implicit-def: $vgpr0
; %bb.455:                              ;   in Loop: Header=BB179_50 Depth=1
	s_andn2_saveexec_b64 s[26:27], s[8:9]
; %bb.456:                              ;   in Loop: Header=BB179_50 Depth=1
	v_or_b32_e32 v1, 0x10000, v0
	v_cmp_eq_u32_sdwa s[8:9], v0, v49 src0_sel:WORD_0 src1_sel:DWORD
	v_cndmask_b32_e64 v12, v1, v0, s[8:9]
; %bb.457:                              ;   in Loop: Header=BB179_50 Depth=1
	s_or_b64 exec, exec, s[26:27]
	buffer_load_dword v0, off, s[0:3], s32 offset:432 ; 4-byte Folded Reload
	s_waitcnt vmcnt(0)
	v_add_co_u32_e64 v0, s[8:9], v45, v0
	v_addc_co_u32_e64 v1, s[8:9], 0, v46, s[8:9]
	flat_load_dwordx4 v[0:3], v[0:1]
	s_waitcnt vmcnt(0) lgkmcnt(0)
	v_lshrrev_b32_e32 v16, 16, v0
	v_lshrrev_b32_e32 v11, 16, v1
	;; [unrolled: 1-line block ×4, first 2 shown]
	s_and_saveexec_b64 s[26:27], vcc
	s_cbranch_execz .LBB179_459
; %bb.458:                              ;   in Loop: Header=BB179_50 Depth=1
	v_cmp_lt_i32_e64 s[8:9], v52, v62
	v_accvgpr_read_b32 v13, a17
	v_cndmask_b32_e64 v0, 0, v0, s[8:9]
	v_cmp_lt_i32_e64 s[8:9], v13, v62
	v_accvgpr_read_b32 v13, a1
	v_cndmask_b32_e64 v16, 0, v16, s[8:9]
	;; [unrolled: 3-line block ×7, first 2 shown]
	v_cmp_lt_i32_e64 s[8:9], v13, v62
	v_cndmask_b32_e64 v10, 0, v10, s[8:9]
.LBB179_459:                            ;   in Loop: Header=BB179_50 Depth=1
	s_or_b64 exec, exec, s[26:27]
	v_lshlrev_b32_e32 v0, 16, v0
	v_mul_f32_e32 v0, v4, v0
	v_and_b32_e32 v13, 0x7f800000, v0
	v_cmp_ne_u32_e64 s[8:9], s15, v13
                                        ; implicit-def: $vgpr13
	s_and_saveexec_b64 s[26:27], s[8:9]
	s_xor_b64 s[8:9], exec, s[26:27]
; %bb.460:                              ;   in Loop: Header=BB179_50 Depth=1
	v_bfe_u32 v13, v0, 16, 1
	v_add3_u32 v13, v0, v13, s28
                                        ; implicit-def: $vgpr0
; %bb.461:                              ;   in Loop: Header=BB179_50 Depth=1
	s_andn2_saveexec_b64 s[26:27], s[8:9]
; %bb.462:                              ;   in Loop: Header=BB179_50 Depth=1
	v_or_b32_e32 v13, 0x10000, v0
	v_cmp_eq_u32_sdwa s[8:9], v0, v49 src0_sel:WORD_0 src1_sel:DWORD
	v_cndmask_b32_e64 v13, v13, v0, s[8:9]
; %bb.463:                              ;   in Loop: Header=BB179_50 Depth=1
	s_or_b64 exec, exec, s[26:27]
	v_lshlrev_b32_e32 v0, 16, v16
	v_mul_f32_e32 v0, v23, v0
	v_and_b32_e32 v16, 0x7f800000, v0
	v_cmp_ne_u32_e64 s[8:9], s15, v16
                                        ; implicit-def: $vgpr16
	s_and_saveexec_b64 s[26:27], s[8:9]
	s_xor_b64 s[8:9], exec, s[26:27]
; %bb.464:                              ;   in Loop: Header=BB179_50 Depth=1
	v_bfe_u32 v16, v0, 16, 1
	v_add3_u32 v16, v0, v16, s28
                                        ; implicit-def: $vgpr0
; %bb.465:                              ;   in Loop: Header=BB179_50 Depth=1
	s_andn2_saveexec_b64 s[26:27], s[8:9]
; %bb.466:                              ;   in Loop: Header=BB179_50 Depth=1
	v_or_b32_e32 v16, 0x10000, v0
	v_cmp_eq_u32_sdwa s[8:9], v0, v49 src0_sel:WORD_0 src1_sel:DWORD
	v_cndmask_b32_e64 v16, v16, v0, s[8:9]
; %bb.467:                              ;   in Loop: Header=BB179_50 Depth=1
	s_or_b64 exec, exec, s[26:27]
	v_lshlrev_b32_e32 v0, 16, v1
	v_mul_f32_e32 v0, v39, v0
	v_and_b32_e32 v1, 0x7f800000, v0
	v_cmp_ne_u32_e64 s[8:9], s15, v1
                                        ; implicit-def: $vgpr17
	s_and_saveexec_b64 s[26:27], s[8:9]
	s_xor_b64 s[8:9], exec, s[26:27]
; %bb.468:                              ;   in Loop: Header=BB179_50 Depth=1
	v_bfe_u32 v1, v0, 16, 1
	v_add3_u32 v17, v0, v1, s28
                                        ; implicit-def: $vgpr0
; %bb.469:                              ;   in Loop: Header=BB179_50 Depth=1
	s_andn2_saveexec_b64 s[26:27], s[8:9]
; %bb.470:                              ;   in Loop: Header=BB179_50 Depth=1
	v_or_b32_e32 v1, 0x10000, v0
	v_cmp_eq_u32_sdwa s[8:9], v0, v49 src0_sel:WORD_0 src1_sel:DWORD
	v_cndmask_b32_e64 v17, v1, v0, s[8:9]
; %bb.471:                              ;   in Loop: Header=BB179_50 Depth=1
	s_or_b64 exec, exec, s[26:27]
	v_lshlrev_b32_e32 v0, 16, v11
	v_mul_f32_e32 v0, v5, v0
	v_and_b32_e32 v1, 0x7f800000, v0
	v_cmp_ne_u32_e64 s[8:9], s15, v1
                                        ; implicit-def: $vgpr18
	s_and_saveexec_b64 s[26:27], s[8:9]
	s_xor_b64 s[8:9], exec, s[26:27]
; %bb.472:                              ;   in Loop: Header=BB179_50 Depth=1
	v_bfe_u32 v1, v0, 16, 1
	v_add3_u32 v18, v0, v1, s28
                                        ; implicit-def: $vgpr0
; %bb.473:                              ;   in Loop: Header=BB179_50 Depth=1
	s_andn2_saveexec_b64 s[26:27], s[8:9]
; %bb.474:                              ;   in Loop: Header=BB179_50 Depth=1
	v_or_b32_e32 v1, 0x10000, v0
	v_cmp_eq_u32_sdwa s[8:9], v0, v49 src0_sel:WORD_0 src1_sel:DWORD
	v_cndmask_b32_e64 v18, v1, v0, s[8:9]
; %bb.475:                              ;   in Loop: Header=BB179_50 Depth=1
	s_or_b64 exec, exec, s[26:27]
	v_lshlrev_b32_e32 v0, 16, v2
	v_mul_f32_e32 v0, v38, v0
	v_and_b32_e32 v1, 0x7f800000, v0
	v_cmp_ne_u32_e64 s[8:9], s15, v1
                                        ; implicit-def: $vgpr19
	s_and_saveexec_b64 s[26:27], s[8:9]
	s_xor_b64 s[8:9], exec, s[26:27]
; %bb.476:                              ;   in Loop: Header=BB179_50 Depth=1
	v_bfe_u32 v1, v0, 16, 1
	v_add3_u32 v19, v0, v1, s28
                                        ; implicit-def: $vgpr0
; %bb.477:                              ;   in Loop: Header=BB179_50 Depth=1
	s_andn2_saveexec_b64 s[26:27], s[8:9]
; %bb.478:                              ;   in Loop: Header=BB179_50 Depth=1
	v_or_b32_e32 v1, 0x10000, v0
	v_cmp_eq_u32_sdwa s[8:9], v0, v49 src0_sel:WORD_0 src1_sel:DWORD
	v_cndmask_b32_e64 v19, v1, v0, s[8:9]
; %bb.479:                              ;   in Loop: Header=BB179_50 Depth=1
	s_or_b64 exec, exec, s[26:27]
	v_lshlrev_b32_e32 v0, 16, v7
	v_mul_f32_e32 v0, v21, v0
	v_and_b32_e32 v1, 0x7f800000, v0
	v_cmp_ne_u32_e64 s[8:9], s15, v1
                                        ; implicit-def: $vgpr7
	s_and_saveexec_b64 s[26:27], s[8:9]
	s_xor_b64 s[8:9], exec, s[26:27]
; %bb.480:                              ;   in Loop: Header=BB179_50 Depth=1
	v_bfe_u32 v1, v0, 16, 1
	v_add3_u32 v7, v0, v1, s28
                                        ; implicit-def: $vgpr0
; %bb.481:                              ;   in Loop: Header=BB179_50 Depth=1
	s_andn2_saveexec_b64 s[26:27], s[8:9]
; %bb.482:                              ;   in Loop: Header=BB179_50 Depth=1
	v_or_b32_e32 v1, 0x10000, v0
	v_cmp_eq_u32_sdwa s[8:9], v0, v49 src0_sel:WORD_0 src1_sel:DWORD
	v_cndmask_b32_e64 v7, v1, v0, s[8:9]
; %bb.483:                              ;   in Loop: Header=BB179_50 Depth=1
	s_or_b64 exec, exec, s[26:27]
	v_lshlrev_b32_e32 v0, 16, v3
	v_mul_f32_e32 v0, v8, v0
	v_and_b32_e32 v1, 0x7f800000, v0
	v_cmp_ne_u32_e64 s[8:9], s15, v1
                                        ; implicit-def: $vgpr28
	s_and_saveexec_b64 s[26:27], s[8:9]
	s_xor_b64 s[8:9], exec, s[26:27]
; %bb.484:                              ;   in Loop: Header=BB179_50 Depth=1
	v_bfe_u32 v1, v0, 16, 1
	v_add3_u32 v28, v0, v1, s28
                                        ; implicit-def: $vgpr0
; %bb.485:                              ;   in Loop: Header=BB179_50 Depth=1
	s_andn2_saveexec_b64 s[26:27], s[8:9]
; %bb.486:                              ;   in Loop: Header=BB179_50 Depth=1
	v_or_b32_e32 v1, 0x10000, v0
	v_cmp_eq_u32_sdwa s[8:9], v0, v49 src0_sel:WORD_0 src1_sel:DWORD
	v_cndmask_b32_e64 v28, v1, v0, s[8:9]
; %bb.487:                              ;   in Loop: Header=BB179_50 Depth=1
	s_or_b64 exec, exec, s[26:27]
	v_lshlrev_b32_e32 v0, 16, v10
	v_mul_f32_e32 v0, v9, v0
	v_and_b32_e32 v1, 0x7f800000, v0
	v_cmp_ne_u32_e64 s[8:9], s15, v1
                                        ; implicit-def: $vgpr29
	s_and_saveexec_b64 s[26:27], s[8:9]
	s_xor_b64 s[8:9], exec, s[26:27]
; %bb.488:                              ;   in Loop: Header=BB179_50 Depth=1
	v_bfe_u32 v1, v0, 16, 1
	v_add3_u32 v29, v0, v1, s28
                                        ; implicit-def: $vgpr0
; %bb.489:                              ;   in Loop: Header=BB179_50 Depth=1
	s_andn2_saveexec_b64 s[26:27], s[8:9]
; %bb.490:                              ;   in Loop: Header=BB179_50 Depth=1
	v_or_b32_e32 v1, 0x10000, v0
	v_cmp_eq_u32_sdwa s[8:9], v0, v49 src0_sel:WORD_0 src1_sel:DWORD
	v_cndmask_b32_e64 v29, v1, v0, s[8:9]
; %bb.491:                              ;   in Loop: Header=BB179_50 Depth=1
	s_or_b64 exec, exec, s[26:27]
	buffer_load_dword v0, off, s[0:3], s32 offset:436 ; 4-byte Folded Reload
	s_waitcnt vmcnt(0)
	v_add_co_u32_e64 v0, s[8:9], v45, v0
	v_addc_co_u32_e64 v1, s[8:9], 0, v46, s[8:9]
	flat_load_dwordx4 v[0:3], v[0:1]
	s_waitcnt vmcnt(0) lgkmcnt(0)
	v_lshrrev_b32_e32 v24, 16, v0
	v_lshrrev_b32_e32 v20, 16, v1
	v_lshrrev_b32_e32 v11, 16, v2
	v_lshrrev_b32_e32 v10, 16, v3
	s_and_saveexec_b64 s[26:27], vcc
	s_cbranch_execz .LBB179_493
; %bb.492:                              ;   in Loop: Header=BB179_50 Depth=1
	v_cmp_lt_i32_e64 s[8:9], v52, v62
	v_accvgpr_read_b32 v30, a17
	v_cndmask_b32_e64 v0, 0, v0, s[8:9]
	v_cmp_lt_i32_e64 s[8:9], v30, v62
	v_accvgpr_read_b32 v30, a1
	v_cndmask_b32_e64 v24, 0, v24, s[8:9]
	;; [unrolled: 3-line block ×7, first 2 shown]
	v_cmp_lt_i32_e64 s[8:9], v30, v62
	v_cndmask_b32_e64 v10, 0, v10, s[8:9]
.LBB179_493:                            ;   in Loop: Header=BB179_50 Depth=1
	s_or_b64 exec, exec, s[26:27]
	v_lshlrev_b32_e32 v0, 16, v0
	v_mul_f32_e32 v0, v4, v0
	v_and_b32_e32 v30, 0x7f800000, v0
	v_cmp_ne_u32_e64 s[8:9], s15, v30
                                        ; implicit-def: $vgpr30
	s_and_saveexec_b64 s[26:27], s[8:9]
	s_xor_b64 s[8:9], exec, s[26:27]
; %bb.494:                              ;   in Loop: Header=BB179_50 Depth=1
	v_bfe_u32 v30, v0, 16, 1
	v_add3_u32 v30, v0, v30, s28
                                        ; implicit-def: $vgpr0
; %bb.495:                              ;   in Loop: Header=BB179_50 Depth=1
	s_andn2_saveexec_b64 s[26:27], s[8:9]
; %bb.496:                              ;   in Loop: Header=BB179_50 Depth=1
	v_or_b32_e32 v30, 0x10000, v0
	v_cmp_eq_u32_sdwa s[8:9], v0, v49 src0_sel:WORD_0 src1_sel:DWORD
	v_cndmask_b32_e64 v30, v30, v0, s[8:9]
; %bb.497:                              ;   in Loop: Header=BB179_50 Depth=1
	s_or_b64 exec, exec, s[26:27]
	v_lshlrev_b32_e32 v0, 16, v24
	v_mul_f32_e32 v0, v23, v0
	v_and_b32_e32 v24, 0x7f800000, v0
	v_cmp_ne_u32_e64 s[8:9], s15, v24
                                        ; implicit-def: $vgpr31
	s_and_saveexec_b64 s[26:27], s[8:9]
	s_xor_b64 s[8:9], exec, s[26:27]
; %bb.498:                              ;   in Loop: Header=BB179_50 Depth=1
	v_bfe_u32 v24, v0, 16, 1
	v_add3_u32 v31, v0, v24, s28
                                        ; implicit-def: $vgpr0
; %bb.499:                              ;   in Loop: Header=BB179_50 Depth=1
	s_andn2_saveexec_b64 s[26:27], s[8:9]
; %bb.500:                              ;   in Loop: Header=BB179_50 Depth=1
	v_or_b32_e32 v24, 0x10000, v0
	v_cmp_eq_u32_sdwa s[8:9], v0, v49 src0_sel:WORD_0 src1_sel:DWORD
	v_cndmask_b32_e64 v31, v24, v0, s[8:9]
; %bb.501:                              ;   in Loop: Header=BB179_50 Depth=1
	s_or_b64 exec, exec, s[26:27]
	v_lshlrev_b32_e32 v0, 16, v1
	v_mul_f32_e32 v0, v39, v0
	v_and_b32_e32 v1, 0x7f800000, v0
	v_cmp_ne_u32_e64 s[8:9], s15, v1
                                        ; implicit-def: $vgpr32
	s_and_saveexec_b64 s[26:27], s[8:9]
	s_xor_b64 s[8:9], exec, s[26:27]
; %bb.502:                              ;   in Loop: Header=BB179_50 Depth=1
	v_bfe_u32 v1, v0, 16, 1
	v_add3_u32 v32, v0, v1, s28
                                        ; implicit-def: $vgpr0
; %bb.503:                              ;   in Loop: Header=BB179_50 Depth=1
	s_andn2_saveexec_b64 s[26:27], s[8:9]
; %bb.504:                              ;   in Loop: Header=BB179_50 Depth=1
	v_or_b32_e32 v1, 0x10000, v0
	v_cmp_eq_u32_sdwa s[8:9], v0, v49 src0_sel:WORD_0 src1_sel:DWORD
	v_cndmask_b32_e64 v32, v1, v0, s[8:9]
; %bb.505:                              ;   in Loop: Header=BB179_50 Depth=1
	s_or_b64 exec, exec, s[26:27]
	v_lshlrev_b32_e32 v0, 16, v20
	v_mul_f32_e32 v0, v5, v0
	v_and_b32_e32 v1, 0x7f800000, v0
	v_cmp_ne_u32_e64 s[8:9], s15, v1
                                        ; implicit-def: $vgpr33
	s_and_saveexec_b64 s[26:27], s[8:9]
	s_xor_b64 s[8:9], exec, s[26:27]
; %bb.506:                              ;   in Loop: Header=BB179_50 Depth=1
	v_bfe_u32 v1, v0, 16, 1
	v_add3_u32 v33, v0, v1, s28
                                        ; implicit-def: $vgpr0
; %bb.507:                              ;   in Loop: Header=BB179_50 Depth=1
	s_andn2_saveexec_b64 s[26:27], s[8:9]
; %bb.508:                              ;   in Loop: Header=BB179_50 Depth=1
	v_or_b32_e32 v1, 0x10000, v0
	v_cmp_eq_u32_sdwa s[8:9], v0, v49 src0_sel:WORD_0 src1_sel:DWORD
	v_cndmask_b32_e64 v33, v1, v0, s[8:9]
; %bb.509:                              ;   in Loop: Header=BB179_50 Depth=1
	s_or_b64 exec, exec, s[26:27]
	v_lshlrev_b32_e32 v0, 16, v2
	v_mul_f32_e32 v0, v38, v0
	v_and_b32_e32 v1, 0x7f800000, v0
	v_cmp_ne_u32_e64 s[8:9], s15, v1
                                        ; implicit-def: $vgpr34
	s_and_saveexec_b64 s[26:27], s[8:9]
	s_xor_b64 s[8:9], exec, s[26:27]
; %bb.510:                              ;   in Loop: Header=BB179_50 Depth=1
	v_bfe_u32 v1, v0, 16, 1
	v_add3_u32 v34, v0, v1, s28
                                        ; implicit-def: $vgpr0
; %bb.511:                              ;   in Loop: Header=BB179_50 Depth=1
	s_andn2_saveexec_b64 s[26:27], s[8:9]
; %bb.512:                              ;   in Loop: Header=BB179_50 Depth=1
	v_or_b32_e32 v1, 0x10000, v0
	v_cmp_eq_u32_sdwa s[8:9], v0, v49 src0_sel:WORD_0 src1_sel:DWORD
	v_cndmask_b32_e64 v34, v1, v0, s[8:9]
; %bb.513:                              ;   in Loop: Header=BB179_50 Depth=1
	s_or_b64 exec, exec, s[26:27]
	v_lshlrev_b32_e32 v0, 16, v11
	v_mul_f32_e32 v0, v21, v0
	v_and_b32_e32 v1, 0x7f800000, v0
	v_cmp_ne_u32_e64 s[8:9], s15, v1
                                        ; implicit-def: $vgpr35
	s_and_saveexec_b64 s[26:27], s[8:9]
	s_xor_b64 s[8:9], exec, s[26:27]
; %bb.514:                              ;   in Loop: Header=BB179_50 Depth=1
	v_bfe_u32 v1, v0, 16, 1
	v_add3_u32 v35, v0, v1, s28
                                        ; implicit-def: $vgpr0
; %bb.515:                              ;   in Loop: Header=BB179_50 Depth=1
	s_andn2_saveexec_b64 s[26:27], s[8:9]
; %bb.516:                              ;   in Loop: Header=BB179_50 Depth=1
	v_or_b32_e32 v1, 0x10000, v0
	v_cmp_eq_u32_sdwa s[8:9], v0, v49 src0_sel:WORD_0 src1_sel:DWORD
	v_cndmask_b32_e64 v35, v1, v0, s[8:9]
; %bb.517:                              ;   in Loop: Header=BB179_50 Depth=1
	s_or_b64 exec, exec, s[26:27]
	v_lshlrev_b32_e32 v0, 16, v3
	v_mul_f32_e32 v0, v8, v0
	v_and_b32_e32 v1, 0x7f800000, v0
	v_cmp_ne_u32_e64 s[8:9], s15, v1
                                        ; implicit-def: $vgpr36
	s_and_saveexec_b64 s[26:27], s[8:9]
	s_xor_b64 s[8:9], exec, s[26:27]
; %bb.518:                              ;   in Loop: Header=BB179_50 Depth=1
	v_bfe_u32 v1, v0, 16, 1
	v_add3_u32 v36, v0, v1, s28
                                        ; implicit-def: $vgpr0
; %bb.519:                              ;   in Loop: Header=BB179_50 Depth=1
	s_andn2_saveexec_b64 s[26:27], s[8:9]
; %bb.520:                              ;   in Loop: Header=BB179_50 Depth=1
	v_or_b32_e32 v1, 0x10000, v0
	v_cmp_eq_u32_sdwa s[8:9], v0, v49 src0_sel:WORD_0 src1_sel:DWORD
	v_cndmask_b32_e64 v36, v1, v0, s[8:9]
; %bb.521:                              ;   in Loop: Header=BB179_50 Depth=1
	s_or_b64 exec, exec, s[26:27]
	v_lshlrev_b32_e32 v0, 16, v10
	v_mul_f32_e32 v0, v9, v0
	v_and_b32_e32 v1, 0x7f800000, v0
	v_cmp_ne_u32_e64 s[8:9], s15, v1
                                        ; implicit-def: $vgpr37
	s_and_saveexec_b64 s[26:27], s[8:9]
	s_xor_b64 s[8:9], exec, s[26:27]
; %bb.522:                              ;   in Loop: Header=BB179_50 Depth=1
	v_bfe_u32 v1, v0, 16, 1
	v_add3_u32 v37, v0, v1, s28
                                        ; implicit-def: $vgpr0
; %bb.523:                              ;   in Loop: Header=BB179_50 Depth=1
	s_andn2_saveexec_b64 s[26:27], s[8:9]
; %bb.524:                              ;   in Loop: Header=BB179_50 Depth=1
	v_or_b32_e32 v1, 0x10000, v0
	v_cmp_eq_u32_sdwa s[8:9], v0, v49 src0_sel:WORD_0 src1_sel:DWORD
	v_cndmask_b32_e64 v37, v1, v0, s[8:9]
; %bb.525:                              ;   in Loop: Header=BB179_50 Depth=1
	s_or_b64 exec, exec, s[26:27]
	buffer_load_dword v0, off, s[0:3], s32 offset:440 ; 4-byte Folded Reload
	s_waitcnt vmcnt(0)
	v_add_co_u32_e64 v0, s[8:9], v45, v0
	v_addc_co_u32_e64 v1, s[8:9], 0, v46, s[8:9]
	flat_load_dwordx4 v[0:3], v[0:1]
	s_waitcnt vmcnt(0) lgkmcnt(0)
	v_lshrrev_b32_e32 v20, 16, v0
	v_lshrrev_b32_e32 v24, 16, v1
	;; [unrolled: 1-line block ×4, first 2 shown]
	s_and_saveexec_b64 s[26:27], vcc
	s_cbranch_execz .LBB179_527
; %bb.526:                              ;   in Loop: Header=BB179_50 Depth=1
	v_cmp_lt_i32_e64 s[8:9], v52, v62
	v_accvgpr_read_b32 v48, a17
	v_cndmask_b32_e64 v0, 0, v0, s[8:9]
	v_cmp_lt_i32_e64 s[8:9], v48, v62
	v_accvgpr_read_b32 v48, a1
	v_cndmask_b32_e64 v20, 0, v20, s[8:9]
	;; [unrolled: 3-line block ×7, first 2 shown]
	v_cmp_lt_i32_e64 s[8:9], v48, v62
	v_cndmask_b32_e64 v10, 0, v10, s[8:9]
.LBB179_527:                            ;   in Loop: Header=BB179_50 Depth=1
	s_or_b64 exec, exec, s[26:27]
	v_lshlrev_b32_e32 v0, 16, v0
	v_mul_f32_e32 v0, v4, v0
	v_and_b32_e32 v48, 0x7f800000, v0
	v_cmp_ne_u32_e64 s[8:9], s15, v48
                                        ; implicit-def: $vgpr50
	s_and_saveexec_b64 s[26:27], s[8:9]
	s_xor_b64 s[8:9], exec, s[26:27]
; %bb.528:                              ;   in Loop: Header=BB179_50 Depth=1
	v_bfe_u32 v48, v0, 16, 1
	v_add3_u32 v50, v0, v48, s28
                                        ; implicit-def: $vgpr0
; %bb.529:                              ;   in Loop: Header=BB179_50 Depth=1
	s_andn2_saveexec_b64 s[26:27], s[8:9]
; %bb.530:                              ;   in Loop: Header=BB179_50 Depth=1
	v_or_b32_e32 v48, 0x10000, v0
	v_cmp_eq_u32_sdwa s[8:9], v0, v49 src0_sel:WORD_0 src1_sel:DWORD
	v_cndmask_b32_e64 v50, v48, v0, s[8:9]
; %bb.531:                              ;   in Loop: Header=BB179_50 Depth=1
	s_or_b64 exec, exec, s[26:27]
	v_lshlrev_b32_e32 v0, 16, v20
	v_mul_f32_e32 v0, v23, v0
	v_and_b32_e32 v20, 0x7f800000, v0
	v_cmp_ne_u32_e64 s[8:9], s15, v20
                                        ; implicit-def: $vgpr20
	s_and_saveexec_b64 s[26:27], s[8:9]
	s_xor_b64 s[8:9], exec, s[26:27]
; %bb.532:                              ;   in Loop: Header=BB179_50 Depth=1
	v_bfe_u32 v20, v0, 16, 1
	v_add3_u32 v20, v0, v20, s28
                                        ; implicit-def: $vgpr0
; %bb.533:                              ;   in Loop: Header=BB179_50 Depth=1
	s_andn2_saveexec_b64 s[26:27], s[8:9]
; %bb.534:                              ;   in Loop: Header=BB179_50 Depth=1
	v_or_b32_e32 v20, 0x10000, v0
	v_cmp_eq_u32_sdwa s[8:9], v0, v49 src0_sel:WORD_0 src1_sel:DWORD
	v_cndmask_b32_e64 v20, v20, v0, s[8:9]
; %bb.535:                              ;   in Loop: Header=BB179_50 Depth=1
	s_or_b64 exec, exec, s[26:27]
	v_lshlrev_b32_e32 v0, 16, v1
	v_mul_f32_e32 v0, v39, v0
	v_and_b32_e32 v1, 0x7f800000, v0
	v_cmp_ne_u32_e64 s[8:9], s15, v1
                                        ; implicit-def: $vgpr48
	s_and_saveexec_b64 s[26:27], s[8:9]
	s_xor_b64 s[8:9], exec, s[26:27]
; %bb.536:                              ;   in Loop: Header=BB179_50 Depth=1
	v_bfe_u32 v1, v0, 16, 1
	v_add3_u32 v48, v0, v1, s28
                                        ; implicit-def: $vgpr0
; %bb.537:                              ;   in Loop: Header=BB179_50 Depth=1
	s_andn2_saveexec_b64 s[26:27], s[8:9]
; %bb.538:                              ;   in Loop: Header=BB179_50 Depth=1
	v_or_b32_e32 v1, 0x10000, v0
	v_cmp_eq_u32_sdwa s[8:9], v0, v49 src0_sel:WORD_0 src1_sel:DWORD
	v_cndmask_b32_e64 v48, v1, v0, s[8:9]
; %bb.539:                              ;   in Loop: Header=BB179_50 Depth=1
	s_or_b64 exec, exec, s[26:27]
	v_lshlrev_b32_e32 v0, 16, v24
	v_mul_f32_e32 v0, v5, v0
	v_and_b32_e32 v1, 0x7f800000, v0
	v_cmp_ne_u32_e64 s[8:9], s15, v1
                                        ; implicit-def: $vgpr51
	s_and_saveexec_b64 s[26:27], s[8:9]
	s_xor_b64 s[8:9], exec, s[26:27]
; %bb.540:                              ;   in Loop: Header=BB179_50 Depth=1
	v_bfe_u32 v1, v0, 16, 1
	v_add3_u32 v51, v0, v1, s28
                                        ; implicit-def: $vgpr0
; %bb.541:                              ;   in Loop: Header=BB179_50 Depth=1
	s_andn2_saveexec_b64 s[26:27], s[8:9]
; %bb.542:                              ;   in Loop: Header=BB179_50 Depth=1
	v_or_b32_e32 v1, 0x10000, v0
	v_cmp_eq_u32_sdwa s[8:9], v0, v49 src0_sel:WORD_0 src1_sel:DWORD
	v_cndmask_b32_e64 v51, v1, v0, s[8:9]
; %bb.543:                              ;   in Loop: Header=BB179_50 Depth=1
	s_or_b64 exec, exec, s[26:27]
	v_lshlrev_b32_e32 v0, 16, v2
	v_mul_f32_e32 v0, v38, v0
	v_and_b32_e32 v1, 0x7f800000, v0
	v_cmp_ne_u32_e64 s[8:9], s15, v1
                                        ; implicit-def: $vgpr53
	s_and_saveexec_b64 s[26:27], s[8:9]
	s_xor_b64 s[8:9], exec, s[26:27]
; %bb.544:                              ;   in Loop: Header=BB179_50 Depth=1
	v_bfe_u32 v1, v0, 16, 1
	v_add3_u32 v53, v0, v1, s28
                                        ; implicit-def: $vgpr0
; %bb.545:                              ;   in Loop: Header=BB179_50 Depth=1
	s_andn2_saveexec_b64 s[26:27], s[8:9]
; %bb.546:                              ;   in Loop: Header=BB179_50 Depth=1
	v_or_b32_e32 v1, 0x10000, v0
	v_cmp_eq_u32_sdwa s[8:9], v0, v49 src0_sel:WORD_0 src1_sel:DWORD
	v_cndmask_b32_e64 v53, v1, v0, s[8:9]
; %bb.547:                              ;   in Loop: Header=BB179_50 Depth=1
	s_or_b64 exec, exec, s[26:27]
	v_lshlrev_b32_e32 v0, 16, v11
	v_mul_f32_e32 v0, v21, v0
	v_and_b32_e32 v1, 0x7f800000, v0
	v_cmp_ne_u32_e64 s[8:9], s15, v1
                                        ; implicit-def: $vgpr47
	s_and_saveexec_b64 s[26:27], s[8:9]
	s_xor_b64 s[8:9], exec, s[26:27]
; %bb.548:                              ;   in Loop: Header=BB179_50 Depth=1
	v_bfe_u32 v1, v0, 16, 1
	v_add3_u32 v47, v0, v1, s28
                                        ; implicit-def: $vgpr0
; %bb.549:                              ;   in Loop: Header=BB179_50 Depth=1
	s_andn2_saveexec_b64 s[26:27], s[8:9]
; %bb.550:                              ;   in Loop: Header=BB179_50 Depth=1
	v_or_b32_e32 v1, 0x10000, v0
	v_cmp_eq_u32_sdwa s[8:9], v0, v49 src0_sel:WORD_0 src1_sel:DWORD
	v_cndmask_b32_e64 v47, v1, v0, s[8:9]
; %bb.551:                              ;   in Loop: Header=BB179_50 Depth=1
	s_or_b64 exec, exec, s[26:27]
	v_lshlrev_b32_e32 v0, 16, v3
	v_mul_f32_e32 v0, v8, v0
	v_and_b32_e32 v1, 0x7f800000, v0
	v_cmp_ne_u32_e64 s[8:9], s15, v1
                                        ; implicit-def: $vgpr54
	s_and_saveexec_b64 s[26:27], s[8:9]
	s_xor_b64 s[8:9], exec, s[26:27]
; %bb.552:                              ;   in Loop: Header=BB179_50 Depth=1
	v_bfe_u32 v1, v0, 16, 1
	v_add3_u32 v54, v0, v1, s28
                                        ; implicit-def: $vgpr0
; %bb.553:                              ;   in Loop: Header=BB179_50 Depth=1
	s_andn2_saveexec_b64 s[26:27], s[8:9]
; %bb.554:                              ;   in Loop: Header=BB179_50 Depth=1
	v_or_b32_e32 v1, 0x10000, v0
	v_cmp_eq_u32_sdwa s[8:9], v0, v49 src0_sel:WORD_0 src1_sel:DWORD
	v_cndmask_b32_e64 v54, v1, v0, s[8:9]
; %bb.555:                              ;   in Loop: Header=BB179_50 Depth=1
	s_or_b64 exec, exec, s[26:27]
	v_lshlrev_b32_e32 v0, 16, v10
	v_mul_f32_e32 v0, v9, v0
	v_and_b32_e32 v1, 0x7f800000, v0
	v_cmp_ne_u32_e64 s[8:9], s15, v1
                                        ; implicit-def: $vgpr55
	s_and_saveexec_b64 s[26:27], s[8:9]
	s_xor_b64 s[8:9], exec, s[26:27]
; %bb.556:                              ;   in Loop: Header=BB179_50 Depth=1
	v_bfe_u32 v1, v0, 16, 1
	v_add3_u32 v55, v0, v1, s28
                                        ; implicit-def: $vgpr0
; %bb.557:                              ;   in Loop: Header=BB179_50 Depth=1
	s_andn2_saveexec_b64 s[26:27], s[8:9]
; %bb.558:                              ;   in Loop: Header=BB179_50 Depth=1
	v_or_b32_e32 v1, 0x10000, v0
	v_cmp_eq_u32_sdwa s[8:9], v0, v49 src0_sel:WORD_0 src1_sel:DWORD
	v_cndmask_b32_e64 v55, v1, v0, s[8:9]
; %bb.559:                              ;   in Loop: Header=BB179_50 Depth=1
	s_or_b64 exec, exec, s[26:27]
	buffer_load_dword v0, off, s[0:3], s32 offset:444 ; 4-byte Folded Reload
	s_waitcnt vmcnt(0)
	v_add_co_u32_e64 v0, s[8:9], v45, v0
	v_addc_co_u32_e64 v1, s[8:9], 0, v46, s[8:9]
	flat_load_dwordx4 v[0:3], v[0:1]
	s_waitcnt vmcnt(0) lgkmcnt(0)
	v_lshrrev_b32_e32 v40, 16, v0
	v_lshrrev_b32_e32 v42, 16, v1
	v_lshrrev_b32_e32 v11, 16, v2
	v_lshrrev_b32_e32 v24, 16, v3
	s_and_saveexec_b64 s[26:27], vcc
	s_cbranch_execz .LBB179_561
; %bb.560:                              ;   in Loop: Header=BB179_50 Depth=1
	v_cmp_lt_i32_e64 s[8:9], v52, v62
	v_accvgpr_read_b32 v10, a17
	v_cndmask_b32_e64 v0, 0, v0, s[8:9]
	v_cmp_lt_i32_e64 s[8:9], v10, v62
	v_accvgpr_read_b32 v10, a1
	v_cndmask_b32_e64 v40, 0, v40, s[8:9]
	;; [unrolled: 3-line block ×7, first 2 shown]
	v_cmp_lt_i32_e64 s[8:9], v10, v62
	v_cndmask_b32_e64 v24, 0, v24, s[8:9]
.LBB179_561:                            ;   in Loop: Header=BB179_50 Depth=1
	s_or_b64 exec, exec, s[26:27]
	v_lshlrev_b32_e32 v0, 16, v0
	v_mul_f32_e32 v0, v4, v0
	v_and_b32_e32 v10, 0x7f800000, v0
	v_cmp_ne_u32_e64 s[8:9], s15, v10
                                        ; implicit-def: $vgpr10
	s_and_saveexec_b64 s[26:27], s[8:9]
	s_xor_b64 s[8:9], exec, s[26:27]
; %bb.562:                              ;   in Loop: Header=BB179_50 Depth=1
	v_bfe_u32 v10, v0, 16, 1
	v_add3_u32 v10, v0, v10, s28
                                        ; implicit-def: $vgpr0
; %bb.563:                              ;   in Loop: Header=BB179_50 Depth=1
	s_andn2_saveexec_b64 s[26:27], s[8:9]
; %bb.564:                              ;   in Loop: Header=BB179_50 Depth=1
	v_or_b32_e32 v10, 0x10000, v0
	v_cmp_eq_u32_sdwa s[8:9], v0, v49 src0_sel:WORD_0 src1_sel:DWORD
	v_cndmask_b32_e64 v10, v10, v0, s[8:9]
; %bb.565:                              ;   in Loop: Header=BB179_50 Depth=1
	s_or_b64 exec, exec, s[26:27]
	v_lshlrev_b32_e32 v0, 16, v40
	v_mul_f32_e32 v0, v23, v0
	v_and_b32_e32 v40, 0x7f800000, v0
	v_cmp_ne_u32_e64 s[8:9], s15, v40
                                        ; implicit-def: $vgpr40
	s_and_saveexec_b64 s[26:27], s[8:9]
	s_xor_b64 s[8:9], exec, s[26:27]
; %bb.566:                              ;   in Loop: Header=BB179_50 Depth=1
	v_bfe_u32 v40, v0, 16, 1
	v_add3_u32 v40, v0, v40, s28
                                        ; implicit-def: $vgpr0
; %bb.567:                              ;   in Loop: Header=BB179_50 Depth=1
	s_andn2_saveexec_b64 s[26:27], s[8:9]
; %bb.568:                              ;   in Loop: Header=BB179_50 Depth=1
	v_or_b32_e32 v40, 0x10000, v0
	v_cmp_eq_u32_sdwa s[8:9], v0, v49 src0_sel:WORD_0 src1_sel:DWORD
	v_cndmask_b32_e64 v40, v40, v0, s[8:9]
; %bb.569:                              ;   in Loop: Header=BB179_50 Depth=1
	s_or_b64 exec, exec, s[26:27]
	v_lshlrev_b32_e32 v0, 16, v1
	v_mul_f32_e32 v0, v39, v0
	v_and_b32_e32 v1, 0x7f800000, v0
	v_cmp_ne_u32_e64 s[8:9], s15, v1
                                        ; implicit-def: $vgpr41
	s_and_saveexec_b64 s[26:27], s[8:9]
	s_xor_b64 s[8:9], exec, s[26:27]
; %bb.570:                              ;   in Loop: Header=BB179_50 Depth=1
	v_bfe_u32 v1, v0, 16, 1
	v_add3_u32 v41, v0, v1, s28
                                        ; implicit-def: $vgpr0
; %bb.571:                              ;   in Loop: Header=BB179_50 Depth=1
	s_andn2_saveexec_b64 s[26:27], s[8:9]
; %bb.572:                              ;   in Loop: Header=BB179_50 Depth=1
	v_or_b32_e32 v1, 0x10000, v0
	v_cmp_eq_u32_sdwa s[8:9], v0, v49 src0_sel:WORD_0 src1_sel:DWORD
	v_cndmask_b32_e64 v41, v1, v0, s[8:9]
; %bb.573:                              ;   in Loop: Header=BB179_50 Depth=1
	s_or_b64 exec, exec, s[26:27]
	v_lshlrev_b32_e32 v0, 16, v42
	v_mul_f32_e32 v0, v5, v0
	v_and_b32_e32 v1, 0x7f800000, v0
	v_cmp_ne_u32_e64 s[8:9], s15, v1
                                        ; implicit-def: $vgpr42
	s_and_saveexec_b64 s[26:27], s[8:9]
	s_xor_b64 s[8:9], exec, s[26:27]
; %bb.574:                              ;   in Loop: Header=BB179_50 Depth=1
	v_bfe_u32 v1, v0, 16, 1
	v_add3_u32 v42, v0, v1, s28
                                        ; implicit-def: $vgpr0
; %bb.575:                              ;   in Loop: Header=BB179_50 Depth=1
	s_andn2_saveexec_b64 s[26:27], s[8:9]
; %bb.576:                              ;   in Loop: Header=BB179_50 Depth=1
	v_or_b32_e32 v1, 0x10000, v0
	v_cmp_eq_u32_sdwa s[8:9], v0, v49 src0_sel:WORD_0 src1_sel:DWORD
	v_cndmask_b32_e64 v42, v1, v0, s[8:9]
; %bb.577:                              ;   in Loop: Header=BB179_50 Depth=1
	s_or_b64 exec, exec, s[26:27]
	v_lshlrev_b32_e32 v0, 16, v2
	v_mul_f32_e32 v0, v38, v0
	v_and_b32_e32 v1, 0x7f800000, v0
	v_cmp_ne_u32_e64 s[8:9], s15, v1
                                        ; implicit-def: $vgpr43
	s_and_saveexec_b64 s[26:27], s[8:9]
	s_xor_b64 s[8:9], exec, s[26:27]
; %bb.578:                              ;   in Loop: Header=BB179_50 Depth=1
	v_bfe_u32 v1, v0, 16, 1
	v_add3_u32 v43, v0, v1, s28
                                        ; implicit-def: $vgpr0
; %bb.579:                              ;   in Loop: Header=BB179_50 Depth=1
	s_andn2_saveexec_b64 s[26:27], s[8:9]
; %bb.580:                              ;   in Loop: Header=BB179_50 Depth=1
	v_or_b32_e32 v1, 0x10000, v0
	v_cmp_eq_u32_sdwa s[8:9], v0, v49 src0_sel:WORD_0 src1_sel:DWORD
	v_cndmask_b32_e64 v43, v1, v0, s[8:9]
; %bb.581:                              ;   in Loop: Header=BB179_50 Depth=1
	s_or_b64 exec, exec, s[26:27]
	v_lshlrev_b32_e32 v0, 16, v11
	v_mul_f32_e32 v0, v21, v0
	v_and_b32_e32 v1, 0x7f800000, v0
	v_cmp_ne_u32_e64 s[8:9], s15, v1
                                        ; implicit-def: $vgpr44
	s_and_saveexec_b64 s[26:27], s[8:9]
	s_xor_b64 s[8:9], exec, s[26:27]
; %bb.582:                              ;   in Loop: Header=BB179_50 Depth=1
	v_bfe_u32 v1, v0, 16, 1
	v_add3_u32 v44, v0, v1, s28
                                        ; implicit-def: $vgpr0
; %bb.583:                              ;   in Loop: Header=BB179_50 Depth=1
	s_andn2_saveexec_b64 s[26:27], s[8:9]
; %bb.584:                              ;   in Loop: Header=BB179_50 Depth=1
	v_or_b32_e32 v1, 0x10000, v0
	v_cmp_eq_u32_sdwa s[8:9], v0, v49 src0_sel:WORD_0 src1_sel:DWORD
	v_cndmask_b32_e64 v44, v1, v0, s[8:9]
; %bb.585:                              ;   in Loop: Header=BB179_50 Depth=1
	s_or_b64 exec, exec, s[26:27]
	v_lshlrev_b32_e32 v0, 16, v3
	v_mul_f32_e32 v0, v8, v0
	v_and_b32_e32 v1, 0x7f800000, v0
	v_cmp_ne_u32_e64 s[8:9], s15, v1
                                        ; implicit-def: $vgpr56
	s_and_saveexec_b64 s[26:27], s[8:9]
	s_xor_b64 s[8:9], exec, s[26:27]
; %bb.586:                              ;   in Loop: Header=BB179_50 Depth=1
	v_bfe_u32 v1, v0, 16, 1
	v_add3_u32 v56, v0, v1, s28
                                        ; implicit-def: $vgpr0
; %bb.587:                              ;   in Loop: Header=BB179_50 Depth=1
	s_andn2_saveexec_b64 s[26:27], s[8:9]
; %bb.588:                              ;   in Loop: Header=BB179_50 Depth=1
	v_or_b32_e32 v1, 0x10000, v0
	v_cmp_eq_u32_sdwa s[8:9], v0, v49 src0_sel:WORD_0 src1_sel:DWORD
	v_cndmask_b32_e64 v56, v1, v0, s[8:9]
; %bb.589:                              ;   in Loop: Header=BB179_50 Depth=1
	s_or_b64 exec, exec, s[26:27]
	v_lshlrev_b32_e32 v0, 16, v24
	v_mul_f32_e32 v0, v9, v0
	v_and_b32_e32 v1, 0x7f800000, v0
	v_cmp_ne_u32_e64 s[8:9], s15, v1
                                        ; implicit-def: $vgpr57
	s_and_saveexec_b64 s[26:27], s[8:9]
	s_xor_b64 s[8:9], exec, s[26:27]
; %bb.590:                              ;   in Loop: Header=BB179_50 Depth=1
	v_bfe_u32 v1, v0, 16, 1
	v_add3_u32 v57, v0, v1, s28
                                        ; implicit-def: $vgpr0
; %bb.591:                              ;   in Loop: Header=BB179_50 Depth=1
	s_andn2_saveexec_b64 s[26:27], s[8:9]
; %bb.592:                              ;   in Loop: Header=BB179_50 Depth=1
	v_or_b32_e32 v1, 0x10000, v0
	v_cmp_eq_u32_sdwa s[8:9], v0, v49 src0_sel:WORD_0 src1_sel:DWORD
	v_cndmask_b32_e64 v57, v1, v0, s[8:9]
; %bb.593:                              ;   in Loop: Header=BB179_50 Depth=1
	s_or_b64 exec, exec, s[26:27]
	buffer_load_dword v0, off, s[0:3], s32 offset:448 ; 4-byte Folded Reload
	s_waitcnt vmcnt(0)
	v_add_co_u32_e64 v0, s[8:9], v45, v0
	v_addc_co_u32_e64 v1, s[8:9], 0, v46, s[8:9]
	flat_load_dwordx4 v[0:3], v[0:1]
	s_waitcnt vmcnt(0) lgkmcnt(0)
	v_lshrrev_b32_e32 v46, 16, v0
	v_lshrrev_b32_e32 v45, 16, v1
	;; [unrolled: 1-line block ×4, first 2 shown]
	s_and_saveexec_b64 s[8:9], vcc
	s_cbranch_execz .LBB179_595
; %bb.594:                              ;   in Loop: Header=BB179_50 Depth=1
	v_cmp_lt_i32_e32 vcc, v52, v62
	v_accvgpr_read_b32 v52, a17
	v_cndmask_b32_e32 v0, 0, v0, vcc
	v_cmp_lt_i32_e32 vcc, v52, v62
	v_accvgpr_read_b32 v52, a1
	v_cndmask_b32_e32 v46, 0, v46, vcc
	v_cmp_lt_i32_e32 vcc, v52, v62
	v_accvgpr_read_b32 v52, a2
	v_cndmask_b32_e32 v1, 0, v1, vcc
	v_cmp_lt_i32_e32 vcc, v52, v62
	v_accvgpr_read_b32 v52, a14
	v_cndmask_b32_e32 v45, 0, v45, vcc
	v_cmp_lt_i32_e32 vcc, v52, v62
	v_accvgpr_read_b32 v52, a13
	v_cndmask_b32_e32 v2, 0, v2, vcc
	v_cmp_lt_i32_e32 vcc, v52, v62
	v_accvgpr_read_b32 v52, a16
	v_cndmask_b32_e32 v11, 0, v11, vcc
	v_cmp_lt_i32_e32 vcc, v52, v62
	v_accvgpr_read_b32 v52, a0
	v_cndmask_b32_e32 v3, 0, v3, vcc
	v_cmp_lt_i32_e32 vcc, v52, v62
	v_cndmask_b32_e32 v24, 0, v24, vcc
.LBB179_595:                            ;   in Loop: Header=BB179_50 Depth=1
	s_or_b64 exec, exec, s[8:9]
	v_lshlrev_b32_e32 v0, 16, v0
	v_mul_f32_e32 v4, v4, v0
	v_and_b32_e32 v0, 0x7f800000, v4
	v_cmp_ne_u32_e32 vcc, s15, v0
                                        ; implicit-def: $vgpr0
	s_and_saveexec_b64 s[8:9], vcc
	s_xor_b64 s[8:9], exec, s[8:9]
; %bb.596:                              ;   in Loop: Header=BB179_50 Depth=1
	v_bfe_u32 v0, v4, 16, 1
	v_add3_u32 v0, v4, v0, s28
                                        ; implicit-def: $vgpr4
; %bb.597:                              ;   in Loop: Header=BB179_50 Depth=1
	s_andn2_saveexec_b64 s[8:9], s[8:9]
; %bb.598:                              ;   in Loop: Header=BB179_50 Depth=1
	v_or_b32_e32 v0, 0x10000, v4
	v_cmp_eq_u32_sdwa vcc, v4, v49 src0_sel:WORD_0 src1_sel:DWORD
	v_cndmask_b32_e32 v0, v0, v4, vcc
; %bb.599:                              ;   in Loop: Header=BB179_50 Depth=1
	s_or_b64 exec, exec, s[8:9]
	v_lshlrev_b32_e32 v4, 16, v46
	v_mul_f32_e32 v23, v23, v4
	v_and_b32_e32 v4, 0x7f800000, v23
	v_cmp_ne_u32_e32 vcc, s15, v4
                                        ; implicit-def: $vgpr4
	s_and_saveexec_b64 s[8:9], vcc
	s_xor_b64 s[8:9], exec, s[8:9]
; %bb.600:                              ;   in Loop: Header=BB179_50 Depth=1
	v_bfe_u32 v4, v23, 16, 1
	v_add3_u32 v4, v23, v4, s28
                                        ; implicit-def: $vgpr23
; %bb.601:                              ;   in Loop: Header=BB179_50 Depth=1
	s_andn2_saveexec_b64 s[8:9], s[8:9]
; %bb.602:                              ;   in Loop: Header=BB179_50 Depth=1
	v_or_b32_e32 v4, 0x10000, v23
	v_cmp_eq_u32_sdwa vcc, v23, v49 src0_sel:WORD_0 src1_sel:DWORD
	v_cndmask_b32_e32 v4, v4, v23, vcc
; %bb.603:                              ;   in Loop: Header=BB179_50 Depth=1
	s_or_b64 exec, exec, s[8:9]
	v_lshlrev_b32_e32 v1, 16, v1
	v_mul_f32_e32 v23, v39, v1
	v_and_b32_e32 v1, 0x7f800000, v23
	v_cmp_ne_u32_e32 vcc, s15, v1
                                        ; implicit-def: $vgpr1
	s_and_saveexec_b64 s[8:9], vcc
	s_xor_b64 s[8:9], exec, s[8:9]
; %bb.604:                              ;   in Loop: Header=BB179_50 Depth=1
	v_bfe_u32 v1, v23, 16, 1
	v_add3_u32 v1, v23, v1, s28
                                        ; implicit-def: $vgpr23
; %bb.605:                              ;   in Loop: Header=BB179_50 Depth=1
	s_andn2_saveexec_b64 s[8:9], s[8:9]
; %bb.606:                              ;   in Loop: Header=BB179_50 Depth=1
	v_or_b32_e32 v1, 0x10000, v23
	v_cmp_eq_u32_sdwa vcc, v23, v49 src0_sel:WORD_0 src1_sel:DWORD
	v_cndmask_b32_e32 v1, v1, v23, vcc
; %bb.607:                              ;   in Loop: Header=BB179_50 Depth=1
	s_or_b64 exec, exec, s[8:9]
	v_lshlrev_b32_e32 v23, 16, v45
	v_mul_f32_e32 v23, v5, v23
	v_and_b32_e32 v5, 0x7f800000, v23
	v_cmp_ne_u32_e32 vcc, s15, v5
                                        ; implicit-def: $vgpr5
	s_and_saveexec_b64 s[8:9], vcc
	s_xor_b64 s[8:9], exec, s[8:9]
; %bb.608:                              ;   in Loop: Header=BB179_50 Depth=1
	v_bfe_u32 v5, v23, 16, 1
	v_add3_u32 v5, v23, v5, s28
                                        ; implicit-def: $vgpr23
; %bb.609:                              ;   in Loop: Header=BB179_50 Depth=1
	s_andn2_saveexec_b64 s[8:9], s[8:9]
; %bb.610:                              ;   in Loop: Header=BB179_50 Depth=1
	v_or_b32_e32 v5, 0x10000, v23
	v_cmp_eq_u32_sdwa vcc, v23, v49 src0_sel:WORD_0 src1_sel:DWORD
	v_cndmask_b32_e32 v5, v5, v23, vcc
; %bb.611:                              ;   in Loop: Header=BB179_50 Depth=1
	s_or_b64 exec, exec, s[8:9]
	v_lshlrev_b32_e32 v2, 16, v2
	v_mul_f32_e32 v23, v38, v2
	v_and_b32_e32 v2, 0x7f800000, v23
	v_cmp_ne_u32_e32 vcc, s15, v2
                                        ; implicit-def: $vgpr2
	s_and_saveexec_b64 s[8:9], vcc
	s_xor_b64 s[8:9], exec, s[8:9]
; %bb.612:                              ;   in Loop: Header=BB179_50 Depth=1
	v_bfe_u32 v2, v23, 16, 1
	v_add3_u32 v2, v23, v2, s28
                                        ; implicit-def: $vgpr23
; %bb.613:                              ;   in Loop: Header=BB179_50 Depth=1
	s_andn2_saveexec_b64 s[8:9], s[8:9]
; %bb.614:                              ;   in Loop: Header=BB179_50 Depth=1
	v_or_b32_e32 v2, 0x10000, v23
	v_cmp_eq_u32_sdwa vcc, v23, v49 src0_sel:WORD_0 src1_sel:DWORD
	v_cndmask_b32_e32 v2, v2, v23, vcc
; %bb.615:                              ;   in Loop: Header=BB179_50 Depth=1
	s_or_b64 exec, exec, s[8:9]
	v_lshlrev_b32_e32 v11, 16, v11
	v_mul_f32_e32 v11, v21, v11
	v_and_b32_e32 v21, 0x7f800000, v11
	v_cmp_ne_u32_e32 vcc, s15, v21
                                        ; implicit-def: $vgpr21
	s_and_saveexec_b64 s[8:9], vcc
	s_xor_b64 s[8:9], exec, s[8:9]
; %bb.616:                              ;   in Loop: Header=BB179_50 Depth=1
	v_bfe_u32 v21, v11, 16, 1
	v_add3_u32 v21, v11, v21, s28
                                        ; implicit-def: $vgpr11
; %bb.617:                              ;   in Loop: Header=BB179_50 Depth=1
	s_andn2_saveexec_b64 s[8:9], s[8:9]
; %bb.618:                              ;   in Loop: Header=BB179_50 Depth=1
	v_or_b32_e32 v21, 0x10000, v11
	v_cmp_eq_u32_sdwa vcc, v11, v49 src0_sel:WORD_0 src1_sel:DWORD
	v_cndmask_b32_e32 v21, v21, v11, vcc
; %bb.619:                              ;   in Loop: Header=BB179_50 Depth=1
	s_or_b64 exec, exec, s[8:9]
	v_lshlrev_b32_e32 v3, 16, v3
	v_mul_f32_e32 v8, v8, v3
	v_and_b32_e32 v3, 0x7f800000, v8
	v_cmp_ne_u32_e32 vcc, s15, v3
                                        ; implicit-def: $vgpr3
	s_and_saveexec_b64 s[8:9], vcc
	s_xor_b64 s[8:9], exec, s[8:9]
; %bb.620:                              ;   in Loop: Header=BB179_50 Depth=1
	v_bfe_u32 v3, v8, 16, 1
	v_add3_u32 v3, v8, v3, s28
                                        ; implicit-def: $vgpr8
; %bb.621:                              ;   in Loop: Header=BB179_50 Depth=1
	s_andn2_saveexec_b64 s[8:9], s[8:9]
; %bb.622:                              ;   in Loop: Header=BB179_50 Depth=1
	v_or_b32_e32 v3, 0x10000, v8
	v_cmp_eq_u32_sdwa vcc, v8, v49 src0_sel:WORD_0 src1_sel:DWORD
	v_cndmask_b32_e32 v3, v3, v8, vcc
; %bb.623:                              ;   in Loop: Header=BB179_50 Depth=1
	s_or_b64 exec, exec, s[8:9]
	v_lshlrev_b32_e32 v8, 16, v24
	v_mul_f32_e32 v9, v9, v8
	v_and_b32_e32 v8, 0x7f800000, v9
	v_cmp_ne_u32_e32 vcc, s15, v8
                                        ; implicit-def: $vgpr8
	s_and_saveexec_b64 s[8:9], vcc
	s_xor_b64 s[8:9], exec, s[8:9]
; %bb.624:                              ;   in Loop: Header=BB179_50 Depth=1
	v_bfe_u32 v8, v9, 16, 1
	v_add3_u32 v8, v9, v8, s28
                                        ; implicit-def: $vgpr9
; %bb.625:                              ;   in Loop: Header=BB179_50 Depth=1
	s_andn2_saveexec_b64 s[8:9], s[8:9]
	s_cbranch_execz .LBB179_48
; %bb.626:                              ;   in Loop: Header=BB179_50 Depth=1
	v_or_b32_e32 v8, 0x10000, v9
	v_cmp_eq_u32_sdwa vcc, v9, v49 src0_sel:WORD_0 src1_sel:DWORD
	v_cndmask_b32_e32 v8, v8, v9, vcc
	s_branch .LBB179_48
.LBB179_627:
	s_or_b64 exec, exec, s[16:17]
	buffer_load_dword v29, off, s[0:3], s32 offset:480 ; 4-byte Folded Reload
	buffer_load_dword v27, off, s[0:3], s32 offset:484 ; 4-byte Folded Reload
	;; [unrolled: 1-line block ×20, first 2 shown]
.LBB179_628:
	s_or_b64 exec, exec, s[12:13]
	s_waitcnt vmcnt(0)
	ds_bpermute_b32 v0, v25, v4
	ds_bpermute_b32 v1, v25, v5
	;; [unrolled: 1-line block ×4, first 2 shown]
	s_waitcnt lgkmcnt(0)
	s_barrier
	v_pk_add_f32 v[0:1], v[4:5], v[0:1]
	ds_bpermute_b32 v4, v28, v0
	ds_bpermute_b32 v5, v28, v1
	s_waitcnt lgkmcnt(0)
	ds_bpermute_b32 v2, v25, v8
	ds_bpermute_b32 v3, v25, v9
	;; [unrolled: 1-line block ×3, first 2 shown]
	v_pk_add_f32 v[22:23], v[0:1], v[4:5]
	v_pk_add_f32 v[0:1], v[20:21], v[6:7]
	ds_bpermute_b32 v4, v28, v0
	ds_bpermute_b32 v5, v28, v1
	;; [unrolled: 1-line block ×4, first 2 shown]
	s_waitcnt lgkmcnt(5)
	v_pk_add_f32 v[2:3], v[8:9], v[2:3]
	ds_bpermute_b32 v8, v28, v2
	s_waitcnt lgkmcnt(3)
	v_pk_add_f32 v[14:15], v[0:1], v[4:5]
	ds_bpermute_b32 v9, v28, v3
	;; [unrolled: 3-line block ×3, first 2 shown]
	ds_bpermute_b32 v7, v25, v13
	ds_bpermute_b32 v4, v28, v0
	s_waitcnt lgkmcnt(3)
	v_pk_add_f32 v[20:21], v[2:3], v[8:9]
	ds_bpermute_b32 v2, v25, v10
	ds_bpermute_b32 v3, v25, v11
	s_waitcnt lgkmcnt(3)
	v_pk_add_f32 v[6:7], v[12:13], v[6:7]
	ds_bpermute_b32 v12, v28, v6
	ds_bpermute_b32 v13, v28, v7
	;; [unrolled: 1-line block ×3, first 2 shown]
	s_waitcnt lgkmcnt(3)
	v_pk_add_f32 v[2:3], v[10:11], v[2:3]
	ds_bpermute_b32 v10, v25, v16
	ds_bpermute_b32 v11, v25, v17
	s_waitcnt lgkmcnt(3)
	v_pk_add_f32 v[6:7], v[6:7], v[12:13]
	buffer_load_dword v12, off, s[0:3], s32 offset:460 ; 4-byte Folded Reload
	ds_bpermute_b32 v8, v28, v2
	ds_bpermute_b32 v9, v28, v3
	;; [unrolled: 1-line block ×3, first 2 shown]
	s_waitcnt lgkmcnt(3)
	v_pk_add_f32 v[16:17], v[16:17], v[10:11]
	ds_bpermute_b32 v18, v28, v16
	ds_bpermute_b32 v19, v28, v17
	s_waitcnt lgkmcnt(3)
	v_pk_add_f32 v[8:9], v[2:3], v[8:9]
	s_waitcnt lgkmcnt(2)
	v_pk_add_f32 v[2:3], v[30:31], v[24:25]
	v_pk_add_f32 v[10:11], v[0:1], v[4:5]
	ds_bpermute_b32 v4, v28, v2
	ds_bpermute_b32 v5, v28, v3
	s_waitcnt lgkmcnt(2)
	v_pk_add_f32 v[0:1], v[16:17], v[18:19]
	s_waitcnt vmcnt(0)
	v_and_b32_e32 v12, 0x3c3, v12
	v_cmp_ne_u32_e32 vcc, 64, v12
	s_and_saveexec_b64 s[8:9], vcc
	s_xor_b64 s[8:9], exec, s[8:9]
; %bb.629:
                                        ; implicit-def: $vgpr29
; %bb.630:
	s_or_saveexec_b64 s[8:9], s[8:9]
	s_waitcnt lgkmcnt(0)
	v_pk_add_f32 v[2:3], v[2:3], v[4:5]
	s_xor_b64 exec, exec, s[8:9]
	s_cbranch_execz .LBB179_632
; %bb.631:
	s_load_dword s12, s[10:11], 0x0
	s_waitcnt lgkmcnt(0)
	v_add_u32_e32 v4, s12, v29
	ds_write2_b32 v4, v22, v23 offset1:16
	ds_write2_b32 v4, v20, v21 offset0:32 offset1:48
	ds_write2_b32 v4, v14, v15 offset0:64 offset1:80
	;; [unrolled: 1-line block ×7, first 2 shown]
.LBB179_632:
	s_or_b64 exec, exec, s[8:9]
	s_waitcnt lgkmcnt(0)
	s_barrier
	s_and_saveexec_b64 s[8:9], s[6:7]
	s_xor_b64 s[6:7], exec, s[8:9]
	s_andn2_saveexec_b64 s[6:7], s[6:7]
	s_cbranch_execz .LBB179_651
; %bb.633:
	buffer_load_dword v4, off, s[0:3], s32 offset:460 ; 4-byte Folded Reload
	v_cmp_eq_u32_e32 vcc, 0, v27
	s_waitcnt vmcnt(0)
	v_lshrrev_b32_e32 v4, 2, v4
	s_and_saveexec_b64 s[8:9], vcc
	s_cbranch_execnz .LBB179_719
; %bb.634:
	s_or_b64 exec, exec, s[8:9]
	s_and_saveexec_b64 s[8:9], vcc
	s_cbranch_execnz .LBB179_720
.LBB179_635:
	s_or_b64 exec, exec, s[8:9]
	s_and_saveexec_b64 s[8:9], vcc
	s_cbranch_execnz .LBB179_721
.LBB179_636:
	s_or_b64 exec, exec, s[8:9]
	s_and_saveexec_b64 s[8:9], vcc
	s_cbranch_execnz .LBB179_722
.LBB179_637:
	s_or_b64 exec, exec, s[8:9]
	s_and_saveexec_b64 s[8:9], vcc
	s_cbranch_execnz .LBB179_723
.LBB179_638:
	s_or_b64 exec, exec, s[8:9]
	s_and_saveexec_b64 s[8:9], vcc
	s_cbranch_execnz .LBB179_724
.LBB179_639:
	s_or_b64 exec, exec, s[8:9]
	s_and_saveexec_b64 s[8:9], vcc
	s_cbranch_execnz .LBB179_725
.LBB179_640:
	s_or_b64 exec, exec, s[8:9]
	s_and_saveexec_b64 s[8:9], vcc
	s_cbranch_execnz .LBB179_726
.LBB179_641:
	s_or_b64 exec, exec, s[8:9]
	s_and_saveexec_b64 s[8:9], vcc
	s_cbranch_execnz .LBB179_727
.LBB179_642:
	s_or_b64 exec, exec, s[8:9]
	s_and_saveexec_b64 s[8:9], vcc
	s_cbranch_execnz .LBB179_728
.LBB179_643:
	s_or_b64 exec, exec, s[8:9]
	s_and_saveexec_b64 s[8:9], vcc
	s_cbranch_execnz .LBB179_729
.LBB179_644:
	s_or_b64 exec, exec, s[8:9]
	s_and_saveexec_b64 s[8:9], vcc
	s_cbranch_execnz .LBB179_730
.LBB179_645:
	s_or_b64 exec, exec, s[8:9]
	s_and_saveexec_b64 s[8:9], vcc
	s_cbranch_execnz .LBB179_731
.LBB179_646:
	s_or_b64 exec, exec, s[8:9]
	s_and_saveexec_b64 s[8:9], vcc
	s_cbranch_execnz .LBB179_732
.LBB179_647:
	s_or_b64 exec, exec, s[8:9]
	s_and_saveexec_b64 s[8:9], vcc
	s_cbranch_execnz .LBB179_733
.LBB179_648:
	s_or_b64 exec, exec, s[8:9]
	s_and_saveexec_b64 s[8:9], vcc
	s_cbranch_execz .LBB179_650
.LBB179_649:
	s_load_dword s10, s[10:11], 0x0
	s_waitcnt lgkmcnt(0)
	v_lshl_add_u32 v4, v4, 2, s10
	ds_read_b32 v4, v4 offset:960
	s_waitcnt lgkmcnt(0)
	v_add_f32_e32 v3, v4, v3
.LBB179_650:
	s_or_b64 exec, exec, s[8:9]
.LBB179_651:
	s_or_b64 exec, exec, s[6:7]
	s_barrier
	s_and_b64 exec, exec, s[4:5]
	s_cbranch_execz .LBB179_718
; %bb.652:
	v_cmp_eq_u32_e32 vcc, 0, v27
	s_and_b64 exec, exec, vcc
	s_cbranch_execz .LBB179_718
; %bb.653:
	s_mov_b32 s4, 0x7f800000
	v_and_b32_e32 v4, 0x7f800000, v22
	v_cmp_ne_u32_e32 vcc, s4, v4
                                        ; implicit-def: $vgpr12
	s_and_saveexec_b64 s[4:5], vcc
	s_xor_b64 s[4:5], exec, s[4:5]
; %bb.654:
	v_bfe_u32 v4, v22, 16, 1
	s_movk_i32 s6, 0x7fff
	v_add3_u32 v12, v22, v4, s6
; %bb.655:
	s_andn2_saveexec_b64 s[4:5], s[4:5]
; %bb.656:
	v_mov_b32_e32 v4, 0
	v_or_b32_e32 v5, 0x10000, v22
	v_cmp_eq_u32_sdwa vcc, v22, v4 src0_sel:WORD_0 src1_sel:DWORD
	v_cndmask_b32_e32 v12, v5, v22, vcc
; %bb.657:
	s_or_b64 exec, exec, s[4:5]
	buffer_load_dword v5, off, s[0:3], s32 offset:468 ; 4-byte Folded Reload
	buffer_load_dword v13, off, s[0:3], s32 offset:464 ; 4-byte Folded Reload
	s_mul_i32 s4, s25, s22
	s_mul_i32 s4, s4, s23
	s_lshl_b32 s4, s4, 8
	s_mul_i32 s6, s24, s25
	s_lshl_b32 s8, s14, 8
	s_ashr_i32 s5, s4, 31
	s_ashr_i32 s7, s6, 31
	;; [unrolled: 1-line block ×3, first 2 shown]
	s_lshl_b64 s[4:5], s[4:5], 1
	s_lshl_b64 s[6:7], s[6:7], 1
	;; [unrolled: 1-line block ×3, first 2 shown]
	s_add_u32 s6, s8, s6
	s_addc_u32 s7, s9, s7
	s_add_u32 s4, s6, s4
	s_addc_u32 s5, s7, s5
	v_mov_b32_e32 v4, s5
	s_waitcnt vmcnt(1)
	v_add_co_u32_e32 v5, vcc, s4, v5
	s_waitcnt vmcnt(0)
	v_addc_co_u32_e32 v13, vcc, v4, v13, vcc
	buffer_load_dword v4, off, s[0:3], s32 offset:460 ; 4-byte Folded Reload
	s_mov_b32 s4, 0x7f800000
	s_waitcnt vmcnt(0)
	v_lshrrev_b32_e32 v4, 1, v4
	v_and_b32_e32 v4, 0x1fe, v4
	v_add_co_u32_e32 v4, vcc, v5, v4
	v_addc_co_u32_e32 v5, vcc, 0, v13, vcc
	flat_store_short_d16_hi v[4:5], v12
	v_and_b32_e32 v12, 0x7f800000, v23
	v_cmp_ne_u32_e32 vcc, s4, v12
                                        ; implicit-def: $vgpr12
	s_and_saveexec_b64 s[4:5], vcc
	s_xor_b64 s[4:5], exec, s[4:5]
; %bb.658:
	v_bfe_u32 v12, v23, 16, 1
	s_movk_i32 s6, 0x7fff
	v_add3_u32 v12, v23, v12, s6
                                        ; implicit-def: $vgpr22_vgpr23
; %bb.659:
	s_andn2_saveexec_b64 s[4:5], s[4:5]
; %bb.660:
	v_mov_b32_e32 v12, 0
	v_or_b32_e32 v13, 0x10000, v23
	v_cmp_eq_u32_sdwa vcc, v23, v12 src0_sel:WORD_0 src1_sel:DWORD
	v_cndmask_b32_e32 v12, v13, v23, vcc
; %bb.661:
	s_or_b64 exec, exec, s[4:5]
	flat_store_short_d16_hi v[4:5], v12 offset:32
	s_mov_b32 s4, 0x7f800000
	v_and_b32_e32 v12, 0x7f800000, v20
	v_cmp_ne_u32_e32 vcc, s4, v12
                                        ; implicit-def: $vgpr12
	s_and_saveexec_b64 s[4:5], vcc
	s_xor_b64 s[4:5], exec, s[4:5]
; %bb.662:
	v_bfe_u32 v12, v20, 16, 1
	s_movk_i32 s6, 0x7fff
	v_add3_u32 v12, v20, v12, s6
; %bb.663:
	s_andn2_saveexec_b64 s[4:5], s[4:5]
; %bb.664:
	v_mov_b32_e32 v12, 0
	v_or_b32_e32 v13, 0x10000, v20
	v_cmp_eq_u32_sdwa vcc, v20, v12 src0_sel:WORD_0 src1_sel:DWORD
	v_cndmask_b32_e32 v12, v13, v20, vcc
; %bb.665:
	s_or_b64 exec, exec, s[4:5]
	flat_store_short_d16_hi v[4:5], v12 offset:64
	s_mov_b32 s4, 0x7f800000
	v_and_b32_e32 v12, 0x7f800000, v21
	v_cmp_ne_u32_e32 vcc, s4, v12
                                        ; implicit-def: $vgpr12
	s_and_saveexec_b64 s[4:5], vcc
	s_xor_b64 s[4:5], exec, s[4:5]
; %bb.666:
	v_bfe_u32 v12, v21, 16, 1
	s_movk_i32 s6, 0x7fff
	v_add3_u32 v12, v21, v12, s6
                                        ; implicit-def: $vgpr20_vgpr21
; %bb.667:
	s_andn2_saveexec_b64 s[4:5], s[4:5]
; %bb.668:
	v_mov_b32_e32 v12, 0
	v_or_b32_e32 v13, 0x10000, v21
	v_cmp_eq_u32_sdwa vcc, v21, v12 src0_sel:WORD_0 src1_sel:DWORD
	v_cndmask_b32_e32 v12, v13, v21, vcc
; %bb.669:
	s_or_b64 exec, exec, s[4:5]
	flat_store_short_d16_hi v[4:5], v12 offset:96
	s_mov_b32 s4, 0x7f800000
	v_and_b32_e32 v12, 0x7f800000, v14
	v_cmp_ne_u32_e32 vcc, s4, v12
                                        ; implicit-def: $vgpr12
	s_and_saveexec_b64 s[4:5], vcc
	s_xor_b64 s[4:5], exec, s[4:5]
; %bb.670:
	v_bfe_u32 v12, v14, 16, 1
	s_movk_i32 s6, 0x7fff
	v_add3_u32 v12, v14, v12, s6
; %bb.671:
	s_andn2_saveexec_b64 s[4:5], s[4:5]
; %bb.672:
	v_mov_b32_e32 v12, 0
	v_or_b32_e32 v13, 0x10000, v14
	v_cmp_eq_u32_sdwa vcc, v14, v12 src0_sel:WORD_0 src1_sel:DWORD
	v_cndmask_b32_e32 v12, v13, v14, vcc
; %bb.673:
	s_or_b64 exec, exec, s[4:5]
	flat_store_short_d16_hi v[4:5], v12 offset:128
	s_mov_b32 s4, 0x7f800000
	v_and_b32_e32 v12, 0x7f800000, v15
	v_cmp_ne_u32_e32 vcc, s4, v12
                                        ; implicit-def: $vgpr12
	s_and_saveexec_b64 s[4:5], vcc
	s_xor_b64 s[4:5], exec, s[4:5]
; %bb.674:
	v_bfe_u32 v12, v15, 16, 1
	s_movk_i32 s6, 0x7fff
	v_add3_u32 v12, v15, v12, s6
                                        ; implicit-def: $vgpr14_vgpr15
; %bb.675:
	s_andn2_saveexec_b64 s[4:5], s[4:5]
; %bb.676:
	v_mov_b32_e32 v12, 0
	v_or_b32_e32 v13, 0x10000, v15
	v_cmp_eq_u32_sdwa vcc, v15, v12 src0_sel:WORD_0 src1_sel:DWORD
	v_cndmask_b32_e32 v12, v13, v15, vcc
; %bb.677:
	s_or_b64 exec, exec, s[4:5]
	flat_store_short_d16_hi v[4:5], v12 offset:160
	s_mov_b32 s4, 0x7f800000
	v_and_b32_e32 v12, 0x7f800000, v10
	v_cmp_ne_u32_e32 vcc, s4, v12
                                        ; implicit-def: $vgpr12
	s_and_saveexec_b64 s[4:5], vcc
	s_xor_b64 s[4:5], exec, s[4:5]
; %bb.678:
	v_bfe_u32 v12, v10, 16, 1
	s_movk_i32 s6, 0x7fff
	v_add3_u32 v12, v10, v12, s6
; %bb.679:
	s_andn2_saveexec_b64 s[4:5], s[4:5]
; %bb.680:
	v_mov_b32_e32 v12, 0
	v_or_b32_e32 v13, 0x10000, v10
	v_cmp_eq_u32_sdwa vcc, v10, v12 src0_sel:WORD_0 src1_sel:DWORD
	v_cndmask_b32_e32 v12, v13, v10, vcc
; %bb.681:
	s_or_b64 exec, exec, s[4:5]
	s_mov_b32 s4, 0x7f800000
	v_and_b32_e32 v10, 0x7f800000, v11
	v_cmp_ne_u32_e32 vcc, s4, v10
	flat_store_short_d16_hi v[4:5], v12 offset:192
                                        ; implicit-def: $vgpr12
	s_and_saveexec_b64 s[4:5], vcc
	s_xor_b64 s[4:5], exec, s[4:5]
; %bb.682:
	v_bfe_u32 v10, v11, 16, 1
	s_movk_i32 s6, 0x7fff
	v_add3_u32 v12, v11, v10, s6
                                        ; implicit-def: $vgpr10_vgpr11
; %bb.683:
	s_andn2_saveexec_b64 s[4:5], s[4:5]
; %bb.684:
	v_mov_b32_e32 v10, 0
	v_or_b32_e32 v12, 0x10000, v11
	v_cmp_eq_u32_sdwa vcc, v11, v10 src0_sel:WORD_0 src1_sel:DWORD
	v_cndmask_b32_e32 v12, v12, v11, vcc
; %bb.685:
	s_or_b64 exec, exec, s[4:5]
	s_mov_b32 s4, 0x7f800000
	v_and_b32_e32 v10, 0x7f800000, v8
	v_cmp_ne_u32_e32 vcc, s4, v10
	flat_store_short_d16_hi v[4:5], v12 offset:224
                                        ; implicit-def: $vgpr10
	s_and_saveexec_b64 s[4:5], vcc
	s_xor_b64 s[4:5], exec, s[4:5]
; %bb.686:
	v_bfe_u32 v10, v8, 16, 1
	s_movk_i32 s6, 0x7fff
	v_add3_u32 v10, v8, v10, s6
; %bb.687:
	s_andn2_saveexec_b64 s[4:5], s[4:5]
; %bb.688:
	v_mov_b32_e32 v10, 0
	v_or_b32_e32 v11, 0x10000, v8
	v_cmp_eq_u32_sdwa vcc, v8, v10 src0_sel:WORD_0 src1_sel:DWORD
	v_cndmask_b32_e32 v10, v11, v8, vcc
; %bb.689:
	s_or_b64 exec, exec, s[4:5]
	s_mov_b32 s4, 0x7f800000
	v_and_b32_e32 v8, 0x7f800000, v9
	v_cmp_ne_u32_e32 vcc, s4, v8
	flat_store_short_d16_hi v[4:5], v10 offset:256
                                        ; implicit-def: $vgpr10
	s_and_saveexec_b64 s[4:5], vcc
	s_xor_b64 s[4:5], exec, s[4:5]
; %bb.690:
	v_bfe_u32 v8, v9, 16, 1
	s_movk_i32 s6, 0x7fff
	v_add3_u32 v10, v9, v8, s6
                                        ; implicit-def: $vgpr8_vgpr9
; %bb.691:
	s_andn2_saveexec_b64 s[4:5], s[4:5]
; %bb.692:
	v_mov_b32_e32 v8, 0
	v_or_b32_e32 v10, 0x10000, v9
	v_cmp_eq_u32_sdwa vcc, v9, v8 src0_sel:WORD_0 src1_sel:DWORD
	v_cndmask_b32_e32 v10, v10, v9, vcc
; %bb.693:
	s_or_b64 exec, exec, s[4:5]
	s_mov_b32 s4, 0x7f800000
	v_and_b32_e32 v8, 0x7f800000, v6
	v_cmp_ne_u32_e32 vcc, s4, v8
	flat_store_short_d16_hi v[4:5], v10 offset:288
                                        ; implicit-def: $vgpr8
	s_and_saveexec_b64 s[4:5], vcc
	s_xor_b64 s[4:5], exec, s[4:5]
; %bb.694:
	v_bfe_u32 v8, v6, 16, 1
	s_movk_i32 s6, 0x7fff
	v_add3_u32 v8, v6, v8, s6
; %bb.695:
	s_andn2_saveexec_b64 s[4:5], s[4:5]
; %bb.696:
	v_mov_b32_e32 v8, 0
	v_or_b32_e32 v9, 0x10000, v6
	v_cmp_eq_u32_sdwa vcc, v6, v8 src0_sel:WORD_0 src1_sel:DWORD
	v_cndmask_b32_e32 v8, v9, v6, vcc
; %bb.697:
	s_or_b64 exec, exec, s[4:5]
	s_mov_b32 s4, 0x7f800000
	v_and_b32_e32 v6, 0x7f800000, v7
	v_cmp_ne_u32_e32 vcc, s4, v6
	flat_store_short_d16_hi v[4:5], v8 offset:320
                                        ; implicit-def: $vgpr8
	s_and_saveexec_b64 s[4:5], vcc
	s_xor_b64 s[4:5], exec, s[4:5]
; %bb.698:
	v_bfe_u32 v6, v7, 16, 1
	s_movk_i32 s6, 0x7fff
	v_add3_u32 v8, v7, v6, s6
                                        ; implicit-def: $vgpr6_vgpr7
; %bb.699:
	s_andn2_saveexec_b64 s[4:5], s[4:5]
; %bb.700:
	v_mov_b32_e32 v6, 0
	v_or_b32_e32 v8, 0x10000, v7
	v_cmp_eq_u32_sdwa vcc, v7, v6 src0_sel:WORD_0 src1_sel:DWORD
	v_cndmask_b32_e32 v8, v8, v7, vcc
; %bb.701:
	s_or_b64 exec, exec, s[4:5]
	s_mov_b32 s4, 0x7f800000
	v_and_b32_e32 v6, 0x7f800000, v0
	v_cmp_ne_u32_e32 vcc, s4, v6
	flat_store_short_d16_hi v[4:5], v8 offset:352
                                        ; implicit-def: $vgpr6
	s_and_saveexec_b64 s[4:5], vcc
	s_xor_b64 s[4:5], exec, s[4:5]
; %bb.702:
	v_bfe_u32 v6, v0, 16, 1
	s_movk_i32 s6, 0x7fff
	v_add3_u32 v6, v0, v6, s6
; %bb.703:
	s_andn2_saveexec_b64 s[4:5], s[4:5]
; %bb.704:
	v_mov_b32_e32 v6, 0
	v_or_b32_e32 v7, 0x10000, v0
	v_cmp_eq_u32_sdwa vcc, v0, v6 src0_sel:WORD_0 src1_sel:DWORD
	v_cndmask_b32_e32 v6, v7, v0, vcc
; %bb.705:
	s_or_b64 exec, exec, s[4:5]
	s_mov_b32 s4, 0x7f800000
	v_and_b32_e32 v0, 0x7f800000, v1
	v_cmp_ne_u32_e32 vcc, s4, v0
	flat_store_short_d16_hi v[4:5], v6 offset:384
                                        ; implicit-def: $vgpr6
	s_and_saveexec_b64 s[4:5], vcc
	s_xor_b64 s[4:5], exec, s[4:5]
; %bb.706:
	v_bfe_u32 v0, v1, 16, 1
	s_movk_i32 s6, 0x7fff
	v_add3_u32 v6, v1, v0, s6
                                        ; implicit-def: $vgpr0_vgpr1
; %bb.707:
	s_andn2_saveexec_b64 s[4:5], s[4:5]
; %bb.708:
	v_mov_b32_e32 v0, 0
	v_or_b32_e32 v6, 0x10000, v1
	v_cmp_eq_u32_sdwa vcc, v1, v0 src0_sel:WORD_0 src1_sel:DWORD
	v_cndmask_b32_e32 v6, v6, v1, vcc
; %bb.709:
	s_or_b64 exec, exec, s[4:5]
	s_mov_b32 s4, 0x7f800000
	v_and_b32_e32 v0, 0x7f800000, v2
	v_cmp_ne_u32_e32 vcc, s4, v0
	flat_store_short_d16_hi v[4:5], v6 offset:416
                                        ; implicit-def: $vgpr0
	s_and_saveexec_b64 s[4:5], vcc
	s_xor_b64 s[4:5], exec, s[4:5]
; %bb.710:
	v_bfe_u32 v0, v2, 16, 1
	s_movk_i32 s6, 0x7fff
	v_add3_u32 v0, v2, v0, s6
; %bb.711:
	s_andn2_saveexec_b64 s[4:5], s[4:5]
; %bb.712:
	v_mov_b32_e32 v0, 0
	v_or_b32_e32 v1, 0x10000, v2
	v_cmp_eq_u32_sdwa vcc, v2, v0 src0_sel:WORD_0 src1_sel:DWORD
	v_cndmask_b32_e32 v0, v1, v2, vcc
; %bb.713:
	s_or_b64 exec, exec, s[4:5]
	flat_store_short_d16_hi v[4:5], v0 offset:448
	s_mov_b32 s4, 0x7f800000
	v_and_b32_e32 v0, 0x7f800000, v3
	v_cmp_ne_u32_e32 vcc, s4, v0
                                        ; implicit-def: $vgpr0
	s_and_saveexec_b64 s[4:5], vcc
	s_xor_b64 s[4:5], exec, s[4:5]
; %bb.714:
	v_bfe_u32 v0, v3, 16, 1
	s_movk_i32 s6, 0x7fff
	v_add3_u32 v0, v3, v0, s6
                                        ; implicit-def: $vgpr2_vgpr3
; %bb.715:
	s_andn2_saveexec_b64 s[4:5], s[4:5]
; %bb.716:
	v_mov_b32_e32 v0, 0
	v_or_b32_e32 v1, 0x10000, v3
	v_cmp_eq_u32_sdwa vcc, v3, v0 src0_sel:WORD_0 src1_sel:DWORD
	v_cndmask_b32_e32 v0, v1, v3, vcc
; %bb.717:
	s_or_b64 exec, exec, s[4:5]
	flat_store_short_d16_hi v[4:5], v0 offset:480
.LBB179_718:
	s_or_b64 exec, exec, s[20:21]
	buffer_load_dword a63, off, s[0:3], s32 ; 4-byte Folded Reload
	buffer_load_dword a62, off, s[0:3], s32 offset:4 ; 4-byte Folded Reload
	buffer_load_dword a61, off, s[0:3], s32 offset:8 ; 4-byte Folded Reload
	;; [unrolled: 1-line block ×46, first 2 shown]
	v_readlane_b32 s30, v63, 8
	v_readlane_b32 s31, v63, 9
	;; [unrolled: 1-line block ×10, first 2 shown]
	s_or_saveexec_b64 s[4:5], -1
	buffer_load_dword v63, off, s[0:3], s32 offset:488 ; 4-byte Folded Reload
	s_mov_b64 exec, s[4:5]
	s_waitcnt vmcnt(0) lgkmcnt(0)
	s_setpc_b64 s[30:31]
.LBB179_719:
	s_load_dword s12, s[10:11], 0x0
	s_waitcnt lgkmcnt(0)
	v_lshl_add_u32 v5, v4, 2, s12
	ds_read_b32 v5, v5
	s_waitcnt lgkmcnt(0)
	v_add_f32_e32 v22, v5, v22
	s_or_b64 exec, exec, s[8:9]
	s_and_saveexec_b64 s[8:9], vcc
	s_cbranch_execz .LBB179_635
.LBB179_720:
	s_load_dword s12, s[10:11], 0x0
	s_waitcnt lgkmcnt(0)
	v_lshl_add_u32 v5, v4, 2, s12
	ds_read_b32 v5, v5 offset:64
	s_waitcnt lgkmcnt(0)
	v_add_f32_e32 v23, v5, v23
	s_or_b64 exec, exec, s[8:9]
	s_and_saveexec_b64 s[8:9], vcc
	s_cbranch_execz .LBB179_636
.LBB179_721:
	s_load_dword s12, s[10:11], 0x0
	s_waitcnt lgkmcnt(0)
	v_lshl_add_u32 v5, v4, 2, s12
	ds_read_b32 v5, v5 offset:128
	s_waitcnt lgkmcnt(0)
	v_add_f32_e32 v20, v5, v20
	s_or_b64 exec, exec, s[8:9]
	s_and_saveexec_b64 s[8:9], vcc
	s_cbranch_execz .LBB179_637
.LBB179_722:
	s_load_dword s12, s[10:11], 0x0
	s_waitcnt lgkmcnt(0)
	v_lshl_add_u32 v5, v4, 2, s12
	ds_read_b32 v5, v5 offset:192
	s_waitcnt lgkmcnt(0)
	v_add_f32_e32 v21, v5, v21
	s_or_b64 exec, exec, s[8:9]
	s_and_saveexec_b64 s[8:9], vcc
	s_cbranch_execz .LBB179_638
.LBB179_723:
	s_load_dword s12, s[10:11], 0x0
	s_waitcnt lgkmcnt(0)
	v_lshl_add_u32 v5, v4, 2, s12
	ds_read_b32 v5, v5 offset:256
	s_waitcnt lgkmcnt(0)
	v_add_f32_e32 v14, v5, v14
	s_or_b64 exec, exec, s[8:9]
	s_and_saveexec_b64 s[8:9], vcc
	s_cbranch_execz .LBB179_639
.LBB179_724:
	s_load_dword s12, s[10:11], 0x0
	s_waitcnt lgkmcnt(0)
	v_lshl_add_u32 v5, v4, 2, s12
	ds_read_b32 v5, v5 offset:320
	s_waitcnt lgkmcnt(0)
	v_add_f32_e32 v15, v5, v15
	s_or_b64 exec, exec, s[8:9]
	s_and_saveexec_b64 s[8:9], vcc
	s_cbranch_execz .LBB179_640
.LBB179_725:
	s_load_dword s12, s[10:11], 0x0
	s_waitcnt lgkmcnt(0)
	v_lshl_add_u32 v5, v4, 2, s12
	ds_read_b32 v5, v5 offset:384
	s_waitcnt lgkmcnt(0)
	v_add_f32_e32 v10, v5, v10
	s_or_b64 exec, exec, s[8:9]
	s_and_saveexec_b64 s[8:9], vcc
	s_cbranch_execz .LBB179_641
.LBB179_726:
	s_load_dword s12, s[10:11], 0x0
	s_waitcnt lgkmcnt(0)
	v_lshl_add_u32 v5, v4, 2, s12
	ds_read_b32 v5, v5 offset:448
	s_waitcnt lgkmcnt(0)
	v_add_f32_e32 v11, v5, v11
	s_or_b64 exec, exec, s[8:9]
	s_and_saveexec_b64 s[8:9], vcc
	s_cbranch_execz .LBB179_642
.LBB179_727:
	s_load_dword s12, s[10:11], 0x0
	s_waitcnt lgkmcnt(0)
	v_lshl_add_u32 v5, v4, 2, s12
	ds_read_b32 v5, v5 offset:512
	s_waitcnt lgkmcnt(0)
	v_add_f32_e32 v8, v5, v8
	s_or_b64 exec, exec, s[8:9]
	s_and_saveexec_b64 s[8:9], vcc
	s_cbranch_execz .LBB179_643
.LBB179_728:
	s_load_dword s12, s[10:11], 0x0
	s_waitcnt lgkmcnt(0)
	v_lshl_add_u32 v5, v4, 2, s12
	ds_read_b32 v5, v5 offset:576
	s_waitcnt lgkmcnt(0)
	v_add_f32_e32 v9, v5, v9
	s_or_b64 exec, exec, s[8:9]
	s_and_saveexec_b64 s[8:9], vcc
	s_cbranch_execz .LBB179_644
.LBB179_729:
	s_load_dword s12, s[10:11], 0x0
	s_waitcnt lgkmcnt(0)
	v_lshl_add_u32 v5, v4, 2, s12
	ds_read_b32 v5, v5 offset:640
	s_waitcnt lgkmcnt(0)
	v_add_f32_e32 v6, v5, v6
	s_or_b64 exec, exec, s[8:9]
	s_and_saveexec_b64 s[8:9], vcc
	s_cbranch_execz .LBB179_645
.LBB179_730:
	s_load_dword s12, s[10:11], 0x0
	s_waitcnt lgkmcnt(0)
	v_lshl_add_u32 v5, v4, 2, s12
	ds_read_b32 v5, v5 offset:704
	s_waitcnt lgkmcnt(0)
	v_add_f32_e32 v7, v5, v7
	s_or_b64 exec, exec, s[8:9]
	s_and_saveexec_b64 s[8:9], vcc
	s_cbranch_execz .LBB179_646
.LBB179_731:
	s_load_dword s12, s[10:11], 0x0
	s_waitcnt lgkmcnt(0)
	v_lshl_add_u32 v5, v4, 2, s12
	ds_read_b32 v5, v5 offset:768
	s_waitcnt lgkmcnt(0)
	v_add_f32_e32 v0, v5, v0
	s_or_b64 exec, exec, s[8:9]
	s_and_saveexec_b64 s[8:9], vcc
	s_cbranch_execz .LBB179_647
.LBB179_732:
	s_load_dword s12, s[10:11], 0x0
	s_waitcnt lgkmcnt(0)
	v_lshl_add_u32 v5, v4, 2, s12
	ds_read_b32 v5, v5 offset:832
	s_waitcnt lgkmcnt(0)
	v_add_f32_e32 v1, v5, v1
	s_or_b64 exec, exec, s[8:9]
	s_and_saveexec_b64 s[8:9], vcc
	s_cbranch_execz .LBB179_648
.LBB179_733:
	s_load_dword s12, s[10:11], 0x0
	s_waitcnt lgkmcnt(0)
	v_lshl_add_u32 v5, v4, 2, s12
	ds_read_b32 v5, v5 offset:896
	s_waitcnt lgkmcnt(0)
	v_add_f32_e32 v2, v5, v2
	s_or_b64 exec, exec, s[8:9]
	s_and_saveexec_b64 s[8:9], vcc
	s_cbranch_execnz .LBB179_649
	s_branch .LBB179_650
.Lfunc_end179:
	.size	_ZN4vllm22paged_attention_kernelI14__hip_bfloat16S1_Li256ELi32ELi128ELNS_18Fp8KVCacheDataTypeE0ELb1ELi512EEEvPfS3_PT_PKS4_PKT0_SA_ifPKiSC_iPKfiiiSE_SE_iiiii, .Lfunc_end179-_ZN4vllm22paged_attention_kernelI14__hip_bfloat16S1_Li256ELi32ELi128ELNS_18Fp8KVCacheDataTypeE0ELb1ELi512EEEvPfS3_PT_PKS4_PKT0_SA_ifPKiSC_iPKfiiiSE_SE_iiiii
                                        ; -- End function
	.section	.AMDGPU.csdata,"",@progbits
; Function info:
; codeLenInByte = 31328
; NumSgprs: 46
; NumVgprs: 64
; NumAgprs: 64
; TotalNumVgprs: 128
; ScratchSize: 496
; MemoryBound: 0
	.section	.text._ZN4vllm25paged_attention_v2_kernelI14__hip_bfloat16S1_Li256ELi32ELi128ELNS_18Fp8KVCacheDataTypeE0ELb1ELi512EEEvPfS3_PT_PKS4_PKT0_SA_ifPKiSC_iPKfiiiSE_SE_iiiii,"axG",@progbits,_ZN4vllm25paged_attention_v2_kernelI14__hip_bfloat16S1_Li256ELi32ELi128ELNS_18Fp8KVCacheDataTypeE0ELb1ELi512EEEvPfS3_PT_PKS4_PKT0_SA_ifPKiSC_iPKfiiiSE_SE_iiiii,comdat
	.protected	_ZN4vllm25paged_attention_v2_kernelI14__hip_bfloat16S1_Li256ELi32ELi128ELNS_18Fp8KVCacheDataTypeE0ELb1ELi512EEEvPfS3_PT_PKS4_PKT0_SA_ifPKiSC_iPKfiiiSE_SE_iiiii ; -- Begin function _ZN4vllm25paged_attention_v2_kernelI14__hip_bfloat16S1_Li256ELi32ELi128ELNS_18Fp8KVCacheDataTypeE0ELb1ELi512EEEvPfS3_PT_PKS4_PKT0_SA_ifPKiSC_iPKfiiiSE_SE_iiiii
	.globl	_ZN4vllm25paged_attention_v2_kernelI14__hip_bfloat16S1_Li256ELi32ELi128ELNS_18Fp8KVCacheDataTypeE0ELb1ELi512EEEvPfS3_PT_PKS4_PKT0_SA_ifPKiSC_iPKfiiiSE_SE_iiiii
	.p2align	8
	.type	_ZN4vllm25paged_attention_v2_kernelI14__hip_bfloat16S1_Li256ELi32ELi128ELNS_18Fp8KVCacheDataTypeE0ELb1ELi512EEEvPfS3_PT_PKS4_PKT0_SA_ifPKiSC_iPKfiiiSE_SE_iiiii,@function
_ZN4vllm25paged_attention_v2_kernelI14__hip_bfloat16S1_Li256ELi32ELi128ELNS_18Fp8KVCacheDataTypeE0ELb1ELi512EEEvPfS3_PT_PKS4_PKT0_SA_ifPKiSC_iPKfiiiSE_SE_iiiii: ; @_ZN4vllm25paged_attention_v2_kernelI14__hip_bfloat16S1_Li256ELi32ELi128ELNS_18Fp8KVCacheDataTypeE0ELb1ELi512EEEvPfS3_PT_PKS4_PKT0_SA_ifPKiSC_iPKfiiiSE_SE_iiiii
; %bb.0:
	s_add_u32 flat_scratch_lo, s6, s11
	s_addc_u32 flat_scratch_hi, s7, 0
	s_add_u32 s0, s0, s11
	s_load_dwordx8 s[24:31], s[4:5], 0x0
	s_load_dwordx8 s[16:23], s[4:5], 0x20
	s_load_dwordx2 s[6:7], s[4:5], 0x40
	s_load_dwordx2 s[34:35], s[4:5], 0x50
	s_load_dword s11, s[4:5], 0x48
	s_load_dword s33, s[4:5], 0x88
	s_load_dwordx4 s[40:43], s[4:5], 0x58
	s_load_dwordx4 s[36:39], s[4:5], 0x78
	s_addc_u32 s1, s1, 0
	s_mov_b32 s12, s8
	s_add_u32 s8, s4, 0x90
	s_mov_b32 s13, s9
	s_addc_u32 s9, s5, 0
	s_mov_b32 s14, s10
	s_mov_b32 s15, 1
	v_mov_b32_e32 v31, v0
	s_waitcnt lgkmcnt(0)
	v_mov_b32_e32 v0, s24
	v_mov_b32_e32 v1, s25
	;; [unrolled: 1-line block ×29, first 2 shown]
	s_mov_b32 s32, 0
	s_getpc_b64 s[4:5]
	s_add_u32 s4, s4, _ZN4vllm22paged_attention_kernelI14__hip_bfloat16S1_Li256ELi32ELi128ELNS_18Fp8KVCacheDataTypeE0ELb1ELi512EEEvPfS3_PT_PKS4_PKT0_SA_ifPKiSC_iPKfiiiSE_SE_iiiii@rel32@lo+4
	s_addc_u32 s5, s5, _ZN4vllm22paged_attention_kernelI14__hip_bfloat16S1_Li256ELi32ELi128ELNS_18Fp8KVCacheDataTypeE0ELb1ELi512EEEvPfS3_PT_PKS4_PKT0_SA_ifPKiSC_iPKfiiiSE_SE_iiiii@rel32@hi+12
	s_swappc_b64 s[30:31], s[4:5]
	s_endpgm
	.section	.rodata,"a",@progbits
	.p2align	6, 0x0
	.amdhsa_kernel _ZN4vllm25paged_attention_v2_kernelI14__hip_bfloat16S1_Li256ELi32ELi128ELNS_18Fp8KVCacheDataTypeE0ELb1ELi512EEEvPfS3_PT_PKS4_PKT0_SA_ifPKiSC_iPKfiiiSE_SE_iiiii
		.amdhsa_group_segment_fixed_size 528
		.amdhsa_private_segment_fixed_size 496
		.amdhsa_kernarg_size 400
		.amdhsa_user_sgpr_count 8
		.amdhsa_user_sgpr_private_segment_buffer 1
		.amdhsa_user_sgpr_dispatch_ptr 0
		.amdhsa_user_sgpr_queue_ptr 0
		.amdhsa_user_sgpr_kernarg_segment_ptr 1
		.amdhsa_user_sgpr_dispatch_id 0
		.amdhsa_user_sgpr_flat_scratch_init 1
		.amdhsa_user_sgpr_kernarg_preload_length 0
		.amdhsa_user_sgpr_kernarg_preload_offset 0
		.amdhsa_user_sgpr_private_segment_size 0
		.amdhsa_uses_dynamic_stack 0
		.amdhsa_system_sgpr_private_segment_wavefront_offset 1
		.amdhsa_system_sgpr_workgroup_id_x 1
		.amdhsa_system_sgpr_workgroup_id_y 1
		.amdhsa_system_sgpr_workgroup_id_z 1
		.amdhsa_system_sgpr_workgroup_info 0
		.amdhsa_system_vgpr_workitem_id 0
		.amdhsa_next_free_vgpr 128
		.amdhsa_next_free_sgpr 44
		.amdhsa_accum_offset 64
		.amdhsa_reserve_vcc 1
		.amdhsa_reserve_flat_scratch 1
		.amdhsa_float_round_mode_32 0
		.amdhsa_float_round_mode_16_64 0
		.amdhsa_float_denorm_mode_32 3
		.amdhsa_float_denorm_mode_16_64 3
		.amdhsa_dx10_clamp 1
		.amdhsa_ieee_mode 1
		.amdhsa_fp16_overflow 0
		.amdhsa_tg_split 0
		.amdhsa_exception_fp_ieee_invalid_op 0
		.amdhsa_exception_fp_denorm_src 0
		.amdhsa_exception_fp_ieee_div_zero 0
		.amdhsa_exception_fp_ieee_overflow 0
		.amdhsa_exception_fp_ieee_underflow 0
		.amdhsa_exception_fp_ieee_inexact 0
		.amdhsa_exception_int_div_zero 0
	.end_amdhsa_kernel
	.section	.text._ZN4vllm25paged_attention_v2_kernelI14__hip_bfloat16S1_Li256ELi32ELi128ELNS_18Fp8KVCacheDataTypeE0ELb1ELi512EEEvPfS3_PT_PKS4_PKT0_SA_ifPKiSC_iPKfiiiSE_SE_iiiii,"axG",@progbits,_ZN4vllm25paged_attention_v2_kernelI14__hip_bfloat16S1_Li256ELi32ELi128ELNS_18Fp8KVCacheDataTypeE0ELb1ELi512EEEvPfS3_PT_PKS4_PKT0_SA_ifPKiSC_iPKfiiiSE_SE_iiiii,comdat
.Lfunc_end180:
	.size	_ZN4vllm25paged_attention_v2_kernelI14__hip_bfloat16S1_Li256ELi32ELi128ELNS_18Fp8KVCacheDataTypeE0ELb1ELi512EEEvPfS3_PT_PKS4_PKT0_SA_ifPKiSC_iPKfiiiSE_SE_iiiii, .Lfunc_end180-_ZN4vllm25paged_attention_v2_kernelI14__hip_bfloat16S1_Li256ELi32ELi128ELNS_18Fp8KVCacheDataTypeE0ELb1ELi512EEEvPfS3_PT_PKS4_PKT0_SA_ifPKiSC_iPKfiiiSE_SE_iiiii
                                        ; -- End function
	.section	.AMDGPU.csdata,"",@progbits
; Kernel info:
; codeLenInByte = 264
; NumSgprs: 50
; NumVgprs: 64
; NumAgprs: 64
; TotalNumVgprs: 128
; ScratchSize: 496
; MemoryBound: 0
; FloatMode: 240
; IeeeMode: 1
; LDSByteSize: 528 bytes/workgroup (compile time only)
; SGPRBlocks: 6
; VGPRBlocks: 15
; NumSGPRsForWavesPerEU: 50
; NumVGPRsForWavesPerEU: 128
; AccumOffset: 64
; Occupancy: 4
; WaveLimiterHint : 1
; COMPUTE_PGM_RSRC2:SCRATCH_EN: 1
; COMPUTE_PGM_RSRC2:USER_SGPR: 8
; COMPUTE_PGM_RSRC2:TRAP_HANDLER: 0
; COMPUTE_PGM_RSRC2:TGID_X_EN: 1
; COMPUTE_PGM_RSRC2:TGID_Y_EN: 1
; COMPUTE_PGM_RSRC2:TGID_Z_EN: 1
; COMPUTE_PGM_RSRC2:TIDIG_COMP_CNT: 0
; COMPUTE_PGM_RSRC3_GFX90A:ACCUM_OFFSET: 15
; COMPUTE_PGM_RSRC3_GFX90A:TG_SPLIT: 0
	.section	.text._ZN4vllm25paged_attention_v2_kernelI14__hip_bfloat16S1_Li32ELi32ELi128ELNS_18Fp8KVCacheDataTypeE0ELb0ELi512EEEvPfS3_PT_PKS4_PKT0_SA_ifPKiSC_iPKfiiiSE_SE_iiiii,"axG",@progbits,_ZN4vllm25paged_attention_v2_kernelI14__hip_bfloat16S1_Li32ELi32ELi128ELNS_18Fp8KVCacheDataTypeE0ELb0ELi512EEEvPfS3_PT_PKS4_PKT0_SA_ifPKiSC_iPKfiiiSE_SE_iiiii,comdat
	.protected	_ZN4vllm25paged_attention_v2_kernelI14__hip_bfloat16S1_Li32ELi32ELi128ELNS_18Fp8KVCacheDataTypeE0ELb0ELi512EEEvPfS3_PT_PKS4_PKT0_SA_ifPKiSC_iPKfiiiSE_SE_iiiii ; -- Begin function _ZN4vllm25paged_attention_v2_kernelI14__hip_bfloat16S1_Li32ELi32ELi128ELNS_18Fp8KVCacheDataTypeE0ELb0ELi512EEEvPfS3_PT_PKS4_PKT0_SA_ifPKiSC_iPKfiiiSE_SE_iiiii
	.globl	_ZN4vllm25paged_attention_v2_kernelI14__hip_bfloat16S1_Li32ELi32ELi128ELNS_18Fp8KVCacheDataTypeE0ELb0ELi512EEEvPfS3_PT_PKS4_PKT0_SA_ifPKiSC_iPKfiiiSE_SE_iiiii
	.p2align	8
	.type	_ZN4vllm25paged_attention_v2_kernelI14__hip_bfloat16S1_Li32ELi32ELi128ELNS_18Fp8KVCacheDataTypeE0ELb0ELi512EEEvPfS3_PT_PKS4_PKT0_SA_ifPKiSC_iPKfiiiSE_SE_iiiii,@function
_ZN4vllm25paged_attention_v2_kernelI14__hip_bfloat16S1_Li32ELi32ELi128ELNS_18Fp8KVCacheDataTypeE0ELb0ELi512EEEvPfS3_PT_PKS4_PKT0_SA_ifPKiSC_iPKfiiiSE_SE_iiiii: ; @_ZN4vllm25paged_attention_v2_kernelI14__hip_bfloat16S1_Li32ELi32ELi128ELNS_18Fp8KVCacheDataTypeE0ELb0ELi512EEEvPfS3_PT_PKS4_PKT0_SA_ifPKiSC_iPKfiiiSE_SE_iiiii
; %bb.0:
	s_load_dwordx2 s[0:1], s[4:5], 0x40
	s_mov_b32 s20, s7
	s_ashr_i32 s21, s7, 31
	s_lshl_b64 s[2:3], s[20:21], 2
	s_waitcnt lgkmcnt(0)
	s_add_u32 s0, s0, s2
	s_addc_u32 s1, s1, s3
	s_load_dword s33, s[0:1], 0x0
	s_lshl_b32 s40, s8, 9
	s_waitcnt lgkmcnt(0)
	s_cmp_ge_i32 s40, s33
	s_cbranch_scc1 .LBB181_163
; %bb.1:
	s_load_dword s21, s[4:5], 0x90
	s_load_dwordx2 s[10:11], s[4:5], 0x30
	s_waitcnt lgkmcnt(0)
	s_abs_i32 s2, s21
	s_abs_i32 s0, s10
	v_cvt_f32_u32_e32 v1, s0
	s_sub_i32 s3, 0, s0
	s_xor_b32 s1, s21, s10
	s_ashr_i32 s1, s1, 31
	v_rcp_iflag_f32_e32 v1, v1
	s_mov_b32 s10, 0
	v_mul_f32_e32 v1, 0x4f7ffffe, v1
	v_cvt_u32_f32_e32 v1, v1
	v_readfirstlane_b32 s7, v1
	s_mul_i32 s3, s3, s7
	s_mul_hi_u32 s3, s7, s3
	s_add_i32 s7, s7, s3
	s_mul_hi_u32 s3, s2, s7
	s_mul_i32 s7, s3, s0
	s_sub_i32 s2, s2, s7
	s_add_i32 s9, s3, 1
	s_sub_i32 s7, s2, s0
	s_cmp_ge_u32 s2, s0
	s_cselect_b32 s3, s9, s3
	s_cselect_b32 s2, s7, s2
	s_add_i32 s7, s3, 1
	s_cmp_ge_u32 s2, s0
	s_cselect_b32 s0, s7, s3
	s_xor_b32 s0, s0, s1
	s_sub_i32 s9, s0, s1
	s_abs_i32 s2, s9
	v_cvt_f32_u32_e32 v1, s2
	s_load_dwordx2 s[0:1], s[4:5], 0x50
	s_sub_i32 s7, 0, s2
	s_abs_i32 s3, s6
	v_rcp_iflag_f32_e32 v1, v1
	v_mul_f32_e32 v1, 0x4f7ffffe, v1
	v_cvt_u32_f32_e32 v1, v1
	v_readfirstlane_b32 s12, v1
	s_mul_i32 s7, s7, s12
	s_mul_hi_u32 s7, s12, s7
	s_add_i32 s12, s12, s7
	s_waitcnt lgkmcnt(0)
	s_cmp_eq_u64 s[0:1], 0
	s_mul_hi_u32 s16, s3, s12
	s_cbranch_scc1 .LBB181_3
; %bb.2:
	s_ashr_i32 s7, s6, 31
	s_lshl_b64 s[12:13], s[6:7], 2
	s_add_u32 s0, s0, s12
	s_addc_u32 s1, s1, s13
	s_load_dword s10, s[0:1], 0x0
.LBB181_3:
	s_load_dwordx4 s[12:15], s[4:5], 0x58
	s_ashr_i32 s17, s6, 31
	s_ashr_i32 s18, s9, 31
	v_and_b32_e32 v2, 1, v0
	s_lshl_b32 s22, s6, 5
	v_cmp_gt_u32_e32 vcc, 8, v0
	v_lshlrev_b32_e32 v4, 3, v0
	s_and_saveexec_b64 s[0:1], vcc
	s_cbranch_execz .LBB181_5
; %bb.4:
	s_load_dwordx2 s[24:25], s[4:5], 0x18
	s_waitcnt lgkmcnt(0)
	s_mul_i32 s26, s20, s12
	s_ashr_i32 s27, s26, 31
	s_lshl_b64 s[26:27], s[26:27], 1
	v_lshlrev_b32_e32 v1, 2, v0
	s_add_u32 s7, s24, s26
	s_addc_u32 s9, s25, s27
	s_ashr_i32 s23, s22, 31
	s_lshl_b64 s[24:25], s[22:23], 1
	s_add_u32 s24, s7, s24
	s_addc_u32 s25, s9, s25
	global_load_dwordx2 v[6:7], v4, s[24:25]
	v_and_b32_e32 v1, 0xff8, v1
	v_lshl_add_u32 v1, v2, 5, v1
	s_waitcnt vmcnt(0)
	ds_write_b64 v1, v[6:7]
.LBB181_5:
	s_or_b64 exec, exec, s[0:1]
	s_add_i32 s0, s33, 31
	s_ashr_i32 s1, s0, 31
	s_lshr_b32 s1, s1, 27
	s_add_i32 s0, s0, s1
	s_lshl_b32 s9, s8, 4
	s_mul_i32 s1, s16, s2
	s_ashr_i32 s7, s0, 5
	s_add_i32 s0, s9, 16
	s_sub_i32 s1, s3, s1
	s_min_i32 s23, s0, s7
	s_xor_b32 s0, s17, s18
	s_add_i32 s3, s16, 1
	s_waitcnt lgkmcnt(0)
	s_sub_i32 s12, s1, s2
	s_cmp_ge_u32 s1, s2
	s_cselect_b32 s3, s3, s16
	s_cselect_b32 s1, s12, s1
	s_add_i32 s12, s3, 1
	s_cmp_ge_u32 s1, s2
	s_load_dwordx2 s[26:27], s[4:5], 0x38
	s_load_dword s2, s[4:5], 0x48
	v_lshrrev_b32_e32 v5, 6, v0
	s_cselect_b32 s1, s12, s3
	s_xor_b32 s1, s1, s0
	v_or_b32_e32 v10, s9, v5
	s_waitcnt lgkmcnt(0)
	s_mul_i32 s28, s20, s2
	s_sub_i32 s15, s1, s0
	s_ashr_i32 s29, s28, 31
	v_cmp_gt_i32_e64 s[0:1], s23, v10
	v_cmp_le_i32_e32 vcc, s23, v10
	v_mbcnt_lo_u32_b32 v3, -1, 0
	s_barrier
	s_waitcnt lgkmcnt(0)
                                        ; implicit-def: $sgpr36
                                        ; implicit-def: $vgpr6
                                        ; implicit-def: $vgpr7
	s_and_saveexec_b64 s[2:3], vcc
	s_xor_b64 s[2:3], exec, s[2:3]
; %bb.6:
	v_mbcnt_hi_u32_b32 v6, -1, v3
	v_and_b32_e32 v1, 64, v6
	v_add_u32_e32 v7, 64, v1
	s_mov_b32 s36, 0xff7fffff
                                        ; implicit-def: $vgpr2
                                        ; implicit-def: $vgpr3
; %bb.7:
	s_or_saveexec_b64 s[34:35], s[2:3]
	s_load_dwordx4 s[16:19], s[4:5], 0x0
	s_load_dwordx2 s[24:25], s[4:5], 0x10
	s_load_dwordx2 s[30:31], s[4:5], 0x28
	s_load_dword s12, s[4:5], 0x98
	v_mov_b32_e32 v24, s36
	s_mul_i32 s14, s15, s14
	v_ashrrev_i32_e32 v11, 31, v10
	s_xor_b64 exec, exec, s[34:35]
	s_cbranch_execz .LBB181_13
; %bb.8:
	s_load_dwordx2 s[2:3], s[4:5], 0x20
	s_ashr_i32 s15, s14, 31
	s_lshl_b64 s[4:5], s[14:15], 1
	v_bfe_u32 v30, v0, 1, 5
	v_lshlrev_b32_e32 v1, 4, v30
	s_waitcnt lgkmcnt(0)
	s_add_u32 s2, s2, s4
	s_addc_u32 s3, s3, s5
	v_mov_b32_e32 v6, s3
	v_add_co_u32_e32 v1, vcc, s2, v1
	v_addc_co_u32_e32 v6, vcc, 0, v6, vcc
	v_and_b32_e32 v7, 8, v4
	v_add_co_u32_e32 v1, vcc, v1, v7
	v_addc_co_u32_e32 v8, vcc, 0, v6, vcc
	v_mbcnt_hi_u32_b32 v6, -1, v3
	v_and_b32_e32 v7, 64, v6
	v_lshlrev_b32_e32 v9, 5, v2
	v_xor_b32_e32 v3, 1, v6
	v_add_u32_e32 v7, 64, v7
	ds_read_b128 v[16:19], v9
	ds_read_b128 v[24:27], v9 offset:16
	v_cmp_lt_i32_e32 vcc, v3, v7
	v_cndmask_b32_e32 v3, v6, v3, vcc
	v_cmp_eq_u32_e32 vcc, 0, v2
	v_lshlrev_b32_e32 v2, 5, v5
	s_sub_i32 s15, 1, s33
	v_add3_u32 v29, s40, v2, v30
	v_lshlrev_b32_e32 v2, 2, v30
	s_lshl_b64 s[4:5], s[28:29], 2
	v_lshl_or_b32 v2, v5, 7, v2
	s_add_u32 s4, s26, s4
	v_lshlrev_b32_e32 v28, 2, v3
	v_add_u32_e32 v30, 0x50, v2
	v_lshlrev_b64 v[2:3], 2, v[10:11]
	s_addc_u32 s5, s27, s5
	s_waitcnt lgkmcnt(1)
	v_lshlrev_b32_e32 v9, 16, v16
	v_and_b32_e32 v12, 0xffff0000, v16
	v_lshlrev_b32_e32 v13, 16, v17
	v_and_b32_e32 v14, 0xffff0000, v17
	v_lshlrev_b32_e32 v15, 16, v18
	v_and_b32_e32 v16, 0xffff0000, v18
	v_lshlrev_b32_e32 v17, 16, v19
	v_and_b32_e32 v18, 0xffff0000, v19
	s_waitcnt lgkmcnt(0)
	v_lshlrev_b32_e32 v19, 16, v24
	v_and_b32_e32 v20, 0xffff0000, v24
	v_mov_b32_e32 v24, s5
	v_add_co_u32_e64 v2, s[4:5], s4, v2
	s_mov_b32 s41, s13
	v_lshlrev_b32_e32 v21, 16, v25
	v_and_b32_e32 v22, 0xffff0000, v25
	v_lshlrev_b32_e32 v23, 16, v26
	v_and_b32_e32 v25, 0xffff0000, v26
	;; [unrolled: 2-line block ×3, first 2 shown]
	v_cmp_neq_f32_e64 s[2:3], s10, 0
	v_addc_co_u32_e64 v3, s[4:5], v24, v3, s[4:5]
	s_mov_b64 s[36:37], 0
	v_mov_b32_e32 v24, 0xff7fffff
	v_mov_b32_e32 v31, v10
	s_branch .LBB181_10
.LBB181_9:                              ;   in Loop: Header=BB181_10 Depth=1
	s_or_b64 exec, exec, s[38:39]
	v_add_u32_e32 v31, 2, v31
	v_cmp_le_i32_e64 s[4:5], s23, v31
	s_or_b64 s[36:37], s[4:5], s[36:37]
	v_add_co_u32_e64 v2, s[4:5], 8, v2
	v_add_u32_e32 v29, 64, v29
	v_add_u32_e32 v30, 0x100, v30
	v_addc_co_u32_e64 v3, s[4:5], 0, v3, s[4:5]
	s_andn2_b64 exec, exec, s[36:37]
	s_cbranch_execz .LBB181_12
.LBB181_10:                             ; =>This Inner Loop Header: Depth=1
	global_load_dword v32, v[2:3], off
	s_waitcnt vmcnt(0) lgkmcnt(0)
	v_mad_i64_i32 v[32:33], s[4:5], v32, s41, 0
	v_lshlrev_b64 v[32:33], 1, v[32:33]
	v_add_co_u32_e64 v32, s[4:5], v1, v32
	v_addc_co_u32_e64 v33, s[4:5], v8, v33, s[4:5]
	global_load_dwordx2 v[34:35], v[32:33], off
	global_load_dwordx2 v[36:37], v[32:33], off offset:512
	global_load_dwordx2 v[38:39], v[32:33], off offset:1024
	;; [unrolled: 1-line block ×3, first 2 shown]
	s_waitcnt vmcnt(3)
	v_lshlrev_b32_e32 v32, 16, v34
	s_waitcnt vmcnt(2)
	v_lshlrev_b32_e32 v42, 16, v36
	v_and_b32_e32 v36, 0xffff0000, v36
	v_and_b32_e32 v33, 0xffff0000, v34
	v_lshlrev_b32_e32 v43, 16, v37
	v_mul_f32_e32 v42, v15, v42
	v_mul_f32_e32 v36, v16, v36
	v_lshlrev_b32_e32 v34, 16, v35
	v_and_b32_e32 v37, 0xffff0000, v37
	s_waitcnt vmcnt(1)
	v_lshlrev_b32_e32 v44, 16, v38
	v_and_b32_e32 v38, 0xffff0000, v38
	v_mul_f32_e32 v43, v17, v43
	v_fmac_f32_e32 v42, v9, v32
	v_fmac_f32_e32 v36, v12, v33
	v_and_b32_e32 v35, 0xffff0000, v35
	v_lshlrev_b32_e32 v45, 16, v39
	s_waitcnt vmcnt(0)
	v_lshlrev_b32_e32 v46, 16, v40
	v_and_b32_e32 v40, 0xffff0000, v40
	v_mul_f32_e32 v37, v18, v37
	v_fmac_f32_e32 v43, v13, v34
	v_fmac_f32_e32 v42, v19, v44
	;; [unrolled: 1-line block ×3, first 2 shown]
	v_and_b32_e32 v39, 0xffff0000, v39
	v_lshlrev_b32_e32 v47, 16, v41
	v_fmac_f32_e32 v37, v14, v35
	v_fmac_f32_e32 v43, v21, v45
	;; [unrolled: 1-line block ×4, first 2 shown]
	v_and_b32_e32 v41, 0xffff0000, v41
	v_fmac_f32_e32 v37, v22, v39
	v_fmac_f32_e32 v43, v26, v47
	v_add_f32_e32 v32, v42, v36
	v_fmac_f32_e32 v37, v27, v41
	v_add_f32_e32 v32, v32, v43
	v_add_f32_e32 v32, v37, v32
	ds_bpermute_b32 v33, v28, v32
	s_and_saveexec_b64 s[38:39], vcc
	s_cbranch_execz .LBB181_9
; %bb.11:                               ;   in Loop: Header=BB181_10 Depth=1
	v_add_u32_e32 v34, s15, v29
	v_cvt_f32_i32_e32 v34, v34
	s_waitcnt lgkmcnt(0)
	v_add_f32_e32 v32, v32, v33
	v_cmp_gt_i32_e64 s[4:5], s33, v29
	v_max_f32_e32 v33, v24, v24
	v_mul_f32_e32 v34, s10, v34
	v_cndmask_b32_e64 v34, 0, v34, s[2:3]
	v_fmac_f32_e32 v34, s11, v32
	v_cndmask_b32_e64 v32, 0, v34, s[4:5]
	ds_write_b32 v30, v32
	v_max_f32_e32 v32, v33, v34
	v_cndmask_b32_e64 v24, v24, v32, s[4:5]
	s_branch .LBB181_9
.LBB181_12:
	s_or_b64 exec, exec, s[36:37]
.LBB181_13:
	s_or_b64 exec, exec, s[34:35]
	v_xor_b32_e32 v1, 32, v6
	v_cmp_lt_i32_e32 vcc, v1, v7
	v_cndmask_b32_e32 v1, v6, v1, vcc
	v_lshlrev_b32_e32 v2, 2, v1
	ds_bpermute_b32 v1, v2, v24
	v_xor_b32_e32 v8, 16, v6
	v_max_f32_e32 v3, v24, v24
	v_cmp_lt_i32_e32 vcc, v8, v7
	v_xor_b32_e32 v9, 8, v6
	s_waitcnt lgkmcnt(0)
	v_max_f32_e32 v1, v1, v1
	v_max_f32_e32 v1, v3, v1
	v_cndmask_b32_e32 v3, v6, v8, vcc
	v_lshlrev_b32_e32 v3, 2, v3
	ds_bpermute_b32 v8, v3, v1
	v_cmp_lt_i32_e32 vcc, v9, v7
	v_xor_b32_e32 v12, 4, v6
	v_xor_b32_e32 v14, 2, v6
	s_waitcnt lgkmcnt(0)
	v_max_f32_e32 v8, v8, v8
	v_max_f32_e32 v1, v1, v8
	v_cndmask_b32_e32 v8, v6, v9, vcc
	v_lshlrev_b32_e32 v8, 2, v8
	ds_bpermute_b32 v9, v8, v1
	v_cmp_lt_i32_e32 vcc, v12, v7
	s_waitcnt lgkmcnt(0)
	v_max_f32_e32 v9, v9, v9
	v_max_f32_e32 v1, v1, v9
	v_cndmask_b32_e32 v9, v6, v12, vcc
	v_lshlrev_b32_e32 v9, 2, v9
	ds_bpermute_b32 v12, v9, v1
	v_cmp_lt_i32_e32 vcc, v14, v7
	s_waitcnt lgkmcnt(0)
	v_max_f32_e32 v12, v12, v12
	v_max_f32_e32 v13, v1, v12
	v_cndmask_b32_e32 v1, v6, v14, vcc
	v_lshlrev_b32_e32 v16, 2, v1
	ds_bpermute_b32 v14, v16, v13
	v_and_b32_e32 v1, 63, v0
	v_cmp_eq_u32_e32 vcc, 0, v1
	v_lshlrev_b32_e32 v12, 2, v5
	s_and_saveexec_b64 s[2:3], vcc
	s_cbranch_execz .LBB181_15
; %bb.14:
	s_waitcnt lgkmcnt(0)
	v_max_f32_e32 v14, v14, v14
	v_max_f32_e32 v13, v13, v13
	;; [unrolled: 1-line block ×3, first 2 shown]
	ds_write_b32 v12, v13 offset:64
.LBB181_15:
	s_or_b64 exec, exec, s[2:3]
	v_cmp_gt_u32_e64 s[2:3], 2, v1
	s_waitcnt lgkmcnt(0)
	v_mov_b32_e32 v14, 0xff7fffff
	v_lshlrev_b32_e32 v13, 2, v1
	s_barrier
	s_and_saveexec_b64 s[4:5], s[2:3]
	s_cbranch_execz .LBB181_17
; %bb.16:
	ds_read_b32 v14, v13 offset:64
.LBB181_17:
	s_or_b64 exec, exec, s[4:5]
	v_xor_b32_e32 v15, 1, v6
	v_cmp_lt_i32_e64 s[4:5], v15, v7
	v_cndmask_b32_e64 v7, v6, v15, s[4:5]
	v_lshlrev_b32_e32 v17, 2, v7
	s_waitcnt lgkmcnt(0)
	ds_bpermute_b32 v7, v17, v14
	v_max_f32_e32 v14, v14, v14
	v_lshlrev_b32_e32 v6, 2, v6
	s_sub_i32 s4, s23, s9
	s_lshl_b32 s4, s4, 5
	s_waitcnt lgkmcnt(0)
	v_max_f32_e32 v7, v7, v7
	v_max_f32_e32 v14, v14, v7
	v_and_b32_e32 v7, 0xffffff00, v6
	ds_bpermute_b32 v6, v7, v14
	s_add_i32 s4, s4, s40
	s_min_i32 s15, s4, s33
	s_sub_i32 s9, s15, s40
	v_cmp_gt_i32_e64 s[4:5], s9, v0
	v_mov_b32_e32 v14, 0
	s_and_saveexec_b64 s[34:35], s[4:5]
	s_cbranch_execz .LBB181_21
; %bb.18:
	v_mov_b32_e32 v14, 0x50
	v_lshl_add_u32 v15, v0, 2, v14
	s_mov_b64 s[36:37], 0
	v_mov_b32_e32 v14, 0
	v_mov_b32_e32 v18, v0
.LBB181_19:                             ; =>This Inner Loop Header: Depth=1
	ds_read_b32 v19, v15
	v_add_u32_e32 v18, 0x80, v18
	v_cmp_le_i32_e64 s[10:11], s9, v18
	s_or_b64 s[36:37], s[10:11], s[36:37]
	s_waitcnt lgkmcnt(0)
	v_sub_f32_e32 v19, v19, v6
	v_mul_f32_e32 v19, 0x3fb8aa3b, v19
	v_exp_f32_e32 v19, v19
	ds_write_b32 v15, v19
	v_add_f32_e32 v14, v14, v19
	v_add_u32_e32 v15, 0x200, v15
	s_andn2_b64 exec, exec, s[36:37]
	s_cbranch_execnz .LBB181_19
; %bb.20:
	s_or_b64 exec, exec, s[36:37]
.LBB181_21:
	s_or_b64 exec, exec, s[34:35]
	ds_bpermute_b32 v2, v2, v14
	s_waitcnt lgkmcnt(0)
	v_add_f32_e32 v2, v14, v2
	ds_bpermute_b32 v3, v3, v2
	s_waitcnt lgkmcnt(0)
	v_add_f32_e32 v2, v2, v3
	;; [unrolled: 3-line block ×6, first 2 shown]
	s_and_saveexec_b64 s[10:11], vcc
	s_cbranch_execz .LBB181_23
; %bb.22:
	ds_write_b32 v12, v2 offset:72
.LBB181_23:
	s_or_b64 exec, exec, s[10:11]
	s_waitcnt lgkmcnt(0)
	s_barrier
	s_and_saveexec_b64 s[10:11], s[2:3]
	s_cbranch_execz .LBB181_25
; %bb.24:
	ds_read_b32 v2, v13 offset:72
.LBB181_25:
	s_or_b64 exec, exec, s[10:11]
	s_waitcnt lgkmcnt(0)
	ds_bpermute_b32 v3, v17, v2
	s_waitcnt lgkmcnt(0)
	v_add_f32_e32 v2, v2, v3
	ds_bpermute_b32 v7, v7, v2
	s_and_saveexec_b64 s[2:3], s[4:5]
	s_cbranch_execz .LBB181_38
; %bb.26:
	s_waitcnt lgkmcnt(0)
	v_add_f32_e32 v2, 0x358637bd, v7
	v_div_scale_f32 v3, s[4:5], v2, v2, 1.0
	v_rcp_f32_e32 v8, v3
	v_div_scale_f32 v9, vcc, 1.0, v2, 1.0
	s_movk_i32 s4, 0x7f
	v_fma_f32 v12, -v3, v8, 1.0
	v_fmac_f32_e32 v8, v12, v8
	v_mul_f32_e32 v12, v9, v8
	v_fma_f32 v13, -v3, v12, v9
	v_fmac_f32_e32 v12, v13, v8
	v_fma_f32 v3, -v3, v12, v9
	v_div_fmas_f32 v3, v3, v8, v12
	v_div_fixup_f32 v2, v3, v2, 1.0
	v_xad_u32 v3, v0, -1, s15
	v_subrev_u32_e32 v8, s40, v3
	v_cmp_lt_u32_e32 vcc, s4, v8
	s_mov_b64 s[10:11], -1
	v_mov_b32_e32 v3, v0
	s_and_saveexec_b64 s[4:5], vcc
	s_cbranch_execz .LBB181_35
; %bb.27:
	v_lshrrev_b32_e32 v8, 7, v8
	v_add_u32_e32 v12, -1, v8
	v_lshrrev_b32_e32 v9, 1, v12
	v_mov_b32_e32 v3, v2
	v_add_u32_e32 v9, 1, v9
	v_cmp_lt_u32_e32 vcc, 13, v12
	v_mov_b32_e32 v14, 0
	s_and_saveexec_b64 s[10:11], vcc
	s_cbranch_execz .LBB181_31
; %bb.28:
	v_mov_b32_e32 v13, 0x50
	v_and_b32_e32 v12, -8, v9
	v_lshl_add_u32 v13, v0, 2, v13
	s_mov_b32 s15, 0
	s_mov_b64 s[34:35], 0
.LBB181_29:                             ; =>This Inner Loop Header: Depth=1
	ds_read2st64_b32 v[14:15], v13 offset1:2
	ds_read2st64_b32 v[18:19], v13 offset0:4 offset1:6
	ds_read2st64_b32 v[20:21], v13 offset0:8 offset1:10
	;; [unrolled: 1-line block ×3, first 2 shown]
	v_add_u32_e32 v12, -8, v12
	s_waitcnt lgkmcnt(3)
	v_pk_mul_f32 v[14:15], v[2:3], v[14:15]
	s_waitcnt lgkmcnt(2)
	v_pk_mul_f32 v[18:19], v[2:3], v[18:19]
	ds_write2st64_b32 v13, v14, v15 offset1:2
	ds_write2st64_b32 v13, v18, v19 offset0:4 offset1:6
	ds_read2st64_b32 v[18:19], v13 offset0:16 offset1:18
	s_waitcnt lgkmcnt(4)
	v_pk_mul_f32 v[14:15], v[2:3], v[20:21]
	ds_write2st64_b32 v13, v14, v15 offset0:8 offset1:10
	s_waitcnt lgkmcnt(4)
	v_pk_mul_f32 v[14:15], v[2:3], v[22:23]
	ds_write2st64_b32 v13, v14, v15 offset0:12 offset1:14
	ds_read2st64_b32 v[14:15], v13 offset0:20 offset1:22
	s_waitcnt lgkmcnt(3)
	v_pk_mul_f32 v[18:19], v[2:3], v[18:19]
	ds_read2st64_b32 v[20:21], v13 offset0:24 offset1:26
	ds_write2st64_b32 v13, v18, v19 offset0:16 offset1:18
	ds_read2st64_b32 v[18:19], v13 offset0:28 offset1:30
	s_waitcnt lgkmcnt(3)
	v_pk_mul_f32 v[14:15], v[2:3], v[14:15]
	ds_write2st64_b32 v13, v14, v15 offset0:20 offset1:22
	s_waitcnt lgkmcnt(3)
	v_pk_mul_f32 v[14:15], v[2:3], v[20:21]
	ds_write2st64_b32 v13, v14, v15 offset0:24 offset1:26
	s_waitcnt lgkmcnt(2)
	v_pk_mul_f32 v[14:15], v[2:3], v[18:19]
	s_add_i32 s15, s15, 16
	v_cmp_eq_u32_e32 vcc, 0, v12
	ds_write2st64_b32 v13, v14, v15 offset0:28 offset1:30
	v_add_u32_e32 v13, 0x2000, v13
	s_or_b64 s[34:35], vcc, s[34:35]
	v_mov_b32_e32 v14, s15
	s_andn2_b64 exec, exec, s[34:35]
	s_cbranch_execnz .LBB181_29
; %bb.30:
	s_or_b64 exec, exec, s[34:35]
.LBB181_31:
	s_or_b64 exec, exec, s[10:11]
	v_and_b32_e32 v9, 7, v9
	v_cmp_ne_u32_e32 vcc, 0, v9
	s_and_saveexec_b64 s[10:11], vcc
	s_cbranch_execz .LBB181_34
; %bb.32:
	v_lshlrev_b32_e32 v12, 9, v14
	v_lshlrev_b32_e32 v13, 2, v0
	s_movk_i32 s15, 0x50
	v_add3_u32 v12, v12, v13, s15
	s_mov_b64 s[34:35], 0
.LBB181_33:                             ; =>This Inner Loop Header: Depth=1
	ds_read2st64_b32 v[14:15], v12 offset1:2
	v_add_u32_e32 v9, -1, v9
	v_cmp_eq_u32_e32 vcc, 0, v9
	s_or_b64 s[34:35], vcc, s[34:35]
	s_waitcnt lgkmcnt(0)
	v_pk_mul_f32 v[14:15], v[2:3], v[14:15]
	ds_write2st64_b32 v12, v14, v15 offset1:2
	v_add_u32_e32 v12, 0x400, v12
	s_andn2_b64 exec, exec, s[34:35]
	s_cbranch_execnz .LBB181_33
.LBB181_34:
	s_or_b64 exec, exec, s[10:11]
	v_add_u32_e32 v8, 1, v8
	v_and_b32_e32 v9, 0x3fffffe, v8
	v_cmp_ne_u32_e32 vcc, v8, v9
	v_lshl_add_u32 v3, v9, 7, v0
	s_orn2_b64 s[10:11], vcc, exec
.LBB181_35:
	s_or_b64 exec, exec, s[4:5]
	s_and_b64 exec, exec, s[10:11]
	s_cbranch_execz .LBB181_38
; %bb.36:
	v_mov_b32_e32 v8, 0x50
	v_lshl_add_u32 v8, v3, 2, v8
	s_mov_b64 s[4:5], 0
.LBB181_37:                             ; =>This Inner Loop Header: Depth=1
	ds_read_b32 v9, v8
	v_add_u32_e32 v3, 0x80, v3
	v_cmp_le_i32_e32 vcc, s9, v3
	s_or_b64 s[4:5], vcc, s[4:5]
	s_waitcnt lgkmcnt(0)
	v_mul_f32_e32 v9, v2, v9
	ds_write_b32 v8, v9
	v_add_u32_e32 v8, 0x200, v8
	s_andn2_b64 exec, exec, s[4:5]
	s_cbranch_execnz .LBB181_37
.LBB181_38:
	s_or_b64 exec, exec, s[2:3]
	v_cmp_eq_u32_e32 vcc, 0, v0
	s_waitcnt lgkmcnt(0)
	s_barrier
	s_and_saveexec_b64 s[2:3], vcc
	s_cbranch_execz .LBB181_40
; %bb.39:
	s_mul_i32 s4, s12, s20
	s_mul_i32 s4, s4, s21
	s_ashr_i32 s5, s4, 31
	s_lshl_b64 s[4:5], s[4:5], 2
	s_add_u32 s9, s18, s4
	s_mul_i32 s10, s12, s6
	s_addc_u32 s15, s19, s5
	s_ashr_i32 s11, s10, 31
	s_lshl_b64 s[10:11], s[10:11], 2
	s_add_u32 s6, s9, s10
	s_addc_u32 s15, s15, s11
	s_ashr_i32 s9, s8, 31
	s_lshl_b64 s[18:19], s[8:9], 2
	s_add_u32 s34, s6, s18
	s_addc_u32 s35, s15, s19
	s_add_u32 s4, s16, s4
	s_addc_u32 s5, s17, s5
	;; [unrolled: 2-line block ×3, first 2 shown]
	s_add_u32 s4, s4, s18
	v_mov_b32_e32 v2, 0
	s_addc_u32 s5, s5, s19
	global_store_dword v2, v6, s[34:35]
	global_store_dword v2, v7, s[4:5]
.LBB181_40:
	s_or_b64 exec, exec, s[2:3]
	v_mov_b32_e32 v13, 0
	v_and_b32_e32 v18, 3, v0
	v_mov_b32_e32 v12, v13
	s_and_saveexec_b64 s[2:3], s[0:1]
	s_cbranch_execz .LBB181_144
; %bb.41:
	s_ashr_i32 s15, s14, 31
	s_lshl_b64 s[0:1], s[14:15], 1
	v_lshlrev_b32_e32 v3, 4, v0
	s_add_u32 s0, s30, s0
	v_and_b32_e32 v3, 0x3f0, v3
	v_and_b32_e32 v2, 24, v4
	s_addc_u32 s1, s31, s1
	v_add_co_u32_e32 v19, vcc, s0, v3
	v_lshl_add_u32 v3, v5, 5, s40
	s_add_i32 s10, s7, -1
	v_mov_b32_e32 v4, s1
	v_add3_u32 v21, v3, v2, 7
	v_lshlrev_b32_e32 v2, 5, v18
	s_lshl_b64 s[0:1], s[28:29], 2
	v_lshl_or_b32 v2, v5, 7, v2
	s_add_u32 s0, s26, s0
	v_addc_co_u32_e32 v20, vcc, 0, v4, vcc
	v_add_u32_e32 v22, 0x50, v2
	v_lshlrev_b64 v[2:3], 2, v[10:11]
	s_addc_u32 s1, s27, s1
	v_mov_b32_e32 v4, s1
	v_add_co_u32_e32 v14, vcc, s0, v2
	v_mov_b32_e32 v11, 0
	s_mov_b32 s9, s13
	v_addc_co_u32_e32 v15, vcc, v4, v3, vcc
	s_mov_b64 s[4:5], 0
	s_mov_b32 s11, 0x7f800000
	s_movk_i32 s13, 0x7fff
	v_mov_b32_e32 v12, 0
	v_mov_b32_e32 v13, v11
	s_branch .LBB181_43
.LBB181_42:                             ;   in Loop: Header=BB181_43 Depth=1
	s_or_b64 exec, exec, s[0:1]
	v_and_b32_e32 v30, 0xffff0000, v26
	v_and_b32_e32 v26, 0xffff0000, v25
	v_and_b32_e32 v25, 0xffff0000, v24
	v_and_b32_e32 v24, 0xffff0000, v9
	v_and_b32_e32 v9, 0xffff0000, v23
	v_and_b32_e32 v8, 0xffff0000, v8
	v_pk_add_f32 v[8:9], v[8:9], v[24:25]
	v_and_b32_e32 v31, 0xffff0000, v35
	v_and_b32_e32 v27, 0xffff0000, v27
	v_mov_b32_e32 v24, v9
	v_pk_add_f32 v[8:9], v[8:9], v[24:25]
	v_pk_add_f32 v[24:25], v[26:27], v[30:31]
	v_and_b32_e32 v27, 0xffff0000, v28
	v_and_b32_e32 v26, 0xffff0000, v7
	;; [unrolled: 1-line block ×4, first 2 shown]
	v_pk_add_f32 v[8:9], v[8:9], v[24:25]
	v_mov_b32_e32 v24, v25
	v_pk_add_f32 v[2:3], v[2:3], v[26:27]
	v_pk_add_f32 v[8:9], v[8:9], v[24:25]
	v_and_b32_e32 v25, 0xffff0000, v6
	v_and_b32_e32 v24, 0xffff0000, v29
	;; [unrolled: 1-line block ×4, first 2 shown]
	v_mov_b32_e32 v6, v3
	v_pk_add_f32 v[2:3], v[2:3], v[6:7]
	v_pk_add_f32 v[4:5], v[4:5], v[24:25]
	;; [unrolled: 1-line block ×3, first 2 shown]
	v_mov_b32_e32 v4, v5
	v_pk_add_f32 v[2:3], v[2:3], v[4:5]
	v_add_u32_e32 v10, 2, v10
	v_mov_b32_e32 v3, v2
	v_cmp_le_i32_e32 vcc, s23, v10
	v_pk_add_f32 v[8:9], v[12:13], v[8:9]
	v_pk_add_f32 v[12:13], v[12:13], v[2:3]
	s_or_b64 s[4:5], vcc, s[4:5]
	v_add_co_u32_e32 v14, vcc, 8, v14
	v_mov_b32_e32 v12, v8
	v_add_u32_e32 v21, 64, v21
	v_add_u32_e32 v22, 0x100, v22
	v_addc_co_u32_e32 v15, vcc, 0, v15, vcc
	s_andn2_b64 exec, exec, s[4:5]
	s_cbranch_execz .LBB181_143
.LBB181_43:                             ; =>This Inner Loop Header: Depth=1
	global_load_dword v28, v[14:15], off
	ds_read2_b64 v[6:9], v22 offset1:1
	ds_read2_b64 v[2:5], v22 offset0:2 offset1:3
                                        ; implicit-def: $vgpr36
	s_waitcnt lgkmcnt(1)
	v_and_b32_e32 v23, 0x7f800000, v6
	v_cmp_ne_u32_e32 vcc, s11, v23
	s_and_saveexec_b64 s[0:1], vcc
	s_xor_b64 s[0:1], exec, s[0:1]
; %bb.44:                               ;   in Loop: Header=BB181_43 Depth=1
	v_bfe_u32 v23, v6, 16, 1
	v_add3_u32 v36, v6, v23, s13
; %bb.45:                               ;   in Loop: Header=BB181_43 Depth=1
	s_andn2_saveexec_b64 s[0:1], s[0:1]
; %bb.46:                               ;   in Loop: Header=BB181_43 Depth=1
	v_or_b32_e32 v23, 0x10000, v6
	v_cmp_eq_u32_sdwa vcc, v6, v11 src0_sel:WORD_0 src1_sel:DWORD
	v_cndmask_b32_e32 v36, v23, v6, vcc
; %bb.47:                               ;   in Loop: Header=BB181_43 Depth=1
	s_or_b64 exec, exec, s[0:1]
	v_and_b32_e32 v6, 0x7f800000, v7
	v_cmp_ne_u32_e32 vcc, s11, v6
                                        ; implicit-def: $vgpr37
	s_and_saveexec_b64 s[0:1], vcc
	s_xor_b64 s[0:1], exec, s[0:1]
; %bb.48:                               ;   in Loop: Header=BB181_43 Depth=1
	v_bfe_u32 v6, v7, 16, 1
	v_add3_u32 v37, v7, v6, s13
; %bb.49:                               ;   in Loop: Header=BB181_43 Depth=1
	s_andn2_saveexec_b64 s[0:1], s[0:1]
; %bb.50:                               ;   in Loop: Header=BB181_43 Depth=1
	v_or_b32_e32 v6, 0x10000, v7
	v_cmp_eq_u32_sdwa vcc, v7, v11 src0_sel:WORD_0 src1_sel:DWORD
	v_cndmask_b32_e32 v37, v6, v7, vcc
; %bb.51:                               ;   in Loop: Header=BB181_43 Depth=1
	s_or_b64 exec, exec, s[0:1]
	v_and_b32_e32 v6, 0x7f800000, v8
	v_cmp_ne_u32_e32 vcc, s11, v6
                                        ; implicit-def: $vgpr23
	s_and_saveexec_b64 s[0:1], vcc
	s_xor_b64 s[0:1], exec, s[0:1]
; %bb.52:                               ;   in Loop: Header=BB181_43 Depth=1
	v_bfe_u32 v6, v8, 16, 1
	v_add3_u32 v23, v8, v6, s13
; %bb.53:                               ;   in Loop: Header=BB181_43 Depth=1
	s_andn2_saveexec_b64 s[0:1], s[0:1]
; %bb.54:                               ;   in Loop: Header=BB181_43 Depth=1
	v_or_b32_e32 v6, 0x10000, v8
	v_cmp_eq_u32_sdwa vcc, v8, v11 src0_sel:WORD_0 src1_sel:DWORD
	v_cndmask_b32_e32 v23, v6, v8, vcc
; %bb.55:                               ;   in Loop: Header=BB181_43 Depth=1
	s_or_b64 exec, exec, s[0:1]
	v_and_b32_e32 v6, 0x7f800000, v9
	v_cmp_ne_u32_e32 vcc, s11, v6
                                        ; implicit-def: $vgpr24
	s_and_saveexec_b64 s[0:1], vcc
	s_xor_b64 s[0:1], exec, s[0:1]
; %bb.56:                               ;   in Loop: Header=BB181_43 Depth=1
	v_bfe_u32 v6, v9, 16, 1
	v_add3_u32 v24, v9, v6, s13
                                        ; implicit-def: $vgpr6_vgpr7_vgpr8_vgpr9
; %bb.57:                               ;   in Loop: Header=BB181_43 Depth=1
	s_andn2_saveexec_b64 s[0:1], s[0:1]
; %bb.58:                               ;   in Loop: Header=BB181_43 Depth=1
	v_or_b32_e32 v6, 0x10000, v9
	v_cmp_eq_u32_sdwa vcc, v9, v11 src0_sel:WORD_0 src1_sel:DWORD
	v_cndmask_b32_e32 v24, v6, v9, vcc
; %bb.59:                               ;   in Loop: Header=BB181_43 Depth=1
	s_or_b64 exec, exec, s[0:1]
	s_waitcnt lgkmcnt(0)
	v_and_b32_e32 v6, 0x7f800000, v2
	v_cmp_ne_u32_e32 vcc, s11, v6
                                        ; implicit-def: $vgpr25
	s_and_saveexec_b64 s[0:1], vcc
	s_xor_b64 s[0:1], exec, s[0:1]
; %bb.60:                               ;   in Loop: Header=BB181_43 Depth=1
	v_bfe_u32 v6, v2, 16, 1
	v_add3_u32 v25, v2, v6, s13
; %bb.61:                               ;   in Loop: Header=BB181_43 Depth=1
	s_andn2_saveexec_b64 s[0:1], s[0:1]
; %bb.62:                               ;   in Loop: Header=BB181_43 Depth=1
	v_or_b32_e32 v6, 0x10000, v2
	v_cmp_eq_u32_sdwa vcc, v2, v11 src0_sel:WORD_0 src1_sel:DWORD
	v_cndmask_b32_e32 v25, v6, v2, vcc
; %bb.63:                               ;   in Loop: Header=BB181_43 Depth=1
	s_or_b64 exec, exec, s[0:1]
	v_and_b32_e32 v2, 0x7f800000, v3
	v_cmp_ne_u32_e32 vcc, s11, v2
                                        ; implicit-def: $vgpr26
	s_and_saveexec_b64 s[0:1], vcc
	s_xor_b64 s[0:1], exec, s[0:1]
; %bb.64:                               ;   in Loop: Header=BB181_43 Depth=1
	v_bfe_u32 v2, v3, 16, 1
	v_add3_u32 v26, v3, v2, s13
; %bb.65:                               ;   in Loop: Header=BB181_43 Depth=1
	s_andn2_saveexec_b64 s[0:1], s[0:1]
; %bb.66:                               ;   in Loop: Header=BB181_43 Depth=1
	v_or_b32_e32 v2, 0x10000, v3
	v_cmp_eq_u32_sdwa vcc, v3, v11 src0_sel:WORD_0 src1_sel:DWORD
	v_cndmask_b32_e32 v26, v2, v3, vcc
; %bb.67:                               ;   in Loop: Header=BB181_43 Depth=1
	s_or_b64 exec, exec, s[0:1]
	v_and_b32_e32 v2, 0x7f800000, v4
	v_cmp_ne_u32_e32 vcc, s11, v2
                                        ; implicit-def: $vgpr27
	s_and_saveexec_b64 s[0:1], vcc
	s_xor_b64 s[0:1], exec, s[0:1]
; %bb.68:                               ;   in Loop: Header=BB181_43 Depth=1
	v_bfe_u32 v2, v4, 16, 1
	v_add3_u32 v27, v4, v2, s13
; %bb.69:                               ;   in Loop: Header=BB181_43 Depth=1
	s_andn2_saveexec_b64 s[0:1], s[0:1]
; %bb.70:                               ;   in Loop: Header=BB181_43 Depth=1
	v_or_b32_e32 v2, 0x10000, v4
	v_cmp_eq_u32_sdwa vcc, v4, v11 src0_sel:WORD_0 src1_sel:DWORD
	v_cndmask_b32_e32 v27, v2, v4, vcc
; %bb.71:                               ;   in Loop: Header=BB181_43 Depth=1
	s_or_b64 exec, exec, s[0:1]
	v_and_b32_e32 v2, 0x7f800000, v5
	v_cmp_ne_u32_e32 vcc, s11, v2
                                        ; implicit-def: $vgpr35
	s_and_saveexec_b64 s[0:1], vcc
	s_xor_b64 s[0:1], exec, s[0:1]
; %bb.72:                               ;   in Loop: Header=BB181_43 Depth=1
	v_bfe_u32 v2, v5, 16, 1
	v_add3_u32 v35, v5, v2, s13
                                        ; implicit-def: $vgpr2_vgpr3_vgpr4_vgpr5
; %bb.73:                               ;   in Loop: Header=BB181_43 Depth=1
	s_andn2_saveexec_b64 s[0:1], s[0:1]
; %bb.74:                               ;   in Loop: Header=BB181_43 Depth=1
	v_or_b32_e32 v2, 0x10000, v5
	v_cmp_eq_u32_sdwa vcc, v5, v11 src0_sel:WORD_0 src1_sel:DWORD
	v_cndmask_b32_e32 v35, v2, v5, vcc
; %bb.75:                               ;   in Loop: Header=BB181_43 Depth=1
	s_or_b64 exec, exec, s[0:1]
	s_waitcnt vmcnt(0)
	v_mad_i64_i32 v[2:3], s[0:1], v28, s9, 0
	v_lshlrev_b64 v[2:3], 1, v[2:3]
	v_add_co_u32_e32 v6, vcc, v19, v2
	v_addc_co_u32_e32 v7, vcc, v20, v3, vcc
	global_load_dwordx4 v[2:5], v[6:7], off
	v_add_u32_e32 v28, -7, v21
	v_cmp_eq_u32_e32 vcc, s10, v10
	v_add_u32_e32 v34, -6, v21
	v_add_u32_e32 v32, -5, v21
	;; [unrolled: 1-line block ×6, first 2 shown]
	s_waitcnt vmcnt(0)
	v_lshrrev_b32_e32 v9, 16, v2
	v_lshrrev_b32_e32 v40, 16, v3
	;; [unrolled: 1-line block ×4, first 2 shown]
	s_and_saveexec_b64 s[6:7], vcc
	s_cbranch_execz .LBB181_77
; %bb.76:                               ;   in Loop: Header=BB181_43 Depth=1
	v_cmp_gt_i32_e64 s[0:1], s33, v28
	v_cndmask_b32_e64 v2, 0, v2, s[0:1]
	v_cmp_gt_i32_e64 s[0:1], s33, v34
	v_cndmask_b32_e64 v9, 0, v9, s[0:1]
	;; [unrolled: 2-line block ×8, first 2 shown]
.LBB181_77:                             ;   in Loop: Header=BB181_43 Depth=1
	s_or_b64 exec, exec, s[6:7]
	v_and_b32_e32 v36, 0xffff0000, v36
	v_lshlrev_b32_e32 v2, 16, v2
	v_mul_f32_e32 v2, v36, v2
	v_and_b32_e32 v8, 0x7f800000, v2
	v_cmp_ne_u32_e64 s[0:1], s11, v8
                                        ; implicit-def: $vgpr8
	s_and_saveexec_b64 s[6:7], s[0:1]
	s_xor_b64 s[0:1], exec, s[6:7]
; %bb.78:                               ;   in Loop: Header=BB181_43 Depth=1
	v_bfe_u32 v8, v2, 16, 1
	v_add3_u32 v8, v2, v8, s13
                                        ; implicit-def: $vgpr2
; %bb.79:                               ;   in Loop: Header=BB181_43 Depth=1
	s_andn2_saveexec_b64 s[6:7], s[0:1]
; %bb.80:                               ;   in Loop: Header=BB181_43 Depth=1
	v_or_b32_e32 v8, 0x10000, v2
	v_cmp_eq_u32_sdwa s[0:1], v2, v11 src0_sel:WORD_0 src1_sel:DWORD
	v_cndmask_b32_e64 v8, v8, v2, s[0:1]
; %bb.81:                               ;   in Loop: Header=BB181_43 Depth=1
	s_or_b64 exec, exec, s[6:7]
	v_and_b32_e32 v37, 0xffff0000, v37
	v_lshlrev_b32_e32 v2, 16, v9
	v_mul_f32_e32 v2, v37, v2
	v_and_b32_e32 v9, 0x7f800000, v2
	v_cmp_ne_u32_e64 s[0:1], s11, v9
                                        ; implicit-def: $vgpr9
	s_and_saveexec_b64 s[6:7], s[0:1]
	s_xor_b64 s[0:1], exec, s[6:7]
; %bb.82:                               ;   in Loop: Header=BB181_43 Depth=1
	v_bfe_u32 v9, v2, 16, 1
	v_add3_u32 v9, v2, v9, s13
                                        ; implicit-def: $vgpr2
; %bb.83:                               ;   in Loop: Header=BB181_43 Depth=1
	s_andn2_saveexec_b64 s[6:7], s[0:1]
; %bb.84:                               ;   in Loop: Header=BB181_43 Depth=1
	v_or_b32_e32 v9, 0x10000, v2
	v_cmp_eq_u32_sdwa s[0:1], v2, v11 src0_sel:WORD_0 src1_sel:DWORD
	v_cndmask_b32_e64 v9, v9, v2, s[0:1]
; %bb.85:                               ;   in Loop: Header=BB181_43 Depth=1
	s_or_b64 exec, exec, s[6:7]
	v_and_b32_e32 v38, 0xffff0000, v23
	v_lshlrev_b32_e32 v2, 16, v3
	v_mul_f32_e32 v2, v38, v2
	v_and_b32_e32 v3, 0x7f800000, v2
	v_cmp_ne_u32_e64 s[0:1], s11, v3
                                        ; implicit-def: $vgpr23
	s_and_saveexec_b64 s[6:7], s[0:1]
	s_xor_b64 s[0:1], exec, s[6:7]
; %bb.86:                               ;   in Loop: Header=BB181_43 Depth=1
	v_bfe_u32 v3, v2, 16, 1
	v_add3_u32 v23, v2, v3, s13
                                        ; implicit-def: $vgpr2
; %bb.87:                               ;   in Loop: Header=BB181_43 Depth=1
	s_andn2_saveexec_b64 s[6:7], s[0:1]
; %bb.88:                               ;   in Loop: Header=BB181_43 Depth=1
	v_or_b32_e32 v3, 0x10000, v2
	v_cmp_eq_u32_sdwa s[0:1], v2, v11 src0_sel:WORD_0 src1_sel:DWORD
	v_cndmask_b32_e64 v23, v3, v2, s[0:1]
; %bb.89:                               ;   in Loop: Header=BB181_43 Depth=1
	s_or_b64 exec, exec, s[6:7]
	v_and_b32_e32 v39, 0xffff0000, v24
	v_lshlrev_b32_e32 v2, 16, v40
	v_mul_f32_e32 v2, v39, v2
	v_and_b32_e32 v3, 0x7f800000, v2
	v_cmp_ne_u32_e64 s[0:1], s11, v3
                                        ; implicit-def: $vgpr24
	s_and_saveexec_b64 s[6:7], s[0:1]
	s_xor_b64 s[0:1], exec, s[6:7]
; %bb.90:                               ;   in Loop: Header=BB181_43 Depth=1
	v_bfe_u32 v3, v2, 16, 1
	v_add3_u32 v24, v2, v3, s13
                                        ; implicit-def: $vgpr2
; %bb.91:                               ;   in Loop: Header=BB181_43 Depth=1
	s_andn2_saveexec_b64 s[6:7], s[0:1]
; %bb.92:                               ;   in Loop: Header=BB181_43 Depth=1
	v_or_b32_e32 v3, 0x10000, v2
	v_cmp_eq_u32_sdwa s[0:1], v2, v11 src0_sel:WORD_0 src1_sel:DWORD
	v_cndmask_b32_e64 v24, v3, v2, s[0:1]
; %bb.93:                               ;   in Loop: Header=BB181_43 Depth=1
	s_or_b64 exec, exec, s[6:7]
	v_and_b32_e32 v40, 0xffff0000, v25
	v_lshlrev_b32_e32 v2, 16, v4
	v_mul_f32_e32 v2, v40, v2
	v_and_b32_e32 v3, 0x7f800000, v2
	v_cmp_ne_u32_e64 s[0:1], s11, v3
                                        ; implicit-def: $vgpr25
	s_and_saveexec_b64 s[6:7], s[0:1]
	s_xor_b64 s[0:1], exec, s[6:7]
; %bb.94:                               ;   in Loop: Header=BB181_43 Depth=1
	v_bfe_u32 v3, v2, 16, 1
	v_add3_u32 v25, v2, v3, s13
                                        ; implicit-def: $vgpr2
; %bb.95:                               ;   in Loop: Header=BB181_43 Depth=1
	s_andn2_saveexec_b64 s[6:7], s[0:1]
; %bb.96:                               ;   in Loop: Header=BB181_43 Depth=1
	v_or_b32_e32 v3, 0x10000, v2
	v_cmp_eq_u32_sdwa s[0:1], v2, v11 src0_sel:WORD_0 src1_sel:DWORD
	v_cndmask_b32_e64 v25, v3, v2, s[0:1]
; %bb.97:                               ;   in Loop: Header=BB181_43 Depth=1
	s_or_b64 exec, exec, s[6:7]
	v_and_b32_e32 v41, 0xffff0000, v26
	v_lshlrev_b32_e32 v2, 16, v42
	v_mul_f32_e32 v2, v41, v2
	v_and_b32_e32 v3, 0x7f800000, v2
	v_cmp_ne_u32_e64 s[0:1], s11, v3
                                        ; implicit-def: $vgpr26
	s_and_saveexec_b64 s[6:7], s[0:1]
	s_xor_b64 s[0:1], exec, s[6:7]
; %bb.98:                               ;   in Loop: Header=BB181_43 Depth=1
	v_bfe_u32 v3, v2, 16, 1
	v_add3_u32 v26, v2, v3, s13
                                        ; implicit-def: $vgpr2
; %bb.99:                               ;   in Loop: Header=BB181_43 Depth=1
	s_andn2_saveexec_b64 s[6:7], s[0:1]
; %bb.100:                              ;   in Loop: Header=BB181_43 Depth=1
	v_or_b32_e32 v3, 0x10000, v2
	v_cmp_eq_u32_sdwa s[0:1], v2, v11 src0_sel:WORD_0 src1_sel:DWORD
	v_cndmask_b32_e64 v26, v3, v2, s[0:1]
; %bb.101:                              ;   in Loop: Header=BB181_43 Depth=1
	s_or_b64 exec, exec, s[6:7]
	v_and_b32_e32 v42, 0xffff0000, v27
	v_lshlrev_b32_e32 v2, 16, v5
	v_mul_f32_e32 v2, v42, v2
	v_and_b32_e32 v3, 0x7f800000, v2
	v_cmp_ne_u32_e64 s[0:1], s11, v3
                                        ; implicit-def: $vgpr27
	s_and_saveexec_b64 s[6:7], s[0:1]
	s_xor_b64 s[0:1], exec, s[6:7]
; %bb.102:                              ;   in Loop: Header=BB181_43 Depth=1
	v_bfe_u32 v3, v2, 16, 1
	v_add3_u32 v27, v2, v3, s13
                                        ; implicit-def: $vgpr2
; %bb.103:                              ;   in Loop: Header=BB181_43 Depth=1
	s_andn2_saveexec_b64 s[6:7], s[0:1]
; %bb.104:                              ;   in Loop: Header=BB181_43 Depth=1
	v_or_b32_e32 v3, 0x10000, v2
	v_cmp_eq_u32_sdwa s[0:1], v2, v11 src0_sel:WORD_0 src1_sel:DWORD
	v_cndmask_b32_e64 v27, v3, v2, s[0:1]
; %bb.105:                              ;   in Loop: Header=BB181_43 Depth=1
	s_or_b64 exec, exec, s[6:7]
	v_and_b32_e32 v43, 0xffff0000, v35
	v_lshlrev_b32_e32 v2, 16, v44
	v_mul_f32_e32 v2, v43, v2
	v_and_b32_e32 v3, 0x7f800000, v2
	v_cmp_ne_u32_e64 s[0:1], s11, v3
                                        ; implicit-def: $vgpr35
	s_and_saveexec_b64 s[6:7], s[0:1]
	s_xor_b64 s[0:1], exec, s[6:7]
; %bb.106:                              ;   in Loop: Header=BB181_43 Depth=1
	v_bfe_u32 v3, v2, 16, 1
	v_add3_u32 v35, v2, v3, s13
                                        ; implicit-def: $vgpr2
; %bb.107:                              ;   in Loop: Header=BB181_43 Depth=1
	s_andn2_saveexec_b64 s[6:7], s[0:1]
; %bb.108:                              ;   in Loop: Header=BB181_43 Depth=1
	v_or_b32_e32 v3, 0x10000, v2
	v_cmp_eq_u32_sdwa s[0:1], v2, v11 src0_sel:WORD_0 src1_sel:DWORD
	v_cndmask_b32_e64 v35, v3, v2, s[0:1]
; %bb.109:                              ;   in Loop: Header=BB181_43 Depth=1
	s_or_b64 exec, exec, s[6:7]
	global_load_dwordx4 v[2:5], v[6:7], off offset:1024
	s_waitcnt vmcnt(0)
	v_lshrrev_b32_e32 v7, 16, v2
	v_lshrrev_b32_e32 v45, 16, v3
	;; [unrolled: 1-line block ×4, first 2 shown]
	s_and_saveexec_b64 s[0:1], vcc
	s_cbranch_execz .LBB181_111
; %bb.110:                              ;   in Loop: Header=BB181_43 Depth=1
	v_cmp_gt_i32_e32 vcc, s33, v28
	v_cndmask_b32_e32 v2, 0, v2, vcc
	v_cmp_gt_i32_e32 vcc, s33, v34
	v_cndmask_b32_e32 v7, 0, v7, vcc
	;; [unrolled: 2-line block ×8, first 2 shown]
.LBB181_111:                            ;   in Loop: Header=BB181_43 Depth=1
	s_or_b64 exec, exec, s[0:1]
	v_lshlrev_b32_e32 v2, 16, v2
	v_mul_f32_e32 v28, v36, v2
	v_and_b32_e32 v2, 0x7f800000, v28
	v_cmp_ne_u32_e32 vcc, s11, v2
                                        ; implicit-def: $vgpr2
	s_and_saveexec_b64 s[0:1], vcc
	s_xor_b64 s[0:1], exec, s[0:1]
; %bb.112:                              ;   in Loop: Header=BB181_43 Depth=1
	v_bfe_u32 v2, v28, 16, 1
	v_add3_u32 v2, v28, v2, s13
                                        ; implicit-def: $vgpr28
; %bb.113:                              ;   in Loop: Header=BB181_43 Depth=1
	s_andn2_saveexec_b64 s[0:1], s[0:1]
; %bb.114:                              ;   in Loop: Header=BB181_43 Depth=1
	v_or_b32_e32 v2, 0x10000, v28
	v_cmp_eq_u32_sdwa vcc, v28, v11 src0_sel:WORD_0 src1_sel:DWORD
	v_cndmask_b32_e32 v2, v2, v28, vcc
; %bb.115:                              ;   in Loop: Header=BB181_43 Depth=1
	s_or_b64 exec, exec, s[0:1]
	v_lshlrev_b32_e32 v7, 16, v7
	v_mul_f32_e32 v28, v37, v7
	v_and_b32_e32 v7, 0x7f800000, v28
	v_cmp_ne_u32_e32 vcc, s11, v7
                                        ; implicit-def: $vgpr7
	s_and_saveexec_b64 s[0:1], vcc
	s_xor_b64 s[0:1], exec, s[0:1]
; %bb.116:                              ;   in Loop: Header=BB181_43 Depth=1
	v_bfe_u32 v7, v28, 16, 1
	v_add3_u32 v7, v28, v7, s13
                                        ; implicit-def: $vgpr28
; %bb.117:                              ;   in Loop: Header=BB181_43 Depth=1
	s_andn2_saveexec_b64 s[0:1], s[0:1]
; %bb.118:                              ;   in Loop: Header=BB181_43 Depth=1
	v_or_b32_e32 v7, 0x10000, v28
	v_cmp_eq_u32_sdwa vcc, v28, v11 src0_sel:WORD_0 src1_sel:DWORD
	v_cndmask_b32_e32 v7, v7, v28, vcc
; %bb.119:                              ;   in Loop: Header=BB181_43 Depth=1
	s_or_b64 exec, exec, s[0:1]
	v_lshlrev_b32_e32 v3, 16, v3
	v_mul_f32_e32 v28, v38, v3
	v_and_b32_e32 v3, 0x7f800000, v28
	v_cmp_ne_u32_e32 vcc, s11, v3
                                        ; implicit-def: $vgpr3
	s_and_saveexec_b64 s[0:1], vcc
	s_xor_b64 s[0:1], exec, s[0:1]
; %bb.120:                              ;   in Loop: Header=BB181_43 Depth=1
	v_bfe_u32 v3, v28, 16, 1
	v_add3_u32 v3, v28, v3, s13
                                        ; implicit-def: $vgpr28
; %bb.121:                              ;   in Loop: Header=BB181_43 Depth=1
	s_andn2_saveexec_b64 s[0:1], s[0:1]
; %bb.122:                              ;   in Loop: Header=BB181_43 Depth=1
	v_or_b32_e32 v3, 0x10000, v28
	v_cmp_eq_u32_sdwa vcc, v28, v11 src0_sel:WORD_0 src1_sel:DWORD
	v_cndmask_b32_e32 v3, v3, v28, vcc
; %bb.123:                              ;   in Loop: Header=BB181_43 Depth=1
	s_or_b64 exec, exec, s[0:1]
	v_lshlrev_b32_e32 v28, 16, v45
	v_mul_f32_e32 v29, v39, v28
	v_and_b32_e32 v28, 0x7f800000, v29
	v_cmp_ne_u32_e32 vcc, s11, v28
                                        ; implicit-def: $vgpr28
	s_and_saveexec_b64 s[0:1], vcc
	s_xor_b64 s[0:1], exec, s[0:1]
; %bb.124:                              ;   in Loop: Header=BB181_43 Depth=1
	v_bfe_u32 v28, v29, 16, 1
	v_add3_u32 v28, v29, v28, s13
                                        ; implicit-def: $vgpr29
; %bb.125:                              ;   in Loop: Header=BB181_43 Depth=1
	s_andn2_saveexec_b64 s[0:1], s[0:1]
; %bb.126:                              ;   in Loop: Header=BB181_43 Depth=1
	v_or_b32_e32 v28, 0x10000, v29
	v_cmp_eq_u32_sdwa vcc, v29, v11 src0_sel:WORD_0 src1_sel:DWORD
	v_cndmask_b32_e32 v28, v28, v29, vcc
; %bb.127:                              ;   in Loop: Header=BB181_43 Depth=1
	s_or_b64 exec, exec, s[0:1]
	v_lshlrev_b32_e32 v4, 16, v4
	v_mul_f32_e32 v29, v40, v4
	v_and_b32_e32 v4, 0x7f800000, v29
	v_cmp_ne_u32_e32 vcc, s11, v4
                                        ; implicit-def: $vgpr4
	s_and_saveexec_b64 s[0:1], vcc
	s_xor_b64 s[0:1], exec, s[0:1]
; %bb.128:                              ;   in Loop: Header=BB181_43 Depth=1
	v_bfe_u32 v4, v29, 16, 1
	v_add3_u32 v4, v29, v4, s13
                                        ; implicit-def: $vgpr29
; %bb.129:                              ;   in Loop: Header=BB181_43 Depth=1
	s_andn2_saveexec_b64 s[0:1], s[0:1]
; %bb.130:                              ;   in Loop: Header=BB181_43 Depth=1
	v_or_b32_e32 v4, 0x10000, v29
	v_cmp_eq_u32_sdwa vcc, v29, v11 src0_sel:WORD_0 src1_sel:DWORD
	v_cndmask_b32_e32 v4, v4, v29, vcc
; %bb.131:                              ;   in Loop: Header=BB181_43 Depth=1
	s_or_b64 exec, exec, s[0:1]
	v_lshlrev_b32_e32 v29, 16, v44
	v_mul_f32_e32 v30, v41, v29
	v_and_b32_e32 v29, 0x7f800000, v30
	v_cmp_ne_u32_e32 vcc, s11, v29
                                        ; implicit-def: $vgpr29
	s_and_saveexec_b64 s[0:1], vcc
	s_xor_b64 s[0:1], exec, s[0:1]
; %bb.132:                              ;   in Loop: Header=BB181_43 Depth=1
	v_bfe_u32 v29, v30, 16, 1
	v_add3_u32 v29, v30, v29, s13
                                        ; implicit-def: $vgpr30
; %bb.133:                              ;   in Loop: Header=BB181_43 Depth=1
	s_andn2_saveexec_b64 s[0:1], s[0:1]
; %bb.134:                              ;   in Loop: Header=BB181_43 Depth=1
	v_or_b32_e32 v29, 0x10000, v30
	v_cmp_eq_u32_sdwa vcc, v30, v11 src0_sel:WORD_0 src1_sel:DWORD
	v_cndmask_b32_e32 v29, v29, v30, vcc
; %bb.135:                              ;   in Loop: Header=BB181_43 Depth=1
	s_or_b64 exec, exec, s[0:1]
	v_lshlrev_b32_e32 v5, 16, v5
	v_mul_f32_e32 v30, v42, v5
	v_and_b32_e32 v5, 0x7f800000, v30
	v_cmp_ne_u32_e32 vcc, s11, v5
                                        ; implicit-def: $vgpr5
	s_and_saveexec_b64 s[0:1], vcc
	s_xor_b64 s[0:1], exec, s[0:1]
; %bb.136:                              ;   in Loop: Header=BB181_43 Depth=1
	v_bfe_u32 v5, v30, 16, 1
	v_add3_u32 v5, v30, v5, s13
                                        ; implicit-def: $vgpr30
; %bb.137:                              ;   in Loop: Header=BB181_43 Depth=1
	s_andn2_saveexec_b64 s[0:1], s[0:1]
; %bb.138:                              ;   in Loop: Header=BB181_43 Depth=1
	v_or_b32_e32 v5, 0x10000, v30
	v_cmp_eq_u32_sdwa vcc, v30, v11 src0_sel:WORD_0 src1_sel:DWORD
	v_cndmask_b32_e32 v5, v5, v30, vcc
; %bb.139:                              ;   in Loop: Header=BB181_43 Depth=1
	s_or_b64 exec, exec, s[0:1]
	v_lshlrev_b32_e32 v6, 16, v6
	v_mul_f32_e32 v30, v43, v6
	v_and_b32_e32 v6, 0x7f800000, v30
	v_cmp_ne_u32_e32 vcc, s11, v6
                                        ; implicit-def: $vgpr6
	s_and_saveexec_b64 s[0:1], vcc
	s_xor_b64 s[0:1], exec, s[0:1]
; %bb.140:                              ;   in Loop: Header=BB181_43 Depth=1
	v_bfe_u32 v6, v30, 16, 1
	v_add3_u32 v6, v30, v6, s13
                                        ; implicit-def: $vgpr30
; %bb.141:                              ;   in Loop: Header=BB181_43 Depth=1
	s_andn2_saveexec_b64 s[0:1], s[0:1]
	s_cbranch_execz .LBB181_42
; %bb.142:                              ;   in Loop: Header=BB181_43 Depth=1
	v_or_b32_e32 v6, 0x10000, v30
	v_cmp_eq_u32_sdwa vcc, v30, v11 src0_sel:WORD_0 src1_sel:DWORD
	v_cndmask_b32_e32 v6, v6, v30, vcc
	s_branch .LBB181_42
.LBB181_143:
	s_or_b64 exec, exec, s[4:5]
.LBB181_144:
	s_or_b64 exec, exec, s[2:3]
	ds_bpermute_b32 v2, v16, v12
	ds_bpermute_b32 v3, v16, v13
	v_and_b32_e32 v6, 0x3c3, v0
	v_cmp_eq_u32_e32 vcc, 64, v6
	s_waitcnt lgkmcnt(0)
	s_barrier
	v_pk_add_f32 v[2:3], v[12:13], v[2:3]
	ds_bpermute_b32 v4, v17, v2
	ds_bpermute_b32 v5, v17, v3
	s_waitcnt lgkmcnt(0)
	v_pk_add_f32 v[2:3], v[2:3], v[4:5]
	s_and_saveexec_b64 s[0:1], vcc
	s_cbranch_execz .LBB181_146
; %bb.145:
	v_add_u32_e32 v1, 0x50, v1
	v_add_u32_e32 v4, 0x50, v0
	ds_write_b32 v1, v2
	ds_write_b32 v4, v3
.LBB181_146:
	s_or_b64 exec, exec, s[0:1]
	v_cmp_gt_u32_e32 vcc, 64, v0
	s_waitcnt lgkmcnt(0)
	s_barrier
	s_and_saveexec_b64 s[2:3], vcc
	s_cbranch_execz .LBB181_152
; %bb.147:
	v_cmp_eq_u32_e64 s[0:1], 0, v18
	v_lshrrev_b32_e32 v1, 2, v0
	s_and_saveexec_b64 s[4:5], s[0:1]
	s_cbranch_execz .LBB181_149
; %bb.148:
	v_mov_b32_e32 v4, 0x50
	v_lshl_add_u32 v4, v1, 2, v4
	ds_read_b32 v4, v4
	s_waitcnt lgkmcnt(0)
	v_add_f32_e32 v2, v2, v4
.LBB181_149:
	s_or_b64 exec, exec, s[4:5]
	s_and_saveexec_b64 s[4:5], s[0:1]
	s_cbranch_execz .LBB181_151
; %bb.150:
	v_mov_b32_e32 v4, 0x50
	v_lshl_add_u32 v1, v1, 2, v4
	ds_read_b32 v1, v1 offset:64
	s_waitcnt lgkmcnt(0)
	v_add_f32_e32 v3, v3, v1
.LBB181_151:
	s_or_b64 exec, exec, s[4:5]
.LBB181_152:
	s_or_b64 exec, exec, s[2:3]
	s_barrier
	s_and_saveexec_b64 s[0:1], vcc
	s_cbranch_execz .LBB181_163
; %bb.153:
	v_cmp_eq_u32_e32 vcc, 0, v18
	s_and_b64 exec, exec, vcc
	s_cbranch_execz .LBB181_163
; %bb.154:
	s_mov_b32 s0, 0x7f800000
	v_and_b32_e32 v1, 0x7f800000, v2
	v_cmp_ne_u32_e32 vcc, s0, v1
                                        ; implicit-def: $vgpr4
	s_and_saveexec_b64 s[0:1], vcc
	s_xor_b64 s[0:1], exec, s[0:1]
; %bb.155:
	v_bfe_u32 v1, v2, 16, 1
	s_movk_i32 s2, 0x7fff
	v_add3_u32 v4, v2, v1, s2
; %bb.156:
	s_andn2_saveexec_b64 s[0:1], s[0:1]
; %bb.157:
	v_mov_b32_e32 v1, 0
	v_or_b32_e32 v4, 0x10000, v2
	v_cmp_eq_u32_sdwa vcc, v2, v1 src0_sel:WORD_0 src1_sel:DWORD
	v_cndmask_b32_e32 v4, v4, v2, vcc
; %bb.158:
	s_or_b64 exec, exec, s[0:1]
	s_mul_i32 s0, s12, s20
	s_mul_i32 s0, s0, s21
	s_lshl_b32 s0, s0, 5
	s_ashr_i32 s1, s0, 31
	s_lshl_b64 s[0:1], s[0:1], 1
	s_add_u32 s2, s24, s0
	s_mul_i32 s0, s12, s22
	s_addc_u32 s3, s25, s1
	s_ashr_i32 s1, s0, 31
	s_lshl_b64 s[0:1], s[0:1], 1
	s_add_u32 s2, s2, s0
	s_addc_u32 s3, s3, s1
	s_lshl_b32 s0, s8, 5
	s_ashr_i32 s1, s0, 31
	s_lshl_b64 s[0:1], s[0:1], 1
	s_add_u32 s0, s2, s0
	v_lshrrev_b32_e32 v0, 1, v0
	s_addc_u32 s1, s3, s1
	v_and_b32_e32 v2, 0x1fe, v0
	v_mov_b32_e32 v1, s1
	v_add_co_u32_e32 v0, vcc, s0, v2
	v_addc_co_u32_e32 v1, vcc, 0, v1, vcc
	global_store_short_d16_hi v2, v4, s[0:1]
	s_mov_b32 s0, 0x7f800000
	v_and_b32_e32 v2, 0x7f800000, v3
	v_cmp_ne_u32_e32 vcc, s0, v2
                                        ; implicit-def: $vgpr4
	s_and_saveexec_b64 s[0:1], vcc
	s_xor_b64 s[0:1], exec, s[0:1]
; %bb.159:
	v_bfe_u32 v2, v3, 16, 1
	s_movk_i32 s2, 0x7fff
	v_add3_u32 v4, v3, v2, s2
                                        ; implicit-def: $vgpr2_vgpr3
; %bb.160:
	s_andn2_saveexec_b64 s[0:1], s[0:1]
; %bb.161:
	v_mov_b32_e32 v2, 0
	v_or_b32_e32 v4, 0x10000, v3
	v_cmp_eq_u32_sdwa vcc, v3, v2 src0_sel:WORD_0 src1_sel:DWORD
	v_cndmask_b32_e32 v4, v4, v3, vcc
; %bb.162:
	s_or_b64 exec, exec, s[0:1]
	global_store_short_d16_hi v[0:1], v4, off offset:32
.LBB181_163:
	s_endpgm
	.section	.rodata,"a",@progbits
	.p2align	6, 0x0
	.amdhsa_kernel _ZN4vllm25paged_attention_v2_kernelI14__hip_bfloat16S1_Li32ELi32ELi128ELNS_18Fp8KVCacheDataTypeE0ELb0ELi512EEEvPfS3_PT_PKS4_PKT0_SA_ifPKiSC_iPKfiiiSE_SE_iiiii
		.amdhsa_group_segment_fixed_size 80
		.amdhsa_private_segment_fixed_size 0
		.amdhsa_kernarg_size 400
		.amdhsa_user_sgpr_count 6
		.amdhsa_user_sgpr_private_segment_buffer 1
		.amdhsa_user_sgpr_dispatch_ptr 0
		.amdhsa_user_sgpr_queue_ptr 0
		.amdhsa_user_sgpr_kernarg_segment_ptr 1
		.amdhsa_user_sgpr_dispatch_id 0
		.amdhsa_user_sgpr_flat_scratch_init 0
		.amdhsa_user_sgpr_kernarg_preload_length 0
		.amdhsa_user_sgpr_kernarg_preload_offset 0
		.amdhsa_user_sgpr_private_segment_size 0
		.amdhsa_uses_dynamic_stack 0
		.amdhsa_system_sgpr_private_segment_wavefront_offset 0
		.amdhsa_system_sgpr_workgroup_id_x 1
		.amdhsa_system_sgpr_workgroup_id_y 1
		.amdhsa_system_sgpr_workgroup_id_z 1
		.amdhsa_system_sgpr_workgroup_info 0
		.amdhsa_system_vgpr_workitem_id 0
		.amdhsa_next_free_vgpr 48
		.amdhsa_next_free_sgpr 42
		.amdhsa_accum_offset 48
		.amdhsa_reserve_vcc 1
		.amdhsa_reserve_flat_scratch 0
		.amdhsa_float_round_mode_32 0
		.amdhsa_float_round_mode_16_64 0
		.amdhsa_float_denorm_mode_32 3
		.amdhsa_float_denorm_mode_16_64 3
		.amdhsa_dx10_clamp 1
		.amdhsa_ieee_mode 1
		.amdhsa_fp16_overflow 0
		.amdhsa_tg_split 0
		.amdhsa_exception_fp_ieee_invalid_op 0
		.amdhsa_exception_fp_denorm_src 0
		.amdhsa_exception_fp_ieee_div_zero 0
		.amdhsa_exception_fp_ieee_overflow 0
		.amdhsa_exception_fp_ieee_underflow 0
		.amdhsa_exception_fp_ieee_inexact 0
		.amdhsa_exception_int_div_zero 0
	.end_amdhsa_kernel
	.section	.text._ZN4vllm25paged_attention_v2_kernelI14__hip_bfloat16S1_Li32ELi32ELi128ELNS_18Fp8KVCacheDataTypeE0ELb0ELi512EEEvPfS3_PT_PKS4_PKT0_SA_ifPKiSC_iPKfiiiSE_SE_iiiii,"axG",@progbits,_ZN4vllm25paged_attention_v2_kernelI14__hip_bfloat16S1_Li32ELi32ELi128ELNS_18Fp8KVCacheDataTypeE0ELb0ELi512EEEvPfS3_PT_PKS4_PKT0_SA_ifPKiSC_iPKfiiiSE_SE_iiiii,comdat
.Lfunc_end181:
	.size	_ZN4vllm25paged_attention_v2_kernelI14__hip_bfloat16S1_Li32ELi32ELi128ELNS_18Fp8KVCacheDataTypeE0ELb0ELi512EEEvPfS3_PT_PKS4_PKT0_SA_ifPKiSC_iPKfiiiSE_SE_iiiii, .Lfunc_end181-_ZN4vllm25paged_attention_v2_kernelI14__hip_bfloat16S1_Li32ELi32ELi128ELNS_18Fp8KVCacheDataTypeE0ELb0ELi512EEEvPfS3_PT_PKS4_PKT0_SA_ifPKiSC_iPKfiiiSE_SE_iiiii
                                        ; -- End function
	.section	.AMDGPU.csdata,"",@progbits
; Kernel info:
; codeLenInByte = 6048
; NumSgprs: 46
; NumVgprs: 48
; NumAgprs: 0
; TotalNumVgprs: 48
; ScratchSize: 0
; MemoryBound: 0
; FloatMode: 240
; IeeeMode: 1
; LDSByteSize: 80 bytes/workgroup (compile time only)
; SGPRBlocks: 5
; VGPRBlocks: 5
; NumSGPRsForWavesPerEU: 46
; NumVGPRsForWavesPerEU: 48
; AccumOffset: 48
; Occupancy: 8
; WaveLimiterHint : 1
; COMPUTE_PGM_RSRC2:SCRATCH_EN: 0
; COMPUTE_PGM_RSRC2:USER_SGPR: 6
; COMPUTE_PGM_RSRC2:TRAP_HANDLER: 0
; COMPUTE_PGM_RSRC2:TGID_X_EN: 1
; COMPUTE_PGM_RSRC2:TGID_Y_EN: 1
; COMPUTE_PGM_RSRC2:TGID_Z_EN: 1
; COMPUTE_PGM_RSRC2:TIDIG_COMP_CNT: 0
; COMPUTE_PGM_RSRC3_GFX90A:ACCUM_OFFSET: 11
; COMPUTE_PGM_RSRC3_GFX90A:TG_SPLIT: 0
	.section	.text._ZN4vllm25paged_attention_v2_kernelI14__hip_bfloat16S1_Li64ELi32ELi128ELNS_18Fp8KVCacheDataTypeE0ELb0ELi512EEEvPfS3_PT_PKS4_PKT0_SA_ifPKiSC_iPKfiiiSE_SE_iiiii,"axG",@progbits,_ZN4vllm25paged_attention_v2_kernelI14__hip_bfloat16S1_Li64ELi32ELi128ELNS_18Fp8KVCacheDataTypeE0ELb0ELi512EEEvPfS3_PT_PKS4_PKT0_SA_ifPKiSC_iPKfiiiSE_SE_iiiii,comdat
	.protected	_ZN4vllm25paged_attention_v2_kernelI14__hip_bfloat16S1_Li64ELi32ELi128ELNS_18Fp8KVCacheDataTypeE0ELb0ELi512EEEvPfS3_PT_PKS4_PKT0_SA_ifPKiSC_iPKfiiiSE_SE_iiiii ; -- Begin function _ZN4vllm25paged_attention_v2_kernelI14__hip_bfloat16S1_Li64ELi32ELi128ELNS_18Fp8KVCacheDataTypeE0ELb0ELi512EEEvPfS3_PT_PKS4_PKT0_SA_ifPKiSC_iPKfiiiSE_SE_iiiii
	.globl	_ZN4vllm25paged_attention_v2_kernelI14__hip_bfloat16S1_Li64ELi32ELi128ELNS_18Fp8KVCacheDataTypeE0ELb0ELi512EEEvPfS3_PT_PKS4_PKT0_SA_ifPKiSC_iPKfiiiSE_SE_iiiii
	.p2align	8
	.type	_ZN4vllm25paged_attention_v2_kernelI14__hip_bfloat16S1_Li64ELi32ELi128ELNS_18Fp8KVCacheDataTypeE0ELb0ELi512EEEvPfS3_PT_PKS4_PKT0_SA_ifPKiSC_iPKfiiiSE_SE_iiiii,@function
_ZN4vllm25paged_attention_v2_kernelI14__hip_bfloat16S1_Li64ELi32ELi128ELNS_18Fp8KVCacheDataTypeE0ELb0ELi512EEEvPfS3_PT_PKS4_PKT0_SA_ifPKiSC_iPKfiiiSE_SE_iiiii: ; @_ZN4vllm25paged_attention_v2_kernelI14__hip_bfloat16S1_Li64ELi32ELi128ELNS_18Fp8KVCacheDataTypeE0ELb0ELi512EEEvPfS3_PT_PKS4_PKT0_SA_ifPKiSC_iPKfiiiSE_SE_iiiii
; %bb.0:
	s_load_dwordx2 s[0:1], s[4:5], 0x40
	s_mov_b32 s20, s7
	s_ashr_i32 s21, s7, 31
	s_lshl_b64 s[2:3], s[20:21], 2
	s_waitcnt lgkmcnt(0)
	s_add_u32 s0, s0, s2
	s_addc_u32 s1, s1, s3
	s_load_dword s33, s[0:1], 0x0
	s_lshl_b32 s40, s8, 9
	s_waitcnt lgkmcnt(0)
	s_cmp_ge_i32 s40, s33
	s_cbranch_scc1 .LBB182_240
; %bb.1:
	s_load_dword s21, s[4:5], 0x90
	s_load_dwordx2 s[10:11], s[4:5], 0x30
	s_waitcnt lgkmcnt(0)
	s_abs_i32 s2, s21
	s_abs_i32 s0, s10
	v_cvt_f32_u32_e32 v1, s0
	s_sub_i32 s3, 0, s0
	s_xor_b32 s1, s21, s10
	s_ashr_i32 s1, s1, 31
	v_rcp_iflag_f32_e32 v1, v1
	s_mov_b32 s10, 0
	v_mul_f32_e32 v1, 0x4f7ffffe, v1
	v_cvt_u32_f32_e32 v1, v1
	v_readfirstlane_b32 s7, v1
	s_mul_i32 s3, s3, s7
	s_mul_hi_u32 s3, s7, s3
	s_add_i32 s7, s7, s3
	s_mul_hi_u32 s3, s2, s7
	s_mul_i32 s7, s3, s0
	s_sub_i32 s2, s2, s7
	s_add_i32 s9, s3, 1
	s_sub_i32 s7, s2, s0
	s_cmp_ge_u32 s2, s0
	s_cselect_b32 s3, s9, s3
	s_cselect_b32 s2, s7, s2
	s_add_i32 s7, s3, 1
	s_cmp_ge_u32 s2, s0
	s_cselect_b32 s0, s7, s3
	s_xor_b32 s0, s0, s1
	s_sub_i32 s9, s0, s1
	s_abs_i32 s2, s9
	v_cvt_f32_u32_e32 v1, s2
	s_load_dwordx2 s[0:1], s[4:5], 0x50
	s_sub_i32 s7, 0, s2
	s_abs_i32 s3, s6
	v_rcp_iflag_f32_e32 v1, v1
	v_mul_f32_e32 v1, 0x4f7ffffe, v1
	v_cvt_u32_f32_e32 v1, v1
	v_readfirstlane_b32 s12, v1
	s_mul_i32 s7, s7, s12
	s_mul_hi_u32 s7, s12, s7
	s_add_i32 s12, s12, s7
	s_waitcnt lgkmcnt(0)
	s_cmp_eq_u64 s[0:1], 0
	s_mul_hi_u32 s16, s3, s12
	s_cbranch_scc1 .LBB182_3
; %bb.2:
	s_ashr_i32 s7, s6, 31
	s_lshl_b64 s[12:13], s[6:7], 2
	s_add_u32 s0, s0, s12
	s_addc_u32 s1, s1, s13
	s_load_dword s10, s[0:1], 0x0
.LBB182_3:
	s_load_dwordx4 s[12:15], s[4:5], 0x58
	s_ashr_i32 s17, s6, 31
	s_ashr_i32 s18, s9, 31
	v_and_b32_e32 v2, 1, v0
	s_lshl_b32 s22, s6, 6
	v_cmp_gt_u32_e32 vcc, 16, v0
	v_lshlrev_b32_e32 v4, 3, v0
	s_and_saveexec_b64 s[0:1], vcc
	s_cbranch_execz .LBB182_5
; %bb.4:
	s_load_dwordx2 s[24:25], s[4:5], 0x18
	s_waitcnt lgkmcnt(0)
	s_mul_i32 s26, s20, s12
	s_ashr_i32 s27, s26, 31
	s_lshl_b64 s[26:27], s[26:27], 1
	v_lshlrev_b32_e32 v1, 2, v0
	s_add_u32 s7, s24, s26
	s_addc_u32 s9, s25, s27
	s_ashr_i32 s23, s22, 31
	s_lshl_b64 s[24:25], s[22:23], 1
	s_add_u32 s24, s7, s24
	s_addc_u32 s25, s9, s25
	global_load_dwordx2 v[6:7], v4, s[24:25]
	v_and_b32_e32 v1, 0xff8, v1
	v_lshl_add_u32 v1, v2, 6, v1
	s_waitcnt vmcnt(0)
	ds_write_b64 v1, v[6:7]
.LBB182_5:
	s_or_b64 exec, exec, s[0:1]
	s_add_i32 s0, s33, 31
	s_ashr_i32 s1, s0, 31
	s_lshr_b32 s1, s1, 27
	s_add_i32 s0, s0, s1
	s_lshl_b32 s9, s8, 4
	s_mul_i32 s1, s16, s2
	s_ashr_i32 s7, s0, 5
	s_add_i32 s0, s9, 16
	s_sub_i32 s1, s3, s1
	s_min_i32 s23, s0, s7
	s_xor_b32 s0, s17, s18
	s_add_i32 s3, s16, 1
	s_waitcnt lgkmcnt(0)
	s_sub_i32 s12, s1, s2
	s_cmp_ge_u32 s1, s2
	s_cselect_b32 s3, s3, s16
	s_cselect_b32 s1, s12, s1
	s_add_i32 s12, s3, 1
	s_cmp_ge_u32 s1, s2
	s_load_dwordx2 s[26:27], s[4:5], 0x38
	s_load_dword s2, s[4:5], 0x48
	v_lshrrev_b32_e32 v5, 6, v0
	s_cselect_b32 s1, s12, s3
	s_xor_b32 s1, s1, s0
	v_or_b32_e32 v10, s9, v5
	s_waitcnt lgkmcnt(0)
	s_mul_i32 s28, s20, s2
	s_sub_i32 s15, s1, s0
	s_ashr_i32 s29, s28, 31
	v_cmp_gt_i32_e64 s[0:1], s23, v10
	v_cmp_le_i32_e32 vcc, s23, v10
	v_mbcnt_lo_u32_b32 v3, -1, 0
	s_barrier
	s_waitcnt lgkmcnt(0)
                                        ; implicit-def: $sgpr36
                                        ; implicit-def: $vgpr6
                                        ; implicit-def: $vgpr7
	s_and_saveexec_b64 s[2:3], vcc
	s_xor_b64 s[2:3], exec, s[2:3]
; %bb.6:
	v_mbcnt_hi_u32_b32 v6, -1, v3
	v_and_b32_e32 v1, 64, v6
	v_add_u32_e32 v7, 64, v1
	s_mov_b32 s36, 0xff7fffff
                                        ; implicit-def: $vgpr2
                                        ; implicit-def: $vgpr3
; %bb.7:
	s_or_saveexec_b64 s[34:35], s[2:3]
	s_load_dwordx4 s[16:19], s[4:5], 0x0
	s_load_dwordx2 s[24:25], s[4:5], 0x10
	s_load_dwordx2 s[30:31], s[4:5], 0x28
	s_load_dword s12, s[4:5], 0x98
	v_mov_b32_e32 v40, s36
	s_mul_i32 s14, s15, s14
	v_ashrrev_i32_e32 v11, 31, v10
	s_xor_b64 exec, exec, s[34:35]
	s_cbranch_execz .LBB182_13
; %bb.8:
	s_load_dwordx2 s[2:3], s[4:5], 0x20
	s_ashr_i32 s15, s14, 31
	s_lshl_b64 s[4:5], s[14:15], 1
	v_bfe_u32 v46, v0, 1, 5
	v_lshlrev_b32_e32 v1, 4, v46
	s_waitcnt lgkmcnt(0)
	s_add_u32 s2, s2, s4
	s_addc_u32 s3, s3, s5
	v_mov_b32_e32 v6, s3
	v_add_co_u32_e32 v1, vcc, s2, v1
	v_addc_co_u32_e32 v6, vcc, 0, v6, vcc
	v_and_b32_e32 v7, 8, v4
	v_add_co_u32_e32 v1, vcc, v1, v7
	v_addc_co_u32_e32 v8, vcc, 0, v6, vcc
	v_mbcnt_hi_u32_b32 v6, -1, v3
	v_and_b32_e32 v7, 64, v6
	v_lshlrev_b32_e32 v9, 6, v2
	v_xor_b32_e32 v3, 1, v6
	v_add_u32_e32 v7, 64, v7
	ds_read_b128 v[16:19], v9
	ds_read_b128 v[24:27], v9 offset:16
	ds_read_b128 v[32:35], v9 offset:32
	;; [unrolled: 1-line block ×3, first 2 shown]
	v_cmp_lt_i32_e32 vcc, v3, v7
	v_cndmask_b32_e32 v3, v6, v3, vcc
	v_cmp_eq_u32_e32 vcc, 0, v2
	v_lshlrev_b32_e32 v2, 5, v5
	s_sub_i32 s15, 1, s33
	v_add3_u32 v45, s40, v2, v46
	v_lshlrev_b32_e32 v2, 2, v46
	s_lshl_b64 s[4:5], s[28:29], 2
	v_lshl_or_b32 v2, v5, 7, v2
	s_add_u32 s4, s26, s4
	v_lshlrev_b32_e32 v44, 2, v3
	v_add_u32_e32 v46, 0x90, v2
	v_lshlrev_b64 v[2:3], 2, v[10:11]
	s_addc_u32 s5, s27, s5
	s_waitcnt lgkmcnt(3)
	v_lshlrev_b32_e32 v9, 16, v16
	v_and_b32_e32 v12, 0xffff0000, v16
	v_lshlrev_b32_e32 v13, 16, v17
	v_and_b32_e32 v14, 0xffff0000, v17
	v_lshlrev_b32_e32 v15, 16, v18
	v_and_b32_e32 v16, 0xffff0000, v18
	v_lshlrev_b32_e32 v17, 16, v19
	v_and_b32_e32 v18, 0xffff0000, v19
	s_waitcnt lgkmcnt(2)
	v_lshlrev_b32_e32 v19, 16, v24
	v_and_b32_e32 v20, 0xffff0000, v24
	v_lshlrev_b32_e32 v21, 16, v25
	v_and_b32_e32 v22, 0xffff0000, v25
	v_lshlrev_b32_e32 v23, 16, v26
	v_and_b32_e32 v24, 0xffff0000, v26
	v_lshlrev_b32_e32 v25, 16, v27
	v_and_b32_e32 v26, 0xffff0000, v27
	;; [unrolled: 9-line block ×3, first 2 shown]
	s_waitcnt lgkmcnt(0)
	v_lshlrev_b32_e32 v35, 16, v40
	v_and_b32_e32 v36, 0xffff0000, v40
	v_mov_b32_e32 v40, s5
	v_add_co_u32_e64 v2, s[4:5], s4, v2
	s_mov_b32 s41, s13
	v_lshlrev_b32_e32 v37, 16, v41
	v_and_b32_e32 v38, 0xffff0000, v41
	v_lshlrev_b32_e32 v39, 16, v42
	v_and_b32_e32 v41, 0xffff0000, v42
	;; [unrolled: 2-line block ×3, first 2 shown]
	v_cmp_neq_f32_e64 s[2:3], s10, 0
	v_addc_co_u32_e64 v3, s[4:5], v40, v3, s[4:5]
	s_mov_b64 s[36:37], 0
	v_mov_b32_e32 v40, 0xff7fffff
	v_mov_b32_e32 v47, v10
	s_branch .LBB182_10
.LBB182_9:                              ;   in Loop: Header=BB182_10 Depth=1
	s_or_b64 exec, exec, s[38:39]
	v_add_u32_e32 v47, 2, v47
	v_cmp_le_i32_e64 s[4:5], s23, v47
	s_or_b64 s[36:37], s[4:5], s[36:37]
	v_add_co_u32_e64 v2, s[4:5], 8, v2
	v_add_u32_e32 v45, 64, v45
	v_add_u32_e32 v46, 0x100, v46
	v_addc_co_u32_e64 v3, s[4:5], 0, v3, s[4:5]
	s_andn2_b64 exec, exec, s[36:37]
	s_cbranch_execz .LBB182_12
.LBB182_10:                             ; =>This Inner Loop Header: Depth=1
	global_load_dword v48, v[2:3], off
	s_waitcnt vmcnt(0) lgkmcnt(0)
	v_mad_i64_i32 v[48:49], s[4:5], v48, s41, 0
	v_lshlrev_b64 v[48:49], 1, v[48:49]
	v_add_co_u32_e64 v48, s[4:5], v1, v48
	v_addc_co_u32_e64 v49, s[4:5], v8, v49, s[4:5]
	global_load_dwordx2 v[50:51], v[48:49], off
	global_load_dwordx2 v[52:53], v[48:49], off offset:512
	global_load_dwordx2 v[54:55], v[48:49], off offset:1024
	;; [unrolled: 1-line block ×6, first 2 shown]
	s_nop 0
	global_load_dwordx2 v[48:49], v[48:49], off offset:3584
	s_waitcnt vmcnt(7)
	v_lshlrev_b32_e32 v64, 16, v50
	s_waitcnt vmcnt(6)
	v_lshlrev_b32_e32 v66, 16, v52
	v_and_b32_e32 v52, 0xffff0000, v52
	v_and_b32_e32 v50, 0xffff0000, v50
	v_lshlrev_b32_e32 v67, 16, v53
	v_mul_f32_e32 v66, v15, v66
	v_mul_f32_e32 v52, v16, v52
	v_lshlrev_b32_e32 v65, 16, v51
	v_and_b32_e32 v53, 0xffff0000, v53
	s_waitcnt vmcnt(5)
	v_lshlrev_b32_e32 v68, 16, v54
	v_and_b32_e32 v54, 0xffff0000, v54
	v_mul_f32_e32 v67, v17, v67
	v_fmac_f32_e32 v66, v9, v64
	v_fmac_f32_e32 v52, v12, v50
	v_and_b32_e32 v51, 0xffff0000, v51
	v_lshlrev_b32_e32 v69, 16, v55
	s_waitcnt vmcnt(4)
	v_lshlrev_b32_e32 v70, 16, v56
	v_and_b32_e32 v56, 0xffff0000, v56
	v_mul_f32_e32 v53, v18, v53
	v_fmac_f32_e32 v67, v13, v65
	v_fmac_f32_e32 v66, v19, v68
	v_fmac_f32_e32 v52, v20, v54
	v_and_b32_e32 v55, 0xffff0000, v55
	v_lshlrev_b32_e32 v71, 16, v57
	s_waitcnt vmcnt(3)
	v_lshlrev_b32_e32 v72, 16, v58
	v_and_b32_e32 v58, 0xffff0000, v58
	v_fmac_f32_e32 v53, v14, v51
	v_fmac_f32_e32 v67, v21, v69
	v_fmac_f32_e32 v66, v23, v70
	v_fmac_f32_e32 v52, v24, v56
	v_and_b32_e32 v57, 0xffff0000, v57
	v_lshlrev_b32_e32 v73, 16, v59
	s_waitcnt vmcnt(2)
	v_lshlrev_b32_e32 v74, 16, v60
	v_and_b32_e32 v60, 0xffff0000, v60
	v_fmac_f32_e32 v53, v22, v55
	;; [unrolled: 9-line block ×4, first 2 shown]
	v_fmac_f32_e32 v67, v33, v75
	v_fmac_f32_e32 v66, v35, v76
	v_fmac_f32_e32 v52, v36, v62
	v_and_b32_e32 v63, 0xffff0000, v63
	v_lshlrev_b32_e32 v79, 16, v49
	v_fmac_f32_e32 v53, v34, v61
	v_fmac_f32_e32 v67, v37, v77
	;; [unrolled: 1-line block ×4, first 2 shown]
	v_and_b32_e32 v49, 0xffff0000, v49
	v_fmac_f32_e32 v53, v38, v63
	v_fmac_f32_e32 v67, v42, v79
	v_add_f32_e32 v48, v66, v52
	v_fmac_f32_e32 v53, v43, v49
	v_add_f32_e32 v48, v48, v67
	v_add_f32_e32 v48, v53, v48
	ds_bpermute_b32 v49, v44, v48
	s_and_saveexec_b64 s[38:39], vcc
	s_cbranch_execz .LBB182_9
; %bb.11:                               ;   in Loop: Header=BB182_10 Depth=1
	v_add_u32_e32 v50, s15, v45
	v_cvt_f32_i32_e32 v50, v50
	s_waitcnt lgkmcnt(0)
	v_add_f32_e32 v48, v48, v49
	v_cmp_gt_i32_e64 s[4:5], s33, v45
	v_max_f32_e32 v49, v40, v40
	v_mul_f32_e32 v50, s10, v50
	v_cndmask_b32_e64 v50, 0, v50, s[2:3]
	v_fmac_f32_e32 v50, s11, v48
	v_cndmask_b32_e64 v48, 0, v50, s[4:5]
	ds_write_b32 v46, v48
	v_max_f32_e32 v48, v49, v50
	v_cndmask_b32_e64 v40, v40, v48, s[4:5]
	s_branch .LBB182_9
.LBB182_12:
	s_or_b64 exec, exec, s[36:37]
.LBB182_13:
	s_or_b64 exec, exec, s[34:35]
	v_xor_b32_e32 v1, 32, v6
	v_cmp_lt_i32_e32 vcc, v1, v7
	v_cndmask_b32_e32 v1, v6, v1, vcc
	v_lshlrev_b32_e32 v2, 2, v1
	ds_bpermute_b32 v1, v2, v40
	v_xor_b32_e32 v8, 16, v6
	v_max_f32_e32 v3, v40, v40
	v_cmp_lt_i32_e32 vcc, v8, v7
	v_xor_b32_e32 v9, 8, v6
	s_waitcnt lgkmcnt(0)
	v_max_f32_e32 v1, v1, v1
	v_max_f32_e32 v1, v3, v1
	v_cndmask_b32_e32 v3, v6, v8, vcc
	v_lshlrev_b32_e32 v3, 2, v3
	ds_bpermute_b32 v8, v3, v1
	v_cmp_lt_i32_e32 vcc, v9, v7
	v_xor_b32_e32 v12, 4, v6
	v_xor_b32_e32 v14, 2, v6
	s_waitcnt lgkmcnt(0)
	v_max_f32_e32 v8, v8, v8
	v_max_f32_e32 v1, v1, v8
	v_cndmask_b32_e32 v8, v6, v9, vcc
	v_lshlrev_b32_e32 v8, 2, v8
	ds_bpermute_b32 v9, v8, v1
	v_cmp_lt_i32_e32 vcc, v12, v7
	s_waitcnt lgkmcnt(0)
	v_max_f32_e32 v9, v9, v9
	v_max_f32_e32 v1, v1, v9
	v_cndmask_b32_e32 v9, v6, v12, vcc
	v_lshlrev_b32_e32 v9, 2, v9
	ds_bpermute_b32 v12, v9, v1
	v_cmp_lt_i32_e32 vcc, v14, v7
	s_waitcnt lgkmcnt(0)
	v_max_f32_e32 v12, v12, v12
	v_max_f32_e32 v13, v1, v12
	v_cndmask_b32_e32 v1, v6, v14, vcc
	v_lshlrev_b32_e32 v18, 2, v1
	ds_bpermute_b32 v14, v18, v13
	v_and_b32_e32 v1, 63, v0
	v_cmp_eq_u32_e32 vcc, 0, v1
	v_lshlrev_b32_e32 v12, 2, v5
	s_and_saveexec_b64 s[2:3], vcc
	s_cbranch_execz .LBB182_15
; %bb.14:
	s_waitcnt lgkmcnt(0)
	v_max_f32_e32 v14, v14, v14
	v_max_f32_e32 v13, v13, v13
	;; [unrolled: 1-line block ×3, first 2 shown]
	ds_write_b32 v12, v13 offset:128
.LBB182_15:
	s_or_b64 exec, exec, s[2:3]
	v_cmp_gt_u32_e64 s[2:3], 2, v1
	s_waitcnt lgkmcnt(0)
	v_mov_b32_e32 v14, 0xff7fffff
	v_lshlrev_b32_e32 v13, 2, v1
	s_barrier
	s_and_saveexec_b64 s[4:5], s[2:3]
	s_cbranch_execz .LBB182_17
; %bb.16:
	ds_read_b32 v14, v13 offset:128
.LBB182_17:
	s_or_b64 exec, exec, s[4:5]
	v_xor_b32_e32 v15, 1, v6
	v_cmp_lt_i32_e64 s[4:5], v15, v7
	v_cndmask_b32_e64 v7, v6, v15, s[4:5]
	v_lshlrev_b32_e32 v19, 2, v7
	s_waitcnt lgkmcnt(0)
	ds_bpermute_b32 v7, v19, v14
	v_max_f32_e32 v14, v14, v14
	v_lshlrev_b32_e32 v6, 2, v6
	s_sub_i32 s4, s23, s9
	s_lshl_b32 s4, s4, 5
	s_waitcnt lgkmcnt(0)
	v_max_f32_e32 v7, v7, v7
	v_max_f32_e32 v14, v14, v7
	v_and_b32_e32 v7, 0xffffff00, v6
	ds_bpermute_b32 v6, v7, v14
	s_add_i32 s4, s4, s40
	s_min_i32 s15, s4, s33
	s_sub_i32 s9, s15, s40
	v_cmp_gt_i32_e64 s[4:5], s9, v0
	v_mov_b32_e32 v14, 0
	s_and_saveexec_b64 s[34:35], s[4:5]
	s_cbranch_execz .LBB182_21
; %bb.18:
	v_mov_b32_e32 v14, 0x90
	v_lshl_add_u32 v15, v0, 2, v14
	s_mov_b64 s[36:37], 0
	v_mov_b32_e32 v14, 0
	v_mov_b32_e32 v16, v0
.LBB182_19:                             ; =>This Inner Loop Header: Depth=1
	ds_read_b32 v17, v15
	v_add_u32_e32 v16, 0x80, v16
	v_cmp_le_i32_e64 s[10:11], s9, v16
	s_or_b64 s[36:37], s[10:11], s[36:37]
	s_waitcnt lgkmcnt(0)
	v_sub_f32_e32 v17, v17, v6
	v_mul_f32_e32 v17, 0x3fb8aa3b, v17
	v_exp_f32_e32 v17, v17
	ds_write_b32 v15, v17
	v_add_f32_e32 v14, v14, v17
	v_add_u32_e32 v15, 0x200, v15
	s_andn2_b64 exec, exec, s[36:37]
	s_cbranch_execnz .LBB182_19
; %bb.20:
	s_or_b64 exec, exec, s[36:37]
.LBB182_21:
	s_or_b64 exec, exec, s[34:35]
	ds_bpermute_b32 v2, v2, v14
	s_waitcnt lgkmcnt(0)
	v_add_f32_e32 v2, v14, v2
	ds_bpermute_b32 v3, v3, v2
	s_waitcnt lgkmcnt(0)
	v_add_f32_e32 v2, v2, v3
	;; [unrolled: 3-line block ×6, first 2 shown]
	s_and_saveexec_b64 s[10:11], vcc
	s_cbranch_execz .LBB182_23
; %bb.22:
	ds_write_b32 v12, v2 offset:136
.LBB182_23:
	s_or_b64 exec, exec, s[10:11]
	s_waitcnt lgkmcnt(0)
	s_barrier
	s_and_saveexec_b64 s[10:11], s[2:3]
	s_cbranch_execz .LBB182_25
; %bb.24:
	ds_read_b32 v2, v13 offset:136
.LBB182_25:
	s_or_b64 exec, exec, s[10:11]
	s_waitcnt lgkmcnt(0)
	ds_bpermute_b32 v3, v19, v2
	s_waitcnt lgkmcnt(0)
	v_add_f32_e32 v2, v2, v3
	ds_bpermute_b32 v7, v7, v2
	s_and_saveexec_b64 s[2:3], s[4:5]
	s_cbranch_execz .LBB182_38
; %bb.26:
	s_waitcnt lgkmcnt(0)
	v_add_f32_e32 v2, 0x358637bd, v7
	v_div_scale_f32 v3, s[4:5], v2, v2, 1.0
	v_rcp_f32_e32 v8, v3
	v_div_scale_f32 v9, vcc, 1.0, v2, 1.0
	s_movk_i32 s4, 0x7f
	v_fma_f32 v12, -v3, v8, 1.0
	v_fmac_f32_e32 v8, v12, v8
	v_mul_f32_e32 v12, v9, v8
	v_fma_f32 v13, -v3, v12, v9
	v_fmac_f32_e32 v12, v13, v8
	v_fma_f32 v3, -v3, v12, v9
	v_div_fmas_f32 v3, v3, v8, v12
	v_div_fixup_f32 v2, v3, v2, 1.0
	v_xad_u32 v3, v0, -1, s15
	v_subrev_u32_e32 v8, s40, v3
	v_cmp_lt_u32_e32 vcc, s4, v8
	s_mov_b64 s[10:11], -1
	v_mov_b32_e32 v3, v0
	s_and_saveexec_b64 s[4:5], vcc
	s_cbranch_execz .LBB182_35
; %bb.27:
	v_lshrrev_b32_e32 v8, 7, v8
	v_add_u32_e32 v12, -1, v8
	v_lshrrev_b32_e32 v9, 1, v12
	v_mov_b32_e32 v3, v2
	v_add_u32_e32 v9, 1, v9
	v_cmp_lt_u32_e32 vcc, 13, v12
	v_mov_b32_e32 v14, 0
	s_and_saveexec_b64 s[10:11], vcc
	s_cbranch_execz .LBB182_31
; %bb.28:
	v_mov_b32_e32 v13, 0x90
	v_and_b32_e32 v12, -8, v9
	v_lshl_add_u32 v13, v0, 2, v13
	s_mov_b32 s15, 0
	s_mov_b64 s[34:35], 0
.LBB182_29:                             ; =>This Inner Loop Header: Depth=1
	ds_read2st64_b32 v[14:15], v13 offset1:2
	ds_read2st64_b32 v[16:17], v13 offset0:4 offset1:6
	ds_read2st64_b32 v[20:21], v13 offset0:8 offset1:10
	;; [unrolled: 1-line block ×3, first 2 shown]
	v_add_u32_e32 v12, -8, v12
	s_waitcnt lgkmcnt(3)
	v_pk_mul_f32 v[14:15], v[2:3], v[14:15]
	s_waitcnt lgkmcnt(2)
	v_pk_mul_f32 v[16:17], v[2:3], v[16:17]
	ds_write2st64_b32 v13, v14, v15 offset1:2
	ds_write2st64_b32 v13, v16, v17 offset0:4 offset1:6
	ds_read2st64_b32 v[16:17], v13 offset0:16 offset1:18
	s_waitcnt lgkmcnt(4)
	v_pk_mul_f32 v[14:15], v[2:3], v[20:21]
	ds_write2st64_b32 v13, v14, v15 offset0:8 offset1:10
	s_waitcnt lgkmcnt(4)
	v_pk_mul_f32 v[14:15], v[2:3], v[22:23]
	ds_write2st64_b32 v13, v14, v15 offset0:12 offset1:14
	ds_read2st64_b32 v[14:15], v13 offset0:20 offset1:22
	s_waitcnt lgkmcnt(3)
	v_pk_mul_f32 v[16:17], v[2:3], v[16:17]
	ds_read2st64_b32 v[20:21], v13 offset0:24 offset1:26
	ds_write2st64_b32 v13, v16, v17 offset0:16 offset1:18
	ds_read2st64_b32 v[16:17], v13 offset0:28 offset1:30
	s_waitcnt lgkmcnt(3)
	v_pk_mul_f32 v[14:15], v[2:3], v[14:15]
	ds_write2st64_b32 v13, v14, v15 offset0:20 offset1:22
	s_waitcnt lgkmcnt(3)
	v_pk_mul_f32 v[14:15], v[2:3], v[20:21]
	ds_write2st64_b32 v13, v14, v15 offset0:24 offset1:26
	s_waitcnt lgkmcnt(2)
	v_pk_mul_f32 v[14:15], v[2:3], v[16:17]
	s_add_i32 s15, s15, 16
	v_cmp_eq_u32_e32 vcc, 0, v12
	ds_write2st64_b32 v13, v14, v15 offset0:28 offset1:30
	v_add_u32_e32 v13, 0x2000, v13
	s_or_b64 s[34:35], vcc, s[34:35]
	v_mov_b32_e32 v14, s15
	s_andn2_b64 exec, exec, s[34:35]
	s_cbranch_execnz .LBB182_29
; %bb.30:
	s_or_b64 exec, exec, s[34:35]
.LBB182_31:
	s_or_b64 exec, exec, s[10:11]
	v_and_b32_e32 v9, 7, v9
	v_cmp_ne_u32_e32 vcc, 0, v9
	s_and_saveexec_b64 s[10:11], vcc
	s_cbranch_execz .LBB182_34
; %bb.32:
	v_lshlrev_b32_e32 v12, 9, v14
	v_lshlrev_b32_e32 v13, 2, v0
	s_movk_i32 s15, 0x90
	v_add3_u32 v12, v12, v13, s15
	s_mov_b64 s[34:35], 0
.LBB182_33:                             ; =>This Inner Loop Header: Depth=1
	ds_read2st64_b32 v[14:15], v12 offset1:2
	v_add_u32_e32 v9, -1, v9
	v_cmp_eq_u32_e32 vcc, 0, v9
	s_or_b64 s[34:35], vcc, s[34:35]
	s_waitcnt lgkmcnt(0)
	v_pk_mul_f32 v[14:15], v[2:3], v[14:15]
	ds_write2st64_b32 v12, v14, v15 offset1:2
	v_add_u32_e32 v12, 0x400, v12
	s_andn2_b64 exec, exec, s[34:35]
	s_cbranch_execnz .LBB182_33
.LBB182_34:
	s_or_b64 exec, exec, s[10:11]
	v_add_u32_e32 v8, 1, v8
	v_and_b32_e32 v9, 0x3fffffe, v8
	v_cmp_ne_u32_e32 vcc, v8, v9
	v_lshl_add_u32 v3, v9, 7, v0
	s_orn2_b64 s[10:11], vcc, exec
.LBB182_35:
	s_or_b64 exec, exec, s[4:5]
	s_and_b64 exec, exec, s[10:11]
	s_cbranch_execz .LBB182_38
; %bb.36:
	v_mov_b32_e32 v8, 0x90
	v_lshl_add_u32 v8, v3, 2, v8
	s_mov_b64 s[4:5], 0
.LBB182_37:                             ; =>This Inner Loop Header: Depth=1
	ds_read_b32 v9, v8
	v_add_u32_e32 v3, 0x80, v3
	v_cmp_le_i32_e32 vcc, s9, v3
	s_or_b64 s[4:5], vcc, s[4:5]
	s_waitcnt lgkmcnt(0)
	v_mul_f32_e32 v9, v2, v9
	ds_write_b32 v8, v9
	v_add_u32_e32 v8, 0x200, v8
	s_andn2_b64 exec, exec, s[4:5]
	s_cbranch_execnz .LBB182_37
.LBB182_38:
	s_or_b64 exec, exec, s[2:3]
	v_cmp_eq_u32_e32 vcc, 0, v0
	s_waitcnt lgkmcnt(0)
	s_barrier
	s_and_saveexec_b64 s[2:3], vcc
	s_cbranch_execz .LBB182_40
; %bb.39:
	s_mul_i32 s4, s12, s20
	s_mul_i32 s4, s4, s21
	s_ashr_i32 s5, s4, 31
	s_lshl_b64 s[4:5], s[4:5], 2
	s_add_u32 s9, s18, s4
	s_mul_i32 s10, s12, s6
	s_addc_u32 s15, s19, s5
	s_ashr_i32 s11, s10, 31
	s_lshl_b64 s[10:11], s[10:11], 2
	s_add_u32 s6, s9, s10
	s_addc_u32 s15, s15, s11
	s_ashr_i32 s9, s8, 31
	s_lshl_b64 s[18:19], s[8:9], 2
	s_add_u32 s34, s6, s18
	s_addc_u32 s35, s15, s19
	s_add_u32 s4, s16, s4
	s_addc_u32 s5, s17, s5
	;; [unrolled: 2-line block ×3, first 2 shown]
	s_add_u32 s4, s4, s18
	v_mov_b32_e32 v2, 0
	s_addc_u32 s5, s5, s19
	global_store_dword v2, v6, s[34:35]
	global_store_dword v2, v7, s[4:5]
.LBB182_40:
	s_or_b64 exec, exec, s[2:3]
	v_mov_b32_e32 v13, 0
	v_and_b32_e32 v20, 3, v0
	v_mov_b32_e32 v12, 0
	v_mov_b32_e32 v15, 0
	;; [unrolled: 1-line block ×3, first 2 shown]
	s_and_saveexec_b64 s[2:3], s[0:1]
	s_cbranch_execz .LBB182_212
; %bb.41:
	s_ashr_i32 s15, s14, 31
	s_lshl_b64 s[0:1], s[14:15], 1
	v_lshlrev_b32_e32 v3, 4, v0
	s_add_u32 s0, s30, s0
	v_and_b32_e32 v3, 0x3f0, v3
	v_and_b32_e32 v2, 24, v4
	s_addc_u32 s1, s31, s1
	v_add_co_u32_e32 v21, vcc, s0, v3
	v_lshl_add_u32 v3, v5, 5, s40
	s_add_i32 s10, s7, -1
	v_mov_b32_e32 v4, s1
	v_add3_u32 v23, v3, v2, 7
	v_lshlrev_b32_e32 v2, 5, v20
	s_lshl_b64 s[0:1], s[28:29], 2
	v_lshl_or_b32 v2, v5, 7, v2
	s_add_u32 s0, s26, s0
	v_addc_co_u32_e32 v22, vcc, 0, v4, vcc
	v_add_u32_e32 v24, 0x90, v2
	v_lshlrev_b64 v[2:3], 2, v[10:11]
	s_addc_u32 s1, s27, s1
	v_mov_b32_e32 v4, s1
	v_add_co_u32_e32 v16, vcc, s0, v2
	s_mov_b32 s9, s13
	v_addc_co_u32_e32 v17, vcc, v4, v3, vcc
	s_mov_b64 s[4:5], 0
	v_mov_b32_e32 v11, 0
	s_mov_b32 s11, 0x7f800000
	s_movk_i32 s13, 0x7fff
	v_mov_b32_e32 v14, 0
	v_mov_b32_e32 v15, 0
	;; [unrolled: 1-line block ×4, first 2 shown]
	s_branch .LBB182_43
.LBB182_42:                             ;   in Loop: Header=BB182_43 Depth=1
	s_or_b64 exec, exec, s[0:1]
	v_and_b32_e32 v32, 0xffff0000, v28
	v_and_b32_e32 v28, 0xffff0000, v27
	;; [unrolled: 1-line block ×8, first 2 shown]
	v_pk_add_f32 v[8:9], v[8:9], v[26:27]
	v_pk_add_f32 v[26:27], v[28:29], v[32:33]
	v_add_f32_e32 v8, v8, v9
	v_add_f32_e32 v8, v8, v26
	;; [unrolled: 1-line block ×3, first 2 shown]
	v_and_b32_e32 v29, 0xffff0000, v49
	v_and_b32_e32 v28, 0xffff0000, v47
	;; [unrolled: 1-line block ×4, first 2 shown]
	v_add_f32_e32 v14, v14, v8
	v_and_b32_e32 v9, 0xffff0000, v53
	v_and_b32_e32 v8, 0xffff0000, v51
	;; [unrolled: 1-line block ×4, first 2 shown]
	v_pk_add_f32 v[28:29], v[32:33], v[28:29]
	v_pk_add_f32 v[8:9], v[26:27], v[8:9]
	v_add_f32_e32 v25, v28, v29
	v_add_f32_e32 v8, v25, v8
	;; [unrolled: 1-line block ×3, first 2 shown]
	v_and_b32_e32 v29, 0xffff0000, v57
	v_and_b32_e32 v28, 0xffff0000, v55
	;; [unrolled: 1-line block ×4, first 2 shown]
	v_add_f32_e32 v15, v15, v8
	v_and_b32_e32 v9, 0xffff0000, v61
	v_and_b32_e32 v8, 0xffff0000, v59
	;; [unrolled: 1-line block ×4, first 2 shown]
	v_pk_add_f32 v[28:29], v[32:33], v[28:29]
	v_pk_add_f32 v[8:9], v[26:27], v[8:9]
	v_add_f32_e32 v25, v28, v29
	v_add_f32_e32 v8, v25, v8
	;; [unrolled: 1-line block ×3, first 2 shown]
	v_and_b32_e32 v9, 0xffff0000, v7
	v_and_b32_e32 v7, 0xffff0000, v30
	;; [unrolled: 1-line block ×5, first 2 shown]
	v_add_f32_e32 v12, v12, v8
	v_and_b32_e32 v8, 0xffff0000, v31
	v_and_b32_e32 v5, 0xffff0000, v5
	;; [unrolled: 1-line block ×3, first 2 shown]
	v_pk_add_f32 v[2:3], v[2:3], v[6:7]
	v_pk_add_f32 v[4:5], v[4:5], v[8:9]
	v_add_f32_e32 v2, v2, v3
	v_add_u32_e32 v10, 2, v10
	v_add_f32_e32 v2, v2, v4
	v_cmp_le_i32_e32 vcc, s23, v10
	v_add_f32_e32 v2, v2, v5
	s_or_b64 s[4:5], vcc, s[4:5]
	v_add_co_u32_e32 v16, vcc, 8, v16
	v_add_f32_e32 v13, v13, v2
	v_add_u32_e32 v23, 64, v23
	v_add_u32_e32 v24, 0x100, v24
	v_addc_co_u32_e32 v17, vcc, 0, v17, vcc
	s_andn2_b64 exec, exec, s[4:5]
	s_cbranch_execz .LBB182_211
.LBB182_43:                             ; =>This Inner Loop Header: Depth=1
	global_load_dword v30, v[16:17], off
	ds_read2_b64 v[6:9], v24 offset1:1
	ds_read2_b64 v[2:5], v24 offset0:2 offset1:3
                                        ; implicit-def: $vgpr38
	s_waitcnt lgkmcnt(1)
	v_and_b32_e32 v25, 0x7f800000, v6
	v_cmp_ne_u32_e32 vcc, s11, v25
	s_and_saveexec_b64 s[0:1], vcc
	s_xor_b64 s[0:1], exec, s[0:1]
; %bb.44:                               ;   in Loop: Header=BB182_43 Depth=1
	v_bfe_u32 v25, v6, 16, 1
	v_add3_u32 v38, v6, v25, s13
; %bb.45:                               ;   in Loop: Header=BB182_43 Depth=1
	s_andn2_saveexec_b64 s[0:1], s[0:1]
; %bb.46:                               ;   in Loop: Header=BB182_43 Depth=1
	v_or_b32_e32 v25, 0x10000, v6
	v_cmp_eq_u32_sdwa vcc, v6, v11 src0_sel:WORD_0 src1_sel:DWORD
	v_cndmask_b32_e32 v38, v25, v6, vcc
; %bb.47:                               ;   in Loop: Header=BB182_43 Depth=1
	s_or_b64 exec, exec, s[0:1]
	v_and_b32_e32 v6, 0x7f800000, v7
	v_cmp_ne_u32_e32 vcc, s11, v6
                                        ; implicit-def: $vgpr39
	s_and_saveexec_b64 s[0:1], vcc
	s_xor_b64 s[0:1], exec, s[0:1]
; %bb.48:                               ;   in Loop: Header=BB182_43 Depth=1
	v_bfe_u32 v6, v7, 16, 1
	v_add3_u32 v39, v7, v6, s13
; %bb.49:                               ;   in Loop: Header=BB182_43 Depth=1
	s_andn2_saveexec_b64 s[0:1], s[0:1]
; %bb.50:                               ;   in Loop: Header=BB182_43 Depth=1
	v_or_b32_e32 v6, 0x10000, v7
	v_cmp_eq_u32_sdwa vcc, v7, v11 src0_sel:WORD_0 src1_sel:DWORD
	v_cndmask_b32_e32 v39, v6, v7, vcc
; %bb.51:                               ;   in Loop: Header=BB182_43 Depth=1
	s_or_b64 exec, exec, s[0:1]
	v_and_b32_e32 v6, 0x7f800000, v8
	v_cmp_ne_u32_e32 vcc, s11, v6
                                        ; implicit-def: $vgpr25
	s_and_saveexec_b64 s[0:1], vcc
	s_xor_b64 s[0:1], exec, s[0:1]
; %bb.52:                               ;   in Loop: Header=BB182_43 Depth=1
	v_bfe_u32 v6, v8, 16, 1
	v_add3_u32 v25, v8, v6, s13
; %bb.53:                               ;   in Loop: Header=BB182_43 Depth=1
	s_andn2_saveexec_b64 s[0:1], s[0:1]
; %bb.54:                               ;   in Loop: Header=BB182_43 Depth=1
	v_or_b32_e32 v6, 0x10000, v8
	v_cmp_eq_u32_sdwa vcc, v8, v11 src0_sel:WORD_0 src1_sel:DWORD
	v_cndmask_b32_e32 v25, v6, v8, vcc
; %bb.55:                               ;   in Loop: Header=BB182_43 Depth=1
	s_or_b64 exec, exec, s[0:1]
	v_and_b32_e32 v6, 0x7f800000, v9
	v_cmp_ne_u32_e32 vcc, s11, v6
                                        ; implicit-def: $vgpr26
	s_and_saveexec_b64 s[0:1], vcc
	s_xor_b64 s[0:1], exec, s[0:1]
; %bb.56:                               ;   in Loop: Header=BB182_43 Depth=1
	v_bfe_u32 v6, v9, 16, 1
	v_add3_u32 v26, v9, v6, s13
                                        ; implicit-def: $vgpr6_vgpr7_vgpr8_vgpr9
; %bb.57:                               ;   in Loop: Header=BB182_43 Depth=1
	s_andn2_saveexec_b64 s[0:1], s[0:1]
; %bb.58:                               ;   in Loop: Header=BB182_43 Depth=1
	v_or_b32_e32 v6, 0x10000, v9
	v_cmp_eq_u32_sdwa vcc, v9, v11 src0_sel:WORD_0 src1_sel:DWORD
	v_cndmask_b32_e32 v26, v6, v9, vcc
; %bb.59:                               ;   in Loop: Header=BB182_43 Depth=1
	s_or_b64 exec, exec, s[0:1]
	s_waitcnt lgkmcnt(0)
	v_and_b32_e32 v6, 0x7f800000, v2
	v_cmp_ne_u32_e32 vcc, s11, v6
                                        ; implicit-def: $vgpr27
	s_and_saveexec_b64 s[0:1], vcc
	s_xor_b64 s[0:1], exec, s[0:1]
; %bb.60:                               ;   in Loop: Header=BB182_43 Depth=1
	v_bfe_u32 v6, v2, 16, 1
	v_add3_u32 v27, v2, v6, s13
; %bb.61:                               ;   in Loop: Header=BB182_43 Depth=1
	s_andn2_saveexec_b64 s[0:1], s[0:1]
; %bb.62:                               ;   in Loop: Header=BB182_43 Depth=1
	v_or_b32_e32 v6, 0x10000, v2
	v_cmp_eq_u32_sdwa vcc, v2, v11 src0_sel:WORD_0 src1_sel:DWORD
	v_cndmask_b32_e32 v27, v6, v2, vcc
; %bb.63:                               ;   in Loop: Header=BB182_43 Depth=1
	s_or_b64 exec, exec, s[0:1]
	v_and_b32_e32 v2, 0x7f800000, v3
	v_cmp_ne_u32_e32 vcc, s11, v2
                                        ; implicit-def: $vgpr28
	s_and_saveexec_b64 s[0:1], vcc
	s_xor_b64 s[0:1], exec, s[0:1]
; %bb.64:                               ;   in Loop: Header=BB182_43 Depth=1
	v_bfe_u32 v2, v3, 16, 1
	v_add3_u32 v28, v3, v2, s13
; %bb.65:                               ;   in Loop: Header=BB182_43 Depth=1
	s_andn2_saveexec_b64 s[0:1], s[0:1]
; %bb.66:                               ;   in Loop: Header=BB182_43 Depth=1
	v_or_b32_e32 v2, 0x10000, v3
	v_cmp_eq_u32_sdwa vcc, v3, v11 src0_sel:WORD_0 src1_sel:DWORD
	v_cndmask_b32_e32 v28, v2, v3, vcc
; %bb.67:                               ;   in Loop: Header=BB182_43 Depth=1
	s_or_b64 exec, exec, s[0:1]
	v_and_b32_e32 v2, 0x7f800000, v4
	v_cmp_ne_u32_e32 vcc, s11, v2
                                        ; implicit-def: $vgpr29
	s_and_saveexec_b64 s[0:1], vcc
	s_xor_b64 s[0:1], exec, s[0:1]
; %bb.68:                               ;   in Loop: Header=BB182_43 Depth=1
	v_bfe_u32 v2, v4, 16, 1
	v_add3_u32 v29, v4, v2, s13
; %bb.69:                               ;   in Loop: Header=BB182_43 Depth=1
	s_andn2_saveexec_b64 s[0:1], s[0:1]
; %bb.70:                               ;   in Loop: Header=BB182_43 Depth=1
	v_or_b32_e32 v2, 0x10000, v4
	v_cmp_eq_u32_sdwa vcc, v4, v11 src0_sel:WORD_0 src1_sel:DWORD
	v_cndmask_b32_e32 v29, v2, v4, vcc
; %bb.71:                               ;   in Loop: Header=BB182_43 Depth=1
	s_or_b64 exec, exec, s[0:1]
	v_and_b32_e32 v2, 0x7f800000, v5
	v_cmp_ne_u32_e32 vcc, s11, v2
                                        ; implicit-def: $vgpr37
	s_and_saveexec_b64 s[0:1], vcc
	s_xor_b64 s[0:1], exec, s[0:1]
; %bb.72:                               ;   in Loop: Header=BB182_43 Depth=1
	v_bfe_u32 v2, v5, 16, 1
	v_add3_u32 v37, v5, v2, s13
                                        ; implicit-def: $vgpr2_vgpr3_vgpr4_vgpr5
; %bb.73:                               ;   in Loop: Header=BB182_43 Depth=1
	s_andn2_saveexec_b64 s[0:1], s[0:1]
; %bb.74:                               ;   in Loop: Header=BB182_43 Depth=1
	v_or_b32_e32 v2, 0x10000, v5
	v_cmp_eq_u32_sdwa vcc, v5, v11 src0_sel:WORD_0 src1_sel:DWORD
	v_cndmask_b32_e32 v37, v2, v5, vcc
; %bb.75:                               ;   in Loop: Header=BB182_43 Depth=1
	s_or_b64 exec, exec, s[0:1]
	s_waitcnt vmcnt(0)
	v_mad_i64_i32 v[2:3], s[0:1], v30, s9, 0
	v_lshlrev_b64 v[2:3], 1, v[2:3]
	v_add_co_u32_e32 v6, vcc, v21, v2
	v_addc_co_u32_e32 v7, vcc, v22, v3, vcc
	global_load_dwordx4 v[2:5], v[6:7], off
	v_add_u32_e32 v30, -7, v23
	v_cmp_eq_u32_e32 vcc, s10, v10
	v_add_u32_e32 v36, -6, v23
	v_add_u32_e32 v34, -5, v23
	;; [unrolled: 1-line block ×6, first 2 shown]
	s_waitcnt vmcnt(0)
	v_lshrrev_b32_e32 v9, 16, v2
	v_lshrrev_b32_e32 v42, 16, v3
	v_lshrrev_b32_e32 v44, 16, v4
	v_lshrrev_b32_e32 v46, 16, v5
	s_and_saveexec_b64 s[6:7], vcc
	s_cbranch_execz .LBB182_77
; %bb.76:                               ;   in Loop: Header=BB182_43 Depth=1
	v_cmp_gt_i32_e64 s[0:1], s33, v30
	v_cndmask_b32_e64 v2, 0, v2, s[0:1]
	v_cmp_gt_i32_e64 s[0:1], s33, v36
	v_cndmask_b32_e64 v9, 0, v9, s[0:1]
	;; [unrolled: 2-line block ×8, first 2 shown]
.LBB182_77:                             ;   in Loop: Header=BB182_43 Depth=1
	s_or_b64 exec, exec, s[6:7]
	v_and_b32_e32 v38, 0xffff0000, v38
	v_lshlrev_b32_e32 v2, 16, v2
	v_mul_f32_e32 v2, v38, v2
	v_and_b32_e32 v8, 0x7f800000, v2
	v_cmp_ne_u32_e64 s[0:1], s11, v8
                                        ; implicit-def: $vgpr8
	s_and_saveexec_b64 s[6:7], s[0:1]
	s_xor_b64 s[0:1], exec, s[6:7]
; %bb.78:                               ;   in Loop: Header=BB182_43 Depth=1
	v_bfe_u32 v8, v2, 16, 1
	v_add3_u32 v8, v2, v8, s13
                                        ; implicit-def: $vgpr2
; %bb.79:                               ;   in Loop: Header=BB182_43 Depth=1
	s_andn2_saveexec_b64 s[6:7], s[0:1]
; %bb.80:                               ;   in Loop: Header=BB182_43 Depth=1
	v_or_b32_e32 v8, 0x10000, v2
	v_cmp_eq_u32_sdwa s[0:1], v2, v11 src0_sel:WORD_0 src1_sel:DWORD
	v_cndmask_b32_e64 v8, v8, v2, s[0:1]
; %bb.81:                               ;   in Loop: Header=BB182_43 Depth=1
	s_or_b64 exec, exec, s[6:7]
	v_and_b32_e32 v39, 0xffff0000, v39
	v_lshlrev_b32_e32 v2, 16, v9
	v_mul_f32_e32 v2, v39, v2
	v_and_b32_e32 v9, 0x7f800000, v2
	v_cmp_ne_u32_e64 s[0:1], s11, v9
                                        ; implicit-def: $vgpr9
	s_and_saveexec_b64 s[6:7], s[0:1]
	s_xor_b64 s[0:1], exec, s[6:7]
; %bb.82:                               ;   in Loop: Header=BB182_43 Depth=1
	v_bfe_u32 v9, v2, 16, 1
	v_add3_u32 v9, v2, v9, s13
                                        ; implicit-def: $vgpr2
; %bb.83:                               ;   in Loop: Header=BB182_43 Depth=1
	s_andn2_saveexec_b64 s[6:7], s[0:1]
; %bb.84:                               ;   in Loop: Header=BB182_43 Depth=1
	v_or_b32_e32 v9, 0x10000, v2
	v_cmp_eq_u32_sdwa s[0:1], v2, v11 src0_sel:WORD_0 src1_sel:DWORD
	v_cndmask_b32_e64 v9, v9, v2, s[0:1]
; %bb.85:                               ;   in Loop: Header=BB182_43 Depth=1
	s_or_b64 exec, exec, s[6:7]
	v_and_b32_e32 v40, 0xffff0000, v25
	v_lshlrev_b32_e32 v2, 16, v3
	v_mul_f32_e32 v2, v40, v2
	v_and_b32_e32 v3, 0x7f800000, v2
	v_cmp_ne_u32_e64 s[0:1], s11, v3
                                        ; implicit-def: $vgpr25
	s_and_saveexec_b64 s[6:7], s[0:1]
	s_xor_b64 s[0:1], exec, s[6:7]
; %bb.86:                               ;   in Loop: Header=BB182_43 Depth=1
	v_bfe_u32 v3, v2, 16, 1
	v_add3_u32 v25, v2, v3, s13
                                        ; implicit-def: $vgpr2
; %bb.87:                               ;   in Loop: Header=BB182_43 Depth=1
	s_andn2_saveexec_b64 s[6:7], s[0:1]
; %bb.88:                               ;   in Loop: Header=BB182_43 Depth=1
	v_or_b32_e32 v3, 0x10000, v2
	v_cmp_eq_u32_sdwa s[0:1], v2, v11 src0_sel:WORD_0 src1_sel:DWORD
	v_cndmask_b32_e64 v25, v3, v2, s[0:1]
; %bb.89:                               ;   in Loop: Header=BB182_43 Depth=1
	s_or_b64 exec, exec, s[6:7]
	v_and_b32_e32 v41, 0xffff0000, v26
	v_lshlrev_b32_e32 v2, 16, v42
	v_mul_f32_e32 v2, v41, v2
	v_and_b32_e32 v3, 0x7f800000, v2
	v_cmp_ne_u32_e64 s[0:1], s11, v3
                                        ; implicit-def: $vgpr26
	s_and_saveexec_b64 s[6:7], s[0:1]
	s_xor_b64 s[0:1], exec, s[6:7]
; %bb.90:                               ;   in Loop: Header=BB182_43 Depth=1
	v_bfe_u32 v3, v2, 16, 1
	v_add3_u32 v26, v2, v3, s13
                                        ; implicit-def: $vgpr2
; %bb.91:                               ;   in Loop: Header=BB182_43 Depth=1
	s_andn2_saveexec_b64 s[6:7], s[0:1]
; %bb.92:                               ;   in Loop: Header=BB182_43 Depth=1
	v_or_b32_e32 v3, 0x10000, v2
	v_cmp_eq_u32_sdwa s[0:1], v2, v11 src0_sel:WORD_0 src1_sel:DWORD
	v_cndmask_b32_e64 v26, v3, v2, s[0:1]
; %bb.93:                               ;   in Loop: Header=BB182_43 Depth=1
	s_or_b64 exec, exec, s[6:7]
	v_and_b32_e32 v42, 0xffff0000, v27
	v_lshlrev_b32_e32 v2, 16, v4
	v_mul_f32_e32 v2, v42, v2
	v_and_b32_e32 v3, 0x7f800000, v2
	v_cmp_ne_u32_e64 s[0:1], s11, v3
                                        ; implicit-def: $vgpr27
	s_and_saveexec_b64 s[6:7], s[0:1]
	s_xor_b64 s[0:1], exec, s[6:7]
; %bb.94:                               ;   in Loop: Header=BB182_43 Depth=1
	v_bfe_u32 v3, v2, 16, 1
	v_add3_u32 v27, v2, v3, s13
                                        ; implicit-def: $vgpr2
; %bb.95:                               ;   in Loop: Header=BB182_43 Depth=1
	s_andn2_saveexec_b64 s[6:7], s[0:1]
; %bb.96:                               ;   in Loop: Header=BB182_43 Depth=1
	v_or_b32_e32 v3, 0x10000, v2
	v_cmp_eq_u32_sdwa s[0:1], v2, v11 src0_sel:WORD_0 src1_sel:DWORD
	v_cndmask_b32_e64 v27, v3, v2, s[0:1]
; %bb.97:                               ;   in Loop: Header=BB182_43 Depth=1
	s_or_b64 exec, exec, s[6:7]
	v_and_b32_e32 v43, 0xffff0000, v28
	v_lshlrev_b32_e32 v2, 16, v44
	v_mul_f32_e32 v2, v43, v2
	v_and_b32_e32 v3, 0x7f800000, v2
	v_cmp_ne_u32_e64 s[0:1], s11, v3
                                        ; implicit-def: $vgpr28
	s_and_saveexec_b64 s[6:7], s[0:1]
	s_xor_b64 s[0:1], exec, s[6:7]
; %bb.98:                               ;   in Loop: Header=BB182_43 Depth=1
	v_bfe_u32 v3, v2, 16, 1
	v_add3_u32 v28, v2, v3, s13
                                        ; implicit-def: $vgpr2
; %bb.99:                               ;   in Loop: Header=BB182_43 Depth=1
	s_andn2_saveexec_b64 s[6:7], s[0:1]
; %bb.100:                              ;   in Loop: Header=BB182_43 Depth=1
	v_or_b32_e32 v3, 0x10000, v2
	v_cmp_eq_u32_sdwa s[0:1], v2, v11 src0_sel:WORD_0 src1_sel:DWORD
	v_cndmask_b32_e64 v28, v3, v2, s[0:1]
; %bb.101:                              ;   in Loop: Header=BB182_43 Depth=1
	s_or_b64 exec, exec, s[6:7]
	v_and_b32_e32 v44, 0xffff0000, v29
	v_lshlrev_b32_e32 v2, 16, v5
	v_mul_f32_e32 v2, v44, v2
	v_and_b32_e32 v3, 0x7f800000, v2
	v_cmp_ne_u32_e64 s[0:1], s11, v3
                                        ; implicit-def: $vgpr29
	s_and_saveexec_b64 s[6:7], s[0:1]
	s_xor_b64 s[0:1], exec, s[6:7]
; %bb.102:                              ;   in Loop: Header=BB182_43 Depth=1
	v_bfe_u32 v3, v2, 16, 1
	v_add3_u32 v29, v2, v3, s13
                                        ; implicit-def: $vgpr2
; %bb.103:                              ;   in Loop: Header=BB182_43 Depth=1
	s_andn2_saveexec_b64 s[6:7], s[0:1]
; %bb.104:                              ;   in Loop: Header=BB182_43 Depth=1
	v_or_b32_e32 v3, 0x10000, v2
	v_cmp_eq_u32_sdwa s[0:1], v2, v11 src0_sel:WORD_0 src1_sel:DWORD
	v_cndmask_b32_e64 v29, v3, v2, s[0:1]
; %bb.105:                              ;   in Loop: Header=BB182_43 Depth=1
	s_or_b64 exec, exec, s[6:7]
	v_and_b32_e32 v45, 0xffff0000, v37
	v_lshlrev_b32_e32 v2, 16, v46
	v_mul_f32_e32 v2, v45, v2
	v_and_b32_e32 v3, 0x7f800000, v2
	v_cmp_ne_u32_e64 s[0:1], s11, v3
                                        ; implicit-def: $vgpr37
	s_and_saveexec_b64 s[6:7], s[0:1]
	s_xor_b64 s[0:1], exec, s[6:7]
; %bb.106:                              ;   in Loop: Header=BB182_43 Depth=1
	v_bfe_u32 v3, v2, 16, 1
	v_add3_u32 v37, v2, v3, s13
                                        ; implicit-def: $vgpr2
; %bb.107:                              ;   in Loop: Header=BB182_43 Depth=1
	s_andn2_saveexec_b64 s[6:7], s[0:1]
; %bb.108:                              ;   in Loop: Header=BB182_43 Depth=1
	v_or_b32_e32 v3, 0x10000, v2
	v_cmp_eq_u32_sdwa s[0:1], v2, v11 src0_sel:WORD_0 src1_sel:DWORD
	v_cndmask_b32_e64 v37, v3, v2, s[0:1]
; %bb.109:                              ;   in Loop: Header=BB182_43 Depth=1
	s_or_b64 exec, exec, s[6:7]
	global_load_dwordx4 v[2:5], v[6:7], off offset:1024
	s_waitcnt vmcnt(0)
	v_lshrrev_b32_e32 v47, 16, v2
	v_lshrrev_b32_e32 v49, 16, v3
	;; [unrolled: 1-line block ×4, first 2 shown]
	s_and_saveexec_b64 s[6:7], vcc
	s_cbranch_execz .LBB182_111
; %bb.110:                              ;   in Loop: Header=BB182_43 Depth=1
	v_cmp_gt_i32_e64 s[0:1], s33, v30
	v_cndmask_b32_e64 v2, 0, v2, s[0:1]
	v_cmp_gt_i32_e64 s[0:1], s33, v36
	v_cndmask_b32_e64 v47, 0, v47, s[0:1]
	;; [unrolled: 2-line block ×8, first 2 shown]
.LBB182_111:                            ;   in Loop: Header=BB182_43 Depth=1
	s_or_b64 exec, exec, s[6:7]
	v_lshlrev_b32_e32 v2, 16, v2
	v_mul_f32_e32 v2, v38, v2
	v_and_b32_e32 v46, 0x7f800000, v2
	v_cmp_ne_u32_e64 s[0:1], s11, v46
                                        ; implicit-def: $vgpr46
	s_and_saveexec_b64 s[6:7], s[0:1]
	s_xor_b64 s[0:1], exec, s[6:7]
; %bb.112:                              ;   in Loop: Header=BB182_43 Depth=1
	v_bfe_u32 v46, v2, 16, 1
	v_add3_u32 v46, v2, v46, s13
                                        ; implicit-def: $vgpr2
; %bb.113:                              ;   in Loop: Header=BB182_43 Depth=1
	s_andn2_saveexec_b64 s[6:7], s[0:1]
; %bb.114:                              ;   in Loop: Header=BB182_43 Depth=1
	v_or_b32_e32 v46, 0x10000, v2
	v_cmp_eq_u32_sdwa s[0:1], v2, v11 src0_sel:WORD_0 src1_sel:DWORD
	v_cndmask_b32_e64 v46, v46, v2, s[0:1]
; %bb.115:                              ;   in Loop: Header=BB182_43 Depth=1
	s_or_b64 exec, exec, s[6:7]
	v_lshlrev_b32_e32 v2, 16, v47
	v_mul_f32_e32 v2, v39, v2
	v_and_b32_e32 v47, 0x7f800000, v2
	v_cmp_ne_u32_e64 s[0:1], s11, v47
                                        ; implicit-def: $vgpr47
	s_and_saveexec_b64 s[6:7], s[0:1]
	s_xor_b64 s[0:1], exec, s[6:7]
; %bb.116:                              ;   in Loop: Header=BB182_43 Depth=1
	v_bfe_u32 v47, v2, 16, 1
	v_add3_u32 v47, v2, v47, s13
                                        ; implicit-def: $vgpr2
; %bb.117:                              ;   in Loop: Header=BB182_43 Depth=1
	s_andn2_saveexec_b64 s[6:7], s[0:1]
; %bb.118:                              ;   in Loop: Header=BB182_43 Depth=1
	v_or_b32_e32 v47, 0x10000, v2
	v_cmp_eq_u32_sdwa s[0:1], v2, v11 src0_sel:WORD_0 src1_sel:DWORD
	v_cndmask_b32_e64 v47, v47, v2, s[0:1]
; %bb.119:                              ;   in Loop: Header=BB182_43 Depth=1
	s_or_b64 exec, exec, s[6:7]
	v_lshlrev_b32_e32 v2, 16, v3
	v_mul_f32_e32 v2, v40, v2
	v_and_b32_e32 v3, 0x7f800000, v2
	v_cmp_ne_u32_e64 s[0:1], s11, v3
                                        ; implicit-def: $vgpr48
	s_and_saveexec_b64 s[6:7], s[0:1]
	s_xor_b64 s[0:1], exec, s[6:7]
; %bb.120:                              ;   in Loop: Header=BB182_43 Depth=1
	v_bfe_u32 v3, v2, 16, 1
	v_add3_u32 v48, v2, v3, s13
                                        ; implicit-def: $vgpr2
; %bb.121:                              ;   in Loop: Header=BB182_43 Depth=1
	s_andn2_saveexec_b64 s[6:7], s[0:1]
; %bb.122:                              ;   in Loop: Header=BB182_43 Depth=1
	v_or_b32_e32 v3, 0x10000, v2
	v_cmp_eq_u32_sdwa s[0:1], v2, v11 src0_sel:WORD_0 src1_sel:DWORD
	v_cndmask_b32_e64 v48, v3, v2, s[0:1]
; %bb.123:                              ;   in Loop: Header=BB182_43 Depth=1
	s_or_b64 exec, exec, s[6:7]
	v_lshlrev_b32_e32 v2, 16, v49
	v_mul_f32_e32 v2, v41, v2
	v_and_b32_e32 v3, 0x7f800000, v2
	v_cmp_ne_u32_e64 s[0:1], s11, v3
                                        ; implicit-def: $vgpr49
	s_and_saveexec_b64 s[6:7], s[0:1]
	s_xor_b64 s[0:1], exec, s[6:7]
; %bb.124:                              ;   in Loop: Header=BB182_43 Depth=1
	v_bfe_u32 v3, v2, 16, 1
	v_add3_u32 v49, v2, v3, s13
                                        ; implicit-def: $vgpr2
; %bb.125:                              ;   in Loop: Header=BB182_43 Depth=1
	s_andn2_saveexec_b64 s[6:7], s[0:1]
; %bb.126:                              ;   in Loop: Header=BB182_43 Depth=1
	v_or_b32_e32 v3, 0x10000, v2
	v_cmp_eq_u32_sdwa s[0:1], v2, v11 src0_sel:WORD_0 src1_sel:DWORD
	v_cndmask_b32_e64 v49, v3, v2, s[0:1]
; %bb.127:                              ;   in Loop: Header=BB182_43 Depth=1
	s_or_b64 exec, exec, s[6:7]
	v_lshlrev_b32_e32 v2, 16, v4
	v_mul_f32_e32 v2, v42, v2
	v_and_b32_e32 v3, 0x7f800000, v2
	v_cmp_ne_u32_e64 s[0:1], s11, v3
                                        ; implicit-def: $vgpr50
	s_and_saveexec_b64 s[6:7], s[0:1]
	s_xor_b64 s[0:1], exec, s[6:7]
; %bb.128:                              ;   in Loop: Header=BB182_43 Depth=1
	v_bfe_u32 v3, v2, 16, 1
	v_add3_u32 v50, v2, v3, s13
                                        ; implicit-def: $vgpr2
; %bb.129:                              ;   in Loop: Header=BB182_43 Depth=1
	s_andn2_saveexec_b64 s[6:7], s[0:1]
; %bb.130:                              ;   in Loop: Header=BB182_43 Depth=1
	v_or_b32_e32 v3, 0x10000, v2
	v_cmp_eq_u32_sdwa s[0:1], v2, v11 src0_sel:WORD_0 src1_sel:DWORD
	v_cndmask_b32_e64 v50, v3, v2, s[0:1]
; %bb.131:                              ;   in Loop: Header=BB182_43 Depth=1
	s_or_b64 exec, exec, s[6:7]
	v_lshlrev_b32_e32 v2, 16, v51
	v_mul_f32_e32 v2, v43, v2
	v_and_b32_e32 v3, 0x7f800000, v2
	v_cmp_ne_u32_e64 s[0:1], s11, v3
                                        ; implicit-def: $vgpr51
	s_and_saveexec_b64 s[6:7], s[0:1]
	s_xor_b64 s[0:1], exec, s[6:7]
; %bb.132:                              ;   in Loop: Header=BB182_43 Depth=1
	v_bfe_u32 v3, v2, 16, 1
	v_add3_u32 v51, v2, v3, s13
                                        ; implicit-def: $vgpr2
; %bb.133:                              ;   in Loop: Header=BB182_43 Depth=1
	s_andn2_saveexec_b64 s[6:7], s[0:1]
; %bb.134:                              ;   in Loop: Header=BB182_43 Depth=1
	v_or_b32_e32 v3, 0x10000, v2
	v_cmp_eq_u32_sdwa s[0:1], v2, v11 src0_sel:WORD_0 src1_sel:DWORD
	v_cndmask_b32_e64 v51, v3, v2, s[0:1]
; %bb.135:                              ;   in Loop: Header=BB182_43 Depth=1
	s_or_b64 exec, exec, s[6:7]
	v_lshlrev_b32_e32 v2, 16, v5
	v_mul_f32_e32 v2, v44, v2
	v_and_b32_e32 v3, 0x7f800000, v2
	v_cmp_ne_u32_e64 s[0:1], s11, v3
                                        ; implicit-def: $vgpr52
	s_and_saveexec_b64 s[6:7], s[0:1]
	s_xor_b64 s[0:1], exec, s[6:7]
; %bb.136:                              ;   in Loop: Header=BB182_43 Depth=1
	v_bfe_u32 v3, v2, 16, 1
	v_add3_u32 v52, v2, v3, s13
                                        ; implicit-def: $vgpr2
; %bb.137:                              ;   in Loop: Header=BB182_43 Depth=1
	s_andn2_saveexec_b64 s[6:7], s[0:1]
; %bb.138:                              ;   in Loop: Header=BB182_43 Depth=1
	v_or_b32_e32 v3, 0x10000, v2
	v_cmp_eq_u32_sdwa s[0:1], v2, v11 src0_sel:WORD_0 src1_sel:DWORD
	v_cndmask_b32_e64 v52, v3, v2, s[0:1]
; %bb.139:                              ;   in Loop: Header=BB182_43 Depth=1
	s_or_b64 exec, exec, s[6:7]
	v_lshlrev_b32_e32 v2, 16, v53
	v_mul_f32_e32 v2, v45, v2
	v_and_b32_e32 v3, 0x7f800000, v2
	v_cmp_ne_u32_e64 s[0:1], s11, v3
                                        ; implicit-def: $vgpr53
	s_and_saveexec_b64 s[6:7], s[0:1]
	s_xor_b64 s[0:1], exec, s[6:7]
; %bb.140:                              ;   in Loop: Header=BB182_43 Depth=1
	v_bfe_u32 v3, v2, 16, 1
	v_add3_u32 v53, v2, v3, s13
                                        ; implicit-def: $vgpr2
; %bb.141:                              ;   in Loop: Header=BB182_43 Depth=1
	s_andn2_saveexec_b64 s[6:7], s[0:1]
; %bb.142:                              ;   in Loop: Header=BB182_43 Depth=1
	v_or_b32_e32 v3, 0x10000, v2
	v_cmp_eq_u32_sdwa s[0:1], v2, v11 src0_sel:WORD_0 src1_sel:DWORD
	v_cndmask_b32_e64 v53, v3, v2, s[0:1]
; %bb.143:                              ;   in Loop: Header=BB182_43 Depth=1
	s_or_b64 exec, exec, s[6:7]
	global_load_dwordx4 v[2:5], v[6:7], off offset:2048
	s_waitcnt vmcnt(0)
	v_lshrrev_b32_e32 v55, 16, v2
	v_lshrrev_b32_e32 v57, 16, v3
	;; [unrolled: 1-line block ×4, first 2 shown]
	s_and_saveexec_b64 s[6:7], vcc
	s_cbranch_execz .LBB182_145
; %bb.144:                              ;   in Loop: Header=BB182_43 Depth=1
	v_cmp_gt_i32_e64 s[0:1], s33, v30
	v_cndmask_b32_e64 v2, 0, v2, s[0:1]
	v_cmp_gt_i32_e64 s[0:1], s33, v36
	v_cndmask_b32_e64 v55, 0, v55, s[0:1]
	;; [unrolled: 2-line block ×8, first 2 shown]
.LBB182_145:                            ;   in Loop: Header=BB182_43 Depth=1
	s_or_b64 exec, exec, s[6:7]
	v_lshlrev_b32_e32 v2, 16, v2
	v_mul_f32_e32 v2, v38, v2
	v_and_b32_e32 v54, 0x7f800000, v2
	v_cmp_ne_u32_e64 s[0:1], s11, v54
                                        ; implicit-def: $vgpr54
	s_and_saveexec_b64 s[6:7], s[0:1]
	s_xor_b64 s[0:1], exec, s[6:7]
; %bb.146:                              ;   in Loop: Header=BB182_43 Depth=1
	v_bfe_u32 v54, v2, 16, 1
	v_add3_u32 v54, v2, v54, s13
                                        ; implicit-def: $vgpr2
; %bb.147:                              ;   in Loop: Header=BB182_43 Depth=1
	s_andn2_saveexec_b64 s[6:7], s[0:1]
; %bb.148:                              ;   in Loop: Header=BB182_43 Depth=1
	v_or_b32_e32 v54, 0x10000, v2
	v_cmp_eq_u32_sdwa s[0:1], v2, v11 src0_sel:WORD_0 src1_sel:DWORD
	v_cndmask_b32_e64 v54, v54, v2, s[0:1]
; %bb.149:                              ;   in Loop: Header=BB182_43 Depth=1
	s_or_b64 exec, exec, s[6:7]
	v_lshlrev_b32_e32 v2, 16, v55
	v_mul_f32_e32 v2, v39, v2
	v_and_b32_e32 v55, 0x7f800000, v2
	v_cmp_ne_u32_e64 s[0:1], s11, v55
                                        ; implicit-def: $vgpr55
	s_and_saveexec_b64 s[6:7], s[0:1]
	s_xor_b64 s[0:1], exec, s[6:7]
; %bb.150:                              ;   in Loop: Header=BB182_43 Depth=1
	v_bfe_u32 v55, v2, 16, 1
	v_add3_u32 v55, v2, v55, s13
                                        ; implicit-def: $vgpr2
; %bb.151:                              ;   in Loop: Header=BB182_43 Depth=1
	s_andn2_saveexec_b64 s[6:7], s[0:1]
; %bb.152:                              ;   in Loop: Header=BB182_43 Depth=1
	v_or_b32_e32 v55, 0x10000, v2
	v_cmp_eq_u32_sdwa s[0:1], v2, v11 src0_sel:WORD_0 src1_sel:DWORD
	v_cndmask_b32_e64 v55, v55, v2, s[0:1]
; %bb.153:                              ;   in Loop: Header=BB182_43 Depth=1
	s_or_b64 exec, exec, s[6:7]
	v_lshlrev_b32_e32 v2, 16, v3
	v_mul_f32_e32 v2, v40, v2
	v_and_b32_e32 v3, 0x7f800000, v2
	v_cmp_ne_u32_e64 s[0:1], s11, v3
                                        ; implicit-def: $vgpr56
	s_and_saveexec_b64 s[6:7], s[0:1]
	s_xor_b64 s[0:1], exec, s[6:7]
; %bb.154:                              ;   in Loop: Header=BB182_43 Depth=1
	v_bfe_u32 v3, v2, 16, 1
	v_add3_u32 v56, v2, v3, s13
                                        ; implicit-def: $vgpr2
; %bb.155:                              ;   in Loop: Header=BB182_43 Depth=1
	s_andn2_saveexec_b64 s[6:7], s[0:1]
; %bb.156:                              ;   in Loop: Header=BB182_43 Depth=1
	v_or_b32_e32 v3, 0x10000, v2
	v_cmp_eq_u32_sdwa s[0:1], v2, v11 src0_sel:WORD_0 src1_sel:DWORD
	v_cndmask_b32_e64 v56, v3, v2, s[0:1]
; %bb.157:                              ;   in Loop: Header=BB182_43 Depth=1
	s_or_b64 exec, exec, s[6:7]
	v_lshlrev_b32_e32 v2, 16, v57
	v_mul_f32_e32 v2, v41, v2
	v_and_b32_e32 v3, 0x7f800000, v2
	v_cmp_ne_u32_e64 s[0:1], s11, v3
                                        ; implicit-def: $vgpr57
	s_and_saveexec_b64 s[6:7], s[0:1]
	s_xor_b64 s[0:1], exec, s[6:7]
; %bb.158:                              ;   in Loop: Header=BB182_43 Depth=1
	v_bfe_u32 v3, v2, 16, 1
	v_add3_u32 v57, v2, v3, s13
                                        ; implicit-def: $vgpr2
; %bb.159:                              ;   in Loop: Header=BB182_43 Depth=1
	s_andn2_saveexec_b64 s[6:7], s[0:1]
; %bb.160:                              ;   in Loop: Header=BB182_43 Depth=1
	v_or_b32_e32 v3, 0x10000, v2
	v_cmp_eq_u32_sdwa s[0:1], v2, v11 src0_sel:WORD_0 src1_sel:DWORD
	v_cndmask_b32_e64 v57, v3, v2, s[0:1]
; %bb.161:                              ;   in Loop: Header=BB182_43 Depth=1
	s_or_b64 exec, exec, s[6:7]
	v_lshlrev_b32_e32 v2, 16, v4
	v_mul_f32_e32 v2, v42, v2
	v_and_b32_e32 v3, 0x7f800000, v2
	v_cmp_ne_u32_e64 s[0:1], s11, v3
                                        ; implicit-def: $vgpr58
	s_and_saveexec_b64 s[6:7], s[0:1]
	s_xor_b64 s[0:1], exec, s[6:7]
; %bb.162:                              ;   in Loop: Header=BB182_43 Depth=1
	v_bfe_u32 v3, v2, 16, 1
	v_add3_u32 v58, v2, v3, s13
                                        ; implicit-def: $vgpr2
; %bb.163:                              ;   in Loop: Header=BB182_43 Depth=1
	s_andn2_saveexec_b64 s[6:7], s[0:1]
; %bb.164:                              ;   in Loop: Header=BB182_43 Depth=1
	v_or_b32_e32 v3, 0x10000, v2
	v_cmp_eq_u32_sdwa s[0:1], v2, v11 src0_sel:WORD_0 src1_sel:DWORD
	v_cndmask_b32_e64 v58, v3, v2, s[0:1]
; %bb.165:                              ;   in Loop: Header=BB182_43 Depth=1
	s_or_b64 exec, exec, s[6:7]
	v_lshlrev_b32_e32 v2, 16, v59
	v_mul_f32_e32 v2, v43, v2
	v_and_b32_e32 v3, 0x7f800000, v2
	v_cmp_ne_u32_e64 s[0:1], s11, v3
                                        ; implicit-def: $vgpr59
	s_and_saveexec_b64 s[6:7], s[0:1]
	s_xor_b64 s[0:1], exec, s[6:7]
; %bb.166:                              ;   in Loop: Header=BB182_43 Depth=1
	v_bfe_u32 v3, v2, 16, 1
	v_add3_u32 v59, v2, v3, s13
                                        ; implicit-def: $vgpr2
; %bb.167:                              ;   in Loop: Header=BB182_43 Depth=1
	s_andn2_saveexec_b64 s[6:7], s[0:1]
; %bb.168:                              ;   in Loop: Header=BB182_43 Depth=1
	v_or_b32_e32 v3, 0x10000, v2
	v_cmp_eq_u32_sdwa s[0:1], v2, v11 src0_sel:WORD_0 src1_sel:DWORD
	v_cndmask_b32_e64 v59, v3, v2, s[0:1]
; %bb.169:                              ;   in Loop: Header=BB182_43 Depth=1
	s_or_b64 exec, exec, s[6:7]
	v_lshlrev_b32_e32 v2, 16, v5
	v_mul_f32_e32 v2, v44, v2
	v_and_b32_e32 v3, 0x7f800000, v2
	v_cmp_ne_u32_e64 s[0:1], s11, v3
                                        ; implicit-def: $vgpr60
	s_and_saveexec_b64 s[6:7], s[0:1]
	s_xor_b64 s[0:1], exec, s[6:7]
; %bb.170:                              ;   in Loop: Header=BB182_43 Depth=1
	v_bfe_u32 v3, v2, 16, 1
	v_add3_u32 v60, v2, v3, s13
                                        ; implicit-def: $vgpr2
; %bb.171:                              ;   in Loop: Header=BB182_43 Depth=1
	s_andn2_saveexec_b64 s[6:7], s[0:1]
; %bb.172:                              ;   in Loop: Header=BB182_43 Depth=1
	v_or_b32_e32 v3, 0x10000, v2
	v_cmp_eq_u32_sdwa s[0:1], v2, v11 src0_sel:WORD_0 src1_sel:DWORD
	v_cndmask_b32_e64 v60, v3, v2, s[0:1]
; %bb.173:                              ;   in Loop: Header=BB182_43 Depth=1
	s_or_b64 exec, exec, s[6:7]
	v_lshlrev_b32_e32 v2, 16, v61
	v_mul_f32_e32 v2, v45, v2
	v_and_b32_e32 v3, 0x7f800000, v2
	v_cmp_ne_u32_e64 s[0:1], s11, v3
                                        ; implicit-def: $vgpr61
	s_and_saveexec_b64 s[6:7], s[0:1]
	s_xor_b64 s[0:1], exec, s[6:7]
; %bb.174:                              ;   in Loop: Header=BB182_43 Depth=1
	v_bfe_u32 v3, v2, 16, 1
	v_add3_u32 v61, v2, v3, s13
                                        ; implicit-def: $vgpr2
; %bb.175:                              ;   in Loop: Header=BB182_43 Depth=1
	s_andn2_saveexec_b64 s[6:7], s[0:1]
; %bb.176:                              ;   in Loop: Header=BB182_43 Depth=1
	v_or_b32_e32 v3, 0x10000, v2
	v_cmp_eq_u32_sdwa s[0:1], v2, v11 src0_sel:WORD_0 src1_sel:DWORD
	v_cndmask_b32_e64 v61, v3, v2, s[0:1]
; %bb.177:                              ;   in Loop: Header=BB182_43 Depth=1
	s_or_b64 exec, exec, s[6:7]
	global_load_dwordx4 v[2:5], v[6:7], off offset:3072
	s_waitcnt vmcnt(0)
	v_lshrrev_b32_e32 v6, 16, v2
	v_lshrrev_b32_e32 v63, 16, v3
	;; [unrolled: 1-line block ×4, first 2 shown]
	s_and_saveexec_b64 s[0:1], vcc
	s_cbranch_execz .LBB182_179
; %bb.178:                              ;   in Loop: Header=BB182_43 Depth=1
	v_cmp_gt_i32_e32 vcc, s33, v30
	v_cndmask_b32_e32 v2, 0, v2, vcc
	v_cmp_gt_i32_e32 vcc, s33, v36
	v_cndmask_b32_e32 v6, 0, v6, vcc
	;; [unrolled: 2-line block ×8, first 2 shown]
.LBB182_179:                            ;   in Loop: Header=BB182_43 Depth=1
	s_or_b64 exec, exec, s[0:1]
	v_lshlrev_b32_e32 v2, 16, v2
	v_mul_f32_e32 v30, v38, v2
	v_and_b32_e32 v2, 0x7f800000, v30
	v_cmp_ne_u32_e32 vcc, s11, v2
                                        ; implicit-def: $vgpr2
	s_and_saveexec_b64 s[0:1], vcc
	s_xor_b64 s[0:1], exec, s[0:1]
; %bb.180:                              ;   in Loop: Header=BB182_43 Depth=1
	v_bfe_u32 v2, v30, 16, 1
	v_add3_u32 v2, v30, v2, s13
                                        ; implicit-def: $vgpr30
; %bb.181:                              ;   in Loop: Header=BB182_43 Depth=1
	s_andn2_saveexec_b64 s[0:1], s[0:1]
; %bb.182:                              ;   in Loop: Header=BB182_43 Depth=1
	v_or_b32_e32 v2, 0x10000, v30
	v_cmp_eq_u32_sdwa vcc, v30, v11 src0_sel:WORD_0 src1_sel:DWORD
	v_cndmask_b32_e32 v2, v2, v30, vcc
; %bb.183:                              ;   in Loop: Header=BB182_43 Depth=1
	s_or_b64 exec, exec, s[0:1]
	v_lshlrev_b32_e32 v6, 16, v6
	v_mul_f32_e32 v30, v39, v6
	v_and_b32_e32 v6, 0x7f800000, v30
	v_cmp_ne_u32_e32 vcc, s11, v6
                                        ; implicit-def: $vgpr6
	s_and_saveexec_b64 s[0:1], vcc
	s_xor_b64 s[0:1], exec, s[0:1]
; %bb.184:                              ;   in Loop: Header=BB182_43 Depth=1
	v_bfe_u32 v6, v30, 16, 1
	v_add3_u32 v6, v30, v6, s13
                                        ; implicit-def: $vgpr30
; %bb.185:                              ;   in Loop: Header=BB182_43 Depth=1
	s_andn2_saveexec_b64 s[0:1], s[0:1]
; %bb.186:                              ;   in Loop: Header=BB182_43 Depth=1
	v_or_b32_e32 v6, 0x10000, v30
	v_cmp_eq_u32_sdwa vcc, v30, v11 src0_sel:WORD_0 src1_sel:DWORD
	v_cndmask_b32_e32 v6, v6, v30, vcc
; %bb.187:                              ;   in Loop: Header=BB182_43 Depth=1
	s_or_b64 exec, exec, s[0:1]
	v_lshlrev_b32_e32 v3, 16, v3
	v_mul_f32_e32 v30, v40, v3
	v_and_b32_e32 v3, 0x7f800000, v30
	v_cmp_ne_u32_e32 vcc, s11, v3
                                        ; implicit-def: $vgpr3
	s_and_saveexec_b64 s[0:1], vcc
	s_xor_b64 s[0:1], exec, s[0:1]
; %bb.188:                              ;   in Loop: Header=BB182_43 Depth=1
	v_bfe_u32 v3, v30, 16, 1
	v_add3_u32 v3, v30, v3, s13
                                        ; implicit-def: $vgpr30
; %bb.189:                              ;   in Loop: Header=BB182_43 Depth=1
	s_andn2_saveexec_b64 s[0:1], s[0:1]
; %bb.190:                              ;   in Loop: Header=BB182_43 Depth=1
	v_or_b32_e32 v3, 0x10000, v30
	v_cmp_eq_u32_sdwa vcc, v30, v11 src0_sel:WORD_0 src1_sel:DWORD
	v_cndmask_b32_e32 v3, v3, v30, vcc
; %bb.191:                              ;   in Loop: Header=BB182_43 Depth=1
	s_or_b64 exec, exec, s[0:1]
	v_lshlrev_b32_e32 v30, 16, v63
	v_mul_f32_e32 v31, v41, v30
	v_and_b32_e32 v30, 0x7f800000, v31
	v_cmp_ne_u32_e32 vcc, s11, v30
                                        ; implicit-def: $vgpr30
	s_and_saveexec_b64 s[0:1], vcc
	s_xor_b64 s[0:1], exec, s[0:1]
; %bb.192:                              ;   in Loop: Header=BB182_43 Depth=1
	v_bfe_u32 v30, v31, 16, 1
	v_add3_u32 v30, v31, v30, s13
                                        ; implicit-def: $vgpr31
; %bb.193:                              ;   in Loop: Header=BB182_43 Depth=1
	s_andn2_saveexec_b64 s[0:1], s[0:1]
; %bb.194:                              ;   in Loop: Header=BB182_43 Depth=1
	v_or_b32_e32 v30, 0x10000, v31
	v_cmp_eq_u32_sdwa vcc, v31, v11 src0_sel:WORD_0 src1_sel:DWORD
	v_cndmask_b32_e32 v30, v30, v31, vcc
; %bb.195:                              ;   in Loop: Header=BB182_43 Depth=1
	s_or_b64 exec, exec, s[0:1]
	v_lshlrev_b32_e32 v4, 16, v4
	v_mul_f32_e32 v31, v42, v4
	v_and_b32_e32 v4, 0x7f800000, v31
	v_cmp_ne_u32_e32 vcc, s11, v4
                                        ; implicit-def: $vgpr4
	s_and_saveexec_b64 s[0:1], vcc
	s_xor_b64 s[0:1], exec, s[0:1]
; %bb.196:                              ;   in Loop: Header=BB182_43 Depth=1
	v_bfe_u32 v4, v31, 16, 1
	v_add3_u32 v4, v31, v4, s13
                                        ; implicit-def: $vgpr31
; %bb.197:                              ;   in Loop: Header=BB182_43 Depth=1
	s_andn2_saveexec_b64 s[0:1], s[0:1]
; %bb.198:                              ;   in Loop: Header=BB182_43 Depth=1
	v_or_b32_e32 v4, 0x10000, v31
	v_cmp_eq_u32_sdwa vcc, v31, v11 src0_sel:WORD_0 src1_sel:DWORD
	v_cndmask_b32_e32 v4, v4, v31, vcc
; %bb.199:                              ;   in Loop: Header=BB182_43 Depth=1
	s_or_b64 exec, exec, s[0:1]
	v_lshlrev_b32_e32 v31, 16, v62
	v_mul_f32_e32 v32, v43, v31
	v_and_b32_e32 v31, 0x7f800000, v32
	v_cmp_ne_u32_e32 vcc, s11, v31
                                        ; implicit-def: $vgpr31
	s_and_saveexec_b64 s[0:1], vcc
	s_xor_b64 s[0:1], exec, s[0:1]
; %bb.200:                              ;   in Loop: Header=BB182_43 Depth=1
	v_bfe_u32 v31, v32, 16, 1
	v_add3_u32 v31, v32, v31, s13
                                        ; implicit-def: $vgpr32
; %bb.201:                              ;   in Loop: Header=BB182_43 Depth=1
	s_andn2_saveexec_b64 s[0:1], s[0:1]
; %bb.202:                              ;   in Loop: Header=BB182_43 Depth=1
	v_or_b32_e32 v31, 0x10000, v32
	v_cmp_eq_u32_sdwa vcc, v32, v11 src0_sel:WORD_0 src1_sel:DWORD
	v_cndmask_b32_e32 v31, v31, v32, vcc
; %bb.203:                              ;   in Loop: Header=BB182_43 Depth=1
	s_or_b64 exec, exec, s[0:1]
	v_lshlrev_b32_e32 v5, 16, v5
	v_mul_f32_e32 v32, v44, v5
	v_and_b32_e32 v5, 0x7f800000, v32
	v_cmp_ne_u32_e32 vcc, s11, v5
                                        ; implicit-def: $vgpr5
	s_and_saveexec_b64 s[0:1], vcc
	s_xor_b64 s[0:1], exec, s[0:1]
; %bb.204:                              ;   in Loop: Header=BB182_43 Depth=1
	v_bfe_u32 v5, v32, 16, 1
	v_add3_u32 v5, v32, v5, s13
                                        ; implicit-def: $vgpr32
; %bb.205:                              ;   in Loop: Header=BB182_43 Depth=1
	s_andn2_saveexec_b64 s[0:1], s[0:1]
; %bb.206:                              ;   in Loop: Header=BB182_43 Depth=1
	v_or_b32_e32 v5, 0x10000, v32
	v_cmp_eq_u32_sdwa vcc, v32, v11 src0_sel:WORD_0 src1_sel:DWORD
	v_cndmask_b32_e32 v5, v5, v32, vcc
; %bb.207:                              ;   in Loop: Header=BB182_43 Depth=1
	s_or_b64 exec, exec, s[0:1]
	v_lshlrev_b32_e32 v7, 16, v7
	v_mul_f32_e32 v32, v45, v7
	v_and_b32_e32 v7, 0x7f800000, v32
	v_cmp_ne_u32_e32 vcc, s11, v7
                                        ; implicit-def: $vgpr7
	s_and_saveexec_b64 s[0:1], vcc
	s_xor_b64 s[0:1], exec, s[0:1]
; %bb.208:                              ;   in Loop: Header=BB182_43 Depth=1
	v_bfe_u32 v7, v32, 16, 1
	v_add3_u32 v7, v32, v7, s13
                                        ; implicit-def: $vgpr32
; %bb.209:                              ;   in Loop: Header=BB182_43 Depth=1
	s_andn2_saveexec_b64 s[0:1], s[0:1]
	s_cbranch_execz .LBB182_42
; %bb.210:                              ;   in Loop: Header=BB182_43 Depth=1
	v_or_b32_e32 v7, 0x10000, v32
	v_cmp_eq_u32_sdwa vcc, v32, v11 src0_sel:WORD_0 src1_sel:DWORD
	v_cndmask_b32_e32 v7, v7, v32, vcc
	s_branch .LBB182_42
.LBB182_211:
	s_or_b64 exec, exec, s[4:5]
.LBB182_212:
	s_or_b64 exec, exec, s[2:3]
	ds_bpermute_b32 v2, v18, v14
	ds_bpermute_b32 v3, v18, v15
	ds_bpermute_b32 v4, v18, v12
	ds_bpermute_b32 v5, v18, v13
	s_waitcnt lgkmcnt(0)
	s_barrier
	v_pk_add_f32 v[2:3], v[14:15], v[2:3]
	ds_bpermute_b32 v6, v19, v2
	ds_bpermute_b32 v7, v19, v3
	v_pk_add_f32 v[8:9], v[12:13], v[4:5]
	ds_bpermute_b32 v10, v19, v8
	ds_bpermute_b32 v11, v19, v9
	s_waitcnt lgkmcnt(0)
	v_pk_add_f32 v[4:5], v[2:3], v[6:7]
	v_and_b32_e32 v6, 0x3c3, v0
	v_cmp_eq_u32_e32 vcc, 64, v6
	v_pk_add_f32 v[2:3], v[8:9], v[10:11]
	s_and_saveexec_b64 s[0:1], vcc
	s_cbranch_execz .LBB182_214
; %bb.213:
	v_add_u32_e32 v1, 0x90, v1
	ds_write2_b32 v1, v4, v5 offset1:16
	ds_write2_b32 v1, v2, v3 offset0:32 offset1:48
.LBB182_214:
	s_or_b64 exec, exec, s[0:1]
	v_cmp_gt_u32_e32 vcc, 64, v0
	s_waitcnt lgkmcnt(0)
	s_barrier
	s_and_saveexec_b64 s[2:3], vcc
	s_cbranch_execz .LBB182_221
; %bb.215:
	v_cmp_eq_u32_e64 s[0:1], 0, v20
	v_lshrrev_b32_e32 v1, 2, v0
	s_and_saveexec_b64 s[4:5], s[0:1]
	s_cbranch_execnz .LBB182_241
; %bb.216:
	s_or_b64 exec, exec, s[4:5]
	s_and_saveexec_b64 s[4:5], s[0:1]
	s_cbranch_execnz .LBB182_242
.LBB182_217:
	s_or_b64 exec, exec, s[4:5]
	s_and_saveexec_b64 s[4:5], s[0:1]
	s_cbranch_execnz .LBB182_243
.LBB182_218:
	s_or_b64 exec, exec, s[4:5]
	s_and_saveexec_b64 s[4:5], s[0:1]
	s_cbranch_execz .LBB182_220
.LBB182_219:
	v_mov_b32_e32 v6, 0x90
	v_lshl_add_u32 v1, v1, 2, v6
	ds_read_b32 v1, v1 offset:192
	s_waitcnt lgkmcnt(0)
	v_add_f32_e32 v3, v3, v1
.LBB182_220:
	s_or_b64 exec, exec, s[4:5]
.LBB182_221:
	s_or_b64 exec, exec, s[2:3]
	s_barrier
	s_and_saveexec_b64 s[0:1], vcc
	s_cbranch_execz .LBB182_240
; %bb.222:
	v_cmp_eq_u32_e32 vcc, 0, v20
	s_and_b64 exec, exec, vcc
	s_cbranch_execz .LBB182_240
; %bb.223:
	s_mov_b32 s0, 0x7f800000
	v_and_b32_e32 v1, 0x7f800000, v4
	v_cmp_ne_u32_e32 vcc, s0, v1
                                        ; implicit-def: $vgpr1
	s_and_saveexec_b64 s[0:1], vcc
	s_xor_b64 s[0:1], exec, s[0:1]
; %bb.224:
	v_bfe_u32 v1, v4, 16, 1
	s_movk_i32 s2, 0x7fff
	v_add3_u32 v1, v4, v1, s2
; %bb.225:
	s_andn2_saveexec_b64 s[0:1], s[0:1]
; %bb.226:
	v_mov_b32_e32 v1, 0
	v_or_b32_e32 v6, 0x10000, v4
	v_cmp_eq_u32_sdwa vcc, v4, v1 src0_sel:WORD_0 src1_sel:DWORD
	v_cndmask_b32_e32 v1, v6, v4, vcc
; %bb.227:
	s_or_b64 exec, exec, s[0:1]
	s_mul_i32 s0, s12, s20
	s_mul_i32 s0, s0, s21
	s_lshl_b32 s0, s0, 6
	s_ashr_i32 s1, s0, 31
	s_lshl_b64 s[0:1], s[0:1], 1
	s_add_u32 s2, s24, s0
	s_mul_i32 s0, s12, s22
	s_addc_u32 s3, s25, s1
	s_ashr_i32 s1, s0, 31
	s_lshl_b64 s[0:1], s[0:1], 1
	s_add_u32 s2, s2, s0
	s_addc_u32 s3, s3, s1
	s_lshl_b32 s0, s8, 6
	s_ashr_i32 s1, s0, 31
	s_lshl_b64 s[0:1], s[0:1], 1
	s_add_u32 s0, s2, s0
	v_lshrrev_b32_e32 v0, 1, v0
	s_addc_u32 s1, s3, s1
	v_and_b32_e32 v0, 0x1fe, v0
	v_mov_b32_e32 v4, s1
	v_add_co_u32_e32 v6, vcc, s0, v0
	v_addc_co_u32_e32 v7, vcc, 0, v4, vcc
	global_store_short_d16_hi v0, v1, s[0:1]
	s_mov_b32 s0, 0x7f800000
	v_and_b32_e32 v0, 0x7f800000, v5
	v_cmp_ne_u32_e32 vcc, s0, v0
                                        ; implicit-def: $vgpr0
	s_and_saveexec_b64 s[0:1], vcc
	s_xor_b64 s[0:1], exec, s[0:1]
; %bb.228:
	v_bfe_u32 v0, v5, 16, 1
	s_movk_i32 s2, 0x7fff
	v_add3_u32 v0, v5, v0, s2
; %bb.229:
	s_andn2_saveexec_b64 s[0:1], s[0:1]
; %bb.230:
	v_mov_b32_e32 v0, 0
	v_or_b32_e32 v1, 0x10000, v5
	v_cmp_eq_u32_sdwa vcc, v5, v0 src0_sel:WORD_0 src1_sel:DWORD
	v_cndmask_b32_e32 v0, v1, v5, vcc
; %bb.231:
	s_or_b64 exec, exec, s[0:1]
	global_store_short_d16_hi v[6:7], v0, off offset:32
	s_mov_b32 s0, 0x7f800000
	v_and_b32_e32 v0, 0x7f800000, v2
	v_cmp_ne_u32_e32 vcc, s0, v0
                                        ; implicit-def: $vgpr0
	s_and_saveexec_b64 s[0:1], vcc
	s_xor_b64 s[0:1], exec, s[0:1]
; %bb.232:
	v_bfe_u32 v0, v2, 16, 1
	s_movk_i32 s2, 0x7fff
	v_add3_u32 v0, v2, v0, s2
; %bb.233:
	s_andn2_saveexec_b64 s[0:1], s[0:1]
; %bb.234:
	v_mov_b32_e32 v0, 0
	v_or_b32_e32 v1, 0x10000, v2
	v_cmp_eq_u32_sdwa vcc, v2, v0 src0_sel:WORD_0 src1_sel:DWORD
	v_cndmask_b32_e32 v0, v1, v2, vcc
; %bb.235:
	s_or_b64 exec, exec, s[0:1]
	global_store_short_d16_hi v[6:7], v0, off offset:64
	s_mov_b32 s0, 0x7f800000
	v_and_b32_e32 v0, 0x7f800000, v3
	v_cmp_ne_u32_e32 vcc, s0, v0
                                        ; implicit-def: $vgpr4
	s_and_saveexec_b64 s[0:1], vcc
	s_xor_b64 s[0:1], exec, s[0:1]
; %bb.236:
	v_bfe_u32 v0, v3, 16, 1
	s_movk_i32 s2, 0x7fff
	v_add3_u32 v4, v3, v0, s2
                                        ; implicit-def: $vgpr0_vgpr1_vgpr2_vgpr3
; %bb.237:
	s_andn2_saveexec_b64 s[0:1], s[0:1]
; %bb.238:
	v_mov_b32_e32 v0, 0
	v_or_b32_e32 v1, 0x10000, v3
	v_cmp_eq_u32_sdwa vcc, v3, v0 src0_sel:WORD_0 src1_sel:DWORD
	v_cndmask_b32_e32 v4, v1, v3, vcc
; %bb.239:
	s_or_b64 exec, exec, s[0:1]
	global_store_short_d16_hi v[6:7], v4, off offset:96
.LBB182_240:
	s_endpgm
.LBB182_241:
	v_mov_b32_e32 v6, 0x90
	v_lshl_add_u32 v6, v1, 2, v6
	ds_read_b32 v6, v6
	s_waitcnt lgkmcnt(0)
	v_add_f32_e32 v4, v4, v6
	s_or_b64 exec, exec, s[4:5]
	s_and_saveexec_b64 s[4:5], s[0:1]
	s_cbranch_execz .LBB182_217
.LBB182_242:
	v_mov_b32_e32 v6, 0x90
	v_lshl_add_u32 v6, v1, 2, v6
	ds_read_b32 v6, v6 offset:64
	s_waitcnt lgkmcnt(0)
	v_add_f32_e32 v5, v5, v6
	s_or_b64 exec, exec, s[4:5]
	s_and_saveexec_b64 s[4:5], s[0:1]
	s_cbranch_execz .LBB182_218
.LBB182_243:
	v_mov_b32_e32 v6, 0x90
	v_lshl_add_u32 v6, v1, 2, v6
	ds_read_b32 v6, v6 offset:128
	s_waitcnt lgkmcnt(0)
	v_add_f32_e32 v2, v2, v6
	s_or_b64 exec, exec, s[4:5]
	s_and_saveexec_b64 s[4:5], s[0:1]
	s_cbranch_execnz .LBB182_219
	s_branch .LBB182_220
	.section	.rodata,"a",@progbits
	.p2align	6, 0x0
	.amdhsa_kernel _ZN4vllm25paged_attention_v2_kernelI14__hip_bfloat16S1_Li64ELi32ELi128ELNS_18Fp8KVCacheDataTypeE0ELb0ELi512EEEvPfS3_PT_PKS4_PKT0_SA_ifPKiSC_iPKfiiiSE_SE_iiiii
		.amdhsa_group_segment_fixed_size 144
		.amdhsa_private_segment_fixed_size 0
		.amdhsa_kernarg_size 400
		.amdhsa_user_sgpr_count 6
		.amdhsa_user_sgpr_private_segment_buffer 1
		.amdhsa_user_sgpr_dispatch_ptr 0
		.amdhsa_user_sgpr_queue_ptr 0
		.amdhsa_user_sgpr_kernarg_segment_ptr 1
		.amdhsa_user_sgpr_dispatch_id 0
		.amdhsa_user_sgpr_flat_scratch_init 0
		.amdhsa_user_sgpr_kernarg_preload_length 0
		.amdhsa_user_sgpr_kernarg_preload_offset 0
		.amdhsa_user_sgpr_private_segment_size 0
		.amdhsa_uses_dynamic_stack 0
		.amdhsa_system_sgpr_private_segment_wavefront_offset 0
		.amdhsa_system_sgpr_workgroup_id_x 1
		.amdhsa_system_sgpr_workgroup_id_y 1
		.amdhsa_system_sgpr_workgroup_id_z 1
		.amdhsa_system_sgpr_workgroup_info 0
		.amdhsa_system_vgpr_workitem_id 0
		.amdhsa_next_free_vgpr 80
		.amdhsa_next_free_sgpr 42
		.amdhsa_accum_offset 80
		.amdhsa_reserve_vcc 1
		.amdhsa_reserve_flat_scratch 0
		.amdhsa_float_round_mode_32 0
		.amdhsa_float_round_mode_16_64 0
		.amdhsa_float_denorm_mode_32 3
		.amdhsa_float_denorm_mode_16_64 3
		.amdhsa_dx10_clamp 1
		.amdhsa_ieee_mode 1
		.amdhsa_fp16_overflow 0
		.amdhsa_tg_split 0
		.amdhsa_exception_fp_ieee_invalid_op 0
		.amdhsa_exception_fp_denorm_src 0
		.amdhsa_exception_fp_ieee_div_zero 0
		.amdhsa_exception_fp_ieee_overflow 0
		.amdhsa_exception_fp_ieee_underflow 0
		.amdhsa_exception_fp_ieee_inexact 0
		.amdhsa_exception_int_div_zero 0
	.end_amdhsa_kernel
	.section	.text._ZN4vllm25paged_attention_v2_kernelI14__hip_bfloat16S1_Li64ELi32ELi128ELNS_18Fp8KVCacheDataTypeE0ELb0ELi512EEEvPfS3_PT_PKS4_PKT0_SA_ifPKiSC_iPKfiiiSE_SE_iiiii,"axG",@progbits,_ZN4vllm25paged_attention_v2_kernelI14__hip_bfloat16S1_Li64ELi32ELi128ELNS_18Fp8KVCacheDataTypeE0ELb0ELi512EEEvPfS3_PT_PKS4_PKT0_SA_ifPKiSC_iPKfiiiSE_SE_iiiii,comdat
.Lfunc_end182:
	.size	_ZN4vllm25paged_attention_v2_kernelI14__hip_bfloat16S1_Li64ELi32ELi128ELNS_18Fp8KVCacheDataTypeE0ELb0ELi512EEEvPfS3_PT_PKS4_PKT0_SA_ifPKiSC_iPKfiiiSE_SE_iiiii, .Lfunc_end182-_ZN4vllm25paged_attention_v2_kernelI14__hip_bfloat16S1_Li64ELi32ELi128ELNS_18Fp8KVCacheDataTypeE0ELb0ELi512EEEvPfS3_PT_PKS4_PKT0_SA_ifPKiSC_iPKfiiiSE_SE_iiiii
                                        ; -- End function
	.section	.AMDGPU.csdata,"",@progbits
; Kernel info:
; codeLenInByte = 8492
; NumSgprs: 46
; NumVgprs: 80
; NumAgprs: 0
; TotalNumVgprs: 80
; ScratchSize: 0
; MemoryBound: 0
; FloatMode: 240
; IeeeMode: 1
; LDSByteSize: 144 bytes/workgroup (compile time only)
; SGPRBlocks: 5
; VGPRBlocks: 9
; NumSGPRsForWavesPerEU: 46
; NumVGPRsForWavesPerEU: 80
; AccumOffset: 80
; Occupancy: 6
; WaveLimiterHint : 1
; COMPUTE_PGM_RSRC2:SCRATCH_EN: 0
; COMPUTE_PGM_RSRC2:USER_SGPR: 6
; COMPUTE_PGM_RSRC2:TRAP_HANDLER: 0
; COMPUTE_PGM_RSRC2:TGID_X_EN: 1
; COMPUTE_PGM_RSRC2:TGID_Y_EN: 1
; COMPUTE_PGM_RSRC2:TGID_Z_EN: 1
; COMPUTE_PGM_RSRC2:TIDIG_COMP_CNT: 0
; COMPUTE_PGM_RSRC3_GFX90A:ACCUM_OFFSET: 19
; COMPUTE_PGM_RSRC3_GFX90A:TG_SPLIT: 0
	.section	.text._ZN4vllm25paged_attention_v2_kernelI14__hip_bfloat16S1_Li80ELi32ELi128ELNS_18Fp8KVCacheDataTypeE0ELb0ELi512EEEvPfS3_PT_PKS4_PKT0_SA_ifPKiSC_iPKfiiiSE_SE_iiiii,"axG",@progbits,_ZN4vllm25paged_attention_v2_kernelI14__hip_bfloat16S1_Li80ELi32ELi128ELNS_18Fp8KVCacheDataTypeE0ELb0ELi512EEEvPfS3_PT_PKS4_PKT0_SA_ifPKiSC_iPKfiiiSE_SE_iiiii,comdat
	.protected	_ZN4vllm25paged_attention_v2_kernelI14__hip_bfloat16S1_Li80ELi32ELi128ELNS_18Fp8KVCacheDataTypeE0ELb0ELi512EEEvPfS3_PT_PKS4_PKT0_SA_ifPKiSC_iPKfiiiSE_SE_iiiii ; -- Begin function _ZN4vllm25paged_attention_v2_kernelI14__hip_bfloat16S1_Li80ELi32ELi128ELNS_18Fp8KVCacheDataTypeE0ELb0ELi512EEEvPfS3_PT_PKS4_PKT0_SA_ifPKiSC_iPKfiiiSE_SE_iiiii
	.globl	_ZN4vllm25paged_attention_v2_kernelI14__hip_bfloat16S1_Li80ELi32ELi128ELNS_18Fp8KVCacheDataTypeE0ELb0ELi512EEEvPfS3_PT_PKS4_PKT0_SA_ifPKiSC_iPKfiiiSE_SE_iiiii
	.p2align	8
	.type	_ZN4vllm25paged_attention_v2_kernelI14__hip_bfloat16S1_Li80ELi32ELi128ELNS_18Fp8KVCacheDataTypeE0ELb0ELi512EEEvPfS3_PT_PKS4_PKT0_SA_ifPKiSC_iPKfiiiSE_SE_iiiii,@function
_ZN4vllm25paged_attention_v2_kernelI14__hip_bfloat16S1_Li80ELi32ELi128ELNS_18Fp8KVCacheDataTypeE0ELb0ELi512EEEvPfS3_PT_PKS4_PKT0_SA_ifPKiSC_iPKfiiiSE_SE_iiiii: ; @_ZN4vllm25paged_attention_v2_kernelI14__hip_bfloat16S1_Li80ELi32ELi128ELNS_18Fp8KVCacheDataTypeE0ELb0ELi512EEEvPfS3_PT_PKS4_PKT0_SA_ifPKiSC_iPKfiiiSE_SE_iiiii
; %bb.0:
	s_load_dwordx2 s[0:1], s[4:5], 0x40
	s_mov_b32 s20, s7
	s_ashr_i32 s21, s7, 31
	s_lshl_b64 s[2:3], s[20:21], 2
	s_waitcnt lgkmcnt(0)
	s_add_u32 s0, s0, s2
	s_addc_u32 s1, s1, s3
	s_load_dword s33, s[0:1], 0x0
	s_lshl_b32 s40, s8, 9
	s_waitcnt lgkmcnt(0)
	s_cmp_ge_i32 s40, s33
	s_cbranch_scc1 .LBB183_279
; %bb.1:
	s_load_dword s21, s[4:5], 0x90
	s_load_dwordx2 s[10:11], s[4:5], 0x30
	s_waitcnt lgkmcnt(0)
	s_abs_i32 s2, s21
	s_abs_i32 s0, s10
	v_cvt_f32_u32_e32 v1, s0
	s_sub_i32 s3, 0, s0
	s_xor_b32 s1, s21, s10
	s_ashr_i32 s1, s1, 31
	v_rcp_iflag_f32_e32 v1, v1
	s_mov_b32 s10, 0
	v_mul_f32_e32 v1, 0x4f7ffffe, v1
	v_cvt_u32_f32_e32 v1, v1
	v_readfirstlane_b32 s7, v1
	s_mul_i32 s3, s3, s7
	s_mul_hi_u32 s3, s7, s3
	s_add_i32 s7, s7, s3
	s_mul_hi_u32 s3, s2, s7
	s_mul_i32 s7, s3, s0
	s_sub_i32 s2, s2, s7
	s_add_i32 s9, s3, 1
	s_sub_i32 s7, s2, s0
	s_cmp_ge_u32 s2, s0
	s_cselect_b32 s3, s9, s3
	s_cselect_b32 s2, s7, s2
	s_add_i32 s7, s3, 1
	s_cmp_ge_u32 s2, s0
	s_cselect_b32 s0, s7, s3
	s_xor_b32 s0, s0, s1
	s_sub_i32 s9, s0, s1
	s_abs_i32 s2, s9
	v_cvt_f32_u32_e32 v1, s2
	s_load_dwordx2 s[0:1], s[4:5], 0x50
	s_sub_i32 s7, 0, s2
	s_abs_i32 s3, s6
	v_rcp_iflag_f32_e32 v1, v1
	v_mul_f32_e32 v1, 0x4f7ffffe, v1
	v_cvt_u32_f32_e32 v1, v1
	v_readfirstlane_b32 s12, v1
	s_mul_i32 s7, s7, s12
	s_mul_hi_u32 s7, s12, s7
	s_add_i32 s12, s12, s7
	s_waitcnt lgkmcnt(0)
	s_cmp_eq_u64 s[0:1], 0
	s_mul_hi_u32 s16, s3, s12
	s_cbranch_scc1 .LBB183_3
; %bb.2:
	s_ashr_i32 s7, s6, 31
	s_lshl_b64 s[12:13], s[6:7], 2
	s_add_u32 s0, s0, s12
	s_addc_u32 s1, s1, s13
	s_load_dword s10, s[0:1], 0x0
.LBB183_3:
	s_load_dwordx4 s[12:15], s[4:5], 0x58
	s_ashr_i32 s17, s6, 31
	s_ashr_i32 s18, s9, 31
	v_and_b32_e32 v2, 1, v0
	s_movk_i32 s7, 0x50
	s_mul_i32 s22, s6, 0x50
	v_cmp_gt_u32_e32 vcc, 20, v0
	v_lshlrev_b32_e32 v4, 3, v0
	s_and_saveexec_b64 s[0:1], vcc
	s_cbranch_execz .LBB183_5
; %bb.4:
	s_load_dwordx2 s[24:25], s[4:5], 0x18
	s_waitcnt lgkmcnt(0)
	s_mul_i32 s26, s20, s12
	s_ashr_i32 s27, s26, 31
	s_lshl_b64 s[26:27], s[26:27], 1
	v_lshlrev_b32_e32 v1, 2, v0
	s_add_u32 s9, s24, s26
	s_addc_u32 s12, s25, s27
	s_ashr_i32 s23, s22, 31
	s_lshl_b64 s[24:25], s[22:23], 1
	s_add_u32 s24, s9, s24
	s_addc_u32 s25, s12, s25
	global_load_dwordx2 v[6:7], v4, s[24:25]
	v_and_b32_e32 v1, 0xff8, v1
	v_mad_u32_u24 v1, v2, s7, v1
	s_waitcnt vmcnt(0)
	ds_write_b64 v1, v[6:7]
.LBB183_5:
	s_or_b64 exec, exec, s[0:1]
	s_add_i32 s0, s33, 31
	s_ashr_i32 s1, s0, 31
	s_lshr_b32 s1, s1, 27
	s_add_i32 s0, s0, s1
	s_lshl_b32 s9, s8, 4
	s_mul_i32 s1, s16, s2
	s_ashr_i32 s7, s0, 5
	s_add_i32 s0, s9, 16
	s_sub_i32 s1, s3, s1
	s_min_i32 s23, s0, s7
	s_xor_b32 s0, s17, s18
	s_add_i32 s3, s16, 1
	s_waitcnt lgkmcnt(0)
	s_sub_i32 s12, s1, s2
	s_cmp_ge_u32 s1, s2
	s_cselect_b32 s3, s3, s16
	s_cselect_b32 s1, s12, s1
	s_add_i32 s12, s3, 1
	s_cmp_ge_u32 s1, s2
	s_load_dwordx2 s[26:27], s[4:5], 0x38
	s_load_dword s2, s[4:5], 0x48
	v_lshrrev_b32_e32 v5, 6, v0
	s_cselect_b32 s1, s12, s3
	s_xor_b32 s1, s1, s0
	v_or_b32_e32 v10, s9, v5
	s_waitcnt lgkmcnt(0)
	s_mul_i32 s28, s20, s2
	s_sub_i32 s15, s1, s0
	s_ashr_i32 s29, s28, 31
	v_cmp_gt_i32_e64 s[0:1], s23, v10
	v_cmp_le_i32_e32 vcc, s23, v10
	v_mbcnt_lo_u32_b32 v3, -1, 0
	s_barrier
	s_waitcnt lgkmcnt(0)
                                        ; implicit-def: $sgpr36
                                        ; implicit-def: $vgpr6
                                        ; implicit-def: $vgpr7
	s_and_saveexec_b64 s[2:3], vcc
	s_xor_b64 s[2:3], exec, s[2:3]
; %bb.6:
	v_mbcnt_hi_u32_b32 v6, -1, v3
	v_and_b32_e32 v1, 64, v6
	v_add_u32_e32 v7, 64, v1
	s_mov_b32 s36, 0xff7fffff
                                        ; implicit-def: $vgpr2
                                        ; implicit-def: $vgpr3
; %bb.7:
	s_or_saveexec_b64 s[34:35], s[2:3]
	s_load_dwordx4 s[16:19], s[4:5], 0x0
	s_load_dwordx2 s[24:25], s[4:5], 0x10
	s_load_dwordx2 s[30:31], s[4:5], 0x28
	s_load_dword s12, s[4:5], 0x98
	v_mov_b32_e32 v48, s36
	s_mul_i32 s14, s15, s14
	v_ashrrev_i32_e32 v11, 31, v10
	s_xor_b64 exec, exec, s[34:35]
	s_cbranch_execz .LBB183_13
; %bb.8:
	s_load_dwordx2 s[2:3], s[4:5], 0x20
	s_ashr_i32 s15, s14, 31
	s_lshl_b64 s[4:5], s[14:15], 1
	v_bfe_u32 v54, v0, 1, 5
	v_lshlrev_b32_e32 v1, 4, v54
	s_waitcnt lgkmcnt(0)
	s_add_u32 s2, s2, s4
	s_addc_u32 s3, s3, s5
	v_mov_b32_e32 v6, s3
	v_add_co_u32_e32 v1, vcc, s2, v1
	v_addc_co_u32_e32 v6, vcc, 0, v6, vcc
	v_and_b32_e32 v7, 8, v4
	v_add_co_u32_e32 v1, vcc, v1, v7
	v_addc_co_u32_e32 v8, vcc, 0, v6, vcc
	v_mbcnt_hi_u32_b32 v6, -1, v3
	v_and_b32_e32 v7, 64, v6
	v_mul_u32_u24_e32 v39, 0x50, v2
	v_xor_b32_e32 v3, 1, v6
	v_add_u32_e32 v7, 64, v7
	ds_read_b128 v[16:19], v39
	ds_read_b128 v[24:27], v39 offset:16
	ds_read_b128 v[32:35], v39 offset:32
	ds_read_b128 v[40:43], v39 offset:48
	ds_read_b128 v[48:51], v39 offset:64
	v_cmp_lt_i32_e32 vcc, v3, v7
	v_cndmask_b32_e32 v3, v6, v3, vcc
	v_cmp_eq_u32_e32 vcc, 0, v2
	v_lshlrev_b32_e32 v2, 5, v5
	s_sub_i32 s15, 1, s33
	v_add3_u32 v53, s40, v2, v54
	v_lshlrev_b32_e32 v2, 2, v54
	s_lshl_b64 s[4:5], s[28:29], 2
	v_lshl_or_b32 v2, v5, 7, v2
	s_add_u32 s4, s26, s4
	v_lshlrev_b32_e32 v52, 2, v3
	v_add_u32_e32 v54, 0xb0, v2
	v_lshlrev_b64 v[2:3], 2, v[10:11]
	s_addc_u32 s5, s27, s5
	s_waitcnt lgkmcnt(4)
	v_lshlrev_b32_e32 v9, 16, v16
	v_and_b32_e32 v12, 0xffff0000, v16
	v_lshlrev_b32_e32 v13, 16, v17
	v_and_b32_e32 v14, 0xffff0000, v17
	v_lshlrev_b32_e32 v15, 16, v18
	v_and_b32_e32 v16, 0xffff0000, v18
	v_lshlrev_b32_e32 v17, 16, v19
	v_and_b32_e32 v18, 0xffff0000, v19
	s_waitcnt lgkmcnt(3)
	v_lshlrev_b32_e32 v19, 16, v24
	v_and_b32_e32 v20, 0xffff0000, v24
	v_lshlrev_b32_e32 v21, 16, v25
	v_and_b32_e32 v22, 0xffff0000, v25
	v_lshlrev_b32_e32 v23, 16, v26
	v_and_b32_e32 v24, 0xffff0000, v26
	v_lshlrev_b32_e32 v25, 16, v27
	v_and_b32_e32 v26, 0xffff0000, v27
	;; [unrolled: 9-line block ×4, first 2 shown]
	s_waitcnt lgkmcnt(0)
	v_lshlrev_b32_e32 v43, 16, v48
	v_and_b32_e32 v44, 0xffff0000, v48
	v_mov_b32_e32 v48, s5
	v_add_co_u32_e64 v2, s[4:5], s4, v2
	s_mov_b32 s41, s13
	v_lshlrev_b32_e32 v45, 16, v49
	v_and_b32_e32 v46, 0xffff0000, v49
	v_lshlrev_b32_e32 v47, 16, v50
	v_and_b32_e32 v49, 0xffff0000, v50
	;; [unrolled: 2-line block ×3, first 2 shown]
	v_cmp_neq_f32_e64 s[2:3], s10, 0
	v_addc_co_u32_e64 v3, s[4:5], v48, v3, s[4:5]
	s_mov_b64 s[36:37], 0
	v_mov_b32_e32 v48, 0xff7fffff
	s_movk_i32 s42, 0x1000
	v_mov_b32_e32 v55, v10
	s_branch .LBB183_10
.LBB183_9:                              ;   in Loop: Header=BB183_10 Depth=1
	s_or_b64 exec, exec, s[38:39]
	v_add_u32_e32 v55, 2, v55
	v_cmp_le_i32_e64 s[4:5], s23, v55
	s_or_b64 s[36:37], s[4:5], s[36:37]
	v_add_co_u32_e64 v2, s[4:5], 8, v2
	v_add_u32_e32 v53, 64, v53
	v_add_u32_e32 v54, 0x100, v54
	v_addc_co_u32_e64 v3, s[4:5], 0, v3, s[4:5]
	s_andn2_b64 exec, exec, s[36:37]
	s_cbranch_execz .LBB183_12
.LBB183_10:                             ; =>This Inner Loop Header: Depth=1
	global_load_dword v56, v[2:3], off
	s_waitcnt vmcnt(0) lgkmcnt(0)
	v_mad_i64_i32 v[56:57], s[4:5], v56, s41, 0
	v_lshlrev_b64 v[56:57], 1, v[56:57]
	v_add_co_u32_e64 v56, s[4:5], v1, v56
	v_addc_co_u32_e64 v57, s[4:5], v8, v57, s[4:5]
	global_load_dwordx2 v[58:59], v[56:57], off
	global_load_dwordx2 v[60:61], v[56:57], off offset:512
	global_load_dwordx2 v[62:63], v[56:57], off offset:1024
	;; [unrolled: 1-line block ×7, first 2 shown]
	v_add_co_u32_e64 v56, s[4:5], s42, v56
	v_addc_co_u32_e64 v57, s[4:5], 0, v57, s[4:5]
	global_load_dwordx2 v[74:75], v[56:57], off
	s_nop 0
	global_load_dwordx2 v[56:57], v[56:57], off offset:512
	s_waitcnt vmcnt(9)
	v_lshlrev_b32_e32 v76, 16, v58
	s_waitcnt vmcnt(8)
	v_lshlrev_b32_e32 v78, 16, v60
	v_and_b32_e32 v60, 0xffff0000, v60
	v_and_b32_e32 v58, 0xffff0000, v58
	v_lshlrev_b32_e32 v79, 16, v61
	v_mul_f32_e32 v78, v15, v78
	v_mul_f32_e32 v60, v16, v60
	v_lshlrev_b32_e32 v77, 16, v59
	v_and_b32_e32 v61, 0xffff0000, v61
	s_waitcnt vmcnt(7)
	v_lshlrev_b32_e32 v80, 16, v62
	v_and_b32_e32 v62, 0xffff0000, v62
	v_mul_f32_e32 v79, v17, v79
	v_fmac_f32_e32 v78, v9, v76
	v_fmac_f32_e32 v60, v12, v58
	v_and_b32_e32 v59, 0xffff0000, v59
	v_lshlrev_b32_e32 v81, 16, v63
	s_waitcnt vmcnt(6)
	v_lshlrev_b32_e32 v82, 16, v64
	v_and_b32_e32 v64, 0xffff0000, v64
	v_mul_f32_e32 v61, v18, v61
	v_fmac_f32_e32 v79, v13, v77
	v_fmac_f32_e32 v78, v19, v80
	v_fmac_f32_e32 v60, v20, v62
	v_and_b32_e32 v63, 0xffff0000, v63
	v_lshlrev_b32_e32 v83, 16, v65
	s_waitcnt vmcnt(5)
	v_lshlrev_b32_e32 v84, 16, v66
	v_and_b32_e32 v66, 0xffff0000, v66
	v_fmac_f32_e32 v61, v14, v59
	v_fmac_f32_e32 v79, v21, v81
	v_fmac_f32_e32 v78, v23, v82
	v_fmac_f32_e32 v60, v24, v64
	v_and_b32_e32 v65, 0xffff0000, v65
	v_lshlrev_b32_e32 v85, 16, v67
	s_waitcnt vmcnt(4)
	v_lshlrev_b32_e32 v86, 16, v68
	v_and_b32_e32 v68, 0xffff0000, v68
	v_fmac_f32_e32 v61, v22, v63
	;; [unrolled: 9-line block ×6, first 2 shown]
	v_fmac_f32_e32 v79, v41, v91
	v_fmac_f32_e32 v78, v43, v92
	;; [unrolled: 1-line block ×3, first 2 shown]
	v_and_b32_e32 v75, 0xffff0000, v75
	v_lshlrev_b32_e32 v95, 16, v57
	v_fmac_f32_e32 v61, v42, v73
	v_fmac_f32_e32 v79, v45, v93
	;; [unrolled: 1-line block ×4, first 2 shown]
	v_and_b32_e32 v57, 0xffff0000, v57
	v_fmac_f32_e32 v61, v46, v75
	v_fmac_f32_e32 v79, v50, v95
	v_add_f32_e32 v56, v78, v60
	v_fmac_f32_e32 v61, v51, v57
	v_add_f32_e32 v56, v56, v79
	v_add_f32_e32 v56, v61, v56
	ds_bpermute_b32 v57, v52, v56
	s_and_saveexec_b64 s[38:39], vcc
	s_cbranch_execz .LBB183_9
; %bb.11:                               ;   in Loop: Header=BB183_10 Depth=1
	v_add_u32_e32 v58, s15, v53
	v_cvt_f32_i32_e32 v58, v58
	s_waitcnt lgkmcnt(0)
	v_add_f32_e32 v56, v56, v57
	v_cmp_gt_i32_e64 s[4:5], s33, v53
	v_max_f32_e32 v57, v48, v48
	v_mul_f32_e32 v58, s10, v58
	v_cndmask_b32_e64 v58, 0, v58, s[2:3]
	v_fmac_f32_e32 v58, s11, v56
	v_cndmask_b32_e64 v56, 0, v58, s[4:5]
	ds_write_b32 v54, v56
	v_max_f32_e32 v56, v57, v58
	v_cndmask_b32_e64 v48, v48, v56, s[4:5]
	s_branch .LBB183_9
.LBB183_12:
	s_or_b64 exec, exec, s[36:37]
.LBB183_13:
	s_or_b64 exec, exec, s[34:35]
	v_xor_b32_e32 v1, 32, v6
	v_cmp_lt_i32_e32 vcc, v1, v7
	v_cndmask_b32_e32 v1, v6, v1, vcc
	v_lshlrev_b32_e32 v2, 2, v1
	ds_bpermute_b32 v1, v2, v48
	v_xor_b32_e32 v8, 16, v6
	v_max_f32_e32 v3, v48, v48
	v_cmp_lt_i32_e32 vcc, v8, v7
	v_xor_b32_e32 v9, 8, v6
	s_waitcnt lgkmcnt(0)
	v_max_f32_e32 v1, v1, v1
	v_max_f32_e32 v1, v3, v1
	v_cndmask_b32_e32 v3, v6, v8, vcc
	v_lshlrev_b32_e32 v3, 2, v3
	ds_bpermute_b32 v8, v3, v1
	v_cmp_lt_i32_e32 vcc, v9, v7
	v_xor_b32_e32 v12, 4, v6
	v_xor_b32_e32 v14, 2, v6
	s_waitcnt lgkmcnt(0)
	v_max_f32_e32 v8, v8, v8
	v_max_f32_e32 v1, v1, v8
	v_cndmask_b32_e32 v8, v6, v9, vcc
	v_lshlrev_b32_e32 v8, 2, v8
	ds_bpermute_b32 v9, v8, v1
	v_cmp_lt_i32_e32 vcc, v12, v7
	s_waitcnt lgkmcnt(0)
	v_max_f32_e32 v9, v9, v9
	v_max_f32_e32 v1, v1, v9
	v_cndmask_b32_e32 v9, v6, v12, vcc
	v_lshlrev_b32_e32 v9, 2, v9
	ds_bpermute_b32 v12, v9, v1
	v_cmp_lt_i32_e32 vcc, v14, v7
	s_waitcnt lgkmcnt(0)
	v_max_f32_e32 v12, v12, v12
	v_max_f32_e32 v13, v1, v12
	v_cndmask_b32_e32 v1, v6, v14, vcc
	v_lshlrev_b32_e32 v18, 2, v1
	ds_bpermute_b32 v14, v18, v13
	v_and_b32_e32 v1, 63, v0
	v_cmp_eq_u32_e32 vcc, 0, v1
	v_lshlrev_b32_e32 v12, 2, v5
	s_and_saveexec_b64 s[2:3], vcc
	s_cbranch_execz .LBB183_15
; %bb.14:
	s_waitcnt lgkmcnt(0)
	v_max_f32_e32 v14, v14, v14
	v_max_f32_e32 v13, v13, v13
	;; [unrolled: 1-line block ×3, first 2 shown]
	ds_write_b32 v12, v13 offset:160
.LBB183_15:
	s_or_b64 exec, exec, s[2:3]
	v_cmp_gt_u32_e64 s[2:3], 2, v1
	s_waitcnt lgkmcnt(0)
	v_mov_b32_e32 v14, 0xff7fffff
	v_lshlrev_b32_e32 v13, 2, v1
	s_barrier
	s_and_saveexec_b64 s[4:5], s[2:3]
	s_cbranch_execz .LBB183_17
; %bb.16:
	ds_read_b32 v14, v13 offset:160
.LBB183_17:
	s_or_b64 exec, exec, s[4:5]
	v_xor_b32_e32 v15, 1, v6
	v_cmp_lt_i32_e64 s[4:5], v15, v7
	v_cndmask_b32_e64 v7, v6, v15, s[4:5]
	v_lshlrev_b32_e32 v19, 2, v7
	s_waitcnt lgkmcnt(0)
	ds_bpermute_b32 v7, v19, v14
	v_max_f32_e32 v14, v14, v14
	v_lshlrev_b32_e32 v6, 2, v6
	s_sub_i32 s4, s23, s9
	s_lshl_b32 s4, s4, 5
	s_waitcnt lgkmcnt(0)
	v_max_f32_e32 v7, v7, v7
	v_max_f32_e32 v14, v14, v7
	v_and_b32_e32 v7, 0xffffff00, v6
	ds_bpermute_b32 v6, v7, v14
	s_add_i32 s4, s4, s40
	s_min_i32 s15, s4, s33
	s_sub_i32 s9, s15, s40
	v_cmp_gt_i32_e64 s[4:5], s9, v0
	v_mov_b32_e32 v14, 0
	s_and_saveexec_b64 s[34:35], s[4:5]
	s_cbranch_execz .LBB183_21
; %bb.18:
	v_mov_b32_e32 v14, 0xb0
	v_lshl_add_u32 v15, v0, 2, v14
	s_mov_b64 s[36:37], 0
	v_mov_b32_e32 v14, 0
	v_mov_b32_e32 v16, v0
.LBB183_19:                             ; =>This Inner Loop Header: Depth=1
	ds_read_b32 v17, v15
	v_add_u32_e32 v16, 0x80, v16
	v_cmp_le_i32_e64 s[10:11], s9, v16
	s_or_b64 s[36:37], s[10:11], s[36:37]
	s_waitcnt lgkmcnt(0)
	v_sub_f32_e32 v17, v17, v6
	v_mul_f32_e32 v17, 0x3fb8aa3b, v17
	v_exp_f32_e32 v17, v17
	ds_write_b32 v15, v17
	v_add_f32_e32 v14, v14, v17
	v_add_u32_e32 v15, 0x200, v15
	s_andn2_b64 exec, exec, s[36:37]
	s_cbranch_execnz .LBB183_19
; %bb.20:
	s_or_b64 exec, exec, s[36:37]
.LBB183_21:
	s_or_b64 exec, exec, s[34:35]
	ds_bpermute_b32 v2, v2, v14
	s_waitcnt lgkmcnt(0)
	v_add_f32_e32 v2, v14, v2
	ds_bpermute_b32 v3, v3, v2
	s_waitcnt lgkmcnt(0)
	v_add_f32_e32 v2, v2, v3
	;; [unrolled: 3-line block ×6, first 2 shown]
	s_and_saveexec_b64 s[10:11], vcc
	s_cbranch_execz .LBB183_23
; %bb.22:
	ds_write_b32 v12, v2 offset:168
.LBB183_23:
	s_or_b64 exec, exec, s[10:11]
	s_waitcnt lgkmcnt(0)
	s_barrier
	s_and_saveexec_b64 s[10:11], s[2:3]
	s_cbranch_execz .LBB183_25
; %bb.24:
	ds_read_b32 v2, v13 offset:168
.LBB183_25:
	s_or_b64 exec, exec, s[10:11]
	s_waitcnt lgkmcnt(0)
	ds_bpermute_b32 v3, v19, v2
	s_waitcnt lgkmcnt(0)
	v_add_f32_e32 v2, v2, v3
	ds_bpermute_b32 v7, v7, v2
	s_and_saveexec_b64 s[2:3], s[4:5]
	s_cbranch_execz .LBB183_38
; %bb.26:
	s_waitcnt lgkmcnt(0)
	v_add_f32_e32 v2, 0x358637bd, v7
	v_div_scale_f32 v3, s[4:5], v2, v2, 1.0
	v_rcp_f32_e32 v8, v3
	v_div_scale_f32 v9, vcc, 1.0, v2, 1.0
	s_movk_i32 s4, 0x7f
	v_fma_f32 v12, -v3, v8, 1.0
	v_fmac_f32_e32 v8, v12, v8
	v_mul_f32_e32 v12, v9, v8
	v_fma_f32 v13, -v3, v12, v9
	v_fmac_f32_e32 v12, v13, v8
	v_fma_f32 v3, -v3, v12, v9
	v_div_fmas_f32 v3, v3, v8, v12
	v_div_fixup_f32 v2, v3, v2, 1.0
	v_xad_u32 v3, v0, -1, s15
	v_subrev_u32_e32 v8, s40, v3
	v_cmp_lt_u32_e32 vcc, s4, v8
	s_mov_b64 s[10:11], -1
	v_mov_b32_e32 v3, v0
	s_and_saveexec_b64 s[4:5], vcc
	s_cbranch_execz .LBB183_35
; %bb.27:
	v_lshrrev_b32_e32 v8, 7, v8
	v_add_u32_e32 v12, -1, v8
	v_lshrrev_b32_e32 v9, 1, v12
	v_mov_b32_e32 v3, v2
	v_add_u32_e32 v9, 1, v9
	v_cmp_lt_u32_e32 vcc, 13, v12
	v_mov_b32_e32 v14, 0
	s_and_saveexec_b64 s[10:11], vcc
	s_cbranch_execz .LBB183_31
; %bb.28:
	v_mov_b32_e32 v13, 0xb0
	v_and_b32_e32 v12, -8, v9
	v_lshl_add_u32 v13, v0, 2, v13
	s_mov_b32 s15, 0
	s_mov_b64 s[34:35], 0
.LBB183_29:                             ; =>This Inner Loop Header: Depth=1
	ds_read2st64_b32 v[14:15], v13 offset1:2
	ds_read2st64_b32 v[16:17], v13 offset0:4 offset1:6
	ds_read2st64_b32 v[20:21], v13 offset0:8 offset1:10
	;; [unrolled: 1-line block ×3, first 2 shown]
	v_add_u32_e32 v12, -8, v12
	s_waitcnt lgkmcnt(3)
	v_pk_mul_f32 v[14:15], v[2:3], v[14:15]
	s_waitcnt lgkmcnt(2)
	v_pk_mul_f32 v[16:17], v[2:3], v[16:17]
	ds_write2st64_b32 v13, v14, v15 offset1:2
	ds_write2st64_b32 v13, v16, v17 offset0:4 offset1:6
	ds_read2st64_b32 v[16:17], v13 offset0:16 offset1:18
	s_waitcnt lgkmcnt(4)
	v_pk_mul_f32 v[14:15], v[2:3], v[20:21]
	ds_write2st64_b32 v13, v14, v15 offset0:8 offset1:10
	s_waitcnt lgkmcnt(4)
	v_pk_mul_f32 v[14:15], v[2:3], v[22:23]
	ds_write2st64_b32 v13, v14, v15 offset0:12 offset1:14
	ds_read2st64_b32 v[14:15], v13 offset0:20 offset1:22
	s_waitcnt lgkmcnt(3)
	v_pk_mul_f32 v[16:17], v[2:3], v[16:17]
	ds_read2st64_b32 v[20:21], v13 offset0:24 offset1:26
	ds_write2st64_b32 v13, v16, v17 offset0:16 offset1:18
	ds_read2st64_b32 v[16:17], v13 offset0:28 offset1:30
	s_waitcnt lgkmcnt(3)
	v_pk_mul_f32 v[14:15], v[2:3], v[14:15]
	ds_write2st64_b32 v13, v14, v15 offset0:20 offset1:22
	s_waitcnt lgkmcnt(3)
	v_pk_mul_f32 v[14:15], v[2:3], v[20:21]
	ds_write2st64_b32 v13, v14, v15 offset0:24 offset1:26
	s_waitcnt lgkmcnt(2)
	v_pk_mul_f32 v[14:15], v[2:3], v[16:17]
	s_add_i32 s15, s15, 16
	v_cmp_eq_u32_e32 vcc, 0, v12
	ds_write2st64_b32 v13, v14, v15 offset0:28 offset1:30
	v_add_u32_e32 v13, 0x2000, v13
	s_or_b64 s[34:35], vcc, s[34:35]
	v_mov_b32_e32 v14, s15
	s_andn2_b64 exec, exec, s[34:35]
	s_cbranch_execnz .LBB183_29
; %bb.30:
	s_or_b64 exec, exec, s[34:35]
.LBB183_31:
	s_or_b64 exec, exec, s[10:11]
	v_and_b32_e32 v9, 7, v9
	v_cmp_ne_u32_e32 vcc, 0, v9
	s_and_saveexec_b64 s[10:11], vcc
	s_cbranch_execz .LBB183_34
; %bb.32:
	v_lshlrev_b32_e32 v12, 9, v14
	v_lshlrev_b32_e32 v13, 2, v0
	s_movk_i32 s15, 0xb0
	v_add3_u32 v12, v12, v13, s15
	s_mov_b64 s[34:35], 0
.LBB183_33:                             ; =>This Inner Loop Header: Depth=1
	ds_read2st64_b32 v[14:15], v12 offset1:2
	v_add_u32_e32 v9, -1, v9
	v_cmp_eq_u32_e32 vcc, 0, v9
	s_or_b64 s[34:35], vcc, s[34:35]
	s_waitcnt lgkmcnt(0)
	v_pk_mul_f32 v[14:15], v[2:3], v[14:15]
	ds_write2st64_b32 v12, v14, v15 offset1:2
	v_add_u32_e32 v12, 0x400, v12
	s_andn2_b64 exec, exec, s[34:35]
	s_cbranch_execnz .LBB183_33
.LBB183_34:
	s_or_b64 exec, exec, s[10:11]
	v_add_u32_e32 v8, 1, v8
	v_and_b32_e32 v9, 0x3fffffe, v8
	v_cmp_ne_u32_e32 vcc, v8, v9
	v_lshl_add_u32 v3, v9, 7, v0
	s_orn2_b64 s[10:11], vcc, exec
.LBB183_35:
	s_or_b64 exec, exec, s[4:5]
	s_and_b64 exec, exec, s[10:11]
	s_cbranch_execz .LBB183_38
; %bb.36:
	v_mov_b32_e32 v8, 0xb0
	v_lshl_add_u32 v8, v3, 2, v8
	s_mov_b64 s[4:5], 0
.LBB183_37:                             ; =>This Inner Loop Header: Depth=1
	ds_read_b32 v9, v8
	v_add_u32_e32 v3, 0x80, v3
	v_cmp_le_i32_e32 vcc, s9, v3
	s_or_b64 s[4:5], vcc, s[4:5]
	s_waitcnt lgkmcnt(0)
	v_mul_f32_e32 v9, v2, v9
	ds_write_b32 v8, v9
	v_add_u32_e32 v8, 0x200, v8
	s_andn2_b64 exec, exec, s[4:5]
	s_cbranch_execnz .LBB183_37
.LBB183_38:
	s_or_b64 exec, exec, s[2:3]
	v_cmp_eq_u32_e32 vcc, 0, v0
	s_waitcnt lgkmcnt(0)
	s_barrier
	s_and_saveexec_b64 s[2:3], vcc
	s_cbranch_execz .LBB183_40
; %bb.39:
	s_mul_i32 s4, s12, s20
	s_mul_i32 s4, s4, s21
	s_ashr_i32 s5, s4, 31
	s_lshl_b64 s[4:5], s[4:5], 2
	s_add_u32 s9, s18, s4
	s_mul_i32 s10, s12, s6
	s_addc_u32 s15, s19, s5
	s_ashr_i32 s11, s10, 31
	s_lshl_b64 s[10:11], s[10:11], 2
	s_add_u32 s6, s9, s10
	s_addc_u32 s15, s15, s11
	s_ashr_i32 s9, s8, 31
	s_lshl_b64 s[18:19], s[8:9], 2
	s_add_u32 s34, s6, s18
	s_addc_u32 s35, s15, s19
	s_add_u32 s4, s16, s4
	s_addc_u32 s5, s17, s5
	;; [unrolled: 2-line block ×3, first 2 shown]
	s_add_u32 s4, s4, s18
	v_mov_b32_e32 v2, 0
	s_addc_u32 s5, s5, s19
	global_store_dword v2, v6, s[34:35]
	global_store_dword v2, v7, s[4:5]
.LBB183_40:
	s_or_b64 exec, exec, s[2:3]
	v_mov_b32_e32 v21, 0
	v_and_b32_e32 v20, 3, v0
	v_mov_b32_e32 v13, 0
	v_mov_b32_e32 v12, 0
	;; [unrolled: 1-line block ×4, first 2 shown]
	s_and_saveexec_b64 s[2:3], s[0:1]
	s_cbranch_execz .LBB183_246
; %bb.41:
	s_ashr_i32 s15, s14, 31
	s_lshl_b64 s[0:1], s[14:15], 1
	s_add_u32 s10, s30, s0
	v_and_b32_e32 v3, 24, v4
	s_mov_b32 s9, s13
	s_addc_u32 s11, s31, s1
	s_add_i32 s13, s7, -1
	v_lshl_add_u32 v6, v5, 5, s40
	s_lshl_b64 s[0:1], s[28:29], 2
	v_add3_u32 v23, v6, v3, 7
	v_lshlrev_b32_e32 v3, 5, v20
	s_add_u32 s0, s26, s0
	v_and_b32_e32 v2, 0x1f8, v4
	v_lshl_or_b32 v3, v5, 7, v3
	v_lshlrev_b64 v[6:7], 2, v[10:11]
	s_addc_u32 s1, s27, s1
	v_or_b32_e32 v4, 0x800, v2
	v_add_u32_e32 v24, 0xb0, v3
	v_mov_b32_e32 v3, s1
	v_add_co_u32_e32 v16, vcc, s0, v6
	v_mov_b32_e32 v22, 0
	v_addc_co_u32_e32 v17, vcc, v3, v7, vcc
	s_mov_b64 s[4:5], 0
	s_mov_b32 s14, 0x7f800000
	s_movk_i32 s15, 0x7fff
	v_lshlrev_b32_e32 v11, 1, v2
	v_lshlrev_b32_e32 v25, 1, v4
	v_mov_b32_e32 v14, 0
	v_mov_b32_e32 v15, 0
	;; [unrolled: 1-line block ×5, first 2 shown]
	s_branch .LBB183_43
.LBB183_42:                             ;   in Loop: Header=BB183_43 Depth=1
	s_or_b64 exec, exec, s[0:1]
	v_and_b32_e32 v37, 0xffff0000, v38
	v_and_b32_e32 v39, 0xffff0000, v27
	;; [unrolled: 1-line block ×8, first 2 shown]
	v_pk_add_f32 v[8:9], v[8:9], v[38:39]
	v_pk_add_f32 v[26:27], v[28:29], v[36:37]
	v_add_f32_e32 v8, v8, v9
	v_add_f32_e32 v8, v8, v26
	v_add_f32_e32 v8, v8, v27
	v_and_b32_e32 v29, 0xffff0000, v52
	v_and_b32_e32 v28, 0xffff0000, v50
	v_and_b32_e32 v37, 0xffff0000, v51
	v_and_b32_e32 v36, 0xffff0000, v49
	v_add_f32_e32 v14, v14, v8
	v_and_b32_e32 v9, 0xffff0000, v56
	v_and_b32_e32 v8, 0xffff0000, v54
	v_and_b32_e32 v27, 0xffff0000, v55
	v_and_b32_e32 v26, 0xffff0000, v53
	v_pk_add_f32 v[28:29], v[36:37], v[28:29]
	v_pk_add_f32 v[8:9], v[26:27], v[8:9]
	v_add_f32_e32 v26, v28, v29
	v_add_f32_e32 v8, v26, v8
	v_add_f32_e32 v8, v8, v9
	v_and_b32_e32 v29, 0xffff0000, v60
	v_and_b32_e32 v28, 0xffff0000, v58
	v_and_b32_e32 v37, 0xffff0000, v59
	v_and_b32_e32 v36, 0xffff0000, v57
	v_add_f32_e32 v15, v15, v8
	v_and_b32_e32 v9, 0xffff0000, v64
	v_and_b32_e32 v8, 0xffff0000, v62
	v_and_b32_e32 v27, 0xffff0000, v63
	v_and_b32_e32 v26, 0xffff0000, v61
	;; [unrolled: 14-line block ×4, first 2 shown]
	v_pk_add_f32 v[2:3], v[2:3], v[8:9]
	v_pk_add_f32 v[4:5], v[4:5], v[6:7]
	v_add_f32_e32 v2, v2, v3
	v_add_u32_e32 v10, 2, v10
	v_add_f32_e32 v2, v2, v4
	v_cmp_le_i32_e32 vcc, s23, v10
	v_add_f32_e32 v2, v2, v5
	s_or_b64 s[4:5], vcc, s[4:5]
	v_add_co_u32_e32 v16, vcc, 8, v16
	v_add_f32_e32 v21, v21, v2
	v_add_u32_e32 v23, 64, v23
	v_add_u32_e32 v24, 0x100, v24
	v_addc_co_u32_e32 v17, vcc, 0, v17, vcc
	s_andn2_b64 exec, exec, s[4:5]
	s_cbranch_execz .LBB183_245
.LBB183_43:                             ; =>This Inner Loop Header: Depth=1
	global_load_dword v31, v[16:17], off
	ds_read2_b64 v[6:9], v24 offset1:1
	ds_read2_b64 v[2:5], v24 offset0:2 offset1:3
                                        ; implicit-def: $vgpr41
	s_waitcnt lgkmcnt(1)
	v_and_b32_e32 v26, 0x7f800000, v6
	v_cmp_ne_u32_e32 vcc, s14, v26
	s_and_saveexec_b64 s[0:1], vcc
	s_xor_b64 s[0:1], exec, s[0:1]
; %bb.44:                               ;   in Loop: Header=BB183_43 Depth=1
	v_bfe_u32 v26, v6, 16, 1
	v_add3_u32 v41, v6, v26, s15
; %bb.45:                               ;   in Loop: Header=BB183_43 Depth=1
	s_andn2_saveexec_b64 s[0:1], s[0:1]
; %bb.46:                               ;   in Loop: Header=BB183_43 Depth=1
	v_or_b32_e32 v26, 0x10000, v6
	v_cmp_eq_u32_sdwa vcc, v6, v22 src0_sel:WORD_0 src1_sel:DWORD
	v_cndmask_b32_e32 v41, v26, v6, vcc
; %bb.47:                               ;   in Loop: Header=BB183_43 Depth=1
	s_or_b64 exec, exec, s[0:1]
	v_and_b32_e32 v6, 0x7f800000, v7
	v_cmp_ne_u32_e32 vcc, s14, v6
                                        ; implicit-def: $vgpr42
	s_and_saveexec_b64 s[0:1], vcc
	s_xor_b64 s[0:1], exec, s[0:1]
; %bb.48:                               ;   in Loop: Header=BB183_43 Depth=1
	v_bfe_u32 v6, v7, 16, 1
	v_add3_u32 v42, v7, v6, s15
; %bb.49:                               ;   in Loop: Header=BB183_43 Depth=1
	s_andn2_saveexec_b64 s[0:1], s[0:1]
; %bb.50:                               ;   in Loop: Header=BB183_43 Depth=1
	v_or_b32_e32 v6, 0x10000, v7
	v_cmp_eq_u32_sdwa vcc, v7, v22 src0_sel:WORD_0 src1_sel:DWORD
	v_cndmask_b32_e32 v42, v6, v7, vcc
; %bb.51:                               ;   in Loop: Header=BB183_43 Depth=1
	s_or_b64 exec, exec, s[0:1]
	v_and_b32_e32 v6, 0x7f800000, v8
	v_cmp_ne_u32_e32 vcc, s14, v6
                                        ; implicit-def: $vgpr26
	s_and_saveexec_b64 s[0:1], vcc
	s_xor_b64 s[0:1], exec, s[0:1]
; %bb.52:                               ;   in Loop: Header=BB183_43 Depth=1
	v_bfe_u32 v6, v8, 16, 1
	v_add3_u32 v26, v8, v6, s15
; %bb.53:                               ;   in Loop: Header=BB183_43 Depth=1
	s_andn2_saveexec_b64 s[0:1], s[0:1]
; %bb.54:                               ;   in Loop: Header=BB183_43 Depth=1
	v_or_b32_e32 v6, 0x10000, v8
	v_cmp_eq_u32_sdwa vcc, v8, v22 src0_sel:WORD_0 src1_sel:DWORD
	v_cndmask_b32_e32 v26, v6, v8, vcc
; %bb.55:                               ;   in Loop: Header=BB183_43 Depth=1
	s_or_b64 exec, exec, s[0:1]
	v_and_b32_e32 v6, 0x7f800000, v9
	v_cmp_ne_u32_e32 vcc, s14, v6
                                        ; implicit-def: $vgpr27
	s_and_saveexec_b64 s[0:1], vcc
	s_xor_b64 s[0:1], exec, s[0:1]
; %bb.56:                               ;   in Loop: Header=BB183_43 Depth=1
	v_bfe_u32 v6, v9, 16, 1
	v_add3_u32 v27, v9, v6, s15
                                        ; implicit-def: $vgpr6_vgpr7_vgpr8_vgpr9
; %bb.57:                               ;   in Loop: Header=BB183_43 Depth=1
	s_andn2_saveexec_b64 s[0:1], s[0:1]
; %bb.58:                               ;   in Loop: Header=BB183_43 Depth=1
	v_or_b32_e32 v6, 0x10000, v9
	v_cmp_eq_u32_sdwa vcc, v9, v22 src0_sel:WORD_0 src1_sel:DWORD
	v_cndmask_b32_e32 v27, v6, v9, vcc
; %bb.59:                               ;   in Loop: Header=BB183_43 Depth=1
	s_or_b64 exec, exec, s[0:1]
	s_waitcnt lgkmcnt(0)
	v_and_b32_e32 v6, 0x7f800000, v2
	v_cmp_ne_u32_e32 vcc, s14, v6
                                        ; implicit-def: $vgpr28
	s_and_saveexec_b64 s[0:1], vcc
	s_xor_b64 s[0:1], exec, s[0:1]
; %bb.60:                               ;   in Loop: Header=BB183_43 Depth=1
	v_bfe_u32 v6, v2, 16, 1
	v_add3_u32 v28, v2, v6, s15
; %bb.61:                               ;   in Loop: Header=BB183_43 Depth=1
	s_andn2_saveexec_b64 s[0:1], s[0:1]
; %bb.62:                               ;   in Loop: Header=BB183_43 Depth=1
	v_or_b32_e32 v6, 0x10000, v2
	v_cmp_eq_u32_sdwa vcc, v2, v22 src0_sel:WORD_0 src1_sel:DWORD
	v_cndmask_b32_e32 v28, v6, v2, vcc
; %bb.63:                               ;   in Loop: Header=BB183_43 Depth=1
	s_or_b64 exec, exec, s[0:1]
	v_and_b32_e32 v2, 0x7f800000, v3
	v_cmp_ne_u32_e32 vcc, s14, v2
                                        ; implicit-def: $vgpr29
	s_and_saveexec_b64 s[0:1], vcc
	s_xor_b64 s[0:1], exec, s[0:1]
; %bb.64:                               ;   in Loop: Header=BB183_43 Depth=1
	v_bfe_u32 v2, v3, 16, 1
	v_add3_u32 v29, v3, v2, s15
; %bb.65:                               ;   in Loop: Header=BB183_43 Depth=1
	s_andn2_saveexec_b64 s[0:1], s[0:1]
; %bb.66:                               ;   in Loop: Header=BB183_43 Depth=1
	v_or_b32_e32 v2, 0x10000, v3
	v_cmp_eq_u32_sdwa vcc, v3, v22 src0_sel:WORD_0 src1_sel:DWORD
	v_cndmask_b32_e32 v29, v2, v3, vcc
; %bb.67:                               ;   in Loop: Header=BB183_43 Depth=1
	s_or_b64 exec, exec, s[0:1]
	v_and_b32_e32 v2, 0x7f800000, v4
	v_cmp_ne_u32_e32 vcc, s14, v2
                                        ; implicit-def: $vgpr30
	s_and_saveexec_b64 s[0:1], vcc
	s_xor_b64 s[0:1], exec, s[0:1]
; %bb.68:                               ;   in Loop: Header=BB183_43 Depth=1
	v_bfe_u32 v2, v4, 16, 1
	v_add3_u32 v30, v4, v2, s15
; %bb.69:                               ;   in Loop: Header=BB183_43 Depth=1
	s_andn2_saveexec_b64 s[0:1], s[0:1]
; %bb.70:                               ;   in Loop: Header=BB183_43 Depth=1
	v_or_b32_e32 v2, 0x10000, v4
	v_cmp_eq_u32_sdwa vcc, v4, v22 src0_sel:WORD_0 src1_sel:DWORD
	v_cndmask_b32_e32 v30, v2, v4, vcc
; %bb.71:                               ;   in Loop: Header=BB183_43 Depth=1
	s_or_b64 exec, exec, s[0:1]
	v_and_b32_e32 v2, 0x7f800000, v5
	v_cmp_ne_u32_e32 vcc, s14, v2
                                        ; implicit-def: $vgpr38
	s_and_saveexec_b64 s[0:1], vcc
	s_xor_b64 s[0:1], exec, s[0:1]
; %bb.72:                               ;   in Loop: Header=BB183_43 Depth=1
	v_bfe_u32 v2, v5, 16, 1
	v_add3_u32 v38, v5, v2, s15
                                        ; implicit-def: $vgpr2_vgpr3_vgpr4_vgpr5
; %bb.73:                               ;   in Loop: Header=BB183_43 Depth=1
	s_andn2_saveexec_b64 s[0:1], s[0:1]
; %bb.74:                               ;   in Loop: Header=BB183_43 Depth=1
	v_or_b32_e32 v2, 0x10000, v5
	v_cmp_eq_u32_sdwa vcc, v5, v22 src0_sel:WORD_0 src1_sel:DWORD
	v_cndmask_b32_e32 v38, v2, v5, vcc
; %bb.75:                               ;   in Loop: Header=BB183_43 Depth=1
	s_or_b64 exec, exec, s[0:1]
	s_waitcnt vmcnt(0)
	v_mad_i64_i32 v[2:3], s[0:1], v31, s9, 0
	v_lshlrev_b64 v[2:3], 1, v[2:3]
	v_mov_b32_e32 v4, s11
	v_add_co_u32_e32 v39, vcc, s10, v2
	v_addc_co_u32_e32 v40, vcc, v4, v3, vcc
	v_add_co_u32_e32 v6, vcc, v39, v11
	v_addc_co_u32_e32 v7, vcc, 0, v40, vcc
	global_load_dwordx4 v[2:5], v[6:7], off
	v_add_u32_e32 v31, -7, v23
	v_cmp_eq_u32_e32 vcc, s13, v10
	v_add_u32_e32 v37, -6, v23
	v_add_u32_e32 v35, -5, v23
	;; [unrolled: 1-line block ×6, first 2 shown]
	s_waitcnt vmcnt(0)
	v_lshrrev_b32_e32 v9, 16, v2
	v_lshrrev_b32_e32 v45, 16, v3
	;; [unrolled: 1-line block ×4, first 2 shown]
	s_and_saveexec_b64 s[6:7], vcc
	s_cbranch_execz .LBB183_77
; %bb.76:                               ;   in Loop: Header=BB183_43 Depth=1
	v_cmp_gt_i32_e64 s[0:1], s33, v31
	v_cndmask_b32_e64 v2, 0, v2, s[0:1]
	v_cmp_gt_i32_e64 s[0:1], s33, v37
	v_cndmask_b32_e64 v9, 0, v9, s[0:1]
	;; [unrolled: 2-line block ×8, first 2 shown]
.LBB183_77:                             ;   in Loop: Header=BB183_43 Depth=1
	s_or_b64 exec, exec, s[6:7]
	v_and_b32_e32 v41, 0xffff0000, v41
	v_lshlrev_b32_e32 v2, 16, v2
	v_mul_f32_e32 v2, v41, v2
	v_and_b32_e32 v8, 0x7f800000, v2
	v_cmp_ne_u32_e64 s[0:1], s14, v8
                                        ; implicit-def: $vgpr8
	s_and_saveexec_b64 s[6:7], s[0:1]
	s_xor_b64 s[0:1], exec, s[6:7]
; %bb.78:                               ;   in Loop: Header=BB183_43 Depth=1
	v_bfe_u32 v8, v2, 16, 1
	v_add3_u32 v8, v2, v8, s15
                                        ; implicit-def: $vgpr2
; %bb.79:                               ;   in Loop: Header=BB183_43 Depth=1
	s_andn2_saveexec_b64 s[6:7], s[0:1]
; %bb.80:                               ;   in Loop: Header=BB183_43 Depth=1
	v_or_b32_e32 v8, 0x10000, v2
	v_cmp_eq_u32_sdwa s[0:1], v2, v22 src0_sel:WORD_0 src1_sel:DWORD
	v_cndmask_b32_e64 v8, v8, v2, s[0:1]
; %bb.81:                               ;   in Loop: Header=BB183_43 Depth=1
	s_or_b64 exec, exec, s[6:7]
	v_and_b32_e32 v42, 0xffff0000, v42
	v_lshlrev_b32_e32 v2, 16, v9
	v_mul_f32_e32 v2, v42, v2
	v_and_b32_e32 v9, 0x7f800000, v2
	v_cmp_ne_u32_e64 s[0:1], s14, v9
                                        ; implicit-def: $vgpr9
	s_and_saveexec_b64 s[6:7], s[0:1]
	s_xor_b64 s[0:1], exec, s[6:7]
; %bb.82:                               ;   in Loop: Header=BB183_43 Depth=1
	v_bfe_u32 v9, v2, 16, 1
	v_add3_u32 v9, v2, v9, s15
                                        ; implicit-def: $vgpr2
; %bb.83:                               ;   in Loop: Header=BB183_43 Depth=1
	s_andn2_saveexec_b64 s[6:7], s[0:1]
; %bb.84:                               ;   in Loop: Header=BB183_43 Depth=1
	v_or_b32_e32 v9, 0x10000, v2
	v_cmp_eq_u32_sdwa s[0:1], v2, v22 src0_sel:WORD_0 src1_sel:DWORD
	v_cndmask_b32_e64 v9, v9, v2, s[0:1]
; %bb.85:                               ;   in Loop: Header=BB183_43 Depth=1
	s_or_b64 exec, exec, s[6:7]
	v_and_b32_e32 v43, 0xffff0000, v26
	v_lshlrev_b32_e32 v2, 16, v3
	v_mul_f32_e32 v2, v43, v2
	v_and_b32_e32 v3, 0x7f800000, v2
	v_cmp_ne_u32_e64 s[0:1], s14, v3
                                        ; implicit-def: $vgpr26
	s_and_saveexec_b64 s[6:7], s[0:1]
	s_xor_b64 s[0:1], exec, s[6:7]
; %bb.86:                               ;   in Loop: Header=BB183_43 Depth=1
	v_bfe_u32 v3, v2, 16, 1
	v_add3_u32 v26, v2, v3, s15
                                        ; implicit-def: $vgpr2
; %bb.87:                               ;   in Loop: Header=BB183_43 Depth=1
	s_andn2_saveexec_b64 s[6:7], s[0:1]
; %bb.88:                               ;   in Loop: Header=BB183_43 Depth=1
	v_or_b32_e32 v3, 0x10000, v2
	v_cmp_eq_u32_sdwa s[0:1], v2, v22 src0_sel:WORD_0 src1_sel:DWORD
	v_cndmask_b32_e64 v26, v3, v2, s[0:1]
; %bb.89:                               ;   in Loop: Header=BB183_43 Depth=1
	s_or_b64 exec, exec, s[6:7]
	v_and_b32_e32 v44, 0xffff0000, v27
	v_lshlrev_b32_e32 v2, 16, v45
	v_mul_f32_e32 v2, v44, v2
	v_and_b32_e32 v3, 0x7f800000, v2
	v_cmp_ne_u32_e64 s[0:1], s14, v3
                                        ; implicit-def: $vgpr27
	s_and_saveexec_b64 s[6:7], s[0:1]
	s_xor_b64 s[0:1], exec, s[6:7]
; %bb.90:                               ;   in Loop: Header=BB183_43 Depth=1
	v_bfe_u32 v3, v2, 16, 1
	v_add3_u32 v27, v2, v3, s15
                                        ; implicit-def: $vgpr2
; %bb.91:                               ;   in Loop: Header=BB183_43 Depth=1
	s_andn2_saveexec_b64 s[6:7], s[0:1]
; %bb.92:                               ;   in Loop: Header=BB183_43 Depth=1
	v_or_b32_e32 v3, 0x10000, v2
	v_cmp_eq_u32_sdwa s[0:1], v2, v22 src0_sel:WORD_0 src1_sel:DWORD
	v_cndmask_b32_e64 v27, v3, v2, s[0:1]
; %bb.93:                               ;   in Loop: Header=BB183_43 Depth=1
	s_or_b64 exec, exec, s[6:7]
	v_and_b32_e32 v45, 0xffff0000, v28
	v_lshlrev_b32_e32 v2, 16, v4
	v_mul_f32_e32 v2, v45, v2
	v_and_b32_e32 v3, 0x7f800000, v2
	v_cmp_ne_u32_e64 s[0:1], s14, v3
                                        ; implicit-def: $vgpr28
	s_and_saveexec_b64 s[6:7], s[0:1]
	s_xor_b64 s[0:1], exec, s[6:7]
; %bb.94:                               ;   in Loop: Header=BB183_43 Depth=1
	v_bfe_u32 v3, v2, 16, 1
	v_add3_u32 v28, v2, v3, s15
                                        ; implicit-def: $vgpr2
; %bb.95:                               ;   in Loop: Header=BB183_43 Depth=1
	s_andn2_saveexec_b64 s[6:7], s[0:1]
; %bb.96:                               ;   in Loop: Header=BB183_43 Depth=1
	v_or_b32_e32 v3, 0x10000, v2
	v_cmp_eq_u32_sdwa s[0:1], v2, v22 src0_sel:WORD_0 src1_sel:DWORD
	v_cndmask_b32_e64 v28, v3, v2, s[0:1]
; %bb.97:                               ;   in Loop: Header=BB183_43 Depth=1
	s_or_b64 exec, exec, s[6:7]
	v_and_b32_e32 v46, 0xffff0000, v29
	v_lshlrev_b32_e32 v2, 16, v47
	v_mul_f32_e32 v2, v46, v2
	v_and_b32_e32 v3, 0x7f800000, v2
	v_cmp_ne_u32_e64 s[0:1], s14, v3
                                        ; implicit-def: $vgpr29
	s_and_saveexec_b64 s[6:7], s[0:1]
	s_xor_b64 s[0:1], exec, s[6:7]
; %bb.98:                               ;   in Loop: Header=BB183_43 Depth=1
	v_bfe_u32 v3, v2, 16, 1
	v_add3_u32 v29, v2, v3, s15
                                        ; implicit-def: $vgpr2
; %bb.99:                               ;   in Loop: Header=BB183_43 Depth=1
	s_andn2_saveexec_b64 s[6:7], s[0:1]
; %bb.100:                              ;   in Loop: Header=BB183_43 Depth=1
	v_or_b32_e32 v3, 0x10000, v2
	v_cmp_eq_u32_sdwa s[0:1], v2, v22 src0_sel:WORD_0 src1_sel:DWORD
	v_cndmask_b32_e64 v29, v3, v2, s[0:1]
; %bb.101:                              ;   in Loop: Header=BB183_43 Depth=1
	s_or_b64 exec, exec, s[6:7]
	v_and_b32_e32 v47, 0xffff0000, v30
	v_lshlrev_b32_e32 v2, 16, v5
	v_mul_f32_e32 v2, v47, v2
	v_and_b32_e32 v3, 0x7f800000, v2
	v_cmp_ne_u32_e64 s[0:1], s14, v3
                                        ; implicit-def: $vgpr30
	s_and_saveexec_b64 s[6:7], s[0:1]
	s_xor_b64 s[0:1], exec, s[6:7]
; %bb.102:                              ;   in Loop: Header=BB183_43 Depth=1
	v_bfe_u32 v3, v2, 16, 1
	v_add3_u32 v30, v2, v3, s15
                                        ; implicit-def: $vgpr2
; %bb.103:                              ;   in Loop: Header=BB183_43 Depth=1
	s_andn2_saveexec_b64 s[6:7], s[0:1]
; %bb.104:                              ;   in Loop: Header=BB183_43 Depth=1
	v_or_b32_e32 v3, 0x10000, v2
	v_cmp_eq_u32_sdwa s[0:1], v2, v22 src0_sel:WORD_0 src1_sel:DWORD
	v_cndmask_b32_e64 v30, v3, v2, s[0:1]
; %bb.105:                              ;   in Loop: Header=BB183_43 Depth=1
	s_or_b64 exec, exec, s[6:7]
	v_and_b32_e32 v48, 0xffff0000, v38
	v_lshlrev_b32_e32 v2, 16, v49
	v_mul_f32_e32 v2, v48, v2
	v_and_b32_e32 v3, 0x7f800000, v2
	v_cmp_ne_u32_e64 s[0:1], s14, v3
                                        ; implicit-def: $vgpr38
	s_and_saveexec_b64 s[6:7], s[0:1]
	s_xor_b64 s[0:1], exec, s[6:7]
; %bb.106:                              ;   in Loop: Header=BB183_43 Depth=1
	v_bfe_u32 v3, v2, 16, 1
	v_add3_u32 v38, v2, v3, s15
                                        ; implicit-def: $vgpr2
; %bb.107:                              ;   in Loop: Header=BB183_43 Depth=1
	s_andn2_saveexec_b64 s[6:7], s[0:1]
; %bb.108:                              ;   in Loop: Header=BB183_43 Depth=1
	v_or_b32_e32 v3, 0x10000, v2
	v_cmp_eq_u32_sdwa s[0:1], v2, v22 src0_sel:WORD_0 src1_sel:DWORD
	v_cndmask_b32_e64 v38, v3, v2, s[0:1]
; %bb.109:                              ;   in Loop: Header=BB183_43 Depth=1
	s_or_b64 exec, exec, s[6:7]
	global_load_dwordx4 v[2:5], v[6:7], off offset:1024
	s_waitcnt vmcnt(0)
	v_lshrrev_b32_e32 v50, 16, v2
	v_lshrrev_b32_e32 v52, 16, v3
	;; [unrolled: 1-line block ×4, first 2 shown]
	s_and_saveexec_b64 s[6:7], vcc
	s_cbranch_execz .LBB183_111
; %bb.110:                              ;   in Loop: Header=BB183_43 Depth=1
	v_cmp_gt_i32_e64 s[0:1], s33, v31
	v_cndmask_b32_e64 v2, 0, v2, s[0:1]
	v_cmp_gt_i32_e64 s[0:1], s33, v37
	v_cndmask_b32_e64 v50, 0, v50, s[0:1]
	;; [unrolled: 2-line block ×8, first 2 shown]
.LBB183_111:                            ;   in Loop: Header=BB183_43 Depth=1
	s_or_b64 exec, exec, s[6:7]
	v_lshlrev_b32_e32 v2, 16, v2
	v_mul_f32_e32 v2, v41, v2
	v_and_b32_e32 v49, 0x7f800000, v2
	v_cmp_ne_u32_e64 s[0:1], s14, v49
                                        ; implicit-def: $vgpr49
	s_and_saveexec_b64 s[6:7], s[0:1]
	s_xor_b64 s[0:1], exec, s[6:7]
; %bb.112:                              ;   in Loop: Header=BB183_43 Depth=1
	v_bfe_u32 v49, v2, 16, 1
	v_add3_u32 v49, v2, v49, s15
                                        ; implicit-def: $vgpr2
; %bb.113:                              ;   in Loop: Header=BB183_43 Depth=1
	s_andn2_saveexec_b64 s[6:7], s[0:1]
; %bb.114:                              ;   in Loop: Header=BB183_43 Depth=1
	v_or_b32_e32 v49, 0x10000, v2
	v_cmp_eq_u32_sdwa s[0:1], v2, v22 src0_sel:WORD_0 src1_sel:DWORD
	v_cndmask_b32_e64 v49, v49, v2, s[0:1]
; %bb.115:                              ;   in Loop: Header=BB183_43 Depth=1
	s_or_b64 exec, exec, s[6:7]
	v_lshlrev_b32_e32 v2, 16, v50
	v_mul_f32_e32 v2, v42, v2
	v_and_b32_e32 v50, 0x7f800000, v2
	v_cmp_ne_u32_e64 s[0:1], s14, v50
                                        ; implicit-def: $vgpr50
	s_and_saveexec_b64 s[6:7], s[0:1]
	s_xor_b64 s[0:1], exec, s[6:7]
; %bb.116:                              ;   in Loop: Header=BB183_43 Depth=1
	v_bfe_u32 v50, v2, 16, 1
	v_add3_u32 v50, v2, v50, s15
                                        ; implicit-def: $vgpr2
; %bb.117:                              ;   in Loop: Header=BB183_43 Depth=1
	s_andn2_saveexec_b64 s[6:7], s[0:1]
; %bb.118:                              ;   in Loop: Header=BB183_43 Depth=1
	v_or_b32_e32 v50, 0x10000, v2
	v_cmp_eq_u32_sdwa s[0:1], v2, v22 src0_sel:WORD_0 src1_sel:DWORD
	v_cndmask_b32_e64 v50, v50, v2, s[0:1]
; %bb.119:                              ;   in Loop: Header=BB183_43 Depth=1
	s_or_b64 exec, exec, s[6:7]
	v_lshlrev_b32_e32 v2, 16, v3
	v_mul_f32_e32 v2, v43, v2
	v_and_b32_e32 v3, 0x7f800000, v2
	v_cmp_ne_u32_e64 s[0:1], s14, v3
                                        ; implicit-def: $vgpr51
	s_and_saveexec_b64 s[6:7], s[0:1]
	s_xor_b64 s[0:1], exec, s[6:7]
; %bb.120:                              ;   in Loop: Header=BB183_43 Depth=1
	v_bfe_u32 v3, v2, 16, 1
	v_add3_u32 v51, v2, v3, s15
                                        ; implicit-def: $vgpr2
; %bb.121:                              ;   in Loop: Header=BB183_43 Depth=1
	s_andn2_saveexec_b64 s[6:7], s[0:1]
; %bb.122:                              ;   in Loop: Header=BB183_43 Depth=1
	v_or_b32_e32 v3, 0x10000, v2
	v_cmp_eq_u32_sdwa s[0:1], v2, v22 src0_sel:WORD_0 src1_sel:DWORD
	v_cndmask_b32_e64 v51, v3, v2, s[0:1]
; %bb.123:                              ;   in Loop: Header=BB183_43 Depth=1
	s_or_b64 exec, exec, s[6:7]
	v_lshlrev_b32_e32 v2, 16, v52
	v_mul_f32_e32 v2, v44, v2
	v_and_b32_e32 v3, 0x7f800000, v2
	v_cmp_ne_u32_e64 s[0:1], s14, v3
                                        ; implicit-def: $vgpr52
	s_and_saveexec_b64 s[6:7], s[0:1]
	s_xor_b64 s[0:1], exec, s[6:7]
; %bb.124:                              ;   in Loop: Header=BB183_43 Depth=1
	v_bfe_u32 v3, v2, 16, 1
	v_add3_u32 v52, v2, v3, s15
                                        ; implicit-def: $vgpr2
; %bb.125:                              ;   in Loop: Header=BB183_43 Depth=1
	s_andn2_saveexec_b64 s[6:7], s[0:1]
; %bb.126:                              ;   in Loop: Header=BB183_43 Depth=1
	v_or_b32_e32 v3, 0x10000, v2
	v_cmp_eq_u32_sdwa s[0:1], v2, v22 src0_sel:WORD_0 src1_sel:DWORD
	v_cndmask_b32_e64 v52, v3, v2, s[0:1]
; %bb.127:                              ;   in Loop: Header=BB183_43 Depth=1
	s_or_b64 exec, exec, s[6:7]
	v_lshlrev_b32_e32 v2, 16, v4
	v_mul_f32_e32 v2, v45, v2
	v_and_b32_e32 v3, 0x7f800000, v2
	v_cmp_ne_u32_e64 s[0:1], s14, v3
                                        ; implicit-def: $vgpr53
	s_and_saveexec_b64 s[6:7], s[0:1]
	s_xor_b64 s[0:1], exec, s[6:7]
; %bb.128:                              ;   in Loop: Header=BB183_43 Depth=1
	v_bfe_u32 v3, v2, 16, 1
	v_add3_u32 v53, v2, v3, s15
                                        ; implicit-def: $vgpr2
; %bb.129:                              ;   in Loop: Header=BB183_43 Depth=1
	s_andn2_saveexec_b64 s[6:7], s[0:1]
; %bb.130:                              ;   in Loop: Header=BB183_43 Depth=1
	v_or_b32_e32 v3, 0x10000, v2
	v_cmp_eq_u32_sdwa s[0:1], v2, v22 src0_sel:WORD_0 src1_sel:DWORD
	v_cndmask_b32_e64 v53, v3, v2, s[0:1]
; %bb.131:                              ;   in Loop: Header=BB183_43 Depth=1
	s_or_b64 exec, exec, s[6:7]
	v_lshlrev_b32_e32 v2, 16, v54
	v_mul_f32_e32 v2, v46, v2
	v_and_b32_e32 v3, 0x7f800000, v2
	v_cmp_ne_u32_e64 s[0:1], s14, v3
                                        ; implicit-def: $vgpr54
	s_and_saveexec_b64 s[6:7], s[0:1]
	s_xor_b64 s[0:1], exec, s[6:7]
; %bb.132:                              ;   in Loop: Header=BB183_43 Depth=1
	v_bfe_u32 v3, v2, 16, 1
	v_add3_u32 v54, v2, v3, s15
                                        ; implicit-def: $vgpr2
; %bb.133:                              ;   in Loop: Header=BB183_43 Depth=1
	s_andn2_saveexec_b64 s[6:7], s[0:1]
; %bb.134:                              ;   in Loop: Header=BB183_43 Depth=1
	v_or_b32_e32 v3, 0x10000, v2
	v_cmp_eq_u32_sdwa s[0:1], v2, v22 src0_sel:WORD_0 src1_sel:DWORD
	v_cndmask_b32_e64 v54, v3, v2, s[0:1]
; %bb.135:                              ;   in Loop: Header=BB183_43 Depth=1
	s_or_b64 exec, exec, s[6:7]
	v_lshlrev_b32_e32 v2, 16, v5
	v_mul_f32_e32 v2, v47, v2
	v_and_b32_e32 v3, 0x7f800000, v2
	v_cmp_ne_u32_e64 s[0:1], s14, v3
                                        ; implicit-def: $vgpr55
	s_and_saveexec_b64 s[6:7], s[0:1]
	s_xor_b64 s[0:1], exec, s[6:7]
; %bb.136:                              ;   in Loop: Header=BB183_43 Depth=1
	v_bfe_u32 v3, v2, 16, 1
	v_add3_u32 v55, v2, v3, s15
                                        ; implicit-def: $vgpr2
; %bb.137:                              ;   in Loop: Header=BB183_43 Depth=1
	s_andn2_saveexec_b64 s[6:7], s[0:1]
; %bb.138:                              ;   in Loop: Header=BB183_43 Depth=1
	v_or_b32_e32 v3, 0x10000, v2
	v_cmp_eq_u32_sdwa s[0:1], v2, v22 src0_sel:WORD_0 src1_sel:DWORD
	v_cndmask_b32_e64 v55, v3, v2, s[0:1]
; %bb.139:                              ;   in Loop: Header=BB183_43 Depth=1
	s_or_b64 exec, exec, s[6:7]
	v_lshlrev_b32_e32 v2, 16, v56
	v_mul_f32_e32 v2, v48, v2
	v_and_b32_e32 v3, 0x7f800000, v2
	v_cmp_ne_u32_e64 s[0:1], s14, v3
                                        ; implicit-def: $vgpr56
	s_and_saveexec_b64 s[6:7], s[0:1]
	s_xor_b64 s[0:1], exec, s[6:7]
; %bb.140:                              ;   in Loop: Header=BB183_43 Depth=1
	v_bfe_u32 v3, v2, 16, 1
	v_add3_u32 v56, v2, v3, s15
                                        ; implicit-def: $vgpr2
; %bb.141:                              ;   in Loop: Header=BB183_43 Depth=1
	s_andn2_saveexec_b64 s[6:7], s[0:1]
; %bb.142:                              ;   in Loop: Header=BB183_43 Depth=1
	v_or_b32_e32 v3, 0x10000, v2
	v_cmp_eq_u32_sdwa s[0:1], v2, v22 src0_sel:WORD_0 src1_sel:DWORD
	v_cndmask_b32_e64 v56, v3, v2, s[0:1]
; %bb.143:                              ;   in Loop: Header=BB183_43 Depth=1
	s_or_b64 exec, exec, s[6:7]
	global_load_dwordx4 v[2:5], v[6:7], off offset:2048
	s_waitcnt vmcnt(0)
	v_lshrrev_b32_e32 v58, 16, v2
	v_lshrrev_b32_e32 v60, 16, v3
	;; [unrolled: 1-line block ×4, first 2 shown]
	s_and_saveexec_b64 s[6:7], vcc
	s_cbranch_execz .LBB183_145
; %bb.144:                              ;   in Loop: Header=BB183_43 Depth=1
	v_cmp_gt_i32_e64 s[0:1], s33, v31
	v_cndmask_b32_e64 v2, 0, v2, s[0:1]
	v_cmp_gt_i32_e64 s[0:1], s33, v37
	v_cndmask_b32_e64 v58, 0, v58, s[0:1]
	;; [unrolled: 2-line block ×8, first 2 shown]
.LBB183_145:                            ;   in Loop: Header=BB183_43 Depth=1
	s_or_b64 exec, exec, s[6:7]
	v_lshlrev_b32_e32 v2, 16, v2
	v_mul_f32_e32 v2, v41, v2
	v_and_b32_e32 v57, 0x7f800000, v2
	v_cmp_ne_u32_e64 s[0:1], s14, v57
                                        ; implicit-def: $vgpr57
	s_and_saveexec_b64 s[6:7], s[0:1]
	s_xor_b64 s[0:1], exec, s[6:7]
; %bb.146:                              ;   in Loop: Header=BB183_43 Depth=1
	v_bfe_u32 v57, v2, 16, 1
	v_add3_u32 v57, v2, v57, s15
                                        ; implicit-def: $vgpr2
; %bb.147:                              ;   in Loop: Header=BB183_43 Depth=1
	s_andn2_saveexec_b64 s[6:7], s[0:1]
; %bb.148:                              ;   in Loop: Header=BB183_43 Depth=1
	v_or_b32_e32 v57, 0x10000, v2
	v_cmp_eq_u32_sdwa s[0:1], v2, v22 src0_sel:WORD_0 src1_sel:DWORD
	v_cndmask_b32_e64 v57, v57, v2, s[0:1]
; %bb.149:                              ;   in Loop: Header=BB183_43 Depth=1
	s_or_b64 exec, exec, s[6:7]
	v_lshlrev_b32_e32 v2, 16, v58
	v_mul_f32_e32 v2, v42, v2
	v_and_b32_e32 v58, 0x7f800000, v2
	v_cmp_ne_u32_e64 s[0:1], s14, v58
                                        ; implicit-def: $vgpr58
	s_and_saveexec_b64 s[6:7], s[0:1]
	s_xor_b64 s[0:1], exec, s[6:7]
; %bb.150:                              ;   in Loop: Header=BB183_43 Depth=1
	v_bfe_u32 v58, v2, 16, 1
	v_add3_u32 v58, v2, v58, s15
                                        ; implicit-def: $vgpr2
; %bb.151:                              ;   in Loop: Header=BB183_43 Depth=1
	s_andn2_saveexec_b64 s[6:7], s[0:1]
; %bb.152:                              ;   in Loop: Header=BB183_43 Depth=1
	v_or_b32_e32 v58, 0x10000, v2
	v_cmp_eq_u32_sdwa s[0:1], v2, v22 src0_sel:WORD_0 src1_sel:DWORD
	v_cndmask_b32_e64 v58, v58, v2, s[0:1]
; %bb.153:                              ;   in Loop: Header=BB183_43 Depth=1
	s_or_b64 exec, exec, s[6:7]
	v_lshlrev_b32_e32 v2, 16, v3
	v_mul_f32_e32 v2, v43, v2
	v_and_b32_e32 v3, 0x7f800000, v2
	v_cmp_ne_u32_e64 s[0:1], s14, v3
                                        ; implicit-def: $vgpr59
	s_and_saveexec_b64 s[6:7], s[0:1]
	s_xor_b64 s[0:1], exec, s[6:7]
; %bb.154:                              ;   in Loop: Header=BB183_43 Depth=1
	v_bfe_u32 v3, v2, 16, 1
	v_add3_u32 v59, v2, v3, s15
                                        ; implicit-def: $vgpr2
; %bb.155:                              ;   in Loop: Header=BB183_43 Depth=1
	s_andn2_saveexec_b64 s[6:7], s[0:1]
; %bb.156:                              ;   in Loop: Header=BB183_43 Depth=1
	v_or_b32_e32 v3, 0x10000, v2
	v_cmp_eq_u32_sdwa s[0:1], v2, v22 src0_sel:WORD_0 src1_sel:DWORD
	v_cndmask_b32_e64 v59, v3, v2, s[0:1]
; %bb.157:                              ;   in Loop: Header=BB183_43 Depth=1
	s_or_b64 exec, exec, s[6:7]
	v_lshlrev_b32_e32 v2, 16, v60
	v_mul_f32_e32 v2, v44, v2
	v_and_b32_e32 v3, 0x7f800000, v2
	v_cmp_ne_u32_e64 s[0:1], s14, v3
                                        ; implicit-def: $vgpr60
	s_and_saveexec_b64 s[6:7], s[0:1]
	s_xor_b64 s[0:1], exec, s[6:7]
; %bb.158:                              ;   in Loop: Header=BB183_43 Depth=1
	v_bfe_u32 v3, v2, 16, 1
	v_add3_u32 v60, v2, v3, s15
                                        ; implicit-def: $vgpr2
; %bb.159:                              ;   in Loop: Header=BB183_43 Depth=1
	s_andn2_saveexec_b64 s[6:7], s[0:1]
; %bb.160:                              ;   in Loop: Header=BB183_43 Depth=1
	v_or_b32_e32 v3, 0x10000, v2
	v_cmp_eq_u32_sdwa s[0:1], v2, v22 src0_sel:WORD_0 src1_sel:DWORD
	v_cndmask_b32_e64 v60, v3, v2, s[0:1]
; %bb.161:                              ;   in Loop: Header=BB183_43 Depth=1
	s_or_b64 exec, exec, s[6:7]
	v_lshlrev_b32_e32 v2, 16, v4
	v_mul_f32_e32 v2, v45, v2
	v_and_b32_e32 v3, 0x7f800000, v2
	v_cmp_ne_u32_e64 s[0:1], s14, v3
                                        ; implicit-def: $vgpr61
	s_and_saveexec_b64 s[6:7], s[0:1]
	s_xor_b64 s[0:1], exec, s[6:7]
; %bb.162:                              ;   in Loop: Header=BB183_43 Depth=1
	v_bfe_u32 v3, v2, 16, 1
	v_add3_u32 v61, v2, v3, s15
                                        ; implicit-def: $vgpr2
; %bb.163:                              ;   in Loop: Header=BB183_43 Depth=1
	s_andn2_saveexec_b64 s[6:7], s[0:1]
; %bb.164:                              ;   in Loop: Header=BB183_43 Depth=1
	v_or_b32_e32 v3, 0x10000, v2
	v_cmp_eq_u32_sdwa s[0:1], v2, v22 src0_sel:WORD_0 src1_sel:DWORD
	v_cndmask_b32_e64 v61, v3, v2, s[0:1]
; %bb.165:                              ;   in Loop: Header=BB183_43 Depth=1
	s_or_b64 exec, exec, s[6:7]
	v_lshlrev_b32_e32 v2, 16, v62
	v_mul_f32_e32 v2, v46, v2
	v_and_b32_e32 v3, 0x7f800000, v2
	v_cmp_ne_u32_e64 s[0:1], s14, v3
                                        ; implicit-def: $vgpr62
	s_and_saveexec_b64 s[6:7], s[0:1]
	s_xor_b64 s[0:1], exec, s[6:7]
; %bb.166:                              ;   in Loop: Header=BB183_43 Depth=1
	v_bfe_u32 v3, v2, 16, 1
	v_add3_u32 v62, v2, v3, s15
                                        ; implicit-def: $vgpr2
; %bb.167:                              ;   in Loop: Header=BB183_43 Depth=1
	s_andn2_saveexec_b64 s[6:7], s[0:1]
; %bb.168:                              ;   in Loop: Header=BB183_43 Depth=1
	v_or_b32_e32 v3, 0x10000, v2
	v_cmp_eq_u32_sdwa s[0:1], v2, v22 src0_sel:WORD_0 src1_sel:DWORD
	v_cndmask_b32_e64 v62, v3, v2, s[0:1]
; %bb.169:                              ;   in Loop: Header=BB183_43 Depth=1
	s_or_b64 exec, exec, s[6:7]
	v_lshlrev_b32_e32 v2, 16, v5
	v_mul_f32_e32 v2, v47, v2
	v_and_b32_e32 v3, 0x7f800000, v2
	v_cmp_ne_u32_e64 s[0:1], s14, v3
                                        ; implicit-def: $vgpr63
	s_and_saveexec_b64 s[6:7], s[0:1]
	s_xor_b64 s[0:1], exec, s[6:7]
; %bb.170:                              ;   in Loop: Header=BB183_43 Depth=1
	v_bfe_u32 v3, v2, 16, 1
	v_add3_u32 v63, v2, v3, s15
                                        ; implicit-def: $vgpr2
; %bb.171:                              ;   in Loop: Header=BB183_43 Depth=1
	s_andn2_saveexec_b64 s[6:7], s[0:1]
; %bb.172:                              ;   in Loop: Header=BB183_43 Depth=1
	v_or_b32_e32 v3, 0x10000, v2
	v_cmp_eq_u32_sdwa s[0:1], v2, v22 src0_sel:WORD_0 src1_sel:DWORD
	v_cndmask_b32_e64 v63, v3, v2, s[0:1]
; %bb.173:                              ;   in Loop: Header=BB183_43 Depth=1
	s_or_b64 exec, exec, s[6:7]
	v_lshlrev_b32_e32 v2, 16, v64
	v_mul_f32_e32 v2, v48, v2
	v_and_b32_e32 v3, 0x7f800000, v2
	v_cmp_ne_u32_e64 s[0:1], s14, v3
                                        ; implicit-def: $vgpr64
	s_and_saveexec_b64 s[6:7], s[0:1]
	s_xor_b64 s[0:1], exec, s[6:7]
; %bb.174:                              ;   in Loop: Header=BB183_43 Depth=1
	v_bfe_u32 v3, v2, 16, 1
	v_add3_u32 v64, v2, v3, s15
                                        ; implicit-def: $vgpr2
; %bb.175:                              ;   in Loop: Header=BB183_43 Depth=1
	s_andn2_saveexec_b64 s[6:7], s[0:1]
; %bb.176:                              ;   in Loop: Header=BB183_43 Depth=1
	v_or_b32_e32 v3, 0x10000, v2
	v_cmp_eq_u32_sdwa s[0:1], v2, v22 src0_sel:WORD_0 src1_sel:DWORD
	v_cndmask_b32_e64 v64, v3, v2, s[0:1]
; %bb.177:                              ;   in Loop: Header=BB183_43 Depth=1
	s_or_b64 exec, exec, s[6:7]
	global_load_dwordx4 v[2:5], v[6:7], off offset:3072
	s_waitcnt vmcnt(0)
	v_lshrrev_b32_e32 v7, 16, v2
	v_lshrrev_b32_e32 v66, 16, v3
	;; [unrolled: 1-line block ×4, first 2 shown]
	s_and_saveexec_b64 s[6:7], vcc
	s_cbranch_execz .LBB183_179
; %bb.178:                              ;   in Loop: Header=BB183_43 Depth=1
	v_cmp_gt_i32_e64 s[0:1], s33, v31
	v_cndmask_b32_e64 v2, 0, v2, s[0:1]
	v_cmp_gt_i32_e64 s[0:1], s33, v37
	v_cndmask_b32_e64 v7, 0, v7, s[0:1]
	;; [unrolled: 2-line block ×8, first 2 shown]
.LBB183_179:                            ;   in Loop: Header=BB183_43 Depth=1
	s_or_b64 exec, exec, s[6:7]
	v_lshlrev_b32_e32 v2, 16, v2
	v_mul_f32_e32 v2, v41, v2
	v_and_b32_e32 v6, 0x7f800000, v2
	v_cmp_ne_u32_e64 s[0:1], s14, v6
                                        ; implicit-def: $vgpr6
	s_and_saveexec_b64 s[6:7], s[0:1]
	s_xor_b64 s[0:1], exec, s[6:7]
; %bb.180:                              ;   in Loop: Header=BB183_43 Depth=1
	v_bfe_u32 v6, v2, 16, 1
	v_add3_u32 v6, v2, v6, s15
                                        ; implicit-def: $vgpr2
; %bb.181:                              ;   in Loop: Header=BB183_43 Depth=1
	s_andn2_saveexec_b64 s[6:7], s[0:1]
; %bb.182:                              ;   in Loop: Header=BB183_43 Depth=1
	v_or_b32_e32 v6, 0x10000, v2
	v_cmp_eq_u32_sdwa s[0:1], v2, v22 src0_sel:WORD_0 src1_sel:DWORD
	v_cndmask_b32_e64 v6, v6, v2, s[0:1]
; %bb.183:                              ;   in Loop: Header=BB183_43 Depth=1
	s_or_b64 exec, exec, s[6:7]
	v_lshlrev_b32_e32 v2, 16, v7
	v_mul_f32_e32 v2, v42, v2
	v_and_b32_e32 v7, 0x7f800000, v2
	v_cmp_ne_u32_e64 s[0:1], s14, v7
                                        ; implicit-def: $vgpr7
	s_and_saveexec_b64 s[6:7], s[0:1]
	s_xor_b64 s[0:1], exec, s[6:7]
; %bb.184:                              ;   in Loop: Header=BB183_43 Depth=1
	v_bfe_u32 v7, v2, 16, 1
	v_add3_u32 v7, v2, v7, s15
                                        ; implicit-def: $vgpr2
; %bb.185:                              ;   in Loop: Header=BB183_43 Depth=1
	s_andn2_saveexec_b64 s[6:7], s[0:1]
; %bb.186:                              ;   in Loop: Header=BB183_43 Depth=1
	v_or_b32_e32 v7, 0x10000, v2
	v_cmp_eq_u32_sdwa s[0:1], v2, v22 src0_sel:WORD_0 src1_sel:DWORD
	v_cndmask_b32_e64 v7, v7, v2, s[0:1]
; %bb.187:                              ;   in Loop: Header=BB183_43 Depth=1
	s_or_b64 exec, exec, s[6:7]
	v_lshlrev_b32_e32 v2, 16, v3
	v_mul_f32_e32 v2, v43, v2
	v_and_b32_e32 v3, 0x7f800000, v2
	v_cmp_ne_u32_e64 s[0:1], s14, v3
                                        ; implicit-def: $vgpr65
	s_and_saveexec_b64 s[6:7], s[0:1]
	s_xor_b64 s[0:1], exec, s[6:7]
; %bb.188:                              ;   in Loop: Header=BB183_43 Depth=1
	v_bfe_u32 v3, v2, 16, 1
	v_add3_u32 v65, v2, v3, s15
                                        ; implicit-def: $vgpr2
; %bb.189:                              ;   in Loop: Header=BB183_43 Depth=1
	s_andn2_saveexec_b64 s[6:7], s[0:1]
; %bb.190:                              ;   in Loop: Header=BB183_43 Depth=1
	v_or_b32_e32 v3, 0x10000, v2
	v_cmp_eq_u32_sdwa s[0:1], v2, v22 src0_sel:WORD_0 src1_sel:DWORD
	v_cndmask_b32_e64 v65, v3, v2, s[0:1]
; %bb.191:                              ;   in Loop: Header=BB183_43 Depth=1
	s_or_b64 exec, exec, s[6:7]
	v_lshlrev_b32_e32 v2, 16, v66
	v_mul_f32_e32 v2, v44, v2
	v_and_b32_e32 v3, 0x7f800000, v2
	v_cmp_ne_u32_e64 s[0:1], s14, v3
                                        ; implicit-def: $vgpr66
	s_and_saveexec_b64 s[6:7], s[0:1]
	s_xor_b64 s[0:1], exec, s[6:7]
; %bb.192:                              ;   in Loop: Header=BB183_43 Depth=1
	v_bfe_u32 v3, v2, 16, 1
	v_add3_u32 v66, v2, v3, s15
                                        ; implicit-def: $vgpr2
; %bb.193:                              ;   in Loop: Header=BB183_43 Depth=1
	s_andn2_saveexec_b64 s[6:7], s[0:1]
; %bb.194:                              ;   in Loop: Header=BB183_43 Depth=1
	v_or_b32_e32 v3, 0x10000, v2
	v_cmp_eq_u32_sdwa s[0:1], v2, v22 src0_sel:WORD_0 src1_sel:DWORD
	v_cndmask_b32_e64 v66, v3, v2, s[0:1]
; %bb.195:                              ;   in Loop: Header=BB183_43 Depth=1
	s_or_b64 exec, exec, s[6:7]
	v_lshlrev_b32_e32 v2, 16, v4
	v_mul_f32_e32 v2, v45, v2
	v_and_b32_e32 v3, 0x7f800000, v2
	v_cmp_ne_u32_e64 s[0:1], s14, v3
                                        ; implicit-def: $vgpr67
	s_and_saveexec_b64 s[6:7], s[0:1]
	s_xor_b64 s[0:1], exec, s[6:7]
; %bb.196:                              ;   in Loop: Header=BB183_43 Depth=1
	v_bfe_u32 v3, v2, 16, 1
	v_add3_u32 v67, v2, v3, s15
                                        ; implicit-def: $vgpr2
; %bb.197:                              ;   in Loop: Header=BB183_43 Depth=1
	s_andn2_saveexec_b64 s[6:7], s[0:1]
; %bb.198:                              ;   in Loop: Header=BB183_43 Depth=1
	v_or_b32_e32 v3, 0x10000, v2
	v_cmp_eq_u32_sdwa s[0:1], v2, v22 src0_sel:WORD_0 src1_sel:DWORD
	v_cndmask_b32_e64 v67, v3, v2, s[0:1]
; %bb.199:                              ;   in Loop: Header=BB183_43 Depth=1
	s_or_b64 exec, exec, s[6:7]
	v_lshlrev_b32_e32 v2, 16, v68
	v_mul_f32_e32 v2, v46, v2
	v_and_b32_e32 v3, 0x7f800000, v2
	v_cmp_ne_u32_e64 s[0:1], s14, v3
                                        ; implicit-def: $vgpr68
	s_and_saveexec_b64 s[6:7], s[0:1]
	s_xor_b64 s[0:1], exec, s[6:7]
; %bb.200:                              ;   in Loop: Header=BB183_43 Depth=1
	v_bfe_u32 v3, v2, 16, 1
	v_add3_u32 v68, v2, v3, s15
                                        ; implicit-def: $vgpr2
; %bb.201:                              ;   in Loop: Header=BB183_43 Depth=1
	s_andn2_saveexec_b64 s[6:7], s[0:1]
; %bb.202:                              ;   in Loop: Header=BB183_43 Depth=1
	v_or_b32_e32 v3, 0x10000, v2
	v_cmp_eq_u32_sdwa s[0:1], v2, v22 src0_sel:WORD_0 src1_sel:DWORD
	v_cndmask_b32_e64 v68, v3, v2, s[0:1]
; %bb.203:                              ;   in Loop: Header=BB183_43 Depth=1
	s_or_b64 exec, exec, s[6:7]
	v_lshlrev_b32_e32 v2, 16, v5
	v_mul_f32_e32 v2, v47, v2
	v_and_b32_e32 v3, 0x7f800000, v2
	v_cmp_ne_u32_e64 s[0:1], s14, v3
                                        ; implicit-def: $vgpr69
	s_and_saveexec_b64 s[6:7], s[0:1]
	s_xor_b64 s[0:1], exec, s[6:7]
; %bb.204:                              ;   in Loop: Header=BB183_43 Depth=1
	v_bfe_u32 v3, v2, 16, 1
	v_add3_u32 v69, v2, v3, s15
                                        ; implicit-def: $vgpr2
; %bb.205:                              ;   in Loop: Header=BB183_43 Depth=1
	s_andn2_saveexec_b64 s[6:7], s[0:1]
; %bb.206:                              ;   in Loop: Header=BB183_43 Depth=1
	v_or_b32_e32 v3, 0x10000, v2
	v_cmp_eq_u32_sdwa s[0:1], v2, v22 src0_sel:WORD_0 src1_sel:DWORD
	v_cndmask_b32_e64 v69, v3, v2, s[0:1]
; %bb.207:                              ;   in Loop: Header=BB183_43 Depth=1
	s_or_b64 exec, exec, s[6:7]
	v_lshlrev_b32_e32 v2, 16, v70
	v_mul_f32_e32 v2, v48, v2
	v_and_b32_e32 v3, 0x7f800000, v2
	v_cmp_ne_u32_e64 s[0:1], s14, v3
                                        ; implicit-def: $vgpr70
	s_and_saveexec_b64 s[6:7], s[0:1]
	s_xor_b64 s[0:1], exec, s[6:7]
; %bb.208:                              ;   in Loop: Header=BB183_43 Depth=1
	v_bfe_u32 v3, v2, 16, 1
	v_add3_u32 v70, v2, v3, s15
                                        ; implicit-def: $vgpr2
; %bb.209:                              ;   in Loop: Header=BB183_43 Depth=1
	s_andn2_saveexec_b64 s[6:7], s[0:1]
; %bb.210:                              ;   in Loop: Header=BB183_43 Depth=1
	v_or_b32_e32 v3, 0x10000, v2
	v_cmp_eq_u32_sdwa s[0:1], v2, v22 src0_sel:WORD_0 src1_sel:DWORD
	v_cndmask_b32_e64 v70, v3, v2, s[0:1]
; %bb.211:                              ;   in Loop: Header=BB183_43 Depth=1
	s_or_b64 exec, exec, s[6:7]
	v_add_co_u32_e64 v2, s[0:1], v39, v25
	v_addc_co_u32_e64 v3, s[0:1], 0, v40, s[0:1]
	global_load_dwordx4 v[2:5], v[2:3], off
	s_waitcnt vmcnt(0)
	v_lshrrev_b32_e32 v72, 16, v2
	v_lshrrev_b32_e32 v71, 16, v3
	;; [unrolled: 1-line block ×4, first 2 shown]
	s_and_saveexec_b64 s[0:1], vcc
	s_cbranch_execz .LBB183_213
; %bb.212:                              ;   in Loop: Header=BB183_43 Depth=1
	v_cmp_gt_i32_e32 vcc, s33, v31
	v_cndmask_b32_e32 v2, 0, v2, vcc
	v_cmp_gt_i32_e32 vcc, s33, v37
	v_cndmask_b32_e32 v72, 0, v72, vcc
	;; [unrolled: 2-line block ×8, first 2 shown]
.LBB183_213:                            ;   in Loop: Header=BB183_43 Depth=1
	s_or_b64 exec, exec, s[0:1]
	v_lshlrev_b32_e32 v2, 16, v2
	v_mul_f32_e32 v31, v41, v2
	v_and_b32_e32 v2, 0x7f800000, v31
	v_cmp_ne_u32_e32 vcc, s14, v2
                                        ; implicit-def: $vgpr2
	s_and_saveexec_b64 s[0:1], vcc
	s_xor_b64 s[0:1], exec, s[0:1]
; %bb.214:                              ;   in Loop: Header=BB183_43 Depth=1
	v_bfe_u32 v2, v31, 16, 1
	v_add3_u32 v2, v31, v2, s15
                                        ; implicit-def: $vgpr31
; %bb.215:                              ;   in Loop: Header=BB183_43 Depth=1
	s_andn2_saveexec_b64 s[0:1], s[0:1]
; %bb.216:                              ;   in Loop: Header=BB183_43 Depth=1
	v_or_b32_e32 v2, 0x10000, v31
	v_cmp_eq_u32_sdwa vcc, v31, v22 src0_sel:WORD_0 src1_sel:DWORD
	v_cndmask_b32_e32 v2, v2, v31, vcc
; %bb.217:                              ;   in Loop: Header=BB183_43 Depth=1
	s_or_b64 exec, exec, s[0:1]
	v_lshlrev_b32_e32 v31, 16, v72
	v_mul_f32_e32 v32, v42, v31
	v_and_b32_e32 v31, 0x7f800000, v32
	v_cmp_ne_u32_e32 vcc, s14, v31
                                        ; implicit-def: $vgpr31
	s_and_saveexec_b64 s[0:1], vcc
	s_xor_b64 s[0:1], exec, s[0:1]
; %bb.218:                              ;   in Loop: Header=BB183_43 Depth=1
	v_bfe_u32 v31, v32, 16, 1
	v_add3_u32 v31, v32, v31, s15
                                        ; implicit-def: $vgpr32
; %bb.219:                              ;   in Loop: Header=BB183_43 Depth=1
	s_andn2_saveexec_b64 s[0:1], s[0:1]
; %bb.220:                              ;   in Loop: Header=BB183_43 Depth=1
	v_or_b32_e32 v31, 0x10000, v32
	v_cmp_eq_u32_sdwa vcc, v32, v22 src0_sel:WORD_0 src1_sel:DWORD
	v_cndmask_b32_e32 v31, v31, v32, vcc
; %bb.221:                              ;   in Loop: Header=BB183_43 Depth=1
	s_or_b64 exec, exec, s[0:1]
	v_lshlrev_b32_e32 v3, 16, v3
	v_mul_f32_e32 v32, v43, v3
	v_and_b32_e32 v3, 0x7f800000, v32
	v_cmp_ne_u32_e32 vcc, s14, v3
                                        ; implicit-def: $vgpr3
	s_and_saveexec_b64 s[0:1], vcc
	s_xor_b64 s[0:1], exec, s[0:1]
; %bb.222:                              ;   in Loop: Header=BB183_43 Depth=1
	v_bfe_u32 v3, v32, 16, 1
	v_add3_u32 v3, v32, v3, s15
                                        ; implicit-def: $vgpr32
; %bb.223:                              ;   in Loop: Header=BB183_43 Depth=1
	s_andn2_saveexec_b64 s[0:1], s[0:1]
; %bb.224:                              ;   in Loop: Header=BB183_43 Depth=1
	v_or_b32_e32 v3, 0x10000, v32
	v_cmp_eq_u32_sdwa vcc, v32, v22 src0_sel:WORD_0 src1_sel:DWORD
	v_cndmask_b32_e32 v3, v3, v32, vcc
; %bb.225:                              ;   in Loop: Header=BB183_43 Depth=1
	s_or_b64 exec, exec, s[0:1]
	v_lshlrev_b32_e32 v32, 16, v71
	v_mul_f32_e32 v33, v44, v32
	v_and_b32_e32 v32, 0x7f800000, v33
	v_cmp_ne_u32_e32 vcc, s14, v32
                                        ; implicit-def: $vgpr32
	s_and_saveexec_b64 s[0:1], vcc
	s_xor_b64 s[0:1], exec, s[0:1]
; %bb.226:                              ;   in Loop: Header=BB183_43 Depth=1
	v_bfe_u32 v32, v33, 16, 1
	v_add3_u32 v32, v33, v32, s15
                                        ; implicit-def: $vgpr33
; %bb.227:                              ;   in Loop: Header=BB183_43 Depth=1
	s_andn2_saveexec_b64 s[0:1], s[0:1]
; %bb.228:                              ;   in Loop: Header=BB183_43 Depth=1
	v_or_b32_e32 v32, 0x10000, v33
	v_cmp_eq_u32_sdwa vcc, v33, v22 src0_sel:WORD_0 src1_sel:DWORD
	v_cndmask_b32_e32 v32, v32, v33, vcc
; %bb.229:                              ;   in Loop: Header=BB183_43 Depth=1
	s_or_b64 exec, exec, s[0:1]
	v_lshlrev_b32_e32 v4, 16, v4
	v_mul_f32_e32 v33, v45, v4
	v_and_b32_e32 v4, 0x7f800000, v33
	v_cmp_ne_u32_e32 vcc, s14, v4
                                        ; implicit-def: $vgpr4
	s_and_saveexec_b64 s[0:1], vcc
	s_xor_b64 s[0:1], exec, s[0:1]
; %bb.230:                              ;   in Loop: Header=BB183_43 Depth=1
	v_bfe_u32 v4, v33, 16, 1
	v_add3_u32 v4, v33, v4, s15
                                        ; implicit-def: $vgpr33
; %bb.231:                              ;   in Loop: Header=BB183_43 Depth=1
	s_andn2_saveexec_b64 s[0:1], s[0:1]
; %bb.232:                              ;   in Loop: Header=BB183_43 Depth=1
	v_or_b32_e32 v4, 0x10000, v33
	v_cmp_eq_u32_sdwa vcc, v33, v22 src0_sel:WORD_0 src1_sel:DWORD
	v_cndmask_b32_e32 v4, v4, v33, vcc
; %bb.233:                              ;   in Loop: Header=BB183_43 Depth=1
	s_or_b64 exec, exec, s[0:1]
	v_lshlrev_b32_e32 v33, 16, v40
	v_mul_f32_e32 v34, v46, v33
	v_and_b32_e32 v33, 0x7f800000, v34
	v_cmp_ne_u32_e32 vcc, s14, v33
                                        ; implicit-def: $vgpr33
	s_and_saveexec_b64 s[0:1], vcc
	s_xor_b64 s[0:1], exec, s[0:1]
; %bb.234:                              ;   in Loop: Header=BB183_43 Depth=1
	v_bfe_u32 v33, v34, 16, 1
	v_add3_u32 v33, v34, v33, s15
                                        ; implicit-def: $vgpr34
; %bb.235:                              ;   in Loop: Header=BB183_43 Depth=1
	s_andn2_saveexec_b64 s[0:1], s[0:1]
; %bb.236:                              ;   in Loop: Header=BB183_43 Depth=1
	v_or_b32_e32 v33, 0x10000, v34
	v_cmp_eq_u32_sdwa vcc, v34, v22 src0_sel:WORD_0 src1_sel:DWORD
	v_cndmask_b32_e32 v33, v33, v34, vcc
; %bb.237:                              ;   in Loop: Header=BB183_43 Depth=1
	s_or_b64 exec, exec, s[0:1]
	v_lshlrev_b32_e32 v5, 16, v5
	v_mul_f32_e32 v34, v47, v5
	v_and_b32_e32 v5, 0x7f800000, v34
	v_cmp_ne_u32_e32 vcc, s14, v5
                                        ; implicit-def: $vgpr5
	s_and_saveexec_b64 s[0:1], vcc
	s_xor_b64 s[0:1], exec, s[0:1]
; %bb.238:                              ;   in Loop: Header=BB183_43 Depth=1
	v_bfe_u32 v5, v34, 16, 1
	v_add3_u32 v5, v34, v5, s15
                                        ; implicit-def: $vgpr34
; %bb.239:                              ;   in Loop: Header=BB183_43 Depth=1
	s_andn2_saveexec_b64 s[0:1], s[0:1]
; %bb.240:                              ;   in Loop: Header=BB183_43 Depth=1
	v_or_b32_e32 v5, 0x10000, v34
	v_cmp_eq_u32_sdwa vcc, v34, v22 src0_sel:WORD_0 src1_sel:DWORD
	v_cndmask_b32_e32 v5, v5, v34, vcc
; %bb.241:                              ;   in Loop: Header=BB183_43 Depth=1
	s_or_b64 exec, exec, s[0:1]
	v_lshlrev_b32_e32 v34, 16, v39
	v_mul_f32_e32 v35, v48, v34
	v_and_b32_e32 v34, 0x7f800000, v35
	v_cmp_ne_u32_e32 vcc, s14, v34
                                        ; implicit-def: $vgpr34
	s_and_saveexec_b64 s[0:1], vcc
	s_xor_b64 s[0:1], exec, s[0:1]
; %bb.242:                              ;   in Loop: Header=BB183_43 Depth=1
	v_bfe_u32 v34, v35, 16, 1
	v_add3_u32 v34, v35, v34, s15
                                        ; implicit-def: $vgpr35
; %bb.243:                              ;   in Loop: Header=BB183_43 Depth=1
	s_andn2_saveexec_b64 s[0:1], s[0:1]
	s_cbranch_execz .LBB183_42
; %bb.244:                              ;   in Loop: Header=BB183_43 Depth=1
	v_or_b32_e32 v34, 0x10000, v35
	v_cmp_eq_u32_sdwa vcc, v35, v22 src0_sel:WORD_0 src1_sel:DWORD
	v_cndmask_b32_e32 v34, v34, v35, vcc
	s_branch .LBB183_42
.LBB183_245:
	s_or_b64 exec, exec, s[4:5]
.LBB183_246:
	s_or_b64 exec, exec, s[2:3]
	ds_bpermute_b32 v2, v18, v14
	ds_bpermute_b32 v3, v18, v15
	;; [unrolled: 1-line block ×5, first 2 shown]
	s_waitcnt lgkmcnt(0)
	v_pk_add_f32 v[2:3], v[14:15], v[2:3]
	ds_bpermute_b32 v6, v19, v2
	v_pk_add_f32 v[4:5], v[12:13], v[4:5]
	ds_bpermute_b32 v7, v19, v3
	ds_bpermute_b32 v8, v19, v4
	;; [unrolled: 1-line block ×3, first 2 shown]
	v_add_f32_e32 v10, v21, v10
	ds_bpermute_b32 v11, v19, v10
	s_waitcnt lgkmcnt(3)
	v_pk_add_f32 v[6:7], v[2:3], v[6:7]
	s_barrier
	s_waitcnt lgkmcnt(1)
	v_pk_add_f32 v[2:3], v[4:5], v[8:9]
	v_and_b32_e32 v5, 0x3c3, v0
	s_waitcnt lgkmcnt(0)
	v_add_f32_e32 v4, v10, v11
	v_cmp_eq_u32_e32 vcc, 64, v5
	s_and_saveexec_b64 s[0:1], vcc
	s_cbranch_execz .LBB183_248
; %bb.247:
	v_add_u32_e32 v1, 0xb0, v1
	ds_write2_b32 v1, v6, v7 offset1:16
	ds_write2_b32 v1, v2, v3 offset0:32 offset1:48
	ds_write_b32 v1, v4 offset:256
.LBB183_248:
	s_or_b64 exec, exec, s[0:1]
	v_cmp_gt_u32_e32 vcc, 64, v0
	s_waitcnt lgkmcnt(0)
	s_barrier
	s_and_saveexec_b64 s[2:3], vcc
	s_cbranch_execz .LBB183_256
; %bb.249:
	v_cmp_eq_u32_e64 s[0:1], 0, v20
	v_lshrrev_b32_e32 v1, 2, v0
	s_and_saveexec_b64 s[4:5], s[0:1]
	s_cbranch_execnz .LBB183_280
; %bb.250:
	s_or_b64 exec, exec, s[4:5]
	s_and_saveexec_b64 s[4:5], s[0:1]
	s_cbranch_execnz .LBB183_281
.LBB183_251:
	s_or_b64 exec, exec, s[4:5]
	s_and_saveexec_b64 s[4:5], s[0:1]
	s_cbranch_execnz .LBB183_282
.LBB183_252:
	s_or_b64 exec, exec, s[4:5]
	s_and_saveexec_b64 s[4:5], s[0:1]
	s_cbranch_execnz .LBB183_283
.LBB183_253:
	s_or_b64 exec, exec, s[4:5]
	s_and_saveexec_b64 s[4:5], s[0:1]
	s_cbranch_execz .LBB183_255
.LBB183_254:
	v_mov_b32_e32 v5, 0xb0
	v_lshl_add_u32 v1, v1, 2, v5
	ds_read_b32 v1, v1 offset:256
	s_waitcnt lgkmcnt(0)
	v_add_f32_e32 v4, v4, v1
.LBB183_255:
	s_or_b64 exec, exec, s[4:5]
.LBB183_256:
	s_or_b64 exec, exec, s[2:3]
	s_barrier
	s_and_saveexec_b64 s[0:1], vcc
	s_cbranch_execz .LBB183_279
; %bb.257:
	v_cmp_eq_u32_e32 vcc, 0, v20
	s_and_b64 exec, exec, vcc
	s_cbranch_execz .LBB183_279
; %bb.258:
	s_mov_b32 s0, 0x7f800000
	v_and_b32_e32 v1, 0x7f800000, v6
	v_cmp_ne_u32_e32 vcc, s0, v1
                                        ; implicit-def: $vgpr1
	s_and_saveexec_b64 s[0:1], vcc
	s_xor_b64 s[0:1], exec, s[0:1]
; %bb.259:
	v_bfe_u32 v1, v6, 16, 1
	s_movk_i32 s2, 0x7fff
	v_add3_u32 v1, v6, v1, s2
; %bb.260:
	s_andn2_saveexec_b64 s[0:1], s[0:1]
; %bb.261:
	v_mov_b32_e32 v1, 0
	v_or_b32_e32 v5, 0x10000, v6
	v_cmp_eq_u32_sdwa vcc, v6, v1 src0_sel:WORD_0 src1_sel:DWORD
	v_cndmask_b32_e32 v1, v5, v6, vcc
; %bb.262:
	s_or_b64 exec, exec, s[0:1]
	s_mul_i32 s0, s12, s20
	s_mul_i32 s0, s0, s21
	s_mulk_i32 s0, 0x50
	s_ashr_i32 s1, s0, 31
	s_lshl_b64 s[0:1], s[0:1], 1
	s_add_u32 s2, s24, s0
	s_mul_i32 s0, s12, s22
	s_addc_u32 s3, s25, s1
	s_ashr_i32 s1, s0, 31
	s_lshl_b64 s[0:1], s[0:1], 1
	s_add_u32 s2, s2, s0
	s_mul_i32 s0, s8, 0x50
	s_addc_u32 s3, s3, s1
	s_ashr_i32 s1, s0, 31
	s_lshl_b64 s[0:1], s[0:1], 1
	s_add_u32 s0, s2, s0
	v_lshrrev_b32_e32 v0, 1, v0
	s_addc_u32 s1, s3, s1
	v_and_b32_e32 v0, 0x1fe, v0
	v_mov_b32_e32 v5, s1
	v_add_co_u32_e32 v8, vcc, s0, v0
	v_addc_co_u32_e32 v9, vcc, 0, v5, vcc
	global_store_short_d16_hi v0, v1, s[0:1]
	s_mov_b32 s0, 0x7f800000
	v_and_b32_e32 v0, 0x7f800000, v7
	v_cmp_ne_u32_e32 vcc, s0, v0
                                        ; implicit-def: $vgpr0
	s_and_saveexec_b64 s[0:1], vcc
	s_xor_b64 s[0:1], exec, s[0:1]
; %bb.263:
	v_bfe_u32 v0, v7, 16, 1
	s_movk_i32 s2, 0x7fff
	v_add3_u32 v0, v7, v0, s2
; %bb.264:
	s_andn2_saveexec_b64 s[0:1], s[0:1]
; %bb.265:
	v_mov_b32_e32 v0, 0
	v_or_b32_e32 v1, 0x10000, v7
	v_cmp_eq_u32_sdwa vcc, v7, v0 src0_sel:WORD_0 src1_sel:DWORD
	v_cndmask_b32_e32 v0, v1, v7, vcc
; %bb.266:
	s_or_b64 exec, exec, s[0:1]
	global_store_short_d16_hi v[8:9], v0, off offset:32
	s_mov_b32 s0, 0x7f800000
	v_and_b32_e32 v0, 0x7f800000, v2
	v_cmp_ne_u32_e32 vcc, s0, v0
                                        ; implicit-def: $vgpr0
	s_and_saveexec_b64 s[0:1], vcc
	s_xor_b64 s[0:1], exec, s[0:1]
; %bb.267:
	v_bfe_u32 v0, v2, 16, 1
	s_movk_i32 s2, 0x7fff
	v_add3_u32 v0, v2, v0, s2
; %bb.268:
	s_andn2_saveexec_b64 s[0:1], s[0:1]
; %bb.269:
	v_mov_b32_e32 v0, 0
	v_or_b32_e32 v1, 0x10000, v2
	v_cmp_eq_u32_sdwa vcc, v2, v0 src0_sel:WORD_0 src1_sel:DWORD
	v_cndmask_b32_e32 v0, v1, v2, vcc
; %bb.270:
	s_or_b64 exec, exec, s[0:1]
	global_store_short_d16_hi v[8:9], v0, off offset:64
	;; [unrolled: 20-line block ×3, first 2 shown]
	s_mov_b32 s0, 0x7f800000
	v_and_b32_e32 v0, 0x7f800000, v4
	v_cmp_ne_u32_e32 vcc, s0, v0
                                        ; implicit-def: $vgpr5
	s_and_saveexec_b64 s[0:1], vcc
	s_xor_b64 s[0:1], exec, s[0:1]
; %bb.275:
	v_bfe_u32 v0, v4, 16, 1
	s_movk_i32 s2, 0x7fff
	v_add3_u32 v5, v4, v0, s2
                                        ; implicit-def: $vgpr0_vgpr1_vgpr2_vgpr3_vgpr4
; %bb.276:
	s_andn2_saveexec_b64 s[0:1], s[0:1]
; %bb.277:
	v_mov_b32_e32 v0, 0
	v_or_b32_e32 v1, 0x10000, v4
	v_cmp_eq_u32_sdwa vcc, v4, v0 src0_sel:WORD_0 src1_sel:DWORD
	v_cndmask_b32_e32 v5, v1, v4, vcc
; %bb.278:
	s_or_b64 exec, exec, s[0:1]
	global_store_short_d16_hi v[8:9], v5, off offset:128
.LBB183_279:
	s_endpgm
.LBB183_280:
	v_mov_b32_e32 v5, 0xb0
	v_lshl_add_u32 v5, v1, 2, v5
	ds_read_b32 v5, v5
	s_waitcnt lgkmcnt(0)
	v_add_f32_e32 v6, v6, v5
	s_or_b64 exec, exec, s[4:5]
	s_and_saveexec_b64 s[4:5], s[0:1]
	s_cbranch_execz .LBB183_251
.LBB183_281:
	v_mov_b32_e32 v5, 0xb0
	v_lshl_add_u32 v5, v1, 2, v5
	ds_read_b32 v5, v5 offset:64
	s_waitcnt lgkmcnt(0)
	v_add_f32_e32 v7, v7, v5
	s_or_b64 exec, exec, s[4:5]
	s_and_saveexec_b64 s[4:5], s[0:1]
	s_cbranch_execz .LBB183_252
.LBB183_282:
	v_mov_b32_e32 v5, 0xb0
	v_lshl_add_u32 v5, v1, 2, v5
	ds_read_b32 v5, v5 offset:128
	s_waitcnt lgkmcnt(0)
	v_add_f32_e32 v2, v2, v5
	s_or_b64 exec, exec, s[4:5]
	s_and_saveexec_b64 s[4:5], s[0:1]
	s_cbranch_execz .LBB183_253
.LBB183_283:
	v_mov_b32_e32 v5, 0xb0
	v_lshl_add_u32 v5, v1, 2, v5
	ds_read_b32 v5, v5 offset:192
	s_waitcnt lgkmcnt(0)
	v_add_f32_e32 v3, v3, v5
	s_or_b64 exec, exec, s[4:5]
	s_and_saveexec_b64 s[4:5], s[0:1]
	s_cbranch_execnz .LBB183_254
	s_branch .LBB183_255
	.section	.rodata,"a",@progbits
	.p2align	6, 0x0
	.amdhsa_kernel _ZN4vllm25paged_attention_v2_kernelI14__hip_bfloat16S1_Li80ELi32ELi128ELNS_18Fp8KVCacheDataTypeE0ELb0ELi512EEEvPfS3_PT_PKS4_PKT0_SA_ifPKiSC_iPKfiiiSE_SE_iiiii
		.amdhsa_group_segment_fixed_size 176
		.amdhsa_private_segment_fixed_size 0
		.amdhsa_kernarg_size 400
		.amdhsa_user_sgpr_count 6
		.amdhsa_user_sgpr_private_segment_buffer 1
		.amdhsa_user_sgpr_dispatch_ptr 0
		.amdhsa_user_sgpr_queue_ptr 0
		.amdhsa_user_sgpr_kernarg_segment_ptr 1
		.amdhsa_user_sgpr_dispatch_id 0
		.amdhsa_user_sgpr_flat_scratch_init 0
		.amdhsa_user_sgpr_kernarg_preload_length 0
		.amdhsa_user_sgpr_kernarg_preload_offset 0
		.amdhsa_user_sgpr_private_segment_size 0
		.amdhsa_uses_dynamic_stack 0
		.amdhsa_system_sgpr_private_segment_wavefront_offset 0
		.amdhsa_system_sgpr_workgroup_id_x 1
		.amdhsa_system_sgpr_workgroup_id_y 1
		.amdhsa_system_sgpr_workgroup_id_z 1
		.amdhsa_system_sgpr_workgroup_info 0
		.amdhsa_system_vgpr_workitem_id 0
		.amdhsa_next_free_vgpr 96
		.amdhsa_next_free_sgpr 43
		.amdhsa_accum_offset 96
		.amdhsa_reserve_vcc 1
		.amdhsa_reserve_flat_scratch 0
		.amdhsa_float_round_mode_32 0
		.amdhsa_float_round_mode_16_64 0
		.amdhsa_float_denorm_mode_32 3
		.amdhsa_float_denorm_mode_16_64 3
		.amdhsa_dx10_clamp 1
		.amdhsa_ieee_mode 1
		.amdhsa_fp16_overflow 0
		.amdhsa_tg_split 0
		.amdhsa_exception_fp_ieee_invalid_op 0
		.amdhsa_exception_fp_denorm_src 0
		.amdhsa_exception_fp_ieee_div_zero 0
		.amdhsa_exception_fp_ieee_overflow 0
		.amdhsa_exception_fp_ieee_underflow 0
		.amdhsa_exception_fp_ieee_inexact 0
		.amdhsa_exception_int_div_zero 0
	.end_amdhsa_kernel
	.section	.text._ZN4vllm25paged_attention_v2_kernelI14__hip_bfloat16S1_Li80ELi32ELi128ELNS_18Fp8KVCacheDataTypeE0ELb0ELi512EEEvPfS3_PT_PKS4_PKT0_SA_ifPKiSC_iPKfiiiSE_SE_iiiii,"axG",@progbits,_ZN4vllm25paged_attention_v2_kernelI14__hip_bfloat16S1_Li80ELi32ELi128ELNS_18Fp8KVCacheDataTypeE0ELb0ELi512EEEvPfS3_PT_PKS4_PKT0_SA_ifPKiSC_iPKfiiiSE_SE_iiiii,comdat
.Lfunc_end183:
	.size	_ZN4vllm25paged_attention_v2_kernelI14__hip_bfloat16S1_Li80ELi32ELi128ELNS_18Fp8KVCacheDataTypeE0ELb0ELi512EEEvPfS3_PT_PKS4_PKT0_SA_ifPKiSC_iPKfiiiSE_SE_iiiii, .Lfunc_end183-_ZN4vllm25paged_attention_v2_kernelI14__hip_bfloat16S1_Li80ELi32ELi128ELNS_18Fp8KVCacheDataTypeE0ELb0ELi512EEEvPfS3_PT_PKS4_PKT0_SA_ifPKiSC_iPKfiiiSE_SE_iiiii
                                        ; -- End function
	.section	.AMDGPU.csdata,"",@progbits
; Kernel info:
; codeLenInByte = 9816
; NumSgprs: 47
; NumVgprs: 96
; NumAgprs: 0
; TotalNumVgprs: 96
; ScratchSize: 0
; MemoryBound: 0
; FloatMode: 240
; IeeeMode: 1
; LDSByteSize: 176 bytes/workgroup (compile time only)
; SGPRBlocks: 5
; VGPRBlocks: 11
; NumSGPRsForWavesPerEU: 47
; NumVGPRsForWavesPerEU: 96
; AccumOffset: 96
; Occupancy: 5
; WaveLimiterHint : 1
; COMPUTE_PGM_RSRC2:SCRATCH_EN: 0
; COMPUTE_PGM_RSRC2:USER_SGPR: 6
; COMPUTE_PGM_RSRC2:TRAP_HANDLER: 0
; COMPUTE_PGM_RSRC2:TGID_X_EN: 1
; COMPUTE_PGM_RSRC2:TGID_Y_EN: 1
; COMPUTE_PGM_RSRC2:TGID_Z_EN: 1
; COMPUTE_PGM_RSRC2:TIDIG_COMP_CNT: 0
; COMPUTE_PGM_RSRC3_GFX90A:ACCUM_OFFSET: 23
; COMPUTE_PGM_RSRC3_GFX90A:TG_SPLIT: 0
	.section	.text._ZN4vllm25paged_attention_v2_kernelI14__hip_bfloat16S1_Li96ELi32ELi128ELNS_18Fp8KVCacheDataTypeE0ELb0ELi512EEEvPfS3_PT_PKS4_PKT0_SA_ifPKiSC_iPKfiiiSE_SE_iiiii,"axG",@progbits,_ZN4vllm25paged_attention_v2_kernelI14__hip_bfloat16S1_Li96ELi32ELi128ELNS_18Fp8KVCacheDataTypeE0ELb0ELi512EEEvPfS3_PT_PKS4_PKT0_SA_ifPKiSC_iPKfiiiSE_SE_iiiii,comdat
	.protected	_ZN4vllm25paged_attention_v2_kernelI14__hip_bfloat16S1_Li96ELi32ELi128ELNS_18Fp8KVCacheDataTypeE0ELb0ELi512EEEvPfS3_PT_PKS4_PKT0_SA_ifPKiSC_iPKfiiiSE_SE_iiiii ; -- Begin function _ZN4vllm25paged_attention_v2_kernelI14__hip_bfloat16S1_Li96ELi32ELi128ELNS_18Fp8KVCacheDataTypeE0ELb0ELi512EEEvPfS3_PT_PKS4_PKT0_SA_ifPKiSC_iPKfiiiSE_SE_iiiii
	.globl	_ZN4vllm25paged_attention_v2_kernelI14__hip_bfloat16S1_Li96ELi32ELi128ELNS_18Fp8KVCacheDataTypeE0ELb0ELi512EEEvPfS3_PT_PKS4_PKT0_SA_ifPKiSC_iPKfiiiSE_SE_iiiii
	.p2align	8
	.type	_ZN4vllm25paged_attention_v2_kernelI14__hip_bfloat16S1_Li96ELi32ELi128ELNS_18Fp8KVCacheDataTypeE0ELb0ELi512EEEvPfS3_PT_PKS4_PKT0_SA_ifPKiSC_iPKfiiiSE_SE_iiiii,@function
_ZN4vllm25paged_attention_v2_kernelI14__hip_bfloat16S1_Li96ELi32ELi128ELNS_18Fp8KVCacheDataTypeE0ELb0ELi512EEEvPfS3_PT_PKS4_PKT0_SA_ifPKiSC_iPKfiiiSE_SE_iiiii: ; @_ZN4vllm25paged_attention_v2_kernelI14__hip_bfloat16S1_Li96ELi32ELi128ELNS_18Fp8KVCacheDataTypeE0ELb0ELi512EEEvPfS3_PT_PKS4_PKT0_SA_ifPKiSC_iPKfiiiSE_SE_iiiii
; %bb.0:
	s_load_dwordx2 s[0:1], s[4:5], 0x40
	s_mov_b32 s20, s7
	s_ashr_i32 s21, s7, 31
	s_lshl_b64 s[2:3], s[20:21], 2
	s_waitcnt lgkmcnt(0)
	s_add_u32 s0, s0, s2
	s_addc_u32 s1, s1, s3
	s_load_dword s33, s[0:1], 0x0
	s_lshl_b32 s40, s8, 9
	s_waitcnt lgkmcnt(0)
	s_cmp_ge_i32 s40, s33
	s_cbranch_scc1 .LBB184_318
; %bb.1:
	s_load_dword s21, s[4:5], 0x90
	s_load_dwordx2 s[10:11], s[4:5], 0x30
	s_waitcnt lgkmcnt(0)
	s_abs_i32 s2, s21
	s_abs_i32 s0, s10
	v_cvt_f32_u32_e32 v1, s0
	s_sub_i32 s3, 0, s0
	s_xor_b32 s1, s21, s10
	s_ashr_i32 s1, s1, 31
	v_rcp_iflag_f32_e32 v1, v1
	s_mov_b32 s10, 0
	v_mul_f32_e32 v1, 0x4f7ffffe, v1
	v_cvt_u32_f32_e32 v1, v1
	v_readfirstlane_b32 s7, v1
	s_mul_i32 s3, s3, s7
	s_mul_hi_u32 s3, s7, s3
	s_add_i32 s7, s7, s3
	s_mul_hi_u32 s3, s2, s7
	s_mul_i32 s7, s3, s0
	s_sub_i32 s2, s2, s7
	s_add_i32 s9, s3, 1
	s_sub_i32 s7, s2, s0
	s_cmp_ge_u32 s2, s0
	s_cselect_b32 s3, s9, s3
	s_cselect_b32 s2, s7, s2
	s_add_i32 s7, s3, 1
	s_cmp_ge_u32 s2, s0
	s_cselect_b32 s0, s7, s3
	s_xor_b32 s0, s0, s1
	s_sub_i32 s9, s0, s1
	s_abs_i32 s2, s9
	v_cvt_f32_u32_e32 v1, s2
	s_load_dwordx2 s[0:1], s[4:5], 0x50
	s_sub_i32 s7, 0, s2
	s_abs_i32 s3, s6
	v_rcp_iflag_f32_e32 v1, v1
	v_mul_f32_e32 v1, 0x4f7ffffe, v1
	v_cvt_u32_f32_e32 v1, v1
	v_readfirstlane_b32 s12, v1
	s_mul_i32 s7, s7, s12
	s_mul_hi_u32 s7, s12, s7
	s_add_i32 s12, s12, s7
	s_waitcnt lgkmcnt(0)
	s_cmp_eq_u64 s[0:1], 0
	s_mul_hi_u32 s16, s3, s12
	s_cbranch_scc1 .LBB184_3
; %bb.2:
	s_ashr_i32 s7, s6, 31
	s_lshl_b64 s[12:13], s[6:7], 2
	s_add_u32 s0, s0, s12
	s_addc_u32 s1, s1, s13
	s_load_dword s10, s[0:1], 0x0
.LBB184_3:
	s_load_dwordx4 s[12:15], s[4:5], 0x58
	s_ashr_i32 s17, s6, 31
	s_ashr_i32 s18, s9, 31
	v_and_b32_e32 v4, 1, v0
	s_movk_i32 s7, 0x60
	s_mul_i32 s22, s6, 0x60
	v_cmp_gt_u32_e32 vcc, 24, v0
	v_lshlrev_b32_e32 v23, 3, v0
	s_and_saveexec_b64 s[0:1], vcc
	s_cbranch_execz .LBB184_5
; %bb.4:
	s_load_dwordx2 s[24:25], s[4:5], 0x18
	s_waitcnt lgkmcnt(0)
	s_mul_i32 s26, s20, s12
	s_ashr_i32 s27, s26, 31
	s_lshl_b64 s[26:27], s[26:27], 1
	v_lshlrev_b32_e32 v1, 2, v0
	s_add_u32 s9, s24, s26
	s_addc_u32 s12, s25, s27
	s_ashr_i32 s23, s22, 31
	s_lshl_b64 s[24:25], s[22:23], 1
	s_add_u32 s24, s9, s24
	s_addc_u32 s25, s12, s25
	global_load_dwordx2 v[2:3], v23, s[24:25]
	v_and_b32_e32 v1, 0xff8, v1
	v_mad_u32_u24 v1, v4, s7, v1
	s_waitcnt vmcnt(0)
	ds_write_b64 v1, v[2:3]
.LBB184_5:
	s_or_b64 exec, exec, s[0:1]
	s_add_i32 s0, s33, 31
	s_ashr_i32 s1, s0, 31
	s_lshr_b32 s1, s1, 27
	s_add_i32 s0, s0, s1
	s_lshl_b32 s9, s8, 4
	s_mul_i32 s1, s16, s2
	s_ashr_i32 s7, s0, 5
	s_add_i32 s0, s9, 16
	s_sub_i32 s1, s3, s1
	s_min_i32 s23, s0, s7
	s_xor_b32 s0, s17, s18
	s_add_i32 s3, s16, 1
	s_waitcnt lgkmcnt(0)
	s_sub_i32 s12, s1, s2
	s_cmp_ge_u32 s1, s2
	s_cselect_b32 s3, s3, s16
	s_cselect_b32 s1, s12, s1
	s_add_i32 s12, s3, 1
	s_cmp_ge_u32 s1, s2
	s_load_dwordx2 s[26:27], s[4:5], 0x38
	s_load_dword s2, s[4:5], 0x48
	v_lshrrev_b32_e32 v25, 6, v0
	s_cselect_b32 s1, s12, s3
	s_xor_b32 s1, s1, s0
	v_or_b32_e32 v10, s9, v25
	s_waitcnt lgkmcnt(0)
	s_mul_i32 s28, s20, s2
	s_sub_i32 s15, s1, s0
	s_ashr_i32 s29, s28, 31
	v_cmp_gt_i32_e64 s[0:1], s23, v10
	v_cmp_le_i32_e32 vcc, s23, v10
	v_mbcnt_lo_u32_b32 v5, -1, 0
	s_barrier
	s_waitcnt lgkmcnt(0)
                                        ; implicit-def: $sgpr36
                                        ; implicit-def: $vgpr22
                                        ; implicit-def: $vgpr21
	s_and_saveexec_b64 s[2:3], vcc
	s_xor_b64 s[2:3], exec, s[2:3]
; %bb.6:
	v_mbcnt_hi_u32_b32 v22, -1, v5
	v_and_b32_e32 v1, 64, v22
	v_add_u32_e32 v21, 64, v1
	s_mov_b32 s36, 0xff7fffff
                                        ; implicit-def: $vgpr4
                                        ; implicit-def: $vgpr5
; %bb.7:
	s_or_saveexec_b64 s[34:35], s[2:3]
	s_load_dwordx4 s[16:19], s[4:5], 0x0
	s_load_dwordx2 s[24:25], s[4:5], 0x10
	s_load_dwordx2 s[30:31], s[4:5], 0x28
	s_load_dword s12, s[4:5], 0x98
	v_mov_b32_e32 v71, s36
	s_mul_i32 s14, s15, s14
	v_ashrrev_i32_e32 v11, 31, v10
	s_xor_b64 exec, exec, s[34:35]
	s_cbranch_execz .LBB184_13
; %bb.8:
	v_mul_u32_u24_e32 v2, 0x60, v4
	ds_read_b128 v[6:9], v2
	s_load_dwordx2 s[2:3], s[4:5], 0x20
	s_ashr_i32 s15, s14, 31
	s_lshl_b64 s[4:5], s[14:15], 1
	ds_read_b128 v[12:15], v2 offset:16
	ds_read_b128 v[16:19], v2 offset:32
	;; [unrolled: 1-line block ×3, first 2 shown]
	s_waitcnt lgkmcnt(0)
	v_lshlrev_b32_e32 v1, 16, v6
	v_and_b32_e32 v20, 0xffff0000, v6
	v_lshlrev_b32_e32 v24, 16, v7
	v_and_b32_e32 v26, 0xffff0000, v7
	;; [unrolled: 2-line block ×4, first 2 shown]
	ds_read_b128 v[6:9], v2 offset:64
	s_add_u32 s4, s2, s4
	s_addc_u32 s5, s3, s5
	s_sub_i32 s15, 1, s33
	s_lshl_b64 s[2:3], s[28:29], 2
	s_add_u32 s2, s26, s2
	v_lshlrev_b32_e32 v31, 16, v12
	v_and_b32_e32 v32, 0xffff0000, v12
	v_lshlrev_b32_e32 v33, 16, v13
	v_and_b32_e32 v34, 0xffff0000, v13
	;; [unrolled: 2-line block ×4, first 2 shown]
	ds_read_b128 v[12:15], v2 offset:80
	v_lshlrev_b64 v[2:3], 2, v[10:11]
	s_addc_u32 s3, s27, s3
	v_lshlrev_b32_e32 v47, 16, v52
	v_and_b32_e32 v48, 0xffff0000, v52
	v_lshlrev_b32_e32 v49, 16, v53
	v_and_b32_e32 v50, 0xffff0000, v53
	;; [unrolled: 2-line block ×4, first 2 shown]
	s_waitcnt lgkmcnt(1)
	v_lshlrev_b32_e32 v55, 16, v6
	v_and_b32_e32 v56, 0xffff0000, v6
	v_mov_b32_e32 v6, s3
	v_add_co_u32_e32 v2, vcc, s2, v2
	v_addc_co_u32_e32 v3, vcc, v6, v3, vcc
	v_bfe_u32 v6, v0, 1, 5
	v_lshlrev_b32_e32 v57, 16, v7
	v_and_b32_e32 v58, 0xffff0000, v7
	v_lshlrev_b32_e32 v7, 4, v6
	v_lshlrev_b32_e32 v59, 16, v8
	v_and_b32_e32 v60, 0xffff0000, v8
	v_mov_b32_e32 v8, s5
	v_add_co_u32_e32 v7, vcc, s4, v7
	v_lshlrev_b32_e32 v61, 16, v9
	v_and_b32_e32 v62, 0xffff0000, v9
	v_addc_co_u32_e32 v8, vcc, 0, v8, vcc
	v_and_b32_e32 v9, 8, v23
	v_add_co_u32_e32 v72, vcc, v7, v9
	v_addc_co_u32_e32 v73, vcc, 0, v8, vcc
	v_mbcnt_hi_u32_b32 v22, -1, v5
	v_cmp_eq_u32_e32 vcc, 0, v4
	v_and_b32_e32 v4, 64, v22
	v_add_u32_e32 v21, 64, v4
	v_xor_b32_e32 v4, 1, v22
	v_cmp_lt_i32_e64 s[2:3], v4, v21
	v_cndmask_b32_e64 v4, v22, v4, s[2:3]
	v_lshlrev_b32_e32 v74, 2, v4
	v_lshlrev_b32_e32 v4, 5, v25
	v_add3_u32 v75, s40, v4, v6
	v_lshlrev_b32_e32 v4, 2, v6
	v_lshl_or_b32 v4, v25, 7, v4
	v_lshlrev_b32_e32 v39, 16, v16
	v_and_b32_e32 v40, 0xffff0000, v16
	v_lshlrev_b32_e32 v41, 16, v17
	v_and_b32_e32 v42, 0xffff0000, v17
	;; [unrolled: 2-line block ×4, first 2 shown]
	s_waitcnt lgkmcnt(0)
	v_lshlrev_b32_e32 v63, 16, v12
	v_and_b32_e32 v64, 0xffff0000, v12
	v_lshlrev_b32_e32 v65, 16, v13
	v_and_b32_e32 v66, 0xffff0000, v13
	;; [unrolled: 2-line block ×4, first 2 shown]
	s_mov_b32 s41, s13
	v_cmp_neq_f32_e64 s[2:3], s10, 0
	v_add_u32_e32 v76, 0xd0, v4
	s_mov_b64 s[36:37], 0
	s_movk_i32 s42, 0x1000
	v_mov_b32_e32 v71, 0xff7fffff
	v_mov_b32_e32 v77, v10
	s_branch .LBB184_10
.LBB184_9:                              ;   in Loop: Header=BB184_10 Depth=1
	s_or_b64 exec, exec, s[38:39]
	v_add_u32_e32 v77, 2, v77
	v_cmp_le_i32_e64 s[4:5], s23, v77
	s_or_b64 s[36:37], s[4:5], s[36:37]
	v_add_co_u32_e64 v2, s[4:5], 8, v2
	v_add_u32_e32 v75, 64, v75
	v_add_u32_e32 v76, 0x100, v76
	v_addc_co_u32_e64 v3, s[4:5], 0, v3, s[4:5]
	s_andn2_b64 exec, exec, s[36:37]
	s_cbranch_execz .LBB184_12
.LBB184_10:                             ; =>This Inner Loop Header: Depth=1
	global_load_dword v4, v[2:3], off
	s_waitcnt vmcnt(0) lgkmcnt(0)
	v_mad_i64_i32 v[4:5], s[4:5], v4, s41, 0
	v_lshlrev_b64 v[4:5], 1, v[4:5]
	v_add_co_u32_e64 v78, s[4:5], v72, v4
	v_addc_co_u32_e64 v79, s[4:5], v73, v5, s[4:5]
	global_load_dwordx2 v[12:13], v[78:79], off
	global_load_dwordx2 v[8:9], v[78:79], off offset:512
	global_load_dwordx2 v[6:7], v[78:79], off offset:1024
	;; [unrolled: 1-line block ×7, first 2 shown]
	v_add_co_u32_e64 v78, s[4:5], s42, v78
	v_addc_co_u32_e64 v79, s[4:5], 0, v79, s[4:5]
	global_load_dwordx2 v[82:83], v[78:79], off
	global_load_dwordx2 v[84:85], v[78:79], off offset:512
	global_load_dwordx2 v[86:87], v[78:79], off offset:1024
	s_nop 0
	global_load_dwordx2 v[78:79], v[78:79], off offset:1536
	s_waitcnt vmcnt(11)
	v_lshlrev_b32_e32 v88, 16, v12
	s_waitcnt vmcnt(10)
	v_lshlrev_b32_e32 v90, 16, v8
	v_and_b32_e32 v8, 0xffff0000, v8
	v_and_b32_e32 v12, 0xffff0000, v12
	v_lshlrev_b32_e32 v91, 16, v9
	v_mul_f32_e32 v90, v27, v90
	v_mul_f32_e32 v8, v28, v8
	v_lshlrev_b32_e32 v89, 16, v13
	v_and_b32_e32 v9, 0xffff0000, v9
	s_waitcnt vmcnt(9)
	v_lshlrev_b32_e32 v92, 16, v6
	v_and_b32_e32 v6, 0xffff0000, v6
	v_mul_f32_e32 v91, v29, v91
	v_fmac_f32_e32 v90, v1, v88
	v_fmac_f32_e32 v8, v20, v12
	v_and_b32_e32 v13, 0xffff0000, v13
	v_lshlrev_b32_e32 v93, 16, v7
	s_waitcnt vmcnt(8)
	v_lshlrev_b32_e32 v94, 16, v4
	v_and_b32_e32 v4, 0xffff0000, v4
	v_mul_f32_e32 v9, v30, v9
	v_fmac_f32_e32 v91, v24, v89
	v_fmac_f32_e32 v90, v31, v92
	v_fmac_f32_e32 v8, v32, v6
	v_and_b32_e32 v7, 0xffff0000, v7
	v_lshlrev_b32_e32 v95, 16, v5
	s_waitcnt vmcnt(7)
	v_lshlrev_b32_e32 v96, 16, v18
	v_and_b32_e32 v18, 0xffff0000, v18
	v_fmac_f32_e32 v9, v26, v13
	v_fmac_f32_e32 v91, v33, v93
	v_fmac_f32_e32 v90, v35, v94
	v_fmac_f32_e32 v8, v36, v4
	v_and_b32_e32 v5, 0xffff0000, v5
	v_lshlrev_b32_e32 v97, 16, v19
	s_waitcnt vmcnt(6)
	v_lshlrev_b32_e32 v98, 16, v16
	v_and_b32_e32 v16, 0xffff0000, v16
	v_fmac_f32_e32 v9, v34, v7
	;; [unrolled: 9-line block ×8, first 2 shown]
	v_fmac_f32_e32 v91, v61, v107
	v_fmac_f32_e32 v90, v63, v108
	;; [unrolled: 1-line block ×3, first 2 shown]
	v_and_b32_e32 v87, 0xffff0000, v87
	v_lshlrev_b32_e32 v111, 16, v79
	v_fmac_f32_e32 v9, v62, v85
	v_fmac_f32_e32 v91, v65, v109
	;; [unrolled: 1-line block ×4, first 2 shown]
	v_and_b32_e32 v79, 0xffff0000, v79
	v_fmac_f32_e32 v9, v66, v87
	v_fmac_f32_e32 v91, v69, v111
	v_add_f32_e32 v4, v90, v8
	v_fmac_f32_e32 v9, v70, v79
	v_add_f32_e32 v4, v4, v91
	v_add_f32_e32 v4, v9, v4
	ds_bpermute_b32 v5, v74, v4
	s_and_saveexec_b64 s[38:39], vcc
	s_cbranch_execz .LBB184_9
; %bb.11:                               ;   in Loop: Header=BB184_10 Depth=1
	v_add_u32_e32 v6, s15, v75
	v_cvt_f32_i32_e32 v6, v6
	s_waitcnt lgkmcnt(0)
	v_add_f32_e32 v4, v4, v5
	v_cmp_gt_i32_e64 s[4:5], s33, v75
	v_max_f32_e32 v5, v71, v71
	v_mul_f32_e32 v6, s10, v6
	v_cndmask_b32_e64 v6, 0, v6, s[2:3]
	v_fmac_f32_e32 v6, s11, v4
	v_cndmask_b32_e64 v4, 0, v6, s[4:5]
	ds_write_b32 v76, v4
	v_max_f32_e32 v4, v5, v6
	v_cndmask_b32_e64 v71, v71, v4, s[4:5]
	s_branch .LBB184_9
.LBB184_12:
	s_or_b64 exec, exec, s[36:37]
.LBB184_13:
	s_or_b64 exec, exec, s[34:35]
	v_xor_b32_e32 v1, 32, v22
	v_cmp_lt_i32_e32 vcc, v1, v21
	v_cndmask_b32_e32 v1, v22, v1, vcc
	v_lshlrev_b32_e32 v2, 2, v1
	ds_bpermute_b32 v1, v2, v71
	v_xor_b32_e32 v4, 16, v22
	v_max_f32_e32 v3, v71, v71
	v_cmp_lt_i32_e32 vcc, v4, v21
	s_waitcnt lgkmcnt(0)
	v_xor_b32_e32 v5, 8, v22
	v_max_f32_e32 v1, v1, v1
	v_max_f32_e32 v1, v3, v1
	v_cndmask_b32_e32 v3, v22, v4, vcc
	v_lshlrev_b32_e32 v3, 2, v3
	ds_bpermute_b32 v4, v3, v1
	v_cmp_lt_i32_e32 vcc, v5, v21
	v_xor_b32_e32 v6, 4, v22
	v_xor_b32_e32 v7, 2, v22
	s_waitcnt lgkmcnt(0)
	v_max_f32_e32 v4, v4, v4
	v_max_f32_e32 v1, v1, v4
	v_cndmask_b32_e32 v4, v22, v5, vcc
	v_lshlrev_b32_e32 v5, 2, v4
	ds_bpermute_b32 v4, v5, v1
	v_cmp_lt_i32_e32 vcc, v6, v21
	s_waitcnt lgkmcnt(0)
	v_max_f32_e32 v4, v4, v4
	v_max_f32_e32 v1, v1, v4
	v_cndmask_b32_e32 v4, v22, v6, vcc
	v_lshlrev_b32_e32 v6, 2, v4
	ds_bpermute_b32 v4, v6, v1
	v_cmp_lt_i32_e32 vcc, v7, v21
	s_waitcnt lgkmcnt(0)
	v_max_f32_e32 v4, v4, v4
	v_max_f32_e32 v4, v1, v4
	v_cndmask_b32_e32 v1, v22, v7, vcc
	v_lshlrev_b32_e32 v20, 2, v1
	ds_bpermute_b32 v8, v20, v4
	v_and_b32_e32 v1, 63, v0
	v_cmp_eq_u32_e32 vcc, 0, v1
	v_lshlrev_b32_e32 v7, 2, v25
	s_and_saveexec_b64 s[2:3], vcc
	s_cbranch_execz .LBB184_15
; %bb.14:
	s_waitcnt lgkmcnt(0)
	v_max_f32_e32 v8, v8, v8
	v_max_f32_e32 v4, v4, v4
	;; [unrolled: 1-line block ×3, first 2 shown]
	ds_write_b32 v7, v4 offset:192
.LBB184_15:
	s_or_b64 exec, exec, s[2:3]
	v_cmp_gt_u32_e64 s[2:3], 2, v1
	v_mov_b32_e32 v4, 0xff7fffff
	s_waitcnt lgkmcnt(0)
	v_lshlrev_b32_e32 v8, 2, v1
	s_barrier
	s_and_saveexec_b64 s[4:5], s[2:3]
	s_cbranch_execz .LBB184_17
; %bb.16:
	ds_read_b32 v4, v8 offset:192
.LBB184_17:
	s_or_b64 exec, exec, s[4:5]
	v_xor_b32_e32 v9, 1, v22
	v_cmp_lt_i32_e64 s[4:5], v9, v21
	v_cndmask_b32_e64 v9, v22, v9, s[4:5]
	v_lshlrev_b32_e32 v21, 2, v9
	s_waitcnt lgkmcnt(0)
	ds_bpermute_b32 v9, v21, v4
	v_max_f32_e32 v4, v4, v4
	s_sub_i32 s4, s23, s9
	s_lshl_b32 s4, s4, 5
	s_add_i32 s4, s4, s40
	s_waitcnt lgkmcnt(0)
	v_max_f32_e32 v9, v9, v9
	v_max_f32_e32 v4, v4, v9
	v_lshlrev_b32_e32 v9, 2, v22
	v_and_b32_e32 v9, 0xffffff00, v9
	ds_bpermute_b32 v4, v9, v4
	s_min_i32 s15, s4, s33
	s_sub_i32 s9, s15, s40
	v_cmp_gt_i32_e64 s[4:5], s9, v0
	v_mov_b32_e32 v12, 0
	s_and_saveexec_b64 s[34:35], s[4:5]
	s_cbranch_execz .LBB184_21
; %bb.18:
	v_mov_b32_e32 v12, 0xd0
	v_lshl_add_u32 v13, v0, 2, v12
	s_mov_b64 s[36:37], 0
	v_mov_b32_e32 v12, 0
	v_mov_b32_e32 v14, v0
.LBB184_19:                             ; =>This Inner Loop Header: Depth=1
	ds_read_b32 v15, v13
	v_add_u32_e32 v14, 0x80, v14
	v_cmp_le_i32_e64 s[10:11], s9, v14
	s_or_b64 s[36:37], s[10:11], s[36:37]
	s_waitcnt lgkmcnt(0)
	v_sub_f32_e32 v15, v15, v4
	v_mul_f32_e32 v15, 0x3fb8aa3b, v15
	v_exp_f32_e32 v15, v15
	ds_write_b32 v13, v15
	v_add_f32_e32 v12, v12, v15
	v_add_u32_e32 v13, 0x200, v13
	s_andn2_b64 exec, exec, s[36:37]
	s_cbranch_execnz .LBB184_19
; %bb.20:
	s_or_b64 exec, exec, s[36:37]
.LBB184_21:
	s_or_b64 exec, exec, s[34:35]
	ds_bpermute_b32 v2, v2, v12
	s_waitcnt lgkmcnt(0)
	v_add_f32_e32 v2, v12, v2
	ds_bpermute_b32 v3, v3, v2
	s_waitcnt lgkmcnt(0)
	v_add_f32_e32 v2, v2, v3
	;; [unrolled: 3-line block ×6, first 2 shown]
	s_and_saveexec_b64 s[10:11], vcc
	s_cbranch_execz .LBB184_23
; %bb.22:
	ds_write_b32 v7, v2 offset:200
.LBB184_23:
	s_or_b64 exec, exec, s[10:11]
	s_waitcnt lgkmcnt(0)
	s_barrier
	s_and_saveexec_b64 s[10:11], s[2:3]
	s_cbranch_execz .LBB184_25
; %bb.24:
	ds_read_b32 v2, v8 offset:200
.LBB184_25:
	s_or_b64 exec, exec, s[10:11]
	s_waitcnt lgkmcnt(0)
	ds_bpermute_b32 v3, v21, v2
	s_waitcnt lgkmcnt(0)
	v_add_f32_e32 v2, v2, v3
	ds_bpermute_b32 v5, v9, v2
	s_and_saveexec_b64 s[2:3], s[4:5]
	s_cbranch_execz .LBB184_38
; %bb.26:
	s_waitcnt lgkmcnt(0)
	v_add_f32_e32 v2, 0x358637bd, v5
	v_div_scale_f32 v3, s[4:5], v2, v2, 1.0
	v_rcp_f32_e32 v6, v3
	v_div_scale_f32 v7, vcc, 1.0, v2, 1.0
	s_movk_i32 s4, 0x7f
	v_fma_f32 v8, -v3, v6, 1.0
	v_fmac_f32_e32 v6, v8, v6
	v_mul_f32_e32 v8, v7, v6
	v_fma_f32 v9, -v3, v8, v7
	v_fmac_f32_e32 v8, v9, v6
	v_fma_f32 v3, -v3, v8, v7
	v_div_fmas_f32 v3, v3, v6, v8
	v_div_fixup_f32 v2, v3, v2, 1.0
	v_xad_u32 v3, v0, -1, s15
	v_subrev_u32_e32 v6, s40, v3
	v_cmp_lt_u32_e32 vcc, s4, v6
	s_mov_b64 s[10:11], -1
	v_mov_b32_e32 v3, v0
	s_and_saveexec_b64 s[4:5], vcc
	s_cbranch_execz .LBB184_35
; %bb.27:
	v_lshrrev_b32_e32 v6, 7, v6
	v_add_u32_e32 v8, -1, v6
	v_lshrrev_b32_e32 v7, 1, v8
	v_mov_b32_e32 v3, v2
	v_add_u32_e32 v7, 1, v7
	v_cmp_lt_u32_e32 vcc, 13, v8
	v_mov_b32_e32 v12, 0
	s_and_saveexec_b64 s[10:11], vcc
	s_cbranch_execz .LBB184_31
; %bb.28:
	v_mov_b32_e32 v9, 0xd0
	v_and_b32_e32 v8, -8, v7
	v_lshl_add_u32 v9, v0, 2, v9
	s_mov_b32 s15, 0
	s_mov_b64 s[34:35], 0
.LBB184_29:                             ; =>This Inner Loop Header: Depth=1
	ds_read2st64_b32 v[12:13], v9 offset1:2
	ds_read2st64_b32 v[14:15], v9 offset0:4 offset1:6
	ds_read2st64_b32 v[16:17], v9 offset0:8 offset1:10
	;; [unrolled: 1-line block ×3, first 2 shown]
	v_add_u32_e32 v8, -8, v8
	s_waitcnt lgkmcnt(3)
	v_pk_mul_f32 v[12:13], v[2:3], v[12:13]
	s_waitcnt lgkmcnt(2)
	v_pk_mul_f32 v[14:15], v[2:3], v[14:15]
	ds_write2st64_b32 v9, v12, v13 offset1:2
	ds_write2st64_b32 v9, v14, v15 offset0:4 offset1:6
	ds_read2st64_b32 v[14:15], v9 offset0:16 offset1:18
	s_waitcnt lgkmcnt(4)
	v_pk_mul_f32 v[12:13], v[2:3], v[16:17]
	ds_write2st64_b32 v9, v12, v13 offset0:8 offset1:10
	s_waitcnt lgkmcnt(4)
	v_pk_mul_f32 v[12:13], v[2:3], v[18:19]
	ds_write2st64_b32 v9, v12, v13 offset0:12 offset1:14
	ds_read2st64_b32 v[12:13], v9 offset0:20 offset1:22
	s_waitcnt lgkmcnt(3)
	v_pk_mul_f32 v[14:15], v[2:3], v[14:15]
	ds_read2st64_b32 v[16:17], v9 offset0:24 offset1:26
	ds_write2st64_b32 v9, v14, v15 offset0:16 offset1:18
	ds_read2st64_b32 v[14:15], v9 offset0:28 offset1:30
	s_waitcnt lgkmcnt(3)
	v_pk_mul_f32 v[12:13], v[2:3], v[12:13]
	ds_write2st64_b32 v9, v12, v13 offset0:20 offset1:22
	s_waitcnt lgkmcnt(3)
	v_pk_mul_f32 v[12:13], v[2:3], v[16:17]
	ds_write2st64_b32 v9, v12, v13 offset0:24 offset1:26
	s_waitcnt lgkmcnt(2)
	v_pk_mul_f32 v[12:13], v[2:3], v[14:15]
	s_add_i32 s15, s15, 16
	v_cmp_eq_u32_e32 vcc, 0, v8
	ds_write2st64_b32 v9, v12, v13 offset0:28 offset1:30
	v_add_u32_e32 v9, 0x2000, v9
	s_or_b64 s[34:35], vcc, s[34:35]
	v_mov_b32_e32 v12, s15
	s_andn2_b64 exec, exec, s[34:35]
	s_cbranch_execnz .LBB184_29
; %bb.30:
	s_or_b64 exec, exec, s[34:35]
.LBB184_31:
	s_or_b64 exec, exec, s[10:11]
	v_and_b32_e32 v7, 7, v7
	v_cmp_ne_u32_e32 vcc, 0, v7
	s_and_saveexec_b64 s[10:11], vcc
	s_cbranch_execz .LBB184_34
; %bb.32:
	v_lshlrev_b32_e32 v8, 9, v12
	v_lshlrev_b32_e32 v9, 2, v0
	s_movk_i32 s15, 0xd0
	v_add3_u32 v8, v8, v9, s15
	s_mov_b64 s[34:35], 0
.LBB184_33:                             ; =>This Inner Loop Header: Depth=1
	ds_read2st64_b32 v[12:13], v8 offset1:2
	v_add_u32_e32 v7, -1, v7
	v_cmp_eq_u32_e32 vcc, 0, v7
	s_or_b64 s[34:35], vcc, s[34:35]
	s_waitcnt lgkmcnt(0)
	v_pk_mul_f32 v[12:13], v[2:3], v[12:13]
	ds_write2st64_b32 v8, v12, v13 offset1:2
	v_add_u32_e32 v8, 0x400, v8
	s_andn2_b64 exec, exec, s[34:35]
	s_cbranch_execnz .LBB184_33
.LBB184_34:
	s_or_b64 exec, exec, s[10:11]
	v_add_u32_e32 v6, 1, v6
	v_and_b32_e32 v7, 0x3fffffe, v6
	v_cmp_ne_u32_e32 vcc, v6, v7
	v_lshl_add_u32 v3, v7, 7, v0
	s_orn2_b64 s[10:11], vcc, exec
.LBB184_35:
	s_or_b64 exec, exec, s[4:5]
	s_and_b64 exec, exec, s[10:11]
	s_cbranch_execz .LBB184_38
; %bb.36:
	v_mov_b32_e32 v6, 0xd0
	v_lshl_add_u32 v6, v3, 2, v6
	s_mov_b64 s[4:5], 0
.LBB184_37:                             ; =>This Inner Loop Header: Depth=1
	ds_read_b32 v7, v6
	v_add_u32_e32 v3, 0x80, v3
	v_cmp_le_i32_e32 vcc, s9, v3
	s_or_b64 s[4:5], vcc, s[4:5]
	s_waitcnt lgkmcnt(0)
	v_mul_f32_e32 v7, v2, v7
	ds_write_b32 v6, v7
	v_add_u32_e32 v6, 0x200, v6
	s_andn2_b64 exec, exec, s[4:5]
	s_cbranch_execnz .LBB184_37
.LBB184_38:
	s_or_b64 exec, exec, s[2:3]
	v_cmp_eq_u32_e32 vcc, 0, v0
	s_waitcnt lgkmcnt(0)
	s_barrier
	s_and_saveexec_b64 s[2:3], vcc
	s_cbranch_execz .LBB184_40
; %bb.39:
	s_mul_i32 s4, s12, s20
	s_mul_i32 s4, s4, s21
	s_ashr_i32 s5, s4, 31
	s_lshl_b64 s[4:5], s[4:5], 2
	s_add_u32 s9, s18, s4
	s_mul_i32 s10, s12, s6
	s_addc_u32 s15, s19, s5
	s_ashr_i32 s11, s10, 31
	s_lshl_b64 s[10:11], s[10:11], 2
	s_add_u32 s6, s9, s10
	s_addc_u32 s15, s15, s11
	s_ashr_i32 s9, s8, 31
	s_lshl_b64 s[18:19], s[8:9], 2
	s_add_u32 s34, s6, s18
	s_addc_u32 s35, s15, s19
	s_add_u32 s4, s16, s4
	s_addc_u32 s5, s17, s5
	s_add_u32 s4, s4, s10
	s_addc_u32 s5, s5, s11
	s_add_u32 s4, s4, s18
	v_mov_b32_e32 v2, 0
	s_addc_u32 s5, s5, s19
	global_store_dword v2, v4, s[34:35]
	global_store_dword v2, v5, s[4:5]
.LBB184_40:
	s_or_b64 exec, exec, s[2:3]
	v_mov_b32_e32 v13, 0
	v_and_b32_e32 v22, 3, v0
	v_mov_b32_e32 v12, 0
	v_mov_b32_e32 v15, 0
	;; [unrolled: 1-line block ×5, first 2 shown]
	s_and_saveexec_b64 s[2:3], s[0:1]
	s_cbranch_execz .LBB184_280
; %bb.41:
	s_ashr_i32 s15, s14, 31
	s_lshl_b64 s[0:1], s[14:15], 1
	s_add_u32 s10, s30, s0
	v_and_b32_e32 v3, 24, v23
	s_mov_b32 s9, s13
	s_addc_u32 s11, s31, s1
	s_add_i32 s13, s7, -1
	v_lshl_add_u32 v5, v25, 5, s40
	s_lshl_b64 s[0:1], s[28:29], 2
	v_add3_u32 v24, v5, v3, 7
	v_lshlrev_b32_e32 v3, 5, v22
	s_add_u32 s0, s26, s0
	v_and_b32_e32 v2, 0x1f8, v23
	v_lshl_or_b32 v3, v25, 7, v3
	v_lshlrev_b64 v[8:9], 2, v[10:11]
	s_addc_u32 s1, s27, s1
	v_or_b32_e32 v4, 0x800, v2
	v_or_b32_e32 v6, 0xa00, v2
	v_add_u32_e32 v25, 0xd0, v3
	v_mov_b32_e32 v3, s1
	v_add_co_u32_e32 v18, vcc, s0, v8
	v_mov_b32_e32 v23, 0
	v_addc_co_u32_e32 v19, vcc, v3, v9, vcc
	s_mov_b64 s[4:5], 0
	s_mov_b32 s14, 0x7f800000
	s_movk_i32 s15, 0x7fff
	v_lshlrev_b32_e32 v11, 1, v2
	v_lshlrev_b32_e32 v26, 1, v4
	;; [unrolled: 1-line block ×3, first 2 shown]
	v_mov_b32_e32 v16, 0
	v_mov_b32_e32 v17, 0
	;; [unrolled: 1-line block ×6, first 2 shown]
	s_branch .LBB184_43
.LBB184_42:                             ;   in Loop: Header=BB184_43 Depth=1
	s_or_b64 exec, exec, s[0:1]
	v_and_b32_e32 v39, 0xffff0000, v40
	v_and_b32_e32 v41, 0xffff0000, v29
	;; [unrolled: 1-line block ×8, first 2 shown]
	v_pk_add_f32 v[8:9], v[8:9], v[40:41]
	v_pk_add_f32 v[28:29], v[30:31], v[38:39]
	v_add_f32_e32 v8, v8, v9
	v_add_f32_e32 v8, v8, v28
	v_add_f32_e32 v8, v8, v29
	v_and_b32_e32 v31, 0xffff0000, v54
	v_and_b32_e32 v30, 0xffff0000, v52
	v_and_b32_e32 v39, 0xffff0000, v53
	v_and_b32_e32 v38, 0xffff0000, v51
	v_add_f32_e32 v16, v16, v8
	v_and_b32_e32 v9, 0xffff0000, v58
	v_and_b32_e32 v8, 0xffff0000, v56
	v_and_b32_e32 v29, 0xffff0000, v57
	v_and_b32_e32 v28, 0xffff0000, v55
	v_pk_add_f32 v[30:31], v[38:39], v[30:31]
	v_pk_add_f32 v[8:9], v[28:29], v[8:9]
	v_add_f32_e32 v28, v30, v31
	v_add_f32_e32 v8, v28, v8
	v_add_f32_e32 v8, v8, v9
	v_and_b32_e32 v31, 0xffff0000, v62
	v_and_b32_e32 v30, 0xffff0000, v60
	v_and_b32_e32 v39, 0xffff0000, v61
	v_and_b32_e32 v38, 0xffff0000, v59
	v_add_f32_e32 v17, v17, v8
	v_and_b32_e32 v9, 0xffff0000, v66
	v_and_b32_e32 v8, 0xffff0000, v64
	v_and_b32_e32 v29, 0xffff0000, v65
	v_and_b32_e32 v28, 0xffff0000, v63
	;; [unrolled: 14-line block ×5, first 2 shown]
	v_pk_add_f32 v[2:3], v[2:3], v[8:9]
	v_pk_add_f32 v[4:5], v[4:5], v[6:7]
	v_add_f32_e32 v2, v2, v3
	v_add_u32_e32 v10, 2, v10
	v_add_f32_e32 v2, v2, v4
	v_cmp_le_i32_e32 vcc, s23, v10
	v_add_f32_e32 v2, v2, v5
	s_or_b64 s[4:5], vcc, s[4:5]
	v_add_co_u32_e32 v18, vcc, 8, v18
	v_add_f32_e32 v13, v13, v2
	v_add_u32_e32 v24, 64, v24
	v_add_u32_e32 v25, 0x100, v25
	v_addc_co_u32_e32 v19, vcc, 0, v19, vcc
	s_andn2_b64 exec, exec, s[4:5]
	s_cbranch_execz .LBB184_279
.LBB184_43:                             ; =>This Inner Loop Header: Depth=1
	global_load_dword v33, v[18:19], off
	ds_read2_b64 v[6:9], v25 offset1:1
	ds_read2_b64 v[2:5], v25 offset0:2 offset1:3
                                        ; implicit-def: $vgpr43
	s_waitcnt lgkmcnt(1)
	v_and_b32_e32 v28, 0x7f800000, v6
	v_cmp_ne_u32_e32 vcc, s14, v28
	s_and_saveexec_b64 s[0:1], vcc
	s_xor_b64 s[0:1], exec, s[0:1]
; %bb.44:                               ;   in Loop: Header=BB184_43 Depth=1
	v_bfe_u32 v28, v6, 16, 1
	v_add3_u32 v43, v6, v28, s15
; %bb.45:                               ;   in Loop: Header=BB184_43 Depth=1
	s_andn2_saveexec_b64 s[0:1], s[0:1]
; %bb.46:                               ;   in Loop: Header=BB184_43 Depth=1
	v_or_b32_e32 v28, 0x10000, v6
	v_cmp_eq_u32_sdwa vcc, v6, v23 src0_sel:WORD_0 src1_sel:DWORD
	v_cndmask_b32_e32 v43, v28, v6, vcc
; %bb.47:                               ;   in Loop: Header=BB184_43 Depth=1
	s_or_b64 exec, exec, s[0:1]
	v_and_b32_e32 v6, 0x7f800000, v7
	v_cmp_ne_u32_e32 vcc, s14, v6
                                        ; implicit-def: $vgpr44
	s_and_saveexec_b64 s[0:1], vcc
	s_xor_b64 s[0:1], exec, s[0:1]
; %bb.48:                               ;   in Loop: Header=BB184_43 Depth=1
	v_bfe_u32 v6, v7, 16, 1
	v_add3_u32 v44, v7, v6, s15
; %bb.49:                               ;   in Loop: Header=BB184_43 Depth=1
	s_andn2_saveexec_b64 s[0:1], s[0:1]
; %bb.50:                               ;   in Loop: Header=BB184_43 Depth=1
	v_or_b32_e32 v6, 0x10000, v7
	v_cmp_eq_u32_sdwa vcc, v7, v23 src0_sel:WORD_0 src1_sel:DWORD
	v_cndmask_b32_e32 v44, v6, v7, vcc
; %bb.51:                               ;   in Loop: Header=BB184_43 Depth=1
	s_or_b64 exec, exec, s[0:1]
	v_and_b32_e32 v6, 0x7f800000, v8
	v_cmp_ne_u32_e32 vcc, s14, v6
                                        ; implicit-def: $vgpr28
	s_and_saveexec_b64 s[0:1], vcc
	s_xor_b64 s[0:1], exec, s[0:1]
; %bb.52:                               ;   in Loop: Header=BB184_43 Depth=1
	v_bfe_u32 v6, v8, 16, 1
	v_add3_u32 v28, v8, v6, s15
; %bb.53:                               ;   in Loop: Header=BB184_43 Depth=1
	s_andn2_saveexec_b64 s[0:1], s[0:1]
; %bb.54:                               ;   in Loop: Header=BB184_43 Depth=1
	v_or_b32_e32 v6, 0x10000, v8
	v_cmp_eq_u32_sdwa vcc, v8, v23 src0_sel:WORD_0 src1_sel:DWORD
	v_cndmask_b32_e32 v28, v6, v8, vcc
; %bb.55:                               ;   in Loop: Header=BB184_43 Depth=1
	s_or_b64 exec, exec, s[0:1]
	v_and_b32_e32 v6, 0x7f800000, v9
	v_cmp_ne_u32_e32 vcc, s14, v6
                                        ; implicit-def: $vgpr29
	s_and_saveexec_b64 s[0:1], vcc
	s_xor_b64 s[0:1], exec, s[0:1]
; %bb.56:                               ;   in Loop: Header=BB184_43 Depth=1
	v_bfe_u32 v6, v9, 16, 1
	v_add3_u32 v29, v9, v6, s15
                                        ; implicit-def: $vgpr6_vgpr7_vgpr8_vgpr9
; %bb.57:                               ;   in Loop: Header=BB184_43 Depth=1
	s_andn2_saveexec_b64 s[0:1], s[0:1]
; %bb.58:                               ;   in Loop: Header=BB184_43 Depth=1
	v_or_b32_e32 v6, 0x10000, v9
	v_cmp_eq_u32_sdwa vcc, v9, v23 src0_sel:WORD_0 src1_sel:DWORD
	v_cndmask_b32_e32 v29, v6, v9, vcc
; %bb.59:                               ;   in Loop: Header=BB184_43 Depth=1
	s_or_b64 exec, exec, s[0:1]
	s_waitcnt lgkmcnt(0)
	v_and_b32_e32 v6, 0x7f800000, v2
	v_cmp_ne_u32_e32 vcc, s14, v6
                                        ; implicit-def: $vgpr30
	s_and_saveexec_b64 s[0:1], vcc
	s_xor_b64 s[0:1], exec, s[0:1]
; %bb.60:                               ;   in Loop: Header=BB184_43 Depth=1
	v_bfe_u32 v6, v2, 16, 1
	v_add3_u32 v30, v2, v6, s15
; %bb.61:                               ;   in Loop: Header=BB184_43 Depth=1
	s_andn2_saveexec_b64 s[0:1], s[0:1]
; %bb.62:                               ;   in Loop: Header=BB184_43 Depth=1
	v_or_b32_e32 v6, 0x10000, v2
	v_cmp_eq_u32_sdwa vcc, v2, v23 src0_sel:WORD_0 src1_sel:DWORD
	v_cndmask_b32_e32 v30, v6, v2, vcc
; %bb.63:                               ;   in Loop: Header=BB184_43 Depth=1
	s_or_b64 exec, exec, s[0:1]
	v_and_b32_e32 v2, 0x7f800000, v3
	v_cmp_ne_u32_e32 vcc, s14, v2
                                        ; implicit-def: $vgpr31
	s_and_saveexec_b64 s[0:1], vcc
	s_xor_b64 s[0:1], exec, s[0:1]
; %bb.64:                               ;   in Loop: Header=BB184_43 Depth=1
	v_bfe_u32 v2, v3, 16, 1
	v_add3_u32 v31, v3, v2, s15
; %bb.65:                               ;   in Loop: Header=BB184_43 Depth=1
	s_andn2_saveexec_b64 s[0:1], s[0:1]
; %bb.66:                               ;   in Loop: Header=BB184_43 Depth=1
	v_or_b32_e32 v2, 0x10000, v3
	v_cmp_eq_u32_sdwa vcc, v3, v23 src0_sel:WORD_0 src1_sel:DWORD
	v_cndmask_b32_e32 v31, v2, v3, vcc
; %bb.67:                               ;   in Loop: Header=BB184_43 Depth=1
	s_or_b64 exec, exec, s[0:1]
	v_and_b32_e32 v2, 0x7f800000, v4
	v_cmp_ne_u32_e32 vcc, s14, v2
                                        ; implicit-def: $vgpr32
	s_and_saveexec_b64 s[0:1], vcc
	s_xor_b64 s[0:1], exec, s[0:1]
; %bb.68:                               ;   in Loop: Header=BB184_43 Depth=1
	v_bfe_u32 v2, v4, 16, 1
	v_add3_u32 v32, v4, v2, s15
; %bb.69:                               ;   in Loop: Header=BB184_43 Depth=1
	s_andn2_saveexec_b64 s[0:1], s[0:1]
; %bb.70:                               ;   in Loop: Header=BB184_43 Depth=1
	v_or_b32_e32 v2, 0x10000, v4
	v_cmp_eq_u32_sdwa vcc, v4, v23 src0_sel:WORD_0 src1_sel:DWORD
	v_cndmask_b32_e32 v32, v2, v4, vcc
; %bb.71:                               ;   in Loop: Header=BB184_43 Depth=1
	s_or_b64 exec, exec, s[0:1]
	v_and_b32_e32 v2, 0x7f800000, v5
	v_cmp_ne_u32_e32 vcc, s14, v2
                                        ; implicit-def: $vgpr40
	s_and_saveexec_b64 s[0:1], vcc
	s_xor_b64 s[0:1], exec, s[0:1]
; %bb.72:                               ;   in Loop: Header=BB184_43 Depth=1
	v_bfe_u32 v2, v5, 16, 1
	v_add3_u32 v40, v5, v2, s15
                                        ; implicit-def: $vgpr2_vgpr3_vgpr4_vgpr5
; %bb.73:                               ;   in Loop: Header=BB184_43 Depth=1
	s_andn2_saveexec_b64 s[0:1], s[0:1]
; %bb.74:                               ;   in Loop: Header=BB184_43 Depth=1
	v_or_b32_e32 v2, 0x10000, v5
	v_cmp_eq_u32_sdwa vcc, v5, v23 src0_sel:WORD_0 src1_sel:DWORD
	v_cndmask_b32_e32 v40, v2, v5, vcc
; %bb.75:                               ;   in Loop: Header=BB184_43 Depth=1
	s_or_b64 exec, exec, s[0:1]
	s_waitcnt vmcnt(0)
	v_mad_i64_i32 v[2:3], s[0:1], v33, s9, 0
	v_lshlrev_b64 v[2:3], 1, v[2:3]
	v_mov_b32_e32 v4, s11
	v_add_co_u32_e32 v41, vcc, s10, v2
	v_addc_co_u32_e32 v42, vcc, v4, v3, vcc
	v_add_co_u32_e32 v6, vcc, v41, v11
	v_addc_co_u32_e32 v7, vcc, 0, v42, vcc
	global_load_dwordx4 v[2:5], v[6:7], off
	v_add_u32_e32 v33, -7, v24
	v_cmp_eq_u32_e32 vcc, s13, v10
	v_add_u32_e32 v39, -6, v24
	v_add_u32_e32 v37, -5, v24
	;; [unrolled: 1-line block ×6, first 2 shown]
	s_waitcnt vmcnt(0)
	v_lshrrev_b32_e32 v9, 16, v2
	v_lshrrev_b32_e32 v47, 16, v3
	;; [unrolled: 1-line block ×4, first 2 shown]
	s_and_saveexec_b64 s[6:7], vcc
	s_cbranch_execz .LBB184_77
; %bb.76:                               ;   in Loop: Header=BB184_43 Depth=1
	v_cmp_gt_i32_e64 s[0:1], s33, v33
	v_cndmask_b32_e64 v2, 0, v2, s[0:1]
	v_cmp_gt_i32_e64 s[0:1], s33, v39
	v_cndmask_b32_e64 v9, 0, v9, s[0:1]
	;; [unrolled: 2-line block ×8, first 2 shown]
.LBB184_77:                             ;   in Loop: Header=BB184_43 Depth=1
	s_or_b64 exec, exec, s[6:7]
	v_and_b32_e32 v43, 0xffff0000, v43
	v_lshlrev_b32_e32 v2, 16, v2
	v_mul_f32_e32 v2, v43, v2
	v_and_b32_e32 v8, 0x7f800000, v2
	v_cmp_ne_u32_e64 s[0:1], s14, v8
                                        ; implicit-def: $vgpr8
	s_and_saveexec_b64 s[6:7], s[0:1]
	s_xor_b64 s[0:1], exec, s[6:7]
; %bb.78:                               ;   in Loop: Header=BB184_43 Depth=1
	v_bfe_u32 v8, v2, 16, 1
	v_add3_u32 v8, v2, v8, s15
                                        ; implicit-def: $vgpr2
; %bb.79:                               ;   in Loop: Header=BB184_43 Depth=1
	s_andn2_saveexec_b64 s[6:7], s[0:1]
; %bb.80:                               ;   in Loop: Header=BB184_43 Depth=1
	v_or_b32_e32 v8, 0x10000, v2
	v_cmp_eq_u32_sdwa s[0:1], v2, v23 src0_sel:WORD_0 src1_sel:DWORD
	v_cndmask_b32_e64 v8, v8, v2, s[0:1]
; %bb.81:                               ;   in Loop: Header=BB184_43 Depth=1
	s_or_b64 exec, exec, s[6:7]
	v_and_b32_e32 v44, 0xffff0000, v44
	v_lshlrev_b32_e32 v2, 16, v9
	v_mul_f32_e32 v2, v44, v2
	v_and_b32_e32 v9, 0x7f800000, v2
	v_cmp_ne_u32_e64 s[0:1], s14, v9
                                        ; implicit-def: $vgpr9
	s_and_saveexec_b64 s[6:7], s[0:1]
	s_xor_b64 s[0:1], exec, s[6:7]
; %bb.82:                               ;   in Loop: Header=BB184_43 Depth=1
	v_bfe_u32 v9, v2, 16, 1
	v_add3_u32 v9, v2, v9, s15
                                        ; implicit-def: $vgpr2
; %bb.83:                               ;   in Loop: Header=BB184_43 Depth=1
	s_andn2_saveexec_b64 s[6:7], s[0:1]
; %bb.84:                               ;   in Loop: Header=BB184_43 Depth=1
	v_or_b32_e32 v9, 0x10000, v2
	v_cmp_eq_u32_sdwa s[0:1], v2, v23 src0_sel:WORD_0 src1_sel:DWORD
	v_cndmask_b32_e64 v9, v9, v2, s[0:1]
; %bb.85:                               ;   in Loop: Header=BB184_43 Depth=1
	s_or_b64 exec, exec, s[6:7]
	v_and_b32_e32 v45, 0xffff0000, v28
	v_lshlrev_b32_e32 v2, 16, v3
	v_mul_f32_e32 v2, v45, v2
	v_and_b32_e32 v3, 0x7f800000, v2
	v_cmp_ne_u32_e64 s[0:1], s14, v3
                                        ; implicit-def: $vgpr28
	s_and_saveexec_b64 s[6:7], s[0:1]
	s_xor_b64 s[0:1], exec, s[6:7]
; %bb.86:                               ;   in Loop: Header=BB184_43 Depth=1
	v_bfe_u32 v3, v2, 16, 1
	v_add3_u32 v28, v2, v3, s15
                                        ; implicit-def: $vgpr2
; %bb.87:                               ;   in Loop: Header=BB184_43 Depth=1
	s_andn2_saveexec_b64 s[6:7], s[0:1]
; %bb.88:                               ;   in Loop: Header=BB184_43 Depth=1
	v_or_b32_e32 v3, 0x10000, v2
	v_cmp_eq_u32_sdwa s[0:1], v2, v23 src0_sel:WORD_0 src1_sel:DWORD
	v_cndmask_b32_e64 v28, v3, v2, s[0:1]
; %bb.89:                               ;   in Loop: Header=BB184_43 Depth=1
	s_or_b64 exec, exec, s[6:7]
	v_and_b32_e32 v46, 0xffff0000, v29
	v_lshlrev_b32_e32 v2, 16, v47
	v_mul_f32_e32 v2, v46, v2
	v_and_b32_e32 v3, 0x7f800000, v2
	v_cmp_ne_u32_e64 s[0:1], s14, v3
                                        ; implicit-def: $vgpr29
	s_and_saveexec_b64 s[6:7], s[0:1]
	s_xor_b64 s[0:1], exec, s[6:7]
; %bb.90:                               ;   in Loop: Header=BB184_43 Depth=1
	v_bfe_u32 v3, v2, 16, 1
	v_add3_u32 v29, v2, v3, s15
                                        ; implicit-def: $vgpr2
; %bb.91:                               ;   in Loop: Header=BB184_43 Depth=1
	s_andn2_saveexec_b64 s[6:7], s[0:1]
; %bb.92:                               ;   in Loop: Header=BB184_43 Depth=1
	v_or_b32_e32 v3, 0x10000, v2
	v_cmp_eq_u32_sdwa s[0:1], v2, v23 src0_sel:WORD_0 src1_sel:DWORD
	v_cndmask_b32_e64 v29, v3, v2, s[0:1]
; %bb.93:                               ;   in Loop: Header=BB184_43 Depth=1
	s_or_b64 exec, exec, s[6:7]
	v_and_b32_e32 v47, 0xffff0000, v30
	v_lshlrev_b32_e32 v2, 16, v4
	v_mul_f32_e32 v2, v47, v2
	v_and_b32_e32 v3, 0x7f800000, v2
	v_cmp_ne_u32_e64 s[0:1], s14, v3
                                        ; implicit-def: $vgpr30
	s_and_saveexec_b64 s[6:7], s[0:1]
	s_xor_b64 s[0:1], exec, s[6:7]
; %bb.94:                               ;   in Loop: Header=BB184_43 Depth=1
	v_bfe_u32 v3, v2, 16, 1
	v_add3_u32 v30, v2, v3, s15
                                        ; implicit-def: $vgpr2
; %bb.95:                               ;   in Loop: Header=BB184_43 Depth=1
	s_andn2_saveexec_b64 s[6:7], s[0:1]
; %bb.96:                               ;   in Loop: Header=BB184_43 Depth=1
	v_or_b32_e32 v3, 0x10000, v2
	v_cmp_eq_u32_sdwa s[0:1], v2, v23 src0_sel:WORD_0 src1_sel:DWORD
	v_cndmask_b32_e64 v30, v3, v2, s[0:1]
; %bb.97:                               ;   in Loop: Header=BB184_43 Depth=1
	s_or_b64 exec, exec, s[6:7]
	v_and_b32_e32 v48, 0xffff0000, v31
	v_lshlrev_b32_e32 v2, 16, v49
	v_mul_f32_e32 v2, v48, v2
	v_and_b32_e32 v3, 0x7f800000, v2
	v_cmp_ne_u32_e64 s[0:1], s14, v3
                                        ; implicit-def: $vgpr31
	s_and_saveexec_b64 s[6:7], s[0:1]
	s_xor_b64 s[0:1], exec, s[6:7]
; %bb.98:                               ;   in Loop: Header=BB184_43 Depth=1
	v_bfe_u32 v3, v2, 16, 1
	v_add3_u32 v31, v2, v3, s15
                                        ; implicit-def: $vgpr2
; %bb.99:                               ;   in Loop: Header=BB184_43 Depth=1
	s_andn2_saveexec_b64 s[6:7], s[0:1]
; %bb.100:                              ;   in Loop: Header=BB184_43 Depth=1
	v_or_b32_e32 v3, 0x10000, v2
	v_cmp_eq_u32_sdwa s[0:1], v2, v23 src0_sel:WORD_0 src1_sel:DWORD
	v_cndmask_b32_e64 v31, v3, v2, s[0:1]
; %bb.101:                              ;   in Loop: Header=BB184_43 Depth=1
	s_or_b64 exec, exec, s[6:7]
	v_and_b32_e32 v49, 0xffff0000, v32
	v_lshlrev_b32_e32 v2, 16, v5
	v_mul_f32_e32 v2, v49, v2
	v_and_b32_e32 v3, 0x7f800000, v2
	v_cmp_ne_u32_e64 s[0:1], s14, v3
                                        ; implicit-def: $vgpr32
	s_and_saveexec_b64 s[6:7], s[0:1]
	s_xor_b64 s[0:1], exec, s[6:7]
; %bb.102:                              ;   in Loop: Header=BB184_43 Depth=1
	v_bfe_u32 v3, v2, 16, 1
	v_add3_u32 v32, v2, v3, s15
                                        ; implicit-def: $vgpr2
; %bb.103:                              ;   in Loop: Header=BB184_43 Depth=1
	s_andn2_saveexec_b64 s[6:7], s[0:1]
; %bb.104:                              ;   in Loop: Header=BB184_43 Depth=1
	v_or_b32_e32 v3, 0x10000, v2
	v_cmp_eq_u32_sdwa s[0:1], v2, v23 src0_sel:WORD_0 src1_sel:DWORD
	v_cndmask_b32_e64 v32, v3, v2, s[0:1]
; %bb.105:                              ;   in Loop: Header=BB184_43 Depth=1
	s_or_b64 exec, exec, s[6:7]
	v_and_b32_e32 v50, 0xffff0000, v40
	v_lshlrev_b32_e32 v2, 16, v51
	v_mul_f32_e32 v2, v50, v2
	v_and_b32_e32 v3, 0x7f800000, v2
	v_cmp_ne_u32_e64 s[0:1], s14, v3
                                        ; implicit-def: $vgpr40
	s_and_saveexec_b64 s[6:7], s[0:1]
	s_xor_b64 s[0:1], exec, s[6:7]
; %bb.106:                              ;   in Loop: Header=BB184_43 Depth=1
	v_bfe_u32 v3, v2, 16, 1
	v_add3_u32 v40, v2, v3, s15
                                        ; implicit-def: $vgpr2
; %bb.107:                              ;   in Loop: Header=BB184_43 Depth=1
	s_andn2_saveexec_b64 s[6:7], s[0:1]
; %bb.108:                              ;   in Loop: Header=BB184_43 Depth=1
	v_or_b32_e32 v3, 0x10000, v2
	v_cmp_eq_u32_sdwa s[0:1], v2, v23 src0_sel:WORD_0 src1_sel:DWORD
	v_cndmask_b32_e64 v40, v3, v2, s[0:1]
; %bb.109:                              ;   in Loop: Header=BB184_43 Depth=1
	s_or_b64 exec, exec, s[6:7]
	global_load_dwordx4 v[2:5], v[6:7], off offset:1024
	s_waitcnt vmcnt(0)
	v_lshrrev_b32_e32 v52, 16, v2
	v_lshrrev_b32_e32 v54, 16, v3
	;; [unrolled: 1-line block ×4, first 2 shown]
	s_and_saveexec_b64 s[6:7], vcc
	s_cbranch_execz .LBB184_111
; %bb.110:                              ;   in Loop: Header=BB184_43 Depth=1
	v_cmp_gt_i32_e64 s[0:1], s33, v33
	v_cndmask_b32_e64 v2, 0, v2, s[0:1]
	v_cmp_gt_i32_e64 s[0:1], s33, v39
	v_cndmask_b32_e64 v52, 0, v52, s[0:1]
	;; [unrolled: 2-line block ×8, first 2 shown]
.LBB184_111:                            ;   in Loop: Header=BB184_43 Depth=1
	s_or_b64 exec, exec, s[6:7]
	v_lshlrev_b32_e32 v2, 16, v2
	v_mul_f32_e32 v2, v43, v2
	v_and_b32_e32 v51, 0x7f800000, v2
	v_cmp_ne_u32_e64 s[0:1], s14, v51
                                        ; implicit-def: $vgpr51
	s_and_saveexec_b64 s[6:7], s[0:1]
	s_xor_b64 s[0:1], exec, s[6:7]
; %bb.112:                              ;   in Loop: Header=BB184_43 Depth=1
	v_bfe_u32 v51, v2, 16, 1
	v_add3_u32 v51, v2, v51, s15
                                        ; implicit-def: $vgpr2
; %bb.113:                              ;   in Loop: Header=BB184_43 Depth=1
	s_andn2_saveexec_b64 s[6:7], s[0:1]
; %bb.114:                              ;   in Loop: Header=BB184_43 Depth=1
	v_or_b32_e32 v51, 0x10000, v2
	v_cmp_eq_u32_sdwa s[0:1], v2, v23 src0_sel:WORD_0 src1_sel:DWORD
	v_cndmask_b32_e64 v51, v51, v2, s[0:1]
; %bb.115:                              ;   in Loop: Header=BB184_43 Depth=1
	s_or_b64 exec, exec, s[6:7]
	v_lshlrev_b32_e32 v2, 16, v52
	v_mul_f32_e32 v2, v44, v2
	v_and_b32_e32 v52, 0x7f800000, v2
	v_cmp_ne_u32_e64 s[0:1], s14, v52
                                        ; implicit-def: $vgpr52
	s_and_saveexec_b64 s[6:7], s[0:1]
	s_xor_b64 s[0:1], exec, s[6:7]
; %bb.116:                              ;   in Loop: Header=BB184_43 Depth=1
	v_bfe_u32 v52, v2, 16, 1
	v_add3_u32 v52, v2, v52, s15
                                        ; implicit-def: $vgpr2
; %bb.117:                              ;   in Loop: Header=BB184_43 Depth=1
	s_andn2_saveexec_b64 s[6:7], s[0:1]
; %bb.118:                              ;   in Loop: Header=BB184_43 Depth=1
	v_or_b32_e32 v52, 0x10000, v2
	v_cmp_eq_u32_sdwa s[0:1], v2, v23 src0_sel:WORD_0 src1_sel:DWORD
	v_cndmask_b32_e64 v52, v52, v2, s[0:1]
; %bb.119:                              ;   in Loop: Header=BB184_43 Depth=1
	s_or_b64 exec, exec, s[6:7]
	v_lshlrev_b32_e32 v2, 16, v3
	v_mul_f32_e32 v2, v45, v2
	v_and_b32_e32 v3, 0x7f800000, v2
	v_cmp_ne_u32_e64 s[0:1], s14, v3
                                        ; implicit-def: $vgpr53
	s_and_saveexec_b64 s[6:7], s[0:1]
	s_xor_b64 s[0:1], exec, s[6:7]
; %bb.120:                              ;   in Loop: Header=BB184_43 Depth=1
	v_bfe_u32 v3, v2, 16, 1
	v_add3_u32 v53, v2, v3, s15
                                        ; implicit-def: $vgpr2
; %bb.121:                              ;   in Loop: Header=BB184_43 Depth=1
	s_andn2_saveexec_b64 s[6:7], s[0:1]
; %bb.122:                              ;   in Loop: Header=BB184_43 Depth=1
	v_or_b32_e32 v3, 0x10000, v2
	v_cmp_eq_u32_sdwa s[0:1], v2, v23 src0_sel:WORD_0 src1_sel:DWORD
	v_cndmask_b32_e64 v53, v3, v2, s[0:1]
; %bb.123:                              ;   in Loop: Header=BB184_43 Depth=1
	s_or_b64 exec, exec, s[6:7]
	v_lshlrev_b32_e32 v2, 16, v54
	v_mul_f32_e32 v2, v46, v2
	v_and_b32_e32 v3, 0x7f800000, v2
	v_cmp_ne_u32_e64 s[0:1], s14, v3
                                        ; implicit-def: $vgpr54
	s_and_saveexec_b64 s[6:7], s[0:1]
	s_xor_b64 s[0:1], exec, s[6:7]
; %bb.124:                              ;   in Loop: Header=BB184_43 Depth=1
	v_bfe_u32 v3, v2, 16, 1
	v_add3_u32 v54, v2, v3, s15
                                        ; implicit-def: $vgpr2
; %bb.125:                              ;   in Loop: Header=BB184_43 Depth=1
	s_andn2_saveexec_b64 s[6:7], s[0:1]
; %bb.126:                              ;   in Loop: Header=BB184_43 Depth=1
	v_or_b32_e32 v3, 0x10000, v2
	v_cmp_eq_u32_sdwa s[0:1], v2, v23 src0_sel:WORD_0 src1_sel:DWORD
	v_cndmask_b32_e64 v54, v3, v2, s[0:1]
; %bb.127:                              ;   in Loop: Header=BB184_43 Depth=1
	s_or_b64 exec, exec, s[6:7]
	v_lshlrev_b32_e32 v2, 16, v4
	v_mul_f32_e32 v2, v47, v2
	v_and_b32_e32 v3, 0x7f800000, v2
	v_cmp_ne_u32_e64 s[0:1], s14, v3
                                        ; implicit-def: $vgpr55
	s_and_saveexec_b64 s[6:7], s[0:1]
	s_xor_b64 s[0:1], exec, s[6:7]
; %bb.128:                              ;   in Loop: Header=BB184_43 Depth=1
	v_bfe_u32 v3, v2, 16, 1
	v_add3_u32 v55, v2, v3, s15
                                        ; implicit-def: $vgpr2
; %bb.129:                              ;   in Loop: Header=BB184_43 Depth=1
	s_andn2_saveexec_b64 s[6:7], s[0:1]
; %bb.130:                              ;   in Loop: Header=BB184_43 Depth=1
	v_or_b32_e32 v3, 0x10000, v2
	v_cmp_eq_u32_sdwa s[0:1], v2, v23 src0_sel:WORD_0 src1_sel:DWORD
	v_cndmask_b32_e64 v55, v3, v2, s[0:1]
; %bb.131:                              ;   in Loop: Header=BB184_43 Depth=1
	s_or_b64 exec, exec, s[6:7]
	v_lshlrev_b32_e32 v2, 16, v56
	v_mul_f32_e32 v2, v48, v2
	v_and_b32_e32 v3, 0x7f800000, v2
	v_cmp_ne_u32_e64 s[0:1], s14, v3
                                        ; implicit-def: $vgpr56
	s_and_saveexec_b64 s[6:7], s[0:1]
	s_xor_b64 s[0:1], exec, s[6:7]
; %bb.132:                              ;   in Loop: Header=BB184_43 Depth=1
	v_bfe_u32 v3, v2, 16, 1
	v_add3_u32 v56, v2, v3, s15
                                        ; implicit-def: $vgpr2
; %bb.133:                              ;   in Loop: Header=BB184_43 Depth=1
	s_andn2_saveexec_b64 s[6:7], s[0:1]
; %bb.134:                              ;   in Loop: Header=BB184_43 Depth=1
	v_or_b32_e32 v3, 0x10000, v2
	v_cmp_eq_u32_sdwa s[0:1], v2, v23 src0_sel:WORD_0 src1_sel:DWORD
	v_cndmask_b32_e64 v56, v3, v2, s[0:1]
; %bb.135:                              ;   in Loop: Header=BB184_43 Depth=1
	s_or_b64 exec, exec, s[6:7]
	v_lshlrev_b32_e32 v2, 16, v5
	v_mul_f32_e32 v2, v49, v2
	v_and_b32_e32 v3, 0x7f800000, v2
	v_cmp_ne_u32_e64 s[0:1], s14, v3
                                        ; implicit-def: $vgpr57
	s_and_saveexec_b64 s[6:7], s[0:1]
	s_xor_b64 s[0:1], exec, s[6:7]
; %bb.136:                              ;   in Loop: Header=BB184_43 Depth=1
	v_bfe_u32 v3, v2, 16, 1
	v_add3_u32 v57, v2, v3, s15
                                        ; implicit-def: $vgpr2
; %bb.137:                              ;   in Loop: Header=BB184_43 Depth=1
	s_andn2_saveexec_b64 s[6:7], s[0:1]
; %bb.138:                              ;   in Loop: Header=BB184_43 Depth=1
	v_or_b32_e32 v3, 0x10000, v2
	v_cmp_eq_u32_sdwa s[0:1], v2, v23 src0_sel:WORD_0 src1_sel:DWORD
	v_cndmask_b32_e64 v57, v3, v2, s[0:1]
; %bb.139:                              ;   in Loop: Header=BB184_43 Depth=1
	s_or_b64 exec, exec, s[6:7]
	v_lshlrev_b32_e32 v2, 16, v58
	v_mul_f32_e32 v2, v50, v2
	v_and_b32_e32 v3, 0x7f800000, v2
	v_cmp_ne_u32_e64 s[0:1], s14, v3
                                        ; implicit-def: $vgpr58
	s_and_saveexec_b64 s[6:7], s[0:1]
	s_xor_b64 s[0:1], exec, s[6:7]
; %bb.140:                              ;   in Loop: Header=BB184_43 Depth=1
	v_bfe_u32 v3, v2, 16, 1
	v_add3_u32 v58, v2, v3, s15
                                        ; implicit-def: $vgpr2
; %bb.141:                              ;   in Loop: Header=BB184_43 Depth=1
	s_andn2_saveexec_b64 s[6:7], s[0:1]
; %bb.142:                              ;   in Loop: Header=BB184_43 Depth=1
	v_or_b32_e32 v3, 0x10000, v2
	v_cmp_eq_u32_sdwa s[0:1], v2, v23 src0_sel:WORD_0 src1_sel:DWORD
	v_cndmask_b32_e64 v58, v3, v2, s[0:1]
; %bb.143:                              ;   in Loop: Header=BB184_43 Depth=1
	s_or_b64 exec, exec, s[6:7]
	global_load_dwordx4 v[2:5], v[6:7], off offset:2048
	s_waitcnt vmcnt(0)
	v_lshrrev_b32_e32 v60, 16, v2
	v_lshrrev_b32_e32 v62, 16, v3
	;; [unrolled: 1-line block ×4, first 2 shown]
	s_and_saveexec_b64 s[6:7], vcc
	s_cbranch_execz .LBB184_145
; %bb.144:                              ;   in Loop: Header=BB184_43 Depth=1
	v_cmp_gt_i32_e64 s[0:1], s33, v33
	v_cndmask_b32_e64 v2, 0, v2, s[0:1]
	v_cmp_gt_i32_e64 s[0:1], s33, v39
	v_cndmask_b32_e64 v60, 0, v60, s[0:1]
	;; [unrolled: 2-line block ×8, first 2 shown]
.LBB184_145:                            ;   in Loop: Header=BB184_43 Depth=1
	s_or_b64 exec, exec, s[6:7]
	v_lshlrev_b32_e32 v2, 16, v2
	v_mul_f32_e32 v2, v43, v2
	v_and_b32_e32 v59, 0x7f800000, v2
	v_cmp_ne_u32_e64 s[0:1], s14, v59
                                        ; implicit-def: $vgpr59
	s_and_saveexec_b64 s[6:7], s[0:1]
	s_xor_b64 s[0:1], exec, s[6:7]
; %bb.146:                              ;   in Loop: Header=BB184_43 Depth=1
	v_bfe_u32 v59, v2, 16, 1
	v_add3_u32 v59, v2, v59, s15
                                        ; implicit-def: $vgpr2
; %bb.147:                              ;   in Loop: Header=BB184_43 Depth=1
	s_andn2_saveexec_b64 s[6:7], s[0:1]
; %bb.148:                              ;   in Loop: Header=BB184_43 Depth=1
	v_or_b32_e32 v59, 0x10000, v2
	v_cmp_eq_u32_sdwa s[0:1], v2, v23 src0_sel:WORD_0 src1_sel:DWORD
	v_cndmask_b32_e64 v59, v59, v2, s[0:1]
; %bb.149:                              ;   in Loop: Header=BB184_43 Depth=1
	s_or_b64 exec, exec, s[6:7]
	v_lshlrev_b32_e32 v2, 16, v60
	v_mul_f32_e32 v2, v44, v2
	v_and_b32_e32 v60, 0x7f800000, v2
	v_cmp_ne_u32_e64 s[0:1], s14, v60
                                        ; implicit-def: $vgpr60
	s_and_saveexec_b64 s[6:7], s[0:1]
	s_xor_b64 s[0:1], exec, s[6:7]
; %bb.150:                              ;   in Loop: Header=BB184_43 Depth=1
	v_bfe_u32 v60, v2, 16, 1
	v_add3_u32 v60, v2, v60, s15
                                        ; implicit-def: $vgpr2
; %bb.151:                              ;   in Loop: Header=BB184_43 Depth=1
	s_andn2_saveexec_b64 s[6:7], s[0:1]
; %bb.152:                              ;   in Loop: Header=BB184_43 Depth=1
	v_or_b32_e32 v60, 0x10000, v2
	v_cmp_eq_u32_sdwa s[0:1], v2, v23 src0_sel:WORD_0 src1_sel:DWORD
	v_cndmask_b32_e64 v60, v60, v2, s[0:1]
; %bb.153:                              ;   in Loop: Header=BB184_43 Depth=1
	s_or_b64 exec, exec, s[6:7]
	v_lshlrev_b32_e32 v2, 16, v3
	v_mul_f32_e32 v2, v45, v2
	v_and_b32_e32 v3, 0x7f800000, v2
	v_cmp_ne_u32_e64 s[0:1], s14, v3
                                        ; implicit-def: $vgpr61
	s_and_saveexec_b64 s[6:7], s[0:1]
	s_xor_b64 s[0:1], exec, s[6:7]
; %bb.154:                              ;   in Loop: Header=BB184_43 Depth=1
	v_bfe_u32 v3, v2, 16, 1
	v_add3_u32 v61, v2, v3, s15
                                        ; implicit-def: $vgpr2
; %bb.155:                              ;   in Loop: Header=BB184_43 Depth=1
	s_andn2_saveexec_b64 s[6:7], s[0:1]
; %bb.156:                              ;   in Loop: Header=BB184_43 Depth=1
	v_or_b32_e32 v3, 0x10000, v2
	v_cmp_eq_u32_sdwa s[0:1], v2, v23 src0_sel:WORD_0 src1_sel:DWORD
	v_cndmask_b32_e64 v61, v3, v2, s[0:1]
; %bb.157:                              ;   in Loop: Header=BB184_43 Depth=1
	s_or_b64 exec, exec, s[6:7]
	v_lshlrev_b32_e32 v2, 16, v62
	v_mul_f32_e32 v2, v46, v2
	v_and_b32_e32 v3, 0x7f800000, v2
	v_cmp_ne_u32_e64 s[0:1], s14, v3
                                        ; implicit-def: $vgpr62
	s_and_saveexec_b64 s[6:7], s[0:1]
	s_xor_b64 s[0:1], exec, s[6:7]
; %bb.158:                              ;   in Loop: Header=BB184_43 Depth=1
	v_bfe_u32 v3, v2, 16, 1
	v_add3_u32 v62, v2, v3, s15
                                        ; implicit-def: $vgpr2
; %bb.159:                              ;   in Loop: Header=BB184_43 Depth=1
	s_andn2_saveexec_b64 s[6:7], s[0:1]
; %bb.160:                              ;   in Loop: Header=BB184_43 Depth=1
	v_or_b32_e32 v3, 0x10000, v2
	v_cmp_eq_u32_sdwa s[0:1], v2, v23 src0_sel:WORD_0 src1_sel:DWORD
	v_cndmask_b32_e64 v62, v3, v2, s[0:1]
; %bb.161:                              ;   in Loop: Header=BB184_43 Depth=1
	s_or_b64 exec, exec, s[6:7]
	v_lshlrev_b32_e32 v2, 16, v4
	v_mul_f32_e32 v2, v47, v2
	v_and_b32_e32 v3, 0x7f800000, v2
	v_cmp_ne_u32_e64 s[0:1], s14, v3
                                        ; implicit-def: $vgpr63
	s_and_saveexec_b64 s[6:7], s[0:1]
	s_xor_b64 s[0:1], exec, s[6:7]
; %bb.162:                              ;   in Loop: Header=BB184_43 Depth=1
	v_bfe_u32 v3, v2, 16, 1
	v_add3_u32 v63, v2, v3, s15
                                        ; implicit-def: $vgpr2
; %bb.163:                              ;   in Loop: Header=BB184_43 Depth=1
	s_andn2_saveexec_b64 s[6:7], s[0:1]
; %bb.164:                              ;   in Loop: Header=BB184_43 Depth=1
	v_or_b32_e32 v3, 0x10000, v2
	v_cmp_eq_u32_sdwa s[0:1], v2, v23 src0_sel:WORD_0 src1_sel:DWORD
	v_cndmask_b32_e64 v63, v3, v2, s[0:1]
; %bb.165:                              ;   in Loop: Header=BB184_43 Depth=1
	s_or_b64 exec, exec, s[6:7]
	v_lshlrev_b32_e32 v2, 16, v64
	v_mul_f32_e32 v2, v48, v2
	v_and_b32_e32 v3, 0x7f800000, v2
	v_cmp_ne_u32_e64 s[0:1], s14, v3
                                        ; implicit-def: $vgpr64
	s_and_saveexec_b64 s[6:7], s[0:1]
	s_xor_b64 s[0:1], exec, s[6:7]
; %bb.166:                              ;   in Loop: Header=BB184_43 Depth=1
	v_bfe_u32 v3, v2, 16, 1
	v_add3_u32 v64, v2, v3, s15
                                        ; implicit-def: $vgpr2
; %bb.167:                              ;   in Loop: Header=BB184_43 Depth=1
	s_andn2_saveexec_b64 s[6:7], s[0:1]
; %bb.168:                              ;   in Loop: Header=BB184_43 Depth=1
	v_or_b32_e32 v3, 0x10000, v2
	v_cmp_eq_u32_sdwa s[0:1], v2, v23 src0_sel:WORD_0 src1_sel:DWORD
	v_cndmask_b32_e64 v64, v3, v2, s[0:1]
; %bb.169:                              ;   in Loop: Header=BB184_43 Depth=1
	s_or_b64 exec, exec, s[6:7]
	v_lshlrev_b32_e32 v2, 16, v5
	v_mul_f32_e32 v2, v49, v2
	v_and_b32_e32 v3, 0x7f800000, v2
	v_cmp_ne_u32_e64 s[0:1], s14, v3
                                        ; implicit-def: $vgpr65
	s_and_saveexec_b64 s[6:7], s[0:1]
	s_xor_b64 s[0:1], exec, s[6:7]
; %bb.170:                              ;   in Loop: Header=BB184_43 Depth=1
	v_bfe_u32 v3, v2, 16, 1
	v_add3_u32 v65, v2, v3, s15
                                        ; implicit-def: $vgpr2
; %bb.171:                              ;   in Loop: Header=BB184_43 Depth=1
	s_andn2_saveexec_b64 s[6:7], s[0:1]
; %bb.172:                              ;   in Loop: Header=BB184_43 Depth=1
	v_or_b32_e32 v3, 0x10000, v2
	v_cmp_eq_u32_sdwa s[0:1], v2, v23 src0_sel:WORD_0 src1_sel:DWORD
	v_cndmask_b32_e64 v65, v3, v2, s[0:1]
; %bb.173:                              ;   in Loop: Header=BB184_43 Depth=1
	s_or_b64 exec, exec, s[6:7]
	v_lshlrev_b32_e32 v2, 16, v66
	v_mul_f32_e32 v2, v50, v2
	v_and_b32_e32 v3, 0x7f800000, v2
	v_cmp_ne_u32_e64 s[0:1], s14, v3
                                        ; implicit-def: $vgpr66
	s_and_saveexec_b64 s[6:7], s[0:1]
	s_xor_b64 s[0:1], exec, s[6:7]
; %bb.174:                              ;   in Loop: Header=BB184_43 Depth=1
	v_bfe_u32 v3, v2, 16, 1
	v_add3_u32 v66, v2, v3, s15
                                        ; implicit-def: $vgpr2
; %bb.175:                              ;   in Loop: Header=BB184_43 Depth=1
	s_andn2_saveexec_b64 s[6:7], s[0:1]
; %bb.176:                              ;   in Loop: Header=BB184_43 Depth=1
	v_or_b32_e32 v3, 0x10000, v2
	v_cmp_eq_u32_sdwa s[0:1], v2, v23 src0_sel:WORD_0 src1_sel:DWORD
	v_cndmask_b32_e64 v66, v3, v2, s[0:1]
; %bb.177:                              ;   in Loop: Header=BB184_43 Depth=1
	s_or_b64 exec, exec, s[6:7]
	global_load_dwordx4 v[2:5], v[6:7], off offset:3072
	s_waitcnt vmcnt(0)
	v_lshrrev_b32_e32 v7, 16, v2
	v_lshrrev_b32_e32 v68, 16, v3
	;; [unrolled: 1-line block ×4, first 2 shown]
	s_and_saveexec_b64 s[6:7], vcc
	s_cbranch_execz .LBB184_179
; %bb.178:                              ;   in Loop: Header=BB184_43 Depth=1
	v_cmp_gt_i32_e64 s[0:1], s33, v33
	v_cndmask_b32_e64 v2, 0, v2, s[0:1]
	v_cmp_gt_i32_e64 s[0:1], s33, v39
	v_cndmask_b32_e64 v7, 0, v7, s[0:1]
	;; [unrolled: 2-line block ×8, first 2 shown]
.LBB184_179:                            ;   in Loop: Header=BB184_43 Depth=1
	s_or_b64 exec, exec, s[6:7]
	v_lshlrev_b32_e32 v2, 16, v2
	v_mul_f32_e32 v2, v43, v2
	v_and_b32_e32 v6, 0x7f800000, v2
	v_cmp_ne_u32_e64 s[0:1], s14, v6
                                        ; implicit-def: $vgpr6
	s_and_saveexec_b64 s[6:7], s[0:1]
	s_xor_b64 s[0:1], exec, s[6:7]
; %bb.180:                              ;   in Loop: Header=BB184_43 Depth=1
	v_bfe_u32 v6, v2, 16, 1
	v_add3_u32 v6, v2, v6, s15
                                        ; implicit-def: $vgpr2
; %bb.181:                              ;   in Loop: Header=BB184_43 Depth=1
	s_andn2_saveexec_b64 s[6:7], s[0:1]
; %bb.182:                              ;   in Loop: Header=BB184_43 Depth=1
	v_or_b32_e32 v6, 0x10000, v2
	v_cmp_eq_u32_sdwa s[0:1], v2, v23 src0_sel:WORD_0 src1_sel:DWORD
	v_cndmask_b32_e64 v6, v6, v2, s[0:1]
; %bb.183:                              ;   in Loop: Header=BB184_43 Depth=1
	s_or_b64 exec, exec, s[6:7]
	v_lshlrev_b32_e32 v2, 16, v7
	v_mul_f32_e32 v2, v44, v2
	v_and_b32_e32 v7, 0x7f800000, v2
	v_cmp_ne_u32_e64 s[0:1], s14, v7
                                        ; implicit-def: $vgpr7
	s_and_saveexec_b64 s[6:7], s[0:1]
	s_xor_b64 s[0:1], exec, s[6:7]
; %bb.184:                              ;   in Loop: Header=BB184_43 Depth=1
	v_bfe_u32 v7, v2, 16, 1
	v_add3_u32 v7, v2, v7, s15
                                        ; implicit-def: $vgpr2
; %bb.185:                              ;   in Loop: Header=BB184_43 Depth=1
	s_andn2_saveexec_b64 s[6:7], s[0:1]
; %bb.186:                              ;   in Loop: Header=BB184_43 Depth=1
	v_or_b32_e32 v7, 0x10000, v2
	v_cmp_eq_u32_sdwa s[0:1], v2, v23 src0_sel:WORD_0 src1_sel:DWORD
	v_cndmask_b32_e64 v7, v7, v2, s[0:1]
; %bb.187:                              ;   in Loop: Header=BB184_43 Depth=1
	s_or_b64 exec, exec, s[6:7]
	v_lshlrev_b32_e32 v2, 16, v3
	v_mul_f32_e32 v2, v45, v2
	v_and_b32_e32 v3, 0x7f800000, v2
	v_cmp_ne_u32_e64 s[0:1], s14, v3
                                        ; implicit-def: $vgpr67
	s_and_saveexec_b64 s[6:7], s[0:1]
	s_xor_b64 s[0:1], exec, s[6:7]
; %bb.188:                              ;   in Loop: Header=BB184_43 Depth=1
	v_bfe_u32 v3, v2, 16, 1
	v_add3_u32 v67, v2, v3, s15
                                        ; implicit-def: $vgpr2
; %bb.189:                              ;   in Loop: Header=BB184_43 Depth=1
	s_andn2_saveexec_b64 s[6:7], s[0:1]
; %bb.190:                              ;   in Loop: Header=BB184_43 Depth=1
	v_or_b32_e32 v3, 0x10000, v2
	v_cmp_eq_u32_sdwa s[0:1], v2, v23 src0_sel:WORD_0 src1_sel:DWORD
	v_cndmask_b32_e64 v67, v3, v2, s[0:1]
; %bb.191:                              ;   in Loop: Header=BB184_43 Depth=1
	s_or_b64 exec, exec, s[6:7]
	v_lshlrev_b32_e32 v2, 16, v68
	v_mul_f32_e32 v2, v46, v2
	v_and_b32_e32 v3, 0x7f800000, v2
	v_cmp_ne_u32_e64 s[0:1], s14, v3
                                        ; implicit-def: $vgpr68
	s_and_saveexec_b64 s[6:7], s[0:1]
	s_xor_b64 s[0:1], exec, s[6:7]
; %bb.192:                              ;   in Loop: Header=BB184_43 Depth=1
	v_bfe_u32 v3, v2, 16, 1
	v_add3_u32 v68, v2, v3, s15
                                        ; implicit-def: $vgpr2
; %bb.193:                              ;   in Loop: Header=BB184_43 Depth=1
	s_andn2_saveexec_b64 s[6:7], s[0:1]
; %bb.194:                              ;   in Loop: Header=BB184_43 Depth=1
	v_or_b32_e32 v3, 0x10000, v2
	v_cmp_eq_u32_sdwa s[0:1], v2, v23 src0_sel:WORD_0 src1_sel:DWORD
	v_cndmask_b32_e64 v68, v3, v2, s[0:1]
; %bb.195:                              ;   in Loop: Header=BB184_43 Depth=1
	s_or_b64 exec, exec, s[6:7]
	v_lshlrev_b32_e32 v2, 16, v4
	v_mul_f32_e32 v2, v47, v2
	v_and_b32_e32 v3, 0x7f800000, v2
	v_cmp_ne_u32_e64 s[0:1], s14, v3
                                        ; implicit-def: $vgpr69
	s_and_saveexec_b64 s[6:7], s[0:1]
	s_xor_b64 s[0:1], exec, s[6:7]
; %bb.196:                              ;   in Loop: Header=BB184_43 Depth=1
	v_bfe_u32 v3, v2, 16, 1
	v_add3_u32 v69, v2, v3, s15
                                        ; implicit-def: $vgpr2
; %bb.197:                              ;   in Loop: Header=BB184_43 Depth=1
	s_andn2_saveexec_b64 s[6:7], s[0:1]
; %bb.198:                              ;   in Loop: Header=BB184_43 Depth=1
	v_or_b32_e32 v3, 0x10000, v2
	v_cmp_eq_u32_sdwa s[0:1], v2, v23 src0_sel:WORD_0 src1_sel:DWORD
	v_cndmask_b32_e64 v69, v3, v2, s[0:1]
; %bb.199:                              ;   in Loop: Header=BB184_43 Depth=1
	s_or_b64 exec, exec, s[6:7]
	v_lshlrev_b32_e32 v2, 16, v70
	v_mul_f32_e32 v2, v48, v2
	v_and_b32_e32 v3, 0x7f800000, v2
	v_cmp_ne_u32_e64 s[0:1], s14, v3
                                        ; implicit-def: $vgpr70
	s_and_saveexec_b64 s[6:7], s[0:1]
	s_xor_b64 s[0:1], exec, s[6:7]
; %bb.200:                              ;   in Loop: Header=BB184_43 Depth=1
	v_bfe_u32 v3, v2, 16, 1
	v_add3_u32 v70, v2, v3, s15
                                        ; implicit-def: $vgpr2
; %bb.201:                              ;   in Loop: Header=BB184_43 Depth=1
	s_andn2_saveexec_b64 s[6:7], s[0:1]
; %bb.202:                              ;   in Loop: Header=BB184_43 Depth=1
	v_or_b32_e32 v3, 0x10000, v2
	v_cmp_eq_u32_sdwa s[0:1], v2, v23 src0_sel:WORD_0 src1_sel:DWORD
	v_cndmask_b32_e64 v70, v3, v2, s[0:1]
; %bb.203:                              ;   in Loop: Header=BB184_43 Depth=1
	s_or_b64 exec, exec, s[6:7]
	v_lshlrev_b32_e32 v2, 16, v5
	v_mul_f32_e32 v2, v49, v2
	v_and_b32_e32 v3, 0x7f800000, v2
	v_cmp_ne_u32_e64 s[0:1], s14, v3
                                        ; implicit-def: $vgpr71
	s_and_saveexec_b64 s[6:7], s[0:1]
	s_xor_b64 s[0:1], exec, s[6:7]
; %bb.204:                              ;   in Loop: Header=BB184_43 Depth=1
	v_bfe_u32 v3, v2, 16, 1
	v_add3_u32 v71, v2, v3, s15
                                        ; implicit-def: $vgpr2
; %bb.205:                              ;   in Loop: Header=BB184_43 Depth=1
	s_andn2_saveexec_b64 s[6:7], s[0:1]
; %bb.206:                              ;   in Loop: Header=BB184_43 Depth=1
	v_or_b32_e32 v3, 0x10000, v2
	v_cmp_eq_u32_sdwa s[0:1], v2, v23 src0_sel:WORD_0 src1_sel:DWORD
	v_cndmask_b32_e64 v71, v3, v2, s[0:1]
; %bb.207:                              ;   in Loop: Header=BB184_43 Depth=1
	s_or_b64 exec, exec, s[6:7]
	v_lshlrev_b32_e32 v2, 16, v72
	v_mul_f32_e32 v2, v50, v2
	v_and_b32_e32 v3, 0x7f800000, v2
	v_cmp_ne_u32_e64 s[0:1], s14, v3
                                        ; implicit-def: $vgpr72
	s_and_saveexec_b64 s[6:7], s[0:1]
	s_xor_b64 s[0:1], exec, s[6:7]
; %bb.208:                              ;   in Loop: Header=BB184_43 Depth=1
	v_bfe_u32 v3, v2, 16, 1
	v_add3_u32 v72, v2, v3, s15
                                        ; implicit-def: $vgpr2
; %bb.209:                              ;   in Loop: Header=BB184_43 Depth=1
	s_andn2_saveexec_b64 s[6:7], s[0:1]
; %bb.210:                              ;   in Loop: Header=BB184_43 Depth=1
	v_or_b32_e32 v3, 0x10000, v2
	v_cmp_eq_u32_sdwa s[0:1], v2, v23 src0_sel:WORD_0 src1_sel:DWORD
	v_cndmask_b32_e64 v72, v3, v2, s[0:1]
; %bb.211:                              ;   in Loop: Header=BB184_43 Depth=1
	s_or_b64 exec, exec, s[6:7]
	v_add_co_u32_e64 v2, s[0:1], v41, v26
	v_addc_co_u32_e64 v3, s[0:1], 0, v42, s[0:1]
	global_load_dwordx4 v[2:5], v[2:3], off
	s_waitcnt vmcnt(0)
	v_lshrrev_b32_e32 v74, 16, v2
	v_lshrrev_b32_e32 v76, 16, v3
	;; [unrolled: 1-line block ×4, first 2 shown]
	s_and_saveexec_b64 s[6:7], vcc
	s_cbranch_execz .LBB184_213
; %bb.212:                              ;   in Loop: Header=BB184_43 Depth=1
	v_cmp_gt_i32_e64 s[0:1], s33, v33
	v_cndmask_b32_e64 v2, 0, v2, s[0:1]
	v_cmp_gt_i32_e64 s[0:1], s33, v39
	v_cndmask_b32_e64 v74, 0, v74, s[0:1]
	v_cmp_gt_i32_e64 s[0:1], s33, v37
	v_cndmask_b32_e64 v3, 0, v3, s[0:1]
	v_cmp_gt_i32_e64 s[0:1], s33, v36
	v_cndmask_b32_e64 v76, 0, v76, s[0:1]
	v_cmp_gt_i32_e64 s[0:1], s33, v35
	v_cndmask_b32_e64 v4, 0, v4, s[0:1]
	v_cmp_gt_i32_e64 s[0:1], s33, v34
	v_cndmask_b32_e64 v78, 0, v78, s[0:1]
	v_cmp_gt_i32_e64 s[0:1], s33, v38
	v_cndmask_b32_e64 v5, 0, v5, s[0:1]
	v_cmp_gt_i32_e64 s[0:1], s33, v24
	v_cndmask_b32_e64 v80, 0, v80, s[0:1]
.LBB184_213:                            ;   in Loop: Header=BB184_43 Depth=1
	s_or_b64 exec, exec, s[6:7]
	v_lshlrev_b32_e32 v2, 16, v2
	v_mul_f32_e32 v2, v43, v2
	v_and_b32_e32 v73, 0x7f800000, v2
	v_cmp_ne_u32_e64 s[0:1], s14, v73
                                        ; implicit-def: $vgpr73
	s_and_saveexec_b64 s[6:7], s[0:1]
	s_xor_b64 s[0:1], exec, s[6:7]
; %bb.214:                              ;   in Loop: Header=BB184_43 Depth=1
	v_bfe_u32 v73, v2, 16, 1
	v_add3_u32 v73, v2, v73, s15
                                        ; implicit-def: $vgpr2
; %bb.215:                              ;   in Loop: Header=BB184_43 Depth=1
	s_andn2_saveexec_b64 s[6:7], s[0:1]
; %bb.216:                              ;   in Loop: Header=BB184_43 Depth=1
	v_or_b32_e32 v73, 0x10000, v2
	v_cmp_eq_u32_sdwa s[0:1], v2, v23 src0_sel:WORD_0 src1_sel:DWORD
	v_cndmask_b32_e64 v73, v73, v2, s[0:1]
; %bb.217:                              ;   in Loop: Header=BB184_43 Depth=1
	s_or_b64 exec, exec, s[6:7]
	v_lshlrev_b32_e32 v2, 16, v74
	v_mul_f32_e32 v2, v44, v2
	v_and_b32_e32 v74, 0x7f800000, v2
	v_cmp_ne_u32_e64 s[0:1], s14, v74
                                        ; implicit-def: $vgpr74
	s_and_saveexec_b64 s[6:7], s[0:1]
	s_xor_b64 s[0:1], exec, s[6:7]
; %bb.218:                              ;   in Loop: Header=BB184_43 Depth=1
	v_bfe_u32 v74, v2, 16, 1
	v_add3_u32 v74, v2, v74, s15
                                        ; implicit-def: $vgpr2
; %bb.219:                              ;   in Loop: Header=BB184_43 Depth=1
	s_andn2_saveexec_b64 s[6:7], s[0:1]
; %bb.220:                              ;   in Loop: Header=BB184_43 Depth=1
	v_or_b32_e32 v74, 0x10000, v2
	v_cmp_eq_u32_sdwa s[0:1], v2, v23 src0_sel:WORD_0 src1_sel:DWORD
	v_cndmask_b32_e64 v74, v74, v2, s[0:1]
; %bb.221:                              ;   in Loop: Header=BB184_43 Depth=1
	s_or_b64 exec, exec, s[6:7]
	v_lshlrev_b32_e32 v2, 16, v3
	v_mul_f32_e32 v2, v45, v2
	v_and_b32_e32 v3, 0x7f800000, v2
	v_cmp_ne_u32_e64 s[0:1], s14, v3
                                        ; implicit-def: $vgpr75
	s_and_saveexec_b64 s[6:7], s[0:1]
	s_xor_b64 s[0:1], exec, s[6:7]
; %bb.222:                              ;   in Loop: Header=BB184_43 Depth=1
	v_bfe_u32 v3, v2, 16, 1
	v_add3_u32 v75, v2, v3, s15
                                        ; implicit-def: $vgpr2
; %bb.223:                              ;   in Loop: Header=BB184_43 Depth=1
	s_andn2_saveexec_b64 s[6:7], s[0:1]
; %bb.224:                              ;   in Loop: Header=BB184_43 Depth=1
	v_or_b32_e32 v3, 0x10000, v2
	v_cmp_eq_u32_sdwa s[0:1], v2, v23 src0_sel:WORD_0 src1_sel:DWORD
	v_cndmask_b32_e64 v75, v3, v2, s[0:1]
; %bb.225:                              ;   in Loop: Header=BB184_43 Depth=1
	s_or_b64 exec, exec, s[6:7]
	v_lshlrev_b32_e32 v2, 16, v76
	v_mul_f32_e32 v2, v46, v2
	v_and_b32_e32 v3, 0x7f800000, v2
	v_cmp_ne_u32_e64 s[0:1], s14, v3
                                        ; implicit-def: $vgpr76
	s_and_saveexec_b64 s[6:7], s[0:1]
	s_xor_b64 s[0:1], exec, s[6:7]
; %bb.226:                              ;   in Loop: Header=BB184_43 Depth=1
	v_bfe_u32 v3, v2, 16, 1
	v_add3_u32 v76, v2, v3, s15
                                        ; implicit-def: $vgpr2
; %bb.227:                              ;   in Loop: Header=BB184_43 Depth=1
	s_andn2_saveexec_b64 s[6:7], s[0:1]
; %bb.228:                              ;   in Loop: Header=BB184_43 Depth=1
	v_or_b32_e32 v3, 0x10000, v2
	v_cmp_eq_u32_sdwa s[0:1], v2, v23 src0_sel:WORD_0 src1_sel:DWORD
	v_cndmask_b32_e64 v76, v3, v2, s[0:1]
; %bb.229:                              ;   in Loop: Header=BB184_43 Depth=1
	s_or_b64 exec, exec, s[6:7]
	v_lshlrev_b32_e32 v2, 16, v4
	v_mul_f32_e32 v2, v47, v2
	v_and_b32_e32 v3, 0x7f800000, v2
	v_cmp_ne_u32_e64 s[0:1], s14, v3
                                        ; implicit-def: $vgpr77
	s_and_saveexec_b64 s[6:7], s[0:1]
	s_xor_b64 s[0:1], exec, s[6:7]
; %bb.230:                              ;   in Loop: Header=BB184_43 Depth=1
	v_bfe_u32 v3, v2, 16, 1
	v_add3_u32 v77, v2, v3, s15
                                        ; implicit-def: $vgpr2
; %bb.231:                              ;   in Loop: Header=BB184_43 Depth=1
	s_andn2_saveexec_b64 s[6:7], s[0:1]
; %bb.232:                              ;   in Loop: Header=BB184_43 Depth=1
	v_or_b32_e32 v3, 0x10000, v2
	v_cmp_eq_u32_sdwa s[0:1], v2, v23 src0_sel:WORD_0 src1_sel:DWORD
	v_cndmask_b32_e64 v77, v3, v2, s[0:1]
; %bb.233:                              ;   in Loop: Header=BB184_43 Depth=1
	s_or_b64 exec, exec, s[6:7]
	v_lshlrev_b32_e32 v2, 16, v78
	v_mul_f32_e32 v2, v48, v2
	v_and_b32_e32 v3, 0x7f800000, v2
	v_cmp_ne_u32_e64 s[0:1], s14, v3
                                        ; implicit-def: $vgpr78
	s_and_saveexec_b64 s[6:7], s[0:1]
	s_xor_b64 s[0:1], exec, s[6:7]
; %bb.234:                              ;   in Loop: Header=BB184_43 Depth=1
	v_bfe_u32 v3, v2, 16, 1
	v_add3_u32 v78, v2, v3, s15
                                        ; implicit-def: $vgpr2
; %bb.235:                              ;   in Loop: Header=BB184_43 Depth=1
	s_andn2_saveexec_b64 s[6:7], s[0:1]
; %bb.236:                              ;   in Loop: Header=BB184_43 Depth=1
	v_or_b32_e32 v3, 0x10000, v2
	v_cmp_eq_u32_sdwa s[0:1], v2, v23 src0_sel:WORD_0 src1_sel:DWORD
	v_cndmask_b32_e64 v78, v3, v2, s[0:1]
; %bb.237:                              ;   in Loop: Header=BB184_43 Depth=1
	s_or_b64 exec, exec, s[6:7]
	v_lshlrev_b32_e32 v2, 16, v5
	v_mul_f32_e32 v2, v49, v2
	v_and_b32_e32 v3, 0x7f800000, v2
	v_cmp_ne_u32_e64 s[0:1], s14, v3
                                        ; implicit-def: $vgpr79
	s_and_saveexec_b64 s[6:7], s[0:1]
	s_xor_b64 s[0:1], exec, s[6:7]
; %bb.238:                              ;   in Loop: Header=BB184_43 Depth=1
	v_bfe_u32 v3, v2, 16, 1
	v_add3_u32 v79, v2, v3, s15
                                        ; implicit-def: $vgpr2
; %bb.239:                              ;   in Loop: Header=BB184_43 Depth=1
	s_andn2_saveexec_b64 s[6:7], s[0:1]
; %bb.240:                              ;   in Loop: Header=BB184_43 Depth=1
	v_or_b32_e32 v3, 0x10000, v2
	v_cmp_eq_u32_sdwa s[0:1], v2, v23 src0_sel:WORD_0 src1_sel:DWORD
	v_cndmask_b32_e64 v79, v3, v2, s[0:1]
; %bb.241:                              ;   in Loop: Header=BB184_43 Depth=1
	s_or_b64 exec, exec, s[6:7]
	v_lshlrev_b32_e32 v2, 16, v80
	v_mul_f32_e32 v2, v50, v2
	v_and_b32_e32 v3, 0x7f800000, v2
	v_cmp_ne_u32_e64 s[0:1], s14, v3
                                        ; implicit-def: $vgpr80
	s_and_saveexec_b64 s[6:7], s[0:1]
	s_xor_b64 s[0:1], exec, s[6:7]
; %bb.242:                              ;   in Loop: Header=BB184_43 Depth=1
	v_bfe_u32 v3, v2, 16, 1
	v_add3_u32 v80, v2, v3, s15
                                        ; implicit-def: $vgpr2
; %bb.243:                              ;   in Loop: Header=BB184_43 Depth=1
	s_andn2_saveexec_b64 s[6:7], s[0:1]
; %bb.244:                              ;   in Loop: Header=BB184_43 Depth=1
	v_or_b32_e32 v3, 0x10000, v2
	v_cmp_eq_u32_sdwa s[0:1], v2, v23 src0_sel:WORD_0 src1_sel:DWORD
	v_cndmask_b32_e64 v80, v3, v2, s[0:1]
; %bb.245:                              ;   in Loop: Header=BB184_43 Depth=1
	s_or_b64 exec, exec, s[6:7]
	v_add_co_u32_e64 v2, s[0:1], v41, v27
	v_addc_co_u32_e64 v3, s[0:1], 0, v42, s[0:1]
	global_load_dwordx4 v[2:5], v[2:3], off
	s_waitcnt vmcnt(0)
	v_lshrrev_b32_e32 v82, 16, v2
	v_lshrrev_b32_e32 v81, 16, v3
	;; [unrolled: 1-line block ×4, first 2 shown]
	s_and_saveexec_b64 s[0:1], vcc
	s_cbranch_execz .LBB184_247
; %bb.246:                              ;   in Loop: Header=BB184_43 Depth=1
	v_cmp_gt_i32_e32 vcc, s33, v33
	v_cndmask_b32_e32 v2, 0, v2, vcc
	v_cmp_gt_i32_e32 vcc, s33, v39
	v_cndmask_b32_e32 v82, 0, v82, vcc
	;; [unrolled: 2-line block ×8, first 2 shown]
.LBB184_247:                            ;   in Loop: Header=BB184_43 Depth=1
	s_or_b64 exec, exec, s[0:1]
	v_lshlrev_b32_e32 v2, 16, v2
	v_mul_f32_e32 v33, v43, v2
	v_and_b32_e32 v2, 0x7f800000, v33
	v_cmp_ne_u32_e32 vcc, s14, v2
                                        ; implicit-def: $vgpr2
	s_and_saveexec_b64 s[0:1], vcc
	s_xor_b64 s[0:1], exec, s[0:1]
; %bb.248:                              ;   in Loop: Header=BB184_43 Depth=1
	v_bfe_u32 v2, v33, 16, 1
	v_add3_u32 v2, v33, v2, s15
                                        ; implicit-def: $vgpr33
; %bb.249:                              ;   in Loop: Header=BB184_43 Depth=1
	s_andn2_saveexec_b64 s[0:1], s[0:1]
; %bb.250:                              ;   in Loop: Header=BB184_43 Depth=1
	v_or_b32_e32 v2, 0x10000, v33
	v_cmp_eq_u32_sdwa vcc, v33, v23 src0_sel:WORD_0 src1_sel:DWORD
	v_cndmask_b32_e32 v2, v2, v33, vcc
; %bb.251:                              ;   in Loop: Header=BB184_43 Depth=1
	s_or_b64 exec, exec, s[0:1]
	v_lshlrev_b32_e32 v33, 16, v82
	v_mul_f32_e32 v34, v44, v33
	v_and_b32_e32 v33, 0x7f800000, v34
	v_cmp_ne_u32_e32 vcc, s14, v33
                                        ; implicit-def: $vgpr33
	s_and_saveexec_b64 s[0:1], vcc
	s_xor_b64 s[0:1], exec, s[0:1]
; %bb.252:                              ;   in Loop: Header=BB184_43 Depth=1
	v_bfe_u32 v33, v34, 16, 1
	v_add3_u32 v33, v34, v33, s15
                                        ; implicit-def: $vgpr34
; %bb.253:                              ;   in Loop: Header=BB184_43 Depth=1
	s_andn2_saveexec_b64 s[0:1], s[0:1]
; %bb.254:                              ;   in Loop: Header=BB184_43 Depth=1
	v_or_b32_e32 v33, 0x10000, v34
	v_cmp_eq_u32_sdwa vcc, v34, v23 src0_sel:WORD_0 src1_sel:DWORD
	v_cndmask_b32_e32 v33, v33, v34, vcc
; %bb.255:                              ;   in Loop: Header=BB184_43 Depth=1
	s_or_b64 exec, exec, s[0:1]
	v_lshlrev_b32_e32 v3, 16, v3
	v_mul_f32_e32 v34, v45, v3
	v_and_b32_e32 v3, 0x7f800000, v34
	v_cmp_ne_u32_e32 vcc, s14, v3
                                        ; implicit-def: $vgpr3
	s_and_saveexec_b64 s[0:1], vcc
	s_xor_b64 s[0:1], exec, s[0:1]
; %bb.256:                              ;   in Loop: Header=BB184_43 Depth=1
	v_bfe_u32 v3, v34, 16, 1
	v_add3_u32 v3, v34, v3, s15
                                        ; implicit-def: $vgpr34
; %bb.257:                              ;   in Loop: Header=BB184_43 Depth=1
	s_andn2_saveexec_b64 s[0:1], s[0:1]
; %bb.258:                              ;   in Loop: Header=BB184_43 Depth=1
	v_or_b32_e32 v3, 0x10000, v34
	v_cmp_eq_u32_sdwa vcc, v34, v23 src0_sel:WORD_0 src1_sel:DWORD
	v_cndmask_b32_e32 v3, v3, v34, vcc
; %bb.259:                              ;   in Loop: Header=BB184_43 Depth=1
	s_or_b64 exec, exec, s[0:1]
	v_lshlrev_b32_e32 v34, 16, v81
	v_mul_f32_e32 v35, v46, v34
	v_and_b32_e32 v34, 0x7f800000, v35
	v_cmp_ne_u32_e32 vcc, s14, v34
                                        ; implicit-def: $vgpr34
	s_and_saveexec_b64 s[0:1], vcc
	s_xor_b64 s[0:1], exec, s[0:1]
; %bb.260:                              ;   in Loop: Header=BB184_43 Depth=1
	v_bfe_u32 v34, v35, 16, 1
	v_add3_u32 v34, v35, v34, s15
                                        ; implicit-def: $vgpr35
; %bb.261:                              ;   in Loop: Header=BB184_43 Depth=1
	s_andn2_saveexec_b64 s[0:1], s[0:1]
; %bb.262:                              ;   in Loop: Header=BB184_43 Depth=1
	v_or_b32_e32 v34, 0x10000, v35
	v_cmp_eq_u32_sdwa vcc, v35, v23 src0_sel:WORD_0 src1_sel:DWORD
	v_cndmask_b32_e32 v34, v34, v35, vcc
; %bb.263:                              ;   in Loop: Header=BB184_43 Depth=1
	s_or_b64 exec, exec, s[0:1]
	v_lshlrev_b32_e32 v4, 16, v4
	v_mul_f32_e32 v35, v47, v4
	v_and_b32_e32 v4, 0x7f800000, v35
	v_cmp_ne_u32_e32 vcc, s14, v4
                                        ; implicit-def: $vgpr4
	s_and_saveexec_b64 s[0:1], vcc
	s_xor_b64 s[0:1], exec, s[0:1]
; %bb.264:                              ;   in Loop: Header=BB184_43 Depth=1
	v_bfe_u32 v4, v35, 16, 1
	v_add3_u32 v4, v35, v4, s15
                                        ; implicit-def: $vgpr35
; %bb.265:                              ;   in Loop: Header=BB184_43 Depth=1
	s_andn2_saveexec_b64 s[0:1], s[0:1]
; %bb.266:                              ;   in Loop: Header=BB184_43 Depth=1
	v_or_b32_e32 v4, 0x10000, v35
	v_cmp_eq_u32_sdwa vcc, v35, v23 src0_sel:WORD_0 src1_sel:DWORD
	v_cndmask_b32_e32 v4, v4, v35, vcc
; %bb.267:                              ;   in Loop: Header=BB184_43 Depth=1
	s_or_b64 exec, exec, s[0:1]
	v_lshlrev_b32_e32 v35, 16, v42
	v_mul_f32_e32 v36, v48, v35
	v_and_b32_e32 v35, 0x7f800000, v36
	v_cmp_ne_u32_e32 vcc, s14, v35
                                        ; implicit-def: $vgpr35
	s_and_saveexec_b64 s[0:1], vcc
	s_xor_b64 s[0:1], exec, s[0:1]
; %bb.268:                              ;   in Loop: Header=BB184_43 Depth=1
	v_bfe_u32 v35, v36, 16, 1
	v_add3_u32 v35, v36, v35, s15
                                        ; implicit-def: $vgpr36
; %bb.269:                              ;   in Loop: Header=BB184_43 Depth=1
	s_andn2_saveexec_b64 s[0:1], s[0:1]
; %bb.270:                              ;   in Loop: Header=BB184_43 Depth=1
	v_or_b32_e32 v35, 0x10000, v36
	v_cmp_eq_u32_sdwa vcc, v36, v23 src0_sel:WORD_0 src1_sel:DWORD
	v_cndmask_b32_e32 v35, v35, v36, vcc
; %bb.271:                              ;   in Loop: Header=BB184_43 Depth=1
	s_or_b64 exec, exec, s[0:1]
	v_lshlrev_b32_e32 v5, 16, v5
	v_mul_f32_e32 v36, v49, v5
	v_and_b32_e32 v5, 0x7f800000, v36
	v_cmp_ne_u32_e32 vcc, s14, v5
                                        ; implicit-def: $vgpr5
	s_and_saveexec_b64 s[0:1], vcc
	s_xor_b64 s[0:1], exec, s[0:1]
; %bb.272:                              ;   in Loop: Header=BB184_43 Depth=1
	v_bfe_u32 v5, v36, 16, 1
	v_add3_u32 v5, v36, v5, s15
                                        ; implicit-def: $vgpr36
; %bb.273:                              ;   in Loop: Header=BB184_43 Depth=1
	s_andn2_saveexec_b64 s[0:1], s[0:1]
; %bb.274:                              ;   in Loop: Header=BB184_43 Depth=1
	v_or_b32_e32 v5, 0x10000, v36
	v_cmp_eq_u32_sdwa vcc, v36, v23 src0_sel:WORD_0 src1_sel:DWORD
	v_cndmask_b32_e32 v5, v5, v36, vcc
; %bb.275:                              ;   in Loop: Header=BB184_43 Depth=1
	s_or_b64 exec, exec, s[0:1]
	v_lshlrev_b32_e32 v36, 16, v41
	v_mul_f32_e32 v37, v50, v36
	v_and_b32_e32 v36, 0x7f800000, v37
	v_cmp_ne_u32_e32 vcc, s14, v36
                                        ; implicit-def: $vgpr36
	s_and_saveexec_b64 s[0:1], vcc
	s_xor_b64 s[0:1], exec, s[0:1]
; %bb.276:                              ;   in Loop: Header=BB184_43 Depth=1
	v_bfe_u32 v36, v37, 16, 1
	v_add3_u32 v36, v37, v36, s15
                                        ; implicit-def: $vgpr37
; %bb.277:                              ;   in Loop: Header=BB184_43 Depth=1
	s_andn2_saveexec_b64 s[0:1], s[0:1]
	s_cbranch_execz .LBB184_42
; %bb.278:                              ;   in Loop: Header=BB184_43 Depth=1
	v_or_b32_e32 v36, 0x10000, v37
	v_cmp_eq_u32_sdwa vcc, v37, v23 src0_sel:WORD_0 src1_sel:DWORD
	v_cndmask_b32_e32 v36, v36, v37, vcc
	s_branch .LBB184_42
.LBB184_279:
	s_or_b64 exec, exec, s[4:5]
.LBB184_280:
	s_or_b64 exec, exec, s[2:3]
	ds_bpermute_b32 v2, v20, v16
	ds_bpermute_b32 v3, v20, v17
	;; [unrolled: 1-line block ×6, first 2 shown]
	s_waitcnt lgkmcnt(4)
	v_pk_add_f32 v[2:3], v[16:17], v[2:3]
	ds_bpermute_b32 v8, v21, v2
	ds_bpermute_b32 v9, v21, v3
	s_waitcnt lgkmcnt(4)
	v_pk_add_f32 v[4:5], v[14:15], v[4:5]
	s_waitcnt lgkmcnt(2)
	v_pk_add_f32 v[12:13], v[12:13], v[6:7]
	ds_bpermute_b32 v10, v21, v4
	ds_bpermute_b32 v11, v21, v5
	;; [unrolled: 1-line block ×4, first 2 shown]
	s_waitcnt lgkmcnt(4)
	v_pk_add_f32 v[6:7], v[2:3], v[8:9]
	v_and_b32_e32 v8, 0x3c3, v0
	s_waitcnt lgkmcnt(2)
	v_pk_add_f32 v[2:3], v[4:5], v[10:11]
	v_cmp_eq_u32_e32 vcc, 64, v8
	s_waitcnt lgkmcnt(0)
	v_pk_add_f32 v[4:5], v[12:13], v[14:15]
	s_barrier
	s_and_saveexec_b64 s[0:1], vcc
	s_cbranch_execz .LBB184_282
; %bb.281:
	v_add_u32_e32 v1, 0xd0, v1
	ds_write2_b32 v1, v6, v7 offset1:16
	ds_write2_b32 v1, v2, v3 offset0:32 offset1:48
	ds_write2_b32 v1, v4, v5 offset0:64 offset1:80
.LBB184_282:
	s_or_b64 exec, exec, s[0:1]
	v_cmp_gt_u32_e32 vcc, 64, v0
	s_waitcnt lgkmcnt(0)
	s_barrier
	s_and_saveexec_b64 s[2:3], vcc
	s_cbranch_execz .LBB184_291
; %bb.283:
	v_cmp_eq_u32_e64 s[0:1], 0, v22
	v_lshrrev_b32_e32 v1, 2, v0
	s_and_saveexec_b64 s[4:5], s[0:1]
	s_cbranch_execnz .LBB184_319
; %bb.284:
	s_or_b64 exec, exec, s[4:5]
	s_and_saveexec_b64 s[4:5], s[0:1]
	s_cbranch_execnz .LBB184_320
.LBB184_285:
	s_or_b64 exec, exec, s[4:5]
	s_and_saveexec_b64 s[4:5], s[0:1]
	s_cbranch_execnz .LBB184_321
.LBB184_286:
	s_or_b64 exec, exec, s[4:5]
	s_and_saveexec_b64 s[4:5], s[0:1]
	s_cbranch_execnz .LBB184_322
.LBB184_287:
	s_or_b64 exec, exec, s[4:5]
	s_and_saveexec_b64 s[4:5], s[0:1]
	s_cbranch_execnz .LBB184_323
.LBB184_288:
	s_or_b64 exec, exec, s[4:5]
	s_and_saveexec_b64 s[4:5], s[0:1]
	s_cbranch_execz .LBB184_290
.LBB184_289:
	v_mov_b32_e32 v8, 0xd0
	v_lshl_add_u32 v1, v1, 2, v8
	ds_read_b32 v1, v1 offset:320
	s_waitcnt lgkmcnt(0)
	v_add_f32_e32 v5, v5, v1
.LBB184_290:
	s_or_b64 exec, exec, s[4:5]
.LBB184_291:
	s_or_b64 exec, exec, s[2:3]
	s_barrier
	s_and_saveexec_b64 s[0:1], vcc
	s_cbranch_execz .LBB184_318
; %bb.292:
	v_cmp_eq_u32_e32 vcc, 0, v22
	s_and_b64 exec, exec, vcc
	s_cbranch_execz .LBB184_318
; %bb.293:
	s_mov_b32 s0, 0x7f800000
	v_and_b32_e32 v1, 0x7f800000, v6
	v_cmp_ne_u32_e32 vcc, s0, v1
                                        ; implicit-def: $vgpr1
	s_and_saveexec_b64 s[0:1], vcc
	s_xor_b64 s[0:1], exec, s[0:1]
; %bb.294:
	v_bfe_u32 v1, v6, 16, 1
	s_movk_i32 s2, 0x7fff
	v_add3_u32 v1, v6, v1, s2
; %bb.295:
	s_andn2_saveexec_b64 s[0:1], s[0:1]
; %bb.296:
	v_mov_b32_e32 v1, 0
	v_or_b32_e32 v8, 0x10000, v6
	v_cmp_eq_u32_sdwa vcc, v6, v1 src0_sel:WORD_0 src1_sel:DWORD
	v_cndmask_b32_e32 v1, v8, v6, vcc
; %bb.297:
	s_or_b64 exec, exec, s[0:1]
	s_mul_i32 s0, s12, s20
	s_mul_i32 s0, s0, s21
	s_mulk_i32 s0, 0x60
	s_ashr_i32 s1, s0, 31
	s_lshl_b64 s[0:1], s[0:1], 1
	s_add_u32 s2, s24, s0
	s_mul_i32 s0, s12, s22
	s_addc_u32 s3, s25, s1
	s_ashr_i32 s1, s0, 31
	s_lshl_b64 s[0:1], s[0:1], 1
	s_add_u32 s2, s2, s0
	s_mul_i32 s0, s8, 0x60
	s_addc_u32 s3, s3, s1
	s_ashr_i32 s1, s0, 31
	s_lshl_b64 s[0:1], s[0:1], 1
	s_add_u32 s0, s2, s0
	v_lshrrev_b32_e32 v0, 1, v0
	s_addc_u32 s1, s3, s1
	v_and_b32_e32 v0, 0x1fe, v0
	v_mov_b32_e32 v6, s1
	v_add_co_u32_e32 v8, vcc, s0, v0
	v_addc_co_u32_e32 v9, vcc, 0, v6, vcc
	global_store_short_d16_hi v0, v1, s[0:1]
	s_mov_b32 s0, 0x7f800000
	v_and_b32_e32 v0, 0x7f800000, v7
	v_cmp_ne_u32_e32 vcc, s0, v0
                                        ; implicit-def: $vgpr0
	s_and_saveexec_b64 s[0:1], vcc
	s_xor_b64 s[0:1], exec, s[0:1]
; %bb.298:
	v_bfe_u32 v0, v7, 16, 1
	s_movk_i32 s2, 0x7fff
	v_add3_u32 v0, v7, v0, s2
; %bb.299:
	s_andn2_saveexec_b64 s[0:1], s[0:1]
; %bb.300:
	v_mov_b32_e32 v0, 0
	v_or_b32_e32 v1, 0x10000, v7
	v_cmp_eq_u32_sdwa vcc, v7, v0 src0_sel:WORD_0 src1_sel:DWORD
	v_cndmask_b32_e32 v0, v1, v7, vcc
; %bb.301:
	s_or_b64 exec, exec, s[0:1]
	global_store_short_d16_hi v[8:9], v0, off offset:32
	s_mov_b32 s0, 0x7f800000
	v_and_b32_e32 v0, 0x7f800000, v2
	v_cmp_ne_u32_e32 vcc, s0, v0
                                        ; implicit-def: $vgpr0
	s_and_saveexec_b64 s[0:1], vcc
	s_xor_b64 s[0:1], exec, s[0:1]
; %bb.302:
	v_bfe_u32 v0, v2, 16, 1
	s_movk_i32 s2, 0x7fff
	v_add3_u32 v0, v2, v0, s2
; %bb.303:
	s_andn2_saveexec_b64 s[0:1], s[0:1]
; %bb.304:
	v_mov_b32_e32 v0, 0
	v_or_b32_e32 v1, 0x10000, v2
	v_cmp_eq_u32_sdwa vcc, v2, v0 src0_sel:WORD_0 src1_sel:DWORD
	v_cndmask_b32_e32 v0, v1, v2, vcc
; %bb.305:
	s_or_b64 exec, exec, s[0:1]
	global_store_short_d16_hi v[8:9], v0, off offset:64
	s_mov_b32 s0, 0x7f800000
	v_and_b32_e32 v0, 0x7f800000, v3
	v_cmp_ne_u32_e32 vcc, s0, v0
                                        ; implicit-def: $vgpr0
	s_and_saveexec_b64 s[0:1], vcc
	s_xor_b64 s[0:1], exec, s[0:1]
; %bb.306:
	v_bfe_u32 v0, v3, 16, 1
	s_movk_i32 s2, 0x7fff
	v_add3_u32 v0, v3, v0, s2
; %bb.307:
	s_andn2_saveexec_b64 s[0:1], s[0:1]
; %bb.308:
	v_mov_b32_e32 v0, 0
	v_or_b32_e32 v1, 0x10000, v3
	v_cmp_eq_u32_sdwa vcc, v3, v0 src0_sel:WORD_0 src1_sel:DWORD
	v_cndmask_b32_e32 v0, v1, v3, vcc
; %bb.309:
	s_or_b64 exec, exec, s[0:1]
	global_store_short_d16_hi v[8:9], v0, off offset:96
	s_mov_b32 s0, 0x7f800000
	v_and_b32_e32 v0, 0x7f800000, v4
	v_cmp_ne_u32_e32 vcc, s0, v0
                                        ; implicit-def: $vgpr0
	s_and_saveexec_b64 s[0:1], vcc
	s_xor_b64 s[0:1], exec, s[0:1]
; %bb.310:
	v_bfe_u32 v0, v4, 16, 1
	s_movk_i32 s2, 0x7fff
	v_add3_u32 v0, v4, v0, s2
; %bb.311:
	s_andn2_saveexec_b64 s[0:1], s[0:1]
; %bb.312:
	v_mov_b32_e32 v0, 0
	v_or_b32_e32 v1, 0x10000, v4
	v_cmp_eq_u32_sdwa vcc, v4, v0 src0_sel:WORD_0 src1_sel:DWORD
	v_cndmask_b32_e32 v0, v1, v4, vcc
; %bb.313:
	s_or_b64 exec, exec, s[0:1]
	global_store_short_d16_hi v[8:9], v0, off offset:128
	s_mov_b32 s0, 0x7f800000
	v_and_b32_e32 v0, 0x7f800000, v5
	v_cmp_ne_u32_e32 vcc, s0, v0
                                        ; implicit-def: $vgpr6
	s_and_saveexec_b64 s[0:1], vcc
	s_xor_b64 s[0:1], exec, s[0:1]
; %bb.314:
	v_bfe_u32 v0, v5, 16, 1
	s_movk_i32 s2, 0x7fff
	v_add3_u32 v6, v5, v0, s2
                                        ; implicit-def: $vgpr0_vgpr1_vgpr2_vgpr3_vgpr4_vgpr5
; %bb.315:
	s_andn2_saveexec_b64 s[0:1], s[0:1]
; %bb.316:
	v_mov_b32_e32 v0, 0
	v_or_b32_e32 v1, 0x10000, v5
	v_cmp_eq_u32_sdwa vcc, v5, v0 src0_sel:WORD_0 src1_sel:DWORD
	v_cndmask_b32_e32 v6, v1, v5, vcc
; %bb.317:
	s_or_b64 exec, exec, s[0:1]
	global_store_short_d16_hi v[8:9], v6, off offset:160
.LBB184_318:
	s_endpgm
.LBB184_319:
	v_mov_b32_e32 v8, 0xd0
	v_lshl_add_u32 v8, v1, 2, v8
	ds_read_b32 v8, v8
	s_waitcnt lgkmcnt(0)
	v_add_f32_e32 v6, v6, v8
	s_or_b64 exec, exec, s[4:5]
	s_and_saveexec_b64 s[4:5], s[0:1]
	s_cbranch_execz .LBB184_285
.LBB184_320:
	v_mov_b32_e32 v8, 0xd0
	v_lshl_add_u32 v8, v1, 2, v8
	ds_read_b32 v8, v8 offset:64
	s_waitcnt lgkmcnt(0)
	v_add_f32_e32 v7, v7, v8
	s_or_b64 exec, exec, s[4:5]
	s_and_saveexec_b64 s[4:5], s[0:1]
	s_cbranch_execz .LBB184_286
.LBB184_321:
	v_mov_b32_e32 v8, 0xd0
	v_lshl_add_u32 v8, v1, 2, v8
	ds_read_b32 v8, v8 offset:128
	s_waitcnt lgkmcnt(0)
	v_add_f32_e32 v2, v2, v8
	s_or_b64 exec, exec, s[4:5]
	s_and_saveexec_b64 s[4:5], s[0:1]
	s_cbranch_execz .LBB184_287
.LBB184_322:
	v_mov_b32_e32 v8, 0xd0
	v_lshl_add_u32 v8, v1, 2, v8
	ds_read_b32 v8, v8 offset:192
	s_waitcnt lgkmcnt(0)
	v_add_f32_e32 v3, v3, v8
	s_or_b64 exec, exec, s[4:5]
	s_and_saveexec_b64 s[4:5], s[0:1]
	s_cbranch_execz .LBB184_288
.LBB184_323:
	v_mov_b32_e32 v8, 0xd0
	v_lshl_add_u32 v8, v1, 2, v8
	ds_read_b32 v8, v8 offset:256
	s_waitcnt lgkmcnt(0)
	v_add_f32_e32 v4, v4, v8
	s_or_b64 exec, exec, s[4:5]
	s_and_saveexec_b64 s[4:5], s[0:1]
	s_cbranch_execnz .LBB184_289
	s_branch .LBB184_290
	.section	.rodata,"a",@progbits
	.p2align	6, 0x0
	.amdhsa_kernel _ZN4vllm25paged_attention_v2_kernelI14__hip_bfloat16S1_Li96ELi32ELi128ELNS_18Fp8KVCacheDataTypeE0ELb0ELi512EEEvPfS3_PT_PKS4_PKT0_SA_ifPKiSC_iPKfiiiSE_SE_iiiii
		.amdhsa_group_segment_fixed_size 208
		.amdhsa_private_segment_fixed_size 0
		.amdhsa_kernarg_size 400
		.amdhsa_user_sgpr_count 6
		.amdhsa_user_sgpr_private_segment_buffer 1
		.amdhsa_user_sgpr_dispatch_ptr 0
		.amdhsa_user_sgpr_queue_ptr 0
		.amdhsa_user_sgpr_kernarg_segment_ptr 1
		.amdhsa_user_sgpr_dispatch_id 0
		.amdhsa_user_sgpr_flat_scratch_init 0
		.amdhsa_user_sgpr_kernarg_preload_length 0
		.amdhsa_user_sgpr_kernarg_preload_offset 0
		.amdhsa_user_sgpr_private_segment_size 0
		.amdhsa_uses_dynamic_stack 0
		.amdhsa_system_sgpr_private_segment_wavefront_offset 0
		.amdhsa_system_sgpr_workgroup_id_x 1
		.amdhsa_system_sgpr_workgroup_id_y 1
		.amdhsa_system_sgpr_workgroup_id_z 1
		.amdhsa_system_sgpr_workgroup_info 0
		.amdhsa_system_vgpr_workitem_id 0
		.amdhsa_next_free_vgpr 112
		.amdhsa_next_free_sgpr 43
		.amdhsa_accum_offset 112
		.amdhsa_reserve_vcc 1
		.amdhsa_reserve_flat_scratch 0
		.amdhsa_float_round_mode_32 0
		.amdhsa_float_round_mode_16_64 0
		.amdhsa_float_denorm_mode_32 3
		.amdhsa_float_denorm_mode_16_64 3
		.amdhsa_dx10_clamp 1
		.amdhsa_ieee_mode 1
		.amdhsa_fp16_overflow 0
		.amdhsa_tg_split 0
		.amdhsa_exception_fp_ieee_invalid_op 0
		.amdhsa_exception_fp_denorm_src 0
		.amdhsa_exception_fp_ieee_div_zero 0
		.amdhsa_exception_fp_ieee_overflow 0
		.amdhsa_exception_fp_ieee_underflow 0
		.amdhsa_exception_fp_ieee_inexact 0
		.amdhsa_exception_int_div_zero 0
	.end_amdhsa_kernel
	.section	.text._ZN4vllm25paged_attention_v2_kernelI14__hip_bfloat16S1_Li96ELi32ELi128ELNS_18Fp8KVCacheDataTypeE0ELb0ELi512EEEvPfS3_PT_PKS4_PKT0_SA_ifPKiSC_iPKfiiiSE_SE_iiiii,"axG",@progbits,_ZN4vllm25paged_attention_v2_kernelI14__hip_bfloat16S1_Li96ELi32ELi128ELNS_18Fp8KVCacheDataTypeE0ELb0ELi512EEEvPfS3_PT_PKS4_PKT0_SA_ifPKiSC_iPKfiiiSE_SE_iiiii,comdat
.Lfunc_end184:
	.size	_ZN4vllm25paged_attention_v2_kernelI14__hip_bfloat16S1_Li96ELi32ELi128ELNS_18Fp8KVCacheDataTypeE0ELb0ELi512EEEvPfS3_PT_PKS4_PKT0_SA_ifPKiSC_iPKfiiiSE_SE_iiiii, .Lfunc_end184-_ZN4vllm25paged_attention_v2_kernelI14__hip_bfloat16S1_Li96ELi32ELi128ELNS_18Fp8KVCacheDataTypeE0ELb0ELi512EEEvPfS3_PT_PKS4_PKT0_SA_ifPKiSC_iPKfiiiSE_SE_iiiii
                                        ; -- End function
	.section	.AMDGPU.csdata,"",@progbits
; Kernel info:
; codeLenInByte = 11080
; NumSgprs: 47
; NumVgprs: 112
; NumAgprs: 0
; TotalNumVgprs: 112
; ScratchSize: 0
; MemoryBound: 0
; FloatMode: 240
; IeeeMode: 1
; LDSByteSize: 208 bytes/workgroup (compile time only)
; SGPRBlocks: 5
; VGPRBlocks: 13
; NumSGPRsForWavesPerEU: 47
; NumVGPRsForWavesPerEU: 112
; AccumOffset: 112
; Occupancy: 4
; WaveLimiterHint : 1
; COMPUTE_PGM_RSRC2:SCRATCH_EN: 0
; COMPUTE_PGM_RSRC2:USER_SGPR: 6
; COMPUTE_PGM_RSRC2:TRAP_HANDLER: 0
; COMPUTE_PGM_RSRC2:TGID_X_EN: 1
; COMPUTE_PGM_RSRC2:TGID_Y_EN: 1
; COMPUTE_PGM_RSRC2:TGID_Z_EN: 1
; COMPUTE_PGM_RSRC2:TIDIG_COMP_CNT: 0
; COMPUTE_PGM_RSRC3_GFX90A:ACCUM_OFFSET: 27
; COMPUTE_PGM_RSRC3_GFX90A:TG_SPLIT: 0
	.section	.text._ZN4vllm25paged_attention_v2_kernelI14__hip_bfloat16S1_Li112ELi32ELi128ELNS_18Fp8KVCacheDataTypeE0ELb0ELi512EEEvPfS3_PT_PKS4_PKT0_SA_ifPKiSC_iPKfiiiSE_SE_iiiii,"axG",@progbits,_ZN4vllm25paged_attention_v2_kernelI14__hip_bfloat16S1_Li112ELi32ELi128ELNS_18Fp8KVCacheDataTypeE0ELb0ELi512EEEvPfS3_PT_PKS4_PKT0_SA_ifPKiSC_iPKfiiiSE_SE_iiiii,comdat
	.protected	_ZN4vllm25paged_attention_v2_kernelI14__hip_bfloat16S1_Li112ELi32ELi128ELNS_18Fp8KVCacheDataTypeE0ELb0ELi512EEEvPfS3_PT_PKS4_PKT0_SA_ifPKiSC_iPKfiiiSE_SE_iiiii ; -- Begin function _ZN4vllm25paged_attention_v2_kernelI14__hip_bfloat16S1_Li112ELi32ELi128ELNS_18Fp8KVCacheDataTypeE0ELb0ELi512EEEvPfS3_PT_PKS4_PKT0_SA_ifPKiSC_iPKfiiiSE_SE_iiiii
	.globl	_ZN4vllm25paged_attention_v2_kernelI14__hip_bfloat16S1_Li112ELi32ELi128ELNS_18Fp8KVCacheDataTypeE0ELb0ELi512EEEvPfS3_PT_PKS4_PKT0_SA_ifPKiSC_iPKfiiiSE_SE_iiiii
	.p2align	8
	.type	_ZN4vllm25paged_attention_v2_kernelI14__hip_bfloat16S1_Li112ELi32ELi128ELNS_18Fp8KVCacheDataTypeE0ELb0ELi512EEEvPfS3_PT_PKS4_PKT0_SA_ifPKiSC_iPKfiiiSE_SE_iiiii,@function
_ZN4vllm25paged_attention_v2_kernelI14__hip_bfloat16S1_Li112ELi32ELi128ELNS_18Fp8KVCacheDataTypeE0ELb0ELi512EEEvPfS3_PT_PKS4_PKT0_SA_ifPKiSC_iPKfiiiSE_SE_iiiii: ; @_ZN4vllm25paged_attention_v2_kernelI14__hip_bfloat16S1_Li112ELi32ELi128ELNS_18Fp8KVCacheDataTypeE0ELb0ELi512EEEvPfS3_PT_PKS4_PKT0_SA_ifPKiSC_iPKfiiiSE_SE_iiiii
; %bb.0:
	s_load_dwordx2 s[0:1], s[4:5], 0x40
	s_mov_b32 s20, s7
	s_ashr_i32 s21, s7, 31
	s_lshl_b64 s[2:3], s[20:21], 2
	s_waitcnt lgkmcnt(0)
	s_add_u32 s0, s0, s2
	s_addc_u32 s1, s1, s3
	s_load_dword s33, s[0:1], 0x0
	s_lshl_b32 s40, s8, 9
	s_waitcnt lgkmcnt(0)
	s_cmp_ge_i32 s40, s33
	s_cbranch_scc1 .LBB185_357
; %bb.1:
	s_load_dword s21, s[4:5], 0x90
	s_load_dwordx2 s[10:11], s[4:5], 0x30
	s_waitcnt lgkmcnt(0)
	s_abs_i32 s2, s21
	s_abs_i32 s0, s10
	v_cvt_f32_u32_e32 v1, s0
	s_sub_i32 s3, 0, s0
	s_xor_b32 s1, s21, s10
	s_ashr_i32 s1, s1, 31
	v_rcp_iflag_f32_e32 v1, v1
	s_mov_b32 s10, 0
	v_mul_f32_e32 v1, 0x4f7ffffe, v1
	v_cvt_u32_f32_e32 v1, v1
	v_readfirstlane_b32 s7, v1
	s_mul_i32 s3, s3, s7
	s_mul_hi_u32 s3, s7, s3
	s_add_i32 s7, s7, s3
	s_mul_hi_u32 s3, s2, s7
	s_mul_i32 s7, s3, s0
	s_sub_i32 s2, s2, s7
	s_add_i32 s9, s3, 1
	s_sub_i32 s7, s2, s0
	s_cmp_ge_u32 s2, s0
	s_cselect_b32 s3, s9, s3
	s_cselect_b32 s2, s7, s2
	s_add_i32 s7, s3, 1
	s_cmp_ge_u32 s2, s0
	s_cselect_b32 s0, s7, s3
	s_xor_b32 s0, s0, s1
	s_sub_i32 s9, s0, s1
	s_abs_i32 s2, s9
	v_cvt_f32_u32_e32 v1, s2
	s_load_dwordx2 s[0:1], s[4:5], 0x50
	s_sub_i32 s7, 0, s2
	s_abs_i32 s3, s6
	v_rcp_iflag_f32_e32 v1, v1
	v_mul_f32_e32 v1, 0x4f7ffffe, v1
	v_cvt_u32_f32_e32 v1, v1
	v_readfirstlane_b32 s12, v1
	s_mul_i32 s7, s7, s12
	s_mul_hi_u32 s7, s12, s7
	s_add_i32 s12, s12, s7
	s_waitcnt lgkmcnt(0)
	s_cmp_eq_u64 s[0:1], 0
	s_mul_hi_u32 s16, s3, s12
	s_cbranch_scc1 .LBB185_3
; %bb.2:
	s_ashr_i32 s7, s6, 31
	s_lshl_b64 s[12:13], s[6:7], 2
	s_add_u32 s0, s0, s12
	s_addc_u32 s1, s1, s13
	s_load_dword s10, s[0:1], 0x0
.LBB185_3:
	s_load_dwordx4 s[12:15], s[4:5], 0x58
	s_ashr_i32 s17, s6, 31
	s_ashr_i32 s18, s9, 31
	v_and_b32_e32 v4, 1, v0
	s_movk_i32 s7, 0x70
	s_mul_i32 s22, s6, 0x70
	v_cmp_gt_u32_e32 vcc, 28, v0
	v_lshlrev_b32_e32 v26, 3, v0
	s_and_saveexec_b64 s[0:1], vcc
	s_cbranch_execz .LBB185_5
; %bb.4:
	s_load_dwordx2 s[24:25], s[4:5], 0x18
	s_waitcnt lgkmcnt(0)
	s_mul_i32 s26, s20, s12
	s_ashr_i32 s27, s26, 31
	s_lshl_b64 s[26:27], s[26:27], 1
	v_lshlrev_b32_e32 v1, 2, v0
	s_add_u32 s9, s24, s26
	s_addc_u32 s12, s25, s27
	s_ashr_i32 s23, s22, 31
	s_lshl_b64 s[24:25], s[22:23], 1
	s_add_u32 s24, s9, s24
	s_addc_u32 s25, s12, s25
	global_load_dwordx2 v[2:3], v26, s[24:25]
	v_and_b32_e32 v1, 0xff8, v1
	v_mad_u32_u24 v1, v4, s7, v1
	s_waitcnt vmcnt(0)
	ds_write_b64 v1, v[2:3]
.LBB185_5:
	s_or_b64 exec, exec, s[0:1]
	s_add_i32 s0, s33, 31
	s_ashr_i32 s1, s0, 31
	s_lshr_b32 s1, s1, 27
	s_add_i32 s0, s0, s1
	s_lshl_b32 s9, s8, 4
	s_mul_i32 s1, s16, s2
	s_ashr_i32 s7, s0, 5
	s_add_i32 s0, s9, 16
	s_sub_i32 s1, s3, s1
	s_min_i32 s23, s0, s7
	s_xor_b32 s0, s17, s18
	s_add_i32 s3, s16, 1
	s_waitcnt lgkmcnt(0)
	s_sub_i32 s12, s1, s2
	s_cmp_ge_u32 s1, s2
	s_cselect_b32 s3, s3, s16
	s_cselect_b32 s1, s12, s1
	s_add_i32 s12, s3, 1
	s_cmp_ge_u32 s1, s2
	s_load_dwordx2 s[26:27], s[4:5], 0x38
	s_load_dword s2, s[4:5], 0x48
	v_lshrrev_b32_e32 v27, 6, v0
	s_cselect_b32 s1, s12, s3
	s_xor_b32 s1, s1, s0
	v_or_b32_e32 v10, s9, v27
	s_waitcnt lgkmcnt(0)
	s_mul_i32 s28, s20, s2
	s_sub_i32 s15, s1, s0
	s_ashr_i32 s29, s28, 31
	v_cmp_gt_i32_e64 s[0:1], s23, v10
	v_cmp_le_i32_e32 vcc, s23, v10
	v_mbcnt_lo_u32_b32 v5, -1, 0
	s_barrier
	s_waitcnt lgkmcnt(0)
                                        ; implicit-def: $sgpr36
                                        ; implicit-def: $vgpr28
                                        ; implicit-def: $vgpr29
	s_and_saveexec_b64 s[2:3], vcc
	s_xor_b64 s[2:3], exec, s[2:3]
; %bb.6:
	v_mbcnt_hi_u32_b32 v28, -1, v5
	v_and_b32_e32 v1, 64, v28
	v_add_u32_e32 v29, 64, v1
	s_mov_b32 s36, 0xff7fffff
                                        ; implicit-def: $vgpr4
                                        ; implicit-def: $vgpr5
; %bb.7:
	s_or_saveexec_b64 s[34:35], s[2:3]
	s_load_dwordx4 s[16:19], s[4:5], 0x0
	s_load_dwordx2 s[24:25], s[4:5], 0x10
	s_load_dwordx2 s[30:31], s[4:5], 0x28
	s_load_dword s12, s[4:5], 0x98
	v_mov_b32_e32 v85, s36
	s_mul_i32 s14, s15, s14
	v_ashrrev_i32_e32 v11, 31, v10
	s_xor_b64 exec, exec, s[34:35]
	s_cbranch_execz .LBB185_13
; %bb.8:
	v_mul_u32_u24_e32 v2, 0x70, v4
	ds_read_b128 v[6:9], v2
	ds_read_b128 v[12:15], v2 offset:16
	ds_read_b128 v[16:19], v2 offset:32
	;; [unrolled: 1-line block ×3, first 2 shown]
	s_load_dwordx2 s[2:3], s[4:5], 0x20
	s_waitcnt lgkmcnt(0)
	v_lshlrev_b32_e32 v1, 16, v6
	v_and_b32_e32 v30, 0xffff0000, v6
	v_lshlrev_b32_e32 v31, 16, v7
	v_and_b32_e32 v32, 0xffff0000, v7
	;; [unrolled: 2-line block ×4, first 2 shown]
	ds_read_b128 v[6:9], v2 offset:64
	s_ashr_i32 s15, s14, 31
	v_lshlrev_b32_e32 v37, 16, v12
	v_and_b32_e32 v38, 0xffff0000, v12
	v_lshlrev_b32_e32 v39, 16, v13
	v_and_b32_e32 v40, 0xffff0000, v13
	;; [unrolled: 2-line block ×4, first 2 shown]
	ds_read_b128 v[12:15], v2 offset:80
	s_waitcnt lgkmcnt(1)
	v_lshlrev_b32_e32 v61, 16, v6
	v_and_b32_e32 v62, 0xffff0000, v6
	v_lshlrev_b32_e32 v63, 16, v7
	v_and_b32_e32 v64, 0xffff0000, v7
	;; [unrolled: 2-line block ×4, first 2 shown]
	ds_read_b128 v[6:9], v2 offset:96
	s_lshl_b64 s[4:5], s[14:15], 1
	s_add_u32 s4, s2, s4
	s_addc_u32 s5, s3, s5
	s_sub_i32 s15, 1, s33
	s_lshl_b64 s[2:3], s[28:29], 2
	s_add_u32 s2, s26, s2
	s_addc_u32 s3, s27, s3
	v_lshlrev_b64 v[2:3], 2, v[10:11]
	s_waitcnt lgkmcnt(0)
	v_lshlrev_b32_e32 v77, 16, v6
	v_and_b32_e32 v78, 0xffff0000, v6
	v_mov_b32_e32 v6, s3
	v_add_co_u32_e32 v2, vcc, s2, v2
	v_addc_co_u32_e32 v3, vcc, v6, v3, vcc
	v_cmp_eq_u32_e32 vcc, 0, v4
	v_bfe_u32 v4, v0, 1, 5
	v_lshlrev_b32_e32 v6, 4, v4
	v_lshlrev_b32_e32 v79, 16, v7
	v_and_b32_e32 v80, 0xffff0000, v7
	v_mov_b32_e32 v7, s5
	v_add_co_u32_e64 v6, s[2:3], s4, v6
	v_lshlrev_b32_e32 v81, 16, v8
	v_and_b32_e32 v82, 0xffff0000, v8
	v_addc_co_u32_e64 v7, s[2:3], 0, v7, s[2:3]
	v_and_b32_e32 v8, 8, v26
	v_mbcnt_hi_u32_b32 v28, -1, v5
	v_add_co_u32_e64 v86, s[2:3], v6, v8
	v_and_b32_e32 v5, 64, v28
	v_addc_co_u32_e64 v87, s[2:3], 0, v7, s[2:3]
	v_add_u32_e32 v29, 64, v5
	v_xor_b32_e32 v5, 1, v28
	v_cmp_lt_i32_e64 s[2:3], v5, v29
	v_cndmask_b32_e64 v5, v28, v5, s[2:3]
	v_lshlrev_b32_e32 v88, 2, v5
	v_lshlrev_b32_e32 v5, 5, v27
	v_add3_u32 v89, s40, v5, v4
	v_lshlrev_b32_e32 v4, 2, v4
	v_lshl_or_b32 v4, v27, 7, v4
	v_lshlrev_b32_e32 v45, 16, v16
	v_and_b32_e32 v46, 0xffff0000, v16
	v_lshlrev_b32_e32 v47, 16, v17
	v_and_b32_e32 v48, 0xffff0000, v17
	;; [unrolled: 2-line block ×13, first 2 shown]
	s_mov_b32 s41, s13
	v_cmp_neq_f32_e64 s[2:3], s10, 0
	v_add_u32_e32 v90, 0xf0, v4
	s_mov_b64 s[36:37], 0
	s_movk_i32 s42, 0x1000
	v_mov_b32_e32 v85, 0xff7fffff
	v_mov_b32_e32 v91, v10
	s_branch .LBB185_10
.LBB185_9:                              ;   in Loop: Header=BB185_10 Depth=1
	s_or_b64 exec, exec, s[38:39]
	v_add_u32_e32 v91, 2, v91
	v_cmp_le_i32_e64 s[4:5], s23, v91
	s_or_b64 s[36:37], s[4:5], s[36:37]
	v_add_co_u32_e64 v2, s[4:5], 8, v2
	v_add_u32_e32 v89, 64, v89
	v_add_u32_e32 v90, 0x100, v90
	v_addc_co_u32_e64 v3, s[4:5], 0, v3, s[4:5]
	s_andn2_b64 exec, exec, s[36:37]
	s_cbranch_execz .LBB185_12
.LBB185_10:                             ; =>This Inner Loop Header: Depth=1
	global_load_dword v4, v[2:3], off
	s_waitcnt vmcnt(0) lgkmcnt(0)
	v_mad_i64_i32 v[4:5], s[4:5], v4, s41, 0
	v_lshlrev_b64 v[4:5], 1, v[4:5]
	v_add_co_u32_e64 v4, s[4:5], v86, v4
	v_addc_co_u32_e64 v5, s[4:5], v87, v5, s[4:5]
	global_load_dwordx2 v[92:93], v[4:5], off
	global_load_dwordx2 v[94:95], v[4:5], off offset:512
	global_load_dwordx2 v[96:97], v[4:5], off offset:1024
	;; [unrolled: 1-line block ×7, first 2 shown]
	v_add_co_u32_e64 v4, s[4:5], s42, v4
	v_addc_co_u32_e64 v5, s[4:5], 0, v5, s[4:5]
	global_load_dwordx2 v[16:17], v[4:5], off
	global_load_dwordx2 v[14:15], v[4:5], off offset:512
	global_load_dwordx2 v[12:13], v[4:5], off offset:1024
	;; [unrolled: 1-line block ×4, first 2 shown]
	s_nop 0
	global_load_dwordx2 v[4:5], v[4:5], off offset:2560
	s_waitcnt vmcnt(13)
	v_lshlrev_b32_e32 v100, 16, v92
	v_and_b32_e32 v101, 0xffff0000, v92
	v_lshlrev_b32_e32 v102, 16, v93
	v_and_b32_e32 v103, 0xffff0000, v93
	s_waitcnt vmcnt(12)
	v_lshlrev_b32_e32 v92, 16, v94
	v_and_b32_e32 v93, 0xffff0000, v94
	v_mul_f32_e32 v92, v33, v92
	v_mul_f32_e32 v93, v34, v93
	v_lshlrev_b32_e32 v94, 16, v95
	v_fmac_f32_e32 v92, v1, v100
	v_fmac_f32_e32 v93, v30, v101
	v_and_b32_e32 v95, 0xffff0000, v95
	v_mul_f32_e32 v94, v35, v94
	s_waitcnt vmcnt(11)
	v_lshlrev_b32_e32 v100, 16, v96
	v_and_b32_e32 v96, 0xffff0000, v96
	v_fmac_f32_e32 v94, v31, v102
	v_mul_f32_e32 v95, v36, v95
	v_fmac_f32_e32 v93, v38, v96
	v_lshlrev_b32_e32 v96, 16, v97
	v_fmac_f32_e32 v95, v32, v103
	v_fmac_f32_e32 v92, v37, v100
	v_and_b32_e32 v97, 0xffff0000, v97
	v_fmac_f32_e32 v94, v39, v96
	s_waitcnt vmcnt(10)
	v_lshlrev_b32_e32 v96, 16, v98
	v_fmac_f32_e32 v95, v40, v97
	v_and_b32_e32 v97, 0xffff0000, v98
	v_fmac_f32_e32 v92, v41, v96
	v_lshlrev_b32_e32 v96, 16, v99
	v_fmac_f32_e32 v93, v42, v97
	v_fmac_f32_e32 v94, v43, v96
	s_waitcnt vmcnt(9)
	v_lshlrev_b32_e32 v96, 16, v24
	v_and_b32_e32 v24, 0xffff0000, v24
	v_fmac_f32_e32 v93, v46, v24
	v_lshlrev_b32_e32 v24, 16, v25
	v_fmac_f32_e32 v94, v47, v24
	s_waitcnt vmcnt(8)
	v_lshlrev_b32_e32 v24, 16, v22
	v_and_b32_e32 v22, 0xffff0000, v22
	v_fmac_f32_e32 v93, v50, v22
	v_lshlrev_b32_e32 v22, 16, v23
	;; [unrolled: 6-line block ×5, first 2 shown]
	v_and_b32_e32 v97, 0xffff0000, v99
	v_fmac_f32_e32 v92, v45, v96
	v_fmac_f32_e32 v94, v63, v16
	s_waitcnt vmcnt(4)
	v_lshlrev_b32_e32 v16, 16, v14
	v_and_b32_e32 v14, 0xffff0000, v14
	v_fmac_f32_e32 v95, v44, v97
	v_and_b32_e32 v25, 0xffff0000, v25
	v_fmac_f32_e32 v92, v49, v24
	v_fmac_f32_e32 v93, v66, v14
	v_lshlrev_b32_e32 v14, 16, v15
	v_fmac_f32_e32 v95, v48, v25
	v_and_b32_e32 v23, 0xffff0000, v23
	v_fmac_f32_e32 v92, v53, v22
	v_fmac_f32_e32 v94, v67, v14
	s_waitcnt vmcnt(3)
	v_lshlrev_b32_e32 v14, 16, v12
	v_and_b32_e32 v12, 0xffff0000, v12
	v_fmac_f32_e32 v95, v52, v23
	v_and_b32_e32 v21, 0xffff0000, v21
	v_fmac_f32_e32 v92, v57, v20
	v_fmac_f32_e32 v93, v70, v12
	v_lshlrev_b32_e32 v12, 16, v13
	v_fmac_f32_e32 v95, v56, v21
	;; [unrolled: 12-line block ×5, first 2 shown]
	v_and_b32_e32 v5, 0xffff0000, v5
	v_fmac_f32_e32 v94, v83, v4
	v_add_f32_e32 v4, v92, v93
	v_fmac_f32_e32 v95, v84, v5
	v_add_f32_e32 v4, v4, v94
	v_add_f32_e32 v4, v95, v4
	ds_bpermute_b32 v5, v88, v4
	s_and_saveexec_b64 s[38:39], vcc
	s_cbranch_execz .LBB185_9
; %bb.11:                               ;   in Loop: Header=BB185_10 Depth=1
	v_add_u32_e32 v6, s15, v89
	v_cvt_f32_i32_e32 v6, v6
	s_waitcnt lgkmcnt(0)
	v_add_f32_e32 v4, v4, v5
	v_cmp_gt_i32_e64 s[4:5], s33, v89
	v_max_f32_e32 v5, v85, v85
	v_mul_f32_e32 v6, s10, v6
	v_cndmask_b32_e64 v6, 0, v6, s[2:3]
	v_fmac_f32_e32 v6, s11, v4
	v_cndmask_b32_e64 v4, 0, v6, s[4:5]
	ds_write_b32 v90, v4
	v_max_f32_e32 v4, v5, v6
	v_cndmask_b32_e64 v85, v85, v4, s[4:5]
	s_branch .LBB185_9
.LBB185_12:
	s_or_b64 exec, exec, s[36:37]
.LBB185_13:
	s_or_b64 exec, exec, s[34:35]
	v_xor_b32_e32 v1, 32, v28
	v_cmp_lt_i32_e32 vcc, v1, v29
	v_cndmask_b32_e32 v1, v28, v1, vcc
	v_lshlrev_b32_e32 v2, 2, v1
	ds_bpermute_b32 v1, v2, v85
	v_xor_b32_e32 v4, 16, v28
	v_max_f32_e32 v3, v85, v85
	v_cmp_lt_i32_e32 vcc, v4, v29
	s_waitcnt lgkmcnt(0)
	v_xor_b32_e32 v5, 8, v28
	v_max_f32_e32 v1, v1, v1
	v_max_f32_e32 v1, v3, v1
	v_cndmask_b32_e32 v3, v28, v4, vcc
	v_lshlrev_b32_e32 v3, 2, v3
	ds_bpermute_b32 v4, v3, v1
	v_cmp_lt_i32_e32 vcc, v5, v29
	v_xor_b32_e32 v6, 4, v28
	v_xor_b32_e32 v7, 2, v28
	s_waitcnt lgkmcnt(0)
	v_max_f32_e32 v4, v4, v4
	v_max_f32_e32 v1, v1, v4
	v_cndmask_b32_e32 v4, v28, v5, vcc
	v_lshlrev_b32_e32 v5, 2, v4
	ds_bpermute_b32 v4, v5, v1
	v_cmp_lt_i32_e32 vcc, v6, v29
	s_waitcnt lgkmcnt(0)
	v_max_f32_e32 v4, v4, v4
	v_max_f32_e32 v1, v1, v4
	v_cndmask_b32_e32 v4, v28, v6, vcc
	v_lshlrev_b32_e32 v6, 2, v4
	ds_bpermute_b32 v4, v6, v1
	v_cmp_lt_i32_e32 vcc, v7, v29
	s_waitcnt lgkmcnt(0)
	v_max_f32_e32 v4, v4, v4
	v_max_f32_e32 v4, v1, v4
	v_cndmask_b32_e32 v1, v28, v7, vcc
	v_lshlrev_b32_e32 v20, 2, v1
	ds_bpermute_b32 v8, v20, v4
	v_and_b32_e32 v1, 63, v0
	v_cmp_eq_u32_e32 vcc, 0, v1
	v_lshlrev_b32_e32 v7, 2, v27
	s_and_saveexec_b64 s[2:3], vcc
	s_cbranch_execz .LBB185_15
; %bb.14:
	s_waitcnt lgkmcnt(0)
	v_max_f32_e32 v8, v8, v8
	v_max_f32_e32 v4, v4, v4
	;; [unrolled: 1-line block ×3, first 2 shown]
	ds_write_b32 v7, v4 offset:224
.LBB185_15:
	s_or_b64 exec, exec, s[2:3]
	v_cmp_gt_u32_e64 s[2:3], 2, v1
	v_mov_b32_e32 v4, 0xff7fffff
	s_waitcnt lgkmcnt(0)
	v_lshlrev_b32_e32 v8, 2, v1
	s_barrier
	s_and_saveexec_b64 s[4:5], s[2:3]
	s_cbranch_execz .LBB185_17
; %bb.16:
	ds_read_b32 v4, v8 offset:224
.LBB185_17:
	s_or_b64 exec, exec, s[4:5]
	v_xor_b32_e32 v9, 1, v28
	v_cmp_lt_i32_e64 s[4:5], v9, v29
	v_cndmask_b32_e64 v9, v28, v9, s[4:5]
	v_lshlrev_b32_e32 v21, 2, v9
	s_waitcnt lgkmcnt(0)
	ds_bpermute_b32 v9, v21, v4
	v_max_f32_e32 v4, v4, v4
	s_sub_i32 s4, s23, s9
	s_lshl_b32 s4, s4, 5
	s_add_i32 s4, s4, s40
	s_waitcnt lgkmcnt(0)
	v_max_f32_e32 v9, v9, v9
	v_max_f32_e32 v4, v4, v9
	v_lshlrev_b32_e32 v9, 2, v28
	v_and_b32_e32 v9, 0xffffff00, v9
	ds_bpermute_b32 v4, v9, v4
	s_min_i32 s15, s4, s33
	s_sub_i32 s9, s15, s40
	v_cmp_gt_i32_e64 s[4:5], s9, v0
	v_mov_b32_e32 v12, 0
	s_and_saveexec_b64 s[34:35], s[4:5]
	s_cbranch_execz .LBB185_21
; %bb.18:
	v_mov_b32_e32 v12, 0xf0
	v_lshl_add_u32 v13, v0, 2, v12
	s_mov_b64 s[36:37], 0
	v_mov_b32_e32 v12, 0
	v_mov_b32_e32 v14, v0
.LBB185_19:                             ; =>This Inner Loop Header: Depth=1
	ds_read_b32 v15, v13
	v_add_u32_e32 v14, 0x80, v14
	v_cmp_le_i32_e64 s[10:11], s9, v14
	s_or_b64 s[36:37], s[10:11], s[36:37]
	s_waitcnt lgkmcnt(0)
	v_sub_f32_e32 v15, v15, v4
	v_mul_f32_e32 v15, 0x3fb8aa3b, v15
	v_exp_f32_e32 v15, v15
	ds_write_b32 v13, v15
	v_add_f32_e32 v12, v12, v15
	v_add_u32_e32 v13, 0x200, v13
	s_andn2_b64 exec, exec, s[36:37]
	s_cbranch_execnz .LBB185_19
; %bb.20:
	s_or_b64 exec, exec, s[36:37]
.LBB185_21:
	s_or_b64 exec, exec, s[34:35]
	ds_bpermute_b32 v2, v2, v12
	s_waitcnt lgkmcnt(0)
	v_add_f32_e32 v2, v12, v2
	ds_bpermute_b32 v3, v3, v2
	s_waitcnt lgkmcnt(0)
	v_add_f32_e32 v2, v2, v3
	;; [unrolled: 3-line block ×6, first 2 shown]
	s_and_saveexec_b64 s[10:11], vcc
	s_cbranch_execz .LBB185_23
; %bb.22:
	ds_write_b32 v7, v2 offset:232
.LBB185_23:
	s_or_b64 exec, exec, s[10:11]
	s_waitcnt lgkmcnt(0)
	s_barrier
	s_and_saveexec_b64 s[10:11], s[2:3]
	s_cbranch_execz .LBB185_25
; %bb.24:
	ds_read_b32 v2, v8 offset:232
.LBB185_25:
	s_or_b64 exec, exec, s[10:11]
	s_waitcnt lgkmcnt(0)
	ds_bpermute_b32 v3, v21, v2
	s_waitcnt lgkmcnt(0)
	v_add_f32_e32 v2, v2, v3
	ds_bpermute_b32 v5, v9, v2
	s_and_saveexec_b64 s[2:3], s[4:5]
	s_cbranch_execz .LBB185_38
; %bb.26:
	s_waitcnt lgkmcnt(0)
	v_add_f32_e32 v2, 0x358637bd, v5
	v_div_scale_f32 v3, s[4:5], v2, v2, 1.0
	v_rcp_f32_e32 v6, v3
	v_div_scale_f32 v7, vcc, 1.0, v2, 1.0
	s_movk_i32 s4, 0x7f
	v_fma_f32 v8, -v3, v6, 1.0
	v_fmac_f32_e32 v6, v8, v6
	v_mul_f32_e32 v8, v7, v6
	v_fma_f32 v9, -v3, v8, v7
	v_fmac_f32_e32 v8, v9, v6
	v_fma_f32 v3, -v3, v8, v7
	v_div_fmas_f32 v3, v3, v6, v8
	v_div_fixup_f32 v2, v3, v2, 1.0
	v_xad_u32 v3, v0, -1, s15
	v_subrev_u32_e32 v6, s40, v3
	v_cmp_lt_u32_e32 vcc, s4, v6
	s_mov_b64 s[10:11], -1
	v_mov_b32_e32 v3, v0
	s_and_saveexec_b64 s[4:5], vcc
	s_cbranch_execz .LBB185_35
; %bb.27:
	v_lshrrev_b32_e32 v6, 7, v6
	v_add_u32_e32 v8, -1, v6
	v_lshrrev_b32_e32 v7, 1, v8
	v_mov_b32_e32 v3, v2
	v_add_u32_e32 v7, 1, v7
	v_cmp_lt_u32_e32 vcc, 13, v8
	v_mov_b32_e32 v12, 0
	s_and_saveexec_b64 s[10:11], vcc
	s_cbranch_execz .LBB185_31
; %bb.28:
	v_mov_b32_e32 v9, 0xf0
	v_and_b32_e32 v8, -8, v7
	v_lshl_add_u32 v9, v0, 2, v9
	s_mov_b32 s15, 0
	s_mov_b64 s[34:35], 0
.LBB185_29:                             ; =>This Inner Loop Header: Depth=1
	ds_read2st64_b32 v[12:13], v9 offset1:2
	ds_read2st64_b32 v[14:15], v9 offset0:4 offset1:6
	ds_read2st64_b32 v[16:17], v9 offset0:8 offset1:10
	;; [unrolled: 1-line block ×3, first 2 shown]
	v_add_u32_e32 v8, -8, v8
	s_waitcnt lgkmcnt(3)
	v_pk_mul_f32 v[12:13], v[2:3], v[12:13]
	s_waitcnt lgkmcnt(2)
	v_pk_mul_f32 v[14:15], v[2:3], v[14:15]
	ds_write2st64_b32 v9, v12, v13 offset1:2
	ds_write2st64_b32 v9, v14, v15 offset0:4 offset1:6
	ds_read2st64_b32 v[14:15], v9 offset0:16 offset1:18
	s_waitcnt lgkmcnt(4)
	v_pk_mul_f32 v[12:13], v[2:3], v[16:17]
	ds_write2st64_b32 v9, v12, v13 offset0:8 offset1:10
	s_waitcnt lgkmcnt(4)
	v_pk_mul_f32 v[12:13], v[2:3], v[18:19]
	ds_write2st64_b32 v9, v12, v13 offset0:12 offset1:14
	ds_read2st64_b32 v[12:13], v9 offset0:20 offset1:22
	s_waitcnt lgkmcnt(3)
	v_pk_mul_f32 v[14:15], v[2:3], v[14:15]
	ds_read2st64_b32 v[16:17], v9 offset0:24 offset1:26
	ds_write2st64_b32 v9, v14, v15 offset0:16 offset1:18
	ds_read2st64_b32 v[14:15], v9 offset0:28 offset1:30
	s_waitcnt lgkmcnt(3)
	v_pk_mul_f32 v[12:13], v[2:3], v[12:13]
	ds_write2st64_b32 v9, v12, v13 offset0:20 offset1:22
	s_waitcnt lgkmcnt(3)
	v_pk_mul_f32 v[12:13], v[2:3], v[16:17]
	ds_write2st64_b32 v9, v12, v13 offset0:24 offset1:26
	s_waitcnt lgkmcnt(2)
	v_pk_mul_f32 v[12:13], v[2:3], v[14:15]
	s_add_i32 s15, s15, 16
	v_cmp_eq_u32_e32 vcc, 0, v8
	ds_write2st64_b32 v9, v12, v13 offset0:28 offset1:30
	v_add_u32_e32 v9, 0x2000, v9
	s_or_b64 s[34:35], vcc, s[34:35]
	v_mov_b32_e32 v12, s15
	s_andn2_b64 exec, exec, s[34:35]
	s_cbranch_execnz .LBB185_29
; %bb.30:
	s_or_b64 exec, exec, s[34:35]
.LBB185_31:
	s_or_b64 exec, exec, s[10:11]
	v_and_b32_e32 v7, 7, v7
	v_cmp_ne_u32_e32 vcc, 0, v7
	s_and_saveexec_b64 s[10:11], vcc
	s_cbranch_execz .LBB185_34
; %bb.32:
	v_lshlrev_b32_e32 v8, 9, v12
	v_lshlrev_b32_e32 v9, 2, v0
	s_movk_i32 s15, 0xf0
	v_add3_u32 v8, v8, v9, s15
	s_mov_b64 s[34:35], 0
.LBB185_33:                             ; =>This Inner Loop Header: Depth=1
	ds_read2st64_b32 v[12:13], v8 offset1:2
	v_add_u32_e32 v7, -1, v7
	v_cmp_eq_u32_e32 vcc, 0, v7
	s_or_b64 s[34:35], vcc, s[34:35]
	s_waitcnt lgkmcnt(0)
	v_pk_mul_f32 v[12:13], v[2:3], v[12:13]
	ds_write2st64_b32 v8, v12, v13 offset1:2
	v_add_u32_e32 v8, 0x400, v8
	s_andn2_b64 exec, exec, s[34:35]
	s_cbranch_execnz .LBB185_33
.LBB185_34:
	s_or_b64 exec, exec, s[10:11]
	v_add_u32_e32 v6, 1, v6
	v_and_b32_e32 v7, 0x3fffffe, v6
	v_cmp_ne_u32_e32 vcc, v6, v7
	v_lshl_add_u32 v3, v7, 7, v0
	s_orn2_b64 s[10:11], vcc, exec
.LBB185_35:
	s_or_b64 exec, exec, s[4:5]
	s_and_b64 exec, exec, s[10:11]
	s_cbranch_execz .LBB185_38
; %bb.36:
	v_mov_b32_e32 v6, 0xf0
	v_lshl_add_u32 v6, v3, 2, v6
	s_mov_b64 s[4:5], 0
.LBB185_37:                             ; =>This Inner Loop Header: Depth=1
	ds_read_b32 v7, v6
	v_add_u32_e32 v3, 0x80, v3
	v_cmp_le_i32_e32 vcc, s9, v3
	s_or_b64 s[4:5], vcc, s[4:5]
	s_waitcnt lgkmcnt(0)
	v_mul_f32_e32 v7, v2, v7
	ds_write_b32 v6, v7
	v_add_u32_e32 v6, 0x200, v6
	s_andn2_b64 exec, exec, s[4:5]
	s_cbranch_execnz .LBB185_37
.LBB185_38:
	s_or_b64 exec, exec, s[2:3]
	v_cmp_eq_u32_e32 vcc, 0, v0
	s_waitcnt lgkmcnt(0)
	s_barrier
	s_and_saveexec_b64 s[2:3], vcc
	s_cbranch_execz .LBB185_40
; %bb.39:
	s_mul_i32 s4, s12, s20
	s_mul_i32 s4, s4, s21
	s_ashr_i32 s5, s4, 31
	s_lshl_b64 s[4:5], s[4:5], 2
	s_add_u32 s9, s18, s4
	s_mul_i32 s10, s12, s6
	s_addc_u32 s15, s19, s5
	s_ashr_i32 s11, s10, 31
	s_lshl_b64 s[10:11], s[10:11], 2
	s_add_u32 s6, s9, s10
	s_addc_u32 s15, s15, s11
	s_ashr_i32 s9, s8, 31
	s_lshl_b64 s[18:19], s[8:9], 2
	s_add_u32 s34, s6, s18
	s_addc_u32 s35, s15, s19
	s_add_u32 s4, s16, s4
	s_addc_u32 s5, s17, s5
	;; [unrolled: 2-line block ×3, first 2 shown]
	s_add_u32 s4, s4, s18
	v_mov_b32_e32 v2, 0
	s_addc_u32 s5, s5, s19
	global_store_dword v2, v4, s[34:35]
	global_store_dword v2, v5, s[4:5]
.LBB185_40:
	s_or_b64 exec, exec, s[2:3]
	v_mov_b32_e32 v23, 0
	v_and_b32_e32 v22, 3, v0
	v_mov_b32_e32 v13, 0
	v_mov_b32_e32 v12, 0
	;; [unrolled: 1-line block ×6, first 2 shown]
	s_and_saveexec_b64 s[2:3], s[0:1]
	s_cbranch_execz .LBB185_314
; %bb.41:
	s_ashr_i32 s15, s14, 31
	s_lshl_b64 s[0:1], s[14:15], 1
	s_add_u32 s10, s30, s0
	v_and_b32_e32 v3, 24, v26
	s_mov_b32 s9, s13
	s_addc_u32 s11, s31, s1
	s_add_i32 s13, s7, -1
	v_lshl_add_u32 v5, v27, 5, s40
	s_lshl_b64 s[0:1], s[28:29], 2
	v_add3_u32 v25, v5, v3, 7
	v_lshlrev_b32_e32 v3, 5, v22
	s_add_u32 s0, s26, s0
	v_and_b32_e32 v2, 0x1f8, v26
	v_lshl_or_b32 v3, v27, 7, v3
	v_lshlrev_b64 v[12:13], 2, v[10:11]
	s_addc_u32 s1, s27, s1
	v_or_b32_e32 v4, 0x800, v2
	v_or_b32_e32 v6, 0xa00, v2
	;; [unrolled: 1-line block ×3, first 2 shown]
	v_add_u32_e32 v26, 0xf0, v3
	v_mov_b32_e32 v3, s1
	v_add_co_u32_e32 v18, vcc, s0, v12
	v_mov_b32_e32 v24, 0
	v_addc_co_u32_e32 v19, vcc, v3, v13, vcc
	s_mov_b64 s[4:5], 0
	s_mov_b32 s14, 0x7f800000
	s_movk_i32 s15, 0x7fff
	v_lshlrev_b32_e32 v11, 1, v2
	v_lshlrev_b32_e32 v27, 1, v4
	;; [unrolled: 1-line block ×4, first 2 shown]
	v_mov_b32_e32 v16, 0
	v_mov_b32_e32 v17, 0
	;; [unrolled: 1-line block ×7, first 2 shown]
	s_branch .LBB185_43
.LBB185_42:                             ;   in Loop: Header=BB185_43 Depth=1
	s_or_b64 exec, exec, s[0:1]
	v_and_b32_e32 v41, 0xffff0000, v42
	v_and_b32_e32 v43, 0xffff0000, v31
	;; [unrolled: 1-line block ×8, first 2 shown]
	v_pk_add_f32 v[8:9], v[8:9], v[42:43]
	v_pk_add_f32 v[30:31], v[32:33], v[40:41]
	v_add_f32_e32 v8, v8, v9
	v_add_f32_e32 v8, v8, v30
	v_add_f32_e32 v8, v8, v31
	v_and_b32_e32 v33, 0xffff0000, v56
	v_and_b32_e32 v32, 0xffff0000, v54
	v_and_b32_e32 v41, 0xffff0000, v55
	v_and_b32_e32 v40, 0xffff0000, v53
	v_add_f32_e32 v16, v16, v8
	v_and_b32_e32 v9, 0xffff0000, v60
	v_and_b32_e32 v8, 0xffff0000, v58
	v_and_b32_e32 v31, 0xffff0000, v59
	v_and_b32_e32 v30, 0xffff0000, v57
	v_pk_add_f32 v[32:33], v[40:41], v[32:33]
	v_pk_add_f32 v[8:9], v[30:31], v[8:9]
	v_add_f32_e32 v30, v32, v33
	v_add_f32_e32 v8, v30, v8
	v_add_f32_e32 v8, v8, v9
	v_and_b32_e32 v33, 0xffff0000, v64
	v_and_b32_e32 v32, 0xffff0000, v62
	v_and_b32_e32 v41, 0xffff0000, v63
	v_and_b32_e32 v40, 0xffff0000, v61
	v_add_f32_e32 v17, v17, v8
	v_and_b32_e32 v9, 0xffff0000, v68
	v_and_b32_e32 v8, 0xffff0000, v66
	v_and_b32_e32 v31, 0xffff0000, v67
	v_and_b32_e32 v30, 0xffff0000, v65
	;; [unrolled: 14-line block ×6, first 2 shown]
	v_pk_add_f32 v[2:3], v[2:3], v[8:9]
	v_pk_add_f32 v[4:5], v[4:5], v[6:7]
	v_add_f32_e32 v2, v2, v3
	v_add_u32_e32 v10, 2, v10
	v_add_f32_e32 v2, v2, v4
	v_cmp_le_i32_e32 vcc, s23, v10
	v_add_f32_e32 v2, v2, v5
	s_or_b64 s[4:5], vcc, s[4:5]
	v_add_co_u32_e32 v18, vcc, 8, v18
	v_add_f32_e32 v23, v23, v2
	v_add_u32_e32 v25, 64, v25
	v_add_u32_e32 v26, 0x100, v26
	v_addc_co_u32_e32 v19, vcc, 0, v19, vcc
	s_andn2_b64 exec, exec, s[4:5]
	s_cbranch_execz .LBB185_313
.LBB185_43:                             ; =>This Inner Loop Header: Depth=1
	global_load_dword v35, v[18:19], off
	ds_read2_b64 v[6:9], v26 offset1:1
	ds_read2_b64 v[2:5], v26 offset0:2 offset1:3
                                        ; implicit-def: $vgpr45
	s_waitcnt lgkmcnt(1)
	v_and_b32_e32 v30, 0x7f800000, v6
	v_cmp_ne_u32_e32 vcc, s14, v30
	s_and_saveexec_b64 s[0:1], vcc
	s_xor_b64 s[0:1], exec, s[0:1]
; %bb.44:                               ;   in Loop: Header=BB185_43 Depth=1
	v_bfe_u32 v30, v6, 16, 1
	v_add3_u32 v45, v6, v30, s15
; %bb.45:                               ;   in Loop: Header=BB185_43 Depth=1
	s_andn2_saveexec_b64 s[0:1], s[0:1]
; %bb.46:                               ;   in Loop: Header=BB185_43 Depth=1
	v_or_b32_e32 v30, 0x10000, v6
	v_cmp_eq_u32_sdwa vcc, v6, v24 src0_sel:WORD_0 src1_sel:DWORD
	v_cndmask_b32_e32 v45, v30, v6, vcc
; %bb.47:                               ;   in Loop: Header=BB185_43 Depth=1
	s_or_b64 exec, exec, s[0:1]
	v_and_b32_e32 v6, 0x7f800000, v7
	v_cmp_ne_u32_e32 vcc, s14, v6
                                        ; implicit-def: $vgpr46
	s_and_saveexec_b64 s[0:1], vcc
	s_xor_b64 s[0:1], exec, s[0:1]
; %bb.48:                               ;   in Loop: Header=BB185_43 Depth=1
	v_bfe_u32 v6, v7, 16, 1
	v_add3_u32 v46, v7, v6, s15
; %bb.49:                               ;   in Loop: Header=BB185_43 Depth=1
	s_andn2_saveexec_b64 s[0:1], s[0:1]
; %bb.50:                               ;   in Loop: Header=BB185_43 Depth=1
	v_or_b32_e32 v6, 0x10000, v7
	v_cmp_eq_u32_sdwa vcc, v7, v24 src0_sel:WORD_0 src1_sel:DWORD
	v_cndmask_b32_e32 v46, v6, v7, vcc
; %bb.51:                               ;   in Loop: Header=BB185_43 Depth=1
	s_or_b64 exec, exec, s[0:1]
	v_and_b32_e32 v6, 0x7f800000, v8
	v_cmp_ne_u32_e32 vcc, s14, v6
                                        ; implicit-def: $vgpr30
	s_and_saveexec_b64 s[0:1], vcc
	s_xor_b64 s[0:1], exec, s[0:1]
; %bb.52:                               ;   in Loop: Header=BB185_43 Depth=1
	v_bfe_u32 v6, v8, 16, 1
	v_add3_u32 v30, v8, v6, s15
; %bb.53:                               ;   in Loop: Header=BB185_43 Depth=1
	s_andn2_saveexec_b64 s[0:1], s[0:1]
; %bb.54:                               ;   in Loop: Header=BB185_43 Depth=1
	v_or_b32_e32 v6, 0x10000, v8
	v_cmp_eq_u32_sdwa vcc, v8, v24 src0_sel:WORD_0 src1_sel:DWORD
	v_cndmask_b32_e32 v30, v6, v8, vcc
; %bb.55:                               ;   in Loop: Header=BB185_43 Depth=1
	s_or_b64 exec, exec, s[0:1]
	v_and_b32_e32 v6, 0x7f800000, v9
	v_cmp_ne_u32_e32 vcc, s14, v6
                                        ; implicit-def: $vgpr31
	s_and_saveexec_b64 s[0:1], vcc
	s_xor_b64 s[0:1], exec, s[0:1]
; %bb.56:                               ;   in Loop: Header=BB185_43 Depth=1
	v_bfe_u32 v6, v9, 16, 1
	v_add3_u32 v31, v9, v6, s15
                                        ; implicit-def: $vgpr6_vgpr7_vgpr8_vgpr9
; %bb.57:                               ;   in Loop: Header=BB185_43 Depth=1
	s_andn2_saveexec_b64 s[0:1], s[0:1]
; %bb.58:                               ;   in Loop: Header=BB185_43 Depth=1
	v_or_b32_e32 v6, 0x10000, v9
	v_cmp_eq_u32_sdwa vcc, v9, v24 src0_sel:WORD_0 src1_sel:DWORD
	v_cndmask_b32_e32 v31, v6, v9, vcc
; %bb.59:                               ;   in Loop: Header=BB185_43 Depth=1
	s_or_b64 exec, exec, s[0:1]
	s_waitcnt lgkmcnt(0)
	v_and_b32_e32 v6, 0x7f800000, v2
	v_cmp_ne_u32_e32 vcc, s14, v6
                                        ; implicit-def: $vgpr32
	s_and_saveexec_b64 s[0:1], vcc
	s_xor_b64 s[0:1], exec, s[0:1]
; %bb.60:                               ;   in Loop: Header=BB185_43 Depth=1
	v_bfe_u32 v6, v2, 16, 1
	v_add3_u32 v32, v2, v6, s15
; %bb.61:                               ;   in Loop: Header=BB185_43 Depth=1
	s_andn2_saveexec_b64 s[0:1], s[0:1]
; %bb.62:                               ;   in Loop: Header=BB185_43 Depth=1
	v_or_b32_e32 v6, 0x10000, v2
	v_cmp_eq_u32_sdwa vcc, v2, v24 src0_sel:WORD_0 src1_sel:DWORD
	v_cndmask_b32_e32 v32, v6, v2, vcc
; %bb.63:                               ;   in Loop: Header=BB185_43 Depth=1
	s_or_b64 exec, exec, s[0:1]
	v_and_b32_e32 v2, 0x7f800000, v3
	v_cmp_ne_u32_e32 vcc, s14, v2
                                        ; implicit-def: $vgpr33
	s_and_saveexec_b64 s[0:1], vcc
	s_xor_b64 s[0:1], exec, s[0:1]
; %bb.64:                               ;   in Loop: Header=BB185_43 Depth=1
	v_bfe_u32 v2, v3, 16, 1
	v_add3_u32 v33, v3, v2, s15
; %bb.65:                               ;   in Loop: Header=BB185_43 Depth=1
	s_andn2_saveexec_b64 s[0:1], s[0:1]
; %bb.66:                               ;   in Loop: Header=BB185_43 Depth=1
	v_or_b32_e32 v2, 0x10000, v3
	v_cmp_eq_u32_sdwa vcc, v3, v24 src0_sel:WORD_0 src1_sel:DWORD
	v_cndmask_b32_e32 v33, v2, v3, vcc
; %bb.67:                               ;   in Loop: Header=BB185_43 Depth=1
	s_or_b64 exec, exec, s[0:1]
	v_and_b32_e32 v2, 0x7f800000, v4
	v_cmp_ne_u32_e32 vcc, s14, v2
                                        ; implicit-def: $vgpr34
	s_and_saveexec_b64 s[0:1], vcc
	s_xor_b64 s[0:1], exec, s[0:1]
; %bb.68:                               ;   in Loop: Header=BB185_43 Depth=1
	v_bfe_u32 v2, v4, 16, 1
	v_add3_u32 v34, v4, v2, s15
; %bb.69:                               ;   in Loop: Header=BB185_43 Depth=1
	s_andn2_saveexec_b64 s[0:1], s[0:1]
; %bb.70:                               ;   in Loop: Header=BB185_43 Depth=1
	v_or_b32_e32 v2, 0x10000, v4
	v_cmp_eq_u32_sdwa vcc, v4, v24 src0_sel:WORD_0 src1_sel:DWORD
	v_cndmask_b32_e32 v34, v2, v4, vcc
; %bb.71:                               ;   in Loop: Header=BB185_43 Depth=1
	s_or_b64 exec, exec, s[0:1]
	v_and_b32_e32 v2, 0x7f800000, v5
	v_cmp_ne_u32_e32 vcc, s14, v2
                                        ; implicit-def: $vgpr42
	s_and_saveexec_b64 s[0:1], vcc
	s_xor_b64 s[0:1], exec, s[0:1]
; %bb.72:                               ;   in Loop: Header=BB185_43 Depth=1
	v_bfe_u32 v2, v5, 16, 1
	v_add3_u32 v42, v5, v2, s15
                                        ; implicit-def: $vgpr2_vgpr3_vgpr4_vgpr5
; %bb.73:                               ;   in Loop: Header=BB185_43 Depth=1
	s_andn2_saveexec_b64 s[0:1], s[0:1]
; %bb.74:                               ;   in Loop: Header=BB185_43 Depth=1
	v_or_b32_e32 v2, 0x10000, v5
	v_cmp_eq_u32_sdwa vcc, v5, v24 src0_sel:WORD_0 src1_sel:DWORD
	v_cndmask_b32_e32 v42, v2, v5, vcc
; %bb.75:                               ;   in Loop: Header=BB185_43 Depth=1
	s_or_b64 exec, exec, s[0:1]
	s_waitcnt vmcnt(0)
	v_mad_i64_i32 v[2:3], s[0:1], v35, s9, 0
	v_lshlrev_b64 v[2:3], 1, v[2:3]
	v_mov_b32_e32 v4, s11
	v_add_co_u32_e32 v43, vcc, s10, v2
	v_addc_co_u32_e32 v44, vcc, v4, v3, vcc
	v_add_co_u32_e32 v6, vcc, v43, v11
	v_addc_co_u32_e32 v7, vcc, 0, v44, vcc
	global_load_dwordx4 v[2:5], v[6:7], off
	v_add_u32_e32 v35, -7, v25
	v_cmp_eq_u32_e32 vcc, s13, v10
	v_add_u32_e32 v41, -6, v25
	v_add_u32_e32 v39, -5, v25
	;; [unrolled: 1-line block ×6, first 2 shown]
	s_waitcnt vmcnt(0)
	v_lshrrev_b32_e32 v9, 16, v2
	v_lshrrev_b32_e32 v49, 16, v3
	;; [unrolled: 1-line block ×4, first 2 shown]
	s_and_saveexec_b64 s[6:7], vcc
	s_cbranch_execz .LBB185_77
; %bb.76:                               ;   in Loop: Header=BB185_43 Depth=1
	v_cmp_gt_i32_e64 s[0:1], s33, v35
	v_cndmask_b32_e64 v2, 0, v2, s[0:1]
	v_cmp_gt_i32_e64 s[0:1], s33, v41
	v_cndmask_b32_e64 v9, 0, v9, s[0:1]
	;; [unrolled: 2-line block ×8, first 2 shown]
.LBB185_77:                             ;   in Loop: Header=BB185_43 Depth=1
	s_or_b64 exec, exec, s[6:7]
	v_and_b32_e32 v45, 0xffff0000, v45
	v_lshlrev_b32_e32 v2, 16, v2
	v_mul_f32_e32 v2, v45, v2
	v_and_b32_e32 v8, 0x7f800000, v2
	v_cmp_ne_u32_e64 s[0:1], s14, v8
                                        ; implicit-def: $vgpr8
	s_and_saveexec_b64 s[6:7], s[0:1]
	s_xor_b64 s[0:1], exec, s[6:7]
; %bb.78:                               ;   in Loop: Header=BB185_43 Depth=1
	v_bfe_u32 v8, v2, 16, 1
	v_add3_u32 v8, v2, v8, s15
                                        ; implicit-def: $vgpr2
; %bb.79:                               ;   in Loop: Header=BB185_43 Depth=1
	s_andn2_saveexec_b64 s[6:7], s[0:1]
; %bb.80:                               ;   in Loop: Header=BB185_43 Depth=1
	v_or_b32_e32 v8, 0x10000, v2
	v_cmp_eq_u32_sdwa s[0:1], v2, v24 src0_sel:WORD_0 src1_sel:DWORD
	v_cndmask_b32_e64 v8, v8, v2, s[0:1]
; %bb.81:                               ;   in Loop: Header=BB185_43 Depth=1
	s_or_b64 exec, exec, s[6:7]
	v_and_b32_e32 v46, 0xffff0000, v46
	v_lshlrev_b32_e32 v2, 16, v9
	v_mul_f32_e32 v2, v46, v2
	v_and_b32_e32 v9, 0x7f800000, v2
	v_cmp_ne_u32_e64 s[0:1], s14, v9
                                        ; implicit-def: $vgpr9
	s_and_saveexec_b64 s[6:7], s[0:1]
	s_xor_b64 s[0:1], exec, s[6:7]
; %bb.82:                               ;   in Loop: Header=BB185_43 Depth=1
	v_bfe_u32 v9, v2, 16, 1
	v_add3_u32 v9, v2, v9, s15
                                        ; implicit-def: $vgpr2
; %bb.83:                               ;   in Loop: Header=BB185_43 Depth=1
	s_andn2_saveexec_b64 s[6:7], s[0:1]
; %bb.84:                               ;   in Loop: Header=BB185_43 Depth=1
	v_or_b32_e32 v9, 0x10000, v2
	v_cmp_eq_u32_sdwa s[0:1], v2, v24 src0_sel:WORD_0 src1_sel:DWORD
	v_cndmask_b32_e64 v9, v9, v2, s[0:1]
; %bb.85:                               ;   in Loop: Header=BB185_43 Depth=1
	s_or_b64 exec, exec, s[6:7]
	v_and_b32_e32 v47, 0xffff0000, v30
	v_lshlrev_b32_e32 v2, 16, v3
	v_mul_f32_e32 v2, v47, v2
	v_and_b32_e32 v3, 0x7f800000, v2
	v_cmp_ne_u32_e64 s[0:1], s14, v3
                                        ; implicit-def: $vgpr30
	s_and_saveexec_b64 s[6:7], s[0:1]
	s_xor_b64 s[0:1], exec, s[6:7]
; %bb.86:                               ;   in Loop: Header=BB185_43 Depth=1
	v_bfe_u32 v3, v2, 16, 1
	v_add3_u32 v30, v2, v3, s15
                                        ; implicit-def: $vgpr2
; %bb.87:                               ;   in Loop: Header=BB185_43 Depth=1
	s_andn2_saveexec_b64 s[6:7], s[0:1]
; %bb.88:                               ;   in Loop: Header=BB185_43 Depth=1
	v_or_b32_e32 v3, 0x10000, v2
	v_cmp_eq_u32_sdwa s[0:1], v2, v24 src0_sel:WORD_0 src1_sel:DWORD
	v_cndmask_b32_e64 v30, v3, v2, s[0:1]
; %bb.89:                               ;   in Loop: Header=BB185_43 Depth=1
	s_or_b64 exec, exec, s[6:7]
	v_and_b32_e32 v48, 0xffff0000, v31
	v_lshlrev_b32_e32 v2, 16, v49
	v_mul_f32_e32 v2, v48, v2
	v_and_b32_e32 v3, 0x7f800000, v2
	v_cmp_ne_u32_e64 s[0:1], s14, v3
                                        ; implicit-def: $vgpr31
	s_and_saveexec_b64 s[6:7], s[0:1]
	s_xor_b64 s[0:1], exec, s[6:7]
; %bb.90:                               ;   in Loop: Header=BB185_43 Depth=1
	v_bfe_u32 v3, v2, 16, 1
	v_add3_u32 v31, v2, v3, s15
                                        ; implicit-def: $vgpr2
; %bb.91:                               ;   in Loop: Header=BB185_43 Depth=1
	s_andn2_saveexec_b64 s[6:7], s[0:1]
; %bb.92:                               ;   in Loop: Header=BB185_43 Depth=1
	v_or_b32_e32 v3, 0x10000, v2
	v_cmp_eq_u32_sdwa s[0:1], v2, v24 src0_sel:WORD_0 src1_sel:DWORD
	v_cndmask_b32_e64 v31, v3, v2, s[0:1]
; %bb.93:                               ;   in Loop: Header=BB185_43 Depth=1
	s_or_b64 exec, exec, s[6:7]
	v_and_b32_e32 v49, 0xffff0000, v32
	v_lshlrev_b32_e32 v2, 16, v4
	v_mul_f32_e32 v2, v49, v2
	v_and_b32_e32 v3, 0x7f800000, v2
	v_cmp_ne_u32_e64 s[0:1], s14, v3
                                        ; implicit-def: $vgpr32
	s_and_saveexec_b64 s[6:7], s[0:1]
	s_xor_b64 s[0:1], exec, s[6:7]
; %bb.94:                               ;   in Loop: Header=BB185_43 Depth=1
	v_bfe_u32 v3, v2, 16, 1
	v_add3_u32 v32, v2, v3, s15
                                        ; implicit-def: $vgpr2
; %bb.95:                               ;   in Loop: Header=BB185_43 Depth=1
	s_andn2_saveexec_b64 s[6:7], s[0:1]
; %bb.96:                               ;   in Loop: Header=BB185_43 Depth=1
	v_or_b32_e32 v3, 0x10000, v2
	v_cmp_eq_u32_sdwa s[0:1], v2, v24 src0_sel:WORD_0 src1_sel:DWORD
	v_cndmask_b32_e64 v32, v3, v2, s[0:1]
; %bb.97:                               ;   in Loop: Header=BB185_43 Depth=1
	s_or_b64 exec, exec, s[6:7]
	v_and_b32_e32 v50, 0xffff0000, v33
	v_lshlrev_b32_e32 v2, 16, v51
	v_mul_f32_e32 v2, v50, v2
	v_and_b32_e32 v3, 0x7f800000, v2
	v_cmp_ne_u32_e64 s[0:1], s14, v3
                                        ; implicit-def: $vgpr33
	s_and_saveexec_b64 s[6:7], s[0:1]
	s_xor_b64 s[0:1], exec, s[6:7]
; %bb.98:                               ;   in Loop: Header=BB185_43 Depth=1
	v_bfe_u32 v3, v2, 16, 1
	v_add3_u32 v33, v2, v3, s15
                                        ; implicit-def: $vgpr2
; %bb.99:                               ;   in Loop: Header=BB185_43 Depth=1
	s_andn2_saveexec_b64 s[6:7], s[0:1]
; %bb.100:                              ;   in Loop: Header=BB185_43 Depth=1
	v_or_b32_e32 v3, 0x10000, v2
	v_cmp_eq_u32_sdwa s[0:1], v2, v24 src0_sel:WORD_0 src1_sel:DWORD
	v_cndmask_b32_e64 v33, v3, v2, s[0:1]
; %bb.101:                              ;   in Loop: Header=BB185_43 Depth=1
	s_or_b64 exec, exec, s[6:7]
	v_and_b32_e32 v51, 0xffff0000, v34
	v_lshlrev_b32_e32 v2, 16, v5
	v_mul_f32_e32 v2, v51, v2
	v_and_b32_e32 v3, 0x7f800000, v2
	v_cmp_ne_u32_e64 s[0:1], s14, v3
                                        ; implicit-def: $vgpr34
	s_and_saveexec_b64 s[6:7], s[0:1]
	s_xor_b64 s[0:1], exec, s[6:7]
; %bb.102:                              ;   in Loop: Header=BB185_43 Depth=1
	v_bfe_u32 v3, v2, 16, 1
	v_add3_u32 v34, v2, v3, s15
                                        ; implicit-def: $vgpr2
; %bb.103:                              ;   in Loop: Header=BB185_43 Depth=1
	s_andn2_saveexec_b64 s[6:7], s[0:1]
; %bb.104:                              ;   in Loop: Header=BB185_43 Depth=1
	v_or_b32_e32 v3, 0x10000, v2
	v_cmp_eq_u32_sdwa s[0:1], v2, v24 src0_sel:WORD_0 src1_sel:DWORD
	v_cndmask_b32_e64 v34, v3, v2, s[0:1]
; %bb.105:                              ;   in Loop: Header=BB185_43 Depth=1
	s_or_b64 exec, exec, s[6:7]
	v_and_b32_e32 v52, 0xffff0000, v42
	v_lshlrev_b32_e32 v2, 16, v53
	v_mul_f32_e32 v2, v52, v2
	v_and_b32_e32 v3, 0x7f800000, v2
	v_cmp_ne_u32_e64 s[0:1], s14, v3
                                        ; implicit-def: $vgpr42
	s_and_saveexec_b64 s[6:7], s[0:1]
	s_xor_b64 s[0:1], exec, s[6:7]
; %bb.106:                              ;   in Loop: Header=BB185_43 Depth=1
	v_bfe_u32 v3, v2, 16, 1
	v_add3_u32 v42, v2, v3, s15
                                        ; implicit-def: $vgpr2
; %bb.107:                              ;   in Loop: Header=BB185_43 Depth=1
	s_andn2_saveexec_b64 s[6:7], s[0:1]
; %bb.108:                              ;   in Loop: Header=BB185_43 Depth=1
	v_or_b32_e32 v3, 0x10000, v2
	v_cmp_eq_u32_sdwa s[0:1], v2, v24 src0_sel:WORD_0 src1_sel:DWORD
	v_cndmask_b32_e64 v42, v3, v2, s[0:1]
; %bb.109:                              ;   in Loop: Header=BB185_43 Depth=1
	s_or_b64 exec, exec, s[6:7]
	global_load_dwordx4 v[2:5], v[6:7], off offset:1024
	s_waitcnt vmcnt(0)
	v_lshrrev_b32_e32 v54, 16, v2
	v_lshrrev_b32_e32 v56, 16, v3
	;; [unrolled: 1-line block ×4, first 2 shown]
	s_and_saveexec_b64 s[6:7], vcc
	s_cbranch_execz .LBB185_111
; %bb.110:                              ;   in Loop: Header=BB185_43 Depth=1
	v_cmp_gt_i32_e64 s[0:1], s33, v35
	v_cndmask_b32_e64 v2, 0, v2, s[0:1]
	v_cmp_gt_i32_e64 s[0:1], s33, v41
	v_cndmask_b32_e64 v54, 0, v54, s[0:1]
	;; [unrolled: 2-line block ×8, first 2 shown]
.LBB185_111:                            ;   in Loop: Header=BB185_43 Depth=1
	s_or_b64 exec, exec, s[6:7]
	v_lshlrev_b32_e32 v2, 16, v2
	v_mul_f32_e32 v2, v45, v2
	v_and_b32_e32 v53, 0x7f800000, v2
	v_cmp_ne_u32_e64 s[0:1], s14, v53
                                        ; implicit-def: $vgpr53
	s_and_saveexec_b64 s[6:7], s[0:1]
	s_xor_b64 s[0:1], exec, s[6:7]
; %bb.112:                              ;   in Loop: Header=BB185_43 Depth=1
	v_bfe_u32 v53, v2, 16, 1
	v_add3_u32 v53, v2, v53, s15
                                        ; implicit-def: $vgpr2
; %bb.113:                              ;   in Loop: Header=BB185_43 Depth=1
	s_andn2_saveexec_b64 s[6:7], s[0:1]
; %bb.114:                              ;   in Loop: Header=BB185_43 Depth=1
	v_or_b32_e32 v53, 0x10000, v2
	v_cmp_eq_u32_sdwa s[0:1], v2, v24 src0_sel:WORD_0 src1_sel:DWORD
	v_cndmask_b32_e64 v53, v53, v2, s[0:1]
; %bb.115:                              ;   in Loop: Header=BB185_43 Depth=1
	s_or_b64 exec, exec, s[6:7]
	v_lshlrev_b32_e32 v2, 16, v54
	v_mul_f32_e32 v2, v46, v2
	v_and_b32_e32 v54, 0x7f800000, v2
	v_cmp_ne_u32_e64 s[0:1], s14, v54
                                        ; implicit-def: $vgpr54
	s_and_saveexec_b64 s[6:7], s[0:1]
	s_xor_b64 s[0:1], exec, s[6:7]
; %bb.116:                              ;   in Loop: Header=BB185_43 Depth=1
	v_bfe_u32 v54, v2, 16, 1
	v_add3_u32 v54, v2, v54, s15
                                        ; implicit-def: $vgpr2
; %bb.117:                              ;   in Loop: Header=BB185_43 Depth=1
	s_andn2_saveexec_b64 s[6:7], s[0:1]
; %bb.118:                              ;   in Loop: Header=BB185_43 Depth=1
	v_or_b32_e32 v54, 0x10000, v2
	v_cmp_eq_u32_sdwa s[0:1], v2, v24 src0_sel:WORD_0 src1_sel:DWORD
	v_cndmask_b32_e64 v54, v54, v2, s[0:1]
; %bb.119:                              ;   in Loop: Header=BB185_43 Depth=1
	s_or_b64 exec, exec, s[6:7]
	v_lshlrev_b32_e32 v2, 16, v3
	v_mul_f32_e32 v2, v47, v2
	v_and_b32_e32 v3, 0x7f800000, v2
	v_cmp_ne_u32_e64 s[0:1], s14, v3
                                        ; implicit-def: $vgpr55
	s_and_saveexec_b64 s[6:7], s[0:1]
	s_xor_b64 s[0:1], exec, s[6:7]
; %bb.120:                              ;   in Loop: Header=BB185_43 Depth=1
	v_bfe_u32 v3, v2, 16, 1
	v_add3_u32 v55, v2, v3, s15
                                        ; implicit-def: $vgpr2
; %bb.121:                              ;   in Loop: Header=BB185_43 Depth=1
	s_andn2_saveexec_b64 s[6:7], s[0:1]
; %bb.122:                              ;   in Loop: Header=BB185_43 Depth=1
	v_or_b32_e32 v3, 0x10000, v2
	v_cmp_eq_u32_sdwa s[0:1], v2, v24 src0_sel:WORD_0 src1_sel:DWORD
	v_cndmask_b32_e64 v55, v3, v2, s[0:1]
; %bb.123:                              ;   in Loop: Header=BB185_43 Depth=1
	s_or_b64 exec, exec, s[6:7]
	v_lshlrev_b32_e32 v2, 16, v56
	v_mul_f32_e32 v2, v48, v2
	v_and_b32_e32 v3, 0x7f800000, v2
	v_cmp_ne_u32_e64 s[0:1], s14, v3
                                        ; implicit-def: $vgpr56
	s_and_saveexec_b64 s[6:7], s[0:1]
	s_xor_b64 s[0:1], exec, s[6:7]
; %bb.124:                              ;   in Loop: Header=BB185_43 Depth=1
	v_bfe_u32 v3, v2, 16, 1
	v_add3_u32 v56, v2, v3, s15
                                        ; implicit-def: $vgpr2
; %bb.125:                              ;   in Loop: Header=BB185_43 Depth=1
	s_andn2_saveexec_b64 s[6:7], s[0:1]
; %bb.126:                              ;   in Loop: Header=BB185_43 Depth=1
	v_or_b32_e32 v3, 0x10000, v2
	v_cmp_eq_u32_sdwa s[0:1], v2, v24 src0_sel:WORD_0 src1_sel:DWORD
	v_cndmask_b32_e64 v56, v3, v2, s[0:1]
; %bb.127:                              ;   in Loop: Header=BB185_43 Depth=1
	s_or_b64 exec, exec, s[6:7]
	v_lshlrev_b32_e32 v2, 16, v4
	v_mul_f32_e32 v2, v49, v2
	v_and_b32_e32 v3, 0x7f800000, v2
	v_cmp_ne_u32_e64 s[0:1], s14, v3
                                        ; implicit-def: $vgpr57
	s_and_saveexec_b64 s[6:7], s[0:1]
	s_xor_b64 s[0:1], exec, s[6:7]
; %bb.128:                              ;   in Loop: Header=BB185_43 Depth=1
	v_bfe_u32 v3, v2, 16, 1
	v_add3_u32 v57, v2, v3, s15
                                        ; implicit-def: $vgpr2
; %bb.129:                              ;   in Loop: Header=BB185_43 Depth=1
	s_andn2_saveexec_b64 s[6:7], s[0:1]
; %bb.130:                              ;   in Loop: Header=BB185_43 Depth=1
	v_or_b32_e32 v3, 0x10000, v2
	v_cmp_eq_u32_sdwa s[0:1], v2, v24 src0_sel:WORD_0 src1_sel:DWORD
	v_cndmask_b32_e64 v57, v3, v2, s[0:1]
; %bb.131:                              ;   in Loop: Header=BB185_43 Depth=1
	s_or_b64 exec, exec, s[6:7]
	v_lshlrev_b32_e32 v2, 16, v58
	v_mul_f32_e32 v2, v50, v2
	v_and_b32_e32 v3, 0x7f800000, v2
	v_cmp_ne_u32_e64 s[0:1], s14, v3
                                        ; implicit-def: $vgpr58
	s_and_saveexec_b64 s[6:7], s[0:1]
	s_xor_b64 s[0:1], exec, s[6:7]
; %bb.132:                              ;   in Loop: Header=BB185_43 Depth=1
	v_bfe_u32 v3, v2, 16, 1
	v_add3_u32 v58, v2, v3, s15
                                        ; implicit-def: $vgpr2
; %bb.133:                              ;   in Loop: Header=BB185_43 Depth=1
	s_andn2_saveexec_b64 s[6:7], s[0:1]
; %bb.134:                              ;   in Loop: Header=BB185_43 Depth=1
	v_or_b32_e32 v3, 0x10000, v2
	v_cmp_eq_u32_sdwa s[0:1], v2, v24 src0_sel:WORD_0 src1_sel:DWORD
	v_cndmask_b32_e64 v58, v3, v2, s[0:1]
; %bb.135:                              ;   in Loop: Header=BB185_43 Depth=1
	s_or_b64 exec, exec, s[6:7]
	v_lshlrev_b32_e32 v2, 16, v5
	v_mul_f32_e32 v2, v51, v2
	v_and_b32_e32 v3, 0x7f800000, v2
	v_cmp_ne_u32_e64 s[0:1], s14, v3
                                        ; implicit-def: $vgpr59
	s_and_saveexec_b64 s[6:7], s[0:1]
	s_xor_b64 s[0:1], exec, s[6:7]
; %bb.136:                              ;   in Loop: Header=BB185_43 Depth=1
	v_bfe_u32 v3, v2, 16, 1
	v_add3_u32 v59, v2, v3, s15
                                        ; implicit-def: $vgpr2
; %bb.137:                              ;   in Loop: Header=BB185_43 Depth=1
	s_andn2_saveexec_b64 s[6:7], s[0:1]
; %bb.138:                              ;   in Loop: Header=BB185_43 Depth=1
	v_or_b32_e32 v3, 0x10000, v2
	v_cmp_eq_u32_sdwa s[0:1], v2, v24 src0_sel:WORD_0 src1_sel:DWORD
	v_cndmask_b32_e64 v59, v3, v2, s[0:1]
; %bb.139:                              ;   in Loop: Header=BB185_43 Depth=1
	s_or_b64 exec, exec, s[6:7]
	v_lshlrev_b32_e32 v2, 16, v60
	v_mul_f32_e32 v2, v52, v2
	v_and_b32_e32 v3, 0x7f800000, v2
	v_cmp_ne_u32_e64 s[0:1], s14, v3
                                        ; implicit-def: $vgpr60
	s_and_saveexec_b64 s[6:7], s[0:1]
	s_xor_b64 s[0:1], exec, s[6:7]
; %bb.140:                              ;   in Loop: Header=BB185_43 Depth=1
	v_bfe_u32 v3, v2, 16, 1
	v_add3_u32 v60, v2, v3, s15
                                        ; implicit-def: $vgpr2
; %bb.141:                              ;   in Loop: Header=BB185_43 Depth=1
	s_andn2_saveexec_b64 s[6:7], s[0:1]
; %bb.142:                              ;   in Loop: Header=BB185_43 Depth=1
	v_or_b32_e32 v3, 0x10000, v2
	v_cmp_eq_u32_sdwa s[0:1], v2, v24 src0_sel:WORD_0 src1_sel:DWORD
	v_cndmask_b32_e64 v60, v3, v2, s[0:1]
; %bb.143:                              ;   in Loop: Header=BB185_43 Depth=1
	s_or_b64 exec, exec, s[6:7]
	global_load_dwordx4 v[2:5], v[6:7], off offset:2048
	s_waitcnt vmcnt(0)
	v_lshrrev_b32_e32 v62, 16, v2
	v_lshrrev_b32_e32 v64, 16, v3
	;; [unrolled: 1-line block ×4, first 2 shown]
	s_and_saveexec_b64 s[6:7], vcc
	s_cbranch_execz .LBB185_145
; %bb.144:                              ;   in Loop: Header=BB185_43 Depth=1
	v_cmp_gt_i32_e64 s[0:1], s33, v35
	v_cndmask_b32_e64 v2, 0, v2, s[0:1]
	v_cmp_gt_i32_e64 s[0:1], s33, v41
	v_cndmask_b32_e64 v62, 0, v62, s[0:1]
	;; [unrolled: 2-line block ×8, first 2 shown]
.LBB185_145:                            ;   in Loop: Header=BB185_43 Depth=1
	s_or_b64 exec, exec, s[6:7]
	v_lshlrev_b32_e32 v2, 16, v2
	v_mul_f32_e32 v2, v45, v2
	v_and_b32_e32 v61, 0x7f800000, v2
	v_cmp_ne_u32_e64 s[0:1], s14, v61
                                        ; implicit-def: $vgpr61
	s_and_saveexec_b64 s[6:7], s[0:1]
	s_xor_b64 s[0:1], exec, s[6:7]
; %bb.146:                              ;   in Loop: Header=BB185_43 Depth=1
	v_bfe_u32 v61, v2, 16, 1
	v_add3_u32 v61, v2, v61, s15
                                        ; implicit-def: $vgpr2
; %bb.147:                              ;   in Loop: Header=BB185_43 Depth=1
	s_andn2_saveexec_b64 s[6:7], s[0:1]
; %bb.148:                              ;   in Loop: Header=BB185_43 Depth=1
	v_or_b32_e32 v61, 0x10000, v2
	v_cmp_eq_u32_sdwa s[0:1], v2, v24 src0_sel:WORD_0 src1_sel:DWORD
	v_cndmask_b32_e64 v61, v61, v2, s[0:1]
; %bb.149:                              ;   in Loop: Header=BB185_43 Depth=1
	s_or_b64 exec, exec, s[6:7]
	v_lshlrev_b32_e32 v2, 16, v62
	v_mul_f32_e32 v2, v46, v2
	v_and_b32_e32 v62, 0x7f800000, v2
	v_cmp_ne_u32_e64 s[0:1], s14, v62
                                        ; implicit-def: $vgpr62
	s_and_saveexec_b64 s[6:7], s[0:1]
	s_xor_b64 s[0:1], exec, s[6:7]
; %bb.150:                              ;   in Loop: Header=BB185_43 Depth=1
	v_bfe_u32 v62, v2, 16, 1
	v_add3_u32 v62, v2, v62, s15
                                        ; implicit-def: $vgpr2
; %bb.151:                              ;   in Loop: Header=BB185_43 Depth=1
	s_andn2_saveexec_b64 s[6:7], s[0:1]
; %bb.152:                              ;   in Loop: Header=BB185_43 Depth=1
	v_or_b32_e32 v62, 0x10000, v2
	v_cmp_eq_u32_sdwa s[0:1], v2, v24 src0_sel:WORD_0 src1_sel:DWORD
	v_cndmask_b32_e64 v62, v62, v2, s[0:1]
; %bb.153:                              ;   in Loop: Header=BB185_43 Depth=1
	s_or_b64 exec, exec, s[6:7]
	v_lshlrev_b32_e32 v2, 16, v3
	v_mul_f32_e32 v2, v47, v2
	v_and_b32_e32 v3, 0x7f800000, v2
	v_cmp_ne_u32_e64 s[0:1], s14, v3
                                        ; implicit-def: $vgpr63
	s_and_saveexec_b64 s[6:7], s[0:1]
	s_xor_b64 s[0:1], exec, s[6:7]
; %bb.154:                              ;   in Loop: Header=BB185_43 Depth=1
	v_bfe_u32 v3, v2, 16, 1
	v_add3_u32 v63, v2, v3, s15
                                        ; implicit-def: $vgpr2
; %bb.155:                              ;   in Loop: Header=BB185_43 Depth=1
	s_andn2_saveexec_b64 s[6:7], s[0:1]
; %bb.156:                              ;   in Loop: Header=BB185_43 Depth=1
	v_or_b32_e32 v3, 0x10000, v2
	v_cmp_eq_u32_sdwa s[0:1], v2, v24 src0_sel:WORD_0 src1_sel:DWORD
	v_cndmask_b32_e64 v63, v3, v2, s[0:1]
; %bb.157:                              ;   in Loop: Header=BB185_43 Depth=1
	s_or_b64 exec, exec, s[6:7]
	v_lshlrev_b32_e32 v2, 16, v64
	v_mul_f32_e32 v2, v48, v2
	v_and_b32_e32 v3, 0x7f800000, v2
	v_cmp_ne_u32_e64 s[0:1], s14, v3
                                        ; implicit-def: $vgpr64
	s_and_saveexec_b64 s[6:7], s[0:1]
	s_xor_b64 s[0:1], exec, s[6:7]
; %bb.158:                              ;   in Loop: Header=BB185_43 Depth=1
	v_bfe_u32 v3, v2, 16, 1
	v_add3_u32 v64, v2, v3, s15
                                        ; implicit-def: $vgpr2
; %bb.159:                              ;   in Loop: Header=BB185_43 Depth=1
	s_andn2_saveexec_b64 s[6:7], s[0:1]
; %bb.160:                              ;   in Loop: Header=BB185_43 Depth=1
	v_or_b32_e32 v3, 0x10000, v2
	v_cmp_eq_u32_sdwa s[0:1], v2, v24 src0_sel:WORD_0 src1_sel:DWORD
	v_cndmask_b32_e64 v64, v3, v2, s[0:1]
; %bb.161:                              ;   in Loop: Header=BB185_43 Depth=1
	s_or_b64 exec, exec, s[6:7]
	v_lshlrev_b32_e32 v2, 16, v4
	v_mul_f32_e32 v2, v49, v2
	v_and_b32_e32 v3, 0x7f800000, v2
	v_cmp_ne_u32_e64 s[0:1], s14, v3
                                        ; implicit-def: $vgpr65
	s_and_saveexec_b64 s[6:7], s[0:1]
	s_xor_b64 s[0:1], exec, s[6:7]
; %bb.162:                              ;   in Loop: Header=BB185_43 Depth=1
	v_bfe_u32 v3, v2, 16, 1
	v_add3_u32 v65, v2, v3, s15
                                        ; implicit-def: $vgpr2
; %bb.163:                              ;   in Loop: Header=BB185_43 Depth=1
	s_andn2_saveexec_b64 s[6:7], s[0:1]
; %bb.164:                              ;   in Loop: Header=BB185_43 Depth=1
	v_or_b32_e32 v3, 0x10000, v2
	v_cmp_eq_u32_sdwa s[0:1], v2, v24 src0_sel:WORD_0 src1_sel:DWORD
	v_cndmask_b32_e64 v65, v3, v2, s[0:1]
; %bb.165:                              ;   in Loop: Header=BB185_43 Depth=1
	s_or_b64 exec, exec, s[6:7]
	v_lshlrev_b32_e32 v2, 16, v66
	v_mul_f32_e32 v2, v50, v2
	v_and_b32_e32 v3, 0x7f800000, v2
	v_cmp_ne_u32_e64 s[0:1], s14, v3
                                        ; implicit-def: $vgpr66
	s_and_saveexec_b64 s[6:7], s[0:1]
	s_xor_b64 s[0:1], exec, s[6:7]
; %bb.166:                              ;   in Loop: Header=BB185_43 Depth=1
	v_bfe_u32 v3, v2, 16, 1
	v_add3_u32 v66, v2, v3, s15
                                        ; implicit-def: $vgpr2
; %bb.167:                              ;   in Loop: Header=BB185_43 Depth=1
	s_andn2_saveexec_b64 s[6:7], s[0:1]
; %bb.168:                              ;   in Loop: Header=BB185_43 Depth=1
	v_or_b32_e32 v3, 0x10000, v2
	v_cmp_eq_u32_sdwa s[0:1], v2, v24 src0_sel:WORD_0 src1_sel:DWORD
	v_cndmask_b32_e64 v66, v3, v2, s[0:1]
; %bb.169:                              ;   in Loop: Header=BB185_43 Depth=1
	s_or_b64 exec, exec, s[6:7]
	v_lshlrev_b32_e32 v2, 16, v5
	v_mul_f32_e32 v2, v51, v2
	v_and_b32_e32 v3, 0x7f800000, v2
	v_cmp_ne_u32_e64 s[0:1], s14, v3
                                        ; implicit-def: $vgpr67
	s_and_saveexec_b64 s[6:7], s[0:1]
	s_xor_b64 s[0:1], exec, s[6:7]
; %bb.170:                              ;   in Loop: Header=BB185_43 Depth=1
	v_bfe_u32 v3, v2, 16, 1
	v_add3_u32 v67, v2, v3, s15
                                        ; implicit-def: $vgpr2
; %bb.171:                              ;   in Loop: Header=BB185_43 Depth=1
	s_andn2_saveexec_b64 s[6:7], s[0:1]
; %bb.172:                              ;   in Loop: Header=BB185_43 Depth=1
	v_or_b32_e32 v3, 0x10000, v2
	v_cmp_eq_u32_sdwa s[0:1], v2, v24 src0_sel:WORD_0 src1_sel:DWORD
	v_cndmask_b32_e64 v67, v3, v2, s[0:1]
; %bb.173:                              ;   in Loop: Header=BB185_43 Depth=1
	s_or_b64 exec, exec, s[6:7]
	v_lshlrev_b32_e32 v2, 16, v68
	v_mul_f32_e32 v2, v52, v2
	v_and_b32_e32 v3, 0x7f800000, v2
	v_cmp_ne_u32_e64 s[0:1], s14, v3
                                        ; implicit-def: $vgpr68
	s_and_saveexec_b64 s[6:7], s[0:1]
	s_xor_b64 s[0:1], exec, s[6:7]
; %bb.174:                              ;   in Loop: Header=BB185_43 Depth=1
	v_bfe_u32 v3, v2, 16, 1
	v_add3_u32 v68, v2, v3, s15
                                        ; implicit-def: $vgpr2
; %bb.175:                              ;   in Loop: Header=BB185_43 Depth=1
	s_andn2_saveexec_b64 s[6:7], s[0:1]
; %bb.176:                              ;   in Loop: Header=BB185_43 Depth=1
	v_or_b32_e32 v3, 0x10000, v2
	v_cmp_eq_u32_sdwa s[0:1], v2, v24 src0_sel:WORD_0 src1_sel:DWORD
	v_cndmask_b32_e64 v68, v3, v2, s[0:1]
; %bb.177:                              ;   in Loop: Header=BB185_43 Depth=1
	s_or_b64 exec, exec, s[6:7]
	global_load_dwordx4 v[2:5], v[6:7], off offset:3072
	s_waitcnt vmcnt(0)
	v_lshrrev_b32_e32 v7, 16, v2
	v_lshrrev_b32_e32 v70, 16, v3
	;; [unrolled: 1-line block ×4, first 2 shown]
	s_and_saveexec_b64 s[6:7], vcc
	s_cbranch_execz .LBB185_179
; %bb.178:                              ;   in Loop: Header=BB185_43 Depth=1
	v_cmp_gt_i32_e64 s[0:1], s33, v35
	v_cndmask_b32_e64 v2, 0, v2, s[0:1]
	v_cmp_gt_i32_e64 s[0:1], s33, v41
	v_cndmask_b32_e64 v7, 0, v7, s[0:1]
	v_cmp_gt_i32_e64 s[0:1], s33, v39
	v_cndmask_b32_e64 v3, 0, v3, s[0:1]
	v_cmp_gt_i32_e64 s[0:1], s33, v38
	v_cndmask_b32_e64 v70, 0, v70, s[0:1]
	v_cmp_gt_i32_e64 s[0:1], s33, v37
	v_cndmask_b32_e64 v4, 0, v4, s[0:1]
	v_cmp_gt_i32_e64 s[0:1], s33, v36
	v_cndmask_b32_e64 v72, 0, v72, s[0:1]
	v_cmp_gt_i32_e64 s[0:1], s33, v40
	v_cndmask_b32_e64 v5, 0, v5, s[0:1]
	v_cmp_gt_i32_e64 s[0:1], s33, v25
	v_cndmask_b32_e64 v74, 0, v74, s[0:1]
.LBB185_179:                            ;   in Loop: Header=BB185_43 Depth=1
	s_or_b64 exec, exec, s[6:7]
	v_lshlrev_b32_e32 v2, 16, v2
	v_mul_f32_e32 v2, v45, v2
	v_and_b32_e32 v6, 0x7f800000, v2
	v_cmp_ne_u32_e64 s[0:1], s14, v6
                                        ; implicit-def: $vgpr6
	s_and_saveexec_b64 s[6:7], s[0:1]
	s_xor_b64 s[0:1], exec, s[6:7]
; %bb.180:                              ;   in Loop: Header=BB185_43 Depth=1
	v_bfe_u32 v6, v2, 16, 1
	v_add3_u32 v6, v2, v6, s15
                                        ; implicit-def: $vgpr2
; %bb.181:                              ;   in Loop: Header=BB185_43 Depth=1
	s_andn2_saveexec_b64 s[6:7], s[0:1]
; %bb.182:                              ;   in Loop: Header=BB185_43 Depth=1
	v_or_b32_e32 v6, 0x10000, v2
	v_cmp_eq_u32_sdwa s[0:1], v2, v24 src0_sel:WORD_0 src1_sel:DWORD
	v_cndmask_b32_e64 v6, v6, v2, s[0:1]
; %bb.183:                              ;   in Loop: Header=BB185_43 Depth=1
	s_or_b64 exec, exec, s[6:7]
	v_lshlrev_b32_e32 v2, 16, v7
	v_mul_f32_e32 v2, v46, v2
	v_and_b32_e32 v7, 0x7f800000, v2
	v_cmp_ne_u32_e64 s[0:1], s14, v7
                                        ; implicit-def: $vgpr7
	s_and_saveexec_b64 s[6:7], s[0:1]
	s_xor_b64 s[0:1], exec, s[6:7]
; %bb.184:                              ;   in Loop: Header=BB185_43 Depth=1
	v_bfe_u32 v7, v2, 16, 1
	v_add3_u32 v7, v2, v7, s15
                                        ; implicit-def: $vgpr2
; %bb.185:                              ;   in Loop: Header=BB185_43 Depth=1
	s_andn2_saveexec_b64 s[6:7], s[0:1]
; %bb.186:                              ;   in Loop: Header=BB185_43 Depth=1
	v_or_b32_e32 v7, 0x10000, v2
	v_cmp_eq_u32_sdwa s[0:1], v2, v24 src0_sel:WORD_0 src1_sel:DWORD
	v_cndmask_b32_e64 v7, v7, v2, s[0:1]
; %bb.187:                              ;   in Loop: Header=BB185_43 Depth=1
	s_or_b64 exec, exec, s[6:7]
	v_lshlrev_b32_e32 v2, 16, v3
	v_mul_f32_e32 v2, v47, v2
	v_and_b32_e32 v3, 0x7f800000, v2
	v_cmp_ne_u32_e64 s[0:1], s14, v3
                                        ; implicit-def: $vgpr69
	s_and_saveexec_b64 s[6:7], s[0:1]
	s_xor_b64 s[0:1], exec, s[6:7]
; %bb.188:                              ;   in Loop: Header=BB185_43 Depth=1
	v_bfe_u32 v3, v2, 16, 1
	v_add3_u32 v69, v2, v3, s15
                                        ; implicit-def: $vgpr2
; %bb.189:                              ;   in Loop: Header=BB185_43 Depth=1
	s_andn2_saveexec_b64 s[6:7], s[0:1]
; %bb.190:                              ;   in Loop: Header=BB185_43 Depth=1
	v_or_b32_e32 v3, 0x10000, v2
	v_cmp_eq_u32_sdwa s[0:1], v2, v24 src0_sel:WORD_0 src1_sel:DWORD
	v_cndmask_b32_e64 v69, v3, v2, s[0:1]
; %bb.191:                              ;   in Loop: Header=BB185_43 Depth=1
	s_or_b64 exec, exec, s[6:7]
	v_lshlrev_b32_e32 v2, 16, v70
	v_mul_f32_e32 v2, v48, v2
	v_and_b32_e32 v3, 0x7f800000, v2
	v_cmp_ne_u32_e64 s[0:1], s14, v3
                                        ; implicit-def: $vgpr70
	s_and_saveexec_b64 s[6:7], s[0:1]
	s_xor_b64 s[0:1], exec, s[6:7]
; %bb.192:                              ;   in Loop: Header=BB185_43 Depth=1
	v_bfe_u32 v3, v2, 16, 1
	v_add3_u32 v70, v2, v3, s15
                                        ; implicit-def: $vgpr2
; %bb.193:                              ;   in Loop: Header=BB185_43 Depth=1
	s_andn2_saveexec_b64 s[6:7], s[0:1]
; %bb.194:                              ;   in Loop: Header=BB185_43 Depth=1
	v_or_b32_e32 v3, 0x10000, v2
	v_cmp_eq_u32_sdwa s[0:1], v2, v24 src0_sel:WORD_0 src1_sel:DWORD
	v_cndmask_b32_e64 v70, v3, v2, s[0:1]
; %bb.195:                              ;   in Loop: Header=BB185_43 Depth=1
	s_or_b64 exec, exec, s[6:7]
	v_lshlrev_b32_e32 v2, 16, v4
	v_mul_f32_e32 v2, v49, v2
	v_and_b32_e32 v3, 0x7f800000, v2
	v_cmp_ne_u32_e64 s[0:1], s14, v3
                                        ; implicit-def: $vgpr71
	s_and_saveexec_b64 s[6:7], s[0:1]
	s_xor_b64 s[0:1], exec, s[6:7]
; %bb.196:                              ;   in Loop: Header=BB185_43 Depth=1
	v_bfe_u32 v3, v2, 16, 1
	v_add3_u32 v71, v2, v3, s15
                                        ; implicit-def: $vgpr2
; %bb.197:                              ;   in Loop: Header=BB185_43 Depth=1
	s_andn2_saveexec_b64 s[6:7], s[0:1]
; %bb.198:                              ;   in Loop: Header=BB185_43 Depth=1
	v_or_b32_e32 v3, 0x10000, v2
	v_cmp_eq_u32_sdwa s[0:1], v2, v24 src0_sel:WORD_0 src1_sel:DWORD
	v_cndmask_b32_e64 v71, v3, v2, s[0:1]
; %bb.199:                              ;   in Loop: Header=BB185_43 Depth=1
	s_or_b64 exec, exec, s[6:7]
	v_lshlrev_b32_e32 v2, 16, v72
	v_mul_f32_e32 v2, v50, v2
	v_and_b32_e32 v3, 0x7f800000, v2
	v_cmp_ne_u32_e64 s[0:1], s14, v3
                                        ; implicit-def: $vgpr72
	s_and_saveexec_b64 s[6:7], s[0:1]
	s_xor_b64 s[0:1], exec, s[6:7]
; %bb.200:                              ;   in Loop: Header=BB185_43 Depth=1
	v_bfe_u32 v3, v2, 16, 1
	v_add3_u32 v72, v2, v3, s15
                                        ; implicit-def: $vgpr2
; %bb.201:                              ;   in Loop: Header=BB185_43 Depth=1
	s_andn2_saveexec_b64 s[6:7], s[0:1]
; %bb.202:                              ;   in Loop: Header=BB185_43 Depth=1
	v_or_b32_e32 v3, 0x10000, v2
	v_cmp_eq_u32_sdwa s[0:1], v2, v24 src0_sel:WORD_0 src1_sel:DWORD
	v_cndmask_b32_e64 v72, v3, v2, s[0:1]
; %bb.203:                              ;   in Loop: Header=BB185_43 Depth=1
	s_or_b64 exec, exec, s[6:7]
	v_lshlrev_b32_e32 v2, 16, v5
	v_mul_f32_e32 v2, v51, v2
	v_and_b32_e32 v3, 0x7f800000, v2
	v_cmp_ne_u32_e64 s[0:1], s14, v3
                                        ; implicit-def: $vgpr73
	s_and_saveexec_b64 s[6:7], s[0:1]
	s_xor_b64 s[0:1], exec, s[6:7]
; %bb.204:                              ;   in Loop: Header=BB185_43 Depth=1
	v_bfe_u32 v3, v2, 16, 1
	v_add3_u32 v73, v2, v3, s15
                                        ; implicit-def: $vgpr2
; %bb.205:                              ;   in Loop: Header=BB185_43 Depth=1
	s_andn2_saveexec_b64 s[6:7], s[0:1]
; %bb.206:                              ;   in Loop: Header=BB185_43 Depth=1
	v_or_b32_e32 v3, 0x10000, v2
	v_cmp_eq_u32_sdwa s[0:1], v2, v24 src0_sel:WORD_0 src1_sel:DWORD
	v_cndmask_b32_e64 v73, v3, v2, s[0:1]
; %bb.207:                              ;   in Loop: Header=BB185_43 Depth=1
	s_or_b64 exec, exec, s[6:7]
	v_lshlrev_b32_e32 v2, 16, v74
	v_mul_f32_e32 v2, v52, v2
	v_and_b32_e32 v3, 0x7f800000, v2
	v_cmp_ne_u32_e64 s[0:1], s14, v3
                                        ; implicit-def: $vgpr74
	s_and_saveexec_b64 s[6:7], s[0:1]
	s_xor_b64 s[0:1], exec, s[6:7]
; %bb.208:                              ;   in Loop: Header=BB185_43 Depth=1
	v_bfe_u32 v3, v2, 16, 1
	v_add3_u32 v74, v2, v3, s15
                                        ; implicit-def: $vgpr2
; %bb.209:                              ;   in Loop: Header=BB185_43 Depth=1
	s_andn2_saveexec_b64 s[6:7], s[0:1]
; %bb.210:                              ;   in Loop: Header=BB185_43 Depth=1
	v_or_b32_e32 v3, 0x10000, v2
	v_cmp_eq_u32_sdwa s[0:1], v2, v24 src0_sel:WORD_0 src1_sel:DWORD
	v_cndmask_b32_e64 v74, v3, v2, s[0:1]
; %bb.211:                              ;   in Loop: Header=BB185_43 Depth=1
	s_or_b64 exec, exec, s[6:7]
	v_add_co_u32_e64 v2, s[0:1], v43, v27
	v_addc_co_u32_e64 v3, s[0:1], 0, v44, s[0:1]
	global_load_dwordx4 v[2:5], v[2:3], off
	s_waitcnt vmcnt(0)
	v_lshrrev_b32_e32 v76, 16, v2
	v_lshrrev_b32_e32 v78, 16, v3
	;; [unrolled: 1-line block ×4, first 2 shown]
	s_and_saveexec_b64 s[6:7], vcc
	s_cbranch_execz .LBB185_213
; %bb.212:                              ;   in Loop: Header=BB185_43 Depth=1
	v_cmp_gt_i32_e64 s[0:1], s33, v35
	v_cndmask_b32_e64 v2, 0, v2, s[0:1]
	v_cmp_gt_i32_e64 s[0:1], s33, v41
	v_cndmask_b32_e64 v76, 0, v76, s[0:1]
	;; [unrolled: 2-line block ×8, first 2 shown]
.LBB185_213:                            ;   in Loop: Header=BB185_43 Depth=1
	s_or_b64 exec, exec, s[6:7]
	v_lshlrev_b32_e32 v2, 16, v2
	v_mul_f32_e32 v2, v45, v2
	v_and_b32_e32 v75, 0x7f800000, v2
	v_cmp_ne_u32_e64 s[0:1], s14, v75
                                        ; implicit-def: $vgpr75
	s_and_saveexec_b64 s[6:7], s[0:1]
	s_xor_b64 s[0:1], exec, s[6:7]
; %bb.214:                              ;   in Loop: Header=BB185_43 Depth=1
	v_bfe_u32 v75, v2, 16, 1
	v_add3_u32 v75, v2, v75, s15
                                        ; implicit-def: $vgpr2
; %bb.215:                              ;   in Loop: Header=BB185_43 Depth=1
	s_andn2_saveexec_b64 s[6:7], s[0:1]
; %bb.216:                              ;   in Loop: Header=BB185_43 Depth=1
	v_or_b32_e32 v75, 0x10000, v2
	v_cmp_eq_u32_sdwa s[0:1], v2, v24 src0_sel:WORD_0 src1_sel:DWORD
	v_cndmask_b32_e64 v75, v75, v2, s[0:1]
; %bb.217:                              ;   in Loop: Header=BB185_43 Depth=1
	s_or_b64 exec, exec, s[6:7]
	v_lshlrev_b32_e32 v2, 16, v76
	v_mul_f32_e32 v2, v46, v2
	v_and_b32_e32 v76, 0x7f800000, v2
	v_cmp_ne_u32_e64 s[0:1], s14, v76
                                        ; implicit-def: $vgpr76
	s_and_saveexec_b64 s[6:7], s[0:1]
	s_xor_b64 s[0:1], exec, s[6:7]
; %bb.218:                              ;   in Loop: Header=BB185_43 Depth=1
	v_bfe_u32 v76, v2, 16, 1
	v_add3_u32 v76, v2, v76, s15
                                        ; implicit-def: $vgpr2
; %bb.219:                              ;   in Loop: Header=BB185_43 Depth=1
	s_andn2_saveexec_b64 s[6:7], s[0:1]
; %bb.220:                              ;   in Loop: Header=BB185_43 Depth=1
	v_or_b32_e32 v76, 0x10000, v2
	v_cmp_eq_u32_sdwa s[0:1], v2, v24 src0_sel:WORD_0 src1_sel:DWORD
	v_cndmask_b32_e64 v76, v76, v2, s[0:1]
; %bb.221:                              ;   in Loop: Header=BB185_43 Depth=1
	s_or_b64 exec, exec, s[6:7]
	v_lshlrev_b32_e32 v2, 16, v3
	v_mul_f32_e32 v2, v47, v2
	v_and_b32_e32 v3, 0x7f800000, v2
	v_cmp_ne_u32_e64 s[0:1], s14, v3
                                        ; implicit-def: $vgpr77
	s_and_saveexec_b64 s[6:7], s[0:1]
	s_xor_b64 s[0:1], exec, s[6:7]
; %bb.222:                              ;   in Loop: Header=BB185_43 Depth=1
	v_bfe_u32 v3, v2, 16, 1
	v_add3_u32 v77, v2, v3, s15
                                        ; implicit-def: $vgpr2
; %bb.223:                              ;   in Loop: Header=BB185_43 Depth=1
	s_andn2_saveexec_b64 s[6:7], s[0:1]
; %bb.224:                              ;   in Loop: Header=BB185_43 Depth=1
	v_or_b32_e32 v3, 0x10000, v2
	v_cmp_eq_u32_sdwa s[0:1], v2, v24 src0_sel:WORD_0 src1_sel:DWORD
	v_cndmask_b32_e64 v77, v3, v2, s[0:1]
; %bb.225:                              ;   in Loop: Header=BB185_43 Depth=1
	s_or_b64 exec, exec, s[6:7]
	v_lshlrev_b32_e32 v2, 16, v78
	v_mul_f32_e32 v2, v48, v2
	v_and_b32_e32 v3, 0x7f800000, v2
	v_cmp_ne_u32_e64 s[0:1], s14, v3
                                        ; implicit-def: $vgpr78
	s_and_saveexec_b64 s[6:7], s[0:1]
	s_xor_b64 s[0:1], exec, s[6:7]
; %bb.226:                              ;   in Loop: Header=BB185_43 Depth=1
	v_bfe_u32 v3, v2, 16, 1
	v_add3_u32 v78, v2, v3, s15
                                        ; implicit-def: $vgpr2
; %bb.227:                              ;   in Loop: Header=BB185_43 Depth=1
	s_andn2_saveexec_b64 s[6:7], s[0:1]
; %bb.228:                              ;   in Loop: Header=BB185_43 Depth=1
	v_or_b32_e32 v3, 0x10000, v2
	v_cmp_eq_u32_sdwa s[0:1], v2, v24 src0_sel:WORD_0 src1_sel:DWORD
	v_cndmask_b32_e64 v78, v3, v2, s[0:1]
; %bb.229:                              ;   in Loop: Header=BB185_43 Depth=1
	s_or_b64 exec, exec, s[6:7]
	v_lshlrev_b32_e32 v2, 16, v4
	v_mul_f32_e32 v2, v49, v2
	v_and_b32_e32 v3, 0x7f800000, v2
	v_cmp_ne_u32_e64 s[0:1], s14, v3
                                        ; implicit-def: $vgpr79
	s_and_saveexec_b64 s[6:7], s[0:1]
	s_xor_b64 s[0:1], exec, s[6:7]
; %bb.230:                              ;   in Loop: Header=BB185_43 Depth=1
	v_bfe_u32 v3, v2, 16, 1
	v_add3_u32 v79, v2, v3, s15
                                        ; implicit-def: $vgpr2
; %bb.231:                              ;   in Loop: Header=BB185_43 Depth=1
	s_andn2_saveexec_b64 s[6:7], s[0:1]
; %bb.232:                              ;   in Loop: Header=BB185_43 Depth=1
	v_or_b32_e32 v3, 0x10000, v2
	v_cmp_eq_u32_sdwa s[0:1], v2, v24 src0_sel:WORD_0 src1_sel:DWORD
	v_cndmask_b32_e64 v79, v3, v2, s[0:1]
; %bb.233:                              ;   in Loop: Header=BB185_43 Depth=1
	s_or_b64 exec, exec, s[6:7]
	v_lshlrev_b32_e32 v2, 16, v80
	v_mul_f32_e32 v2, v50, v2
	v_and_b32_e32 v3, 0x7f800000, v2
	v_cmp_ne_u32_e64 s[0:1], s14, v3
                                        ; implicit-def: $vgpr80
	s_and_saveexec_b64 s[6:7], s[0:1]
	s_xor_b64 s[0:1], exec, s[6:7]
; %bb.234:                              ;   in Loop: Header=BB185_43 Depth=1
	v_bfe_u32 v3, v2, 16, 1
	v_add3_u32 v80, v2, v3, s15
                                        ; implicit-def: $vgpr2
; %bb.235:                              ;   in Loop: Header=BB185_43 Depth=1
	s_andn2_saveexec_b64 s[6:7], s[0:1]
; %bb.236:                              ;   in Loop: Header=BB185_43 Depth=1
	v_or_b32_e32 v3, 0x10000, v2
	v_cmp_eq_u32_sdwa s[0:1], v2, v24 src0_sel:WORD_0 src1_sel:DWORD
	v_cndmask_b32_e64 v80, v3, v2, s[0:1]
; %bb.237:                              ;   in Loop: Header=BB185_43 Depth=1
	s_or_b64 exec, exec, s[6:7]
	v_lshlrev_b32_e32 v2, 16, v5
	v_mul_f32_e32 v2, v51, v2
	v_and_b32_e32 v3, 0x7f800000, v2
	v_cmp_ne_u32_e64 s[0:1], s14, v3
                                        ; implicit-def: $vgpr81
	s_and_saveexec_b64 s[6:7], s[0:1]
	s_xor_b64 s[0:1], exec, s[6:7]
; %bb.238:                              ;   in Loop: Header=BB185_43 Depth=1
	v_bfe_u32 v3, v2, 16, 1
	v_add3_u32 v81, v2, v3, s15
                                        ; implicit-def: $vgpr2
; %bb.239:                              ;   in Loop: Header=BB185_43 Depth=1
	s_andn2_saveexec_b64 s[6:7], s[0:1]
; %bb.240:                              ;   in Loop: Header=BB185_43 Depth=1
	v_or_b32_e32 v3, 0x10000, v2
	v_cmp_eq_u32_sdwa s[0:1], v2, v24 src0_sel:WORD_0 src1_sel:DWORD
	v_cndmask_b32_e64 v81, v3, v2, s[0:1]
; %bb.241:                              ;   in Loop: Header=BB185_43 Depth=1
	s_or_b64 exec, exec, s[6:7]
	v_lshlrev_b32_e32 v2, 16, v82
	v_mul_f32_e32 v2, v52, v2
	v_and_b32_e32 v3, 0x7f800000, v2
	v_cmp_ne_u32_e64 s[0:1], s14, v3
                                        ; implicit-def: $vgpr82
	s_and_saveexec_b64 s[6:7], s[0:1]
	s_xor_b64 s[0:1], exec, s[6:7]
; %bb.242:                              ;   in Loop: Header=BB185_43 Depth=1
	v_bfe_u32 v3, v2, 16, 1
	v_add3_u32 v82, v2, v3, s15
                                        ; implicit-def: $vgpr2
; %bb.243:                              ;   in Loop: Header=BB185_43 Depth=1
	s_andn2_saveexec_b64 s[6:7], s[0:1]
; %bb.244:                              ;   in Loop: Header=BB185_43 Depth=1
	v_or_b32_e32 v3, 0x10000, v2
	v_cmp_eq_u32_sdwa s[0:1], v2, v24 src0_sel:WORD_0 src1_sel:DWORD
	v_cndmask_b32_e64 v82, v3, v2, s[0:1]
; %bb.245:                              ;   in Loop: Header=BB185_43 Depth=1
	s_or_b64 exec, exec, s[6:7]
	v_add_co_u32_e64 v2, s[0:1], v43, v28
	v_addc_co_u32_e64 v3, s[0:1], 0, v44, s[0:1]
	global_load_dwordx4 v[2:5], v[2:3], off
	s_waitcnt vmcnt(0)
	v_lshrrev_b32_e32 v84, 16, v2
	v_lshrrev_b32_e32 v86, 16, v3
	;; [unrolled: 1-line block ×4, first 2 shown]
	s_and_saveexec_b64 s[6:7], vcc
	s_cbranch_execz .LBB185_247
; %bb.246:                              ;   in Loop: Header=BB185_43 Depth=1
	v_cmp_gt_i32_e64 s[0:1], s33, v35
	v_cndmask_b32_e64 v2, 0, v2, s[0:1]
	v_cmp_gt_i32_e64 s[0:1], s33, v41
	v_cndmask_b32_e64 v84, 0, v84, s[0:1]
	;; [unrolled: 2-line block ×8, first 2 shown]
.LBB185_247:                            ;   in Loop: Header=BB185_43 Depth=1
	s_or_b64 exec, exec, s[6:7]
	v_lshlrev_b32_e32 v2, 16, v2
	v_mul_f32_e32 v2, v45, v2
	v_and_b32_e32 v83, 0x7f800000, v2
	v_cmp_ne_u32_e64 s[0:1], s14, v83
                                        ; implicit-def: $vgpr83
	s_and_saveexec_b64 s[6:7], s[0:1]
	s_xor_b64 s[0:1], exec, s[6:7]
; %bb.248:                              ;   in Loop: Header=BB185_43 Depth=1
	v_bfe_u32 v83, v2, 16, 1
	v_add3_u32 v83, v2, v83, s15
                                        ; implicit-def: $vgpr2
; %bb.249:                              ;   in Loop: Header=BB185_43 Depth=1
	s_andn2_saveexec_b64 s[6:7], s[0:1]
; %bb.250:                              ;   in Loop: Header=BB185_43 Depth=1
	v_or_b32_e32 v83, 0x10000, v2
	v_cmp_eq_u32_sdwa s[0:1], v2, v24 src0_sel:WORD_0 src1_sel:DWORD
	v_cndmask_b32_e64 v83, v83, v2, s[0:1]
; %bb.251:                              ;   in Loop: Header=BB185_43 Depth=1
	s_or_b64 exec, exec, s[6:7]
	v_lshlrev_b32_e32 v2, 16, v84
	v_mul_f32_e32 v2, v46, v2
	v_and_b32_e32 v84, 0x7f800000, v2
	v_cmp_ne_u32_e64 s[0:1], s14, v84
                                        ; implicit-def: $vgpr84
	s_and_saveexec_b64 s[6:7], s[0:1]
	s_xor_b64 s[0:1], exec, s[6:7]
; %bb.252:                              ;   in Loop: Header=BB185_43 Depth=1
	v_bfe_u32 v84, v2, 16, 1
	v_add3_u32 v84, v2, v84, s15
                                        ; implicit-def: $vgpr2
; %bb.253:                              ;   in Loop: Header=BB185_43 Depth=1
	s_andn2_saveexec_b64 s[6:7], s[0:1]
; %bb.254:                              ;   in Loop: Header=BB185_43 Depth=1
	v_or_b32_e32 v84, 0x10000, v2
	v_cmp_eq_u32_sdwa s[0:1], v2, v24 src0_sel:WORD_0 src1_sel:DWORD
	v_cndmask_b32_e64 v84, v84, v2, s[0:1]
; %bb.255:                              ;   in Loop: Header=BB185_43 Depth=1
	s_or_b64 exec, exec, s[6:7]
	v_lshlrev_b32_e32 v2, 16, v3
	v_mul_f32_e32 v2, v47, v2
	v_and_b32_e32 v3, 0x7f800000, v2
	v_cmp_ne_u32_e64 s[0:1], s14, v3
                                        ; implicit-def: $vgpr85
	s_and_saveexec_b64 s[6:7], s[0:1]
	s_xor_b64 s[0:1], exec, s[6:7]
; %bb.256:                              ;   in Loop: Header=BB185_43 Depth=1
	v_bfe_u32 v3, v2, 16, 1
	v_add3_u32 v85, v2, v3, s15
                                        ; implicit-def: $vgpr2
; %bb.257:                              ;   in Loop: Header=BB185_43 Depth=1
	s_andn2_saveexec_b64 s[6:7], s[0:1]
; %bb.258:                              ;   in Loop: Header=BB185_43 Depth=1
	v_or_b32_e32 v3, 0x10000, v2
	v_cmp_eq_u32_sdwa s[0:1], v2, v24 src0_sel:WORD_0 src1_sel:DWORD
	v_cndmask_b32_e64 v85, v3, v2, s[0:1]
; %bb.259:                              ;   in Loop: Header=BB185_43 Depth=1
	s_or_b64 exec, exec, s[6:7]
	v_lshlrev_b32_e32 v2, 16, v86
	v_mul_f32_e32 v2, v48, v2
	v_and_b32_e32 v3, 0x7f800000, v2
	v_cmp_ne_u32_e64 s[0:1], s14, v3
                                        ; implicit-def: $vgpr86
	s_and_saveexec_b64 s[6:7], s[0:1]
	s_xor_b64 s[0:1], exec, s[6:7]
; %bb.260:                              ;   in Loop: Header=BB185_43 Depth=1
	v_bfe_u32 v3, v2, 16, 1
	v_add3_u32 v86, v2, v3, s15
                                        ; implicit-def: $vgpr2
; %bb.261:                              ;   in Loop: Header=BB185_43 Depth=1
	s_andn2_saveexec_b64 s[6:7], s[0:1]
; %bb.262:                              ;   in Loop: Header=BB185_43 Depth=1
	v_or_b32_e32 v3, 0x10000, v2
	v_cmp_eq_u32_sdwa s[0:1], v2, v24 src0_sel:WORD_0 src1_sel:DWORD
	v_cndmask_b32_e64 v86, v3, v2, s[0:1]
; %bb.263:                              ;   in Loop: Header=BB185_43 Depth=1
	s_or_b64 exec, exec, s[6:7]
	v_lshlrev_b32_e32 v2, 16, v4
	v_mul_f32_e32 v2, v49, v2
	v_and_b32_e32 v3, 0x7f800000, v2
	v_cmp_ne_u32_e64 s[0:1], s14, v3
                                        ; implicit-def: $vgpr87
	s_and_saveexec_b64 s[6:7], s[0:1]
	s_xor_b64 s[0:1], exec, s[6:7]
; %bb.264:                              ;   in Loop: Header=BB185_43 Depth=1
	v_bfe_u32 v3, v2, 16, 1
	v_add3_u32 v87, v2, v3, s15
                                        ; implicit-def: $vgpr2
; %bb.265:                              ;   in Loop: Header=BB185_43 Depth=1
	s_andn2_saveexec_b64 s[6:7], s[0:1]
; %bb.266:                              ;   in Loop: Header=BB185_43 Depth=1
	v_or_b32_e32 v3, 0x10000, v2
	v_cmp_eq_u32_sdwa s[0:1], v2, v24 src0_sel:WORD_0 src1_sel:DWORD
	v_cndmask_b32_e64 v87, v3, v2, s[0:1]
; %bb.267:                              ;   in Loop: Header=BB185_43 Depth=1
	s_or_b64 exec, exec, s[6:7]
	v_lshlrev_b32_e32 v2, 16, v88
	v_mul_f32_e32 v2, v50, v2
	v_and_b32_e32 v3, 0x7f800000, v2
	v_cmp_ne_u32_e64 s[0:1], s14, v3
                                        ; implicit-def: $vgpr88
	s_and_saveexec_b64 s[6:7], s[0:1]
	s_xor_b64 s[0:1], exec, s[6:7]
; %bb.268:                              ;   in Loop: Header=BB185_43 Depth=1
	v_bfe_u32 v3, v2, 16, 1
	v_add3_u32 v88, v2, v3, s15
                                        ; implicit-def: $vgpr2
; %bb.269:                              ;   in Loop: Header=BB185_43 Depth=1
	s_andn2_saveexec_b64 s[6:7], s[0:1]
; %bb.270:                              ;   in Loop: Header=BB185_43 Depth=1
	v_or_b32_e32 v3, 0x10000, v2
	v_cmp_eq_u32_sdwa s[0:1], v2, v24 src0_sel:WORD_0 src1_sel:DWORD
	v_cndmask_b32_e64 v88, v3, v2, s[0:1]
; %bb.271:                              ;   in Loop: Header=BB185_43 Depth=1
	s_or_b64 exec, exec, s[6:7]
	v_lshlrev_b32_e32 v2, 16, v5
	v_mul_f32_e32 v2, v51, v2
	v_and_b32_e32 v3, 0x7f800000, v2
	v_cmp_ne_u32_e64 s[0:1], s14, v3
                                        ; implicit-def: $vgpr89
	s_and_saveexec_b64 s[6:7], s[0:1]
	s_xor_b64 s[0:1], exec, s[6:7]
; %bb.272:                              ;   in Loop: Header=BB185_43 Depth=1
	v_bfe_u32 v3, v2, 16, 1
	v_add3_u32 v89, v2, v3, s15
                                        ; implicit-def: $vgpr2
; %bb.273:                              ;   in Loop: Header=BB185_43 Depth=1
	s_andn2_saveexec_b64 s[6:7], s[0:1]
; %bb.274:                              ;   in Loop: Header=BB185_43 Depth=1
	v_or_b32_e32 v3, 0x10000, v2
	v_cmp_eq_u32_sdwa s[0:1], v2, v24 src0_sel:WORD_0 src1_sel:DWORD
	v_cndmask_b32_e64 v89, v3, v2, s[0:1]
; %bb.275:                              ;   in Loop: Header=BB185_43 Depth=1
	s_or_b64 exec, exec, s[6:7]
	v_lshlrev_b32_e32 v2, 16, v90
	v_mul_f32_e32 v2, v52, v2
	v_and_b32_e32 v3, 0x7f800000, v2
	v_cmp_ne_u32_e64 s[0:1], s14, v3
                                        ; implicit-def: $vgpr90
	s_and_saveexec_b64 s[6:7], s[0:1]
	s_xor_b64 s[0:1], exec, s[6:7]
; %bb.276:                              ;   in Loop: Header=BB185_43 Depth=1
	v_bfe_u32 v3, v2, 16, 1
	v_add3_u32 v90, v2, v3, s15
                                        ; implicit-def: $vgpr2
; %bb.277:                              ;   in Loop: Header=BB185_43 Depth=1
	s_andn2_saveexec_b64 s[6:7], s[0:1]
; %bb.278:                              ;   in Loop: Header=BB185_43 Depth=1
	v_or_b32_e32 v3, 0x10000, v2
	v_cmp_eq_u32_sdwa s[0:1], v2, v24 src0_sel:WORD_0 src1_sel:DWORD
	v_cndmask_b32_e64 v90, v3, v2, s[0:1]
; %bb.279:                              ;   in Loop: Header=BB185_43 Depth=1
	s_or_b64 exec, exec, s[6:7]
	v_add_co_u32_e64 v2, s[0:1], v43, v29
	v_addc_co_u32_e64 v3, s[0:1], 0, v44, s[0:1]
	global_load_dwordx4 v[2:5], v[2:3], off
	s_waitcnt vmcnt(0)
	v_lshrrev_b32_e32 v92, 16, v2
	v_lshrrev_b32_e32 v91, 16, v3
	;; [unrolled: 1-line block ×4, first 2 shown]
	s_and_saveexec_b64 s[0:1], vcc
	s_cbranch_execz .LBB185_281
; %bb.280:                              ;   in Loop: Header=BB185_43 Depth=1
	v_cmp_gt_i32_e32 vcc, s33, v35
	v_cndmask_b32_e32 v2, 0, v2, vcc
	v_cmp_gt_i32_e32 vcc, s33, v41
	v_cndmask_b32_e32 v92, 0, v92, vcc
	;; [unrolled: 2-line block ×8, first 2 shown]
.LBB185_281:                            ;   in Loop: Header=BB185_43 Depth=1
	s_or_b64 exec, exec, s[0:1]
	v_lshlrev_b32_e32 v2, 16, v2
	v_mul_f32_e32 v35, v45, v2
	v_and_b32_e32 v2, 0x7f800000, v35
	v_cmp_ne_u32_e32 vcc, s14, v2
                                        ; implicit-def: $vgpr2
	s_and_saveexec_b64 s[0:1], vcc
	s_xor_b64 s[0:1], exec, s[0:1]
; %bb.282:                              ;   in Loop: Header=BB185_43 Depth=1
	v_bfe_u32 v2, v35, 16, 1
	v_add3_u32 v2, v35, v2, s15
                                        ; implicit-def: $vgpr35
; %bb.283:                              ;   in Loop: Header=BB185_43 Depth=1
	s_andn2_saveexec_b64 s[0:1], s[0:1]
; %bb.284:                              ;   in Loop: Header=BB185_43 Depth=1
	v_or_b32_e32 v2, 0x10000, v35
	v_cmp_eq_u32_sdwa vcc, v35, v24 src0_sel:WORD_0 src1_sel:DWORD
	v_cndmask_b32_e32 v2, v2, v35, vcc
; %bb.285:                              ;   in Loop: Header=BB185_43 Depth=1
	s_or_b64 exec, exec, s[0:1]
	v_lshlrev_b32_e32 v35, 16, v92
	v_mul_f32_e32 v36, v46, v35
	v_and_b32_e32 v35, 0x7f800000, v36
	v_cmp_ne_u32_e32 vcc, s14, v35
                                        ; implicit-def: $vgpr35
	s_and_saveexec_b64 s[0:1], vcc
	s_xor_b64 s[0:1], exec, s[0:1]
; %bb.286:                              ;   in Loop: Header=BB185_43 Depth=1
	v_bfe_u32 v35, v36, 16, 1
	v_add3_u32 v35, v36, v35, s15
                                        ; implicit-def: $vgpr36
; %bb.287:                              ;   in Loop: Header=BB185_43 Depth=1
	s_andn2_saveexec_b64 s[0:1], s[0:1]
; %bb.288:                              ;   in Loop: Header=BB185_43 Depth=1
	v_or_b32_e32 v35, 0x10000, v36
	v_cmp_eq_u32_sdwa vcc, v36, v24 src0_sel:WORD_0 src1_sel:DWORD
	v_cndmask_b32_e32 v35, v35, v36, vcc
; %bb.289:                              ;   in Loop: Header=BB185_43 Depth=1
	s_or_b64 exec, exec, s[0:1]
	v_lshlrev_b32_e32 v3, 16, v3
	v_mul_f32_e32 v36, v47, v3
	v_and_b32_e32 v3, 0x7f800000, v36
	v_cmp_ne_u32_e32 vcc, s14, v3
                                        ; implicit-def: $vgpr3
	s_and_saveexec_b64 s[0:1], vcc
	s_xor_b64 s[0:1], exec, s[0:1]
; %bb.290:                              ;   in Loop: Header=BB185_43 Depth=1
	v_bfe_u32 v3, v36, 16, 1
	v_add3_u32 v3, v36, v3, s15
                                        ; implicit-def: $vgpr36
; %bb.291:                              ;   in Loop: Header=BB185_43 Depth=1
	s_andn2_saveexec_b64 s[0:1], s[0:1]
; %bb.292:                              ;   in Loop: Header=BB185_43 Depth=1
	v_or_b32_e32 v3, 0x10000, v36
	v_cmp_eq_u32_sdwa vcc, v36, v24 src0_sel:WORD_0 src1_sel:DWORD
	v_cndmask_b32_e32 v3, v3, v36, vcc
; %bb.293:                              ;   in Loop: Header=BB185_43 Depth=1
	s_or_b64 exec, exec, s[0:1]
	v_lshlrev_b32_e32 v36, 16, v91
	v_mul_f32_e32 v37, v48, v36
	v_and_b32_e32 v36, 0x7f800000, v37
	v_cmp_ne_u32_e32 vcc, s14, v36
                                        ; implicit-def: $vgpr36
	s_and_saveexec_b64 s[0:1], vcc
	s_xor_b64 s[0:1], exec, s[0:1]
; %bb.294:                              ;   in Loop: Header=BB185_43 Depth=1
	v_bfe_u32 v36, v37, 16, 1
	v_add3_u32 v36, v37, v36, s15
                                        ; implicit-def: $vgpr37
; %bb.295:                              ;   in Loop: Header=BB185_43 Depth=1
	s_andn2_saveexec_b64 s[0:1], s[0:1]
; %bb.296:                              ;   in Loop: Header=BB185_43 Depth=1
	v_or_b32_e32 v36, 0x10000, v37
	v_cmp_eq_u32_sdwa vcc, v37, v24 src0_sel:WORD_0 src1_sel:DWORD
	v_cndmask_b32_e32 v36, v36, v37, vcc
; %bb.297:                              ;   in Loop: Header=BB185_43 Depth=1
	s_or_b64 exec, exec, s[0:1]
	v_lshlrev_b32_e32 v4, 16, v4
	v_mul_f32_e32 v37, v49, v4
	v_and_b32_e32 v4, 0x7f800000, v37
	v_cmp_ne_u32_e32 vcc, s14, v4
                                        ; implicit-def: $vgpr4
	s_and_saveexec_b64 s[0:1], vcc
	s_xor_b64 s[0:1], exec, s[0:1]
; %bb.298:                              ;   in Loop: Header=BB185_43 Depth=1
	v_bfe_u32 v4, v37, 16, 1
	v_add3_u32 v4, v37, v4, s15
                                        ; implicit-def: $vgpr37
; %bb.299:                              ;   in Loop: Header=BB185_43 Depth=1
	s_andn2_saveexec_b64 s[0:1], s[0:1]
; %bb.300:                              ;   in Loop: Header=BB185_43 Depth=1
	v_or_b32_e32 v4, 0x10000, v37
	v_cmp_eq_u32_sdwa vcc, v37, v24 src0_sel:WORD_0 src1_sel:DWORD
	v_cndmask_b32_e32 v4, v4, v37, vcc
; %bb.301:                              ;   in Loop: Header=BB185_43 Depth=1
	s_or_b64 exec, exec, s[0:1]
	v_lshlrev_b32_e32 v37, 16, v44
	v_mul_f32_e32 v38, v50, v37
	v_and_b32_e32 v37, 0x7f800000, v38
	v_cmp_ne_u32_e32 vcc, s14, v37
                                        ; implicit-def: $vgpr37
	s_and_saveexec_b64 s[0:1], vcc
	s_xor_b64 s[0:1], exec, s[0:1]
; %bb.302:                              ;   in Loop: Header=BB185_43 Depth=1
	v_bfe_u32 v37, v38, 16, 1
	v_add3_u32 v37, v38, v37, s15
                                        ; implicit-def: $vgpr38
; %bb.303:                              ;   in Loop: Header=BB185_43 Depth=1
	s_andn2_saveexec_b64 s[0:1], s[0:1]
; %bb.304:                              ;   in Loop: Header=BB185_43 Depth=1
	v_or_b32_e32 v37, 0x10000, v38
	v_cmp_eq_u32_sdwa vcc, v38, v24 src0_sel:WORD_0 src1_sel:DWORD
	v_cndmask_b32_e32 v37, v37, v38, vcc
; %bb.305:                              ;   in Loop: Header=BB185_43 Depth=1
	s_or_b64 exec, exec, s[0:1]
	v_lshlrev_b32_e32 v5, 16, v5
	v_mul_f32_e32 v38, v51, v5
	v_and_b32_e32 v5, 0x7f800000, v38
	v_cmp_ne_u32_e32 vcc, s14, v5
                                        ; implicit-def: $vgpr5
	s_and_saveexec_b64 s[0:1], vcc
	s_xor_b64 s[0:1], exec, s[0:1]
; %bb.306:                              ;   in Loop: Header=BB185_43 Depth=1
	v_bfe_u32 v5, v38, 16, 1
	v_add3_u32 v5, v38, v5, s15
                                        ; implicit-def: $vgpr38
; %bb.307:                              ;   in Loop: Header=BB185_43 Depth=1
	s_andn2_saveexec_b64 s[0:1], s[0:1]
; %bb.308:                              ;   in Loop: Header=BB185_43 Depth=1
	v_or_b32_e32 v5, 0x10000, v38
	v_cmp_eq_u32_sdwa vcc, v38, v24 src0_sel:WORD_0 src1_sel:DWORD
	v_cndmask_b32_e32 v5, v5, v38, vcc
; %bb.309:                              ;   in Loop: Header=BB185_43 Depth=1
	s_or_b64 exec, exec, s[0:1]
	v_lshlrev_b32_e32 v38, 16, v43
	v_mul_f32_e32 v39, v52, v38
	v_and_b32_e32 v38, 0x7f800000, v39
	v_cmp_ne_u32_e32 vcc, s14, v38
                                        ; implicit-def: $vgpr38
	s_and_saveexec_b64 s[0:1], vcc
	s_xor_b64 s[0:1], exec, s[0:1]
; %bb.310:                              ;   in Loop: Header=BB185_43 Depth=1
	v_bfe_u32 v38, v39, 16, 1
	v_add3_u32 v38, v39, v38, s15
                                        ; implicit-def: $vgpr39
; %bb.311:                              ;   in Loop: Header=BB185_43 Depth=1
	s_andn2_saveexec_b64 s[0:1], s[0:1]
	s_cbranch_execz .LBB185_42
; %bb.312:                              ;   in Loop: Header=BB185_43 Depth=1
	v_or_b32_e32 v38, 0x10000, v39
	v_cmp_eq_u32_sdwa vcc, v39, v24 src0_sel:WORD_0 src1_sel:DWORD
	v_cndmask_b32_e32 v38, v38, v39, vcc
	s_branch .LBB185_42
.LBB185_313:
	s_or_b64 exec, exec, s[4:5]
.LBB185_314:
	s_or_b64 exec, exec, s[2:3]
	ds_bpermute_b32 v2, v20, v16
	ds_bpermute_b32 v3, v20, v17
	;; [unrolled: 1-line block ×6, first 2 shown]
	s_waitcnt lgkmcnt(4)
	v_pk_add_f32 v[2:3], v[16:17], v[2:3]
	ds_bpermute_b32 v16, v20, v23
	ds_bpermute_b32 v6, v21, v2
	;; [unrolled: 1-line block ×3, first 2 shown]
	s_waitcnt lgkmcnt(5)
	v_pk_add_f32 v[4:5], v[14:15], v[4:5]
	s_waitcnt lgkmcnt(3)
	v_pk_add_f32 v[12:13], v[12:13], v[8:9]
	s_waitcnt lgkmcnt(2)
	v_add_f32_e32 v16, v23, v16
	ds_bpermute_b32 v10, v21, v4
	ds_bpermute_b32 v11, v21, v5
	;; [unrolled: 1-line block ×5, first 2 shown]
	s_waitcnt lgkmcnt(5)
	v_pk_add_f32 v[8:9], v[2:3], v[6:7]
	v_and_b32_e32 v7, 0x3c3, v0
	s_waitcnt lgkmcnt(3)
	v_pk_add_f32 v[4:5], v[4:5], v[10:11]
	s_waitcnt lgkmcnt(1)
	v_pk_add_f32 v[2:3], v[12:13], v[14:15]
	s_waitcnt lgkmcnt(0)
	v_add_f32_e32 v6, v16, v17
	v_cmp_eq_u32_e32 vcc, 64, v7
	s_barrier
	s_and_saveexec_b64 s[0:1], vcc
	s_cbranch_execz .LBB185_316
; %bb.315:
	v_add_u32_e32 v1, 0xf0, v1
	ds_write2_b32 v1, v8, v9 offset1:16
	ds_write2_b32 v1, v4, v5 offset0:32 offset1:48
	ds_write2_b32 v1, v2, v3 offset0:64 offset1:80
	ds_write_b32 v1, v6 offset:384
.LBB185_316:
	s_or_b64 exec, exec, s[0:1]
	v_cmp_gt_u32_e32 vcc, 64, v0
	s_waitcnt lgkmcnt(0)
	s_barrier
	s_and_saveexec_b64 s[2:3], vcc
	s_cbranch_execz .LBB185_326
; %bb.317:
	v_cmp_eq_u32_e64 s[0:1], 0, v22
	v_lshrrev_b32_e32 v1, 2, v0
	s_and_saveexec_b64 s[4:5], s[0:1]
	s_cbranch_execnz .LBB185_358
; %bb.318:
	s_or_b64 exec, exec, s[4:5]
	s_and_saveexec_b64 s[4:5], s[0:1]
	s_cbranch_execnz .LBB185_359
.LBB185_319:
	s_or_b64 exec, exec, s[4:5]
	s_and_saveexec_b64 s[4:5], s[0:1]
	s_cbranch_execnz .LBB185_360
.LBB185_320:
	s_or_b64 exec, exec, s[4:5]
	s_and_saveexec_b64 s[4:5], s[0:1]
	s_cbranch_execnz .LBB185_361
.LBB185_321:
	s_or_b64 exec, exec, s[4:5]
	s_and_saveexec_b64 s[4:5], s[0:1]
	s_cbranch_execnz .LBB185_362
.LBB185_322:
	s_or_b64 exec, exec, s[4:5]
	s_and_saveexec_b64 s[4:5], s[0:1]
	s_cbranch_execnz .LBB185_363
.LBB185_323:
	s_or_b64 exec, exec, s[4:5]
	s_and_saveexec_b64 s[4:5], s[0:1]
	s_cbranch_execz .LBB185_325
.LBB185_324:
	v_mov_b32_e32 v7, 0xf0
	v_lshl_add_u32 v1, v1, 2, v7
	ds_read_b32 v1, v1 offset:384
	s_waitcnt lgkmcnt(0)
	v_add_f32_e32 v6, v6, v1
.LBB185_325:
	s_or_b64 exec, exec, s[4:5]
.LBB185_326:
	s_or_b64 exec, exec, s[2:3]
	s_barrier
	s_and_saveexec_b64 s[0:1], vcc
	s_cbranch_execz .LBB185_357
; %bb.327:
	v_cmp_eq_u32_e32 vcc, 0, v22
	s_and_b64 exec, exec, vcc
	s_cbranch_execz .LBB185_357
; %bb.328:
	s_mov_b32 s0, 0x7f800000
	v_and_b32_e32 v1, 0x7f800000, v8
	v_cmp_ne_u32_e32 vcc, s0, v1
                                        ; implicit-def: $vgpr1
	s_and_saveexec_b64 s[0:1], vcc
	s_xor_b64 s[0:1], exec, s[0:1]
; %bb.329:
	v_bfe_u32 v1, v8, 16, 1
	s_movk_i32 s2, 0x7fff
	v_add3_u32 v1, v8, v1, s2
; %bb.330:
	s_andn2_saveexec_b64 s[0:1], s[0:1]
; %bb.331:
	v_mov_b32_e32 v1, 0
	v_or_b32_e32 v7, 0x10000, v8
	v_cmp_eq_u32_sdwa vcc, v8, v1 src0_sel:WORD_0 src1_sel:DWORD
	v_cndmask_b32_e32 v1, v7, v8, vcc
; %bb.332:
	s_or_b64 exec, exec, s[0:1]
	s_mul_i32 s0, s12, s20
	s_mul_i32 s0, s0, s21
	s_mulk_i32 s0, 0x70
	s_ashr_i32 s1, s0, 31
	s_lshl_b64 s[0:1], s[0:1], 1
	s_add_u32 s2, s24, s0
	s_mul_i32 s0, s12, s22
	s_addc_u32 s3, s25, s1
	s_ashr_i32 s1, s0, 31
	s_lshl_b64 s[0:1], s[0:1], 1
	s_add_u32 s2, s2, s0
	s_mul_i32 s0, s8, 0x70
	s_addc_u32 s3, s3, s1
	s_ashr_i32 s1, s0, 31
	s_lshl_b64 s[0:1], s[0:1], 1
	s_add_u32 s0, s2, s0
	v_lshrrev_b32_e32 v0, 1, v0
	s_addc_u32 s1, s3, s1
	v_and_b32_e32 v0, 0x1fe, v0
	v_mov_b32_e32 v7, s1
	v_add_co_u32_e32 v10, vcc, s0, v0
	v_addc_co_u32_e32 v11, vcc, 0, v7, vcc
	global_store_short_d16_hi v0, v1, s[0:1]
	s_mov_b32 s0, 0x7f800000
	v_and_b32_e32 v0, 0x7f800000, v9
	v_cmp_ne_u32_e32 vcc, s0, v0
                                        ; implicit-def: $vgpr0
	s_and_saveexec_b64 s[0:1], vcc
	s_xor_b64 s[0:1], exec, s[0:1]
; %bb.333:
	v_bfe_u32 v0, v9, 16, 1
	s_movk_i32 s2, 0x7fff
	v_add3_u32 v0, v9, v0, s2
; %bb.334:
	s_andn2_saveexec_b64 s[0:1], s[0:1]
; %bb.335:
	v_mov_b32_e32 v0, 0
	v_or_b32_e32 v1, 0x10000, v9
	v_cmp_eq_u32_sdwa vcc, v9, v0 src0_sel:WORD_0 src1_sel:DWORD
	v_cndmask_b32_e32 v0, v1, v9, vcc
; %bb.336:
	s_or_b64 exec, exec, s[0:1]
	global_store_short_d16_hi v[10:11], v0, off offset:32
	s_mov_b32 s0, 0x7f800000
	v_and_b32_e32 v0, 0x7f800000, v4
	v_cmp_ne_u32_e32 vcc, s0, v0
                                        ; implicit-def: $vgpr0
	s_and_saveexec_b64 s[0:1], vcc
	s_xor_b64 s[0:1], exec, s[0:1]
; %bb.337:
	v_bfe_u32 v0, v4, 16, 1
	s_movk_i32 s2, 0x7fff
	v_add3_u32 v0, v4, v0, s2
; %bb.338:
	s_andn2_saveexec_b64 s[0:1], s[0:1]
; %bb.339:
	v_mov_b32_e32 v0, 0
	v_or_b32_e32 v1, 0x10000, v4
	v_cmp_eq_u32_sdwa vcc, v4, v0 src0_sel:WORD_0 src1_sel:DWORD
	v_cndmask_b32_e32 v0, v1, v4, vcc
; %bb.340:
	s_or_b64 exec, exec, s[0:1]
	global_store_short_d16_hi v[10:11], v0, off offset:64
	s_mov_b32 s0, 0x7f800000
	v_and_b32_e32 v0, 0x7f800000, v5
	v_cmp_ne_u32_e32 vcc, s0, v0
                                        ; implicit-def: $vgpr0
	s_and_saveexec_b64 s[0:1], vcc
	s_xor_b64 s[0:1], exec, s[0:1]
; %bb.341:
	v_bfe_u32 v0, v5, 16, 1
	s_movk_i32 s2, 0x7fff
	v_add3_u32 v0, v5, v0, s2
; %bb.342:
	s_andn2_saveexec_b64 s[0:1], s[0:1]
; %bb.343:
	v_mov_b32_e32 v0, 0
	v_or_b32_e32 v1, 0x10000, v5
	v_cmp_eq_u32_sdwa vcc, v5, v0 src0_sel:WORD_0 src1_sel:DWORD
	v_cndmask_b32_e32 v0, v1, v5, vcc
; %bb.344:
	s_or_b64 exec, exec, s[0:1]
	global_store_short_d16_hi v[10:11], v0, off offset:96
	s_mov_b32 s0, 0x7f800000
	v_and_b32_e32 v0, 0x7f800000, v2
	v_cmp_ne_u32_e32 vcc, s0, v0
                                        ; implicit-def: $vgpr0
	s_and_saveexec_b64 s[0:1], vcc
	s_xor_b64 s[0:1], exec, s[0:1]
; %bb.345:
	v_bfe_u32 v0, v2, 16, 1
	s_movk_i32 s2, 0x7fff
	v_add3_u32 v0, v2, v0, s2
; %bb.346:
	s_andn2_saveexec_b64 s[0:1], s[0:1]
; %bb.347:
	v_mov_b32_e32 v0, 0
	v_or_b32_e32 v1, 0x10000, v2
	v_cmp_eq_u32_sdwa vcc, v2, v0 src0_sel:WORD_0 src1_sel:DWORD
	v_cndmask_b32_e32 v0, v1, v2, vcc
; %bb.348:
	s_or_b64 exec, exec, s[0:1]
	global_store_short_d16_hi v[10:11], v0, off offset:128
	s_mov_b32 s0, 0x7f800000
	v_and_b32_e32 v0, 0x7f800000, v3
	v_cmp_ne_u32_e32 vcc, s0, v0
                                        ; implicit-def: $vgpr0
	s_and_saveexec_b64 s[0:1], vcc
	s_xor_b64 s[0:1], exec, s[0:1]
; %bb.349:
	v_bfe_u32 v0, v3, 16, 1
	s_movk_i32 s2, 0x7fff
	v_add3_u32 v0, v3, v0, s2
; %bb.350:
	s_andn2_saveexec_b64 s[0:1], s[0:1]
; %bb.351:
	v_mov_b32_e32 v0, 0
	v_or_b32_e32 v1, 0x10000, v3
	v_cmp_eq_u32_sdwa vcc, v3, v0 src0_sel:WORD_0 src1_sel:DWORD
	v_cndmask_b32_e32 v0, v1, v3, vcc
; %bb.352:
	s_or_b64 exec, exec, s[0:1]
	global_store_short_d16_hi v[10:11], v0, off offset:160
	s_mov_b32 s0, 0x7f800000
	v_and_b32_e32 v0, 0x7f800000, v6
	v_cmp_ne_u32_e32 vcc, s0, v0
                                        ; implicit-def: $vgpr7
	s_and_saveexec_b64 s[0:1], vcc
	s_xor_b64 s[0:1], exec, s[0:1]
; %bb.353:
	v_bfe_u32 v0, v6, 16, 1
	s_movk_i32 s2, 0x7fff
	v_add3_u32 v7, v6, v0, s2
                                        ; implicit-def: $vgpr0_vgpr1_vgpr2_vgpr3_vgpr4_vgpr5_vgpr6
; %bb.354:
	s_andn2_saveexec_b64 s[0:1], s[0:1]
; %bb.355:
	v_mov_b32_e32 v0, 0
	v_or_b32_e32 v1, 0x10000, v6
	v_cmp_eq_u32_sdwa vcc, v6, v0 src0_sel:WORD_0 src1_sel:DWORD
	v_cndmask_b32_e32 v7, v1, v6, vcc
; %bb.356:
	s_or_b64 exec, exec, s[0:1]
	global_store_short_d16_hi v[10:11], v7, off offset:192
.LBB185_357:
	s_endpgm
.LBB185_358:
	v_mov_b32_e32 v7, 0xf0
	v_lshl_add_u32 v7, v1, 2, v7
	ds_read_b32 v7, v7
	s_waitcnt lgkmcnt(0)
	v_add_f32_e32 v8, v8, v7
	s_or_b64 exec, exec, s[4:5]
	s_and_saveexec_b64 s[4:5], s[0:1]
	s_cbranch_execz .LBB185_319
.LBB185_359:
	v_mov_b32_e32 v7, 0xf0
	v_lshl_add_u32 v7, v1, 2, v7
	ds_read_b32 v7, v7 offset:64
	s_waitcnt lgkmcnt(0)
	v_add_f32_e32 v9, v9, v7
	s_or_b64 exec, exec, s[4:5]
	s_and_saveexec_b64 s[4:5], s[0:1]
	s_cbranch_execz .LBB185_320
.LBB185_360:
	v_mov_b32_e32 v7, 0xf0
	v_lshl_add_u32 v7, v1, 2, v7
	ds_read_b32 v7, v7 offset:128
	s_waitcnt lgkmcnt(0)
	v_add_f32_e32 v4, v4, v7
	s_or_b64 exec, exec, s[4:5]
	s_and_saveexec_b64 s[4:5], s[0:1]
	s_cbranch_execz .LBB185_321
.LBB185_361:
	v_mov_b32_e32 v7, 0xf0
	v_lshl_add_u32 v7, v1, 2, v7
	ds_read_b32 v7, v7 offset:192
	s_waitcnt lgkmcnt(0)
	v_add_f32_e32 v5, v5, v7
	s_or_b64 exec, exec, s[4:5]
	s_and_saveexec_b64 s[4:5], s[0:1]
	s_cbranch_execz .LBB185_322
.LBB185_362:
	v_mov_b32_e32 v7, 0xf0
	v_lshl_add_u32 v7, v1, 2, v7
	ds_read_b32 v7, v7 offset:256
	s_waitcnt lgkmcnt(0)
	v_add_f32_e32 v2, v2, v7
	s_or_b64 exec, exec, s[4:5]
	s_and_saveexec_b64 s[4:5], s[0:1]
	s_cbranch_execz .LBB185_323
.LBB185_363:
	v_mov_b32_e32 v7, 0xf0
	v_lshl_add_u32 v7, v1, 2, v7
	ds_read_b32 v7, v7 offset:320
	s_waitcnt lgkmcnt(0)
	v_add_f32_e32 v3, v3, v7
	s_or_b64 exec, exec, s[4:5]
	s_and_saveexec_b64 s[4:5], s[0:1]
	s_cbranch_execnz .LBB185_324
	s_branch .LBB185_325
	.section	.rodata,"a",@progbits
	.p2align	6, 0x0
	.amdhsa_kernel _ZN4vllm25paged_attention_v2_kernelI14__hip_bfloat16S1_Li112ELi32ELi128ELNS_18Fp8KVCacheDataTypeE0ELb0ELi512EEEvPfS3_PT_PKS4_PKT0_SA_ifPKiSC_iPKfiiiSE_SE_iiiii
		.amdhsa_group_segment_fixed_size 240
		.amdhsa_private_segment_fixed_size 0
		.amdhsa_kernarg_size 400
		.amdhsa_user_sgpr_count 6
		.amdhsa_user_sgpr_private_segment_buffer 1
		.amdhsa_user_sgpr_dispatch_ptr 0
		.amdhsa_user_sgpr_queue_ptr 0
		.amdhsa_user_sgpr_kernarg_segment_ptr 1
		.amdhsa_user_sgpr_dispatch_id 0
		.amdhsa_user_sgpr_flat_scratch_init 0
		.amdhsa_user_sgpr_kernarg_preload_length 0
		.amdhsa_user_sgpr_kernarg_preload_offset 0
		.amdhsa_user_sgpr_private_segment_size 0
		.amdhsa_uses_dynamic_stack 0
		.amdhsa_system_sgpr_private_segment_wavefront_offset 0
		.amdhsa_system_sgpr_workgroup_id_x 1
		.amdhsa_system_sgpr_workgroup_id_y 1
		.amdhsa_system_sgpr_workgroup_id_z 1
		.amdhsa_system_sgpr_workgroup_info 0
		.amdhsa_system_vgpr_workitem_id 0
		.amdhsa_next_free_vgpr 104
		.amdhsa_next_free_sgpr 43
		.amdhsa_accum_offset 104
		.amdhsa_reserve_vcc 1
		.amdhsa_reserve_flat_scratch 0
		.amdhsa_float_round_mode_32 0
		.amdhsa_float_round_mode_16_64 0
		.amdhsa_float_denorm_mode_32 3
		.amdhsa_float_denorm_mode_16_64 3
		.amdhsa_dx10_clamp 1
		.amdhsa_ieee_mode 1
		.amdhsa_fp16_overflow 0
		.amdhsa_tg_split 0
		.amdhsa_exception_fp_ieee_invalid_op 0
		.amdhsa_exception_fp_denorm_src 0
		.amdhsa_exception_fp_ieee_div_zero 0
		.amdhsa_exception_fp_ieee_overflow 0
		.amdhsa_exception_fp_ieee_underflow 0
		.amdhsa_exception_fp_ieee_inexact 0
		.amdhsa_exception_int_div_zero 0
	.end_amdhsa_kernel
	.section	.text._ZN4vllm25paged_attention_v2_kernelI14__hip_bfloat16S1_Li112ELi32ELi128ELNS_18Fp8KVCacheDataTypeE0ELb0ELi512EEEvPfS3_PT_PKS4_PKT0_SA_ifPKiSC_iPKfiiiSE_SE_iiiii,"axG",@progbits,_ZN4vllm25paged_attention_v2_kernelI14__hip_bfloat16S1_Li112ELi32ELi128ELNS_18Fp8KVCacheDataTypeE0ELb0ELi512EEEvPfS3_PT_PKS4_PKT0_SA_ifPKiSC_iPKfiiiSE_SE_iiiii,comdat
.Lfunc_end185:
	.size	_ZN4vllm25paged_attention_v2_kernelI14__hip_bfloat16S1_Li112ELi32ELi128ELNS_18Fp8KVCacheDataTypeE0ELb0ELi512EEEvPfS3_PT_PKS4_PKT0_SA_ifPKiSC_iPKfiiiSE_SE_iiiii, .Lfunc_end185-_ZN4vllm25paged_attention_v2_kernelI14__hip_bfloat16S1_Li112ELi32ELi128ELNS_18Fp8KVCacheDataTypeE0ELb0ELi512EEEvPfS3_PT_PKS4_PKT0_SA_ifPKiSC_iPKfiiiSE_SE_iiiii
                                        ; -- End function
	.section	.AMDGPU.csdata,"",@progbits
; Kernel info:
; codeLenInByte = 12380
; NumSgprs: 47
; NumVgprs: 104
; NumAgprs: 0
; TotalNumVgprs: 104
; ScratchSize: 0
; MemoryBound: 0
; FloatMode: 240
; IeeeMode: 1
; LDSByteSize: 240 bytes/workgroup (compile time only)
; SGPRBlocks: 5
; VGPRBlocks: 12
; NumSGPRsForWavesPerEU: 47
; NumVGPRsForWavesPerEU: 104
; AccumOffset: 104
; Occupancy: 4
; WaveLimiterHint : 1
; COMPUTE_PGM_RSRC2:SCRATCH_EN: 0
; COMPUTE_PGM_RSRC2:USER_SGPR: 6
; COMPUTE_PGM_RSRC2:TRAP_HANDLER: 0
; COMPUTE_PGM_RSRC2:TGID_X_EN: 1
; COMPUTE_PGM_RSRC2:TGID_Y_EN: 1
; COMPUTE_PGM_RSRC2:TGID_Z_EN: 1
; COMPUTE_PGM_RSRC2:TIDIG_COMP_CNT: 0
; COMPUTE_PGM_RSRC3_GFX90A:ACCUM_OFFSET: 25
; COMPUTE_PGM_RSRC3_GFX90A:TG_SPLIT: 0
	.section	.text._ZN4vllm25paged_attention_v2_kernelI14__hip_bfloat16S1_Li120ELi32ELi128ELNS_18Fp8KVCacheDataTypeE0ELb0ELi512EEEvPfS3_PT_PKS4_PKT0_SA_ifPKiSC_iPKfiiiSE_SE_iiiii,"axG",@progbits,_ZN4vllm25paged_attention_v2_kernelI14__hip_bfloat16S1_Li120ELi32ELi128ELNS_18Fp8KVCacheDataTypeE0ELb0ELi512EEEvPfS3_PT_PKS4_PKT0_SA_ifPKiSC_iPKfiiiSE_SE_iiiii,comdat
	.protected	_ZN4vllm25paged_attention_v2_kernelI14__hip_bfloat16S1_Li120ELi32ELi128ELNS_18Fp8KVCacheDataTypeE0ELb0ELi512EEEvPfS3_PT_PKS4_PKT0_SA_ifPKiSC_iPKfiiiSE_SE_iiiii ; -- Begin function _ZN4vllm25paged_attention_v2_kernelI14__hip_bfloat16S1_Li120ELi32ELi128ELNS_18Fp8KVCacheDataTypeE0ELb0ELi512EEEvPfS3_PT_PKS4_PKT0_SA_ifPKiSC_iPKfiiiSE_SE_iiiii
	.globl	_ZN4vllm25paged_attention_v2_kernelI14__hip_bfloat16S1_Li120ELi32ELi128ELNS_18Fp8KVCacheDataTypeE0ELb0ELi512EEEvPfS3_PT_PKS4_PKT0_SA_ifPKiSC_iPKfiiiSE_SE_iiiii
	.p2align	8
	.type	_ZN4vllm25paged_attention_v2_kernelI14__hip_bfloat16S1_Li120ELi32ELi128ELNS_18Fp8KVCacheDataTypeE0ELb0ELi512EEEvPfS3_PT_PKS4_PKT0_SA_ifPKiSC_iPKfiiiSE_SE_iiiii,@function
_ZN4vllm25paged_attention_v2_kernelI14__hip_bfloat16S1_Li120ELi32ELi128ELNS_18Fp8KVCacheDataTypeE0ELb0ELi512EEEvPfS3_PT_PKS4_PKT0_SA_ifPKiSC_iPKfiiiSE_SE_iiiii: ; @_ZN4vllm25paged_attention_v2_kernelI14__hip_bfloat16S1_Li120ELi32ELi128ELNS_18Fp8KVCacheDataTypeE0ELb0ELi512EEEvPfS3_PT_PKS4_PKT0_SA_ifPKiSC_iPKfiiiSE_SE_iiiii
; %bb.0:
	s_load_dwordx2 s[0:1], s[4:5], 0x40
	s_mov_b32 s24, s7
	s_ashr_i32 s25, s7, 31
	s_lshl_b64 s[2:3], s[24:25], 2
	s_waitcnt lgkmcnt(0)
	s_add_u32 s0, s0, s2
	s_addc_u32 s1, s1, s3
	s_load_dword s25, s[0:1], 0x0
	s_lshl_b32 s40, s8, 9
	s_waitcnt lgkmcnt(0)
	s_cmp_ge_i32 s40, s25
	s_cbranch_scc1 .LBB186_404
; %bb.1:
	s_load_dword s9, s[4:5], 0x90
	s_load_dwordx2 s[10:11], s[4:5], 0x30
	s_waitcnt lgkmcnt(0)
	s_abs_i32 s2, s9
	s_abs_i32 s0, s10
	v_cvt_f32_u32_e32 v1, s0
	s_sub_i32 s3, 0, s0
	s_xor_b32 s1, s9, s10
	s_ashr_i32 s1, s1, 31
	v_rcp_iflag_f32_e32 v1, v1
	v_mul_f32_e32 v1, 0x4f7ffffe, v1
	v_cvt_u32_f32_e32 v1, v1
	v_readfirstlane_b32 s7, v1
	s_mul_i32 s3, s3, s7
	s_mul_hi_u32 s3, s7, s3
	s_add_i32 s7, s7, s3
	s_mul_hi_u32 s3, s2, s7
	s_mul_i32 s7, s3, s0
	s_sub_i32 s2, s2, s7
	s_add_i32 s10, s3, 1
	s_sub_i32 s7, s2, s0
	s_cmp_ge_u32 s2, s0
	s_cselect_b32 s3, s10, s3
	s_cselect_b32 s2, s7, s2
	s_add_i32 s7, s3, 1
	s_cmp_ge_u32 s2, s0
	s_cselect_b32 s0, s7, s3
	s_xor_b32 s0, s0, s1
	s_sub_i32 s12, s0, s1
	s_abs_i32 s2, s12
	v_cvt_f32_u32_e32 v1, s2
	s_load_dwordx2 s[0:1], s[4:5], 0x50
	s_sub_i32 s7, 0, s2
	s_abs_i32 s3, s6
	v_rcp_iflag_f32_e32 v1, v1
	s_mov_b32 s10, 0
	v_mul_f32_e32 v1, 0x4f7ffffe, v1
	v_cvt_u32_f32_e32 v1, v1
	v_readfirstlane_b32 s13, v1
	s_mul_i32 s7, s7, s13
	s_mul_hi_u32 s7, s13, s7
	s_add_i32 s13, s13, s7
	s_waitcnt lgkmcnt(0)
	s_cmp_eq_u64 s[0:1], 0
	s_mul_hi_u32 s16, s3, s13
	s_cbranch_scc1 .LBB186_3
; %bb.2:
	s_ashr_i32 s7, s6, 31
	s_lshl_b64 s[14:15], s[6:7], 2
	s_add_u32 s0, s0, s14
	s_addc_u32 s1, s1, s15
	s_load_dword s10, s[0:1], 0x0
.LBB186_3:
	s_ashr_i32 s18, s12, 31
	s_load_dwordx4 s[12:15], s[4:5], 0x58
	s_ashr_i32 s17, s6, 31
	v_and_b32_e32 v4, 1, v0
	s_movk_i32 s7, 0x78
	s_mul_i32 s20, s6, 0x78
	v_cmp_gt_u32_e32 vcc, 30, v0
	v_lshlrev_b32_e32 v28, 3, v0
	s_and_saveexec_b64 s[0:1], vcc
	s_cbranch_execz .LBB186_5
; %bb.4:
	s_load_dwordx2 s[22:23], s[4:5], 0x18
	s_waitcnt lgkmcnt(0)
	s_mul_i32 s26, s24, s12
	s_ashr_i32 s27, s26, 31
	s_lshl_b64 s[26:27], s[26:27], 1
	v_lshlrev_b32_e32 v1, 2, v0
	s_add_u32 s12, s22, s26
	s_addc_u32 s15, s23, s27
	s_ashr_i32 s21, s20, 31
	s_lshl_b64 s[22:23], s[20:21], 1
	s_add_u32 s22, s12, s22
	s_addc_u32 s23, s15, s23
	global_load_dwordx2 v[2:3], v28, s[22:23]
	v_and_b32_e32 v1, 0xff8, v1
	v_mad_u32_u24 v1, v4, s7, v1
	s_waitcnt vmcnt(0)
	ds_write_b64 v1, v[2:3]
.LBB186_5:
	s_or_b64 exec, exec, s[0:1]
	s_add_i32 s0, s25, 31
	s_ashr_i32 s1, s0, 31
	s_lshr_b32 s1, s1, 27
	s_add_i32 s0, s0, s1
	s_lshl_b32 s7, s8, 4
	s_mul_i32 s1, s16, s2
	s_waitcnt lgkmcnt(0)
	s_ashr_i32 s12, s0, 5
	s_add_i32 s0, s7, 16
	s_sub_i32 s1, s3, s1
	s_min_i32 s33, s0, s12
	s_xor_b32 s0, s17, s18
	s_add_i32 s3, s16, 1
	s_sub_i32 s15, s1, s2
	s_cmp_ge_u32 s1, s2
	s_cselect_b32 s3, s3, s16
	s_cselect_b32 s1, s15, s1
	s_add_i32 s15, s3, 1
	s_cmp_ge_u32 s1, s2
	s_load_dwordx2 s[26:27], s[4:5], 0x38
	s_load_dword s2, s[4:5], 0x48
	v_lshrrev_b32_e32 v29, 6, v0
	s_cselect_b32 s1, s15, s3
	s_xor_b32 s1, s1, s0
	v_or_b32_e32 v10, s7, v29
	s_waitcnt lgkmcnt(0)
	s_mul_i32 s28, s24, s2
	s_sub_i32 s15, s1, s0
	s_ashr_i32 s29, s28, 31
	v_cmp_gt_i32_e64 s[0:1], s33, v10
	v_cmp_le_i32_e32 vcc, s33, v10
	v_mbcnt_lo_u32_b32 v5, -1, 0
	s_barrier
	s_waitcnt lgkmcnt(0)
                                        ; implicit-def: $sgpr36
                                        ; implicit-def: $vgpr30
                                        ; implicit-def: $vgpr40
	s_and_saveexec_b64 s[2:3], vcc
	s_xor_b64 s[2:3], exec, s[2:3]
; %bb.6:
	v_mbcnt_hi_u32_b32 v30, -1, v5
	v_and_b32_e32 v1, 64, v30
	v_add_u32_e32 v40, 64, v1
	s_mov_b32 s36, 0xff7fffff
                                        ; implicit-def: $vgpr4
                                        ; implicit-def: $vgpr5
; %bb.7:
	s_or_saveexec_b64 s[34:35], s[2:3]
	s_load_dwordx4 s[16:19], s[4:5], 0x0
	s_load_dwordx2 s[22:23], s[4:5], 0x10
	s_load_dwordx2 s[30:31], s[4:5], 0x28
	s_load_dword s21, s[4:5], 0x98
	v_mov_b32_e32 v88, s36
	s_mul_i32 s14, s15, s14
	v_ashrrev_i32_e32 v11, 31, v10
	s_xor_b64 exec, exec, s[34:35]
	s_cbranch_execz .LBB186_13
; %bb.8:
	v_mul_u32_u24_e32 v2, 0x78, v4
	ds_read2_b64 v[6:9], v2 offset1:1
	ds_read2_b64 v[12:15], v2 offset0:2 offset1:3
	s_load_dwordx2 s[2:3], s[4:5], 0x20
	s_ashr_i32 s15, s14, 31
	s_lshl_b64 s[4:5], s[14:15], 1
	s_waitcnt lgkmcnt(0)
	v_lshlrev_b32_e32 v1, 16, v6
	v_and_b32_e32 v31, 0xffff0000, v6
	v_lshlrev_b32_e32 v32, 16, v7
	v_and_b32_e32 v33, 0xffff0000, v7
	;; [unrolled: 2-line block ×4, first 2 shown]
	ds_read2_b64 v[6:9], v2 offset0:4 offset1:5
	v_lshlrev_b32_e32 v38, 16, v12
	v_and_b32_e32 v39, 0xffff0000, v12
	v_lshlrev_b32_e32 v41, 16, v13
	v_and_b32_e32 v42, 0xffff0000, v13
	v_lshlrev_b32_e32 v43, 16, v14
	v_and_b32_e32 v44, 0xffff0000, v14
	v_lshlrev_b32_e32 v45, 16, v15
	v_and_b32_e32 v46, 0xffff0000, v15
	ds_read2_b64 v[12:15], v2 offset0:6 offset1:7
	s_waitcnt lgkmcnt(1)
	v_lshlrev_b32_e32 v47, 16, v6
	v_and_b32_e32 v48, 0xffff0000, v6
	v_lshlrev_b32_e32 v49, 16, v7
	v_and_b32_e32 v50, 0xffff0000, v7
	v_lshlrev_b32_e32 v51, 16, v8
	v_and_b32_e32 v52, 0xffff0000, v8
	v_lshlrev_b32_e32 v53, 16, v9
	v_and_b32_e32 v54, 0xffff0000, v9
	ds_read2_b64 v[6:9], v2 offset0:8 offset1:9
	s_waitcnt lgkmcnt(1)
	;; [unrolled: 10-line block ×3, first 2 shown]
	v_lshlrev_b32_e32 v63, 16, v6
	v_and_b32_e32 v64, 0xffff0000, v6
	v_lshlrev_b32_e32 v65, 16, v7
	v_and_b32_e32 v66, 0xffff0000, v7
	;; [unrolled: 2-line block ×4, first 2 shown]
	ds_read2_b64 v[6:9], v2 offset0:12 offset1:13
	s_add_u32 s4, s2, s4
	s_addc_u32 s5, s3, s5
	s_sub_i32 s15, 1, s25
	s_lshl_b64 s[2:3], s[28:29], 2
	s_add_u32 s2, s26, s2
	s_waitcnt lgkmcnt(1)
	v_lshlrev_b32_e32 v71, 16, v12
	v_and_b32_e32 v72, 0xffff0000, v12
	v_lshlrev_b32_e32 v73, 16, v13
	v_and_b32_e32 v74, 0xffff0000, v13
	ds_read_b64 v[12:13], v2 offset:112
	s_addc_u32 s3, s27, s3
	v_lshlrev_b64 v[2:3], 2, v[10:11]
	s_waitcnt lgkmcnt(1)
	v_lshlrev_b32_e32 v79, 16, v6
	v_and_b32_e32 v80, 0xffff0000, v6
	v_mov_b32_e32 v6, s3
	v_add_co_u32_e32 v2, vcc, s2, v2
	v_addc_co_u32_e32 v3, vcc, v6, v3, vcc
	v_cmp_eq_u32_e32 vcc, 0, v4
	v_bfe_u32 v4, v0, 1, 5
	v_lshlrev_b32_e32 v6, 4, v4
	v_lshlrev_b32_e32 v81, 16, v7
	v_and_b32_e32 v82, 0xffff0000, v7
	v_mov_b32_e32 v7, s5
	v_add_co_u32_e64 v6, s[2:3], s4, v6
	v_lshlrev_b32_e32 v83, 16, v8
	v_and_b32_e32 v84, 0xffff0000, v8
	v_addc_co_u32_e64 v7, s[2:3], 0, v7, s[2:3]
	v_and_b32_e32 v8, 8, v28
	v_mbcnt_hi_u32_b32 v30, -1, v5
	v_add_co_u32_e64 v92, s[2:3], v6, v8
	v_and_b32_e32 v5, 64, v30
	v_addc_co_u32_e64 v93, s[2:3], 0, v7, s[2:3]
	v_add_u32_e32 v40, 64, v5
	v_xor_b32_e32 v5, 1, v30
	v_cmp_lt_i32_e64 s[2:3], v5, v40
	v_cndmask_b32_e64 v5, v30, v5, s[2:3]
	v_lshlrev_b32_e32 v94, 2, v5
	v_lshlrev_b32_e32 v5, 5, v29
	v_add3_u32 v95, s40, v5, v4
	v_lshlrev_b32_e32 v4, 2, v4
	v_lshl_or_b32 v4, v29, 7, v4
	v_lshlrev_b32_e32 v75, 16, v14
	v_and_b32_e32 v76, 0xffff0000, v14
	v_lshlrev_b32_e32 v77, 16, v15
	v_and_b32_e32 v78, 0xffff0000, v15
	;; [unrolled: 2-line block ×3, first 2 shown]
	s_waitcnt lgkmcnt(0)
	v_lshlrev_b32_e32 v87, 16, v12
	v_and_b32_e32 v89, 0xffff0000, v12
	v_lshlrev_b32_e32 v90, 16, v13
	v_and_b32_e32 v91, 0xffff0000, v13
	s_mov_b32 s41, s13
	v_cmp_neq_f32_e64 s[2:3], s10, 0
	v_add_u32_e32 v96, 0x100, v4
	s_mov_b64 s[36:37], 0
	s_movk_i32 s42, 0x1000
	v_mov_b32_e32 v88, 0xff7fffff
	v_mov_b32_e32 v97, v10
	s_branch .LBB186_10
.LBB186_9:                              ;   in Loop: Header=BB186_10 Depth=1
	s_or_b64 exec, exec, s[38:39]
	v_add_u32_e32 v97, 2, v97
	v_cmp_le_i32_e64 s[4:5], s33, v97
	s_or_b64 s[36:37], s[4:5], s[36:37]
	v_add_co_u32_e64 v2, s[4:5], 8, v2
	v_add_u32_e32 v95, 64, v95
	v_add_u32_e32 v96, 0x100, v96
	v_addc_co_u32_e64 v3, s[4:5], 0, v3, s[4:5]
	s_andn2_b64 exec, exec, s[36:37]
	s_cbranch_execz .LBB186_12
.LBB186_10:                             ; =>This Inner Loop Header: Depth=1
	global_load_dword v4, v[2:3], off
	s_waitcnt vmcnt(0) lgkmcnt(0)
	v_mad_i64_i32 v[4:5], s[4:5], v4, s41, 0
	v_lshlrev_b64 v[4:5], 1, v[4:5]
	v_add_co_u32_e64 v4, s[4:5], v92, v4
	v_addc_co_u32_e64 v5, s[4:5], v93, v5, s[4:5]
	global_load_dwordx2 v[98:99], v[4:5], off
	global_load_dwordx2 v[100:101], v[4:5], off offset:512
	global_load_dwordx2 v[102:103], v[4:5], off offset:1024
	;; [unrolled: 1-line block ×7, first 2 shown]
	v_add_co_u32_e64 v4, s[4:5], s42, v4
	v_addc_co_u32_e64 v5, s[4:5], 0, v5, s[4:5]
	global_load_dwordx2 v[18:19], v[4:5], off
	global_load_dwordx2 v[16:17], v[4:5], off offset:512
	global_load_dwordx2 v[14:15], v[4:5], off offset:1024
	;; [unrolled: 1-line block ×5, first 2 shown]
	s_nop 0
	global_load_dwordx2 v[4:5], v[4:5], off offset:3072
	s_waitcnt vmcnt(14)
	v_lshlrev_b32_e32 v106, 16, v98
	v_and_b32_e32 v107, 0xffff0000, v98
	v_lshlrev_b32_e32 v108, 16, v99
	v_and_b32_e32 v109, 0xffff0000, v99
	s_waitcnt vmcnt(13)
	v_lshlrev_b32_e32 v98, 16, v100
	v_and_b32_e32 v99, 0xffff0000, v100
	v_mul_f32_e32 v98, v34, v98
	v_mul_f32_e32 v99, v35, v99
	v_lshlrev_b32_e32 v100, 16, v101
	v_fmac_f32_e32 v98, v1, v106
	v_fmac_f32_e32 v99, v31, v107
	v_and_b32_e32 v101, 0xffff0000, v101
	v_mul_f32_e32 v100, v36, v100
	s_waitcnt vmcnt(12)
	v_lshlrev_b32_e32 v106, 16, v102
	v_and_b32_e32 v102, 0xffff0000, v102
	v_fmac_f32_e32 v100, v32, v108
	v_mul_f32_e32 v101, v37, v101
	v_fmac_f32_e32 v99, v39, v102
	v_lshlrev_b32_e32 v102, 16, v103
	v_fmac_f32_e32 v101, v33, v109
	v_fmac_f32_e32 v98, v38, v106
	v_and_b32_e32 v103, 0xffff0000, v103
	v_fmac_f32_e32 v100, v41, v102
	s_waitcnt vmcnt(11)
	v_lshlrev_b32_e32 v102, 16, v104
	v_fmac_f32_e32 v101, v42, v103
	v_and_b32_e32 v103, 0xffff0000, v104
	v_fmac_f32_e32 v98, v43, v102
	v_lshlrev_b32_e32 v102, 16, v105
	v_fmac_f32_e32 v99, v44, v103
	v_fmac_f32_e32 v100, v45, v102
	s_waitcnt vmcnt(10)
	v_lshlrev_b32_e32 v102, 16, v26
	v_and_b32_e32 v26, 0xffff0000, v26
	v_fmac_f32_e32 v99, v48, v26
	v_lshlrev_b32_e32 v26, 16, v27
	v_fmac_f32_e32 v100, v49, v26
	s_waitcnt vmcnt(9)
	v_lshlrev_b32_e32 v26, 16, v24
	v_and_b32_e32 v24, 0xffff0000, v24
	v_fmac_f32_e32 v99, v52, v24
	v_lshlrev_b32_e32 v24, 16, v25
	;; [unrolled: 6-line block ×5, first 2 shown]
	v_fmac_f32_e32 v100, v65, v18
	s_waitcnt vmcnt(5)
	v_lshlrev_b32_e32 v18, 16, v16
	v_and_b32_e32 v16, 0xffff0000, v16
	v_and_b32_e32 v103, 0xffff0000, v105
	v_fmac_f32_e32 v98, v47, v102
	v_fmac_f32_e32 v99, v68, v16
	v_lshlrev_b32_e32 v16, 16, v17
	v_fmac_f32_e32 v101, v46, v103
	v_and_b32_e32 v27, 0xffff0000, v27
	v_fmac_f32_e32 v98, v51, v26
	v_fmac_f32_e32 v100, v69, v16
	s_waitcnt vmcnt(4)
	v_lshlrev_b32_e32 v16, 16, v14
	v_and_b32_e32 v14, 0xffff0000, v14
	v_fmac_f32_e32 v101, v50, v27
	v_and_b32_e32 v25, 0xffff0000, v25
	v_fmac_f32_e32 v98, v55, v24
	v_fmac_f32_e32 v99, v72, v14
	v_lshlrev_b32_e32 v14, 16, v15
	v_fmac_f32_e32 v101, v54, v25
	v_and_b32_e32 v23, 0xffff0000, v23
	v_fmac_f32_e32 v98, v59, v22
	v_fmac_f32_e32 v100, v73, v14
	s_waitcnt vmcnt(3)
	v_lshlrev_b32_e32 v14, 16, v12
	v_and_b32_e32 v12, 0xffff0000, v12
	v_fmac_f32_e32 v101, v58, v23
	;; [unrolled: 12-line block ×5, first 2 shown]
	v_and_b32_e32 v7, 0xffff0000, v7
	v_fmac_f32_e32 v98, v87, v6
	v_fmac_f32_e32 v99, v89, v4
	v_lshlrev_b32_e32 v4, 16, v5
	v_fmac_f32_e32 v101, v86, v7
	v_and_b32_e32 v5, 0xffff0000, v5
	v_fmac_f32_e32 v100, v90, v4
	v_add_f32_e32 v4, v98, v99
	v_fmac_f32_e32 v101, v91, v5
	v_add_f32_e32 v4, v4, v100
	v_add_f32_e32 v4, v101, v4
	ds_bpermute_b32 v5, v94, v4
	s_and_saveexec_b64 s[38:39], vcc
	s_cbranch_execz .LBB186_9
; %bb.11:                               ;   in Loop: Header=BB186_10 Depth=1
	v_add_u32_e32 v6, s15, v95
	v_cvt_f32_i32_e32 v6, v6
	s_waitcnt lgkmcnt(0)
	v_add_f32_e32 v4, v4, v5
	v_cmp_gt_i32_e64 s[4:5], s25, v95
	v_max_f32_e32 v5, v88, v88
	v_mul_f32_e32 v6, s10, v6
	v_cndmask_b32_e64 v6, 0, v6, s[2:3]
	v_fmac_f32_e32 v6, s11, v4
	v_cndmask_b32_e64 v4, 0, v6, s[4:5]
	ds_write_b32 v96, v4
	v_max_f32_e32 v4, v5, v6
	v_cndmask_b32_e64 v88, v88, v4, s[4:5]
	s_branch .LBB186_9
.LBB186_12:
	s_or_b64 exec, exec, s[36:37]
.LBB186_13:
	s_or_b64 exec, exec, s[34:35]
	v_xor_b32_e32 v1, 32, v30
	v_cmp_lt_i32_e32 vcc, v1, v40
	v_cndmask_b32_e32 v1, v30, v1, vcc
	v_lshlrev_b32_e32 v2, 2, v1
	ds_bpermute_b32 v1, v2, v88
	v_xor_b32_e32 v4, 16, v30
	v_max_f32_e32 v3, v88, v88
	v_cmp_lt_i32_e32 vcc, v4, v40
	s_waitcnt lgkmcnt(0)
	v_xor_b32_e32 v5, 8, v30
	v_max_f32_e32 v1, v1, v1
	v_max_f32_e32 v1, v3, v1
	v_cndmask_b32_e32 v3, v30, v4, vcc
	v_lshlrev_b32_e32 v3, 2, v3
	ds_bpermute_b32 v4, v3, v1
	v_cmp_lt_i32_e32 vcc, v5, v40
	v_xor_b32_e32 v8, 2, v30
	s_waitcnt lgkmcnt(0)
	v_max_f32_e32 v4, v4, v4
	v_max_f32_e32 v1, v1, v4
	v_cndmask_b32_e32 v4, v30, v5, vcc
	v_lshlrev_b32_e32 v6, 2, v4
	ds_bpermute_b32 v4, v6, v1
	v_xor_b32_e32 v5, 4, v30
	v_cmp_lt_i32_e32 vcc, v5, v40
	s_waitcnt lgkmcnt(0)
	v_max_f32_e32 v4, v4, v4
	v_max_f32_e32 v1, v1, v4
	v_cndmask_b32_e32 v4, v30, v5, vcc
	v_lshlrev_b32_e32 v7, 2, v4
	ds_bpermute_b32 v4, v7, v1
	v_cmp_lt_i32_e32 vcc, v8, v40
	s_waitcnt lgkmcnt(0)
	v_max_f32_e32 v4, v4, v4
	v_max_f32_e32 v5, v1, v4
	v_cndmask_b32_e32 v1, v30, v8, vcc
	v_lshlrev_b32_e32 v1, 2, v1
	ds_bpermute_b32 v9, v1, v5
	v_and_b32_e32 v4, 63, v0
	v_cmp_eq_u32_e32 vcc, 0, v4
	v_lshlrev_b32_e32 v8, 2, v29
	s_and_saveexec_b64 s[2:3], vcc
	s_cbranch_execz .LBB186_15
; %bb.14:
	s_waitcnt lgkmcnt(0)
	v_max_f32_e32 v9, v9, v9
	v_max_f32_e32 v5, v5, v5
	;; [unrolled: 1-line block ×3, first 2 shown]
	ds_write_b32 v8, v5 offset:240
.LBB186_15:
	s_or_b64 exec, exec, s[2:3]
	v_cmp_gt_u32_e64 s[2:3], 2, v4
	v_mov_b32_e32 v5, 0xff7fffff
	s_waitcnt lgkmcnt(0)
	v_lshlrev_b32_e32 v9, 2, v4
	s_barrier
	s_and_saveexec_b64 s[4:5], s[2:3]
	s_cbranch_execz .LBB186_17
; %bb.16:
	ds_read_b32 v5, v9 offset:240
.LBB186_17:
	s_or_b64 exec, exec, s[4:5]
	v_xor_b32_e32 v12, 1, v30
	v_cmp_lt_i32_e64 s[4:5], v12, v40
	v_cndmask_b32_e64 v12, v30, v12, s[4:5]
	v_lshlrev_b32_e32 v22, 2, v12
	s_waitcnt lgkmcnt(0)
	ds_bpermute_b32 v12, v22, v5
	v_max_f32_e32 v5, v5, v5
	s_sub_i32 s4, s33, s7
	s_lshl_b32 s4, s4, 5
	s_add_i32 s4, s4, s40
	s_waitcnt lgkmcnt(0)
	v_max_f32_e32 v12, v12, v12
	v_max_f32_e32 v5, v5, v12
	v_lshlrev_b32_e32 v12, 2, v30
	v_and_b32_e32 v12, 0xffffff00, v12
	ds_bpermute_b32 v5, v12, v5
	s_min_i32 s15, s4, s25
	s_sub_i32 s7, s15, s40
	v_cmp_gt_i32_e64 s[4:5], s7, v0
	v_mov_b32_e32 v13, 0
	s_and_saveexec_b64 s[34:35], s[4:5]
	s_cbranch_execz .LBB186_21
; %bb.18:
	v_mov_b32_e32 v13, 0x100
	v_lshl_add_u32 v14, v0, 2, v13
	s_mov_b64 s[36:37], 0
	v_mov_b32_e32 v13, 0
	v_mov_b32_e32 v15, v0
.LBB186_19:                             ; =>This Inner Loop Header: Depth=1
	ds_read_b32 v16, v14
	v_add_u32_e32 v15, 0x80, v15
	v_cmp_le_i32_e64 s[10:11], s7, v15
	s_or_b64 s[36:37], s[10:11], s[36:37]
	s_waitcnt lgkmcnt(0)
	v_sub_f32_e32 v16, v16, v5
	v_mul_f32_e32 v16, 0x3fb8aa3b, v16
	v_exp_f32_e32 v16, v16
	ds_write_b32 v14, v16
	v_add_f32_e32 v13, v13, v16
	v_add_u32_e32 v14, 0x200, v14
	s_andn2_b64 exec, exec, s[36:37]
	s_cbranch_execnz .LBB186_19
; %bb.20:
	s_or_b64 exec, exec, s[36:37]
.LBB186_21:
	s_or_b64 exec, exec, s[34:35]
	ds_bpermute_b32 v2, v2, v13
	s_waitcnt lgkmcnt(0)
	v_add_f32_e32 v2, v13, v2
	ds_bpermute_b32 v3, v3, v2
	s_waitcnt lgkmcnt(0)
	v_add_f32_e32 v2, v2, v3
	ds_bpermute_b32 v3, v6, v2
	s_waitcnt lgkmcnt(0)
	v_add_f32_e32 v2, v2, v3
	ds_bpermute_b32 v3, v7, v2
	s_waitcnt lgkmcnt(0)
	v_add_f32_e32 v2, v2, v3
	ds_bpermute_b32 v3, v1, v2
	s_waitcnt lgkmcnt(0)
	v_add_f32_e32 v2, v2, v3
	ds_bpermute_b32 v3, v22, v2
	s_waitcnt lgkmcnt(0)
	v_add_f32_e32 v2, v2, v3
	s_and_saveexec_b64 s[10:11], vcc
	s_cbranch_execz .LBB186_23
; %bb.22:
	ds_write_b32 v8, v2 offset:248
.LBB186_23:
	s_or_b64 exec, exec, s[10:11]
	s_waitcnt lgkmcnt(0)
	s_barrier
	s_and_saveexec_b64 s[10:11], s[2:3]
	s_cbranch_execz .LBB186_25
; %bb.24:
	ds_read_b32 v2, v9 offset:248
.LBB186_25:
	s_or_b64 exec, exec, s[10:11]
	s_waitcnt lgkmcnt(0)
	ds_bpermute_b32 v3, v22, v2
	s_waitcnt lgkmcnt(0)
	v_add_f32_e32 v2, v2, v3
	ds_bpermute_b32 v6, v12, v2
	s_and_saveexec_b64 s[2:3], s[4:5]
	s_cbranch_execz .LBB186_38
; %bb.26:
	s_waitcnt lgkmcnt(0)
	v_add_f32_e32 v2, 0x358637bd, v6
	v_div_scale_f32 v3, s[4:5], v2, v2, 1.0
	v_rcp_f32_e32 v7, v3
	v_div_scale_f32 v8, vcc, 1.0, v2, 1.0
	s_movk_i32 s4, 0x7f
	v_fma_f32 v9, -v3, v7, 1.0
	v_fmac_f32_e32 v7, v9, v7
	v_mul_f32_e32 v9, v8, v7
	v_fma_f32 v12, -v3, v9, v8
	v_fmac_f32_e32 v9, v12, v7
	v_fma_f32 v3, -v3, v9, v8
	v_div_fmas_f32 v3, v3, v7, v9
	v_div_fixup_f32 v2, v3, v2, 1.0
	v_xad_u32 v3, v0, -1, s15
	v_subrev_u32_e32 v7, s40, v3
	v_cmp_lt_u32_e32 vcc, s4, v7
	s_mov_b64 s[10:11], -1
	v_mov_b32_e32 v3, v0
	s_and_saveexec_b64 s[4:5], vcc
	s_cbranch_execz .LBB186_35
; %bb.27:
	v_lshrrev_b32_e32 v7, 7, v7
	v_add_u32_e32 v9, -1, v7
	v_lshrrev_b32_e32 v8, 1, v9
	v_mov_b32_e32 v3, v2
	v_add_u32_e32 v8, 1, v8
	v_cmp_lt_u32_e32 vcc, 13, v9
	v_mov_b32_e32 v13, 0
	s_and_saveexec_b64 s[10:11], vcc
	s_cbranch_execz .LBB186_31
; %bb.28:
	v_mov_b32_e32 v12, 0x100
	v_and_b32_e32 v9, -8, v8
	v_lshl_add_u32 v12, v0, 2, v12
	s_mov_b32 s15, 0
	s_mov_b64 s[34:35], 0
.LBB186_29:                             ; =>This Inner Loop Header: Depth=1
	ds_read2st64_b32 v[14:15], v12 offset1:2
	ds_read2st64_b32 v[16:17], v12 offset0:4 offset1:6
	ds_read2st64_b32 v[18:19], v12 offset0:8 offset1:10
	;; [unrolled: 1-line block ×3, first 2 shown]
	v_add_u32_e32 v9, -8, v9
	s_waitcnt lgkmcnt(3)
	v_pk_mul_f32 v[14:15], v[2:3], v[14:15]
	s_waitcnt lgkmcnt(2)
	v_pk_mul_f32 v[16:17], v[2:3], v[16:17]
	ds_write2st64_b32 v12, v14, v15 offset1:2
	ds_write2st64_b32 v12, v16, v17 offset0:4 offset1:6
	ds_read2st64_b32 v[16:17], v12 offset0:16 offset1:18
	s_waitcnt lgkmcnt(4)
	v_pk_mul_f32 v[14:15], v[2:3], v[18:19]
	ds_write2st64_b32 v12, v14, v15 offset0:8 offset1:10
	s_waitcnt lgkmcnt(4)
	v_pk_mul_f32 v[14:15], v[2:3], v[20:21]
	ds_write2st64_b32 v12, v14, v15 offset0:12 offset1:14
	ds_read2st64_b32 v[14:15], v12 offset0:20 offset1:22
	s_waitcnt lgkmcnt(3)
	v_pk_mul_f32 v[16:17], v[2:3], v[16:17]
	ds_read2st64_b32 v[18:19], v12 offset0:24 offset1:26
	ds_write2st64_b32 v12, v16, v17 offset0:16 offset1:18
	ds_read2st64_b32 v[16:17], v12 offset0:28 offset1:30
	s_waitcnt lgkmcnt(3)
	v_pk_mul_f32 v[14:15], v[2:3], v[14:15]
	ds_write2st64_b32 v12, v14, v15 offset0:20 offset1:22
	s_waitcnt lgkmcnt(3)
	v_pk_mul_f32 v[14:15], v[2:3], v[18:19]
	ds_write2st64_b32 v12, v14, v15 offset0:24 offset1:26
	s_waitcnt lgkmcnt(2)
	v_pk_mul_f32 v[14:15], v[2:3], v[16:17]
	s_add_i32 s15, s15, 16
	v_cmp_eq_u32_e32 vcc, 0, v9
	ds_write2st64_b32 v12, v14, v15 offset0:28 offset1:30
	v_add_u32_e32 v12, 0x2000, v12
	s_or_b64 s[34:35], vcc, s[34:35]
	v_mov_b32_e32 v13, s15
	s_andn2_b64 exec, exec, s[34:35]
	s_cbranch_execnz .LBB186_29
; %bb.30:
	s_or_b64 exec, exec, s[34:35]
.LBB186_31:
	s_or_b64 exec, exec, s[10:11]
	v_and_b32_e32 v8, 7, v8
	v_cmp_ne_u32_e32 vcc, 0, v8
	s_and_saveexec_b64 s[10:11], vcc
	s_cbranch_execz .LBB186_34
; %bb.32:
	v_lshlrev_b32_e32 v9, 9, v13
	v_lshlrev_b32_e32 v12, 2, v0
	s_movk_i32 s15, 0x100
	v_add3_u32 v9, v9, v12, s15
	s_mov_b64 s[34:35], 0
.LBB186_33:                             ; =>This Inner Loop Header: Depth=1
	ds_read2st64_b32 v[12:13], v9 offset1:2
	v_add_u32_e32 v8, -1, v8
	v_cmp_eq_u32_e32 vcc, 0, v8
	s_or_b64 s[34:35], vcc, s[34:35]
	s_waitcnt lgkmcnt(0)
	v_pk_mul_f32 v[12:13], v[2:3], v[12:13]
	ds_write2st64_b32 v9, v12, v13 offset1:2
	v_add_u32_e32 v9, 0x400, v9
	s_andn2_b64 exec, exec, s[34:35]
	s_cbranch_execnz .LBB186_33
.LBB186_34:
	s_or_b64 exec, exec, s[10:11]
	v_add_u32_e32 v7, 1, v7
	v_and_b32_e32 v8, 0x3fffffe, v7
	v_cmp_ne_u32_e32 vcc, v7, v8
	v_lshl_add_u32 v3, v8, 7, v0
	s_orn2_b64 s[10:11], vcc, exec
.LBB186_35:
	s_or_b64 exec, exec, s[4:5]
	s_and_b64 exec, exec, s[10:11]
	s_cbranch_execz .LBB186_38
; %bb.36:
	v_mov_b32_e32 v7, 0x100
	v_lshl_add_u32 v7, v3, 2, v7
	s_mov_b64 s[4:5], 0
.LBB186_37:                             ; =>This Inner Loop Header: Depth=1
	ds_read_b32 v8, v7
	v_add_u32_e32 v3, 0x80, v3
	v_cmp_le_i32_e32 vcc, s7, v3
	s_or_b64 s[4:5], vcc, s[4:5]
	s_waitcnt lgkmcnt(0)
	v_mul_f32_e32 v8, v2, v8
	ds_write_b32 v7, v8
	v_add_u32_e32 v7, 0x200, v7
	s_andn2_b64 exec, exec, s[4:5]
	s_cbranch_execnz .LBB186_37
.LBB186_38:
	s_or_b64 exec, exec, s[2:3]
	s_mul_i32 s2, s21, s24
	v_cmp_eq_u32_e32 vcc, 0, v0
	s_mul_i32 s4, s2, s9
	s_waitcnt lgkmcnt(0)
	s_barrier
	s_and_saveexec_b64 s[2:3], vcc
	s_cbranch_execz .LBB186_40
; %bb.39:
	s_ashr_i32 s5, s4, 31
	s_lshl_b64 s[10:11], s[4:5], 2
	s_add_u32 s5, s18, s10
	s_mul_i32 s6, s21, s6
	s_addc_u32 s9, s19, s11
	s_ashr_i32 s7, s6, 31
	s_lshl_b64 s[6:7], s[6:7], 2
	s_add_u32 s5, s5, s6
	s_addc_u32 s15, s9, s7
	s_ashr_i32 s9, s8, 31
	s_lshl_b64 s[18:19], s[8:9], 2
	s_add_u32 s34, s5, s18
	s_addc_u32 s35, s15, s19
	s_add_u32 s5, s16, s10
	s_addc_u32 s9, s17, s11
	;; [unrolled: 2-line block ×3, first 2 shown]
	s_add_u32 s6, s5, s18
	v_mov_b32_e32 v2, 0
	s_addc_u32 s7, s7, s19
	global_store_dword v2, v5, s[34:35]
	global_store_dword v2, v6, s[6:7]
.LBB186_40:
	s_or_b64 exec, exec, s[2:3]
	v_mov_b32_e32 v13, 0
	v_lshrrev_b32_e32 v24, 2, v4
	v_and_b32_e32 v23, 3, v0
	v_mov_b32_e32 v12, 0
	v_mov_b32_e32 v15, 0
	;; [unrolled: 1-line block ×7, first 2 shown]
	s_and_saveexec_b64 s[6:7], s[0:1]
	s_cbranch_execz .LBB186_350
; %bb.41:
	s_ashr_i32 s15, s14, 31
	s_lshl_b64 s[0:1], s[14:15], 1
	v_and_b32_e32 v3, 24, v28
	s_add_u32 s9, s30, s0
	v_or_b32_e32 v5, 0x70, v24
	s_movk_i32 s0, 0x78
	s_addc_u32 s14, s31, s1
	s_add_i32 s15, s12, -1
	v_cmp_gt_u32_e32 vcc, s0, v5
	v_lshl_or_b32 v12, v5, 5, v3
	v_lshl_add_u32 v5, v29, 5, s40
	s_lshl_b64 s[0:1], s[28:29], 2
	v_lshl_or_b32 v2, v24, 5, v3
	v_add3_u32 v26, v5, v3, 7
	v_lshlrev_b32_e32 v3, 5, v23
	s_add_u32 s0, s26, s0
	v_lshl_or_b32 v3, v29, 7, v3
	v_lshlrev_b64 v[14:15], 2, v[10:11]
	s_addc_u32 s1, s27, s1
	v_or_b32_e32 v4, 0x800, v2
	v_or_b32_e32 v6, 0xa00, v2
	;; [unrolled: 1-line block ×3, first 2 shown]
	v_add_u32_e32 v27, 0x100, v3
	v_mov_b32_e32 v3, s1
	v_add_co_u32_e64 v20, s[0:1], s0, v14
	s_mov_b32 s5, s13
	v_mov_b32_e32 v25, 0
	v_addc_co_u32_e64 v21, s[0:1], v3, v15, s[0:1]
	s_mov_b64 s[10:11], 0
	s_mov_b32 s16, 0x7f800000
	s_movk_i32 s17, 0x7fff
	v_lshlrev_b32_e32 v11, 1, v2
	v_lshlrev_b32_e32 v28, 1, v4
	v_lshlrev_b32_e32 v29, 1, v6
	v_lshlrev_b32_e32 v30, 1, v8
	v_lshlrev_b32_e32 v31, 1, v12
	v_mov_b32_e32 v18, 0
	v_mov_b32_e32 v19, 0
	;; [unrolled: 1-line block ×8, first 2 shown]
	s_branch .LBB186_44
.LBB186_42:                             ;   in Loop: Header=BB186_44 Depth=1
	s_or_b64 exec, exec, s[2:3]
	v_and_b32_e32 v39, 0xffff0000, v41
	v_and_b32_e32 v38, 0xffff0000, v38
	v_and_b32_e32 v3, 0xffff0000, v3
	v_and_b32_e32 v2, 0xffff0000, v2
	v_and_b32_e32 v43, 0xffff0000, v42
	v_and_b32_e32 v42, 0xffff0000, v40
	v_and_b32_e32 v5, 0xffff0000, v5
	v_and_b32_e32 v4, 0xffff0000, v4
	v_pk_add_f32 v[2:3], v[2:3], v[38:39]
	v_pk_add_f32 v[4:5], v[4:5], v[42:43]
	v_add_f32_e32 v2, v2, v3
	v_add_f32_e32 v2, v2, v4
	;; [unrolled: 1-line block ×4, first 2 shown]
.LBB186_43:                             ;   in Loop: Header=BB186_44 Depth=1
	s_or_b64 exec, exec, s[12:13]
	v_and_b32_e32 v2, 0xffff0000, v35
	v_and_b32_e32 v4, 0xffff0000, v34
	v_and_b32_e32 v35, 0xffff0000, v33
	v_and_b32_e32 v34, 0xffff0000, v9
	v_and_b32_e32 v9, 0xffff0000, v32
	v_and_b32_e32 v8, 0xffff0000, v8
	v_and_b32_e32 v3, 0xffff0000, v37
	v_and_b32_e32 v5, 0xffff0000, v36
	v_pk_add_f32 v[8:9], v[8:9], v[34:35]
	v_pk_add_f32 v[2:3], v[4:5], v[2:3]
	v_add_f32_e32 v4, v8, v9
	v_add_f32_e32 v2, v4, v2
	v_add_f32_e32 v2, v2, v3
	v_and_b32_e32 v9, 0xffff0000, v52
	v_and_b32_e32 v8, 0xffff0000, v50
	v_and_b32_e32 v33, 0xffff0000, v51
	v_and_b32_e32 v32, 0xffff0000, v49
	v_add_f32_e32 v18, v18, v2
	v_and_b32_e32 v3, 0xffff0000, v56
	v_and_b32_e32 v2, 0xffff0000, v54
	v_and_b32_e32 v5, 0xffff0000, v55
	v_and_b32_e32 v4, 0xffff0000, v53
	v_pk_add_f32 v[8:9], v[32:33], v[8:9]
	v_pk_add_f32 v[2:3], v[4:5], v[2:3]
	v_add_f32_e32 v4, v8, v9
	v_add_f32_e32 v2, v4, v2
	v_add_f32_e32 v2, v2, v3
	v_and_b32_e32 v9, 0xffff0000, v60
	v_and_b32_e32 v8, 0xffff0000, v58
	v_and_b32_e32 v33, 0xffff0000, v59
	v_and_b32_e32 v32, 0xffff0000, v57
	v_add_f32_e32 v19, v19, v2
	v_and_b32_e32 v3, 0xffff0000, v64
	v_and_b32_e32 v2, 0xffff0000, v62
	v_and_b32_e32 v5, 0xffff0000, v63
	v_and_b32_e32 v4, 0xffff0000, v61
	;; [unrolled: 14-line block ×6, first 2 shown]
	v_pk_add_f32 v[6:7], v[8:9], v[6:7]
	v_pk_add_f32 v[2:3], v[4:5], v[2:3]
	v_add_f32_e32 v4, v6, v7
	v_add_u32_e32 v10, 2, v10
	v_add_f32_e32 v2, v4, v2
	v_cmp_le_i32_e64 s[0:1], s33, v10
	v_add_f32_e32 v2, v2, v3
	s_or_b64 s[10:11], s[0:1], s[10:11]
	v_add_co_u32_e64 v20, s[0:1], 8, v20
	v_add_f32_e32 v12, v12, v2
	v_add_u32_e32 v26, 64, v26
	v_add_u32_e32 v27, 0x100, v27
	v_addc_co_u32_e64 v21, s[0:1], 0, v21, s[0:1]
	s_andn2_b64 exec, exec, s[10:11]
	s_cbranch_execz .LBB186_349
.LBB186_44:                             ; =>This Inner Loop Header: Depth=1
	global_load_dword v38, v[20:21], off
	ds_read2_b64 v[6:9], v27 offset1:1
	ds_read2_b64 v[2:5], v27 offset0:2 offset1:3
                                        ; implicit-def: $vgpr41
	s_waitcnt lgkmcnt(1)
	v_and_b32_e32 v32, 0x7f800000, v6
	v_cmp_ne_u32_e64 s[0:1], s16, v32
	s_and_saveexec_b64 s[2:3], s[0:1]
	s_xor_b64 s[0:1], exec, s[2:3]
; %bb.45:                               ;   in Loop: Header=BB186_44 Depth=1
	v_bfe_u32 v32, v6, 16, 1
	v_add3_u32 v41, v6, v32, s17
; %bb.46:                               ;   in Loop: Header=BB186_44 Depth=1
	s_andn2_saveexec_b64 s[2:3], s[0:1]
; %bb.47:                               ;   in Loop: Header=BB186_44 Depth=1
	v_or_b32_e32 v32, 0x10000, v6
	v_cmp_eq_u32_sdwa s[0:1], v6, v25 src0_sel:WORD_0 src1_sel:DWORD
	v_cndmask_b32_e64 v41, v32, v6, s[0:1]
; %bb.48:                               ;   in Loop: Header=BB186_44 Depth=1
	s_or_b64 exec, exec, s[2:3]
	v_and_b32_e32 v6, 0x7f800000, v7
	v_cmp_ne_u32_e64 s[0:1], s16, v6
                                        ; implicit-def: $vgpr42
	s_and_saveexec_b64 s[2:3], s[0:1]
	s_xor_b64 s[0:1], exec, s[2:3]
; %bb.49:                               ;   in Loop: Header=BB186_44 Depth=1
	v_bfe_u32 v6, v7, 16, 1
	v_add3_u32 v42, v7, v6, s17
; %bb.50:                               ;   in Loop: Header=BB186_44 Depth=1
	s_andn2_saveexec_b64 s[2:3], s[0:1]
; %bb.51:                               ;   in Loop: Header=BB186_44 Depth=1
	v_or_b32_e32 v6, 0x10000, v7
	v_cmp_eq_u32_sdwa s[0:1], v7, v25 src0_sel:WORD_0 src1_sel:DWORD
	v_cndmask_b32_e64 v42, v6, v7, s[0:1]
; %bb.52:                               ;   in Loop: Header=BB186_44 Depth=1
	s_or_b64 exec, exec, s[2:3]
	v_and_b32_e32 v6, 0x7f800000, v8
	v_cmp_ne_u32_e64 s[0:1], s16, v6
                                        ; implicit-def: $vgpr32
	s_and_saveexec_b64 s[2:3], s[0:1]
	s_xor_b64 s[0:1], exec, s[2:3]
; %bb.53:                               ;   in Loop: Header=BB186_44 Depth=1
	v_bfe_u32 v6, v8, 16, 1
	v_add3_u32 v32, v8, v6, s17
; %bb.54:                               ;   in Loop: Header=BB186_44 Depth=1
	s_andn2_saveexec_b64 s[2:3], s[0:1]
; %bb.55:                               ;   in Loop: Header=BB186_44 Depth=1
	v_or_b32_e32 v6, 0x10000, v8
	v_cmp_eq_u32_sdwa s[0:1], v8, v25 src0_sel:WORD_0 src1_sel:DWORD
	v_cndmask_b32_e64 v32, v6, v8, s[0:1]
; %bb.56:                               ;   in Loop: Header=BB186_44 Depth=1
	s_or_b64 exec, exec, s[2:3]
	v_and_b32_e32 v6, 0x7f800000, v9
	v_cmp_ne_u32_e64 s[0:1], s16, v6
                                        ; implicit-def: $vgpr33
	s_and_saveexec_b64 s[2:3], s[0:1]
	s_xor_b64 s[0:1], exec, s[2:3]
; %bb.57:                               ;   in Loop: Header=BB186_44 Depth=1
	v_bfe_u32 v6, v9, 16, 1
	v_add3_u32 v33, v9, v6, s17
                                        ; implicit-def: $vgpr6_vgpr7_vgpr8_vgpr9
; %bb.58:                               ;   in Loop: Header=BB186_44 Depth=1
	s_andn2_saveexec_b64 s[2:3], s[0:1]
; %bb.59:                               ;   in Loop: Header=BB186_44 Depth=1
	v_or_b32_e32 v6, 0x10000, v9
	v_cmp_eq_u32_sdwa s[0:1], v9, v25 src0_sel:WORD_0 src1_sel:DWORD
	v_cndmask_b32_e64 v33, v6, v9, s[0:1]
; %bb.60:                               ;   in Loop: Header=BB186_44 Depth=1
	s_or_b64 exec, exec, s[2:3]
	s_waitcnt lgkmcnt(0)
	v_and_b32_e32 v6, 0x7f800000, v2
	v_cmp_ne_u32_e64 s[0:1], s16, v6
                                        ; implicit-def: $vgpr34
	s_and_saveexec_b64 s[2:3], s[0:1]
	s_xor_b64 s[0:1], exec, s[2:3]
; %bb.61:                               ;   in Loop: Header=BB186_44 Depth=1
	v_bfe_u32 v6, v2, 16, 1
	v_add3_u32 v34, v2, v6, s17
; %bb.62:                               ;   in Loop: Header=BB186_44 Depth=1
	s_andn2_saveexec_b64 s[2:3], s[0:1]
; %bb.63:                               ;   in Loop: Header=BB186_44 Depth=1
	v_or_b32_e32 v6, 0x10000, v2
	v_cmp_eq_u32_sdwa s[0:1], v2, v25 src0_sel:WORD_0 src1_sel:DWORD
	v_cndmask_b32_e64 v34, v6, v2, s[0:1]
; %bb.64:                               ;   in Loop: Header=BB186_44 Depth=1
	s_or_b64 exec, exec, s[2:3]
	v_and_b32_e32 v2, 0x7f800000, v3
	v_cmp_ne_u32_e64 s[0:1], s16, v2
                                        ; implicit-def: $vgpr35
	s_and_saveexec_b64 s[2:3], s[0:1]
	s_xor_b64 s[0:1], exec, s[2:3]
; %bb.65:                               ;   in Loop: Header=BB186_44 Depth=1
	v_bfe_u32 v2, v3, 16, 1
	v_add3_u32 v35, v3, v2, s17
; %bb.66:                               ;   in Loop: Header=BB186_44 Depth=1
	s_andn2_saveexec_b64 s[2:3], s[0:1]
; %bb.67:                               ;   in Loop: Header=BB186_44 Depth=1
	v_or_b32_e32 v2, 0x10000, v3
	v_cmp_eq_u32_sdwa s[0:1], v3, v25 src0_sel:WORD_0 src1_sel:DWORD
	v_cndmask_b32_e64 v35, v2, v3, s[0:1]
; %bb.68:                               ;   in Loop: Header=BB186_44 Depth=1
	s_or_b64 exec, exec, s[2:3]
	v_and_b32_e32 v2, 0x7f800000, v4
	v_cmp_ne_u32_e64 s[0:1], s16, v2
                                        ; implicit-def: $vgpr36
	s_and_saveexec_b64 s[2:3], s[0:1]
	s_xor_b64 s[0:1], exec, s[2:3]
; %bb.69:                               ;   in Loop: Header=BB186_44 Depth=1
	v_bfe_u32 v2, v4, 16, 1
	v_add3_u32 v36, v4, v2, s17
; %bb.70:                               ;   in Loop: Header=BB186_44 Depth=1
	s_andn2_saveexec_b64 s[2:3], s[0:1]
; %bb.71:                               ;   in Loop: Header=BB186_44 Depth=1
	v_or_b32_e32 v2, 0x10000, v4
	v_cmp_eq_u32_sdwa s[0:1], v4, v25 src0_sel:WORD_0 src1_sel:DWORD
	v_cndmask_b32_e64 v36, v2, v4, s[0:1]
; %bb.72:                               ;   in Loop: Header=BB186_44 Depth=1
	s_or_b64 exec, exec, s[2:3]
	v_and_b32_e32 v2, 0x7f800000, v5
	v_cmp_ne_u32_e64 s[0:1], s16, v2
                                        ; implicit-def: $vgpr37
	s_and_saveexec_b64 s[2:3], s[0:1]
	s_xor_b64 s[0:1], exec, s[2:3]
; %bb.73:                               ;   in Loop: Header=BB186_44 Depth=1
	v_bfe_u32 v2, v5, 16, 1
	v_add3_u32 v37, v5, v2, s17
                                        ; implicit-def: $vgpr2_vgpr3_vgpr4_vgpr5
; %bb.74:                               ;   in Loop: Header=BB186_44 Depth=1
	s_andn2_saveexec_b64 s[2:3], s[0:1]
; %bb.75:                               ;   in Loop: Header=BB186_44 Depth=1
	v_or_b32_e32 v2, 0x10000, v5
	v_cmp_eq_u32_sdwa s[0:1], v5, v25 src0_sel:WORD_0 src1_sel:DWORD
	v_cndmask_b32_e64 v37, v2, v5, s[0:1]
; %bb.76:                               ;   in Loop: Header=BB186_44 Depth=1
	s_or_b64 exec, exec, s[2:3]
	s_waitcnt vmcnt(0)
	v_mad_i64_i32 v[2:3], s[0:1], v38, s5, 0
	v_lshlrev_b64 v[2:3], 1, v[2:3]
	v_mov_b32_e32 v4, s14
	v_add_co_u32_e64 v39, s[0:1], s9, v2
	v_addc_co_u32_e64 v40, s[0:1], v4, v3, s[0:1]
	v_add_co_u32_e64 v6, s[0:1], v39, v11
	v_addc_co_u32_e64 v7, s[0:1], 0, v40, s[0:1]
	global_load_dwordx4 v[2:5], v[6:7], off
	v_add_u32_e32 v38, -7, v26
	v_cmp_eq_u32_e64 s[0:1], s15, v10
	s_waitcnt vmcnt(0)
	v_lshrrev_b32_e32 v9, 16, v2
	v_lshrrev_b32_e32 v45, 16, v3
	;; [unrolled: 1-line block ×4, first 2 shown]
	s_and_saveexec_b64 s[12:13], s[0:1]
	s_cbranch_execz .LBB186_78
; %bb.77:                               ;   in Loop: Header=BB186_44 Depth=1
	v_cmp_gt_i32_e64 s[2:3], s25, v38
	v_add_u32_e32 v8, -6, v26
	v_cndmask_b32_e64 v2, 0, v2, s[2:3]
	v_cmp_gt_i32_e64 s[2:3], s25, v8
	v_add_u32_e32 v8, -5, v26
	v_cndmask_b32_e64 v9, 0, v9, s[2:3]
	;; [unrolled: 3-line block ×6, first 2 shown]
	v_cmp_gt_i32_e64 s[2:3], s25, v8
	v_cndmask_b32_e64 v5, 0, v5, s[2:3]
	v_cmp_gt_i32_e64 s[2:3], s25, v26
	v_cndmask_b32_e64 v49, 0, v49, s[2:3]
.LBB186_78:                             ;   in Loop: Header=BB186_44 Depth=1
	s_or_b64 exec, exec, s[12:13]
	v_and_b32_e32 v41, 0xffff0000, v41
	v_lshlrev_b32_e32 v2, 16, v2
	v_mul_f32_e32 v2, v41, v2
	v_and_b32_e32 v8, 0x7f800000, v2
	v_cmp_ne_u32_e64 s[2:3], s16, v8
                                        ; implicit-def: $vgpr8
	s_and_saveexec_b64 s[12:13], s[2:3]
	s_xor_b64 s[2:3], exec, s[12:13]
; %bb.79:                               ;   in Loop: Header=BB186_44 Depth=1
	v_bfe_u32 v8, v2, 16, 1
	v_add3_u32 v8, v2, v8, s17
                                        ; implicit-def: $vgpr2
; %bb.80:                               ;   in Loop: Header=BB186_44 Depth=1
	s_andn2_saveexec_b64 s[12:13], s[2:3]
; %bb.81:                               ;   in Loop: Header=BB186_44 Depth=1
	v_or_b32_e32 v8, 0x10000, v2
	v_cmp_eq_u32_sdwa s[2:3], v2, v25 src0_sel:WORD_0 src1_sel:DWORD
	v_cndmask_b32_e64 v8, v8, v2, s[2:3]
; %bb.82:                               ;   in Loop: Header=BB186_44 Depth=1
	s_or_b64 exec, exec, s[12:13]
	v_and_b32_e32 v42, 0xffff0000, v42
	v_lshlrev_b32_e32 v2, 16, v9
	v_mul_f32_e32 v2, v42, v2
	v_and_b32_e32 v9, 0x7f800000, v2
	v_cmp_ne_u32_e64 s[2:3], s16, v9
                                        ; implicit-def: $vgpr9
	s_and_saveexec_b64 s[12:13], s[2:3]
	s_xor_b64 s[2:3], exec, s[12:13]
; %bb.83:                               ;   in Loop: Header=BB186_44 Depth=1
	v_bfe_u32 v9, v2, 16, 1
	v_add3_u32 v9, v2, v9, s17
                                        ; implicit-def: $vgpr2
; %bb.84:                               ;   in Loop: Header=BB186_44 Depth=1
	s_andn2_saveexec_b64 s[12:13], s[2:3]
; %bb.85:                               ;   in Loop: Header=BB186_44 Depth=1
	v_or_b32_e32 v9, 0x10000, v2
	v_cmp_eq_u32_sdwa s[2:3], v2, v25 src0_sel:WORD_0 src1_sel:DWORD
	v_cndmask_b32_e64 v9, v9, v2, s[2:3]
; %bb.86:                               ;   in Loop: Header=BB186_44 Depth=1
	s_or_b64 exec, exec, s[12:13]
	v_and_b32_e32 v43, 0xffff0000, v32
	v_lshlrev_b32_e32 v2, 16, v3
	v_mul_f32_e32 v2, v43, v2
	v_and_b32_e32 v3, 0x7f800000, v2
	v_cmp_ne_u32_e64 s[2:3], s16, v3
                                        ; implicit-def: $vgpr32
	s_and_saveexec_b64 s[12:13], s[2:3]
	s_xor_b64 s[2:3], exec, s[12:13]
; %bb.87:                               ;   in Loop: Header=BB186_44 Depth=1
	v_bfe_u32 v3, v2, 16, 1
	v_add3_u32 v32, v2, v3, s17
                                        ; implicit-def: $vgpr2
; %bb.88:                               ;   in Loop: Header=BB186_44 Depth=1
	s_andn2_saveexec_b64 s[12:13], s[2:3]
; %bb.89:                               ;   in Loop: Header=BB186_44 Depth=1
	v_or_b32_e32 v3, 0x10000, v2
	v_cmp_eq_u32_sdwa s[2:3], v2, v25 src0_sel:WORD_0 src1_sel:DWORD
	v_cndmask_b32_e64 v32, v3, v2, s[2:3]
; %bb.90:                               ;   in Loop: Header=BB186_44 Depth=1
	s_or_b64 exec, exec, s[12:13]
	v_and_b32_e32 v44, 0xffff0000, v33
	v_lshlrev_b32_e32 v2, 16, v45
	v_mul_f32_e32 v2, v44, v2
	v_and_b32_e32 v3, 0x7f800000, v2
	v_cmp_ne_u32_e64 s[2:3], s16, v3
                                        ; implicit-def: $vgpr33
	s_and_saveexec_b64 s[12:13], s[2:3]
	s_xor_b64 s[2:3], exec, s[12:13]
; %bb.91:                               ;   in Loop: Header=BB186_44 Depth=1
	v_bfe_u32 v3, v2, 16, 1
	v_add3_u32 v33, v2, v3, s17
                                        ; implicit-def: $vgpr2
; %bb.92:                               ;   in Loop: Header=BB186_44 Depth=1
	s_andn2_saveexec_b64 s[12:13], s[2:3]
; %bb.93:                               ;   in Loop: Header=BB186_44 Depth=1
	v_or_b32_e32 v3, 0x10000, v2
	v_cmp_eq_u32_sdwa s[2:3], v2, v25 src0_sel:WORD_0 src1_sel:DWORD
	v_cndmask_b32_e64 v33, v3, v2, s[2:3]
; %bb.94:                               ;   in Loop: Header=BB186_44 Depth=1
	s_or_b64 exec, exec, s[12:13]
	v_and_b32_e32 v45, 0xffff0000, v34
	v_lshlrev_b32_e32 v2, 16, v4
	v_mul_f32_e32 v2, v45, v2
	v_and_b32_e32 v3, 0x7f800000, v2
	v_cmp_ne_u32_e64 s[2:3], s16, v3
                                        ; implicit-def: $vgpr34
	s_and_saveexec_b64 s[12:13], s[2:3]
	s_xor_b64 s[2:3], exec, s[12:13]
; %bb.95:                               ;   in Loop: Header=BB186_44 Depth=1
	v_bfe_u32 v3, v2, 16, 1
	v_add3_u32 v34, v2, v3, s17
                                        ; implicit-def: $vgpr2
; %bb.96:                               ;   in Loop: Header=BB186_44 Depth=1
	s_andn2_saveexec_b64 s[12:13], s[2:3]
; %bb.97:                               ;   in Loop: Header=BB186_44 Depth=1
	v_or_b32_e32 v3, 0x10000, v2
	v_cmp_eq_u32_sdwa s[2:3], v2, v25 src0_sel:WORD_0 src1_sel:DWORD
	v_cndmask_b32_e64 v34, v3, v2, s[2:3]
; %bb.98:                               ;   in Loop: Header=BB186_44 Depth=1
	s_or_b64 exec, exec, s[12:13]
	v_and_b32_e32 v46, 0xffff0000, v35
	v_lshlrev_b32_e32 v2, 16, v47
	v_mul_f32_e32 v2, v46, v2
	v_and_b32_e32 v3, 0x7f800000, v2
	v_cmp_ne_u32_e64 s[2:3], s16, v3
                                        ; implicit-def: $vgpr35
	s_and_saveexec_b64 s[12:13], s[2:3]
	s_xor_b64 s[2:3], exec, s[12:13]
; %bb.99:                               ;   in Loop: Header=BB186_44 Depth=1
	v_bfe_u32 v3, v2, 16, 1
	v_add3_u32 v35, v2, v3, s17
                                        ; implicit-def: $vgpr2
; %bb.100:                              ;   in Loop: Header=BB186_44 Depth=1
	s_andn2_saveexec_b64 s[12:13], s[2:3]
; %bb.101:                              ;   in Loop: Header=BB186_44 Depth=1
	v_or_b32_e32 v3, 0x10000, v2
	v_cmp_eq_u32_sdwa s[2:3], v2, v25 src0_sel:WORD_0 src1_sel:DWORD
	v_cndmask_b32_e64 v35, v3, v2, s[2:3]
; %bb.102:                              ;   in Loop: Header=BB186_44 Depth=1
	s_or_b64 exec, exec, s[12:13]
	v_and_b32_e32 v47, 0xffff0000, v36
	v_lshlrev_b32_e32 v2, 16, v5
	v_mul_f32_e32 v2, v47, v2
	v_and_b32_e32 v3, 0x7f800000, v2
	v_cmp_ne_u32_e64 s[2:3], s16, v3
                                        ; implicit-def: $vgpr36
	s_and_saveexec_b64 s[12:13], s[2:3]
	s_xor_b64 s[2:3], exec, s[12:13]
; %bb.103:                              ;   in Loop: Header=BB186_44 Depth=1
	v_bfe_u32 v3, v2, 16, 1
	v_add3_u32 v36, v2, v3, s17
                                        ; implicit-def: $vgpr2
; %bb.104:                              ;   in Loop: Header=BB186_44 Depth=1
	s_andn2_saveexec_b64 s[12:13], s[2:3]
; %bb.105:                              ;   in Loop: Header=BB186_44 Depth=1
	v_or_b32_e32 v3, 0x10000, v2
	v_cmp_eq_u32_sdwa s[2:3], v2, v25 src0_sel:WORD_0 src1_sel:DWORD
	v_cndmask_b32_e64 v36, v3, v2, s[2:3]
; %bb.106:                              ;   in Loop: Header=BB186_44 Depth=1
	s_or_b64 exec, exec, s[12:13]
	v_and_b32_e32 v48, 0xffff0000, v37
	v_lshlrev_b32_e32 v2, 16, v49
	v_mul_f32_e32 v2, v48, v2
	v_and_b32_e32 v3, 0x7f800000, v2
	v_cmp_ne_u32_e64 s[2:3], s16, v3
                                        ; implicit-def: $vgpr37
	s_and_saveexec_b64 s[12:13], s[2:3]
	s_xor_b64 s[2:3], exec, s[12:13]
; %bb.107:                              ;   in Loop: Header=BB186_44 Depth=1
	v_bfe_u32 v3, v2, 16, 1
	v_add3_u32 v37, v2, v3, s17
                                        ; implicit-def: $vgpr2
; %bb.108:                              ;   in Loop: Header=BB186_44 Depth=1
	s_andn2_saveexec_b64 s[12:13], s[2:3]
; %bb.109:                              ;   in Loop: Header=BB186_44 Depth=1
	v_or_b32_e32 v3, 0x10000, v2
	v_cmp_eq_u32_sdwa s[2:3], v2, v25 src0_sel:WORD_0 src1_sel:DWORD
	v_cndmask_b32_e64 v37, v3, v2, s[2:3]
; %bb.110:                              ;   in Loop: Header=BB186_44 Depth=1
	s_or_b64 exec, exec, s[12:13]
	global_load_dwordx4 v[2:5], v[6:7], off offset:1024
	s_waitcnt vmcnt(0)
	v_lshrrev_b32_e32 v50, 16, v2
	v_lshrrev_b32_e32 v52, 16, v3
	v_lshrrev_b32_e32 v54, 16, v4
	v_lshrrev_b32_e32 v56, 16, v5
	s_and_saveexec_b64 s[12:13], s[0:1]
	s_cbranch_execz .LBB186_112
; %bb.111:                              ;   in Loop: Header=BB186_44 Depth=1
	v_cmp_gt_i32_e64 s[2:3], s25, v38
	v_add_u32_e32 v49, -6, v26
	v_cndmask_b32_e64 v2, 0, v2, s[2:3]
	v_cmp_gt_i32_e64 s[2:3], s25, v49
	v_add_u32_e32 v49, -5, v26
	v_cndmask_b32_e64 v50, 0, v50, s[2:3]
	;; [unrolled: 3-line block ×6, first 2 shown]
	v_cmp_gt_i32_e64 s[2:3], s25, v49
	v_cndmask_b32_e64 v5, 0, v5, s[2:3]
	v_cmp_gt_i32_e64 s[2:3], s25, v26
	v_cndmask_b32_e64 v56, 0, v56, s[2:3]
.LBB186_112:                            ;   in Loop: Header=BB186_44 Depth=1
	s_or_b64 exec, exec, s[12:13]
	v_lshlrev_b32_e32 v2, 16, v2
	v_mul_f32_e32 v2, v41, v2
	v_and_b32_e32 v49, 0x7f800000, v2
	v_cmp_ne_u32_e64 s[2:3], s16, v49
                                        ; implicit-def: $vgpr49
	s_and_saveexec_b64 s[12:13], s[2:3]
	s_xor_b64 s[2:3], exec, s[12:13]
; %bb.113:                              ;   in Loop: Header=BB186_44 Depth=1
	v_bfe_u32 v49, v2, 16, 1
	v_add3_u32 v49, v2, v49, s17
                                        ; implicit-def: $vgpr2
; %bb.114:                              ;   in Loop: Header=BB186_44 Depth=1
	s_andn2_saveexec_b64 s[12:13], s[2:3]
; %bb.115:                              ;   in Loop: Header=BB186_44 Depth=1
	v_or_b32_e32 v49, 0x10000, v2
	v_cmp_eq_u32_sdwa s[2:3], v2, v25 src0_sel:WORD_0 src1_sel:DWORD
	v_cndmask_b32_e64 v49, v49, v2, s[2:3]
; %bb.116:                              ;   in Loop: Header=BB186_44 Depth=1
	s_or_b64 exec, exec, s[12:13]
	v_lshlrev_b32_e32 v2, 16, v50
	v_mul_f32_e32 v2, v42, v2
	v_and_b32_e32 v50, 0x7f800000, v2
	v_cmp_ne_u32_e64 s[2:3], s16, v50
                                        ; implicit-def: $vgpr50
	s_and_saveexec_b64 s[12:13], s[2:3]
	s_xor_b64 s[2:3], exec, s[12:13]
; %bb.117:                              ;   in Loop: Header=BB186_44 Depth=1
	v_bfe_u32 v50, v2, 16, 1
	v_add3_u32 v50, v2, v50, s17
                                        ; implicit-def: $vgpr2
; %bb.118:                              ;   in Loop: Header=BB186_44 Depth=1
	s_andn2_saveexec_b64 s[12:13], s[2:3]
; %bb.119:                              ;   in Loop: Header=BB186_44 Depth=1
	v_or_b32_e32 v50, 0x10000, v2
	v_cmp_eq_u32_sdwa s[2:3], v2, v25 src0_sel:WORD_0 src1_sel:DWORD
	v_cndmask_b32_e64 v50, v50, v2, s[2:3]
; %bb.120:                              ;   in Loop: Header=BB186_44 Depth=1
	s_or_b64 exec, exec, s[12:13]
	v_lshlrev_b32_e32 v2, 16, v3
	v_mul_f32_e32 v2, v43, v2
	v_and_b32_e32 v3, 0x7f800000, v2
	v_cmp_ne_u32_e64 s[2:3], s16, v3
                                        ; implicit-def: $vgpr51
	s_and_saveexec_b64 s[12:13], s[2:3]
	s_xor_b64 s[2:3], exec, s[12:13]
; %bb.121:                              ;   in Loop: Header=BB186_44 Depth=1
	v_bfe_u32 v3, v2, 16, 1
	v_add3_u32 v51, v2, v3, s17
                                        ; implicit-def: $vgpr2
; %bb.122:                              ;   in Loop: Header=BB186_44 Depth=1
	s_andn2_saveexec_b64 s[12:13], s[2:3]
; %bb.123:                              ;   in Loop: Header=BB186_44 Depth=1
	v_or_b32_e32 v3, 0x10000, v2
	v_cmp_eq_u32_sdwa s[2:3], v2, v25 src0_sel:WORD_0 src1_sel:DWORD
	v_cndmask_b32_e64 v51, v3, v2, s[2:3]
; %bb.124:                              ;   in Loop: Header=BB186_44 Depth=1
	s_or_b64 exec, exec, s[12:13]
	v_lshlrev_b32_e32 v2, 16, v52
	v_mul_f32_e32 v2, v44, v2
	v_and_b32_e32 v3, 0x7f800000, v2
	v_cmp_ne_u32_e64 s[2:3], s16, v3
                                        ; implicit-def: $vgpr52
	s_and_saveexec_b64 s[12:13], s[2:3]
	s_xor_b64 s[2:3], exec, s[12:13]
; %bb.125:                              ;   in Loop: Header=BB186_44 Depth=1
	v_bfe_u32 v3, v2, 16, 1
	v_add3_u32 v52, v2, v3, s17
                                        ; implicit-def: $vgpr2
; %bb.126:                              ;   in Loop: Header=BB186_44 Depth=1
	s_andn2_saveexec_b64 s[12:13], s[2:3]
; %bb.127:                              ;   in Loop: Header=BB186_44 Depth=1
	v_or_b32_e32 v3, 0x10000, v2
	v_cmp_eq_u32_sdwa s[2:3], v2, v25 src0_sel:WORD_0 src1_sel:DWORD
	v_cndmask_b32_e64 v52, v3, v2, s[2:3]
; %bb.128:                              ;   in Loop: Header=BB186_44 Depth=1
	s_or_b64 exec, exec, s[12:13]
	v_lshlrev_b32_e32 v2, 16, v4
	v_mul_f32_e32 v2, v45, v2
	v_and_b32_e32 v3, 0x7f800000, v2
	v_cmp_ne_u32_e64 s[2:3], s16, v3
                                        ; implicit-def: $vgpr53
	s_and_saveexec_b64 s[12:13], s[2:3]
	s_xor_b64 s[2:3], exec, s[12:13]
; %bb.129:                              ;   in Loop: Header=BB186_44 Depth=1
	v_bfe_u32 v3, v2, 16, 1
	v_add3_u32 v53, v2, v3, s17
                                        ; implicit-def: $vgpr2
; %bb.130:                              ;   in Loop: Header=BB186_44 Depth=1
	s_andn2_saveexec_b64 s[12:13], s[2:3]
; %bb.131:                              ;   in Loop: Header=BB186_44 Depth=1
	v_or_b32_e32 v3, 0x10000, v2
	v_cmp_eq_u32_sdwa s[2:3], v2, v25 src0_sel:WORD_0 src1_sel:DWORD
	v_cndmask_b32_e64 v53, v3, v2, s[2:3]
; %bb.132:                              ;   in Loop: Header=BB186_44 Depth=1
	s_or_b64 exec, exec, s[12:13]
	v_lshlrev_b32_e32 v2, 16, v54
	v_mul_f32_e32 v2, v46, v2
	v_and_b32_e32 v3, 0x7f800000, v2
	v_cmp_ne_u32_e64 s[2:3], s16, v3
                                        ; implicit-def: $vgpr54
	s_and_saveexec_b64 s[12:13], s[2:3]
	s_xor_b64 s[2:3], exec, s[12:13]
; %bb.133:                              ;   in Loop: Header=BB186_44 Depth=1
	v_bfe_u32 v3, v2, 16, 1
	v_add3_u32 v54, v2, v3, s17
                                        ; implicit-def: $vgpr2
; %bb.134:                              ;   in Loop: Header=BB186_44 Depth=1
	s_andn2_saveexec_b64 s[12:13], s[2:3]
; %bb.135:                              ;   in Loop: Header=BB186_44 Depth=1
	v_or_b32_e32 v3, 0x10000, v2
	v_cmp_eq_u32_sdwa s[2:3], v2, v25 src0_sel:WORD_0 src1_sel:DWORD
	v_cndmask_b32_e64 v54, v3, v2, s[2:3]
; %bb.136:                              ;   in Loop: Header=BB186_44 Depth=1
	s_or_b64 exec, exec, s[12:13]
	v_lshlrev_b32_e32 v2, 16, v5
	v_mul_f32_e32 v2, v47, v2
	v_and_b32_e32 v3, 0x7f800000, v2
	v_cmp_ne_u32_e64 s[2:3], s16, v3
                                        ; implicit-def: $vgpr55
	s_and_saveexec_b64 s[12:13], s[2:3]
	s_xor_b64 s[2:3], exec, s[12:13]
; %bb.137:                              ;   in Loop: Header=BB186_44 Depth=1
	v_bfe_u32 v3, v2, 16, 1
	v_add3_u32 v55, v2, v3, s17
                                        ; implicit-def: $vgpr2
; %bb.138:                              ;   in Loop: Header=BB186_44 Depth=1
	s_andn2_saveexec_b64 s[12:13], s[2:3]
; %bb.139:                              ;   in Loop: Header=BB186_44 Depth=1
	v_or_b32_e32 v3, 0x10000, v2
	v_cmp_eq_u32_sdwa s[2:3], v2, v25 src0_sel:WORD_0 src1_sel:DWORD
	v_cndmask_b32_e64 v55, v3, v2, s[2:3]
; %bb.140:                              ;   in Loop: Header=BB186_44 Depth=1
	s_or_b64 exec, exec, s[12:13]
	v_lshlrev_b32_e32 v2, 16, v56
	v_mul_f32_e32 v2, v48, v2
	v_and_b32_e32 v3, 0x7f800000, v2
	v_cmp_ne_u32_e64 s[2:3], s16, v3
                                        ; implicit-def: $vgpr56
	s_and_saveexec_b64 s[12:13], s[2:3]
	s_xor_b64 s[2:3], exec, s[12:13]
; %bb.141:                              ;   in Loop: Header=BB186_44 Depth=1
	v_bfe_u32 v3, v2, 16, 1
	v_add3_u32 v56, v2, v3, s17
                                        ; implicit-def: $vgpr2
; %bb.142:                              ;   in Loop: Header=BB186_44 Depth=1
	s_andn2_saveexec_b64 s[12:13], s[2:3]
; %bb.143:                              ;   in Loop: Header=BB186_44 Depth=1
	v_or_b32_e32 v3, 0x10000, v2
	v_cmp_eq_u32_sdwa s[2:3], v2, v25 src0_sel:WORD_0 src1_sel:DWORD
	v_cndmask_b32_e64 v56, v3, v2, s[2:3]
; %bb.144:                              ;   in Loop: Header=BB186_44 Depth=1
	s_or_b64 exec, exec, s[12:13]
	global_load_dwordx4 v[2:5], v[6:7], off offset:2048
	s_waitcnt vmcnt(0)
	v_lshrrev_b32_e32 v58, 16, v2
	v_lshrrev_b32_e32 v60, 16, v3
	;; [unrolled: 1-line block ×4, first 2 shown]
	s_and_saveexec_b64 s[12:13], s[0:1]
	s_cbranch_execz .LBB186_146
; %bb.145:                              ;   in Loop: Header=BB186_44 Depth=1
	v_cmp_gt_i32_e64 s[2:3], s25, v38
	v_add_u32_e32 v57, -6, v26
	v_cndmask_b32_e64 v2, 0, v2, s[2:3]
	v_cmp_gt_i32_e64 s[2:3], s25, v57
	v_add_u32_e32 v57, -5, v26
	v_cndmask_b32_e64 v58, 0, v58, s[2:3]
	;; [unrolled: 3-line block ×6, first 2 shown]
	v_cmp_gt_i32_e64 s[2:3], s25, v57
	v_cndmask_b32_e64 v5, 0, v5, s[2:3]
	v_cmp_gt_i32_e64 s[2:3], s25, v26
	v_cndmask_b32_e64 v64, 0, v64, s[2:3]
.LBB186_146:                            ;   in Loop: Header=BB186_44 Depth=1
	s_or_b64 exec, exec, s[12:13]
	v_lshlrev_b32_e32 v2, 16, v2
	v_mul_f32_e32 v2, v41, v2
	v_and_b32_e32 v57, 0x7f800000, v2
	v_cmp_ne_u32_e64 s[2:3], s16, v57
                                        ; implicit-def: $vgpr57
	s_and_saveexec_b64 s[12:13], s[2:3]
	s_xor_b64 s[2:3], exec, s[12:13]
; %bb.147:                              ;   in Loop: Header=BB186_44 Depth=1
	v_bfe_u32 v57, v2, 16, 1
	v_add3_u32 v57, v2, v57, s17
                                        ; implicit-def: $vgpr2
; %bb.148:                              ;   in Loop: Header=BB186_44 Depth=1
	s_andn2_saveexec_b64 s[12:13], s[2:3]
; %bb.149:                              ;   in Loop: Header=BB186_44 Depth=1
	v_or_b32_e32 v57, 0x10000, v2
	v_cmp_eq_u32_sdwa s[2:3], v2, v25 src0_sel:WORD_0 src1_sel:DWORD
	v_cndmask_b32_e64 v57, v57, v2, s[2:3]
; %bb.150:                              ;   in Loop: Header=BB186_44 Depth=1
	s_or_b64 exec, exec, s[12:13]
	v_lshlrev_b32_e32 v2, 16, v58
	v_mul_f32_e32 v2, v42, v2
	v_and_b32_e32 v58, 0x7f800000, v2
	v_cmp_ne_u32_e64 s[2:3], s16, v58
                                        ; implicit-def: $vgpr58
	s_and_saveexec_b64 s[12:13], s[2:3]
	s_xor_b64 s[2:3], exec, s[12:13]
; %bb.151:                              ;   in Loop: Header=BB186_44 Depth=1
	v_bfe_u32 v58, v2, 16, 1
	v_add3_u32 v58, v2, v58, s17
                                        ; implicit-def: $vgpr2
; %bb.152:                              ;   in Loop: Header=BB186_44 Depth=1
	s_andn2_saveexec_b64 s[12:13], s[2:3]
; %bb.153:                              ;   in Loop: Header=BB186_44 Depth=1
	v_or_b32_e32 v58, 0x10000, v2
	v_cmp_eq_u32_sdwa s[2:3], v2, v25 src0_sel:WORD_0 src1_sel:DWORD
	v_cndmask_b32_e64 v58, v58, v2, s[2:3]
; %bb.154:                              ;   in Loop: Header=BB186_44 Depth=1
	s_or_b64 exec, exec, s[12:13]
	v_lshlrev_b32_e32 v2, 16, v3
	v_mul_f32_e32 v2, v43, v2
	v_and_b32_e32 v3, 0x7f800000, v2
	v_cmp_ne_u32_e64 s[2:3], s16, v3
                                        ; implicit-def: $vgpr59
	s_and_saveexec_b64 s[12:13], s[2:3]
	s_xor_b64 s[2:3], exec, s[12:13]
; %bb.155:                              ;   in Loop: Header=BB186_44 Depth=1
	v_bfe_u32 v3, v2, 16, 1
	v_add3_u32 v59, v2, v3, s17
                                        ; implicit-def: $vgpr2
; %bb.156:                              ;   in Loop: Header=BB186_44 Depth=1
	s_andn2_saveexec_b64 s[12:13], s[2:3]
; %bb.157:                              ;   in Loop: Header=BB186_44 Depth=1
	v_or_b32_e32 v3, 0x10000, v2
	v_cmp_eq_u32_sdwa s[2:3], v2, v25 src0_sel:WORD_0 src1_sel:DWORD
	v_cndmask_b32_e64 v59, v3, v2, s[2:3]
; %bb.158:                              ;   in Loop: Header=BB186_44 Depth=1
	s_or_b64 exec, exec, s[12:13]
	v_lshlrev_b32_e32 v2, 16, v60
	v_mul_f32_e32 v2, v44, v2
	v_and_b32_e32 v3, 0x7f800000, v2
	v_cmp_ne_u32_e64 s[2:3], s16, v3
                                        ; implicit-def: $vgpr60
	s_and_saveexec_b64 s[12:13], s[2:3]
	s_xor_b64 s[2:3], exec, s[12:13]
; %bb.159:                              ;   in Loop: Header=BB186_44 Depth=1
	v_bfe_u32 v3, v2, 16, 1
	v_add3_u32 v60, v2, v3, s17
                                        ; implicit-def: $vgpr2
; %bb.160:                              ;   in Loop: Header=BB186_44 Depth=1
	s_andn2_saveexec_b64 s[12:13], s[2:3]
; %bb.161:                              ;   in Loop: Header=BB186_44 Depth=1
	v_or_b32_e32 v3, 0x10000, v2
	v_cmp_eq_u32_sdwa s[2:3], v2, v25 src0_sel:WORD_0 src1_sel:DWORD
	v_cndmask_b32_e64 v60, v3, v2, s[2:3]
; %bb.162:                              ;   in Loop: Header=BB186_44 Depth=1
	s_or_b64 exec, exec, s[12:13]
	v_lshlrev_b32_e32 v2, 16, v4
	v_mul_f32_e32 v2, v45, v2
	v_and_b32_e32 v3, 0x7f800000, v2
	v_cmp_ne_u32_e64 s[2:3], s16, v3
                                        ; implicit-def: $vgpr61
	s_and_saveexec_b64 s[12:13], s[2:3]
	s_xor_b64 s[2:3], exec, s[12:13]
; %bb.163:                              ;   in Loop: Header=BB186_44 Depth=1
	v_bfe_u32 v3, v2, 16, 1
	v_add3_u32 v61, v2, v3, s17
                                        ; implicit-def: $vgpr2
; %bb.164:                              ;   in Loop: Header=BB186_44 Depth=1
	s_andn2_saveexec_b64 s[12:13], s[2:3]
; %bb.165:                              ;   in Loop: Header=BB186_44 Depth=1
	v_or_b32_e32 v3, 0x10000, v2
	v_cmp_eq_u32_sdwa s[2:3], v2, v25 src0_sel:WORD_0 src1_sel:DWORD
	v_cndmask_b32_e64 v61, v3, v2, s[2:3]
; %bb.166:                              ;   in Loop: Header=BB186_44 Depth=1
	s_or_b64 exec, exec, s[12:13]
	v_lshlrev_b32_e32 v2, 16, v62
	v_mul_f32_e32 v2, v46, v2
	v_and_b32_e32 v3, 0x7f800000, v2
	v_cmp_ne_u32_e64 s[2:3], s16, v3
                                        ; implicit-def: $vgpr62
	s_and_saveexec_b64 s[12:13], s[2:3]
	s_xor_b64 s[2:3], exec, s[12:13]
; %bb.167:                              ;   in Loop: Header=BB186_44 Depth=1
	v_bfe_u32 v3, v2, 16, 1
	v_add3_u32 v62, v2, v3, s17
                                        ; implicit-def: $vgpr2
; %bb.168:                              ;   in Loop: Header=BB186_44 Depth=1
	s_andn2_saveexec_b64 s[12:13], s[2:3]
; %bb.169:                              ;   in Loop: Header=BB186_44 Depth=1
	v_or_b32_e32 v3, 0x10000, v2
	v_cmp_eq_u32_sdwa s[2:3], v2, v25 src0_sel:WORD_0 src1_sel:DWORD
	v_cndmask_b32_e64 v62, v3, v2, s[2:3]
; %bb.170:                              ;   in Loop: Header=BB186_44 Depth=1
	s_or_b64 exec, exec, s[12:13]
	v_lshlrev_b32_e32 v2, 16, v5
	v_mul_f32_e32 v2, v47, v2
	v_and_b32_e32 v3, 0x7f800000, v2
	v_cmp_ne_u32_e64 s[2:3], s16, v3
                                        ; implicit-def: $vgpr63
	s_and_saveexec_b64 s[12:13], s[2:3]
	s_xor_b64 s[2:3], exec, s[12:13]
; %bb.171:                              ;   in Loop: Header=BB186_44 Depth=1
	v_bfe_u32 v3, v2, 16, 1
	v_add3_u32 v63, v2, v3, s17
                                        ; implicit-def: $vgpr2
; %bb.172:                              ;   in Loop: Header=BB186_44 Depth=1
	s_andn2_saveexec_b64 s[12:13], s[2:3]
; %bb.173:                              ;   in Loop: Header=BB186_44 Depth=1
	v_or_b32_e32 v3, 0x10000, v2
	v_cmp_eq_u32_sdwa s[2:3], v2, v25 src0_sel:WORD_0 src1_sel:DWORD
	v_cndmask_b32_e64 v63, v3, v2, s[2:3]
; %bb.174:                              ;   in Loop: Header=BB186_44 Depth=1
	s_or_b64 exec, exec, s[12:13]
	v_lshlrev_b32_e32 v2, 16, v64
	v_mul_f32_e32 v2, v48, v2
	v_and_b32_e32 v3, 0x7f800000, v2
	v_cmp_ne_u32_e64 s[2:3], s16, v3
                                        ; implicit-def: $vgpr64
	s_and_saveexec_b64 s[12:13], s[2:3]
	s_xor_b64 s[2:3], exec, s[12:13]
; %bb.175:                              ;   in Loop: Header=BB186_44 Depth=1
	v_bfe_u32 v3, v2, 16, 1
	v_add3_u32 v64, v2, v3, s17
                                        ; implicit-def: $vgpr2
; %bb.176:                              ;   in Loop: Header=BB186_44 Depth=1
	s_andn2_saveexec_b64 s[12:13], s[2:3]
; %bb.177:                              ;   in Loop: Header=BB186_44 Depth=1
	v_or_b32_e32 v3, 0x10000, v2
	v_cmp_eq_u32_sdwa s[2:3], v2, v25 src0_sel:WORD_0 src1_sel:DWORD
	v_cndmask_b32_e64 v64, v3, v2, s[2:3]
; %bb.178:                              ;   in Loop: Header=BB186_44 Depth=1
	s_or_b64 exec, exec, s[12:13]
	global_load_dwordx4 v[2:5], v[6:7], off offset:3072
	s_waitcnt vmcnt(0)
	v_lshrrev_b32_e32 v7, 16, v2
	v_lshrrev_b32_e32 v66, 16, v3
	;; [unrolled: 1-line block ×4, first 2 shown]
	s_and_saveexec_b64 s[12:13], s[0:1]
	s_cbranch_execz .LBB186_180
; %bb.179:                              ;   in Loop: Header=BB186_44 Depth=1
	v_cmp_gt_i32_e64 s[2:3], s25, v38
	v_add_u32_e32 v6, -6, v26
	v_cndmask_b32_e64 v2, 0, v2, s[2:3]
	v_cmp_gt_i32_e64 s[2:3], s25, v6
	v_add_u32_e32 v6, -5, v26
	v_cndmask_b32_e64 v7, 0, v7, s[2:3]
	;; [unrolled: 3-line block ×6, first 2 shown]
	v_cmp_gt_i32_e64 s[2:3], s25, v6
	v_cndmask_b32_e64 v5, 0, v5, s[2:3]
	v_cmp_gt_i32_e64 s[2:3], s25, v26
	v_cndmask_b32_e64 v70, 0, v70, s[2:3]
.LBB186_180:                            ;   in Loop: Header=BB186_44 Depth=1
	s_or_b64 exec, exec, s[12:13]
	v_lshlrev_b32_e32 v2, 16, v2
	v_mul_f32_e32 v2, v41, v2
	v_and_b32_e32 v6, 0x7f800000, v2
	v_cmp_ne_u32_e64 s[2:3], s16, v6
                                        ; implicit-def: $vgpr6
	s_and_saveexec_b64 s[12:13], s[2:3]
	s_xor_b64 s[2:3], exec, s[12:13]
; %bb.181:                              ;   in Loop: Header=BB186_44 Depth=1
	v_bfe_u32 v6, v2, 16, 1
	v_add3_u32 v6, v2, v6, s17
                                        ; implicit-def: $vgpr2
; %bb.182:                              ;   in Loop: Header=BB186_44 Depth=1
	s_andn2_saveexec_b64 s[12:13], s[2:3]
; %bb.183:                              ;   in Loop: Header=BB186_44 Depth=1
	v_or_b32_e32 v6, 0x10000, v2
	v_cmp_eq_u32_sdwa s[2:3], v2, v25 src0_sel:WORD_0 src1_sel:DWORD
	v_cndmask_b32_e64 v6, v6, v2, s[2:3]
; %bb.184:                              ;   in Loop: Header=BB186_44 Depth=1
	s_or_b64 exec, exec, s[12:13]
	v_lshlrev_b32_e32 v2, 16, v7
	v_mul_f32_e32 v2, v42, v2
	v_and_b32_e32 v7, 0x7f800000, v2
	v_cmp_ne_u32_e64 s[2:3], s16, v7
                                        ; implicit-def: $vgpr7
	s_and_saveexec_b64 s[12:13], s[2:3]
	s_xor_b64 s[2:3], exec, s[12:13]
; %bb.185:                              ;   in Loop: Header=BB186_44 Depth=1
	v_bfe_u32 v7, v2, 16, 1
	v_add3_u32 v7, v2, v7, s17
                                        ; implicit-def: $vgpr2
; %bb.186:                              ;   in Loop: Header=BB186_44 Depth=1
	s_andn2_saveexec_b64 s[12:13], s[2:3]
; %bb.187:                              ;   in Loop: Header=BB186_44 Depth=1
	v_or_b32_e32 v7, 0x10000, v2
	v_cmp_eq_u32_sdwa s[2:3], v2, v25 src0_sel:WORD_0 src1_sel:DWORD
	v_cndmask_b32_e64 v7, v7, v2, s[2:3]
; %bb.188:                              ;   in Loop: Header=BB186_44 Depth=1
	s_or_b64 exec, exec, s[12:13]
	v_lshlrev_b32_e32 v2, 16, v3
	v_mul_f32_e32 v2, v43, v2
	v_and_b32_e32 v3, 0x7f800000, v2
	v_cmp_ne_u32_e64 s[2:3], s16, v3
                                        ; implicit-def: $vgpr65
	s_and_saveexec_b64 s[12:13], s[2:3]
	s_xor_b64 s[2:3], exec, s[12:13]
; %bb.189:                              ;   in Loop: Header=BB186_44 Depth=1
	v_bfe_u32 v3, v2, 16, 1
	v_add3_u32 v65, v2, v3, s17
                                        ; implicit-def: $vgpr2
; %bb.190:                              ;   in Loop: Header=BB186_44 Depth=1
	s_andn2_saveexec_b64 s[12:13], s[2:3]
; %bb.191:                              ;   in Loop: Header=BB186_44 Depth=1
	v_or_b32_e32 v3, 0x10000, v2
	v_cmp_eq_u32_sdwa s[2:3], v2, v25 src0_sel:WORD_0 src1_sel:DWORD
	v_cndmask_b32_e64 v65, v3, v2, s[2:3]
; %bb.192:                              ;   in Loop: Header=BB186_44 Depth=1
	s_or_b64 exec, exec, s[12:13]
	v_lshlrev_b32_e32 v2, 16, v66
	v_mul_f32_e32 v2, v44, v2
	v_and_b32_e32 v3, 0x7f800000, v2
	v_cmp_ne_u32_e64 s[2:3], s16, v3
                                        ; implicit-def: $vgpr66
	s_and_saveexec_b64 s[12:13], s[2:3]
	s_xor_b64 s[2:3], exec, s[12:13]
; %bb.193:                              ;   in Loop: Header=BB186_44 Depth=1
	v_bfe_u32 v3, v2, 16, 1
	v_add3_u32 v66, v2, v3, s17
                                        ; implicit-def: $vgpr2
; %bb.194:                              ;   in Loop: Header=BB186_44 Depth=1
	s_andn2_saveexec_b64 s[12:13], s[2:3]
; %bb.195:                              ;   in Loop: Header=BB186_44 Depth=1
	v_or_b32_e32 v3, 0x10000, v2
	v_cmp_eq_u32_sdwa s[2:3], v2, v25 src0_sel:WORD_0 src1_sel:DWORD
	v_cndmask_b32_e64 v66, v3, v2, s[2:3]
; %bb.196:                              ;   in Loop: Header=BB186_44 Depth=1
	s_or_b64 exec, exec, s[12:13]
	v_lshlrev_b32_e32 v2, 16, v4
	v_mul_f32_e32 v2, v45, v2
	v_and_b32_e32 v3, 0x7f800000, v2
	v_cmp_ne_u32_e64 s[2:3], s16, v3
                                        ; implicit-def: $vgpr67
	s_and_saveexec_b64 s[12:13], s[2:3]
	s_xor_b64 s[2:3], exec, s[12:13]
; %bb.197:                              ;   in Loop: Header=BB186_44 Depth=1
	v_bfe_u32 v3, v2, 16, 1
	v_add3_u32 v67, v2, v3, s17
                                        ; implicit-def: $vgpr2
; %bb.198:                              ;   in Loop: Header=BB186_44 Depth=1
	s_andn2_saveexec_b64 s[12:13], s[2:3]
; %bb.199:                              ;   in Loop: Header=BB186_44 Depth=1
	v_or_b32_e32 v3, 0x10000, v2
	v_cmp_eq_u32_sdwa s[2:3], v2, v25 src0_sel:WORD_0 src1_sel:DWORD
	v_cndmask_b32_e64 v67, v3, v2, s[2:3]
; %bb.200:                              ;   in Loop: Header=BB186_44 Depth=1
	s_or_b64 exec, exec, s[12:13]
	v_lshlrev_b32_e32 v2, 16, v68
	v_mul_f32_e32 v2, v46, v2
	v_and_b32_e32 v3, 0x7f800000, v2
	v_cmp_ne_u32_e64 s[2:3], s16, v3
                                        ; implicit-def: $vgpr68
	s_and_saveexec_b64 s[12:13], s[2:3]
	s_xor_b64 s[2:3], exec, s[12:13]
; %bb.201:                              ;   in Loop: Header=BB186_44 Depth=1
	v_bfe_u32 v3, v2, 16, 1
	v_add3_u32 v68, v2, v3, s17
                                        ; implicit-def: $vgpr2
; %bb.202:                              ;   in Loop: Header=BB186_44 Depth=1
	s_andn2_saveexec_b64 s[12:13], s[2:3]
; %bb.203:                              ;   in Loop: Header=BB186_44 Depth=1
	v_or_b32_e32 v3, 0x10000, v2
	v_cmp_eq_u32_sdwa s[2:3], v2, v25 src0_sel:WORD_0 src1_sel:DWORD
	v_cndmask_b32_e64 v68, v3, v2, s[2:3]
; %bb.204:                              ;   in Loop: Header=BB186_44 Depth=1
	s_or_b64 exec, exec, s[12:13]
	v_lshlrev_b32_e32 v2, 16, v5
	v_mul_f32_e32 v2, v47, v2
	v_and_b32_e32 v3, 0x7f800000, v2
	v_cmp_ne_u32_e64 s[2:3], s16, v3
                                        ; implicit-def: $vgpr69
	s_and_saveexec_b64 s[12:13], s[2:3]
	s_xor_b64 s[2:3], exec, s[12:13]
; %bb.205:                              ;   in Loop: Header=BB186_44 Depth=1
	v_bfe_u32 v3, v2, 16, 1
	v_add3_u32 v69, v2, v3, s17
                                        ; implicit-def: $vgpr2
; %bb.206:                              ;   in Loop: Header=BB186_44 Depth=1
	s_andn2_saveexec_b64 s[12:13], s[2:3]
; %bb.207:                              ;   in Loop: Header=BB186_44 Depth=1
	v_or_b32_e32 v3, 0x10000, v2
	v_cmp_eq_u32_sdwa s[2:3], v2, v25 src0_sel:WORD_0 src1_sel:DWORD
	v_cndmask_b32_e64 v69, v3, v2, s[2:3]
; %bb.208:                              ;   in Loop: Header=BB186_44 Depth=1
	s_or_b64 exec, exec, s[12:13]
	v_lshlrev_b32_e32 v2, 16, v70
	v_mul_f32_e32 v2, v48, v2
	v_and_b32_e32 v3, 0x7f800000, v2
	v_cmp_ne_u32_e64 s[2:3], s16, v3
                                        ; implicit-def: $vgpr70
	s_and_saveexec_b64 s[12:13], s[2:3]
	s_xor_b64 s[2:3], exec, s[12:13]
; %bb.209:                              ;   in Loop: Header=BB186_44 Depth=1
	v_bfe_u32 v3, v2, 16, 1
	v_add3_u32 v70, v2, v3, s17
                                        ; implicit-def: $vgpr2
; %bb.210:                              ;   in Loop: Header=BB186_44 Depth=1
	s_andn2_saveexec_b64 s[12:13], s[2:3]
; %bb.211:                              ;   in Loop: Header=BB186_44 Depth=1
	v_or_b32_e32 v3, 0x10000, v2
	v_cmp_eq_u32_sdwa s[2:3], v2, v25 src0_sel:WORD_0 src1_sel:DWORD
	v_cndmask_b32_e64 v70, v3, v2, s[2:3]
; %bb.212:                              ;   in Loop: Header=BB186_44 Depth=1
	s_or_b64 exec, exec, s[12:13]
	v_add_co_u32_e64 v2, s[2:3], v39, v28
	v_addc_co_u32_e64 v3, s[2:3], 0, v40, s[2:3]
	global_load_dwordx4 v[2:5], v[2:3], off
	s_waitcnt vmcnt(0)
	v_lshrrev_b32_e32 v72, 16, v2
	v_lshrrev_b32_e32 v74, 16, v3
	;; [unrolled: 1-line block ×4, first 2 shown]
	s_and_saveexec_b64 s[12:13], s[0:1]
	s_cbranch_execz .LBB186_214
; %bb.213:                              ;   in Loop: Header=BB186_44 Depth=1
	v_cmp_gt_i32_e64 s[2:3], s25, v38
	v_add_u32_e32 v71, -6, v26
	v_cndmask_b32_e64 v2, 0, v2, s[2:3]
	v_cmp_gt_i32_e64 s[2:3], s25, v71
	v_add_u32_e32 v71, -5, v26
	v_cndmask_b32_e64 v72, 0, v72, s[2:3]
	v_cmp_gt_i32_e64 s[2:3], s25, v71
	v_add_u32_e32 v71, -4, v26
	v_cndmask_b32_e64 v3, 0, v3, s[2:3]
	v_cmp_gt_i32_e64 s[2:3], s25, v71
	v_add_u32_e32 v71, -3, v26
	v_cndmask_b32_e64 v74, 0, v74, s[2:3]
	v_cmp_gt_i32_e64 s[2:3], s25, v71
	v_add_u32_e32 v71, -2, v26
	v_cndmask_b32_e64 v4, 0, v4, s[2:3]
	v_cmp_gt_i32_e64 s[2:3], s25, v71
	v_add_u32_e32 v71, -1, v26
	v_cndmask_b32_e64 v76, 0, v76, s[2:3]
	v_cmp_gt_i32_e64 s[2:3], s25, v71
	v_cndmask_b32_e64 v5, 0, v5, s[2:3]
	v_cmp_gt_i32_e64 s[2:3], s25, v26
	v_cndmask_b32_e64 v78, 0, v78, s[2:3]
.LBB186_214:                            ;   in Loop: Header=BB186_44 Depth=1
	s_or_b64 exec, exec, s[12:13]
	v_lshlrev_b32_e32 v2, 16, v2
	v_mul_f32_e32 v2, v41, v2
	v_and_b32_e32 v71, 0x7f800000, v2
	v_cmp_ne_u32_e64 s[2:3], s16, v71
                                        ; implicit-def: $vgpr71
	s_and_saveexec_b64 s[12:13], s[2:3]
	s_xor_b64 s[2:3], exec, s[12:13]
; %bb.215:                              ;   in Loop: Header=BB186_44 Depth=1
	v_bfe_u32 v71, v2, 16, 1
	v_add3_u32 v71, v2, v71, s17
                                        ; implicit-def: $vgpr2
; %bb.216:                              ;   in Loop: Header=BB186_44 Depth=1
	s_andn2_saveexec_b64 s[12:13], s[2:3]
; %bb.217:                              ;   in Loop: Header=BB186_44 Depth=1
	v_or_b32_e32 v71, 0x10000, v2
	v_cmp_eq_u32_sdwa s[2:3], v2, v25 src0_sel:WORD_0 src1_sel:DWORD
	v_cndmask_b32_e64 v71, v71, v2, s[2:3]
; %bb.218:                              ;   in Loop: Header=BB186_44 Depth=1
	s_or_b64 exec, exec, s[12:13]
	v_lshlrev_b32_e32 v2, 16, v72
	v_mul_f32_e32 v2, v42, v2
	v_and_b32_e32 v72, 0x7f800000, v2
	v_cmp_ne_u32_e64 s[2:3], s16, v72
                                        ; implicit-def: $vgpr72
	s_and_saveexec_b64 s[12:13], s[2:3]
	s_xor_b64 s[2:3], exec, s[12:13]
; %bb.219:                              ;   in Loop: Header=BB186_44 Depth=1
	v_bfe_u32 v72, v2, 16, 1
	v_add3_u32 v72, v2, v72, s17
                                        ; implicit-def: $vgpr2
; %bb.220:                              ;   in Loop: Header=BB186_44 Depth=1
	s_andn2_saveexec_b64 s[12:13], s[2:3]
; %bb.221:                              ;   in Loop: Header=BB186_44 Depth=1
	v_or_b32_e32 v72, 0x10000, v2
	v_cmp_eq_u32_sdwa s[2:3], v2, v25 src0_sel:WORD_0 src1_sel:DWORD
	v_cndmask_b32_e64 v72, v72, v2, s[2:3]
; %bb.222:                              ;   in Loop: Header=BB186_44 Depth=1
	s_or_b64 exec, exec, s[12:13]
	v_lshlrev_b32_e32 v2, 16, v3
	v_mul_f32_e32 v2, v43, v2
	v_and_b32_e32 v3, 0x7f800000, v2
	v_cmp_ne_u32_e64 s[2:3], s16, v3
                                        ; implicit-def: $vgpr73
	s_and_saveexec_b64 s[12:13], s[2:3]
	s_xor_b64 s[2:3], exec, s[12:13]
; %bb.223:                              ;   in Loop: Header=BB186_44 Depth=1
	v_bfe_u32 v3, v2, 16, 1
	v_add3_u32 v73, v2, v3, s17
                                        ; implicit-def: $vgpr2
; %bb.224:                              ;   in Loop: Header=BB186_44 Depth=1
	s_andn2_saveexec_b64 s[12:13], s[2:3]
; %bb.225:                              ;   in Loop: Header=BB186_44 Depth=1
	v_or_b32_e32 v3, 0x10000, v2
	v_cmp_eq_u32_sdwa s[2:3], v2, v25 src0_sel:WORD_0 src1_sel:DWORD
	v_cndmask_b32_e64 v73, v3, v2, s[2:3]
; %bb.226:                              ;   in Loop: Header=BB186_44 Depth=1
	s_or_b64 exec, exec, s[12:13]
	v_lshlrev_b32_e32 v2, 16, v74
	v_mul_f32_e32 v2, v44, v2
	v_and_b32_e32 v3, 0x7f800000, v2
	v_cmp_ne_u32_e64 s[2:3], s16, v3
                                        ; implicit-def: $vgpr74
	s_and_saveexec_b64 s[12:13], s[2:3]
	s_xor_b64 s[2:3], exec, s[12:13]
; %bb.227:                              ;   in Loop: Header=BB186_44 Depth=1
	v_bfe_u32 v3, v2, 16, 1
	v_add3_u32 v74, v2, v3, s17
                                        ; implicit-def: $vgpr2
; %bb.228:                              ;   in Loop: Header=BB186_44 Depth=1
	s_andn2_saveexec_b64 s[12:13], s[2:3]
; %bb.229:                              ;   in Loop: Header=BB186_44 Depth=1
	v_or_b32_e32 v3, 0x10000, v2
	v_cmp_eq_u32_sdwa s[2:3], v2, v25 src0_sel:WORD_0 src1_sel:DWORD
	v_cndmask_b32_e64 v74, v3, v2, s[2:3]
; %bb.230:                              ;   in Loop: Header=BB186_44 Depth=1
	s_or_b64 exec, exec, s[12:13]
	v_lshlrev_b32_e32 v2, 16, v4
	v_mul_f32_e32 v2, v45, v2
	v_and_b32_e32 v3, 0x7f800000, v2
	v_cmp_ne_u32_e64 s[2:3], s16, v3
                                        ; implicit-def: $vgpr75
	s_and_saveexec_b64 s[12:13], s[2:3]
	s_xor_b64 s[2:3], exec, s[12:13]
; %bb.231:                              ;   in Loop: Header=BB186_44 Depth=1
	v_bfe_u32 v3, v2, 16, 1
	v_add3_u32 v75, v2, v3, s17
                                        ; implicit-def: $vgpr2
; %bb.232:                              ;   in Loop: Header=BB186_44 Depth=1
	s_andn2_saveexec_b64 s[12:13], s[2:3]
; %bb.233:                              ;   in Loop: Header=BB186_44 Depth=1
	v_or_b32_e32 v3, 0x10000, v2
	v_cmp_eq_u32_sdwa s[2:3], v2, v25 src0_sel:WORD_0 src1_sel:DWORD
	v_cndmask_b32_e64 v75, v3, v2, s[2:3]
; %bb.234:                              ;   in Loop: Header=BB186_44 Depth=1
	s_or_b64 exec, exec, s[12:13]
	v_lshlrev_b32_e32 v2, 16, v76
	v_mul_f32_e32 v2, v46, v2
	v_and_b32_e32 v3, 0x7f800000, v2
	v_cmp_ne_u32_e64 s[2:3], s16, v3
                                        ; implicit-def: $vgpr76
	s_and_saveexec_b64 s[12:13], s[2:3]
	s_xor_b64 s[2:3], exec, s[12:13]
; %bb.235:                              ;   in Loop: Header=BB186_44 Depth=1
	v_bfe_u32 v3, v2, 16, 1
	v_add3_u32 v76, v2, v3, s17
                                        ; implicit-def: $vgpr2
; %bb.236:                              ;   in Loop: Header=BB186_44 Depth=1
	s_andn2_saveexec_b64 s[12:13], s[2:3]
; %bb.237:                              ;   in Loop: Header=BB186_44 Depth=1
	v_or_b32_e32 v3, 0x10000, v2
	v_cmp_eq_u32_sdwa s[2:3], v2, v25 src0_sel:WORD_0 src1_sel:DWORD
	v_cndmask_b32_e64 v76, v3, v2, s[2:3]
; %bb.238:                              ;   in Loop: Header=BB186_44 Depth=1
	s_or_b64 exec, exec, s[12:13]
	v_lshlrev_b32_e32 v2, 16, v5
	v_mul_f32_e32 v2, v47, v2
	v_and_b32_e32 v3, 0x7f800000, v2
	v_cmp_ne_u32_e64 s[2:3], s16, v3
                                        ; implicit-def: $vgpr77
	s_and_saveexec_b64 s[12:13], s[2:3]
	s_xor_b64 s[2:3], exec, s[12:13]
; %bb.239:                              ;   in Loop: Header=BB186_44 Depth=1
	v_bfe_u32 v3, v2, 16, 1
	v_add3_u32 v77, v2, v3, s17
                                        ; implicit-def: $vgpr2
; %bb.240:                              ;   in Loop: Header=BB186_44 Depth=1
	s_andn2_saveexec_b64 s[12:13], s[2:3]
; %bb.241:                              ;   in Loop: Header=BB186_44 Depth=1
	v_or_b32_e32 v3, 0x10000, v2
	v_cmp_eq_u32_sdwa s[2:3], v2, v25 src0_sel:WORD_0 src1_sel:DWORD
	v_cndmask_b32_e64 v77, v3, v2, s[2:3]
; %bb.242:                              ;   in Loop: Header=BB186_44 Depth=1
	s_or_b64 exec, exec, s[12:13]
	v_lshlrev_b32_e32 v2, 16, v78
	v_mul_f32_e32 v2, v48, v2
	v_and_b32_e32 v3, 0x7f800000, v2
	v_cmp_ne_u32_e64 s[2:3], s16, v3
                                        ; implicit-def: $vgpr78
	s_and_saveexec_b64 s[12:13], s[2:3]
	s_xor_b64 s[2:3], exec, s[12:13]
; %bb.243:                              ;   in Loop: Header=BB186_44 Depth=1
	v_bfe_u32 v3, v2, 16, 1
	v_add3_u32 v78, v2, v3, s17
                                        ; implicit-def: $vgpr2
; %bb.244:                              ;   in Loop: Header=BB186_44 Depth=1
	s_andn2_saveexec_b64 s[12:13], s[2:3]
; %bb.245:                              ;   in Loop: Header=BB186_44 Depth=1
	v_or_b32_e32 v3, 0x10000, v2
	v_cmp_eq_u32_sdwa s[2:3], v2, v25 src0_sel:WORD_0 src1_sel:DWORD
	v_cndmask_b32_e64 v78, v3, v2, s[2:3]
; %bb.246:                              ;   in Loop: Header=BB186_44 Depth=1
	s_or_b64 exec, exec, s[12:13]
	v_add_co_u32_e64 v2, s[2:3], v39, v29
	v_addc_co_u32_e64 v3, s[2:3], 0, v40, s[2:3]
	global_load_dwordx4 v[2:5], v[2:3], off
	s_waitcnt vmcnt(0)
	v_lshrrev_b32_e32 v80, 16, v2
	v_lshrrev_b32_e32 v82, 16, v3
	;; [unrolled: 1-line block ×4, first 2 shown]
	s_and_saveexec_b64 s[12:13], s[0:1]
	s_cbranch_execz .LBB186_248
; %bb.247:                              ;   in Loop: Header=BB186_44 Depth=1
	v_cmp_gt_i32_e64 s[2:3], s25, v38
	v_add_u32_e32 v79, -6, v26
	v_cndmask_b32_e64 v2, 0, v2, s[2:3]
	v_cmp_gt_i32_e64 s[2:3], s25, v79
	v_add_u32_e32 v79, -5, v26
	v_cndmask_b32_e64 v80, 0, v80, s[2:3]
	;; [unrolled: 3-line block ×6, first 2 shown]
	v_cmp_gt_i32_e64 s[2:3], s25, v79
	v_cndmask_b32_e64 v5, 0, v5, s[2:3]
	v_cmp_gt_i32_e64 s[2:3], s25, v26
	v_cndmask_b32_e64 v86, 0, v86, s[2:3]
.LBB186_248:                            ;   in Loop: Header=BB186_44 Depth=1
	s_or_b64 exec, exec, s[12:13]
	v_lshlrev_b32_e32 v2, 16, v2
	v_mul_f32_e32 v2, v41, v2
	v_and_b32_e32 v79, 0x7f800000, v2
	v_cmp_ne_u32_e64 s[2:3], s16, v79
                                        ; implicit-def: $vgpr79
	s_and_saveexec_b64 s[12:13], s[2:3]
	s_xor_b64 s[2:3], exec, s[12:13]
; %bb.249:                              ;   in Loop: Header=BB186_44 Depth=1
	v_bfe_u32 v79, v2, 16, 1
	v_add3_u32 v79, v2, v79, s17
                                        ; implicit-def: $vgpr2
; %bb.250:                              ;   in Loop: Header=BB186_44 Depth=1
	s_andn2_saveexec_b64 s[12:13], s[2:3]
; %bb.251:                              ;   in Loop: Header=BB186_44 Depth=1
	v_or_b32_e32 v79, 0x10000, v2
	v_cmp_eq_u32_sdwa s[2:3], v2, v25 src0_sel:WORD_0 src1_sel:DWORD
	v_cndmask_b32_e64 v79, v79, v2, s[2:3]
; %bb.252:                              ;   in Loop: Header=BB186_44 Depth=1
	s_or_b64 exec, exec, s[12:13]
	v_lshlrev_b32_e32 v2, 16, v80
	v_mul_f32_e32 v2, v42, v2
	v_and_b32_e32 v80, 0x7f800000, v2
	v_cmp_ne_u32_e64 s[2:3], s16, v80
                                        ; implicit-def: $vgpr80
	s_and_saveexec_b64 s[12:13], s[2:3]
	s_xor_b64 s[2:3], exec, s[12:13]
; %bb.253:                              ;   in Loop: Header=BB186_44 Depth=1
	v_bfe_u32 v80, v2, 16, 1
	v_add3_u32 v80, v2, v80, s17
                                        ; implicit-def: $vgpr2
; %bb.254:                              ;   in Loop: Header=BB186_44 Depth=1
	s_andn2_saveexec_b64 s[12:13], s[2:3]
; %bb.255:                              ;   in Loop: Header=BB186_44 Depth=1
	v_or_b32_e32 v80, 0x10000, v2
	v_cmp_eq_u32_sdwa s[2:3], v2, v25 src0_sel:WORD_0 src1_sel:DWORD
	v_cndmask_b32_e64 v80, v80, v2, s[2:3]
; %bb.256:                              ;   in Loop: Header=BB186_44 Depth=1
	s_or_b64 exec, exec, s[12:13]
	v_lshlrev_b32_e32 v2, 16, v3
	v_mul_f32_e32 v2, v43, v2
	v_and_b32_e32 v3, 0x7f800000, v2
	v_cmp_ne_u32_e64 s[2:3], s16, v3
                                        ; implicit-def: $vgpr81
	s_and_saveexec_b64 s[12:13], s[2:3]
	s_xor_b64 s[2:3], exec, s[12:13]
; %bb.257:                              ;   in Loop: Header=BB186_44 Depth=1
	v_bfe_u32 v3, v2, 16, 1
	v_add3_u32 v81, v2, v3, s17
                                        ; implicit-def: $vgpr2
; %bb.258:                              ;   in Loop: Header=BB186_44 Depth=1
	s_andn2_saveexec_b64 s[12:13], s[2:3]
; %bb.259:                              ;   in Loop: Header=BB186_44 Depth=1
	v_or_b32_e32 v3, 0x10000, v2
	v_cmp_eq_u32_sdwa s[2:3], v2, v25 src0_sel:WORD_0 src1_sel:DWORD
	v_cndmask_b32_e64 v81, v3, v2, s[2:3]
; %bb.260:                              ;   in Loop: Header=BB186_44 Depth=1
	s_or_b64 exec, exec, s[12:13]
	v_lshlrev_b32_e32 v2, 16, v82
	v_mul_f32_e32 v2, v44, v2
	v_and_b32_e32 v3, 0x7f800000, v2
	v_cmp_ne_u32_e64 s[2:3], s16, v3
                                        ; implicit-def: $vgpr82
	s_and_saveexec_b64 s[12:13], s[2:3]
	s_xor_b64 s[2:3], exec, s[12:13]
; %bb.261:                              ;   in Loop: Header=BB186_44 Depth=1
	v_bfe_u32 v3, v2, 16, 1
	v_add3_u32 v82, v2, v3, s17
                                        ; implicit-def: $vgpr2
; %bb.262:                              ;   in Loop: Header=BB186_44 Depth=1
	s_andn2_saveexec_b64 s[12:13], s[2:3]
; %bb.263:                              ;   in Loop: Header=BB186_44 Depth=1
	v_or_b32_e32 v3, 0x10000, v2
	v_cmp_eq_u32_sdwa s[2:3], v2, v25 src0_sel:WORD_0 src1_sel:DWORD
	v_cndmask_b32_e64 v82, v3, v2, s[2:3]
; %bb.264:                              ;   in Loop: Header=BB186_44 Depth=1
	s_or_b64 exec, exec, s[12:13]
	v_lshlrev_b32_e32 v2, 16, v4
	v_mul_f32_e32 v2, v45, v2
	v_and_b32_e32 v3, 0x7f800000, v2
	v_cmp_ne_u32_e64 s[2:3], s16, v3
                                        ; implicit-def: $vgpr83
	s_and_saveexec_b64 s[12:13], s[2:3]
	s_xor_b64 s[2:3], exec, s[12:13]
; %bb.265:                              ;   in Loop: Header=BB186_44 Depth=1
	v_bfe_u32 v3, v2, 16, 1
	v_add3_u32 v83, v2, v3, s17
                                        ; implicit-def: $vgpr2
; %bb.266:                              ;   in Loop: Header=BB186_44 Depth=1
	s_andn2_saveexec_b64 s[12:13], s[2:3]
; %bb.267:                              ;   in Loop: Header=BB186_44 Depth=1
	v_or_b32_e32 v3, 0x10000, v2
	v_cmp_eq_u32_sdwa s[2:3], v2, v25 src0_sel:WORD_0 src1_sel:DWORD
	v_cndmask_b32_e64 v83, v3, v2, s[2:3]
; %bb.268:                              ;   in Loop: Header=BB186_44 Depth=1
	s_or_b64 exec, exec, s[12:13]
	v_lshlrev_b32_e32 v2, 16, v84
	v_mul_f32_e32 v2, v46, v2
	v_and_b32_e32 v3, 0x7f800000, v2
	v_cmp_ne_u32_e64 s[2:3], s16, v3
                                        ; implicit-def: $vgpr84
	s_and_saveexec_b64 s[12:13], s[2:3]
	s_xor_b64 s[2:3], exec, s[12:13]
; %bb.269:                              ;   in Loop: Header=BB186_44 Depth=1
	v_bfe_u32 v3, v2, 16, 1
	v_add3_u32 v84, v2, v3, s17
                                        ; implicit-def: $vgpr2
; %bb.270:                              ;   in Loop: Header=BB186_44 Depth=1
	s_andn2_saveexec_b64 s[12:13], s[2:3]
; %bb.271:                              ;   in Loop: Header=BB186_44 Depth=1
	v_or_b32_e32 v3, 0x10000, v2
	v_cmp_eq_u32_sdwa s[2:3], v2, v25 src0_sel:WORD_0 src1_sel:DWORD
	v_cndmask_b32_e64 v84, v3, v2, s[2:3]
; %bb.272:                              ;   in Loop: Header=BB186_44 Depth=1
	s_or_b64 exec, exec, s[12:13]
	v_lshlrev_b32_e32 v2, 16, v5
	v_mul_f32_e32 v2, v47, v2
	v_and_b32_e32 v3, 0x7f800000, v2
	v_cmp_ne_u32_e64 s[2:3], s16, v3
                                        ; implicit-def: $vgpr85
	s_and_saveexec_b64 s[12:13], s[2:3]
	s_xor_b64 s[2:3], exec, s[12:13]
; %bb.273:                              ;   in Loop: Header=BB186_44 Depth=1
	v_bfe_u32 v3, v2, 16, 1
	v_add3_u32 v85, v2, v3, s17
                                        ; implicit-def: $vgpr2
; %bb.274:                              ;   in Loop: Header=BB186_44 Depth=1
	s_andn2_saveexec_b64 s[12:13], s[2:3]
; %bb.275:                              ;   in Loop: Header=BB186_44 Depth=1
	v_or_b32_e32 v3, 0x10000, v2
	v_cmp_eq_u32_sdwa s[2:3], v2, v25 src0_sel:WORD_0 src1_sel:DWORD
	v_cndmask_b32_e64 v85, v3, v2, s[2:3]
; %bb.276:                              ;   in Loop: Header=BB186_44 Depth=1
	s_or_b64 exec, exec, s[12:13]
	v_lshlrev_b32_e32 v2, 16, v86
	v_mul_f32_e32 v2, v48, v2
	v_and_b32_e32 v3, 0x7f800000, v2
	v_cmp_ne_u32_e64 s[2:3], s16, v3
                                        ; implicit-def: $vgpr86
	s_and_saveexec_b64 s[12:13], s[2:3]
	s_xor_b64 s[2:3], exec, s[12:13]
; %bb.277:                              ;   in Loop: Header=BB186_44 Depth=1
	v_bfe_u32 v3, v2, 16, 1
	v_add3_u32 v86, v2, v3, s17
                                        ; implicit-def: $vgpr2
; %bb.278:                              ;   in Loop: Header=BB186_44 Depth=1
	s_andn2_saveexec_b64 s[12:13], s[2:3]
; %bb.279:                              ;   in Loop: Header=BB186_44 Depth=1
	v_or_b32_e32 v3, 0x10000, v2
	v_cmp_eq_u32_sdwa s[2:3], v2, v25 src0_sel:WORD_0 src1_sel:DWORD
	v_cndmask_b32_e64 v86, v3, v2, s[2:3]
; %bb.280:                              ;   in Loop: Header=BB186_44 Depth=1
	s_or_b64 exec, exec, s[12:13]
	v_add_co_u32_e64 v2, s[2:3], v39, v30
	v_addc_co_u32_e64 v3, s[2:3], 0, v40, s[2:3]
	global_load_dwordx4 v[2:5], v[2:3], off
	s_waitcnt vmcnt(0)
	v_lshrrev_b32_e32 v88, 16, v2
	v_lshrrev_b32_e32 v90, 16, v3
	;; [unrolled: 1-line block ×4, first 2 shown]
	s_and_saveexec_b64 s[12:13], s[0:1]
	s_cbranch_execz .LBB186_282
; %bb.281:                              ;   in Loop: Header=BB186_44 Depth=1
	v_cmp_gt_i32_e64 s[2:3], s25, v38
	v_add_u32_e32 v87, -6, v26
	v_cndmask_b32_e64 v2, 0, v2, s[2:3]
	v_cmp_gt_i32_e64 s[2:3], s25, v87
	v_add_u32_e32 v87, -5, v26
	v_cndmask_b32_e64 v88, 0, v88, s[2:3]
	;; [unrolled: 3-line block ×6, first 2 shown]
	v_cmp_gt_i32_e64 s[2:3], s25, v87
	v_cndmask_b32_e64 v5, 0, v5, s[2:3]
	v_cmp_gt_i32_e64 s[2:3], s25, v26
	v_cndmask_b32_e64 v94, 0, v94, s[2:3]
.LBB186_282:                            ;   in Loop: Header=BB186_44 Depth=1
	s_or_b64 exec, exec, s[12:13]
	v_lshlrev_b32_e32 v2, 16, v2
	v_mul_f32_e32 v2, v41, v2
	v_and_b32_e32 v87, 0x7f800000, v2
	v_cmp_ne_u32_e64 s[2:3], s16, v87
                                        ; implicit-def: $vgpr87
	s_and_saveexec_b64 s[12:13], s[2:3]
	s_xor_b64 s[2:3], exec, s[12:13]
; %bb.283:                              ;   in Loop: Header=BB186_44 Depth=1
	v_bfe_u32 v87, v2, 16, 1
	v_add3_u32 v87, v2, v87, s17
                                        ; implicit-def: $vgpr2
; %bb.284:                              ;   in Loop: Header=BB186_44 Depth=1
	s_andn2_saveexec_b64 s[12:13], s[2:3]
; %bb.285:                              ;   in Loop: Header=BB186_44 Depth=1
	v_or_b32_e32 v87, 0x10000, v2
	v_cmp_eq_u32_sdwa s[2:3], v2, v25 src0_sel:WORD_0 src1_sel:DWORD
	v_cndmask_b32_e64 v87, v87, v2, s[2:3]
; %bb.286:                              ;   in Loop: Header=BB186_44 Depth=1
	s_or_b64 exec, exec, s[12:13]
	v_lshlrev_b32_e32 v2, 16, v88
	v_mul_f32_e32 v2, v42, v2
	v_and_b32_e32 v88, 0x7f800000, v2
	v_cmp_ne_u32_e64 s[2:3], s16, v88
                                        ; implicit-def: $vgpr88
	s_and_saveexec_b64 s[12:13], s[2:3]
	s_xor_b64 s[2:3], exec, s[12:13]
; %bb.287:                              ;   in Loop: Header=BB186_44 Depth=1
	v_bfe_u32 v88, v2, 16, 1
	v_add3_u32 v88, v2, v88, s17
                                        ; implicit-def: $vgpr2
; %bb.288:                              ;   in Loop: Header=BB186_44 Depth=1
	s_andn2_saveexec_b64 s[12:13], s[2:3]
; %bb.289:                              ;   in Loop: Header=BB186_44 Depth=1
	v_or_b32_e32 v88, 0x10000, v2
	v_cmp_eq_u32_sdwa s[2:3], v2, v25 src0_sel:WORD_0 src1_sel:DWORD
	v_cndmask_b32_e64 v88, v88, v2, s[2:3]
; %bb.290:                              ;   in Loop: Header=BB186_44 Depth=1
	s_or_b64 exec, exec, s[12:13]
	v_lshlrev_b32_e32 v2, 16, v3
	v_mul_f32_e32 v2, v43, v2
	v_and_b32_e32 v3, 0x7f800000, v2
	v_cmp_ne_u32_e64 s[2:3], s16, v3
                                        ; implicit-def: $vgpr89
	s_and_saveexec_b64 s[12:13], s[2:3]
	s_xor_b64 s[2:3], exec, s[12:13]
; %bb.291:                              ;   in Loop: Header=BB186_44 Depth=1
	v_bfe_u32 v3, v2, 16, 1
	v_add3_u32 v89, v2, v3, s17
                                        ; implicit-def: $vgpr2
; %bb.292:                              ;   in Loop: Header=BB186_44 Depth=1
	s_andn2_saveexec_b64 s[12:13], s[2:3]
; %bb.293:                              ;   in Loop: Header=BB186_44 Depth=1
	v_or_b32_e32 v3, 0x10000, v2
	v_cmp_eq_u32_sdwa s[2:3], v2, v25 src0_sel:WORD_0 src1_sel:DWORD
	v_cndmask_b32_e64 v89, v3, v2, s[2:3]
; %bb.294:                              ;   in Loop: Header=BB186_44 Depth=1
	s_or_b64 exec, exec, s[12:13]
	v_lshlrev_b32_e32 v2, 16, v90
	v_mul_f32_e32 v2, v44, v2
	v_and_b32_e32 v3, 0x7f800000, v2
	v_cmp_ne_u32_e64 s[2:3], s16, v3
                                        ; implicit-def: $vgpr90
	s_and_saveexec_b64 s[12:13], s[2:3]
	s_xor_b64 s[2:3], exec, s[12:13]
; %bb.295:                              ;   in Loop: Header=BB186_44 Depth=1
	v_bfe_u32 v3, v2, 16, 1
	v_add3_u32 v90, v2, v3, s17
                                        ; implicit-def: $vgpr2
; %bb.296:                              ;   in Loop: Header=BB186_44 Depth=1
	s_andn2_saveexec_b64 s[12:13], s[2:3]
; %bb.297:                              ;   in Loop: Header=BB186_44 Depth=1
	v_or_b32_e32 v3, 0x10000, v2
	v_cmp_eq_u32_sdwa s[2:3], v2, v25 src0_sel:WORD_0 src1_sel:DWORD
	v_cndmask_b32_e64 v90, v3, v2, s[2:3]
; %bb.298:                              ;   in Loop: Header=BB186_44 Depth=1
	s_or_b64 exec, exec, s[12:13]
	v_lshlrev_b32_e32 v2, 16, v4
	v_mul_f32_e32 v2, v45, v2
	v_and_b32_e32 v3, 0x7f800000, v2
	v_cmp_ne_u32_e64 s[2:3], s16, v3
                                        ; implicit-def: $vgpr91
	s_and_saveexec_b64 s[12:13], s[2:3]
	s_xor_b64 s[2:3], exec, s[12:13]
; %bb.299:                              ;   in Loop: Header=BB186_44 Depth=1
	v_bfe_u32 v3, v2, 16, 1
	v_add3_u32 v91, v2, v3, s17
                                        ; implicit-def: $vgpr2
; %bb.300:                              ;   in Loop: Header=BB186_44 Depth=1
	s_andn2_saveexec_b64 s[12:13], s[2:3]
; %bb.301:                              ;   in Loop: Header=BB186_44 Depth=1
	v_or_b32_e32 v3, 0x10000, v2
	v_cmp_eq_u32_sdwa s[2:3], v2, v25 src0_sel:WORD_0 src1_sel:DWORD
	v_cndmask_b32_e64 v91, v3, v2, s[2:3]
; %bb.302:                              ;   in Loop: Header=BB186_44 Depth=1
	s_or_b64 exec, exec, s[12:13]
	v_lshlrev_b32_e32 v2, 16, v92
	v_mul_f32_e32 v2, v46, v2
	v_and_b32_e32 v3, 0x7f800000, v2
	v_cmp_ne_u32_e64 s[2:3], s16, v3
                                        ; implicit-def: $vgpr92
	s_and_saveexec_b64 s[12:13], s[2:3]
	s_xor_b64 s[2:3], exec, s[12:13]
; %bb.303:                              ;   in Loop: Header=BB186_44 Depth=1
	v_bfe_u32 v3, v2, 16, 1
	v_add3_u32 v92, v2, v3, s17
                                        ; implicit-def: $vgpr2
; %bb.304:                              ;   in Loop: Header=BB186_44 Depth=1
	s_andn2_saveexec_b64 s[12:13], s[2:3]
; %bb.305:                              ;   in Loop: Header=BB186_44 Depth=1
	v_or_b32_e32 v3, 0x10000, v2
	v_cmp_eq_u32_sdwa s[2:3], v2, v25 src0_sel:WORD_0 src1_sel:DWORD
	v_cndmask_b32_e64 v92, v3, v2, s[2:3]
; %bb.306:                              ;   in Loop: Header=BB186_44 Depth=1
	s_or_b64 exec, exec, s[12:13]
	v_lshlrev_b32_e32 v2, 16, v5
	v_mul_f32_e32 v2, v47, v2
	v_and_b32_e32 v3, 0x7f800000, v2
	v_cmp_ne_u32_e64 s[2:3], s16, v3
                                        ; implicit-def: $vgpr93
	s_and_saveexec_b64 s[12:13], s[2:3]
	s_xor_b64 s[2:3], exec, s[12:13]
; %bb.307:                              ;   in Loop: Header=BB186_44 Depth=1
	v_bfe_u32 v3, v2, 16, 1
	v_add3_u32 v93, v2, v3, s17
                                        ; implicit-def: $vgpr2
; %bb.308:                              ;   in Loop: Header=BB186_44 Depth=1
	s_andn2_saveexec_b64 s[12:13], s[2:3]
; %bb.309:                              ;   in Loop: Header=BB186_44 Depth=1
	v_or_b32_e32 v3, 0x10000, v2
	v_cmp_eq_u32_sdwa s[2:3], v2, v25 src0_sel:WORD_0 src1_sel:DWORD
	v_cndmask_b32_e64 v93, v3, v2, s[2:3]
; %bb.310:                              ;   in Loop: Header=BB186_44 Depth=1
	s_or_b64 exec, exec, s[12:13]
	v_lshlrev_b32_e32 v2, 16, v94
	v_mul_f32_e32 v2, v48, v2
	v_and_b32_e32 v3, 0x7f800000, v2
	v_cmp_ne_u32_e64 s[2:3], s16, v3
                                        ; implicit-def: $vgpr94
	s_and_saveexec_b64 s[12:13], s[2:3]
	s_xor_b64 s[2:3], exec, s[12:13]
	s_cbranch_execnz .LBB186_313
; %bb.311:                              ;   in Loop: Header=BB186_44 Depth=1
	s_andn2_saveexec_b64 s[12:13], s[2:3]
	s_cbranch_execnz .LBB186_314
.LBB186_312:                            ;   in Loop: Header=BB186_44 Depth=1
	s_or_b64 exec, exec, s[12:13]
	s_and_saveexec_b64 s[12:13], vcc
	s_cbranch_execz .LBB186_43
	s_branch .LBB186_315
.LBB186_313:                            ;   in Loop: Header=BB186_44 Depth=1
	v_bfe_u32 v3, v2, 16, 1
	v_add3_u32 v94, v2, v3, s17
                                        ; implicit-def: $vgpr2
	s_andn2_saveexec_b64 s[12:13], s[2:3]
	s_cbranch_execz .LBB186_312
.LBB186_314:                            ;   in Loop: Header=BB186_44 Depth=1
	v_or_b32_e32 v3, 0x10000, v2
	v_cmp_eq_u32_sdwa s[2:3], v2, v25 src0_sel:WORD_0 src1_sel:DWORD
	v_cndmask_b32_e64 v94, v3, v2, s[2:3]
	s_or_b64 exec, exec, s[12:13]
	s_and_saveexec_b64 s[12:13], vcc
	s_cbranch_execz .LBB186_43
.LBB186_315:                            ;   in Loop: Header=BB186_44 Depth=1
	v_add_co_u32_e64 v2, s[2:3], v39, v31
	v_addc_co_u32_e64 v3, s[2:3], 0, v40, s[2:3]
	global_load_dwordx4 v[2:5], v[2:3], off
	s_waitcnt vmcnt(0)
	v_lshrrev_b32_e32 v96, 16, v2
	v_lshrrev_b32_e32 v95, 16, v3
	;; [unrolled: 1-line block ×4, first 2 shown]
	s_and_saveexec_b64 s[2:3], s[0:1]
	s_cbranch_execz .LBB186_317
; %bb.316:                              ;   in Loop: Header=BB186_44 Depth=1
	v_cmp_gt_i32_e64 s[0:1], s25, v38
	v_add_u32_e32 v38, -6, v26
	v_cndmask_b32_e64 v2, 0, v2, s[0:1]
	v_cmp_gt_i32_e64 s[0:1], s25, v38
	v_add_u32_e32 v38, -5, v26
	v_cndmask_b32_e64 v96, 0, v96, s[0:1]
	;; [unrolled: 3-line block ×6, first 2 shown]
	v_cmp_gt_i32_e64 s[0:1], s25, v38
	v_cndmask_b32_e64 v5, 0, v5, s[0:1]
	v_cmp_gt_i32_e64 s[0:1], s25, v26
	v_cndmask_b32_e64 v39, 0, v39, s[0:1]
.LBB186_317:                            ;   in Loop: Header=BB186_44 Depth=1
	s_or_b64 exec, exec, s[2:3]
	v_lshlrev_b32_e32 v2, 16, v2
	v_mul_f32_e32 v38, v41, v2
	v_and_b32_e32 v2, 0x7f800000, v38
	v_cmp_ne_u32_e64 s[0:1], s16, v2
                                        ; implicit-def: $vgpr2
	s_and_saveexec_b64 s[2:3], s[0:1]
	s_xor_b64 s[0:1], exec, s[2:3]
; %bb.318:                              ;   in Loop: Header=BB186_44 Depth=1
	v_bfe_u32 v2, v38, 16, 1
	v_add3_u32 v2, v38, v2, s17
                                        ; implicit-def: $vgpr38
; %bb.319:                              ;   in Loop: Header=BB186_44 Depth=1
	s_andn2_saveexec_b64 s[2:3], s[0:1]
; %bb.320:                              ;   in Loop: Header=BB186_44 Depth=1
	v_or_b32_e32 v2, 0x10000, v38
	v_cmp_eq_u32_sdwa s[0:1], v38, v25 src0_sel:WORD_0 src1_sel:DWORD
	v_cndmask_b32_e64 v2, v2, v38, s[0:1]
; %bb.321:                              ;   in Loop: Header=BB186_44 Depth=1
	s_or_b64 exec, exec, s[2:3]
	v_lshlrev_b32_e32 v38, 16, v96
	v_mul_f32_e32 v41, v42, v38
	v_and_b32_e32 v38, 0x7f800000, v41
	v_cmp_ne_u32_e64 s[0:1], s16, v38
                                        ; implicit-def: $vgpr38
	s_and_saveexec_b64 s[2:3], s[0:1]
	s_xor_b64 s[0:1], exec, s[2:3]
; %bb.322:                              ;   in Loop: Header=BB186_44 Depth=1
	v_bfe_u32 v38, v41, 16, 1
	v_add3_u32 v38, v41, v38, s17
                                        ; implicit-def: $vgpr41
; %bb.323:                              ;   in Loop: Header=BB186_44 Depth=1
	s_andn2_saveexec_b64 s[2:3], s[0:1]
; %bb.324:                              ;   in Loop: Header=BB186_44 Depth=1
	v_or_b32_e32 v38, 0x10000, v41
	v_cmp_eq_u32_sdwa s[0:1], v41, v25 src0_sel:WORD_0 src1_sel:DWORD
	v_cndmask_b32_e64 v38, v38, v41, s[0:1]
; %bb.325:                              ;   in Loop: Header=BB186_44 Depth=1
	s_or_b64 exec, exec, s[2:3]
	v_lshlrev_b32_e32 v3, 16, v3
	v_mul_f32_e32 v41, v43, v3
	v_and_b32_e32 v3, 0x7f800000, v41
	v_cmp_ne_u32_e64 s[0:1], s16, v3
                                        ; implicit-def: $vgpr3
	s_and_saveexec_b64 s[2:3], s[0:1]
	s_xor_b64 s[0:1], exec, s[2:3]
; %bb.326:                              ;   in Loop: Header=BB186_44 Depth=1
	v_bfe_u32 v3, v41, 16, 1
	v_add3_u32 v3, v41, v3, s17
                                        ; implicit-def: $vgpr41
; %bb.327:                              ;   in Loop: Header=BB186_44 Depth=1
	s_andn2_saveexec_b64 s[2:3], s[0:1]
; %bb.328:                              ;   in Loop: Header=BB186_44 Depth=1
	v_or_b32_e32 v3, 0x10000, v41
	v_cmp_eq_u32_sdwa s[0:1], v41, v25 src0_sel:WORD_0 src1_sel:DWORD
	v_cndmask_b32_e64 v3, v3, v41, s[0:1]
; %bb.329:                              ;   in Loop: Header=BB186_44 Depth=1
	s_or_b64 exec, exec, s[2:3]
	v_lshlrev_b32_e32 v41, 16, v95
	v_mul_f32_e32 v42, v44, v41
	v_and_b32_e32 v41, 0x7f800000, v42
	v_cmp_ne_u32_e64 s[0:1], s16, v41
                                        ; implicit-def: $vgpr41
	s_and_saveexec_b64 s[2:3], s[0:1]
	s_xor_b64 s[0:1], exec, s[2:3]
; %bb.330:                              ;   in Loop: Header=BB186_44 Depth=1
	v_bfe_u32 v41, v42, 16, 1
	v_add3_u32 v41, v42, v41, s17
                                        ; implicit-def: $vgpr42
; %bb.331:                              ;   in Loop: Header=BB186_44 Depth=1
	s_andn2_saveexec_b64 s[2:3], s[0:1]
; %bb.332:                              ;   in Loop: Header=BB186_44 Depth=1
	v_or_b32_e32 v41, 0x10000, v42
	v_cmp_eq_u32_sdwa s[0:1], v42, v25 src0_sel:WORD_0 src1_sel:DWORD
	v_cndmask_b32_e64 v41, v41, v42, s[0:1]
; %bb.333:                              ;   in Loop: Header=BB186_44 Depth=1
	s_or_b64 exec, exec, s[2:3]
	v_lshlrev_b32_e32 v4, 16, v4
	v_mul_f32_e32 v42, v45, v4
	v_and_b32_e32 v4, 0x7f800000, v42
	v_cmp_ne_u32_e64 s[0:1], s16, v4
                                        ; implicit-def: $vgpr4
	s_and_saveexec_b64 s[2:3], s[0:1]
	s_xor_b64 s[0:1], exec, s[2:3]
; %bb.334:                              ;   in Loop: Header=BB186_44 Depth=1
	v_bfe_u32 v4, v42, 16, 1
	v_add3_u32 v4, v42, v4, s17
                                        ; implicit-def: $vgpr42
; %bb.335:                              ;   in Loop: Header=BB186_44 Depth=1
	s_andn2_saveexec_b64 s[2:3], s[0:1]
; %bb.336:                              ;   in Loop: Header=BB186_44 Depth=1
	v_or_b32_e32 v4, 0x10000, v42
	v_cmp_eq_u32_sdwa s[0:1], v42, v25 src0_sel:WORD_0 src1_sel:DWORD
	v_cndmask_b32_e64 v4, v4, v42, s[0:1]
; %bb.337:                              ;   in Loop: Header=BB186_44 Depth=1
	s_or_b64 exec, exec, s[2:3]
	v_lshlrev_b32_e32 v40, 16, v40
	v_mul_f32_e32 v42, v46, v40
	v_and_b32_e32 v40, 0x7f800000, v42
	v_cmp_ne_u32_e64 s[0:1], s16, v40
                                        ; implicit-def: $vgpr40
	s_and_saveexec_b64 s[2:3], s[0:1]
	s_xor_b64 s[0:1], exec, s[2:3]
; %bb.338:                              ;   in Loop: Header=BB186_44 Depth=1
	v_bfe_u32 v40, v42, 16, 1
	v_add3_u32 v40, v42, v40, s17
                                        ; implicit-def: $vgpr42
; %bb.339:                              ;   in Loop: Header=BB186_44 Depth=1
	s_andn2_saveexec_b64 s[2:3], s[0:1]
; %bb.340:                              ;   in Loop: Header=BB186_44 Depth=1
	v_or_b32_e32 v40, 0x10000, v42
	v_cmp_eq_u32_sdwa s[0:1], v42, v25 src0_sel:WORD_0 src1_sel:DWORD
	v_cndmask_b32_e64 v40, v40, v42, s[0:1]
; %bb.341:                              ;   in Loop: Header=BB186_44 Depth=1
	s_or_b64 exec, exec, s[2:3]
	v_lshlrev_b32_e32 v5, 16, v5
	v_mul_f32_e32 v42, v47, v5
	v_and_b32_e32 v5, 0x7f800000, v42
	v_cmp_ne_u32_e64 s[0:1], s16, v5
                                        ; implicit-def: $vgpr5
	s_and_saveexec_b64 s[2:3], s[0:1]
	s_xor_b64 s[0:1], exec, s[2:3]
; %bb.342:                              ;   in Loop: Header=BB186_44 Depth=1
	v_bfe_u32 v5, v42, 16, 1
	v_add3_u32 v5, v42, v5, s17
                                        ; implicit-def: $vgpr42
; %bb.343:                              ;   in Loop: Header=BB186_44 Depth=1
	s_andn2_saveexec_b64 s[2:3], s[0:1]
; %bb.344:                              ;   in Loop: Header=BB186_44 Depth=1
	v_or_b32_e32 v5, 0x10000, v42
	v_cmp_eq_u32_sdwa s[0:1], v42, v25 src0_sel:WORD_0 src1_sel:DWORD
	v_cndmask_b32_e64 v5, v5, v42, s[0:1]
; %bb.345:                              ;   in Loop: Header=BB186_44 Depth=1
	s_or_b64 exec, exec, s[2:3]
	v_lshlrev_b32_e32 v39, 16, v39
	v_mul_f32_e32 v39, v48, v39
	v_and_b32_e32 v42, 0x7f800000, v39
	v_cmp_ne_u32_e64 s[0:1], s16, v42
                                        ; implicit-def: $vgpr42
	s_and_saveexec_b64 s[2:3], s[0:1]
	s_xor_b64 s[0:1], exec, s[2:3]
; %bb.346:                              ;   in Loop: Header=BB186_44 Depth=1
	v_bfe_u32 v42, v39, 16, 1
	v_add3_u32 v42, v39, v42, s17
                                        ; implicit-def: $vgpr39
; %bb.347:                              ;   in Loop: Header=BB186_44 Depth=1
	s_andn2_saveexec_b64 s[2:3], s[0:1]
	s_cbranch_execz .LBB186_42
; %bb.348:                              ;   in Loop: Header=BB186_44 Depth=1
	v_or_b32_e32 v42, 0x10000, v39
	v_cmp_eq_u32_sdwa s[0:1], v39, v25 src0_sel:WORD_0 src1_sel:DWORD
	v_cndmask_b32_e64 v42, v42, v39, s[0:1]
	s_branch .LBB186_42
.LBB186_349:
	s_or_b64 exec, exec, s[10:11]
.LBB186_350:
	s_or_b64 exec, exec, s[6:7]
	ds_bpermute_b32 v4, v1, v16
	ds_bpermute_b32 v5, v1, v17
	;; [unrolled: 1-line block ×6, first 2 shown]
	s_waitcnt lgkmcnt(4)
	v_pk_add_f32 v[4:5], v[16:17], v[4:5]
	ds_bpermute_b32 v16, v1, v12
	ds_bpermute_b32 v17, v1, v13
	s_waitcnt lgkmcnt(4)
	v_pk_add_f32 v[2:3], v[18:19], v[2:3]
	s_waitcnt lgkmcnt(2)
	v_pk_add_f32 v[14:15], v[14:15], v[8:9]
	ds_bpermute_b32 v6, v22, v2
	ds_bpermute_b32 v7, v22, v3
	s_waitcnt lgkmcnt(2)
	v_pk_add_f32 v[12:13], v[12:13], v[16:17]
	ds_bpermute_b32 v10, v22, v4
	ds_bpermute_b32 v11, v22, v5
	;; [unrolled: 1-line block ×6, first 2 shown]
	v_and_b32_e32 v1, 0x3c0, v0
	s_waitcnt lgkmcnt(6)
	v_pk_add_f32 v[8:9], v[2:3], v[6:7]
	s_waitcnt lgkmcnt(4)
	v_pk_add_f32 v[4:5], v[4:5], v[10:11]
	s_waitcnt lgkmcnt(2)
	v_pk_add_f32 v[2:3], v[14:15], v[18:19]
	s_waitcnt lgkmcnt(0)
	v_pk_add_f32 v[6:7], v[12:13], v[16:17]
	v_cmp_eq_u32_e32 vcc, 64, v1
	s_barrier
	s_and_saveexec_b64 s[2:3], vcc
	s_cbranch_execz .LBB186_355
; %bb.351:
	v_cmp_eq_u32_e32 vcc, 0, v23
	s_and_saveexec_b64 s[0:1], vcc
	s_cbranch_execz .LBB186_353
; %bb.352:
	v_mov_b32_e32 v1, 0x100
	v_lshl_add_u32 v1, v24, 2, v1
	ds_write2_b32 v1, v8, v9 offset1:16
	ds_write2_b32 v1, v4, v5 offset0:32 offset1:48
	ds_write2_b32 v1, v2, v3 offset0:64 offset1:80
	ds_write_b32 v1, v6 offset:384
.LBB186_353:
	s_or_b64 exec, exec, s[0:1]
	v_or_b32_e32 v1, 0x70, v24
	s_movk_i32 s0, 0x78
	v_cmp_gt_u32_e64 s[0:1], s0, v1
	s_and_b64 s[0:1], vcc, s[0:1]
	s_and_b64 exec, exec, s[0:1]
	s_cbranch_execz .LBB186_355
; %bb.354:
	v_mov_b32_e32 v1, 0x100
	v_lshl_add_u32 v1, v24, 2, v1
	ds_write_b32 v1, v7 offset:448
.LBB186_355:
	s_or_b64 exec, exec, s[2:3]
	v_cmp_gt_u32_e32 vcc, 64, v0
	v_lshrrev_b32_e32 v10, 2, v0
	s_waitcnt lgkmcnt(0)
	s_barrier
	s_and_saveexec_b64 s[6:7], vcc
	s_cbranch_execz .LBB186_367
; %bb.356:
	v_cmp_eq_u32_e64 s[0:1], 0, v23
	s_and_saveexec_b64 s[2:3], s[0:1]
	s_cbranch_execnz .LBB186_405
; %bb.357:
	s_or_b64 exec, exec, s[2:3]
	s_and_saveexec_b64 s[2:3], s[0:1]
	s_cbranch_execnz .LBB186_406
.LBB186_358:
	s_or_b64 exec, exec, s[2:3]
	s_and_saveexec_b64 s[2:3], s[0:1]
	s_cbranch_execnz .LBB186_407
.LBB186_359:
	s_or_b64 exec, exec, s[2:3]
	s_and_saveexec_b64 s[2:3], s[0:1]
	s_cbranch_execnz .LBB186_408
.LBB186_360:
	s_or_b64 exec, exec, s[2:3]
	s_and_saveexec_b64 s[2:3], s[0:1]
	s_cbranch_execnz .LBB186_409
.LBB186_361:
	s_or_b64 exec, exec, s[2:3]
	s_and_saveexec_b64 s[2:3], s[0:1]
	s_cbranch_execnz .LBB186_410
.LBB186_362:
	s_or_b64 exec, exec, s[2:3]
	s_and_saveexec_b64 s[2:3], s[0:1]
	s_cbranch_execz .LBB186_364
.LBB186_363:
	v_mov_b32_e32 v0, 0x100
	v_lshl_add_u32 v0, v10, 2, v0
	ds_read_b32 v0, v0 offset:384
	s_waitcnt lgkmcnt(0)
	v_add_f32_e32 v6, v6, v0
.LBB186_364:
	s_or_b64 exec, exec, s[2:3]
	v_or_b32_e32 v0, 0x70, v10
	s_movk_i32 s2, 0x78
	v_cmp_gt_u32_e64 s[2:3], s2, v0
	s_and_b64 s[2:3], s[0:1], s[2:3]
	s_and_saveexec_b64 s[0:1], s[2:3]
	s_cbranch_execz .LBB186_366
; %bb.365:
	v_mov_b32_e32 v0, 0x100
	v_lshl_add_u32 v0, v10, 2, v0
	ds_read_b32 v0, v0 offset:448
	s_waitcnt lgkmcnt(0)
	v_add_f32_e32 v7, v7, v0
.LBB186_366:
	s_or_b64 exec, exec, s[0:1]
.LBB186_367:
	s_or_b64 exec, exec, s[6:7]
	s_barrier
	s_and_saveexec_b64 s[0:1], vcc
	s_cbranch_execz .LBB186_404
; %bb.368:
	s_mul_i32 s0, s4, 0x78
	s_ashr_i32 s1, s0, 31
	s_lshl_b64 s[0:1], s[0:1], 1
	s_add_u32 s2, s22, s0
	s_mul_i32 s0, s21, s20
	s_addc_u32 s3, s23, s1
	s_ashr_i32 s1, s0, 31
	s_lshl_b64 s[0:1], s[0:1], 1
	s_add_u32 s2, s2, s0
	s_mul_i32 s0, s8, 0x78
	s_addc_u32 s3, s3, s1
	s_ashr_i32 s1, s0, 31
	s_lshl_b64 s[0:1], s[0:1], 1
	s_add_u32 s2, s2, s0
	s_addc_u32 s3, s3, s1
	v_cmp_eq_u32_e32 vcc, 0, v23
	s_and_saveexec_b64 s[4:5], vcc
	s_cbranch_execz .LBB186_398
; %bb.369:
	s_mov_b32 s0, 0x7f800000
	v_and_b32_e32 v0, 0x7f800000, v8
	v_cmp_ne_u32_e64 s[0:1], s0, v0
                                        ; implicit-def: $vgpr11
	s_and_saveexec_b64 s[6:7], s[0:1]
	s_xor_b64 s[0:1], exec, s[6:7]
; %bb.370:
	v_bfe_u32 v0, v8, 16, 1
	s_movk_i32 s6, 0x7fff
	v_add3_u32 v11, v8, v0, s6
; %bb.371:
	s_andn2_saveexec_b64 s[6:7], s[0:1]
; %bb.372:
	v_mov_b32_e32 v0, 0
	v_or_b32_e32 v1, 0x10000, v8
	v_cmp_eq_u32_sdwa s[0:1], v8, v0 src0_sel:WORD_0 src1_sel:DWORD
	v_cndmask_b32_e64 v11, v1, v8, s[0:1]
; %bb.373:
	s_or_b64 exec, exec, s[6:7]
	v_lshlrev_b32_e32 v8, 1, v10
	v_mov_b32_e32 v1, s3
	v_add_co_u32_e64 v0, s[0:1], s2, v8
	v_addc_co_u32_e64 v1, s[0:1], 0, v1, s[0:1]
	global_store_short_d16_hi v8, v11, s[2:3]
	s_mov_b32 s0, 0x7f800000
	v_and_b32_e32 v8, 0x7f800000, v9
	v_cmp_ne_u32_e64 s[0:1], s0, v8
                                        ; implicit-def: $vgpr8
	s_and_saveexec_b64 s[6:7], s[0:1]
	s_xor_b64 s[0:1], exec, s[6:7]
; %bb.374:
	v_bfe_u32 v8, v9, 16, 1
	s_movk_i32 s6, 0x7fff
	v_add3_u32 v8, v9, v8, s6
; %bb.375:
	s_andn2_saveexec_b64 s[6:7], s[0:1]
; %bb.376:
	v_mov_b32_e32 v8, 0
	v_or_b32_e32 v11, 0x10000, v9
	v_cmp_eq_u32_sdwa s[0:1], v9, v8 src0_sel:WORD_0 src1_sel:DWORD
	v_cndmask_b32_e64 v8, v11, v9, s[0:1]
; %bb.377:
	s_or_b64 exec, exec, s[6:7]
	global_store_short_d16_hi v[0:1], v8, off offset:32
	s_mov_b32 s0, 0x7f800000
	v_and_b32_e32 v8, 0x7f800000, v4
	v_cmp_ne_u32_e64 s[0:1], s0, v8
                                        ; implicit-def: $vgpr8
	s_and_saveexec_b64 s[6:7], s[0:1]
	s_xor_b64 s[0:1], exec, s[6:7]
; %bb.378:
	v_bfe_u32 v8, v4, 16, 1
	s_movk_i32 s6, 0x7fff
	v_add3_u32 v8, v4, v8, s6
; %bb.379:
	s_andn2_saveexec_b64 s[6:7], s[0:1]
; %bb.380:
	v_mov_b32_e32 v8, 0
	v_or_b32_e32 v9, 0x10000, v4
	v_cmp_eq_u32_sdwa s[0:1], v4, v8 src0_sel:WORD_0 src1_sel:DWORD
	v_cndmask_b32_e64 v8, v9, v4, s[0:1]
; %bb.381:
	s_or_b64 exec, exec, s[6:7]
	s_mov_b32 s0, 0x7f800000
	v_and_b32_e32 v4, 0x7f800000, v5
	v_cmp_ne_u32_e64 s[0:1], s0, v4
	global_store_short_d16_hi v[0:1], v8, off offset:64
                                        ; implicit-def: $vgpr4
	s_and_saveexec_b64 s[6:7], s[0:1]
	s_xor_b64 s[0:1], exec, s[6:7]
; %bb.382:
	v_bfe_u32 v4, v5, 16, 1
	s_movk_i32 s6, 0x7fff
	v_add3_u32 v4, v5, v4, s6
; %bb.383:
	s_andn2_saveexec_b64 s[6:7], s[0:1]
; %bb.384:
	v_mov_b32_e32 v4, 0
	v_or_b32_e32 v8, 0x10000, v5
	v_cmp_eq_u32_sdwa s[0:1], v5, v4 src0_sel:WORD_0 src1_sel:DWORD
	v_cndmask_b32_e64 v4, v8, v5, s[0:1]
; %bb.385:
	s_or_b64 exec, exec, s[6:7]
	global_store_short_d16_hi v[0:1], v4, off offset:96
	s_mov_b32 s0, 0x7f800000
	v_and_b32_e32 v4, 0x7f800000, v2
	v_cmp_ne_u32_e64 s[0:1], s0, v4
                                        ; implicit-def: $vgpr4
	s_and_saveexec_b64 s[6:7], s[0:1]
	s_xor_b64 s[0:1], exec, s[6:7]
; %bb.386:
	v_bfe_u32 v4, v2, 16, 1
	s_movk_i32 s6, 0x7fff
	v_add3_u32 v4, v2, v4, s6
; %bb.387:
	s_andn2_saveexec_b64 s[6:7], s[0:1]
; %bb.388:
	v_mov_b32_e32 v4, 0
	v_or_b32_e32 v5, 0x10000, v2
	v_cmp_eq_u32_sdwa s[0:1], v2, v4 src0_sel:WORD_0 src1_sel:DWORD
	v_cndmask_b32_e64 v4, v5, v2, s[0:1]
; %bb.389:
	s_or_b64 exec, exec, s[6:7]
	s_mov_b32 s0, 0x7f800000
	v_and_b32_e32 v2, 0x7f800000, v3
	v_cmp_ne_u32_e64 s[0:1], s0, v2
	global_store_short_d16_hi v[0:1], v4, off offset:128
                                        ; implicit-def: $vgpr2
	s_and_saveexec_b64 s[6:7], s[0:1]
	s_xor_b64 s[0:1], exec, s[6:7]
; %bb.390:
	v_bfe_u32 v2, v3, 16, 1
	s_movk_i32 s6, 0x7fff
	v_add3_u32 v2, v3, v2, s6
; %bb.391:
	s_andn2_saveexec_b64 s[6:7], s[0:1]
; %bb.392:
	v_mov_b32_e32 v2, 0
	v_or_b32_e32 v4, 0x10000, v3
	v_cmp_eq_u32_sdwa s[0:1], v3, v2 src0_sel:WORD_0 src1_sel:DWORD
	v_cndmask_b32_e64 v2, v4, v3, s[0:1]
; %bb.393:
	s_or_b64 exec, exec, s[6:7]
	global_store_short_d16_hi v[0:1], v2, off offset:160
	s_mov_b32 s0, 0x7f800000
	v_and_b32_e32 v2, 0x7f800000, v6
	v_cmp_ne_u32_e64 s[0:1], s0, v2
                                        ; implicit-def: $vgpr2
	s_and_saveexec_b64 s[6:7], s[0:1]
	s_xor_b64 s[0:1], exec, s[6:7]
; %bb.394:
	v_bfe_u32 v2, v6, 16, 1
	s_movk_i32 s6, 0x7fff
	v_add3_u32 v2, v6, v2, s6
; %bb.395:
	s_andn2_saveexec_b64 s[6:7], s[0:1]
; %bb.396:
	v_mov_b32_e32 v2, 0
	v_or_b32_e32 v3, 0x10000, v6
	v_cmp_eq_u32_sdwa s[0:1], v6, v2 src0_sel:WORD_0 src1_sel:DWORD
	v_cndmask_b32_e64 v2, v3, v6, s[0:1]
; %bb.397:
	s_or_b64 exec, exec, s[6:7]
	global_store_short_d16_hi v[0:1], v2, off offset:192
.LBB186_398:
	s_or_b64 exec, exec, s[4:5]
	v_or_b32_e32 v0, 0x70, v10
	s_movk_i32 s0, 0x78
	v_cmp_gt_u32_e64 s[0:1], s0, v0
	s_and_b64 s[0:1], vcc, s[0:1]
	s_and_b64 exec, exec, s[0:1]
	s_cbranch_execz .LBB186_404
; %bb.399:
	s_mov_b32 s0, 0x7f800000
	v_and_b32_e32 v0, 0x7f800000, v7
	v_cmp_ne_u32_e32 vcc, s0, v0
                                        ; implicit-def: $vgpr8
	s_and_saveexec_b64 s[0:1], vcc
	s_xor_b64 s[0:1], exec, s[0:1]
; %bb.400:
	v_bfe_u32 v0, v7, 16, 1
	s_movk_i32 s4, 0x7fff
	v_add3_u32 v8, v7, v0, s4
                                        ; implicit-def: $vgpr0_vgpr1_vgpr2_vgpr3_vgpr4_vgpr5_vgpr6_vgpr7
; %bb.401:
	s_andn2_saveexec_b64 s[0:1], s[0:1]
; %bb.402:
	v_mov_b32_e32 v0, 0
	v_or_b32_e32 v1, 0x10000, v7
	v_cmp_eq_u32_sdwa vcc, v7, v0 src0_sel:WORD_0 src1_sel:DWORD
	v_cndmask_b32_e32 v8, v1, v7, vcc
; %bb.403:
	s_or_b64 exec, exec, s[0:1]
	v_lshlrev_b32_e32 v0, 1, v10
	global_store_short_d16_hi v0, v8, s[2:3] offset:224
.LBB186_404:
	s_endpgm
.LBB186_405:
	v_mov_b32_e32 v0, 0x100
	v_lshl_add_u32 v0, v10, 2, v0
	ds_read_b32 v0, v0
	s_waitcnt lgkmcnt(0)
	v_add_f32_e32 v8, v8, v0
	s_or_b64 exec, exec, s[2:3]
	s_and_saveexec_b64 s[2:3], s[0:1]
	s_cbranch_execz .LBB186_358
.LBB186_406:
	v_mov_b32_e32 v0, 0x100
	v_lshl_add_u32 v0, v10, 2, v0
	ds_read_b32 v0, v0 offset:64
	s_waitcnt lgkmcnt(0)
	v_add_f32_e32 v9, v9, v0
	s_or_b64 exec, exec, s[2:3]
	s_and_saveexec_b64 s[2:3], s[0:1]
	s_cbranch_execz .LBB186_359
.LBB186_407:
	v_mov_b32_e32 v0, 0x100
	v_lshl_add_u32 v0, v10, 2, v0
	ds_read_b32 v0, v0 offset:128
	s_waitcnt lgkmcnt(0)
	v_add_f32_e32 v4, v4, v0
	s_or_b64 exec, exec, s[2:3]
	s_and_saveexec_b64 s[2:3], s[0:1]
	s_cbranch_execz .LBB186_360
.LBB186_408:
	v_mov_b32_e32 v0, 0x100
	v_lshl_add_u32 v0, v10, 2, v0
	ds_read_b32 v0, v0 offset:192
	s_waitcnt lgkmcnt(0)
	v_add_f32_e32 v5, v5, v0
	s_or_b64 exec, exec, s[2:3]
	s_and_saveexec_b64 s[2:3], s[0:1]
	s_cbranch_execz .LBB186_361
.LBB186_409:
	v_mov_b32_e32 v0, 0x100
	v_lshl_add_u32 v0, v10, 2, v0
	ds_read_b32 v0, v0 offset:256
	s_waitcnt lgkmcnt(0)
	v_add_f32_e32 v2, v2, v0
	s_or_b64 exec, exec, s[2:3]
	s_and_saveexec_b64 s[2:3], s[0:1]
	s_cbranch_execz .LBB186_362
.LBB186_410:
	v_mov_b32_e32 v0, 0x100
	v_lshl_add_u32 v0, v10, 2, v0
	ds_read_b32 v0, v0 offset:320
	s_waitcnt lgkmcnt(0)
	v_add_f32_e32 v3, v3, v0
	s_or_b64 exec, exec, s[2:3]
	s_and_saveexec_b64 s[2:3], s[0:1]
	s_cbranch_execnz .LBB186_363
	s_branch .LBB186_364
	.section	.rodata,"a",@progbits
	.p2align	6, 0x0
	.amdhsa_kernel _ZN4vllm25paged_attention_v2_kernelI14__hip_bfloat16S1_Li120ELi32ELi128ELNS_18Fp8KVCacheDataTypeE0ELb0ELi512EEEvPfS3_PT_PKS4_PKT0_SA_ifPKiSC_iPKfiiiSE_SE_iiiii
		.amdhsa_group_segment_fixed_size 256
		.amdhsa_private_segment_fixed_size 0
		.amdhsa_kernarg_size 400
		.amdhsa_user_sgpr_count 6
		.amdhsa_user_sgpr_private_segment_buffer 1
		.amdhsa_user_sgpr_dispatch_ptr 0
		.amdhsa_user_sgpr_queue_ptr 0
		.amdhsa_user_sgpr_kernarg_segment_ptr 1
		.amdhsa_user_sgpr_dispatch_id 0
		.amdhsa_user_sgpr_flat_scratch_init 0
		.amdhsa_user_sgpr_kernarg_preload_length 0
		.amdhsa_user_sgpr_kernarg_preload_offset 0
		.amdhsa_user_sgpr_private_segment_size 0
		.amdhsa_uses_dynamic_stack 0
		.amdhsa_system_sgpr_private_segment_wavefront_offset 0
		.amdhsa_system_sgpr_workgroup_id_x 1
		.amdhsa_system_sgpr_workgroup_id_y 1
		.amdhsa_system_sgpr_workgroup_id_z 1
		.amdhsa_system_sgpr_workgroup_info 0
		.amdhsa_system_vgpr_workitem_id 0
		.amdhsa_next_free_vgpr 110
		.amdhsa_next_free_sgpr 43
		.amdhsa_accum_offset 112
		.amdhsa_reserve_vcc 1
		.amdhsa_reserve_flat_scratch 0
		.amdhsa_float_round_mode_32 0
		.amdhsa_float_round_mode_16_64 0
		.amdhsa_float_denorm_mode_32 3
		.amdhsa_float_denorm_mode_16_64 3
		.amdhsa_dx10_clamp 1
		.amdhsa_ieee_mode 1
		.amdhsa_fp16_overflow 0
		.amdhsa_tg_split 0
		.amdhsa_exception_fp_ieee_invalid_op 0
		.amdhsa_exception_fp_denorm_src 0
		.amdhsa_exception_fp_ieee_div_zero 0
		.amdhsa_exception_fp_ieee_overflow 0
		.amdhsa_exception_fp_ieee_underflow 0
		.amdhsa_exception_fp_ieee_inexact 0
		.amdhsa_exception_int_div_zero 0
	.end_amdhsa_kernel
	.section	.text._ZN4vllm25paged_attention_v2_kernelI14__hip_bfloat16S1_Li120ELi32ELi128ELNS_18Fp8KVCacheDataTypeE0ELb0ELi512EEEvPfS3_PT_PKS4_PKT0_SA_ifPKiSC_iPKfiiiSE_SE_iiiii,"axG",@progbits,_ZN4vllm25paged_attention_v2_kernelI14__hip_bfloat16S1_Li120ELi32ELi128ELNS_18Fp8KVCacheDataTypeE0ELb0ELi512EEEvPfS3_PT_PKS4_PKT0_SA_ifPKiSC_iPKfiiiSE_SE_iiiii,comdat
.Lfunc_end186:
	.size	_ZN4vllm25paged_attention_v2_kernelI14__hip_bfloat16S1_Li120ELi32ELi128ELNS_18Fp8KVCacheDataTypeE0ELb0ELi512EEEvPfS3_PT_PKS4_PKT0_SA_ifPKiSC_iPKfiiiSE_SE_iiiii, .Lfunc_end186-_ZN4vllm25paged_attention_v2_kernelI14__hip_bfloat16S1_Li120ELi32ELi128ELNS_18Fp8KVCacheDataTypeE0ELb0ELi512EEEvPfS3_PT_PKS4_PKT0_SA_ifPKiSC_iPKfiiiSE_SE_iiiii
                                        ; -- End function
	.section	.AMDGPU.csdata,"",@progbits
; Kernel info:
; codeLenInByte = 14236
; NumSgprs: 47
; NumVgprs: 110
; NumAgprs: 0
; TotalNumVgprs: 110
; ScratchSize: 0
; MemoryBound: 0
; FloatMode: 240
; IeeeMode: 1
; LDSByteSize: 256 bytes/workgroup (compile time only)
; SGPRBlocks: 5
; VGPRBlocks: 13
; NumSGPRsForWavesPerEU: 47
; NumVGPRsForWavesPerEU: 110
; AccumOffset: 112
; Occupancy: 4
; WaveLimiterHint : 1
; COMPUTE_PGM_RSRC2:SCRATCH_EN: 0
; COMPUTE_PGM_RSRC2:USER_SGPR: 6
; COMPUTE_PGM_RSRC2:TRAP_HANDLER: 0
; COMPUTE_PGM_RSRC2:TGID_X_EN: 1
; COMPUTE_PGM_RSRC2:TGID_Y_EN: 1
; COMPUTE_PGM_RSRC2:TGID_Z_EN: 1
; COMPUTE_PGM_RSRC2:TIDIG_COMP_CNT: 0
; COMPUTE_PGM_RSRC3_GFX90A:ACCUM_OFFSET: 27
; COMPUTE_PGM_RSRC3_GFX90A:TG_SPLIT: 0
	.section	.text._ZN4vllm25paged_attention_v2_kernelI14__hip_bfloat16S1_Li128ELi32ELi128ELNS_18Fp8KVCacheDataTypeE0ELb0ELi512EEEvPfS3_PT_PKS4_PKT0_SA_ifPKiSC_iPKfiiiSE_SE_iiiii,"axG",@progbits,_ZN4vllm25paged_attention_v2_kernelI14__hip_bfloat16S1_Li128ELi32ELi128ELNS_18Fp8KVCacheDataTypeE0ELb0ELi512EEEvPfS3_PT_PKS4_PKT0_SA_ifPKiSC_iPKfiiiSE_SE_iiiii,comdat
	.protected	_ZN4vllm25paged_attention_v2_kernelI14__hip_bfloat16S1_Li128ELi32ELi128ELNS_18Fp8KVCacheDataTypeE0ELb0ELi512EEEvPfS3_PT_PKS4_PKT0_SA_ifPKiSC_iPKfiiiSE_SE_iiiii ; -- Begin function _ZN4vllm25paged_attention_v2_kernelI14__hip_bfloat16S1_Li128ELi32ELi128ELNS_18Fp8KVCacheDataTypeE0ELb0ELi512EEEvPfS3_PT_PKS4_PKT0_SA_ifPKiSC_iPKfiiiSE_SE_iiiii
	.globl	_ZN4vllm25paged_attention_v2_kernelI14__hip_bfloat16S1_Li128ELi32ELi128ELNS_18Fp8KVCacheDataTypeE0ELb0ELi512EEEvPfS3_PT_PKS4_PKT0_SA_ifPKiSC_iPKfiiiSE_SE_iiiii
	.p2align	8
	.type	_ZN4vllm25paged_attention_v2_kernelI14__hip_bfloat16S1_Li128ELi32ELi128ELNS_18Fp8KVCacheDataTypeE0ELb0ELi512EEEvPfS3_PT_PKS4_PKT0_SA_ifPKiSC_iPKfiiiSE_SE_iiiii,@function
_ZN4vllm25paged_attention_v2_kernelI14__hip_bfloat16S1_Li128ELi32ELi128ELNS_18Fp8KVCacheDataTypeE0ELb0ELi512EEEvPfS3_PT_PKS4_PKT0_SA_ifPKiSC_iPKfiiiSE_SE_iiiii: ; @_ZN4vllm25paged_attention_v2_kernelI14__hip_bfloat16S1_Li128ELi32ELi128ELNS_18Fp8KVCacheDataTypeE0ELb0ELi512EEEvPfS3_PT_PKS4_PKT0_SA_ifPKiSC_iPKfiiiSE_SE_iiiii
; %bb.0:
	s_load_dwordx2 s[0:1], s[4:5], 0x40
	s_mov_b32 s20, s7
	s_ashr_i32 s21, s7, 31
	s_lshl_b64 s[2:3], s[20:21], 2
	s_waitcnt lgkmcnt(0)
	s_add_u32 s0, s0, s2
	s_addc_u32 s1, s1, s3
	s_load_dword s33, s[0:1], 0x0
	s_lshl_b32 s40, s8, 9
	s_waitcnt lgkmcnt(0)
	s_cmp_ge_i32 s40, s33
	s_cbranch_scc1 .LBB187_396
; %bb.1:
	s_load_dword s21, s[4:5], 0x90
	s_load_dwordx2 s[10:11], s[4:5], 0x30
	s_waitcnt lgkmcnt(0)
	s_abs_i32 s2, s21
	s_abs_i32 s0, s10
	v_cvt_f32_u32_e32 v1, s0
	s_sub_i32 s3, 0, s0
	s_xor_b32 s1, s21, s10
	s_ashr_i32 s1, s1, 31
	v_rcp_iflag_f32_e32 v1, v1
	s_mov_b32 s10, 0
	v_mul_f32_e32 v1, 0x4f7ffffe, v1
	v_cvt_u32_f32_e32 v1, v1
	v_readfirstlane_b32 s7, v1
	s_mul_i32 s3, s3, s7
	s_mul_hi_u32 s3, s7, s3
	s_add_i32 s7, s7, s3
	s_mul_hi_u32 s3, s2, s7
	s_mul_i32 s7, s3, s0
	s_sub_i32 s2, s2, s7
	s_add_i32 s9, s3, 1
	s_sub_i32 s7, s2, s0
	s_cmp_ge_u32 s2, s0
	s_cselect_b32 s3, s9, s3
	s_cselect_b32 s2, s7, s2
	s_add_i32 s7, s3, 1
	s_cmp_ge_u32 s2, s0
	s_cselect_b32 s0, s7, s3
	s_xor_b32 s0, s0, s1
	s_sub_i32 s9, s0, s1
	s_abs_i32 s2, s9
	v_cvt_f32_u32_e32 v1, s2
	s_load_dwordx2 s[0:1], s[4:5], 0x50
	s_sub_i32 s7, 0, s2
	s_abs_i32 s3, s6
	v_rcp_iflag_f32_e32 v1, v1
	v_mul_f32_e32 v1, 0x4f7ffffe, v1
	v_cvt_u32_f32_e32 v1, v1
	v_readfirstlane_b32 s12, v1
	s_mul_i32 s7, s7, s12
	s_mul_hi_u32 s7, s12, s7
	s_add_i32 s12, s12, s7
	s_waitcnt lgkmcnt(0)
	s_cmp_eq_u64 s[0:1], 0
	s_mul_hi_u32 s16, s3, s12
	s_cbranch_scc1 .LBB187_3
; %bb.2:
	s_ashr_i32 s7, s6, 31
	s_lshl_b64 s[12:13], s[6:7], 2
	s_add_u32 s0, s0, s12
	s_addc_u32 s1, s1, s13
	s_load_dword s10, s[0:1], 0x0
.LBB187_3:
	s_load_dwordx4 s[12:15], s[4:5], 0x58
	s_ashr_i32 s17, s6, 31
	s_ashr_i32 s18, s9, 31
	v_and_b32_e32 v4, 1, v0
	s_lshl_b32 s22, s6, 7
	v_cmp_gt_u32_e32 vcc, 32, v0
	v_lshlrev_b32_e32 v32, 3, v0
	s_and_saveexec_b64 s[0:1], vcc
	s_cbranch_execz .LBB187_5
; %bb.4:
	s_load_dwordx2 s[24:25], s[4:5], 0x18
	s_waitcnt lgkmcnt(0)
	s_mul_i32 s26, s20, s12
	s_ashr_i32 s27, s26, 31
	s_lshl_b64 s[26:27], s[26:27], 1
	v_lshlrev_b32_e32 v1, 2, v0
	s_add_u32 s7, s24, s26
	s_addc_u32 s9, s25, s27
	s_ashr_i32 s23, s22, 31
	s_lshl_b64 s[24:25], s[22:23], 1
	s_add_u32 s24, s7, s24
	s_addc_u32 s25, s9, s25
	global_load_dwordx2 v[2:3], v32, s[24:25]
	v_and_b32_e32 v1, 0xff8, v1
	v_lshl_add_u32 v1, v4, 7, v1
	s_waitcnt vmcnt(0)
	ds_write_b64 v1, v[2:3]
.LBB187_5:
	s_or_b64 exec, exec, s[0:1]
	s_add_i32 s0, s33, 31
	s_ashr_i32 s1, s0, 31
	s_lshr_b32 s1, s1, 27
	s_add_i32 s0, s0, s1
	s_lshl_b32 s9, s8, 4
	s_mul_i32 s1, s16, s2
	s_ashr_i32 s7, s0, 5
	s_add_i32 s0, s9, 16
	s_sub_i32 s1, s3, s1
	s_min_i32 s23, s0, s7
	s_xor_b32 s0, s17, s18
	s_add_i32 s3, s16, 1
	s_waitcnt lgkmcnt(0)
	s_sub_i32 s12, s1, s2
	s_cmp_ge_u32 s1, s2
	s_cselect_b32 s3, s3, s16
	s_cselect_b32 s1, s12, s1
	s_add_i32 s12, s3, 1
	s_cmp_ge_u32 s1, s2
	s_load_dwordx2 s[26:27], s[4:5], 0x38
	s_load_dword s2, s[4:5], 0x48
	v_lshrrev_b32_e32 v33, 6, v0
	s_cselect_b32 s1, s12, s3
	s_xor_b32 s1, s1, s0
	v_or_b32_e32 v10, s9, v33
	s_waitcnt lgkmcnt(0)
	s_mul_i32 s28, s20, s2
	s_sub_i32 s15, s1, s0
	s_ashr_i32 s29, s28, 31
	v_cmp_gt_i32_e64 s[0:1], s23, v10
	v_cmp_le_i32_e32 vcc, s23, v10
	v_mbcnt_lo_u32_b32 v5, -1, 0
	s_barrier
	s_waitcnt lgkmcnt(0)
                                        ; implicit-def: $sgpr36
                                        ; implicit-def: $vgpr34
                                        ; implicit-def: $vgpr35
	s_and_saveexec_b64 s[2:3], vcc
	s_xor_b64 s[2:3], exec, s[2:3]
; %bb.6:
	v_mbcnt_hi_u32_b32 v34, -1, v5
	v_and_b32_e32 v1, 64, v34
	v_add_u32_e32 v35, 64, v1
	s_mov_b32 s36, 0xff7fffff
                                        ; implicit-def: $vgpr4
                                        ; implicit-def: $vgpr5
; %bb.7:
	s_or_saveexec_b64 s[34:35], s[2:3]
	s_load_dwordx4 s[16:19], s[4:5], 0x0
	s_load_dwordx2 s[24:25], s[4:5], 0x10
	s_load_dwordx2 s[30:31], s[4:5], 0x28
	s_load_dword s12, s[4:5], 0x98
	v_mov_b32_e32 v99, s36
	s_mul_i32 s14, s15, s14
	v_ashrrev_i32_e32 v11, 31, v10
	s_xor_b64 exec, exec, s[34:35]
	s_cbranch_execz .LBB187_13
; %bb.8:
	v_lshlrev_b32_e32 v2, 7, v4
	ds_read_b128 v[6:9], v2
	ds_read_b128 v[12:15], v2 offset:16
	ds_read_b128 v[16:19], v2 offset:32
	ds_read_b128 v[20:23], v2 offset:48
	s_load_dwordx2 s[2:3], s[4:5], 0x20
	s_waitcnt lgkmcnt(0)
	v_lshlrev_b32_e32 v1, 16, v6
	v_and_b32_e32 v36, 0xffff0000, v6
	v_lshlrev_b32_e32 v37, 16, v7
	v_and_b32_e32 v38, 0xffff0000, v7
	;; [unrolled: 2-line block ×4, first 2 shown]
	ds_read_b128 v[6:9], v2 offset:64
	v_lshlrev_b32_e32 v43, 16, v12
	v_and_b32_e32 v44, 0xffff0000, v12
	v_lshlrev_b32_e32 v45, 16, v13
	v_and_b32_e32 v46, 0xffff0000, v13
	;; [unrolled: 2-line block ×4, first 2 shown]
	ds_read_b128 v[12:15], v2 offset:80
	s_ashr_i32 s15, s14, 31
	s_waitcnt lgkmcnt(1)
	v_lshlrev_b32_e32 v67, 16, v6
	v_and_b32_e32 v68, 0xffff0000, v6
	v_lshlrev_b32_e32 v69, 16, v7
	v_and_b32_e32 v70, 0xffff0000, v7
	;; [unrolled: 2-line block ×4, first 2 shown]
	ds_read_b128 v[6:9], v2 offset:96
	s_lshl_b64 s[4:5], s[14:15], 1
	s_add_u32 s4, s2, s4
	s_addc_u32 s5, s3, s5
	s_sub_i32 s15, 1, s33
	s_lshl_b64 s[2:3], s[28:29], 2
	s_add_u32 s2, s26, s2
	s_waitcnt lgkmcnt(1)
	v_lshlrev_b32_e32 v75, 16, v12
	v_and_b32_e32 v76, 0xffff0000, v12
	v_lshlrev_b32_e32 v77, 16, v13
	v_and_b32_e32 v78, 0xffff0000, v13
	;; [unrolled: 2-line block ×4, first 2 shown]
	ds_read_b128 v[12:15], v2 offset:112
	s_addc_u32 s3, s27, s3
	v_lshlrev_b64 v[2:3], 2, v[10:11]
	s_waitcnt lgkmcnt(1)
	v_lshlrev_b32_e32 v83, 16, v6
	v_and_b32_e32 v84, 0xffff0000, v6
	v_mov_b32_e32 v6, s3
	v_add_co_u32_e32 v2, vcc, s2, v2
	v_addc_co_u32_e32 v3, vcc, v6, v3, vcc
	v_cmp_eq_u32_e32 vcc, 0, v4
	v_bfe_u32 v4, v0, 1, 5
	v_lshlrev_b32_e32 v6, 4, v4
	v_lshlrev_b32_e32 v85, 16, v7
	v_and_b32_e32 v86, 0xffff0000, v7
	v_mov_b32_e32 v7, s5
	v_add_co_u32_e64 v6, s[2:3], s4, v6
	v_lshlrev_b32_e32 v87, 16, v8
	v_and_b32_e32 v88, 0xffff0000, v8
	v_addc_co_u32_e64 v7, s[2:3], 0, v7, s[2:3]
	v_and_b32_e32 v8, 8, v32
	v_mbcnt_hi_u32_b32 v34, -1, v5
	v_add_co_u32_e64 v100, s[2:3], v6, v8
	v_and_b32_e32 v5, 64, v34
	v_addc_co_u32_e64 v101, s[2:3], 0, v7, s[2:3]
	v_add_u32_e32 v35, 64, v5
	v_xor_b32_e32 v5, 1, v34
	v_cmp_lt_i32_e64 s[2:3], v5, v35
	v_cndmask_b32_e64 v5, v34, v5, s[2:3]
	v_lshlrev_b32_e32 v102, 2, v5
	v_lshlrev_b32_e32 v5, 5, v33
	v_add3_u32 v103, s40, v5, v4
	v_lshlrev_b32_e32 v4, 2, v4
	v_lshl_or_b32 v4, v33, 7, v4
	v_lshlrev_b32_e32 v51, 16, v16
	v_and_b32_e32 v52, 0xffff0000, v16
	v_lshlrev_b32_e32 v53, 16, v17
	v_and_b32_e32 v54, 0xffff0000, v17
	;; [unrolled: 2-line block ×9, first 2 shown]
	s_waitcnt lgkmcnt(0)
	v_lshlrev_b32_e32 v91, 16, v12
	v_and_b32_e32 v92, 0xffff0000, v12
	v_lshlrev_b32_e32 v93, 16, v13
	v_and_b32_e32 v94, 0xffff0000, v13
	v_lshlrev_b32_e32 v95, 16, v14
	v_and_b32_e32 v96, 0xffff0000, v14
	v_lshlrev_b32_e32 v97, 16, v15
	v_and_b32_e32 v98, 0xffff0000, v15
	s_mov_b32 s41, s13
	v_cmp_neq_f32_e64 s[2:3], s10, 0
	v_add_u32_e32 v104, 0x110, v4
	s_mov_b64 s[36:37], 0
	s_movk_i32 s42, 0x1000
	v_mov_b32_e32 v99, 0xff7fffff
	v_mov_b32_e32 v105, v10
	s_branch .LBB187_10
.LBB187_9:                              ;   in Loop: Header=BB187_10 Depth=1
	s_or_b64 exec, exec, s[38:39]
	v_add_u32_e32 v105, 2, v105
	v_cmp_le_i32_e64 s[4:5], s23, v105
	s_or_b64 s[36:37], s[4:5], s[36:37]
	v_add_co_u32_e64 v2, s[4:5], 8, v2
	v_add_u32_e32 v103, 64, v103
	v_add_u32_e32 v104, 0x100, v104
	v_addc_co_u32_e64 v3, s[4:5], 0, v3, s[4:5]
	s_andn2_b64 exec, exec, s[36:37]
	s_cbranch_execz .LBB187_12
.LBB187_10:                             ; =>This Inner Loop Header: Depth=1
	global_load_dword v4, v[2:3], off
	s_waitcnt vmcnt(0) lgkmcnt(0)
	v_mad_i64_i32 v[4:5], s[4:5], v4, s41, 0
	v_lshlrev_b64 v[4:5], 1, v[4:5]
	v_add_co_u32_e64 v4, s[4:5], v100, v4
	v_addc_co_u32_e64 v5, s[4:5], v101, v5, s[4:5]
	global_load_dwordx2 v[106:107], v[4:5], off
	global_load_dwordx2 v[108:109], v[4:5], off offset:512
	global_load_dwordx2 v[110:111], v[4:5], off offset:1024
	;; [unrolled: 1-line block ×7, first 2 shown]
	v_add_co_u32_e64 v4, s[4:5], s42, v4
	v_addc_co_u32_e64 v5, s[4:5], 0, v5, s[4:5]
	global_load_dwordx2 v[20:21], v[4:5], off
	global_load_dwordx2 v[18:19], v[4:5], off offset:512
	global_load_dwordx2 v[16:17], v[4:5], off offset:1024
	;; [unrolled: 1-line block ×6, first 2 shown]
	s_nop 0
	global_load_dwordx2 v[4:5], v[4:5], off offset:3584
	s_waitcnt vmcnt(15)
	v_lshlrev_b32_e32 v112, 16, v106
	v_and_b32_e32 v113, 0xffff0000, v106
	v_lshlrev_b32_e32 v114, 16, v107
	v_and_b32_e32 v115, 0xffff0000, v107
	s_waitcnt vmcnt(14)
	v_lshlrev_b32_e32 v106, 16, v108
	v_and_b32_e32 v107, 0xffff0000, v108
	v_mul_f32_e32 v106, v39, v106
	v_mul_f32_e32 v107, v40, v107
	v_lshlrev_b32_e32 v108, 16, v109
	v_fmac_f32_e32 v106, v1, v112
	v_fmac_f32_e32 v107, v36, v113
	v_mul_f32_e32 v108, v41, v108
	s_waitcnt vmcnt(13)
	v_lshlrev_b32_e32 v112, 16, v110
	v_and_b32_e32 v110, 0xffff0000, v110
	v_fmac_f32_e32 v108, v37, v114
	v_fmac_f32_e32 v107, v44, v110
	v_lshlrev_b32_e32 v110, 16, v111
	v_fmac_f32_e32 v108, v45, v110
	s_waitcnt vmcnt(12)
	v_lshlrev_b32_e32 v110, 16, v30
	v_and_b32_e32 v30, 0xffff0000, v30
	v_fmac_f32_e32 v107, v48, v30
	v_lshlrev_b32_e32 v30, 16, v31
	v_fmac_f32_e32 v108, v49, v30
	s_waitcnt vmcnt(11)
	v_lshlrev_b32_e32 v30, 16, v28
	v_and_b32_e32 v28, 0xffff0000, v28
	;; [unrolled: 6-line block ×6, first 2 shown]
	v_and_b32_e32 v109, 0xffff0000, v109
	v_fmac_f32_e32 v107, v68, v20
	v_lshlrev_b32_e32 v20, 16, v21
	v_mul_f32_e32 v109, v42, v109
	v_fmac_f32_e32 v106, v43, v112
	v_fmac_f32_e32 v108, v69, v20
	s_waitcnt vmcnt(6)
	v_lshlrev_b32_e32 v20, 16, v18
	v_and_b32_e32 v18, 0xffff0000, v18
	v_fmac_f32_e32 v109, v38, v115
	v_and_b32_e32 v111, 0xffff0000, v111
	v_fmac_f32_e32 v106, v47, v110
	v_fmac_f32_e32 v107, v72, v18
	v_lshlrev_b32_e32 v18, 16, v19
	v_fmac_f32_e32 v109, v46, v111
	v_and_b32_e32 v31, 0xffff0000, v31
	v_fmac_f32_e32 v106, v51, v30
	v_fmac_f32_e32 v108, v73, v18
	s_waitcnt vmcnt(5)
	v_lshlrev_b32_e32 v18, 16, v16
	v_and_b32_e32 v16, 0xffff0000, v16
	v_fmac_f32_e32 v109, v50, v31
	v_and_b32_e32 v29, 0xffff0000, v29
	v_fmac_f32_e32 v106, v55, v28
	v_fmac_f32_e32 v107, v76, v16
	v_lshlrev_b32_e32 v16, 16, v17
	v_fmac_f32_e32 v109, v54, v29
	v_and_b32_e32 v27, 0xffff0000, v27
	v_fmac_f32_e32 v106, v59, v26
	v_fmac_f32_e32 v108, v77, v16
	s_waitcnt vmcnt(4)
	v_lshlrev_b32_e32 v16, 16, v14
	v_and_b32_e32 v14, 0xffff0000, v14
	v_fmac_f32_e32 v109, v58, v27
	v_and_b32_e32 v25, 0xffff0000, v25
	v_fmac_f32_e32 v106, v63, v24
	v_fmac_f32_e32 v107, v80, v14
	v_lshlrev_b32_e32 v14, 16, v15
	v_fmac_f32_e32 v109, v62, v25
	v_and_b32_e32 v23, 0xffff0000, v23
	v_fmac_f32_e32 v106, v67, v22
	v_fmac_f32_e32 v108, v81, v14
	s_waitcnt vmcnt(3)
	v_lshlrev_b32_e32 v14, 16, v12
	v_and_b32_e32 v12, 0xffff0000, v12
	v_fmac_f32_e32 v109, v66, v23
	v_and_b32_e32 v21, 0xffff0000, v21
	v_fmac_f32_e32 v106, v71, v20
	v_fmac_f32_e32 v107, v84, v12
	v_lshlrev_b32_e32 v12, 16, v13
	v_fmac_f32_e32 v109, v70, v21
	v_and_b32_e32 v19, 0xffff0000, v19
	v_fmac_f32_e32 v106, v75, v18
	v_fmac_f32_e32 v108, v85, v12
	s_waitcnt vmcnt(2)
	v_lshlrev_b32_e32 v12, 16, v8
	v_and_b32_e32 v8, 0xffff0000, v8
	v_fmac_f32_e32 v109, v74, v19
	v_and_b32_e32 v17, 0xffff0000, v17
	v_fmac_f32_e32 v106, v79, v16
	v_fmac_f32_e32 v107, v88, v8
	v_lshlrev_b32_e32 v8, 16, v9
	v_fmac_f32_e32 v109, v78, v17
	v_and_b32_e32 v15, 0xffff0000, v15
	v_fmac_f32_e32 v106, v83, v14
	v_fmac_f32_e32 v108, v89, v8
	s_waitcnt vmcnt(1)
	v_lshlrev_b32_e32 v8, 16, v6
	v_and_b32_e32 v6, 0xffff0000, v6
	v_fmac_f32_e32 v109, v82, v15
	v_and_b32_e32 v13, 0xffff0000, v13
	v_fmac_f32_e32 v106, v87, v12
	v_fmac_f32_e32 v107, v92, v6
	v_lshlrev_b32_e32 v6, 16, v7
	v_fmac_f32_e32 v109, v86, v13
	v_and_b32_e32 v9, 0xffff0000, v9
	v_fmac_f32_e32 v106, v91, v8
	v_fmac_f32_e32 v108, v93, v6
	s_waitcnt vmcnt(0)
	v_lshlrev_b32_e32 v6, 16, v4
	v_and_b32_e32 v4, 0xffff0000, v4
	v_fmac_f32_e32 v109, v90, v9
	v_and_b32_e32 v7, 0xffff0000, v7
	v_fmac_f32_e32 v106, v95, v6
	v_fmac_f32_e32 v107, v96, v4
	v_lshlrev_b32_e32 v4, 16, v5
	v_fmac_f32_e32 v109, v94, v7
	v_and_b32_e32 v5, 0xffff0000, v5
	v_fmac_f32_e32 v108, v97, v4
	v_add_f32_e32 v4, v106, v107
	v_fmac_f32_e32 v109, v98, v5
	v_add_f32_e32 v4, v4, v108
	v_add_f32_e32 v4, v109, v4
	ds_bpermute_b32 v5, v102, v4
	s_and_saveexec_b64 s[38:39], vcc
	s_cbranch_execz .LBB187_9
; %bb.11:                               ;   in Loop: Header=BB187_10 Depth=1
	v_add_u32_e32 v6, s15, v103
	v_cvt_f32_i32_e32 v6, v6
	s_waitcnt lgkmcnt(0)
	v_add_f32_e32 v4, v4, v5
	v_cmp_gt_i32_e64 s[4:5], s33, v103
	v_max_f32_e32 v5, v99, v99
	v_mul_f32_e32 v6, s10, v6
	v_cndmask_b32_e64 v6, 0, v6, s[2:3]
	v_fmac_f32_e32 v6, s11, v4
	v_cndmask_b32_e64 v4, 0, v6, s[4:5]
	ds_write_b32 v104, v4
	v_max_f32_e32 v4, v5, v6
	v_cndmask_b32_e64 v99, v99, v4, s[4:5]
	s_branch .LBB187_9
.LBB187_12:
	s_or_b64 exec, exec, s[36:37]
.LBB187_13:
	s_or_b64 exec, exec, s[34:35]
	v_xor_b32_e32 v1, 32, v34
	v_cmp_lt_i32_e32 vcc, v1, v35
	v_cndmask_b32_e32 v1, v34, v1, vcc
	v_lshlrev_b32_e32 v2, 2, v1
	ds_bpermute_b32 v1, v2, v99
	v_xor_b32_e32 v4, 16, v34
	v_max_f32_e32 v3, v99, v99
	v_cmp_lt_i32_e32 vcc, v4, v35
	s_waitcnt lgkmcnt(0)
	v_xor_b32_e32 v5, 8, v34
	v_max_f32_e32 v1, v1, v1
	v_max_f32_e32 v1, v3, v1
	v_cndmask_b32_e32 v3, v34, v4, vcc
	v_lshlrev_b32_e32 v3, 2, v3
	ds_bpermute_b32 v4, v3, v1
	v_cmp_lt_i32_e32 vcc, v5, v35
	v_xor_b32_e32 v6, 4, v34
	v_xor_b32_e32 v7, 2, v34
	s_waitcnt lgkmcnt(0)
	v_max_f32_e32 v4, v4, v4
	v_max_f32_e32 v1, v1, v4
	v_cndmask_b32_e32 v4, v34, v5, vcc
	v_lshlrev_b32_e32 v5, 2, v4
	ds_bpermute_b32 v4, v5, v1
	v_cmp_lt_i32_e32 vcc, v6, v35
	s_waitcnt lgkmcnt(0)
	v_max_f32_e32 v4, v4, v4
	v_max_f32_e32 v1, v1, v4
	v_cndmask_b32_e32 v4, v34, v6, vcc
	v_lshlrev_b32_e32 v6, 2, v4
	ds_bpermute_b32 v4, v6, v1
	v_cmp_lt_i32_e32 vcc, v7, v35
	s_waitcnt lgkmcnt(0)
	v_max_f32_e32 v4, v4, v4
	v_max_f32_e32 v4, v1, v4
	v_cndmask_b32_e32 v1, v34, v7, vcc
	v_lshlrev_b32_e32 v22, 2, v1
	ds_bpermute_b32 v8, v22, v4
	v_and_b32_e32 v1, 63, v0
	v_cmp_eq_u32_e32 vcc, 0, v1
	v_lshlrev_b32_e32 v7, 2, v33
	s_and_saveexec_b64 s[2:3], vcc
	s_cbranch_execz .LBB187_15
; %bb.14:
	s_waitcnt lgkmcnt(0)
	v_max_f32_e32 v8, v8, v8
	v_max_f32_e32 v4, v4, v4
	;; [unrolled: 1-line block ×3, first 2 shown]
	ds_write_b32 v7, v4 offset:256
.LBB187_15:
	s_or_b64 exec, exec, s[2:3]
	v_cmp_gt_u32_e64 s[2:3], 2, v1
	v_mov_b32_e32 v4, 0xff7fffff
	s_waitcnt lgkmcnt(0)
	v_lshlrev_b32_e32 v8, 2, v1
	s_barrier
	s_and_saveexec_b64 s[4:5], s[2:3]
	s_cbranch_execz .LBB187_17
; %bb.16:
	ds_read_b32 v4, v8 offset:256
.LBB187_17:
	s_or_b64 exec, exec, s[4:5]
	v_xor_b32_e32 v9, 1, v34
	v_cmp_lt_i32_e64 s[4:5], v9, v35
	v_cndmask_b32_e64 v9, v34, v9, s[4:5]
	v_lshlrev_b32_e32 v23, 2, v9
	s_waitcnt lgkmcnt(0)
	ds_bpermute_b32 v9, v23, v4
	v_max_f32_e32 v4, v4, v4
	s_sub_i32 s4, s23, s9
	s_lshl_b32 s4, s4, 5
	s_add_i32 s4, s4, s40
	s_waitcnt lgkmcnt(0)
	v_max_f32_e32 v9, v9, v9
	v_max_f32_e32 v4, v4, v9
	v_lshlrev_b32_e32 v9, 2, v34
	v_and_b32_e32 v9, 0xffffff00, v9
	ds_bpermute_b32 v4, v9, v4
	s_min_i32 s15, s4, s33
	s_sub_i32 s9, s15, s40
	v_cmp_gt_i32_e64 s[4:5], s9, v0
	v_mov_b32_e32 v12, 0
	s_and_saveexec_b64 s[34:35], s[4:5]
	s_cbranch_execz .LBB187_21
; %bb.18:
	v_mov_b32_e32 v12, 0x110
	v_lshl_add_u32 v13, v0, 2, v12
	s_mov_b64 s[36:37], 0
	v_mov_b32_e32 v12, 0
	v_mov_b32_e32 v14, v0
.LBB187_19:                             ; =>This Inner Loop Header: Depth=1
	ds_read_b32 v15, v13
	v_add_u32_e32 v14, 0x80, v14
	v_cmp_le_i32_e64 s[10:11], s9, v14
	s_or_b64 s[36:37], s[10:11], s[36:37]
	s_waitcnt lgkmcnt(0)
	v_sub_f32_e32 v15, v15, v4
	v_mul_f32_e32 v15, 0x3fb8aa3b, v15
	v_exp_f32_e32 v15, v15
	ds_write_b32 v13, v15
	v_add_f32_e32 v12, v12, v15
	v_add_u32_e32 v13, 0x200, v13
	s_andn2_b64 exec, exec, s[36:37]
	s_cbranch_execnz .LBB187_19
; %bb.20:
	s_or_b64 exec, exec, s[36:37]
.LBB187_21:
	s_or_b64 exec, exec, s[34:35]
	ds_bpermute_b32 v2, v2, v12
	s_waitcnt lgkmcnt(0)
	v_add_f32_e32 v2, v12, v2
	ds_bpermute_b32 v3, v3, v2
	s_waitcnt lgkmcnt(0)
	v_add_f32_e32 v2, v2, v3
	;; [unrolled: 3-line block ×6, first 2 shown]
	s_and_saveexec_b64 s[10:11], vcc
	s_cbranch_execz .LBB187_23
; %bb.22:
	ds_write_b32 v7, v2 offset:264
.LBB187_23:
	s_or_b64 exec, exec, s[10:11]
	s_waitcnt lgkmcnt(0)
	s_barrier
	s_and_saveexec_b64 s[10:11], s[2:3]
	s_cbranch_execz .LBB187_25
; %bb.24:
	ds_read_b32 v2, v8 offset:264
.LBB187_25:
	s_or_b64 exec, exec, s[10:11]
	s_waitcnt lgkmcnt(0)
	ds_bpermute_b32 v3, v23, v2
	s_waitcnt lgkmcnt(0)
	v_add_f32_e32 v2, v2, v3
	ds_bpermute_b32 v5, v9, v2
	s_and_saveexec_b64 s[2:3], s[4:5]
	s_cbranch_execz .LBB187_38
; %bb.26:
	s_waitcnt lgkmcnt(0)
	v_add_f32_e32 v2, 0x358637bd, v5
	v_div_scale_f32 v3, s[4:5], v2, v2, 1.0
	v_rcp_f32_e32 v6, v3
	v_div_scale_f32 v7, vcc, 1.0, v2, 1.0
	s_movk_i32 s4, 0x7f
	v_fma_f32 v8, -v3, v6, 1.0
	v_fmac_f32_e32 v6, v8, v6
	v_mul_f32_e32 v8, v7, v6
	v_fma_f32 v9, -v3, v8, v7
	v_fmac_f32_e32 v8, v9, v6
	v_fma_f32 v3, -v3, v8, v7
	v_div_fmas_f32 v3, v3, v6, v8
	v_div_fixup_f32 v2, v3, v2, 1.0
	v_xad_u32 v3, v0, -1, s15
	v_subrev_u32_e32 v6, s40, v3
	v_cmp_lt_u32_e32 vcc, s4, v6
	s_mov_b64 s[10:11], -1
	v_mov_b32_e32 v3, v0
	s_and_saveexec_b64 s[4:5], vcc
	s_cbranch_execz .LBB187_35
; %bb.27:
	v_lshrrev_b32_e32 v6, 7, v6
	v_add_u32_e32 v8, -1, v6
	v_lshrrev_b32_e32 v7, 1, v8
	v_mov_b32_e32 v3, v2
	v_add_u32_e32 v7, 1, v7
	v_cmp_lt_u32_e32 vcc, 13, v8
	v_mov_b32_e32 v12, 0
	s_and_saveexec_b64 s[10:11], vcc
	s_cbranch_execz .LBB187_31
; %bb.28:
	v_mov_b32_e32 v9, 0x110
	v_and_b32_e32 v8, -8, v7
	v_lshl_add_u32 v9, v0, 2, v9
	s_mov_b32 s15, 0
	s_mov_b64 s[34:35], 0
.LBB187_29:                             ; =>This Inner Loop Header: Depth=1
	ds_read2st64_b32 v[12:13], v9 offset1:2
	ds_read2st64_b32 v[14:15], v9 offset0:4 offset1:6
	ds_read2st64_b32 v[16:17], v9 offset0:8 offset1:10
	;; [unrolled: 1-line block ×3, first 2 shown]
	v_add_u32_e32 v8, -8, v8
	s_waitcnt lgkmcnt(3)
	v_pk_mul_f32 v[12:13], v[2:3], v[12:13]
	s_waitcnt lgkmcnt(2)
	v_pk_mul_f32 v[14:15], v[2:3], v[14:15]
	ds_write2st64_b32 v9, v12, v13 offset1:2
	ds_write2st64_b32 v9, v14, v15 offset0:4 offset1:6
	ds_read2st64_b32 v[14:15], v9 offset0:16 offset1:18
	s_waitcnt lgkmcnt(4)
	v_pk_mul_f32 v[12:13], v[2:3], v[16:17]
	ds_write2st64_b32 v9, v12, v13 offset0:8 offset1:10
	s_waitcnt lgkmcnt(4)
	v_pk_mul_f32 v[12:13], v[2:3], v[18:19]
	ds_write2st64_b32 v9, v12, v13 offset0:12 offset1:14
	ds_read2st64_b32 v[12:13], v9 offset0:20 offset1:22
	s_waitcnt lgkmcnt(3)
	v_pk_mul_f32 v[14:15], v[2:3], v[14:15]
	ds_read2st64_b32 v[16:17], v9 offset0:24 offset1:26
	ds_write2st64_b32 v9, v14, v15 offset0:16 offset1:18
	ds_read2st64_b32 v[14:15], v9 offset0:28 offset1:30
	s_waitcnt lgkmcnt(3)
	v_pk_mul_f32 v[12:13], v[2:3], v[12:13]
	ds_write2st64_b32 v9, v12, v13 offset0:20 offset1:22
	s_waitcnt lgkmcnt(3)
	v_pk_mul_f32 v[12:13], v[2:3], v[16:17]
	ds_write2st64_b32 v9, v12, v13 offset0:24 offset1:26
	s_waitcnt lgkmcnt(2)
	v_pk_mul_f32 v[12:13], v[2:3], v[14:15]
	s_add_i32 s15, s15, 16
	v_cmp_eq_u32_e32 vcc, 0, v8
	ds_write2st64_b32 v9, v12, v13 offset0:28 offset1:30
	v_add_u32_e32 v9, 0x2000, v9
	s_or_b64 s[34:35], vcc, s[34:35]
	v_mov_b32_e32 v12, s15
	s_andn2_b64 exec, exec, s[34:35]
	s_cbranch_execnz .LBB187_29
; %bb.30:
	s_or_b64 exec, exec, s[34:35]
.LBB187_31:
	s_or_b64 exec, exec, s[10:11]
	v_and_b32_e32 v7, 7, v7
	v_cmp_ne_u32_e32 vcc, 0, v7
	s_and_saveexec_b64 s[10:11], vcc
	s_cbranch_execz .LBB187_34
; %bb.32:
	v_lshlrev_b32_e32 v8, 9, v12
	v_lshlrev_b32_e32 v9, 2, v0
	s_movk_i32 s15, 0x110
	v_add3_u32 v8, v8, v9, s15
	s_mov_b64 s[34:35], 0
.LBB187_33:                             ; =>This Inner Loop Header: Depth=1
	ds_read2st64_b32 v[12:13], v8 offset1:2
	v_add_u32_e32 v7, -1, v7
	v_cmp_eq_u32_e32 vcc, 0, v7
	s_or_b64 s[34:35], vcc, s[34:35]
	s_waitcnt lgkmcnt(0)
	v_pk_mul_f32 v[12:13], v[2:3], v[12:13]
	ds_write2st64_b32 v8, v12, v13 offset1:2
	v_add_u32_e32 v8, 0x400, v8
	s_andn2_b64 exec, exec, s[34:35]
	s_cbranch_execnz .LBB187_33
.LBB187_34:
	s_or_b64 exec, exec, s[10:11]
	v_add_u32_e32 v6, 1, v6
	v_and_b32_e32 v7, 0x3fffffe, v6
	v_cmp_ne_u32_e32 vcc, v6, v7
	v_lshl_add_u32 v3, v7, 7, v0
	s_orn2_b64 s[10:11], vcc, exec
.LBB187_35:
	s_or_b64 exec, exec, s[4:5]
	s_and_b64 exec, exec, s[10:11]
	s_cbranch_execz .LBB187_38
; %bb.36:
	v_mov_b32_e32 v6, 0x110
	v_lshl_add_u32 v6, v3, 2, v6
	s_mov_b64 s[4:5], 0
.LBB187_37:                             ; =>This Inner Loop Header: Depth=1
	ds_read_b32 v7, v6
	v_add_u32_e32 v3, 0x80, v3
	v_cmp_le_i32_e32 vcc, s9, v3
	s_or_b64 s[4:5], vcc, s[4:5]
	s_waitcnt lgkmcnt(0)
	v_mul_f32_e32 v7, v2, v7
	ds_write_b32 v6, v7
	v_add_u32_e32 v6, 0x200, v6
	s_andn2_b64 exec, exec, s[4:5]
	s_cbranch_execnz .LBB187_37
.LBB187_38:
	s_or_b64 exec, exec, s[2:3]
	v_cmp_eq_u32_e32 vcc, 0, v0
	s_waitcnt lgkmcnt(0)
	s_barrier
	s_and_saveexec_b64 s[2:3], vcc
	s_cbranch_execz .LBB187_40
; %bb.39:
	s_mul_i32 s4, s12, s20
	s_mul_i32 s4, s4, s21
	s_ashr_i32 s5, s4, 31
	s_lshl_b64 s[4:5], s[4:5], 2
	s_add_u32 s9, s18, s4
	s_mul_i32 s10, s12, s6
	s_addc_u32 s15, s19, s5
	s_ashr_i32 s11, s10, 31
	s_lshl_b64 s[10:11], s[10:11], 2
	s_add_u32 s6, s9, s10
	s_addc_u32 s15, s15, s11
	s_ashr_i32 s9, s8, 31
	s_lshl_b64 s[18:19], s[8:9], 2
	s_add_u32 s34, s6, s18
	s_addc_u32 s35, s15, s19
	s_add_u32 s4, s16, s4
	s_addc_u32 s5, s17, s5
	;; [unrolled: 2-line block ×3, first 2 shown]
	s_add_u32 s4, s4, s18
	v_mov_b32_e32 v2, 0
	s_addc_u32 s5, s5, s19
	global_store_dword v2, v4, s[34:35]
	global_store_dword v2, v5, s[4:5]
.LBB187_40:
	s_or_b64 exec, exec, s[2:3]
	v_mov_b32_e32 v13, 0
	v_and_b32_e32 v24, 3, v0
	v_mov_b32_e32 v12, 0
	v_mov_b32_e32 v15, 0
	;; [unrolled: 1-line block ×7, first 2 shown]
	s_and_saveexec_b64 s[2:3], s[0:1]
	s_cbranch_execz .LBB187_348
; %bb.41:
	s_ashr_i32 s15, s14, 31
	s_lshl_b64 s[0:1], s[14:15], 1
	s_add_u32 s10, s30, s0
	v_and_b32_e32 v3, 24, v32
	s_mov_b32 s9, s13
	s_addc_u32 s11, s31, s1
	s_add_i32 s13, s7, -1
	v_lshl_add_u32 v5, v33, 5, s40
	s_lshl_b64 s[0:1], s[28:29], 2
	v_add3_u32 v26, v5, v3, 7
	v_lshlrev_b32_e32 v3, 5, v24
	s_add_u32 s0, s26, s0
	v_and_b32_e32 v2, 0x1f8, v32
	v_lshl_or_b32 v3, v33, 7, v3
	v_lshlrev_b64 v[14:15], 2, v[10:11]
	s_addc_u32 s1, s27, s1
	v_or_b32_e32 v4, 0x800, v2
	v_or_b32_e32 v6, 0xa00, v2
	v_or_b32_e32 v8, 0xc00, v2
	v_or_b32_e32 v12, 0xe00, v2
	v_add_u32_e32 v27, 0x110, v3
	v_mov_b32_e32 v3, s1
	v_add_co_u32_e32 v20, vcc, s0, v14
	v_mov_b32_e32 v25, 0
	v_addc_co_u32_e32 v21, vcc, v3, v15, vcc
	s_mov_b64 s[4:5], 0
	s_mov_b32 s14, 0x7f800000
	s_movk_i32 s15, 0x7fff
	v_lshlrev_b32_e32 v11, 1, v2
	v_lshlrev_b32_e32 v28, 1, v4
	;; [unrolled: 1-line block ×5, first 2 shown]
	v_mov_b32_e32 v18, 0
	v_mov_b32_e32 v19, 0
	;; [unrolled: 1-line block ×8, first 2 shown]
	s_branch .LBB187_43
.LBB187_42:                             ;   in Loop: Header=BB187_43 Depth=1
	s_or_b64 exec, exec, s[0:1]
	v_and_b32_e32 v43, 0xffff0000, v44
	v_and_b32_e32 v45, 0xffff0000, v33
	;; [unrolled: 1-line block ×8, first 2 shown]
	v_pk_add_f32 v[8:9], v[8:9], v[44:45]
	v_pk_add_f32 v[32:33], v[34:35], v[42:43]
	v_add_f32_e32 v8, v8, v9
	v_add_f32_e32 v8, v8, v32
	v_add_f32_e32 v8, v8, v33
	v_and_b32_e32 v35, 0xffff0000, v58
	v_and_b32_e32 v34, 0xffff0000, v56
	v_and_b32_e32 v43, 0xffff0000, v57
	v_and_b32_e32 v42, 0xffff0000, v55
	v_add_f32_e32 v18, v18, v8
	v_and_b32_e32 v9, 0xffff0000, v62
	v_and_b32_e32 v8, 0xffff0000, v60
	v_and_b32_e32 v33, 0xffff0000, v61
	v_and_b32_e32 v32, 0xffff0000, v59
	v_pk_add_f32 v[34:35], v[42:43], v[34:35]
	v_pk_add_f32 v[8:9], v[32:33], v[8:9]
	v_add_f32_e32 v32, v34, v35
	v_add_f32_e32 v8, v32, v8
	v_add_f32_e32 v8, v8, v9
	v_and_b32_e32 v35, 0xffff0000, v66
	v_and_b32_e32 v34, 0xffff0000, v64
	v_and_b32_e32 v43, 0xffff0000, v65
	v_and_b32_e32 v42, 0xffff0000, v63
	v_add_f32_e32 v19, v19, v8
	v_and_b32_e32 v9, 0xffff0000, v70
	v_and_b32_e32 v8, 0xffff0000, v68
	v_and_b32_e32 v33, 0xffff0000, v69
	v_and_b32_e32 v32, 0xffff0000, v67
	;; [unrolled: 14-line block ×7, first 2 shown]
	v_pk_add_f32 v[2:3], v[2:3], v[8:9]
	v_pk_add_f32 v[4:5], v[4:5], v[6:7]
	v_add_f32_e32 v2, v2, v3
	v_add_u32_e32 v10, 2, v10
	v_add_f32_e32 v2, v2, v4
	v_cmp_le_i32_e32 vcc, s23, v10
	v_add_f32_e32 v2, v2, v5
	s_or_b64 s[4:5], vcc, s[4:5]
	v_add_co_u32_e32 v20, vcc, 8, v20
	v_add_f32_e32 v13, v13, v2
	v_add_u32_e32 v26, 64, v26
	v_add_u32_e32 v27, 0x100, v27
	v_addc_co_u32_e32 v21, vcc, 0, v21, vcc
	s_andn2_b64 exec, exec, s[4:5]
	s_cbranch_execz .LBB187_347
.LBB187_43:                             ; =>This Inner Loop Header: Depth=1
	global_load_dword v37, v[20:21], off
	ds_read2_b64 v[6:9], v27 offset1:1
	ds_read2_b64 v[2:5], v27 offset0:2 offset1:3
                                        ; implicit-def: $vgpr47
	s_waitcnt lgkmcnt(1)
	v_and_b32_e32 v32, 0x7f800000, v6
	v_cmp_ne_u32_e32 vcc, s14, v32
	s_and_saveexec_b64 s[0:1], vcc
	s_xor_b64 s[0:1], exec, s[0:1]
; %bb.44:                               ;   in Loop: Header=BB187_43 Depth=1
	v_bfe_u32 v32, v6, 16, 1
	v_add3_u32 v47, v6, v32, s15
; %bb.45:                               ;   in Loop: Header=BB187_43 Depth=1
	s_andn2_saveexec_b64 s[0:1], s[0:1]
; %bb.46:                               ;   in Loop: Header=BB187_43 Depth=1
	v_or_b32_e32 v32, 0x10000, v6
	v_cmp_eq_u32_sdwa vcc, v6, v25 src0_sel:WORD_0 src1_sel:DWORD
	v_cndmask_b32_e32 v47, v32, v6, vcc
; %bb.47:                               ;   in Loop: Header=BB187_43 Depth=1
	s_or_b64 exec, exec, s[0:1]
	v_and_b32_e32 v6, 0x7f800000, v7
	v_cmp_ne_u32_e32 vcc, s14, v6
                                        ; implicit-def: $vgpr48
	s_and_saveexec_b64 s[0:1], vcc
	s_xor_b64 s[0:1], exec, s[0:1]
; %bb.48:                               ;   in Loop: Header=BB187_43 Depth=1
	v_bfe_u32 v6, v7, 16, 1
	v_add3_u32 v48, v7, v6, s15
; %bb.49:                               ;   in Loop: Header=BB187_43 Depth=1
	s_andn2_saveexec_b64 s[0:1], s[0:1]
; %bb.50:                               ;   in Loop: Header=BB187_43 Depth=1
	v_or_b32_e32 v6, 0x10000, v7
	v_cmp_eq_u32_sdwa vcc, v7, v25 src0_sel:WORD_0 src1_sel:DWORD
	v_cndmask_b32_e32 v48, v6, v7, vcc
; %bb.51:                               ;   in Loop: Header=BB187_43 Depth=1
	s_or_b64 exec, exec, s[0:1]
	v_and_b32_e32 v6, 0x7f800000, v8
	v_cmp_ne_u32_e32 vcc, s14, v6
                                        ; implicit-def: $vgpr32
	s_and_saveexec_b64 s[0:1], vcc
	s_xor_b64 s[0:1], exec, s[0:1]
; %bb.52:                               ;   in Loop: Header=BB187_43 Depth=1
	v_bfe_u32 v6, v8, 16, 1
	v_add3_u32 v32, v8, v6, s15
; %bb.53:                               ;   in Loop: Header=BB187_43 Depth=1
	s_andn2_saveexec_b64 s[0:1], s[0:1]
; %bb.54:                               ;   in Loop: Header=BB187_43 Depth=1
	v_or_b32_e32 v6, 0x10000, v8
	v_cmp_eq_u32_sdwa vcc, v8, v25 src0_sel:WORD_0 src1_sel:DWORD
	v_cndmask_b32_e32 v32, v6, v8, vcc
; %bb.55:                               ;   in Loop: Header=BB187_43 Depth=1
	s_or_b64 exec, exec, s[0:1]
	v_and_b32_e32 v6, 0x7f800000, v9
	v_cmp_ne_u32_e32 vcc, s14, v6
                                        ; implicit-def: $vgpr33
	s_and_saveexec_b64 s[0:1], vcc
	s_xor_b64 s[0:1], exec, s[0:1]
; %bb.56:                               ;   in Loop: Header=BB187_43 Depth=1
	v_bfe_u32 v6, v9, 16, 1
	v_add3_u32 v33, v9, v6, s15
                                        ; implicit-def: $vgpr6_vgpr7_vgpr8_vgpr9
; %bb.57:                               ;   in Loop: Header=BB187_43 Depth=1
	s_andn2_saveexec_b64 s[0:1], s[0:1]
; %bb.58:                               ;   in Loop: Header=BB187_43 Depth=1
	v_or_b32_e32 v6, 0x10000, v9
	v_cmp_eq_u32_sdwa vcc, v9, v25 src0_sel:WORD_0 src1_sel:DWORD
	v_cndmask_b32_e32 v33, v6, v9, vcc
; %bb.59:                               ;   in Loop: Header=BB187_43 Depth=1
	s_or_b64 exec, exec, s[0:1]
	s_waitcnt lgkmcnt(0)
	v_and_b32_e32 v6, 0x7f800000, v2
	v_cmp_ne_u32_e32 vcc, s14, v6
                                        ; implicit-def: $vgpr34
	s_and_saveexec_b64 s[0:1], vcc
	s_xor_b64 s[0:1], exec, s[0:1]
; %bb.60:                               ;   in Loop: Header=BB187_43 Depth=1
	v_bfe_u32 v6, v2, 16, 1
	v_add3_u32 v34, v2, v6, s15
; %bb.61:                               ;   in Loop: Header=BB187_43 Depth=1
	s_andn2_saveexec_b64 s[0:1], s[0:1]
; %bb.62:                               ;   in Loop: Header=BB187_43 Depth=1
	v_or_b32_e32 v6, 0x10000, v2
	v_cmp_eq_u32_sdwa vcc, v2, v25 src0_sel:WORD_0 src1_sel:DWORD
	v_cndmask_b32_e32 v34, v6, v2, vcc
; %bb.63:                               ;   in Loop: Header=BB187_43 Depth=1
	s_or_b64 exec, exec, s[0:1]
	v_and_b32_e32 v2, 0x7f800000, v3
	v_cmp_ne_u32_e32 vcc, s14, v2
                                        ; implicit-def: $vgpr35
	s_and_saveexec_b64 s[0:1], vcc
	s_xor_b64 s[0:1], exec, s[0:1]
; %bb.64:                               ;   in Loop: Header=BB187_43 Depth=1
	v_bfe_u32 v2, v3, 16, 1
	v_add3_u32 v35, v3, v2, s15
; %bb.65:                               ;   in Loop: Header=BB187_43 Depth=1
	s_andn2_saveexec_b64 s[0:1], s[0:1]
; %bb.66:                               ;   in Loop: Header=BB187_43 Depth=1
	v_or_b32_e32 v2, 0x10000, v3
	v_cmp_eq_u32_sdwa vcc, v3, v25 src0_sel:WORD_0 src1_sel:DWORD
	v_cndmask_b32_e32 v35, v2, v3, vcc
; %bb.67:                               ;   in Loop: Header=BB187_43 Depth=1
	s_or_b64 exec, exec, s[0:1]
	v_and_b32_e32 v2, 0x7f800000, v4
	v_cmp_ne_u32_e32 vcc, s14, v2
                                        ; implicit-def: $vgpr36
	s_and_saveexec_b64 s[0:1], vcc
	s_xor_b64 s[0:1], exec, s[0:1]
; %bb.68:                               ;   in Loop: Header=BB187_43 Depth=1
	v_bfe_u32 v2, v4, 16, 1
	v_add3_u32 v36, v4, v2, s15
; %bb.69:                               ;   in Loop: Header=BB187_43 Depth=1
	s_andn2_saveexec_b64 s[0:1], s[0:1]
; %bb.70:                               ;   in Loop: Header=BB187_43 Depth=1
	v_or_b32_e32 v2, 0x10000, v4
	v_cmp_eq_u32_sdwa vcc, v4, v25 src0_sel:WORD_0 src1_sel:DWORD
	v_cndmask_b32_e32 v36, v2, v4, vcc
; %bb.71:                               ;   in Loop: Header=BB187_43 Depth=1
	s_or_b64 exec, exec, s[0:1]
	v_and_b32_e32 v2, 0x7f800000, v5
	v_cmp_ne_u32_e32 vcc, s14, v2
                                        ; implicit-def: $vgpr44
	s_and_saveexec_b64 s[0:1], vcc
	s_xor_b64 s[0:1], exec, s[0:1]
; %bb.72:                               ;   in Loop: Header=BB187_43 Depth=1
	v_bfe_u32 v2, v5, 16, 1
	v_add3_u32 v44, v5, v2, s15
                                        ; implicit-def: $vgpr2_vgpr3_vgpr4_vgpr5
; %bb.73:                               ;   in Loop: Header=BB187_43 Depth=1
	s_andn2_saveexec_b64 s[0:1], s[0:1]
; %bb.74:                               ;   in Loop: Header=BB187_43 Depth=1
	v_or_b32_e32 v2, 0x10000, v5
	v_cmp_eq_u32_sdwa vcc, v5, v25 src0_sel:WORD_0 src1_sel:DWORD
	v_cndmask_b32_e32 v44, v2, v5, vcc
; %bb.75:                               ;   in Loop: Header=BB187_43 Depth=1
	s_or_b64 exec, exec, s[0:1]
	s_waitcnt vmcnt(0)
	v_mad_i64_i32 v[2:3], s[0:1], v37, s9, 0
	v_lshlrev_b64 v[2:3], 1, v[2:3]
	v_mov_b32_e32 v4, s11
	v_add_co_u32_e32 v45, vcc, s10, v2
	v_addc_co_u32_e32 v46, vcc, v4, v3, vcc
	v_add_co_u32_e32 v6, vcc, v45, v11
	v_addc_co_u32_e32 v7, vcc, 0, v46, vcc
	global_load_dwordx4 v[2:5], v[6:7], off
	v_add_u32_e32 v37, -7, v26
	v_cmp_eq_u32_e32 vcc, s13, v10
	v_add_u32_e32 v43, -6, v26
	v_add_u32_e32 v41, -5, v26
	;; [unrolled: 1-line block ×6, first 2 shown]
	s_waitcnt vmcnt(0)
	v_lshrrev_b32_e32 v9, 16, v2
	v_lshrrev_b32_e32 v51, 16, v3
	v_lshrrev_b32_e32 v53, 16, v4
	v_lshrrev_b32_e32 v55, 16, v5
	s_and_saveexec_b64 s[6:7], vcc
	s_cbranch_execz .LBB187_77
; %bb.76:                               ;   in Loop: Header=BB187_43 Depth=1
	v_cmp_gt_i32_e64 s[0:1], s33, v37
	v_cndmask_b32_e64 v2, 0, v2, s[0:1]
	v_cmp_gt_i32_e64 s[0:1], s33, v43
	v_cndmask_b32_e64 v9, 0, v9, s[0:1]
	;; [unrolled: 2-line block ×8, first 2 shown]
.LBB187_77:                             ;   in Loop: Header=BB187_43 Depth=1
	s_or_b64 exec, exec, s[6:7]
	v_and_b32_e32 v47, 0xffff0000, v47
	v_lshlrev_b32_e32 v2, 16, v2
	v_mul_f32_e32 v2, v47, v2
	v_and_b32_e32 v8, 0x7f800000, v2
	v_cmp_ne_u32_e64 s[0:1], s14, v8
                                        ; implicit-def: $vgpr8
	s_and_saveexec_b64 s[6:7], s[0:1]
	s_xor_b64 s[0:1], exec, s[6:7]
; %bb.78:                               ;   in Loop: Header=BB187_43 Depth=1
	v_bfe_u32 v8, v2, 16, 1
	v_add3_u32 v8, v2, v8, s15
                                        ; implicit-def: $vgpr2
; %bb.79:                               ;   in Loop: Header=BB187_43 Depth=1
	s_andn2_saveexec_b64 s[6:7], s[0:1]
; %bb.80:                               ;   in Loop: Header=BB187_43 Depth=1
	v_or_b32_e32 v8, 0x10000, v2
	v_cmp_eq_u32_sdwa s[0:1], v2, v25 src0_sel:WORD_0 src1_sel:DWORD
	v_cndmask_b32_e64 v8, v8, v2, s[0:1]
; %bb.81:                               ;   in Loop: Header=BB187_43 Depth=1
	s_or_b64 exec, exec, s[6:7]
	v_and_b32_e32 v48, 0xffff0000, v48
	v_lshlrev_b32_e32 v2, 16, v9
	v_mul_f32_e32 v2, v48, v2
	v_and_b32_e32 v9, 0x7f800000, v2
	v_cmp_ne_u32_e64 s[0:1], s14, v9
                                        ; implicit-def: $vgpr9
	s_and_saveexec_b64 s[6:7], s[0:1]
	s_xor_b64 s[0:1], exec, s[6:7]
; %bb.82:                               ;   in Loop: Header=BB187_43 Depth=1
	v_bfe_u32 v9, v2, 16, 1
	v_add3_u32 v9, v2, v9, s15
                                        ; implicit-def: $vgpr2
; %bb.83:                               ;   in Loop: Header=BB187_43 Depth=1
	s_andn2_saveexec_b64 s[6:7], s[0:1]
; %bb.84:                               ;   in Loop: Header=BB187_43 Depth=1
	v_or_b32_e32 v9, 0x10000, v2
	v_cmp_eq_u32_sdwa s[0:1], v2, v25 src0_sel:WORD_0 src1_sel:DWORD
	v_cndmask_b32_e64 v9, v9, v2, s[0:1]
; %bb.85:                               ;   in Loop: Header=BB187_43 Depth=1
	s_or_b64 exec, exec, s[6:7]
	v_and_b32_e32 v49, 0xffff0000, v32
	v_lshlrev_b32_e32 v2, 16, v3
	v_mul_f32_e32 v2, v49, v2
	v_and_b32_e32 v3, 0x7f800000, v2
	v_cmp_ne_u32_e64 s[0:1], s14, v3
                                        ; implicit-def: $vgpr32
	s_and_saveexec_b64 s[6:7], s[0:1]
	s_xor_b64 s[0:1], exec, s[6:7]
; %bb.86:                               ;   in Loop: Header=BB187_43 Depth=1
	v_bfe_u32 v3, v2, 16, 1
	v_add3_u32 v32, v2, v3, s15
                                        ; implicit-def: $vgpr2
; %bb.87:                               ;   in Loop: Header=BB187_43 Depth=1
	s_andn2_saveexec_b64 s[6:7], s[0:1]
; %bb.88:                               ;   in Loop: Header=BB187_43 Depth=1
	v_or_b32_e32 v3, 0x10000, v2
	v_cmp_eq_u32_sdwa s[0:1], v2, v25 src0_sel:WORD_0 src1_sel:DWORD
	v_cndmask_b32_e64 v32, v3, v2, s[0:1]
; %bb.89:                               ;   in Loop: Header=BB187_43 Depth=1
	s_or_b64 exec, exec, s[6:7]
	v_and_b32_e32 v50, 0xffff0000, v33
	v_lshlrev_b32_e32 v2, 16, v51
	v_mul_f32_e32 v2, v50, v2
	v_and_b32_e32 v3, 0x7f800000, v2
	v_cmp_ne_u32_e64 s[0:1], s14, v3
                                        ; implicit-def: $vgpr33
	s_and_saveexec_b64 s[6:7], s[0:1]
	s_xor_b64 s[0:1], exec, s[6:7]
; %bb.90:                               ;   in Loop: Header=BB187_43 Depth=1
	v_bfe_u32 v3, v2, 16, 1
	v_add3_u32 v33, v2, v3, s15
                                        ; implicit-def: $vgpr2
; %bb.91:                               ;   in Loop: Header=BB187_43 Depth=1
	s_andn2_saveexec_b64 s[6:7], s[0:1]
; %bb.92:                               ;   in Loop: Header=BB187_43 Depth=1
	v_or_b32_e32 v3, 0x10000, v2
	v_cmp_eq_u32_sdwa s[0:1], v2, v25 src0_sel:WORD_0 src1_sel:DWORD
	v_cndmask_b32_e64 v33, v3, v2, s[0:1]
; %bb.93:                               ;   in Loop: Header=BB187_43 Depth=1
	s_or_b64 exec, exec, s[6:7]
	v_and_b32_e32 v51, 0xffff0000, v34
	v_lshlrev_b32_e32 v2, 16, v4
	v_mul_f32_e32 v2, v51, v2
	v_and_b32_e32 v3, 0x7f800000, v2
	v_cmp_ne_u32_e64 s[0:1], s14, v3
                                        ; implicit-def: $vgpr34
	s_and_saveexec_b64 s[6:7], s[0:1]
	s_xor_b64 s[0:1], exec, s[6:7]
; %bb.94:                               ;   in Loop: Header=BB187_43 Depth=1
	v_bfe_u32 v3, v2, 16, 1
	v_add3_u32 v34, v2, v3, s15
                                        ; implicit-def: $vgpr2
; %bb.95:                               ;   in Loop: Header=BB187_43 Depth=1
	s_andn2_saveexec_b64 s[6:7], s[0:1]
; %bb.96:                               ;   in Loop: Header=BB187_43 Depth=1
	v_or_b32_e32 v3, 0x10000, v2
	v_cmp_eq_u32_sdwa s[0:1], v2, v25 src0_sel:WORD_0 src1_sel:DWORD
	v_cndmask_b32_e64 v34, v3, v2, s[0:1]
; %bb.97:                               ;   in Loop: Header=BB187_43 Depth=1
	s_or_b64 exec, exec, s[6:7]
	v_and_b32_e32 v52, 0xffff0000, v35
	v_lshlrev_b32_e32 v2, 16, v53
	v_mul_f32_e32 v2, v52, v2
	v_and_b32_e32 v3, 0x7f800000, v2
	v_cmp_ne_u32_e64 s[0:1], s14, v3
                                        ; implicit-def: $vgpr35
	s_and_saveexec_b64 s[6:7], s[0:1]
	s_xor_b64 s[0:1], exec, s[6:7]
; %bb.98:                               ;   in Loop: Header=BB187_43 Depth=1
	v_bfe_u32 v3, v2, 16, 1
	v_add3_u32 v35, v2, v3, s15
                                        ; implicit-def: $vgpr2
; %bb.99:                               ;   in Loop: Header=BB187_43 Depth=1
	s_andn2_saveexec_b64 s[6:7], s[0:1]
; %bb.100:                              ;   in Loop: Header=BB187_43 Depth=1
	v_or_b32_e32 v3, 0x10000, v2
	v_cmp_eq_u32_sdwa s[0:1], v2, v25 src0_sel:WORD_0 src1_sel:DWORD
	v_cndmask_b32_e64 v35, v3, v2, s[0:1]
; %bb.101:                              ;   in Loop: Header=BB187_43 Depth=1
	s_or_b64 exec, exec, s[6:7]
	v_and_b32_e32 v53, 0xffff0000, v36
	v_lshlrev_b32_e32 v2, 16, v5
	v_mul_f32_e32 v2, v53, v2
	v_and_b32_e32 v3, 0x7f800000, v2
	v_cmp_ne_u32_e64 s[0:1], s14, v3
                                        ; implicit-def: $vgpr36
	s_and_saveexec_b64 s[6:7], s[0:1]
	s_xor_b64 s[0:1], exec, s[6:7]
; %bb.102:                              ;   in Loop: Header=BB187_43 Depth=1
	v_bfe_u32 v3, v2, 16, 1
	v_add3_u32 v36, v2, v3, s15
                                        ; implicit-def: $vgpr2
; %bb.103:                              ;   in Loop: Header=BB187_43 Depth=1
	s_andn2_saveexec_b64 s[6:7], s[0:1]
; %bb.104:                              ;   in Loop: Header=BB187_43 Depth=1
	v_or_b32_e32 v3, 0x10000, v2
	v_cmp_eq_u32_sdwa s[0:1], v2, v25 src0_sel:WORD_0 src1_sel:DWORD
	v_cndmask_b32_e64 v36, v3, v2, s[0:1]
; %bb.105:                              ;   in Loop: Header=BB187_43 Depth=1
	s_or_b64 exec, exec, s[6:7]
	v_and_b32_e32 v54, 0xffff0000, v44
	v_lshlrev_b32_e32 v2, 16, v55
	v_mul_f32_e32 v2, v54, v2
	v_and_b32_e32 v3, 0x7f800000, v2
	v_cmp_ne_u32_e64 s[0:1], s14, v3
                                        ; implicit-def: $vgpr44
	s_and_saveexec_b64 s[6:7], s[0:1]
	s_xor_b64 s[0:1], exec, s[6:7]
; %bb.106:                              ;   in Loop: Header=BB187_43 Depth=1
	v_bfe_u32 v3, v2, 16, 1
	v_add3_u32 v44, v2, v3, s15
                                        ; implicit-def: $vgpr2
; %bb.107:                              ;   in Loop: Header=BB187_43 Depth=1
	s_andn2_saveexec_b64 s[6:7], s[0:1]
; %bb.108:                              ;   in Loop: Header=BB187_43 Depth=1
	v_or_b32_e32 v3, 0x10000, v2
	v_cmp_eq_u32_sdwa s[0:1], v2, v25 src0_sel:WORD_0 src1_sel:DWORD
	v_cndmask_b32_e64 v44, v3, v2, s[0:1]
; %bb.109:                              ;   in Loop: Header=BB187_43 Depth=1
	s_or_b64 exec, exec, s[6:7]
	global_load_dwordx4 v[2:5], v[6:7], off offset:1024
	s_waitcnt vmcnt(0)
	v_lshrrev_b32_e32 v56, 16, v2
	v_lshrrev_b32_e32 v58, 16, v3
	;; [unrolled: 1-line block ×4, first 2 shown]
	s_and_saveexec_b64 s[6:7], vcc
	s_cbranch_execz .LBB187_111
; %bb.110:                              ;   in Loop: Header=BB187_43 Depth=1
	v_cmp_gt_i32_e64 s[0:1], s33, v37
	v_cndmask_b32_e64 v2, 0, v2, s[0:1]
	v_cmp_gt_i32_e64 s[0:1], s33, v43
	v_cndmask_b32_e64 v56, 0, v56, s[0:1]
	;; [unrolled: 2-line block ×8, first 2 shown]
.LBB187_111:                            ;   in Loop: Header=BB187_43 Depth=1
	s_or_b64 exec, exec, s[6:7]
	v_lshlrev_b32_e32 v2, 16, v2
	v_mul_f32_e32 v2, v47, v2
	v_and_b32_e32 v55, 0x7f800000, v2
	v_cmp_ne_u32_e64 s[0:1], s14, v55
                                        ; implicit-def: $vgpr55
	s_and_saveexec_b64 s[6:7], s[0:1]
	s_xor_b64 s[0:1], exec, s[6:7]
; %bb.112:                              ;   in Loop: Header=BB187_43 Depth=1
	v_bfe_u32 v55, v2, 16, 1
	v_add3_u32 v55, v2, v55, s15
                                        ; implicit-def: $vgpr2
; %bb.113:                              ;   in Loop: Header=BB187_43 Depth=1
	s_andn2_saveexec_b64 s[6:7], s[0:1]
; %bb.114:                              ;   in Loop: Header=BB187_43 Depth=1
	v_or_b32_e32 v55, 0x10000, v2
	v_cmp_eq_u32_sdwa s[0:1], v2, v25 src0_sel:WORD_0 src1_sel:DWORD
	v_cndmask_b32_e64 v55, v55, v2, s[0:1]
; %bb.115:                              ;   in Loop: Header=BB187_43 Depth=1
	s_or_b64 exec, exec, s[6:7]
	v_lshlrev_b32_e32 v2, 16, v56
	v_mul_f32_e32 v2, v48, v2
	v_and_b32_e32 v56, 0x7f800000, v2
	v_cmp_ne_u32_e64 s[0:1], s14, v56
                                        ; implicit-def: $vgpr56
	s_and_saveexec_b64 s[6:7], s[0:1]
	s_xor_b64 s[0:1], exec, s[6:7]
; %bb.116:                              ;   in Loop: Header=BB187_43 Depth=1
	v_bfe_u32 v56, v2, 16, 1
	v_add3_u32 v56, v2, v56, s15
                                        ; implicit-def: $vgpr2
; %bb.117:                              ;   in Loop: Header=BB187_43 Depth=1
	s_andn2_saveexec_b64 s[6:7], s[0:1]
; %bb.118:                              ;   in Loop: Header=BB187_43 Depth=1
	v_or_b32_e32 v56, 0x10000, v2
	v_cmp_eq_u32_sdwa s[0:1], v2, v25 src0_sel:WORD_0 src1_sel:DWORD
	v_cndmask_b32_e64 v56, v56, v2, s[0:1]
; %bb.119:                              ;   in Loop: Header=BB187_43 Depth=1
	s_or_b64 exec, exec, s[6:7]
	v_lshlrev_b32_e32 v2, 16, v3
	v_mul_f32_e32 v2, v49, v2
	v_and_b32_e32 v3, 0x7f800000, v2
	v_cmp_ne_u32_e64 s[0:1], s14, v3
                                        ; implicit-def: $vgpr57
	s_and_saveexec_b64 s[6:7], s[0:1]
	s_xor_b64 s[0:1], exec, s[6:7]
; %bb.120:                              ;   in Loop: Header=BB187_43 Depth=1
	v_bfe_u32 v3, v2, 16, 1
	v_add3_u32 v57, v2, v3, s15
                                        ; implicit-def: $vgpr2
; %bb.121:                              ;   in Loop: Header=BB187_43 Depth=1
	s_andn2_saveexec_b64 s[6:7], s[0:1]
; %bb.122:                              ;   in Loop: Header=BB187_43 Depth=1
	v_or_b32_e32 v3, 0x10000, v2
	v_cmp_eq_u32_sdwa s[0:1], v2, v25 src0_sel:WORD_0 src1_sel:DWORD
	v_cndmask_b32_e64 v57, v3, v2, s[0:1]
; %bb.123:                              ;   in Loop: Header=BB187_43 Depth=1
	s_or_b64 exec, exec, s[6:7]
	v_lshlrev_b32_e32 v2, 16, v58
	v_mul_f32_e32 v2, v50, v2
	v_and_b32_e32 v3, 0x7f800000, v2
	v_cmp_ne_u32_e64 s[0:1], s14, v3
                                        ; implicit-def: $vgpr58
	s_and_saveexec_b64 s[6:7], s[0:1]
	s_xor_b64 s[0:1], exec, s[6:7]
; %bb.124:                              ;   in Loop: Header=BB187_43 Depth=1
	v_bfe_u32 v3, v2, 16, 1
	v_add3_u32 v58, v2, v3, s15
                                        ; implicit-def: $vgpr2
; %bb.125:                              ;   in Loop: Header=BB187_43 Depth=1
	s_andn2_saveexec_b64 s[6:7], s[0:1]
; %bb.126:                              ;   in Loop: Header=BB187_43 Depth=1
	v_or_b32_e32 v3, 0x10000, v2
	v_cmp_eq_u32_sdwa s[0:1], v2, v25 src0_sel:WORD_0 src1_sel:DWORD
	v_cndmask_b32_e64 v58, v3, v2, s[0:1]
; %bb.127:                              ;   in Loop: Header=BB187_43 Depth=1
	s_or_b64 exec, exec, s[6:7]
	v_lshlrev_b32_e32 v2, 16, v4
	v_mul_f32_e32 v2, v51, v2
	v_and_b32_e32 v3, 0x7f800000, v2
	v_cmp_ne_u32_e64 s[0:1], s14, v3
                                        ; implicit-def: $vgpr59
	s_and_saveexec_b64 s[6:7], s[0:1]
	s_xor_b64 s[0:1], exec, s[6:7]
; %bb.128:                              ;   in Loop: Header=BB187_43 Depth=1
	v_bfe_u32 v3, v2, 16, 1
	v_add3_u32 v59, v2, v3, s15
                                        ; implicit-def: $vgpr2
; %bb.129:                              ;   in Loop: Header=BB187_43 Depth=1
	s_andn2_saveexec_b64 s[6:7], s[0:1]
; %bb.130:                              ;   in Loop: Header=BB187_43 Depth=1
	v_or_b32_e32 v3, 0x10000, v2
	v_cmp_eq_u32_sdwa s[0:1], v2, v25 src0_sel:WORD_0 src1_sel:DWORD
	v_cndmask_b32_e64 v59, v3, v2, s[0:1]
; %bb.131:                              ;   in Loop: Header=BB187_43 Depth=1
	s_or_b64 exec, exec, s[6:7]
	v_lshlrev_b32_e32 v2, 16, v60
	v_mul_f32_e32 v2, v52, v2
	v_and_b32_e32 v3, 0x7f800000, v2
	v_cmp_ne_u32_e64 s[0:1], s14, v3
                                        ; implicit-def: $vgpr60
	s_and_saveexec_b64 s[6:7], s[0:1]
	s_xor_b64 s[0:1], exec, s[6:7]
; %bb.132:                              ;   in Loop: Header=BB187_43 Depth=1
	v_bfe_u32 v3, v2, 16, 1
	v_add3_u32 v60, v2, v3, s15
                                        ; implicit-def: $vgpr2
; %bb.133:                              ;   in Loop: Header=BB187_43 Depth=1
	s_andn2_saveexec_b64 s[6:7], s[0:1]
; %bb.134:                              ;   in Loop: Header=BB187_43 Depth=1
	v_or_b32_e32 v3, 0x10000, v2
	v_cmp_eq_u32_sdwa s[0:1], v2, v25 src0_sel:WORD_0 src1_sel:DWORD
	v_cndmask_b32_e64 v60, v3, v2, s[0:1]
; %bb.135:                              ;   in Loop: Header=BB187_43 Depth=1
	s_or_b64 exec, exec, s[6:7]
	v_lshlrev_b32_e32 v2, 16, v5
	v_mul_f32_e32 v2, v53, v2
	v_and_b32_e32 v3, 0x7f800000, v2
	v_cmp_ne_u32_e64 s[0:1], s14, v3
                                        ; implicit-def: $vgpr61
	s_and_saveexec_b64 s[6:7], s[0:1]
	s_xor_b64 s[0:1], exec, s[6:7]
; %bb.136:                              ;   in Loop: Header=BB187_43 Depth=1
	v_bfe_u32 v3, v2, 16, 1
	v_add3_u32 v61, v2, v3, s15
                                        ; implicit-def: $vgpr2
; %bb.137:                              ;   in Loop: Header=BB187_43 Depth=1
	s_andn2_saveexec_b64 s[6:7], s[0:1]
; %bb.138:                              ;   in Loop: Header=BB187_43 Depth=1
	v_or_b32_e32 v3, 0x10000, v2
	v_cmp_eq_u32_sdwa s[0:1], v2, v25 src0_sel:WORD_0 src1_sel:DWORD
	v_cndmask_b32_e64 v61, v3, v2, s[0:1]
; %bb.139:                              ;   in Loop: Header=BB187_43 Depth=1
	s_or_b64 exec, exec, s[6:7]
	v_lshlrev_b32_e32 v2, 16, v62
	v_mul_f32_e32 v2, v54, v2
	v_and_b32_e32 v3, 0x7f800000, v2
	v_cmp_ne_u32_e64 s[0:1], s14, v3
                                        ; implicit-def: $vgpr62
	s_and_saveexec_b64 s[6:7], s[0:1]
	s_xor_b64 s[0:1], exec, s[6:7]
; %bb.140:                              ;   in Loop: Header=BB187_43 Depth=1
	v_bfe_u32 v3, v2, 16, 1
	v_add3_u32 v62, v2, v3, s15
                                        ; implicit-def: $vgpr2
; %bb.141:                              ;   in Loop: Header=BB187_43 Depth=1
	s_andn2_saveexec_b64 s[6:7], s[0:1]
; %bb.142:                              ;   in Loop: Header=BB187_43 Depth=1
	v_or_b32_e32 v3, 0x10000, v2
	v_cmp_eq_u32_sdwa s[0:1], v2, v25 src0_sel:WORD_0 src1_sel:DWORD
	v_cndmask_b32_e64 v62, v3, v2, s[0:1]
; %bb.143:                              ;   in Loop: Header=BB187_43 Depth=1
	s_or_b64 exec, exec, s[6:7]
	global_load_dwordx4 v[2:5], v[6:7], off offset:2048
	s_waitcnt vmcnt(0)
	v_lshrrev_b32_e32 v64, 16, v2
	v_lshrrev_b32_e32 v66, 16, v3
	;; [unrolled: 1-line block ×4, first 2 shown]
	s_and_saveexec_b64 s[6:7], vcc
	s_cbranch_execz .LBB187_145
; %bb.144:                              ;   in Loop: Header=BB187_43 Depth=1
	v_cmp_gt_i32_e64 s[0:1], s33, v37
	v_cndmask_b32_e64 v2, 0, v2, s[0:1]
	v_cmp_gt_i32_e64 s[0:1], s33, v43
	v_cndmask_b32_e64 v64, 0, v64, s[0:1]
	;; [unrolled: 2-line block ×8, first 2 shown]
.LBB187_145:                            ;   in Loop: Header=BB187_43 Depth=1
	s_or_b64 exec, exec, s[6:7]
	v_lshlrev_b32_e32 v2, 16, v2
	v_mul_f32_e32 v2, v47, v2
	v_and_b32_e32 v63, 0x7f800000, v2
	v_cmp_ne_u32_e64 s[0:1], s14, v63
                                        ; implicit-def: $vgpr63
	s_and_saveexec_b64 s[6:7], s[0:1]
	s_xor_b64 s[0:1], exec, s[6:7]
; %bb.146:                              ;   in Loop: Header=BB187_43 Depth=1
	v_bfe_u32 v63, v2, 16, 1
	v_add3_u32 v63, v2, v63, s15
                                        ; implicit-def: $vgpr2
; %bb.147:                              ;   in Loop: Header=BB187_43 Depth=1
	s_andn2_saveexec_b64 s[6:7], s[0:1]
; %bb.148:                              ;   in Loop: Header=BB187_43 Depth=1
	v_or_b32_e32 v63, 0x10000, v2
	v_cmp_eq_u32_sdwa s[0:1], v2, v25 src0_sel:WORD_0 src1_sel:DWORD
	v_cndmask_b32_e64 v63, v63, v2, s[0:1]
; %bb.149:                              ;   in Loop: Header=BB187_43 Depth=1
	s_or_b64 exec, exec, s[6:7]
	v_lshlrev_b32_e32 v2, 16, v64
	v_mul_f32_e32 v2, v48, v2
	v_and_b32_e32 v64, 0x7f800000, v2
	v_cmp_ne_u32_e64 s[0:1], s14, v64
                                        ; implicit-def: $vgpr64
	s_and_saveexec_b64 s[6:7], s[0:1]
	s_xor_b64 s[0:1], exec, s[6:7]
; %bb.150:                              ;   in Loop: Header=BB187_43 Depth=1
	v_bfe_u32 v64, v2, 16, 1
	v_add3_u32 v64, v2, v64, s15
                                        ; implicit-def: $vgpr2
; %bb.151:                              ;   in Loop: Header=BB187_43 Depth=1
	s_andn2_saveexec_b64 s[6:7], s[0:1]
; %bb.152:                              ;   in Loop: Header=BB187_43 Depth=1
	v_or_b32_e32 v64, 0x10000, v2
	v_cmp_eq_u32_sdwa s[0:1], v2, v25 src0_sel:WORD_0 src1_sel:DWORD
	v_cndmask_b32_e64 v64, v64, v2, s[0:1]
; %bb.153:                              ;   in Loop: Header=BB187_43 Depth=1
	s_or_b64 exec, exec, s[6:7]
	v_lshlrev_b32_e32 v2, 16, v3
	v_mul_f32_e32 v2, v49, v2
	v_and_b32_e32 v3, 0x7f800000, v2
	v_cmp_ne_u32_e64 s[0:1], s14, v3
                                        ; implicit-def: $vgpr65
	s_and_saveexec_b64 s[6:7], s[0:1]
	s_xor_b64 s[0:1], exec, s[6:7]
; %bb.154:                              ;   in Loop: Header=BB187_43 Depth=1
	v_bfe_u32 v3, v2, 16, 1
	v_add3_u32 v65, v2, v3, s15
                                        ; implicit-def: $vgpr2
; %bb.155:                              ;   in Loop: Header=BB187_43 Depth=1
	s_andn2_saveexec_b64 s[6:7], s[0:1]
; %bb.156:                              ;   in Loop: Header=BB187_43 Depth=1
	v_or_b32_e32 v3, 0x10000, v2
	v_cmp_eq_u32_sdwa s[0:1], v2, v25 src0_sel:WORD_0 src1_sel:DWORD
	v_cndmask_b32_e64 v65, v3, v2, s[0:1]
; %bb.157:                              ;   in Loop: Header=BB187_43 Depth=1
	s_or_b64 exec, exec, s[6:7]
	v_lshlrev_b32_e32 v2, 16, v66
	v_mul_f32_e32 v2, v50, v2
	v_and_b32_e32 v3, 0x7f800000, v2
	v_cmp_ne_u32_e64 s[0:1], s14, v3
                                        ; implicit-def: $vgpr66
	s_and_saveexec_b64 s[6:7], s[0:1]
	s_xor_b64 s[0:1], exec, s[6:7]
; %bb.158:                              ;   in Loop: Header=BB187_43 Depth=1
	v_bfe_u32 v3, v2, 16, 1
	v_add3_u32 v66, v2, v3, s15
                                        ; implicit-def: $vgpr2
; %bb.159:                              ;   in Loop: Header=BB187_43 Depth=1
	s_andn2_saveexec_b64 s[6:7], s[0:1]
; %bb.160:                              ;   in Loop: Header=BB187_43 Depth=1
	v_or_b32_e32 v3, 0x10000, v2
	v_cmp_eq_u32_sdwa s[0:1], v2, v25 src0_sel:WORD_0 src1_sel:DWORD
	v_cndmask_b32_e64 v66, v3, v2, s[0:1]
; %bb.161:                              ;   in Loop: Header=BB187_43 Depth=1
	s_or_b64 exec, exec, s[6:7]
	v_lshlrev_b32_e32 v2, 16, v4
	v_mul_f32_e32 v2, v51, v2
	v_and_b32_e32 v3, 0x7f800000, v2
	v_cmp_ne_u32_e64 s[0:1], s14, v3
                                        ; implicit-def: $vgpr67
	s_and_saveexec_b64 s[6:7], s[0:1]
	s_xor_b64 s[0:1], exec, s[6:7]
; %bb.162:                              ;   in Loop: Header=BB187_43 Depth=1
	v_bfe_u32 v3, v2, 16, 1
	v_add3_u32 v67, v2, v3, s15
                                        ; implicit-def: $vgpr2
; %bb.163:                              ;   in Loop: Header=BB187_43 Depth=1
	s_andn2_saveexec_b64 s[6:7], s[0:1]
; %bb.164:                              ;   in Loop: Header=BB187_43 Depth=1
	v_or_b32_e32 v3, 0x10000, v2
	v_cmp_eq_u32_sdwa s[0:1], v2, v25 src0_sel:WORD_0 src1_sel:DWORD
	v_cndmask_b32_e64 v67, v3, v2, s[0:1]
; %bb.165:                              ;   in Loop: Header=BB187_43 Depth=1
	s_or_b64 exec, exec, s[6:7]
	v_lshlrev_b32_e32 v2, 16, v68
	v_mul_f32_e32 v2, v52, v2
	v_and_b32_e32 v3, 0x7f800000, v2
	v_cmp_ne_u32_e64 s[0:1], s14, v3
                                        ; implicit-def: $vgpr68
	s_and_saveexec_b64 s[6:7], s[0:1]
	s_xor_b64 s[0:1], exec, s[6:7]
; %bb.166:                              ;   in Loop: Header=BB187_43 Depth=1
	v_bfe_u32 v3, v2, 16, 1
	v_add3_u32 v68, v2, v3, s15
                                        ; implicit-def: $vgpr2
; %bb.167:                              ;   in Loop: Header=BB187_43 Depth=1
	s_andn2_saveexec_b64 s[6:7], s[0:1]
; %bb.168:                              ;   in Loop: Header=BB187_43 Depth=1
	v_or_b32_e32 v3, 0x10000, v2
	v_cmp_eq_u32_sdwa s[0:1], v2, v25 src0_sel:WORD_0 src1_sel:DWORD
	v_cndmask_b32_e64 v68, v3, v2, s[0:1]
; %bb.169:                              ;   in Loop: Header=BB187_43 Depth=1
	s_or_b64 exec, exec, s[6:7]
	v_lshlrev_b32_e32 v2, 16, v5
	v_mul_f32_e32 v2, v53, v2
	v_and_b32_e32 v3, 0x7f800000, v2
	v_cmp_ne_u32_e64 s[0:1], s14, v3
                                        ; implicit-def: $vgpr69
	s_and_saveexec_b64 s[6:7], s[0:1]
	s_xor_b64 s[0:1], exec, s[6:7]
; %bb.170:                              ;   in Loop: Header=BB187_43 Depth=1
	v_bfe_u32 v3, v2, 16, 1
	v_add3_u32 v69, v2, v3, s15
                                        ; implicit-def: $vgpr2
; %bb.171:                              ;   in Loop: Header=BB187_43 Depth=1
	s_andn2_saveexec_b64 s[6:7], s[0:1]
; %bb.172:                              ;   in Loop: Header=BB187_43 Depth=1
	v_or_b32_e32 v3, 0x10000, v2
	v_cmp_eq_u32_sdwa s[0:1], v2, v25 src0_sel:WORD_0 src1_sel:DWORD
	v_cndmask_b32_e64 v69, v3, v2, s[0:1]
; %bb.173:                              ;   in Loop: Header=BB187_43 Depth=1
	s_or_b64 exec, exec, s[6:7]
	v_lshlrev_b32_e32 v2, 16, v70
	v_mul_f32_e32 v2, v54, v2
	v_and_b32_e32 v3, 0x7f800000, v2
	v_cmp_ne_u32_e64 s[0:1], s14, v3
                                        ; implicit-def: $vgpr70
	s_and_saveexec_b64 s[6:7], s[0:1]
	s_xor_b64 s[0:1], exec, s[6:7]
; %bb.174:                              ;   in Loop: Header=BB187_43 Depth=1
	v_bfe_u32 v3, v2, 16, 1
	v_add3_u32 v70, v2, v3, s15
                                        ; implicit-def: $vgpr2
; %bb.175:                              ;   in Loop: Header=BB187_43 Depth=1
	s_andn2_saveexec_b64 s[6:7], s[0:1]
; %bb.176:                              ;   in Loop: Header=BB187_43 Depth=1
	v_or_b32_e32 v3, 0x10000, v2
	v_cmp_eq_u32_sdwa s[0:1], v2, v25 src0_sel:WORD_0 src1_sel:DWORD
	v_cndmask_b32_e64 v70, v3, v2, s[0:1]
; %bb.177:                              ;   in Loop: Header=BB187_43 Depth=1
	s_or_b64 exec, exec, s[6:7]
	global_load_dwordx4 v[2:5], v[6:7], off offset:3072
	s_waitcnt vmcnt(0)
	v_lshrrev_b32_e32 v7, 16, v2
	v_lshrrev_b32_e32 v72, 16, v3
	;; [unrolled: 1-line block ×4, first 2 shown]
	s_and_saveexec_b64 s[6:7], vcc
	s_cbranch_execz .LBB187_179
; %bb.178:                              ;   in Loop: Header=BB187_43 Depth=1
	v_cmp_gt_i32_e64 s[0:1], s33, v37
	v_cndmask_b32_e64 v2, 0, v2, s[0:1]
	v_cmp_gt_i32_e64 s[0:1], s33, v43
	v_cndmask_b32_e64 v7, 0, v7, s[0:1]
	;; [unrolled: 2-line block ×8, first 2 shown]
.LBB187_179:                            ;   in Loop: Header=BB187_43 Depth=1
	s_or_b64 exec, exec, s[6:7]
	v_lshlrev_b32_e32 v2, 16, v2
	v_mul_f32_e32 v2, v47, v2
	v_and_b32_e32 v6, 0x7f800000, v2
	v_cmp_ne_u32_e64 s[0:1], s14, v6
                                        ; implicit-def: $vgpr6
	s_and_saveexec_b64 s[6:7], s[0:1]
	s_xor_b64 s[0:1], exec, s[6:7]
; %bb.180:                              ;   in Loop: Header=BB187_43 Depth=1
	v_bfe_u32 v6, v2, 16, 1
	v_add3_u32 v6, v2, v6, s15
                                        ; implicit-def: $vgpr2
; %bb.181:                              ;   in Loop: Header=BB187_43 Depth=1
	s_andn2_saveexec_b64 s[6:7], s[0:1]
; %bb.182:                              ;   in Loop: Header=BB187_43 Depth=1
	v_or_b32_e32 v6, 0x10000, v2
	v_cmp_eq_u32_sdwa s[0:1], v2, v25 src0_sel:WORD_0 src1_sel:DWORD
	v_cndmask_b32_e64 v6, v6, v2, s[0:1]
; %bb.183:                              ;   in Loop: Header=BB187_43 Depth=1
	s_or_b64 exec, exec, s[6:7]
	v_lshlrev_b32_e32 v2, 16, v7
	v_mul_f32_e32 v2, v48, v2
	v_and_b32_e32 v7, 0x7f800000, v2
	v_cmp_ne_u32_e64 s[0:1], s14, v7
                                        ; implicit-def: $vgpr7
	s_and_saveexec_b64 s[6:7], s[0:1]
	s_xor_b64 s[0:1], exec, s[6:7]
; %bb.184:                              ;   in Loop: Header=BB187_43 Depth=1
	v_bfe_u32 v7, v2, 16, 1
	v_add3_u32 v7, v2, v7, s15
                                        ; implicit-def: $vgpr2
; %bb.185:                              ;   in Loop: Header=BB187_43 Depth=1
	s_andn2_saveexec_b64 s[6:7], s[0:1]
; %bb.186:                              ;   in Loop: Header=BB187_43 Depth=1
	v_or_b32_e32 v7, 0x10000, v2
	v_cmp_eq_u32_sdwa s[0:1], v2, v25 src0_sel:WORD_0 src1_sel:DWORD
	v_cndmask_b32_e64 v7, v7, v2, s[0:1]
; %bb.187:                              ;   in Loop: Header=BB187_43 Depth=1
	s_or_b64 exec, exec, s[6:7]
	v_lshlrev_b32_e32 v2, 16, v3
	v_mul_f32_e32 v2, v49, v2
	v_and_b32_e32 v3, 0x7f800000, v2
	v_cmp_ne_u32_e64 s[0:1], s14, v3
                                        ; implicit-def: $vgpr71
	s_and_saveexec_b64 s[6:7], s[0:1]
	s_xor_b64 s[0:1], exec, s[6:7]
; %bb.188:                              ;   in Loop: Header=BB187_43 Depth=1
	v_bfe_u32 v3, v2, 16, 1
	v_add3_u32 v71, v2, v3, s15
                                        ; implicit-def: $vgpr2
; %bb.189:                              ;   in Loop: Header=BB187_43 Depth=1
	s_andn2_saveexec_b64 s[6:7], s[0:1]
; %bb.190:                              ;   in Loop: Header=BB187_43 Depth=1
	v_or_b32_e32 v3, 0x10000, v2
	v_cmp_eq_u32_sdwa s[0:1], v2, v25 src0_sel:WORD_0 src1_sel:DWORD
	v_cndmask_b32_e64 v71, v3, v2, s[0:1]
; %bb.191:                              ;   in Loop: Header=BB187_43 Depth=1
	s_or_b64 exec, exec, s[6:7]
	v_lshlrev_b32_e32 v2, 16, v72
	v_mul_f32_e32 v2, v50, v2
	v_and_b32_e32 v3, 0x7f800000, v2
	v_cmp_ne_u32_e64 s[0:1], s14, v3
                                        ; implicit-def: $vgpr72
	s_and_saveexec_b64 s[6:7], s[0:1]
	s_xor_b64 s[0:1], exec, s[6:7]
; %bb.192:                              ;   in Loop: Header=BB187_43 Depth=1
	v_bfe_u32 v3, v2, 16, 1
	v_add3_u32 v72, v2, v3, s15
                                        ; implicit-def: $vgpr2
; %bb.193:                              ;   in Loop: Header=BB187_43 Depth=1
	s_andn2_saveexec_b64 s[6:7], s[0:1]
; %bb.194:                              ;   in Loop: Header=BB187_43 Depth=1
	v_or_b32_e32 v3, 0x10000, v2
	v_cmp_eq_u32_sdwa s[0:1], v2, v25 src0_sel:WORD_0 src1_sel:DWORD
	v_cndmask_b32_e64 v72, v3, v2, s[0:1]
; %bb.195:                              ;   in Loop: Header=BB187_43 Depth=1
	s_or_b64 exec, exec, s[6:7]
	v_lshlrev_b32_e32 v2, 16, v4
	v_mul_f32_e32 v2, v51, v2
	v_and_b32_e32 v3, 0x7f800000, v2
	v_cmp_ne_u32_e64 s[0:1], s14, v3
                                        ; implicit-def: $vgpr73
	s_and_saveexec_b64 s[6:7], s[0:1]
	s_xor_b64 s[0:1], exec, s[6:7]
; %bb.196:                              ;   in Loop: Header=BB187_43 Depth=1
	v_bfe_u32 v3, v2, 16, 1
	v_add3_u32 v73, v2, v3, s15
                                        ; implicit-def: $vgpr2
; %bb.197:                              ;   in Loop: Header=BB187_43 Depth=1
	s_andn2_saveexec_b64 s[6:7], s[0:1]
; %bb.198:                              ;   in Loop: Header=BB187_43 Depth=1
	v_or_b32_e32 v3, 0x10000, v2
	v_cmp_eq_u32_sdwa s[0:1], v2, v25 src0_sel:WORD_0 src1_sel:DWORD
	v_cndmask_b32_e64 v73, v3, v2, s[0:1]
; %bb.199:                              ;   in Loop: Header=BB187_43 Depth=1
	s_or_b64 exec, exec, s[6:7]
	v_lshlrev_b32_e32 v2, 16, v74
	v_mul_f32_e32 v2, v52, v2
	v_and_b32_e32 v3, 0x7f800000, v2
	v_cmp_ne_u32_e64 s[0:1], s14, v3
                                        ; implicit-def: $vgpr74
	s_and_saveexec_b64 s[6:7], s[0:1]
	s_xor_b64 s[0:1], exec, s[6:7]
; %bb.200:                              ;   in Loop: Header=BB187_43 Depth=1
	v_bfe_u32 v3, v2, 16, 1
	v_add3_u32 v74, v2, v3, s15
                                        ; implicit-def: $vgpr2
; %bb.201:                              ;   in Loop: Header=BB187_43 Depth=1
	s_andn2_saveexec_b64 s[6:7], s[0:1]
; %bb.202:                              ;   in Loop: Header=BB187_43 Depth=1
	v_or_b32_e32 v3, 0x10000, v2
	v_cmp_eq_u32_sdwa s[0:1], v2, v25 src0_sel:WORD_0 src1_sel:DWORD
	v_cndmask_b32_e64 v74, v3, v2, s[0:1]
; %bb.203:                              ;   in Loop: Header=BB187_43 Depth=1
	s_or_b64 exec, exec, s[6:7]
	v_lshlrev_b32_e32 v2, 16, v5
	v_mul_f32_e32 v2, v53, v2
	v_and_b32_e32 v3, 0x7f800000, v2
	v_cmp_ne_u32_e64 s[0:1], s14, v3
                                        ; implicit-def: $vgpr75
	s_and_saveexec_b64 s[6:7], s[0:1]
	s_xor_b64 s[0:1], exec, s[6:7]
; %bb.204:                              ;   in Loop: Header=BB187_43 Depth=1
	v_bfe_u32 v3, v2, 16, 1
	v_add3_u32 v75, v2, v3, s15
                                        ; implicit-def: $vgpr2
; %bb.205:                              ;   in Loop: Header=BB187_43 Depth=1
	s_andn2_saveexec_b64 s[6:7], s[0:1]
; %bb.206:                              ;   in Loop: Header=BB187_43 Depth=1
	v_or_b32_e32 v3, 0x10000, v2
	v_cmp_eq_u32_sdwa s[0:1], v2, v25 src0_sel:WORD_0 src1_sel:DWORD
	v_cndmask_b32_e64 v75, v3, v2, s[0:1]
; %bb.207:                              ;   in Loop: Header=BB187_43 Depth=1
	s_or_b64 exec, exec, s[6:7]
	v_lshlrev_b32_e32 v2, 16, v76
	v_mul_f32_e32 v2, v54, v2
	v_and_b32_e32 v3, 0x7f800000, v2
	v_cmp_ne_u32_e64 s[0:1], s14, v3
                                        ; implicit-def: $vgpr76
	s_and_saveexec_b64 s[6:7], s[0:1]
	s_xor_b64 s[0:1], exec, s[6:7]
; %bb.208:                              ;   in Loop: Header=BB187_43 Depth=1
	v_bfe_u32 v3, v2, 16, 1
	v_add3_u32 v76, v2, v3, s15
                                        ; implicit-def: $vgpr2
; %bb.209:                              ;   in Loop: Header=BB187_43 Depth=1
	s_andn2_saveexec_b64 s[6:7], s[0:1]
; %bb.210:                              ;   in Loop: Header=BB187_43 Depth=1
	v_or_b32_e32 v3, 0x10000, v2
	v_cmp_eq_u32_sdwa s[0:1], v2, v25 src0_sel:WORD_0 src1_sel:DWORD
	v_cndmask_b32_e64 v76, v3, v2, s[0:1]
; %bb.211:                              ;   in Loop: Header=BB187_43 Depth=1
	s_or_b64 exec, exec, s[6:7]
	v_add_co_u32_e64 v2, s[0:1], v45, v28
	v_addc_co_u32_e64 v3, s[0:1], 0, v46, s[0:1]
	global_load_dwordx4 v[2:5], v[2:3], off
	s_waitcnt vmcnt(0)
	v_lshrrev_b32_e32 v78, 16, v2
	v_lshrrev_b32_e32 v80, 16, v3
	;; [unrolled: 1-line block ×4, first 2 shown]
	s_and_saveexec_b64 s[6:7], vcc
	s_cbranch_execz .LBB187_213
; %bb.212:                              ;   in Loop: Header=BB187_43 Depth=1
	v_cmp_gt_i32_e64 s[0:1], s33, v37
	v_cndmask_b32_e64 v2, 0, v2, s[0:1]
	v_cmp_gt_i32_e64 s[0:1], s33, v43
	v_cndmask_b32_e64 v78, 0, v78, s[0:1]
	;; [unrolled: 2-line block ×8, first 2 shown]
.LBB187_213:                            ;   in Loop: Header=BB187_43 Depth=1
	s_or_b64 exec, exec, s[6:7]
	v_lshlrev_b32_e32 v2, 16, v2
	v_mul_f32_e32 v2, v47, v2
	v_and_b32_e32 v77, 0x7f800000, v2
	v_cmp_ne_u32_e64 s[0:1], s14, v77
                                        ; implicit-def: $vgpr77
	s_and_saveexec_b64 s[6:7], s[0:1]
	s_xor_b64 s[0:1], exec, s[6:7]
; %bb.214:                              ;   in Loop: Header=BB187_43 Depth=1
	v_bfe_u32 v77, v2, 16, 1
	v_add3_u32 v77, v2, v77, s15
                                        ; implicit-def: $vgpr2
; %bb.215:                              ;   in Loop: Header=BB187_43 Depth=1
	s_andn2_saveexec_b64 s[6:7], s[0:1]
; %bb.216:                              ;   in Loop: Header=BB187_43 Depth=1
	v_or_b32_e32 v77, 0x10000, v2
	v_cmp_eq_u32_sdwa s[0:1], v2, v25 src0_sel:WORD_0 src1_sel:DWORD
	v_cndmask_b32_e64 v77, v77, v2, s[0:1]
; %bb.217:                              ;   in Loop: Header=BB187_43 Depth=1
	s_or_b64 exec, exec, s[6:7]
	v_lshlrev_b32_e32 v2, 16, v78
	v_mul_f32_e32 v2, v48, v2
	v_and_b32_e32 v78, 0x7f800000, v2
	v_cmp_ne_u32_e64 s[0:1], s14, v78
                                        ; implicit-def: $vgpr78
	s_and_saveexec_b64 s[6:7], s[0:1]
	s_xor_b64 s[0:1], exec, s[6:7]
; %bb.218:                              ;   in Loop: Header=BB187_43 Depth=1
	v_bfe_u32 v78, v2, 16, 1
	v_add3_u32 v78, v2, v78, s15
                                        ; implicit-def: $vgpr2
; %bb.219:                              ;   in Loop: Header=BB187_43 Depth=1
	s_andn2_saveexec_b64 s[6:7], s[0:1]
; %bb.220:                              ;   in Loop: Header=BB187_43 Depth=1
	v_or_b32_e32 v78, 0x10000, v2
	v_cmp_eq_u32_sdwa s[0:1], v2, v25 src0_sel:WORD_0 src1_sel:DWORD
	v_cndmask_b32_e64 v78, v78, v2, s[0:1]
; %bb.221:                              ;   in Loop: Header=BB187_43 Depth=1
	s_or_b64 exec, exec, s[6:7]
	v_lshlrev_b32_e32 v2, 16, v3
	v_mul_f32_e32 v2, v49, v2
	v_and_b32_e32 v3, 0x7f800000, v2
	v_cmp_ne_u32_e64 s[0:1], s14, v3
                                        ; implicit-def: $vgpr79
	s_and_saveexec_b64 s[6:7], s[0:1]
	s_xor_b64 s[0:1], exec, s[6:7]
; %bb.222:                              ;   in Loop: Header=BB187_43 Depth=1
	v_bfe_u32 v3, v2, 16, 1
	v_add3_u32 v79, v2, v3, s15
                                        ; implicit-def: $vgpr2
; %bb.223:                              ;   in Loop: Header=BB187_43 Depth=1
	s_andn2_saveexec_b64 s[6:7], s[0:1]
; %bb.224:                              ;   in Loop: Header=BB187_43 Depth=1
	v_or_b32_e32 v3, 0x10000, v2
	v_cmp_eq_u32_sdwa s[0:1], v2, v25 src0_sel:WORD_0 src1_sel:DWORD
	v_cndmask_b32_e64 v79, v3, v2, s[0:1]
; %bb.225:                              ;   in Loop: Header=BB187_43 Depth=1
	s_or_b64 exec, exec, s[6:7]
	v_lshlrev_b32_e32 v2, 16, v80
	v_mul_f32_e32 v2, v50, v2
	v_and_b32_e32 v3, 0x7f800000, v2
	v_cmp_ne_u32_e64 s[0:1], s14, v3
                                        ; implicit-def: $vgpr80
	s_and_saveexec_b64 s[6:7], s[0:1]
	s_xor_b64 s[0:1], exec, s[6:7]
; %bb.226:                              ;   in Loop: Header=BB187_43 Depth=1
	v_bfe_u32 v3, v2, 16, 1
	v_add3_u32 v80, v2, v3, s15
                                        ; implicit-def: $vgpr2
; %bb.227:                              ;   in Loop: Header=BB187_43 Depth=1
	s_andn2_saveexec_b64 s[6:7], s[0:1]
; %bb.228:                              ;   in Loop: Header=BB187_43 Depth=1
	v_or_b32_e32 v3, 0x10000, v2
	v_cmp_eq_u32_sdwa s[0:1], v2, v25 src0_sel:WORD_0 src1_sel:DWORD
	v_cndmask_b32_e64 v80, v3, v2, s[0:1]
; %bb.229:                              ;   in Loop: Header=BB187_43 Depth=1
	s_or_b64 exec, exec, s[6:7]
	v_lshlrev_b32_e32 v2, 16, v4
	v_mul_f32_e32 v2, v51, v2
	v_and_b32_e32 v3, 0x7f800000, v2
	v_cmp_ne_u32_e64 s[0:1], s14, v3
                                        ; implicit-def: $vgpr81
	s_and_saveexec_b64 s[6:7], s[0:1]
	s_xor_b64 s[0:1], exec, s[6:7]
; %bb.230:                              ;   in Loop: Header=BB187_43 Depth=1
	v_bfe_u32 v3, v2, 16, 1
	v_add3_u32 v81, v2, v3, s15
                                        ; implicit-def: $vgpr2
; %bb.231:                              ;   in Loop: Header=BB187_43 Depth=1
	s_andn2_saveexec_b64 s[6:7], s[0:1]
; %bb.232:                              ;   in Loop: Header=BB187_43 Depth=1
	v_or_b32_e32 v3, 0x10000, v2
	v_cmp_eq_u32_sdwa s[0:1], v2, v25 src0_sel:WORD_0 src1_sel:DWORD
	v_cndmask_b32_e64 v81, v3, v2, s[0:1]
; %bb.233:                              ;   in Loop: Header=BB187_43 Depth=1
	s_or_b64 exec, exec, s[6:7]
	v_lshlrev_b32_e32 v2, 16, v82
	v_mul_f32_e32 v2, v52, v2
	v_and_b32_e32 v3, 0x7f800000, v2
	v_cmp_ne_u32_e64 s[0:1], s14, v3
                                        ; implicit-def: $vgpr82
	s_and_saveexec_b64 s[6:7], s[0:1]
	s_xor_b64 s[0:1], exec, s[6:7]
; %bb.234:                              ;   in Loop: Header=BB187_43 Depth=1
	v_bfe_u32 v3, v2, 16, 1
	v_add3_u32 v82, v2, v3, s15
                                        ; implicit-def: $vgpr2
; %bb.235:                              ;   in Loop: Header=BB187_43 Depth=1
	s_andn2_saveexec_b64 s[6:7], s[0:1]
; %bb.236:                              ;   in Loop: Header=BB187_43 Depth=1
	v_or_b32_e32 v3, 0x10000, v2
	v_cmp_eq_u32_sdwa s[0:1], v2, v25 src0_sel:WORD_0 src1_sel:DWORD
	v_cndmask_b32_e64 v82, v3, v2, s[0:1]
; %bb.237:                              ;   in Loop: Header=BB187_43 Depth=1
	s_or_b64 exec, exec, s[6:7]
	v_lshlrev_b32_e32 v2, 16, v5
	v_mul_f32_e32 v2, v53, v2
	v_and_b32_e32 v3, 0x7f800000, v2
	v_cmp_ne_u32_e64 s[0:1], s14, v3
                                        ; implicit-def: $vgpr83
	s_and_saveexec_b64 s[6:7], s[0:1]
	s_xor_b64 s[0:1], exec, s[6:7]
; %bb.238:                              ;   in Loop: Header=BB187_43 Depth=1
	v_bfe_u32 v3, v2, 16, 1
	v_add3_u32 v83, v2, v3, s15
                                        ; implicit-def: $vgpr2
; %bb.239:                              ;   in Loop: Header=BB187_43 Depth=1
	s_andn2_saveexec_b64 s[6:7], s[0:1]
; %bb.240:                              ;   in Loop: Header=BB187_43 Depth=1
	v_or_b32_e32 v3, 0x10000, v2
	v_cmp_eq_u32_sdwa s[0:1], v2, v25 src0_sel:WORD_0 src1_sel:DWORD
	v_cndmask_b32_e64 v83, v3, v2, s[0:1]
; %bb.241:                              ;   in Loop: Header=BB187_43 Depth=1
	s_or_b64 exec, exec, s[6:7]
	v_lshlrev_b32_e32 v2, 16, v84
	v_mul_f32_e32 v2, v54, v2
	v_and_b32_e32 v3, 0x7f800000, v2
	v_cmp_ne_u32_e64 s[0:1], s14, v3
                                        ; implicit-def: $vgpr84
	s_and_saveexec_b64 s[6:7], s[0:1]
	s_xor_b64 s[0:1], exec, s[6:7]
; %bb.242:                              ;   in Loop: Header=BB187_43 Depth=1
	v_bfe_u32 v3, v2, 16, 1
	v_add3_u32 v84, v2, v3, s15
                                        ; implicit-def: $vgpr2
; %bb.243:                              ;   in Loop: Header=BB187_43 Depth=1
	s_andn2_saveexec_b64 s[6:7], s[0:1]
; %bb.244:                              ;   in Loop: Header=BB187_43 Depth=1
	v_or_b32_e32 v3, 0x10000, v2
	v_cmp_eq_u32_sdwa s[0:1], v2, v25 src0_sel:WORD_0 src1_sel:DWORD
	v_cndmask_b32_e64 v84, v3, v2, s[0:1]
; %bb.245:                              ;   in Loop: Header=BB187_43 Depth=1
	s_or_b64 exec, exec, s[6:7]
	v_add_co_u32_e64 v2, s[0:1], v45, v29
	v_addc_co_u32_e64 v3, s[0:1], 0, v46, s[0:1]
	global_load_dwordx4 v[2:5], v[2:3], off
	s_waitcnt vmcnt(0)
	v_lshrrev_b32_e32 v86, 16, v2
	v_lshrrev_b32_e32 v88, 16, v3
	;; [unrolled: 1-line block ×4, first 2 shown]
	s_and_saveexec_b64 s[6:7], vcc
	s_cbranch_execz .LBB187_247
; %bb.246:                              ;   in Loop: Header=BB187_43 Depth=1
	v_cmp_gt_i32_e64 s[0:1], s33, v37
	v_cndmask_b32_e64 v2, 0, v2, s[0:1]
	v_cmp_gt_i32_e64 s[0:1], s33, v43
	v_cndmask_b32_e64 v86, 0, v86, s[0:1]
	;; [unrolled: 2-line block ×8, first 2 shown]
.LBB187_247:                            ;   in Loop: Header=BB187_43 Depth=1
	s_or_b64 exec, exec, s[6:7]
	v_lshlrev_b32_e32 v2, 16, v2
	v_mul_f32_e32 v2, v47, v2
	v_and_b32_e32 v85, 0x7f800000, v2
	v_cmp_ne_u32_e64 s[0:1], s14, v85
                                        ; implicit-def: $vgpr85
	s_and_saveexec_b64 s[6:7], s[0:1]
	s_xor_b64 s[0:1], exec, s[6:7]
; %bb.248:                              ;   in Loop: Header=BB187_43 Depth=1
	v_bfe_u32 v85, v2, 16, 1
	v_add3_u32 v85, v2, v85, s15
                                        ; implicit-def: $vgpr2
; %bb.249:                              ;   in Loop: Header=BB187_43 Depth=1
	s_andn2_saveexec_b64 s[6:7], s[0:1]
; %bb.250:                              ;   in Loop: Header=BB187_43 Depth=1
	v_or_b32_e32 v85, 0x10000, v2
	v_cmp_eq_u32_sdwa s[0:1], v2, v25 src0_sel:WORD_0 src1_sel:DWORD
	v_cndmask_b32_e64 v85, v85, v2, s[0:1]
; %bb.251:                              ;   in Loop: Header=BB187_43 Depth=1
	s_or_b64 exec, exec, s[6:7]
	v_lshlrev_b32_e32 v2, 16, v86
	v_mul_f32_e32 v2, v48, v2
	v_and_b32_e32 v86, 0x7f800000, v2
	v_cmp_ne_u32_e64 s[0:1], s14, v86
                                        ; implicit-def: $vgpr86
	s_and_saveexec_b64 s[6:7], s[0:1]
	s_xor_b64 s[0:1], exec, s[6:7]
; %bb.252:                              ;   in Loop: Header=BB187_43 Depth=1
	v_bfe_u32 v86, v2, 16, 1
	v_add3_u32 v86, v2, v86, s15
                                        ; implicit-def: $vgpr2
; %bb.253:                              ;   in Loop: Header=BB187_43 Depth=1
	s_andn2_saveexec_b64 s[6:7], s[0:1]
; %bb.254:                              ;   in Loop: Header=BB187_43 Depth=1
	v_or_b32_e32 v86, 0x10000, v2
	v_cmp_eq_u32_sdwa s[0:1], v2, v25 src0_sel:WORD_0 src1_sel:DWORD
	v_cndmask_b32_e64 v86, v86, v2, s[0:1]
; %bb.255:                              ;   in Loop: Header=BB187_43 Depth=1
	s_or_b64 exec, exec, s[6:7]
	v_lshlrev_b32_e32 v2, 16, v3
	v_mul_f32_e32 v2, v49, v2
	v_and_b32_e32 v3, 0x7f800000, v2
	v_cmp_ne_u32_e64 s[0:1], s14, v3
                                        ; implicit-def: $vgpr87
	s_and_saveexec_b64 s[6:7], s[0:1]
	s_xor_b64 s[0:1], exec, s[6:7]
; %bb.256:                              ;   in Loop: Header=BB187_43 Depth=1
	v_bfe_u32 v3, v2, 16, 1
	v_add3_u32 v87, v2, v3, s15
                                        ; implicit-def: $vgpr2
; %bb.257:                              ;   in Loop: Header=BB187_43 Depth=1
	s_andn2_saveexec_b64 s[6:7], s[0:1]
; %bb.258:                              ;   in Loop: Header=BB187_43 Depth=1
	v_or_b32_e32 v3, 0x10000, v2
	v_cmp_eq_u32_sdwa s[0:1], v2, v25 src0_sel:WORD_0 src1_sel:DWORD
	v_cndmask_b32_e64 v87, v3, v2, s[0:1]
; %bb.259:                              ;   in Loop: Header=BB187_43 Depth=1
	s_or_b64 exec, exec, s[6:7]
	v_lshlrev_b32_e32 v2, 16, v88
	v_mul_f32_e32 v2, v50, v2
	v_and_b32_e32 v3, 0x7f800000, v2
	v_cmp_ne_u32_e64 s[0:1], s14, v3
                                        ; implicit-def: $vgpr88
	s_and_saveexec_b64 s[6:7], s[0:1]
	s_xor_b64 s[0:1], exec, s[6:7]
; %bb.260:                              ;   in Loop: Header=BB187_43 Depth=1
	v_bfe_u32 v3, v2, 16, 1
	v_add3_u32 v88, v2, v3, s15
                                        ; implicit-def: $vgpr2
; %bb.261:                              ;   in Loop: Header=BB187_43 Depth=1
	s_andn2_saveexec_b64 s[6:7], s[0:1]
; %bb.262:                              ;   in Loop: Header=BB187_43 Depth=1
	v_or_b32_e32 v3, 0x10000, v2
	v_cmp_eq_u32_sdwa s[0:1], v2, v25 src0_sel:WORD_0 src1_sel:DWORD
	v_cndmask_b32_e64 v88, v3, v2, s[0:1]
; %bb.263:                              ;   in Loop: Header=BB187_43 Depth=1
	s_or_b64 exec, exec, s[6:7]
	v_lshlrev_b32_e32 v2, 16, v4
	v_mul_f32_e32 v2, v51, v2
	v_and_b32_e32 v3, 0x7f800000, v2
	v_cmp_ne_u32_e64 s[0:1], s14, v3
                                        ; implicit-def: $vgpr89
	s_and_saveexec_b64 s[6:7], s[0:1]
	s_xor_b64 s[0:1], exec, s[6:7]
; %bb.264:                              ;   in Loop: Header=BB187_43 Depth=1
	v_bfe_u32 v3, v2, 16, 1
	v_add3_u32 v89, v2, v3, s15
                                        ; implicit-def: $vgpr2
; %bb.265:                              ;   in Loop: Header=BB187_43 Depth=1
	s_andn2_saveexec_b64 s[6:7], s[0:1]
; %bb.266:                              ;   in Loop: Header=BB187_43 Depth=1
	v_or_b32_e32 v3, 0x10000, v2
	v_cmp_eq_u32_sdwa s[0:1], v2, v25 src0_sel:WORD_0 src1_sel:DWORD
	v_cndmask_b32_e64 v89, v3, v2, s[0:1]
; %bb.267:                              ;   in Loop: Header=BB187_43 Depth=1
	s_or_b64 exec, exec, s[6:7]
	v_lshlrev_b32_e32 v2, 16, v90
	v_mul_f32_e32 v2, v52, v2
	v_and_b32_e32 v3, 0x7f800000, v2
	v_cmp_ne_u32_e64 s[0:1], s14, v3
                                        ; implicit-def: $vgpr90
	s_and_saveexec_b64 s[6:7], s[0:1]
	s_xor_b64 s[0:1], exec, s[6:7]
; %bb.268:                              ;   in Loop: Header=BB187_43 Depth=1
	v_bfe_u32 v3, v2, 16, 1
	v_add3_u32 v90, v2, v3, s15
                                        ; implicit-def: $vgpr2
; %bb.269:                              ;   in Loop: Header=BB187_43 Depth=1
	s_andn2_saveexec_b64 s[6:7], s[0:1]
; %bb.270:                              ;   in Loop: Header=BB187_43 Depth=1
	v_or_b32_e32 v3, 0x10000, v2
	v_cmp_eq_u32_sdwa s[0:1], v2, v25 src0_sel:WORD_0 src1_sel:DWORD
	v_cndmask_b32_e64 v90, v3, v2, s[0:1]
; %bb.271:                              ;   in Loop: Header=BB187_43 Depth=1
	s_or_b64 exec, exec, s[6:7]
	v_lshlrev_b32_e32 v2, 16, v5
	v_mul_f32_e32 v2, v53, v2
	v_and_b32_e32 v3, 0x7f800000, v2
	v_cmp_ne_u32_e64 s[0:1], s14, v3
                                        ; implicit-def: $vgpr91
	s_and_saveexec_b64 s[6:7], s[0:1]
	s_xor_b64 s[0:1], exec, s[6:7]
; %bb.272:                              ;   in Loop: Header=BB187_43 Depth=1
	v_bfe_u32 v3, v2, 16, 1
	v_add3_u32 v91, v2, v3, s15
                                        ; implicit-def: $vgpr2
; %bb.273:                              ;   in Loop: Header=BB187_43 Depth=1
	s_andn2_saveexec_b64 s[6:7], s[0:1]
; %bb.274:                              ;   in Loop: Header=BB187_43 Depth=1
	v_or_b32_e32 v3, 0x10000, v2
	v_cmp_eq_u32_sdwa s[0:1], v2, v25 src0_sel:WORD_0 src1_sel:DWORD
	v_cndmask_b32_e64 v91, v3, v2, s[0:1]
; %bb.275:                              ;   in Loop: Header=BB187_43 Depth=1
	s_or_b64 exec, exec, s[6:7]
	v_lshlrev_b32_e32 v2, 16, v92
	v_mul_f32_e32 v2, v54, v2
	v_and_b32_e32 v3, 0x7f800000, v2
	v_cmp_ne_u32_e64 s[0:1], s14, v3
                                        ; implicit-def: $vgpr92
	s_and_saveexec_b64 s[6:7], s[0:1]
	s_xor_b64 s[0:1], exec, s[6:7]
; %bb.276:                              ;   in Loop: Header=BB187_43 Depth=1
	v_bfe_u32 v3, v2, 16, 1
	v_add3_u32 v92, v2, v3, s15
                                        ; implicit-def: $vgpr2
; %bb.277:                              ;   in Loop: Header=BB187_43 Depth=1
	s_andn2_saveexec_b64 s[6:7], s[0:1]
; %bb.278:                              ;   in Loop: Header=BB187_43 Depth=1
	v_or_b32_e32 v3, 0x10000, v2
	v_cmp_eq_u32_sdwa s[0:1], v2, v25 src0_sel:WORD_0 src1_sel:DWORD
	v_cndmask_b32_e64 v92, v3, v2, s[0:1]
; %bb.279:                              ;   in Loop: Header=BB187_43 Depth=1
	s_or_b64 exec, exec, s[6:7]
	v_add_co_u32_e64 v2, s[0:1], v45, v30
	v_addc_co_u32_e64 v3, s[0:1], 0, v46, s[0:1]
	global_load_dwordx4 v[2:5], v[2:3], off
	s_waitcnt vmcnt(0)
	v_lshrrev_b32_e32 v94, 16, v2
	v_lshrrev_b32_e32 v96, 16, v3
	;; [unrolled: 1-line block ×4, first 2 shown]
	s_and_saveexec_b64 s[6:7], vcc
	s_cbranch_execz .LBB187_281
; %bb.280:                              ;   in Loop: Header=BB187_43 Depth=1
	v_cmp_gt_i32_e64 s[0:1], s33, v37
	v_cndmask_b32_e64 v2, 0, v2, s[0:1]
	v_cmp_gt_i32_e64 s[0:1], s33, v43
	v_cndmask_b32_e64 v94, 0, v94, s[0:1]
	v_cmp_gt_i32_e64 s[0:1], s33, v41
	v_cndmask_b32_e64 v3, 0, v3, s[0:1]
	v_cmp_gt_i32_e64 s[0:1], s33, v40
	v_cndmask_b32_e64 v96, 0, v96, s[0:1]
	v_cmp_gt_i32_e64 s[0:1], s33, v39
	v_cndmask_b32_e64 v4, 0, v4, s[0:1]
	v_cmp_gt_i32_e64 s[0:1], s33, v38
	v_cndmask_b32_e64 v98, 0, v98, s[0:1]
	v_cmp_gt_i32_e64 s[0:1], s33, v42
	v_cndmask_b32_e64 v5, 0, v5, s[0:1]
	v_cmp_gt_i32_e64 s[0:1], s33, v26
	v_cndmask_b32_e64 v100, 0, v100, s[0:1]
.LBB187_281:                            ;   in Loop: Header=BB187_43 Depth=1
	s_or_b64 exec, exec, s[6:7]
	v_lshlrev_b32_e32 v2, 16, v2
	v_mul_f32_e32 v2, v47, v2
	v_and_b32_e32 v93, 0x7f800000, v2
	v_cmp_ne_u32_e64 s[0:1], s14, v93
                                        ; implicit-def: $vgpr93
	s_and_saveexec_b64 s[6:7], s[0:1]
	s_xor_b64 s[0:1], exec, s[6:7]
; %bb.282:                              ;   in Loop: Header=BB187_43 Depth=1
	v_bfe_u32 v93, v2, 16, 1
	v_add3_u32 v93, v2, v93, s15
                                        ; implicit-def: $vgpr2
; %bb.283:                              ;   in Loop: Header=BB187_43 Depth=1
	s_andn2_saveexec_b64 s[6:7], s[0:1]
; %bb.284:                              ;   in Loop: Header=BB187_43 Depth=1
	v_or_b32_e32 v93, 0x10000, v2
	v_cmp_eq_u32_sdwa s[0:1], v2, v25 src0_sel:WORD_0 src1_sel:DWORD
	v_cndmask_b32_e64 v93, v93, v2, s[0:1]
; %bb.285:                              ;   in Loop: Header=BB187_43 Depth=1
	s_or_b64 exec, exec, s[6:7]
	v_lshlrev_b32_e32 v2, 16, v94
	v_mul_f32_e32 v2, v48, v2
	v_and_b32_e32 v94, 0x7f800000, v2
	v_cmp_ne_u32_e64 s[0:1], s14, v94
                                        ; implicit-def: $vgpr94
	s_and_saveexec_b64 s[6:7], s[0:1]
	s_xor_b64 s[0:1], exec, s[6:7]
; %bb.286:                              ;   in Loop: Header=BB187_43 Depth=1
	v_bfe_u32 v94, v2, 16, 1
	v_add3_u32 v94, v2, v94, s15
                                        ; implicit-def: $vgpr2
; %bb.287:                              ;   in Loop: Header=BB187_43 Depth=1
	s_andn2_saveexec_b64 s[6:7], s[0:1]
; %bb.288:                              ;   in Loop: Header=BB187_43 Depth=1
	v_or_b32_e32 v94, 0x10000, v2
	v_cmp_eq_u32_sdwa s[0:1], v2, v25 src0_sel:WORD_0 src1_sel:DWORD
	v_cndmask_b32_e64 v94, v94, v2, s[0:1]
; %bb.289:                              ;   in Loop: Header=BB187_43 Depth=1
	s_or_b64 exec, exec, s[6:7]
	v_lshlrev_b32_e32 v2, 16, v3
	v_mul_f32_e32 v2, v49, v2
	v_and_b32_e32 v3, 0x7f800000, v2
	v_cmp_ne_u32_e64 s[0:1], s14, v3
                                        ; implicit-def: $vgpr95
	s_and_saveexec_b64 s[6:7], s[0:1]
	s_xor_b64 s[0:1], exec, s[6:7]
; %bb.290:                              ;   in Loop: Header=BB187_43 Depth=1
	v_bfe_u32 v3, v2, 16, 1
	v_add3_u32 v95, v2, v3, s15
                                        ; implicit-def: $vgpr2
; %bb.291:                              ;   in Loop: Header=BB187_43 Depth=1
	s_andn2_saveexec_b64 s[6:7], s[0:1]
; %bb.292:                              ;   in Loop: Header=BB187_43 Depth=1
	v_or_b32_e32 v3, 0x10000, v2
	v_cmp_eq_u32_sdwa s[0:1], v2, v25 src0_sel:WORD_0 src1_sel:DWORD
	v_cndmask_b32_e64 v95, v3, v2, s[0:1]
; %bb.293:                              ;   in Loop: Header=BB187_43 Depth=1
	s_or_b64 exec, exec, s[6:7]
	v_lshlrev_b32_e32 v2, 16, v96
	v_mul_f32_e32 v2, v50, v2
	v_and_b32_e32 v3, 0x7f800000, v2
	v_cmp_ne_u32_e64 s[0:1], s14, v3
                                        ; implicit-def: $vgpr96
	s_and_saveexec_b64 s[6:7], s[0:1]
	s_xor_b64 s[0:1], exec, s[6:7]
; %bb.294:                              ;   in Loop: Header=BB187_43 Depth=1
	v_bfe_u32 v3, v2, 16, 1
	v_add3_u32 v96, v2, v3, s15
                                        ; implicit-def: $vgpr2
; %bb.295:                              ;   in Loop: Header=BB187_43 Depth=1
	s_andn2_saveexec_b64 s[6:7], s[0:1]
; %bb.296:                              ;   in Loop: Header=BB187_43 Depth=1
	v_or_b32_e32 v3, 0x10000, v2
	v_cmp_eq_u32_sdwa s[0:1], v2, v25 src0_sel:WORD_0 src1_sel:DWORD
	v_cndmask_b32_e64 v96, v3, v2, s[0:1]
; %bb.297:                              ;   in Loop: Header=BB187_43 Depth=1
	s_or_b64 exec, exec, s[6:7]
	v_lshlrev_b32_e32 v2, 16, v4
	v_mul_f32_e32 v2, v51, v2
	v_and_b32_e32 v3, 0x7f800000, v2
	v_cmp_ne_u32_e64 s[0:1], s14, v3
                                        ; implicit-def: $vgpr97
	s_and_saveexec_b64 s[6:7], s[0:1]
	s_xor_b64 s[0:1], exec, s[6:7]
; %bb.298:                              ;   in Loop: Header=BB187_43 Depth=1
	v_bfe_u32 v3, v2, 16, 1
	v_add3_u32 v97, v2, v3, s15
                                        ; implicit-def: $vgpr2
; %bb.299:                              ;   in Loop: Header=BB187_43 Depth=1
	s_andn2_saveexec_b64 s[6:7], s[0:1]
; %bb.300:                              ;   in Loop: Header=BB187_43 Depth=1
	v_or_b32_e32 v3, 0x10000, v2
	v_cmp_eq_u32_sdwa s[0:1], v2, v25 src0_sel:WORD_0 src1_sel:DWORD
	v_cndmask_b32_e64 v97, v3, v2, s[0:1]
; %bb.301:                              ;   in Loop: Header=BB187_43 Depth=1
	s_or_b64 exec, exec, s[6:7]
	v_lshlrev_b32_e32 v2, 16, v98
	v_mul_f32_e32 v2, v52, v2
	v_and_b32_e32 v3, 0x7f800000, v2
	v_cmp_ne_u32_e64 s[0:1], s14, v3
                                        ; implicit-def: $vgpr98
	s_and_saveexec_b64 s[6:7], s[0:1]
	s_xor_b64 s[0:1], exec, s[6:7]
; %bb.302:                              ;   in Loop: Header=BB187_43 Depth=1
	v_bfe_u32 v3, v2, 16, 1
	v_add3_u32 v98, v2, v3, s15
                                        ; implicit-def: $vgpr2
; %bb.303:                              ;   in Loop: Header=BB187_43 Depth=1
	s_andn2_saveexec_b64 s[6:7], s[0:1]
; %bb.304:                              ;   in Loop: Header=BB187_43 Depth=1
	v_or_b32_e32 v3, 0x10000, v2
	v_cmp_eq_u32_sdwa s[0:1], v2, v25 src0_sel:WORD_0 src1_sel:DWORD
	v_cndmask_b32_e64 v98, v3, v2, s[0:1]
; %bb.305:                              ;   in Loop: Header=BB187_43 Depth=1
	s_or_b64 exec, exec, s[6:7]
	v_lshlrev_b32_e32 v2, 16, v5
	v_mul_f32_e32 v2, v53, v2
	v_and_b32_e32 v3, 0x7f800000, v2
	v_cmp_ne_u32_e64 s[0:1], s14, v3
                                        ; implicit-def: $vgpr99
	s_and_saveexec_b64 s[6:7], s[0:1]
	s_xor_b64 s[0:1], exec, s[6:7]
; %bb.306:                              ;   in Loop: Header=BB187_43 Depth=1
	v_bfe_u32 v3, v2, 16, 1
	v_add3_u32 v99, v2, v3, s15
                                        ; implicit-def: $vgpr2
; %bb.307:                              ;   in Loop: Header=BB187_43 Depth=1
	s_andn2_saveexec_b64 s[6:7], s[0:1]
; %bb.308:                              ;   in Loop: Header=BB187_43 Depth=1
	v_or_b32_e32 v3, 0x10000, v2
	v_cmp_eq_u32_sdwa s[0:1], v2, v25 src0_sel:WORD_0 src1_sel:DWORD
	v_cndmask_b32_e64 v99, v3, v2, s[0:1]
; %bb.309:                              ;   in Loop: Header=BB187_43 Depth=1
	s_or_b64 exec, exec, s[6:7]
	v_lshlrev_b32_e32 v2, 16, v100
	v_mul_f32_e32 v2, v54, v2
	v_and_b32_e32 v3, 0x7f800000, v2
	v_cmp_ne_u32_e64 s[0:1], s14, v3
                                        ; implicit-def: $vgpr100
	s_and_saveexec_b64 s[6:7], s[0:1]
	s_xor_b64 s[0:1], exec, s[6:7]
; %bb.310:                              ;   in Loop: Header=BB187_43 Depth=1
	v_bfe_u32 v3, v2, 16, 1
	v_add3_u32 v100, v2, v3, s15
                                        ; implicit-def: $vgpr2
; %bb.311:                              ;   in Loop: Header=BB187_43 Depth=1
	s_andn2_saveexec_b64 s[6:7], s[0:1]
; %bb.312:                              ;   in Loop: Header=BB187_43 Depth=1
	v_or_b32_e32 v3, 0x10000, v2
	v_cmp_eq_u32_sdwa s[0:1], v2, v25 src0_sel:WORD_0 src1_sel:DWORD
	v_cndmask_b32_e64 v100, v3, v2, s[0:1]
; %bb.313:                              ;   in Loop: Header=BB187_43 Depth=1
	s_or_b64 exec, exec, s[6:7]
	v_add_co_u32_e64 v2, s[0:1], v45, v31
	v_addc_co_u32_e64 v3, s[0:1], 0, v46, s[0:1]
	global_load_dwordx4 v[2:5], v[2:3], off
	s_waitcnt vmcnt(0)
	v_lshrrev_b32_e32 v102, 16, v2
	v_lshrrev_b32_e32 v101, 16, v3
	;; [unrolled: 1-line block ×4, first 2 shown]
	s_and_saveexec_b64 s[0:1], vcc
	s_cbranch_execz .LBB187_315
; %bb.314:                              ;   in Loop: Header=BB187_43 Depth=1
	v_cmp_gt_i32_e32 vcc, s33, v37
	v_cndmask_b32_e32 v2, 0, v2, vcc
	v_cmp_gt_i32_e32 vcc, s33, v43
	v_cndmask_b32_e32 v102, 0, v102, vcc
	;; [unrolled: 2-line block ×8, first 2 shown]
.LBB187_315:                            ;   in Loop: Header=BB187_43 Depth=1
	s_or_b64 exec, exec, s[0:1]
	v_lshlrev_b32_e32 v2, 16, v2
	v_mul_f32_e32 v37, v47, v2
	v_and_b32_e32 v2, 0x7f800000, v37
	v_cmp_ne_u32_e32 vcc, s14, v2
                                        ; implicit-def: $vgpr2
	s_and_saveexec_b64 s[0:1], vcc
	s_xor_b64 s[0:1], exec, s[0:1]
; %bb.316:                              ;   in Loop: Header=BB187_43 Depth=1
	v_bfe_u32 v2, v37, 16, 1
	v_add3_u32 v2, v37, v2, s15
                                        ; implicit-def: $vgpr37
; %bb.317:                              ;   in Loop: Header=BB187_43 Depth=1
	s_andn2_saveexec_b64 s[0:1], s[0:1]
; %bb.318:                              ;   in Loop: Header=BB187_43 Depth=1
	v_or_b32_e32 v2, 0x10000, v37
	v_cmp_eq_u32_sdwa vcc, v37, v25 src0_sel:WORD_0 src1_sel:DWORD
	v_cndmask_b32_e32 v2, v2, v37, vcc
; %bb.319:                              ;   in Loop: Header=BB187_43 Depth=1
	s_or_b64 exec, exec, s[0:1]
	v_lshlrev_b32_e32 v37, 16, v102
	v_mul_f32_e32 v38, v48, v37
	v_and_b32_e32 v37, 0x7f800000, v38
	v_cmp_ne_u32_e32 vcc, s14, v37
                                        ; implicit-def: $vgpr37
	s_and_saveexec_b64 s[0:1], vcc
	s_xor_b64 s[0:1], exec, s[0:1]
; %bb.320:                              ;   in Loop: Header=BB187_43 Depth=1
	v_bfe_u32 v37, v38, 16, 1
	v_add3_u32 v37, v38, v37, s15
                                        ; implicit-def: $vgpr38
; %bb.321:                              ;   in Loop: Header=BB187_43 Depth=1
	s_andn2_saveexec_b64 s[0:1], s[0:1]
; %bb.322:                              ;   in Loop: Header=BB187_43 Depth=1
	v_or_b32_e32 v37, 0x10000, v38
	v_cmp_eq_u32_sdwa vcc, v38, v25 src0_sel:WORD_0 src1_sel:DWORD
	v_cndmask_b32_e32 v37, v37, v38, vcc
; %bb.323:                              ;   in Loop: Header=BB187_43 Depth=1
	s_or_b64 exec, exec, s[0:1]
	v_lshlrev_b32_e32 v3, 16, v3
	v_mul_f32_e32 v38, v49, v3
	v_and_b32_e32 v3, 0x7f800000, v38
	v_cmp_ne_u32_e32 vcc, s14, v3
                                        ; implicit-def: $vgpr3
	s_and_saveexec_b64 s[0:1], vcc
	s_xor_b64 s[0:1], exec, s[0:1]
; %bb.324:                              ;   in Loop: Header=BB187_43 Depth=1
	v_bfe_u32 v3, v38, 16, 1
	v_add3_u32 v3, v38, v3, s15
                                        ; implicit-def: $vgpr38
; %bb.325:                              ;   in Loop: Header=BB187_43 Depth=1
	s_andn2_saveexec_b64 s[0:1], s[0:1]
; %bb.326:                              ;   in Loop: Header=BB187_43 Depth=1
	v_or_b32_e32 v3, 0x10000, v38
	v_cmp_eq_u32_sdwa vcc, v38, v25 src0_sel:WORD_0 src1_sel:DWORD
	v_cndmask_b32_e32 v3, v3, v38, vcc
; %bb.327:                              ;   in Loop: Header=BB187_43 Depth=1
	s_or_b64 exec, exec, s[0:1]
	v_lshlrev_b32_e32 v38, 16, v101
	v_mul_f32_e32 v39, v50, v38
	v_and_b32_e32 v38, 0x7f800000, v39
	v_cmp_ne_u32_e32 vcc, s14, v38
                                        ; implicit-def: $vgpr38
	s_and_saveexec_b64 s[0:1], vcc
	s_xor_b64 s[0:1], exec, s[0:1]
; %bb.328:                              ;   in Loop: Header=BB187_43 Depth=1
	v_bfe_u32 v38, v39, 16, 1
	v_add3_u32 v38, v39, v38, s15
                                        ; implicit-def: $vgpr39
; %bb.329:                              ;   in Loop: Header=BB187_43 Depth=1
	s_andn2_saveexec_b64 s[0:1], s[0:1]
; %bb.330:                              ;   in Loop: Header=BB187_43 Depth=1
	v_or_b32_e32 v38, 0x10000, v39
	v_cmp_eq_u32_sdwa vcc, v39, v25 src0_sel:WORD_0 src1_sel:DWORD
	v_cndmask_b32_e32 v38, v38, v39, vcc
; %bb.331:                              ;   in Loop: Header=BB187_43 Depth=1
	s_or_b64 exec, exec, s[0:1]
	v_lshlrev_b32_e32 v4, 16, v4
	v_mul_f32_e32 v39, v51, v4
	v_and_b32_e32 v4, 0x7f800000, v39
	v_cmp_ne_u32_e32 vcc, s14, v4
                                        ; implicit-def: $vgpr4
	s_and_saveexec_b64 s[0:1], vcc
	s_xor_b64 s[0:1], exec, s[0:1]
; %bb.332:                              ;   in Loop: Header=BB187_43 Depth=1
	v_bfe_u32 v4, v39, 16, 1
	v_add3_u32 v4, v39, v4, s15
                                        ; implicit-def: $vgpr39
; %bb.333:                              ;   in Loop: Header=BB187_43 Depth=1
	s_andn2_saveexec_b64 s[0:1], s[0:1]
; %bb.334:                              ;   in Loop: Header=BB187_43 Depth=1
	v_or_b32_e32 v4, 0x10000, v39
	v_cmp_eq_u32_sdwa vcc, v39, v25 src0_sel:WORD_0 src1_sel:DWORD
	v_cndmask_b32_e32 v4, v4, v39, vcc
; %bb.335:                              ;   in Loop: Header=BB187_43 Depth=1
	s_or_b64 exec, exec, s[0:1]
	v_lshlrev_b32_e32 v39, 16, v46
	v_mul_f32_e32 v40, v52, v39
	v_and_b32_e32 v39, 0x7f800000, v40
	v_cmp_ne_u32_e32 vcc, s14, v39
                                        ; implicit-def: $vgpr39
	s_and_saveexec_b64 s[0:1], vcc
	s_xor_b64 s[0:1], exec, s[0:1]
; %bb.336:                              ;   in Loop: Header=BB187_43 Depth=1
	v_bfe_u32 v39, v40, 16, 1
	v_add3_u32 v39, v40, v39, s15
                                        ; implicit-def: $vgpr40
; %bb.337:                              ;   in Loop: Header=BB187_43 Depth=1
	s_andn2_saveexec_b64 s[0:1], s[0:1]
; %bb.338:                              ;   in Loop: Header=BB187_43 Depth=1
	v_or_b32_e32 v39, 0x10000, v40
	v_cmp_eq_u32_sdwa vcc, v40, v25 src0_sel:WORD_0 src1_sel:DWORD
	v_cndmask_b32_e32 v39, v39, v40, vcc
; %bb.339:                              ;   in Loop: Header=BB187_43 Depth=1
	s_or_b64 exec, exec, s[0:1]
	v_lshlrev_b32_e32 v5, 16, v5
	v_mul_f32_e32 v40, v53, v5
	v_and_b32_e32 v5, 0x7f800000, v40
	v_cmp_ne_u32_e32 vcc, s14, v5
                                        ; implicit-def: $vgpr5
	s_and_saveexec_b64 s[0:1], vcc
	s_xor_b64 s[0:1], exec, s[0:1]
; %bb.340:                              ;   in Loop: Header=BB187_43 Depth=1
	v_bfe_u32 v5, v40, 16, 1
	v_add3_u32 v5, v40, v5, s15
                                        ; implicit-def: $vgpr40
; %bb.341:                              ;   in Loop: Header=BB187_43 Depth=1
	s_andn2_saveexec_b64 s[0:1], s[0:1]
; %bb.342:                              ;   in Loop: Header=BB187_43 Depth=1
	v_or_b32_e32 v5, 0x10000, v40
	v_cmp_eq_u32_sdwa vcc, v40, v25 src0_sel:WORD_0 src1_sel:DWORD
	v_cndmask_b32_e32 v5, v5, v40, vcc
; %bb.343:                              ;   in Loop: Header=BB187_43 Depth=1
	s_or_b64 exec, exec, s[0:1]
	v_lshlrev_b32_e32 v40, 16, v45
	v_mul_f32_e32 v41, v54, v40
	v_and_b32_e32 v40, 0x7f800000, v41
	v_cmp_ne_u32_e32 vcc, s14, v40
                                        ; implicit-def: $vgpr40
	s_and_saveexec_b64 s[0:1], vcc
	s_xor_b64 s[0:1], exec, s[0:1]
; %bb.344:                              ;   in Loop: Header=BB187_43 Depth=1
	v_bfe_u32 v40, v41, 16, 1
	v_add3_u32 v40, v41, v40, s15
                                        ; implicit-def: $vgpr41
; %bb.345:                              ;   in Loop: Header=BB187_43 Depth=1
	s_andn2_saveexec_b64 s[0:1], s[0:1]
	s_cbranch_execz .LBB187_42
; %bb.346:                              ;   in Loop: Header=BB187_43 Depth=1
	v_or_b32_e32 v40, 0x10000, v41
	v_cmp_eq_u32_sdwa vcc, v41, v25 src0_sel:WORD_0 src1_sel:DWORD
	v_cndmask_b32_e32 v40, v40, v41, vcc
	s_branch .LBB187_42
.LBB187_347:
	s_or_b64 exec, exec, s[4:5]
.LBB187_348:
	s_or_b64 exec, exec, s[2:3]
	ds_bpermute_b32 v4, v22, v16
	ds_bpermute_b32 v5, v22, v17
	;; [unrolled: 1-line block ×6, first 2 shown]
	s_waitcnt lgkmcnt(4)
	v_pk_add_f32 v[4:5], v[16:17], v[4:5]
	ds_bpermute_b32 v16, v22, v12
	ds_bpermute_b32 v17, v22, v13
	s_waitcnt lgkmcnt(4)
	v_pk_add_f32 v[2:3], v[18:19], v[2:3]
	ds_bpermute_b32 v10, v23, v4
	ds_bpermute_b32 v11, v23, v5
	s_waitcnt lgkmcnt(4)
	v_pk_add_f32 v[14:15], v[14:15], v[8:9]
	s_waitcnt lgkmcnt(2)
	v_pk_add_f32 v[12:13], v[12:13], v[16:17]
	ds_bpermute_b32 v6, v23, v2
	ds_bpermute_b32 v7, v23, v3
	ds_bpermute_b32 v18, v23, v14
	ds_bpermute_b32 v19, v23, v15
	ds_bpermute_b32 v16, v23, v12
	ds_bpermute_b32 v17, v23, v13
	s_waitcnt lgkmcnt(6)
	v_pk_add_f32 v[4:5], v[4:5], v[10:11]
	v_and_b32_e32 v10, 0x3c3, v0
	s_waitcnt lgkmcnt(4)
	v_pk_add_f32 v[8:9], v[2:3], v[6:7]
	s_waitcnt lgkmcnt(2)
	v_pk_add_f32 v[2:3], v[14:15], v[18:19]
	;; [unrolled: 2-line block ×3, first 2 shown]
	v_cmp_eq_u32_e32 vcc, 64, v10
	s_barrier
	s_and_saveexec_b64 s[0:1], vcc
	s_cbranch_execz .LBB187_350
; %bb.349:
	v_add_u32_e32 v1, 0x110, v1
	ds_write2_b32 v1, v8, v9 offset1:16
	ds_write2_b32 v1, v4, v5 offset0:32 offset1:48
	ds_write2_b32 v1, v2, v3 offset0:64 offset1:80
	;; [unrolled: 1-line block ×3, first 2 shown]
.LBB187_350:
	s_or_b64 exec, exec, s[0:1]
	v_cmp_gt_u32_e32 vcc, 64, v0
	s_waitcnt lgkmcnt(0)
	s_barrier
	s_and_saveexec_b64 s[2:3], vcc
	s_cbranch_execz .LBB187_361
; %bb.351:
	v_cmp_eq_u32_e64 s[0:1], 0, v24
	v_lshrrev_b32_e32 v1, 2, v0
	s_and_saveexec_b64 s[4:5], s[0:1]
	s_cbranch_execnz .LBB187_397
; %bb.352:
	s_or_b64 exec, exec, s[4:5]
	s_and_saveexec_b64 s[4:5], s[0:1]
	s_cbranch_execnz .LBB187_398
.LBB187_353:
	s_or_b64 exec, exec, s[4:5]
	s_and_saveexec_b64 s[4:5], s[0:1]
	s_cbranch_execnz .LBB187_399
.LBB187_354:
	s_or_b64 exec, exec, s[4:5]
	s_and_saveexec_b64 s[4:5], s[0:1]
	s_cbranch_execnz .LBB187_400
.LBB187_355:
	s_or_b64 exec, exec, s[4:5]
	s_and_saveexec_b64 s[4:5], s[0:1]
	s_cbranch_execnz .LBB187_401
.LBB187_356:
	s_or_b64 exec, exec, s[4:5]
	s_and_saveexec_b64 s[4:5], s[0:1]
	s_cbranch_execnz .LBB187_402
.LBB187_357:
	s_or_b64 exec, exec, s[4:5]
	s_and_saveexec_b64 s[4:5], s[0:1]
	s_cbranch_execnz .LBB187_403
.LBB187_358:
	s_or_b64 exec, exec, s[4:5]
	s_and_saveexec_b64 s[4:5], s[0:1]
	s_cbranch_execz .LBB187_360
.LBB187_359:
	v_mov_b32_e32 v10, 0x110
	v_lshl_add_u32 v1, v1, 2, v10
	ds_read_b32 v1, v1 offset:448
	s_waitcnt lgkmcnt(0)
	v_add_f32_e32 v7, v7, v1
.LBB187_360:
	s_or_b64 exec, exec, s[4:5]
.LBB187_361:
	s_or_b64 exec, exec, s[2:3]
	s_barrier
	s_and_saveexec_b64 s[0:1], vcc
	s_cbranch_execz .LBB187_396
; %bb.362:
	v_cmp_eq_u32_e32 vcc, 0, v24
	s_and_b64 exec, exec, vcc
	s_cbranch_execz .LBB187_396
; %bb.363:
	s_mov_b32 s0, 0x7f800000
	v_and_b32_e32 v1, 0x7f800000, v8
	v_cmp_ne_u32_e32 vcc, s0, v1
                                        ; implicit-def: $vgpr1
	s_and_saveexec_b64 s[0:1], vcc
	s_xor_b64 s[0:1], exec, s[0:1]
; %bb.364:
	v_bfe_u32 v1, v8, 16, 1
	s_movk_i32 s2, 0x7fff
	v_add3_u32 v1, v8, v1, s2
; %bb.365:
	s_andn2_saveexec_b64 s[0:1], s[0:1]
; %bb.366:
	v_mov_b32_e32 v1, 0
	v_or_b32_e32 v10, 0x10000, v8
	v_cmp_eq_u32_sdwa vcc, v8, v1 src0_sel:WORD_0 src1_sel:DWORD
	v_cndmask_b32_e32 v1, v10, v8, vcc
; %bb.367:
	s_or_b64 exec, exec, s[0:1]
	s_mul_i32 s0, s12, s20
	s_mul_i32 s0, s0, s21
	s_lshl_b32 s0, s0, 7
	s_ashr_i32 s1, s0, 31
	s_lshl_b64 s[0:1], s[0:1], 1
	s_add_u32 s2, s24, s0
	s_mul_i32 s0, s12, s22
	s_addc_u32 s3, s25, s1
	s_ashr_i32 s1, s0, 31
	s_lshl_b64 s[0:1], s[0:1], 1
	s_add_u32 s2, s2, s0
	s_addc_u32 s3, s3, s1
	s_lshl_b32 s0, s8, 7
	s_ashr_i32 s1, s0, 31
	s_lshl_b64 s[0:1], s[0:1], 1
	s_add_u32 s0, s2, s0
	v_lshrrev_b32_e32 v0, 1, v0
	s_addc_u32 s1, s3, s1
	v_and_b32_e32 v0, 0x1fe, v0
	v_mov_b32_e32 v8, s1
	v_add_co_u32_e32 v10, vcc, s0, v0
	v_addc_co_u32_e32 v11, vcc, 0, v8, vcc
	global_store_short_d16_hi v0, v1, s[0:1]
	s_mov_b32 s0, 0x7f800000
	v_and_b32_e32 v0, 0x7f800000, v9
	v_cmp_ne_u32_e32 vcc, s0, v0
                                        ; implicit-def: $vgpr0
	s_and_saveexec_b64 s[0:1], vcc
	s_xor_b64 s[0:1], exec, s[0:1]
; %bb.368:
	v_bfe_u32 v0, v9, 16, 1
	s_movk_i32 s2, 0x7fff
	v_add3_u32 v0, v9, v0, s2
; %bb.369:
	s_andn2_saveexec_b64 s[0:1], s[0:1]
; %bb.370:
	v_mov_b32_e32 v0, 0
	v_or_b32_e32 v1, 0x10000, v9
	v_cmp_eq_u32_sdwa vcc, v9, v0 src0_sel:WORD_0 src1_sel:DWORD
	v_cndmask_b32_e32 v0, v1, v9, vcc
; %bb.371:
	s_or_b64 exec, exec, s[0:1]
	global_store_short_d16_hi v[10:11], v0, off offset:32
	s_mov_b32 s0, 0x7f800000
	v_and_b32_e32 v0, 0x7f800000, v4
	v_cmp_ne_u32_e32 vcc, s0, v0
                                        ; implicit-def: $vgpr0
	s_and_saveexec_b64 s[0:1], vcc
	s_xor_b64 s[0:1], exec, s[0:1]
; %bb.372:
	v_bfe_u32 v0, v4, 16, 1
	s_movk_i32 s2, 0x7fff
	v_add3_u32 v0, v4, v0, s2
; %bb.373:
	s_andn2_saveexec_b64 s[0:1], s[0:1]
; %bb.374:
	v_mov_b32_e32 v0, 0
	v_or_b32_e32 v1, 0x10000, v4
	v_cmp_eq_u32_sdwa vcc, v4, v0 src0_sel:WORD_0 src1_sel:DWORD
	v_cndmask_b32_e32 v0, v1, v4, vcc
; %bb.375:
	s_or_b64 exec, exec, s[0:1]
	global_store_short_d16_hi v[10:11], v0, off offset:64
	s_mov_b32 s0, 0x7f800000
	v_and_b32_e32 v0, 0x7f800000, v5
	v_cmp_ne_u32_e32 vcc, s0, v0
                                        ; implicit-def: $vgpr0
	s_and_saveexec_b64 s[0:1], vcc
	s_xor_b64 s[0:1], exec, s[0:1]
; %bb.376:
	v_bfe_u32 v0, v5, 16, 1
	s_movk_i32 s2, 0x7fff
	v_add3_u32 v0, v5, v0, s2
; %bb.377:
	s_andn2_saveexec_b64 s[0:1], s[0:1]
; %bb.378:
	v_mov_b32_e32 v0, 0
	v_or_b32_e32 v1, 0x10000, v5
	v_cmp_eq_u32_sdwa vcc, v5, v0 src0_sel:WORD_0 src1_sel:DWORD
	v_cndmask_b32_e32 v0, v1, v5, vcc
; %bb.379:
	s_or_b64 exec, exec, s[0:1]
	global_store_short_d16_hi v[10:11], v0, off offset:96
	s_mov_b32 s0, 0x7f800000
	v_and_b32_e32 v0, 0x7f800000, v2
	v_cmp_ne_u32_e32 vcc, s0, v0
                                        ; implicit-def: $vgpr0
	s_and_saveexec_b64 s[0:1], vcc
	s_xor_b64 s[0:1], exec, s[0:1]
; %bb.380:
	v_bfe_u32 v0, v2, 16, 1
	s_movk_i32 s2, 0x7fff
	v_add3_u32 v0, v2, v0, s2
; %bb.381:
	s_andn2_saveexec_b64 s[0:1], s[0:1]
; %bb.382:
	v_mov_b32_e32 v0, 0
	v_or_b32_e32 v1, 0x10000, v2
	v_cmp_eq_u32_sdwa vcc, v2, v0 src0_sel:WORD_0 src1_sel:DWORD
	v_cndmask_b32_e32 v0, v1, v2, vcc
; %bb.383:
	s_or_b64 exec, exec, s[0:1]
	global_store_short_d16_hi v[10:11], v0, off offset:128
	s_mov_b32 s0, 0x7f800000
	v_and_b32_e32 v0, 0x7f800000, v3
	v_cmp_ne_u32_e32 vcc, s0, v0
                                        ; implicit-def: $vgpr0
	s_and_saveexec_b64 s[0:1], vcc
	s_xor_b64 s[0:1], exec, s[0:1]
; %bb.384:
	v_bfe_u32 v0, v3, 16, 1
	s_movk_i32 s2, 0x7fff
	v_add3_u32 v0, v3, v0, s2
; %bb.385:
	s_andn2_saveexec_b64 s[0:1], s[0:1]
; %bb.386:
	v_mov_b32_e32 v0, 0
	v_or_b32_e32 v1, 0x10000, v3
	v_cmp_eq_u32_sdwa vcc, v3, v0 src0_sel:WORD_0 src1_sel:DWORD
	v_cndmask_b32_e32 v0, v1, v3, vcc
; %bb.387:
	s_or_b64 exec, exec, s[0:1]
	global_store_short_d16_hi v[10:11], v0, off offset:160
	s_mov_b32 s0, 0x7f800000
	v_and_b32_e32 v0, 0x7f800000, v6
	v_cmp_ne_u32_e32 vcc, s0, v0
                                        ; implicit-def: $vgpr0
	s_and_saveexec_b64 s[0:1], vcc
	s_xor_b64 s[0:1], exec, s[0:1]
; %bb.388:
	v_bfe_u32 v0, v6, 16, 1
	s_movk_i32 s2, 0x7fff
	v_add3_u32 v0, v6, v0, s2
; %bb.389:
	s_andn2_saveexec_b64 s[0:1], s[0:1]
; %bb.390:
	v_mov_b32_e32 v0, 0
	v_or_b32_e32 v1, 0x10000, v6
	v_cmp_eq_u32_sdwa vcc, v6, v0 src0_sel:WORD_0 src1_sel:DWORD
	v_cndmask_b32_e32 v0, v1, v6, vcc
; %bb.391:
	s_or_b64 exec, exec, s[0:1]
	global_store_short_d16_hi v[10:11], v0, off offset:192
	s_mov_b32 s0, 0x7f800000
	v_and_b32_e32 v0, 0x7f800000, v7
	v_cmp_ne_u32_e32 vcc, s0, v0
                                        ; implicit-def: $vgpr8
	s_and_saveexec_b64 s[0:1], vcc
	s_xor_b64 s[0:1], exec, s[0:1]
; %bb.392:
	v_bfe_u32 v0, v7, 16, 1
	s_movk_i32 s2, 0x7fff
	v_add3_u32 v8, v7, v0, s2
                                        ; implicit-def: $vgpr0_vgpr1_vgpr2_vgpr3_vgpr4_vgpr5_vgpr6_vgpr7
; %bb.393:
	s_andn2_saveexec_b64 s[0:1], s[0:1]
; %bb.394:
	v_mov_b32_e32 v0, 0
	v_or_b32_e32 v1, 0x10000, v7
	v_cmp_eq_u32_sdwa vcc, v7, v0 src0_sel:WORD_0 src1_sel:DWORD
	v_cndmask_b32_e32 v8, v1, v7, vcc
; %bb.395:
	s_or_b64 exec, exec, s[0:1]
	global_store_short_d16_hi v[10:11], v8, off offset:224
.LBB187_396:
	s_endpgm
.LBB187_397:
	v_mov_b32_e32 v10, 0x110
	v_lshl_add_u32 v10, v1, 2, v10
	ds_read_b32 v10, v10
	s_waitcnt lgkmcnt(0)
	v_add_f32_e32 v8, v8, v10
	s_or_b64 exec, exec, s[4:5]
	s_and_saveexec_b64 s[4:5], s[0:1]
	s_cbranch_execz .LBB187_353
.LBB187_398:
	v_mov_b32_e32 v10, 0x110
	v_lshl_add_u32 v10, v1, 2, v10
	ds_read_b32 v10, v10 offset:64
	s_waitcnt lgkmcnt(0)
	v_add_f32_e32 v9, v9, v10
	s_or_b64 exec, exec, s[4:5]
	s_and_saveexec_b64 s[4:5], s[0:1]
	s_cbranch_execz .LBB187_354
.LBB187_399:
	v_mov_b32_e32 v10, 0x110
	v_lshl_add_u32 v10, v1, 2, v10
	ds_read_b32 v10, v10 offset:128
	s_waitcnt lgkmcnt(0)
	v_add_f32_e32 v4, v4, v10
	s_or_b64 exec, exec, s[4:5]
	s_and_saveexec_b64 s[4:5], s[0:1]
	s_cbranch_execz .LBB187_355
.LBB187_400:
	v_mov_b32_e32 v10, 0x110
	v_lshl_add_u32 v10, v1, 2, v10
	ds_read_b32 v10, v10 offset:192
	s_waitcnt lgkmcnt(0)
	v_add_f32_e32 v5, v5, v10
	s_or_b64 exec, exec, s[4:5]
	s_and_saveexec_b64 s[4:5], s[0:1]
	s_cbranch_execz .LBB187_356
.LBB187_401:
	v_mov_b32_e32 v10, 0x110
	v_lshl_add_u32 v10, v1, 2, v10
	ds_read_b32 v10, v10 offset:256
	s_waitcnt lgkmcnt(0)
	v_add_f32_e32 v2, v2, v10
	s_or_b64 exec, exec, s[4:5]
	s_and_saveexec_b64 s[4:5], s[0:1]
	s_cbranch_execz .LBB187_357
.LBB187_402:
	v_mov_b32_e32 v10, 0x110
	v_lshl_add_u32 v10, v1, 2, v10
	ds_read_b32 v10, v10 offset:320
	s_waitcnt lgkmcnt(0)
	v_add_f32_e32 v3, v3, v10
	s_or_b64 exec, exec, s[4:5]
	s_and_saveexec_b64 s[4:5], s[0:1]
	s_cbranch_execz .LBB187_358
.LBB187_403:
	v_mov_b32_e32 v10, 0x110
	v_lshl_add_u32 v10, v1, 2, v10
	ds_read_b32 v10, v10 offset:384
	s_waitcnt lgkmcnt(0)
	v_add_f32_e32 v6, v6, v10
	s_or_b64 exec, exec, s[4:5]
	s_and_saveexec_b64 s[4:5], s[0:1]
	s_cbranch_execnz .LBB187_359
	s_branch .LBB187_360
	.section	.rodata,"a",@progbits
	.p2align	6, 0x0
	.amdhsa_kernel _ZN4vllm25paged_attention_v2_kernelI14__hip_bfloat16S1_Li128ELi32ELi128ELNS_18Fp8KVCacheDataTypeE0ELb0ELi512EEEvPfS3_PT_PKS4_PKT0_SA_ifPKiSC_iPKfiiiSE_SE_iiiii
		.amdhsa_group_segment_fixed_size 272
		.amdhsa_private_segment_fixed_size 0
		.amdhsa_kernarg_size 400
		.amdhsa_user_sgpr_count 6
		.amdhsa_user_sgpr_private_segment_buffer 1
		.amdhsa_user_sgpr_dispatch_ptr 0
		.amdhsa_user_sgpr_queue_ptr 0
		.amdhsa_user_sgpr_kernarg_segment_ptr 1
		.amdhsa_user_sgpr_dispatch_id 0
		.amdhsa_user_sgpr_flat_scratch_init 0
		.amdhsa_user_sgpr_kernarg_preload_length 0
		.amdhsa_user_sgpr_kernarg_preload_offset 0
		.amdhsa_user_sgpr_private_segment_size 0
		.amdhsa_uses_dynamic_stack 0
		.amdhsa_system_sgpr_private_segment_wavefront_offset 0
		.amdhsa_system_sgpr_workgroup_id_x 1
		.amdhsa_system_sgpr_workgroup_id_y 1
		.amdhsa_system_sgpr_workgroup_id_z 1
		.amdhsa_system_sgpr_workgroup_info 0
		.amdhsa_system_vgpr_workitem_id 0
		.amdhsa_next_free_vgpr 116
		.amdhsa_next_free_sgpr 43
		.amdhsa_accum_offset 116
		.amdhsa_reserve_vcc 1
		.amdhsa_reserve_flat_scratch 0
		.amdhsa_float_round_mode_32 0
		.amdhsa_float_round_mode_16_64 0
		.amdhsa_float_denorm_mode_32 3
		.amdhsa_float_denorm_mode_16_64 3
		.amdhsa_dx10_clamp 1
		.amdhsa_ieee_mode 1
		.amdhsa_fp16_overflow 0
		.amdhsa_tg_split 0
		.amdhsa_exception_fp_ieee_invalid_op 0
		.amdhsa_exception_fp_denorm_src 0
		.amdhsa_exception_fp_ieee_div_zero 0
		.amdhsa_exception_fp_ieee_overflow 0
		.amdhsa_exception_fp_ieee_underflow 0
		.amdhsa_exception_fp_ieee_inexact 0
		.amdhsa_exception_int_div_zero 0
	.end_amdhsa_kernel
	.section	.text._ZN4vllm25paged_attention_v2_kernelI14__hip_bfloat16S1_Li128ELi32ELi128ELNS_18Fp8KVCacheDataTypeE0ELb0ELi512EEEvPfS3_PT_PKS4_PKT0_SA_ifPKiSC_iPKfiiiSE_SE_iiiii,"axG",@progbits,_ZN4vllm25paged_attention_v2_kernelI14__hip_bfloat16S1_Li128ELi32ELi128ELNS_18Fp8KVCacheDataTypeE0ELb0ELi512EEEvPfS3_PT_PKS4_PKT0_SA_ifPKiSC_iPKfiiiSE_SE_iiiii,comdat
.Lfunc_end187:
	.size	_ZN4vllm25paged_attention_v2_kernelI14__hip_bfloat16S1_Li128ELi32ELi128ELNS_18Fp8KVCacheDataTypeE0ELb0ELi512EEEvPfS3_PT_PKS4_PKT0_SA_ifPKiSC_iPKfiiiSE_SE_iiiii, .Lfunc_end187-_ZN4vllm25paged_attention_v2_kernelI14__hip_bfloat16S1_Li128ELi32ELi128ELNS_18Fp8KVCacheDataTypeE0ELb0ELi512EEEvPfS3_PT_PKS4_PKT0_SA_ifPKiSC_iPKfiiiSE_SE_iiiii
                                        ; -- End function
	.section	.AMDGPU.csdata,"",@progbits
; Kernel info:
; codeLenInByte = 13640
; NumSgprs: 47
; NumVgprs: 116
; NumAgprs: 0
; TotalNumVgprs: 116
; ScratchSize: 0
; MemoryBound: 0
; FloatMode: 240
; IeeeMode: 1
; LDSByteSize: 272 bytes/workgroup (compile time only)
; SGPRBlocks: 5
; VGPRBlocks: 14
; NumSGPRsForWavesPerEU: 47
; NumVGPRsForWavesPerEU: 116
; AccumOffset: 116
; Occupancy: 4
; WaveLimiterHint : 1
; COMPUTE_PGM_RSRC2:SCRATCH_EN: 0
; COMPUTE_PGM_RSRC2:USER_SGPR: 6
; COMPUTE_PGM_RSRC2:TRAP_HANDLER: 0
; COMPUTE_PGM_RSRC2:TGID_X_EN: 1
; COMPUTE_PGM_RSRC2:TGID_Y_EN: 1
; COMPUTE_PGM_RSRC2:TGID_Z_EN: 1
; COMPUTE_PGM_RSRC2:TIDIG_COMP_CNT: 0
; COMPUTE_PGM_RSRC3_GFX90A:ACCUM_OFFSET: 28
; COMPUTE_PGM_RSRC3_GFX90A:TG_SPLIT: 0
	.section	.text._ZN4vllm25paged_attention_v2_kernelI14__hip_bfloat16S1_Li192ELi32ELi128ELNS_18Fp8KVCacheDataTypeE0ELb0ELi512EEEvPfS3_PT_PKS4_PKT0_SA_ifPKiSC_iPKfiiiSE_SE_iiiii,"axG",@progbits,_ZN4vllm25paged_attention_v2_kernelI14__hip_bfloat16S1_Li192ELi32ELi128ELNS_18Fp8KVCacheDataTypeE0ELb0ELi512EEEvPfS3_PT_PKS4_PKT0_SA_ifPKiSC_iPKfiiiSE_SE_iiiii,comdat
	.protected	_ZN4vllm25paged_attention_v2_kernelI14__hip_bfloat16S1_Li192ELi32ELi128ELNS_18Fp8KVCacheDataTypeE0ELb0ELi512EEEvPfS3_PT_PKS4_PKT0_SA_ifPKiSC_iPKfiiiSE_SE_iiiii ; -- Begin function _ZN4vllm25paged_attention_v2_kernelI14__hip_bfloat16S1_Li192ELi32ELi128ELNS_18Fp8KVCacheDataTypeE0ELb0ELi512EEEvPfS3_PT_PKS4_PKT0_SA_ifPKiSC_iPKfiiiSE_SE_iiiii
	.globl	_ZN4vllm25paged_attention_v2_kernelI14__hip_bfloat16S1_Li192ELi32ELi128ELNS_18Fp8KVCacheDataTypeE0ELb0ELi512EEEvPfS3_PT_PKS4_PKT0_SA_ifPKiSC_iPKfiiiSE_SE_iiiii
	.p2align	8
	.type	_ZN4vllm25paged_attention_v2_kernelI14__hip_bfloat16S1_Li192ELi32ELi128ELNS_18Fp8KVCacheDataTypeE0ELb0ELi512EEEvPfS3_PT_PKS4_PKT0_SA_ifPKiSC_iPKfiiiSE_SE_iiiii,@function
_ZN4vllm25paged_attention_v2_kernelI14__hip_bfloat16S1_Li192ELi32ELi128ELNS_18Fp8KVCacheDataTypeE0ELb0ELi512EEEvPfS3_PT_PKS4_PKT0_SA_ifPKiSC_iPKfiiiSE_SE_iiiii: ; @_ZN4vllm25paged_attention_v2_kernelI14__hip_bfloat16S1_Li192ELi32ELi128ELNS_18Fp8KVCacheDataTypeE0ELb0ELi512EEEvPfS3_PT_PKS4_PKT0_SA_ifPKiSC_iPKfiiiSE_SE_iiiii
; %bb.0:
	s_mov_b64 s[46:47], s[2:3]
	s_mov_b64 s[44:45], s[0:1]
	s_load_dwordx2 s[0:1], s[4:5], 0x40
	s_add_u32 s44, s44, s9
	s_addc_u32 s45, s45, 0
	s_mov_b32 s20, s7
	s_ashr_i32 s21, s7, 31
	s_lshl_b64 s[2:3], s[20:21], 2
	s_waitcnt lgkmcnt(0)
	s_add_u32 s0, s0, s2
	s_addc_u32 s1, s1, s3
	s_load_dword s33, s[0:1], 0x0
	s_lshl_b32 s40, s8, 9
	s_waitcnt lgkmcnt(0)
	s_cmp_ge_i32 s40, s33
	s_cbranch_scc1 .LBB188_554
; %bb.1:
	s_load_dword s21, s[4:5], 0x90
	s_load_dwordx2 s[10:11], s[4:5], 0x30
	v_mov_b32_e32 v24, v0
	s_waitcnt lgkmcnt(0)
	s_abs_i32 s2, s21
	s_abs_i32 s0, s10
	v_cvt_f32_u32_e32 v0, s0
	s_sub_i32 s3, 0, s0
	s_xor_b32 s1, s21, s10
	s_ashr_i32 s1, s1, 31
	v_rcp_iflag_f32_e32 v0, v0
	s_mov_b32 s10, 0
	v_mul_f32_e32 v0, 0x4f7ffffe, v0
	v_cvt_u32_f32_e32 v0, v0
	v_readfirstlane_b32 s7, v0
	s_mul_i32 s3, s3, s7
	s_mul_hi_u32 s3, s7, s3
	s_add_i32 s7, s7, s3
	s_mul_hi_u32 s3, s2, s7
	s_mul_i32 s7, s3, s0
	s_sub_i32 s2, s2, s7
	s_add_i32 s9, s3, 1
	s_sub_i32 s7, s2, s0
	s_cmp_ge_u32 s2, s0
	s_cselect_b32 s3, s9, s3
	s_cselect_b32 s2, s7, s2
	s_add_i32 s7, s3, 1
	s_cmp_ge_u32 s2, s0
	s_cselect_b32 s0, s7, s3
	s_xor_b32 s0, s0, s1
	s_sub_i32 s9, s0, s1
	s_abs_i32 s2, s9
	v_cvt_f32_u32_e32 v0, s2
	s_load_dwordx2 s[0:1], s[4:5], 0x50
	s_sub_i32 s7, 0, s2
	s_abs_i32 s3, s6
	v_rcp_iflag_f32_e32 v0, v0
	v_mul_f32_e32 v0, 0x4f7ffffe, v0
	v_cvt_u32_f32_e32 v0, v0
	v_readfirstlane_b32 s12, v0
	s_mul_i32 s7, s7, s12
	s_mul_hi_u32 s7, s12, s7
	s_add_i32 s12, s12, s7
	s_waitcnt lgkmcnt(0)
	s_cmp_eq_u64 s[0:1], 0
	s_mul_hi_u32 s16, s3, s12
	s_cbranch_scc1 .LBB188_3
; %bb.2:
	s_ashr_i32 s7, s6, 31
	s_lshl_b64 s[12:13], s[6:7], 2
	s_add_u32 s0, s0, s12
	s_addc_u32 s1, s1, s13
	s_load_dword s10, s[0:1], 0x0
.LBB188_3:
	s_load_dwordx4 s[12:15], s[4:5], 0x58
	s_ashr_i32 s17, s6, 31
	s_ashr_i32 s18, s9, 31
	v_and_b32_e32 v4, 1, v24
	s_movk_i32 s7, 0xc0
	s_mul_i32 s22, s6, 0xc0
	v_cmp_gt_u32_e32 vcc, 48, v24
	v_lshlrev_b32_e32 v29, 3, v24
	s_and_saveexec_b64 s[0:1], vcc
	s_cbranch_execz .LBB188_5
; %bb.4:
	s_load_dwordx2 s[24:25], s[4:5], 0x18
	s_waitcnt lgkmcnt(0)
	s_mul_i32 s26, s20, s12
	s_ashr_i32 s27, s26, 31
	s_lshl_b64 s[26:27], s[26:27], 1
	v_lshlrev_b32_e32 v2, 2, v24
	s_add_u32 s9, s24, s26
	s_addc_u32 s12, s25, s27
	s_ashr_i32 s23, s22, 31
	s_lshl_b64 s[24:25], s[22:23], 1
	s_add_u32 s24, s9, s24
	s_addc_u32 s25, s12, s25
	global_load_dwordx2 v[0:1], v29, s[24:25]
	v_and_b32_e32 v2, 0xff8, v2
	v_mad_u32_u24 v2, v4, s7, v2
	s_waitcnt vmcnt(0)
	ds_write_b64 v2, v[0:1]
.LBB188_5:
	s_or_b64 exec, exec, s[0:1]
	s_add_i32 s0, s33, 31
	s_ashr_i32 s1, s0, 31
	s_lshr_b32 s1, s1, 27
	s_add_i32 s0, s0, s1
	s_lshl_b32 s9, s8, 4
	s_mul_i32 s1, s16, s2
	s_ashr_i32 s7, s0, 5
	s_add_i32 s0, s9, 16
	s_sub_i32 s1, s3, s1
	s_min_i32 s23, s0, s7
	s_xor_b32 s0, s17, s18
	s_add_i32 s3, s16, 1
	s_waitcnt lgkmcnt(0)
	s_sub_i32 s12, s1, s2
	s_cmp_ge_u32 s1, s2
	s_cselect_b32 s3, s3, s16
	s_cselect_b32 s1, s12, s1
	s_add_i32 s12, s3, 1
	s_cmp_ge_u32 s1, s2
	s_load_dwordx2 s[26:27], s[4:5], 0x38
	s_load_dword s2, s[4:5], 0x48
	v_lshrrev_b32_e32 v31, 6, v24
	s_cselect_b32 s1, s12, s3
	s_xor_b32 s1, s1, s0
	v_or_b32_e32 v10, s9, v31
	s_waitcnt lgkmcnt(0)
	s_mul_i32 s28, s20, s2
	s_sub_i32 s15, s1, s0
	s_ashr_i32 s29, s28, 31
	v_cmp_gt_i32_e64 s[0:1], s23, v10
	v_cmp_le_i32_e32 vcc, s23, v10
	v_mbcnt_lo_u32_b32 v5, -1, 0
	s_barrier
	s_waitcnt lgkmcnt(0)
                                        ; implicit-def: $sgpr36
                                        ; implicit-def: $vgpr83
                                        ; implicit-def: $vgpr8
	s_and_saveexec_b64 s[2:3], vcc
	s_xor_b64 s[2:3], exec, s[2:3]
; %bb.6:
	v_mbcnt_hi_u32_b32 v83, -1, v5
	v_and_b32_e32 v0, 64, v83
	v_add_u32_e32 v8, 64, v0
	s_mov_b32 s36, 0xff7fffff
                                        ; implicit-def: $vgpr4
                                        ; implicit-def: $vgpr5
; %bb.7:
	s_or_saveexec_b64 s[34:35], s[2:3]
	s_load_dwordx4 s[16:19], s[4:5], 0x0
	s_load_dwordx2 s[24:25], s[4:5], 0x10
	s_load_dwordx2 s[30:31], s[4:5], 0x28
	s_load_dword s12, s[4:5], 0x98
	v_mov_b32_e32 v68, s36
	s_mul_i32 s14, s15, s14
	v_ashrrev_i32_e32 v11, 31, v10
	buffer_store_dword v24, off, s[44:47], 0 offset:132 ; 4-byte Folded Spill
	s_xor_b64 exec, exec, s[34:35]
	s_cbranch_execz .LBB188_13
; %bb.8:
	v_mul_u32_u24_e32 v20, 0xc0, v4
	ds_read_b128 v[0:3], v20
	ds_read_b128 v[6:9], v20 offset:16
	ds_read_b128 v[12:15], v20 offset:32
	;; [unrolled: 1-line block ×3, first 2 shown]
	s_load_dwordx2 s[2:3], s[4:5], 0x20
	s_waitcnt lgkmcnt(0)
	v_lshlrev_b32_e32 v21, 16, v0
	v_and_b32_e32 v0, 0xffff0000, v0
	buffer_store_dword v0, off, s[44:47], 0 offset:4 ; 4-byte Folded Spill
	v_lshlrev_b32_e32 v0, 16, v1
	buffer_store_dword v0, off, s[44:47], 0 offset:8 ; 4-byte Folded Spill
	v_and_b32_e32 v0, 0xffff0000, v1
	buffer_store_dword v0, off, s[44:47], 0 offset:12 ; 4-byte Folded Spill
	v_lshlrev_b32_e32 v0, 16, v2
	buffer_store_dword v0, off, s[44:47], 0 offset:16 ; 4-byte Folded Spill
	;; [unrolled: 4-line block ×12, first 2 shown]
	v_and_b32_e32 v0, 0xffff0000, v16
	buffer_store_dword v0, off, s[44:47], 0 offset:100 ; 4-byte Folded Spill
	v_lshlrev_b32_e32 v0, 16, v17
	v_and_b32_e32 v6, 0xffff0000, v18
	buffer_store_dword v0, off, s[44:47], 0 offset:104 ; 4-byte Folded Spill
	v_and_b32_e32 v0, 0xffff0000, v17
	buffer_store_dword v6, off, s[44:47], 0 offset:116 ; 4-byte Folded Spill
	v_lshlrev_b32_e32 v6, 16, v19
	buffer_store_dword v0, off, s[44:47], 0 offset:108 ; 4-byte Folded Spill
	v_lshlrev_b32_e32 v0, 16, v18
	buffer_store_dword v6, off, s[44:47], 0 offset:120 ; 4-byte Folded Spill
	v_and_b32_e32 v6, 0xffff0000, v19
	buffer_store_dword v0, off, s[44:47], 0 offset:112 ; 4-byte Folded Spill
	ds_read_b128 v[0:3], v20 offset:64
	buffer_store_dword v6, off, s[44:47], 0 offset:124 ; 4-byte Folded Spill
	ds_read_b128 v[6:9], v20 offset:80
	s_ashr_i32 s15, s14, 31
	s_lshl_b64 s[4:5], s[14:15], 1
	s_waitcnt lgkmcnt(1)
	v_lshlrev_b32_e32 v12, 16, v0
	v_and_b32_e32 v86, 0xffff0000, v0
	v_lshlrev_b32_e32 v87, 16, v1
	v_and_b32_e32 v88, 0xffff0000, v1
	;; [unrolled: 2-line block ×4, first 2 shown]
	s_waitcnt lgkmcnt(0)
	v_lshlrev_b32_e32 v93, 16, v6
	v_and_b32_e32 v95, 0xffff0000, v6
	v_lshlrev_b32_e32 v96, 16, v7
	v_and_b32_e32 v85, 0xffff0000, v7
	v_lshlrev_b32_e32 v97, 16, v8
	ds_read_b128 v[0:3], v20 offset:96
	v_and_b32_e32 v98, 0xffff0000, v8
	v_lshlrev_b32_e32 v99, 16, v9
	v_and_b32_e32 v100, 0xffff0000, v9
	ds_read_b128 v[6:9], v20 offset:112
	s_waitcnt lgkmcnt(1)
	v_lshlrev_b32_e32 v101, 16, v0
	v_and_b32_e32 v102, 0xffff0000, v0
	v_lshlrev_b32_e32 v103, 16, v1
	v_and_b32_e32 v104, 0xffff0000, v1
	;; [unrolled: 2-line block ×4, first 2 shown]
	s_waitcnt lgkmcnt(0)
	v_lshlrev_b32_e32 v109, 16, v6
	v_and_b32_e32 v110, 0xffff0000, v6
	v_lshlrev_b32_e32 v111, 16, v7
	v_and_b32_e32 v112, 0xffff0000, v7
	v_lshlrev_b32_e32 v113, 16, v8
	ds_read_b128 v[0:3], v20 offset:128
	v_and_b32_e32 v114, 0xffff0000, v8
	v_lshlrev_b32_e32 v115, 16, v9
	v_and_b32_e32 v116, 0xffff0000, v9
	ds_read_b128 v[6:9], v20 offset:144
	buffer_store_dword v12, off, s[44:47], 0 offset:128 ; 4-byte Folded Spill
	s_waitcnt lgkmcnt(1)
	v_lshlrev_b32_e32 v117, 16, v0
	v_and_b32_e32 v118, 0xffff0000, v0
	v_lshlrev_b32_e32 v119, 16, v1
	v_and_b32_e32 v120, 0xffff0000, v1
	s_waitcnt lgkmcnt(0)
	v_lshlrev_b32_e32 v125, 16, v6
	v_and_b32_e32 v126, 0xffff0000, v6
	v_lshlrev_b32_e32 v127, 16, v7
	v_and_b32_e32 v50, 0xffff0000, v7
	v_lshlrev_b32_e32 v51, 16, v8
	ds_read_b128 v[12:15], v20 offset:160
	v_and_b32_e32 v94, 0xffff0000, v8
	v_lshlrev_b32_e32 v0, 16, v9
	v_and_b32_e32 v1, 0xffff0000, v9
	ds_read_b128 v[6:9], v20 offset:176
	s_add_u32 s4, s2, s4
	s_addc_u32 s5, s3, s5
	s_sub_i32 s15, 1, s33
	s_lshl_b64 s[2:3], s[28:29], 2
	s_add_u32 s2, s26, s2
	v_lshlrev_b32_e32 v121, 16, v2
	v_and_b32_e32 v122, 0xffff0000, v2
	v_lshlrev_b32_e32 v123, 16, v3
	v_and_b32_e32 v124, 0xffff0000, v3
	s_addc_u32 s3, s27, s3
	v_lshlrev_b64 v[2:3], 2, v[10:11]
	s_waitcnt lgkmcnt(0)
	v_lshlrev_b32_e32 v60, 16, v6
	v_and_b32_e32 v61, 0xffff0000, v6
	v_mov_b32_e32 v6, s3
	v_add_co_u32_e32 v2, vcc, s2, v2
	v_addc_co_u32_e32 v3, vcc, v6, v3, vcc
	v_cmp_eq_u32_e32 vcc, 0, v4
	v_bfe_u32 v4, v24, 1, 5
	v_lshlrev_b32_e32 v6, 4, v4
	v_lshlrev_b32_e32 v62, 16, v7
	v_and_b32_e32 v63, 0xffff0000, v7
	v_mov_b32_e32 v7, s5
	v_add_co_u32_e64 v6, s[2:3], s4, v6
	v_lshlrev_b32_e32 v64, 16, v8
	v_and_b32_e32 v65, 0xffff0000, v8
	v_addc_co_u32_e64 v7, s[2:3], 0, v7, s[2:3]
	v_and_b32_e32 v8, 8, v29
	v_mbcnt_hi_u32_b32 v83, -1, v5
	v_add_co_u32_e64 v69, s[2:3], v6, v8
	v_and_b32_e32 v5, 64, v83
	v_addc_co_u32_e64 v70, s[2:3], 0, v7, s[2:3]
	v_add_u32_e32 v6, 64, v5
	v_xor_b32_e32 v5, 1, v83
	v_cmp_lt_i32_e64 s[2:3], v5, v6
	v_cndmask_b32_e64 v5, v83, v5, s[2:3]
	v_lshlrev_b32_e32 v71, 2, v5
	v_lshlrev_b32_e32 v5, 5, v31
	v_add3_u32 v72, s40, v5, v4
	v_lshlrev_b32_e32 v4, 2, v4
	v_lshl_or_b32 v4, v31, 7, v4
	v_lshlrev_b32_e32 v52, 16, v12
	v_and_b32_e32 v53, 0xffff0000, v12
	v_lshlrev_b32_e32 v54, 16, v13
	v_and_b32_e32 v55, 0xffff0000, v13
	;; [unrolled: 2-line block ×5, first 2 shown]
	s_mov_b32 s41, s13
	v_cmp_neq_f32_e64 s[2:3], s10, 0
	v_add_u32_e32 v73, 0x190, v4
	s_mov_b64 s[36:37], 0
	s_movk_i32 s42, 0x1000
	s_movk_i32 s43, 0x2000
	v_mov_b32_e32 v68, 0xff7fffff
	v_mov_b32_e32 v74, v10
	buffer_store_dword v21, off, s[44:47], 0 ; 4-byte Folded Spill
	buffer_store_dword v29, off, s[44:47], 0 offset:136 ; 4-byte Folded Spill
	buffer_store_dword v6, off, s[44:47], 0 offset:144 ; 4-byte Folded Spill
	;; [unrolled: 1-line block ×3, first 2 shown]
	s_branch .LBB188_10
.LBB188_9:                              ;   in Loop: Header=BB188_10 Depth=1
	s_or_b64 exec, exec, s[38:39]
	v_add_u32_e32 v74, 2, v74
	v_cmp_le_i32_e64 s[4:5], s23, v74
	s_or_b64 s[36:37], s[4:5], s[36:37]
	v_add_co_u32_e64 v2, s[4:5], 8, v2
	v_add_u32_e32 v72, 64, v72
	v_add_u32_e32 v73, 0x100, v73
	v_addc_co_u32_e64 v3, s[4:5], 0, v3, s[4:5]
	s_andn2_b64 exec, exec, s[36:37]
	s_cbranch_execz .LBB188_12
.LBB188_10:                             ; =>This Inner Loop Header: Depth=1
	global_load_dword v4, v[2:3], off
	s_waitcnt vmcnt(0) lgkmcnt(0)
	v_mad_i64_i32 v[4:5], s[4:5], v4, s41, 0
	v_lshlrev_b64 v[4:5], 1, v[4:5]
	v_add_co_u32_e64 v4, s[4:5], v69, v4
	v_addc_co_u32_e64 v5, s[4:5], v70, v5, s[4:5]
	global_load_dwordx2 v[76:77], v[4:5], off
	global_load_dwordx2 v[78:79], v[4:5], off offset:512
	global_load_dwordx2 v[48:49], v[4:5], off offset:1024
	;; [unrolled: 1-line block ×7, first 2 shown]
	v_add_co_u32_e64 v6, s[4:5], s42, v4
	v_addc_co_u32_e64 v7, s[4:5], 0, v5, s[4:5]
	v_add_co_u32_e64 v4, s[4:5], s43, v4
	v_addc_co_u32_e64 v5, s[4:5], 0, v5, s[4:5]
	global_load_dwordx2 v[36:37], v[4:5], off offset:-4096
	global_load_dwordx2 v[34:35], v[6:7], off offset:512
	global_load_dwordx2 v[32:33], v[6:7], off offset:1024
	;; [unrolled: 1-line block ×7, first 2 shown]
	global_load_dwordx2 v[20:21], v[4:5], off
	global_load_dwordx2 v[18:19], v[4:5], off offset:512
	global_load_dwordx2 v[16:17], v[4:5], off offset:1024
	;; [unrolled: 1-line block ×6, first 2 shown]
	s_nop 0
	global_load_dwordx2 v[4:5], v[4:5], off offset:3584
	s_waitcnt vmcnt(23)
	v_lshlrev_b32_e32 v82, 16, v77
	v_and_b32_e32 v84, 0xffff0000, v77
	buffer_load_dword v77, off, s[44:47], 0 offset:16 ; 4-byte Folded Reload
	s_waitcnt vmcnt(23)
	v_lshlrev_b32_e32 v75, 16, v78
	v_lshlrev_b32_e32 v80, 16, v76
	v_and_b32_e32 v81, 0xffff0000, v76
	v_and_b32_e32 v76, 0xffff0000, v78
	;; [unrolled: 1-line block ×3, first 2 shown]
	s_waitcnt vmcnt(0)
	v_mul_f32_e32 v75, v77, v75
	buffer_load_dword v77, off, s[44:47], 0 ; 4-byte Folded Reload
	s_waitcnt vmcnt(0)
	v_fmac_f32_e32 v75, v77, v80
	buffer_load_dword v77, off, s[44:47], 0 offset:20 ; 4-byte Folded Reload
	buffer_load_dword v80, off, s[44:47], 0 offset:32 ; 4-byte Folded Reload
	s_waitcnt vmcnt(1)
	v_mul_f32_e32 v76, v77, v76
	buffer_load_dword v77, off, s[44:47], 0 offset:4 ; 4-byte Folded Reload
	s_waitcnt vmcnt(0)
	v_fmac_f32_e32 v76, v77, v81
	v_lshlrev_b32_e32 v77, 16, v79
	buffer_load_dword v79, off, s[44:47], 0 offset:24 ; 4-byte Folded Reload
	s_waitcnt vmcnt(0)
	v_mul_f32_e32 v77, v79, v77
	buffer_load_dword v79, off, s[44:47], 0 offset:8 ; 4-byte Folded Reload
	s_waitcnt vmcnt(0)
	v_fmac_f32_e32 v77, v79, v82
	buffer_load_dword v79, off, s[44:47], 0 offset:28 ; 4-byte Folded Reload
	s_waitcnt vmcnt(0)
	v_mul_f32_e32 v78, v79, v78
	buffer_load_dword v79, off, s[44:47], 0 offset:12 ; 4-byte Folded Reload
	s_waitcnt vmcnt(0)
	v_fmac_f32_e32 v78, v79, v84
	v_lshlrev_b32_e32 v79, 16, v48
	v_fmac_f32_e32 v75, v80, v79
	buffer_load_dword v79, off, s[44:47], 0 offset:36 ; 4-byte Folded Reload
	v_and_b32_e32 v48, 0xffff0000, v48
	s_waitcnt vmcnt(0)
	v_fmac_f32_e32 v76, v79, v48
	buffer_load_dword v79, off, s[44:47], 0 offset:40 ; 4-byte Folded Reload
	v_lshlrev_b32_e32 v48, 16, v49
	v_and_b32_e32 v49, 0xffff0000, v49
	s_waitcnt vmcnt(0)
	v_fmac_f32_e32 v77, v79, v48
	buffer_load_dword v48, off, s[44:47], 0 offset:44 ; 4-byte Folded Reload
	s_waitcnt vmcnt(0)
	v_fmac_f32_e32 v78, v48, v49
	buffer_load_dword v49, off, s[44:47], 0 offset:48 ; 4-byte Folded Reload
	v_lshlrev_b32_e32 v48, 16, v46
	v_and_b32_e32 v46, 0xffff0000, v46
	s_waitcnt vmcnt(0)
	v_fmac_f32_e32 v75, v49, v48
	buffer_load_dword v48, off, s[44:47], 0 offset:52 ; 4-byte Folded Reload
	;; [unrolled: 8-line block ×11, first 2 shown]
	s_waitcnt vmcnt(0)
	v_fmac_f32_e32 v78, v38, v39
	buffer_load_dword v39, off, s[44:47], 0 offset:128 ; 4-byte Folded Reload
	v_lshlrev_b32_e32 v38, 16, v36
	v_and_b32_e32 v36, 0xffff0000, v36
	s_waitcnt vmcnt(0)
	v_fmac_f32_e32 v75, v39, v38
	v_mov_b32_e32 v38, v86
	v_fmac_f32_e32 v76, v38, v36
	v_lshlrev_b32_e32 v36, 16, v37
	v_mov_b32_e32 v38, v87
	v_and_b32_e32 v37, 0xffff0000, v37
	v_fmac_f32_e32 v77, v38, v36
	v_mov_b32_e32 v36, v88
	v_fmac_f32_e32 v78, v36, v37
	v_lshlrev_b32_e32 v36, 16, v34
	v_mov_b32_e32 v37, v89
	v_and_b32_e32 v34, 0xffff0000, v34
	;; [unrolled: 6-line block ×5, first 2 shown]
	v_fmac_f32_e32 v77, v34, v32
	v_mov_b32_e32 v32, v85
	v_fmac_f32_e32 v78, v32, v33
	v_lshlrev_b32_e32 v32, 16, v30
	v_and_b32_e32 v30, 0xffff0000, v30
	v_fmac_f32_e32 v76, v98, v30
	v_lshlrev_b32_e32 v30, 16, v31
	v_fmac_f32_e32 v77, v99, v30
	v_lshlrev_b32_e32 v30, 16, v28
	v_and_b32_e32 v28, 0xffff0000, v28
	v_fmac_f32_e32 v76, v102, v28
	v_lshlrev_b32_e32 v28, 16, v29
	;; [unrolled: 5-line block ×6, first 2 shown]
	v_fmac_f32_e32 v77, v119, v20
	v_lshlrev_b32_e32 v20, 16, v18
	v_and_b32_e32 v18, 0xffff0000, v18
	v_fmac_f32_e32 v75, v97, v32
	v_fmac_f32_e32 v76, v122, v18
	v_lshlrev_b32_e32 v18, 16, v19
	v_and_b32_e32 v31, 0xffff0000, v31
	v_fmac_f32_e32 v75, v101, v30
	v_fmac_f32_e32 v77, v123, v18
	v_lshlrev_b32_e32 v18, 16, v16
	v_and_b32_e32 v16, 0xffff0000, v16
	v_fmac_f32_e32 v78, v100, v31
	v_and_b32_e32 v29, 0xffff0000, v29
	v_fmac_f32_e32 v75, v105, v28
	v_fmac_f32_e32 v76, v126, v16
	v_lshlrev_b32_e32 v16, 16, v17
	v_fmac_f32_e32 v78, v104, v29
	v_and_b32_e32 v27, 0xffff0000, v27
	v_fmac_f32_e32 v75, v109, v26
	v_fmac_f32_e32 v77, v127, v16
	v_lshlrev_b32_e32 v16, 16, v14
	v_and_b32_e32 v14, 0xffff0000, v14
	v_fmac_f32_e32 v78, v108, v27
	v_and_b32_e32 v25, 0xffff0000, v25
	v_fmac_f32_e32 v75, v113, v24
	v_fmac_f32_e32 v76, v94, v14
	v_lshlrev_b32_e32 v14, 16, v15
	v_fmac_f32_e32 v78, v112, v25
	v_and_b32_e32 v23, 0xffff0000, v23
	v_fmac_f32_e32 v75, v117, v22
	v_fmac_f32_e32 v77, v0, v14
	v_lshlrev_b32_e32 v14, 16, v12
	v_and_b32_e32 v12, 0xffff0000, v12
	v_fmac_f32_e32 v78, v116, v23
	;; [unrolled: 11-line block ×5, first 2 shown]
	v_and_b32_e32 v7, 0xffff0000, v7
	v_fmac_f32_e32 v75, v64, v6
	v_fmac_f32_e32 v76, v65, v4
	v_lshlrev_b32_e32 v4, 16, v5
	v_fmac_f32_e32 v78, v63, v7
	v_and_b32_e32 v5, 0xffff0000, v5
	v_fmac_f32_e32 v77, v66, v4
	v_add_f32_e32 v4, v75, v76
	v_fmac_f32_e32 v78, v67, v5
	v_add_f32_e32 v4, v4, v77
	v_add_f32_e32 v4, v78, v4
	ds_bpermute_b32 v5, v71, v4
	s_and_saveexec_b64 s[38:39], vcc
	s_cbranch_execz .LBB188_9
; %bb.11:                               ;   in Loop: Header=BB188_10 Depth=1
	v_add_u32_e32 v6, s15, v72
	v_cvt_f32_i32_e32 v6, v6
	s_waitcnt lgkmcnt(0)
	v_add_f32_e32 v4, v4, v5
	v_cmp_gt_i32_e64 s[4:5], s33, v72
	v_max_f32_e32 v5, v68, v68
	v_mul_f32_e32 v6, s10, v6
	v_cndmask_b32_e64 v6, 0, v6, s[2:3]
	v_fmac_f32_e32 v6, s11, v4
	v_cndmask_b32_e64 v4, 0, v6, s[4:5]
	ds_write_b32 v73, v4
	v_max_f32_e32 v4, v5, v6
	v_cndmask_b32_e64 v68, v68, v4, s[4:5]
	s_branch .LBB188_9
.LBB188_12:
	s_or_b64 exec, exec, s[36:37]
	buffer_load_dword v24, off, s[44:47], 0 offset:132 ; 4-byte Folded Reload
	buffer_load_dword v29, off, s[44:47], 0 offset:136 ; 4-byte Folded Reload
	;; [unrolled: 1-line block ×4, first 2 shown]
.LBB188_13:
	s_or_b64 exec, exec, s[34:35]
	v_xor_b32_e32 v0, 32, v83
	s_waitcnt vmcnt(0)
	v_cmp_lt_i32_e32 vcc, v0, v8
	v_cndmask_b32_e32 v0, v83, v0, vcc
	v_lshlrev_b32_e32 v1, 2, v0
	ds_bpermute_b32 v0, v1, v68
	v_xor_b32_e32 v3, 16, v83
	v_max_f32_e32 v2, v68, v68
	v_cmp_lt_i32_e32 vcc, v3, v8
	v_xor_b32_e32 v4, 8, v83
	s_waitcnt lgkmcnt(0)
	v_max_f32_e32 v0, v0, v0
	v_max_f32_e32 v0, v2, v0
	v_cndmask_b32_e32 v2, v83, v3, vcc
	v_lshlrev_b32_e32 v2, 2, v2
	ds_bpermute_b32 v3, v2, v0
	v_cmp_lt_i32_e32 vcc, v4, v8
	v_xor_b32_e32 v5, 4, v83
	v_xor_b32_e32 v6, 2, v83
	v_and_b32_e32 v25, 63, v24
	s_waitcnt lgkmcnt(0)
	v_max_f32_e32 v3, v3, v3
	v_max_f32_e32 v0, v0, v3
	v_cndmask_b32_e32 v3, v83, v4, vcc
	v_lshlrev_b32_e32 v3, 2, v3
	ds_bpermute_b32 v4, v3, v0
	v_cmp_lt_i32_e32 vcc, v5, v8
	s_waitcnt lgkmcnt(0)
	v_max_f32_e32 v4, v4, v4
	v_max_f32_e32 v0, v0, v4
	v_cndmask_b32_e32 v4, v83, v5, vcc
	v_lshlrev_b32_e32 v4, 2, v4
	ds_bpermute_b32 v5, v4, v0
	v_cmp_lt_i32_e32 vcc, v6, v8
	s_waitcnt lgkmcnt(0)
	v_max_f32_e32 v5, v5, v5
	v_max_f32_e32 v0, v0, v5
	v_cndmask_b32_e32 v5, v83, v6, vcc
	v_lshlrev_b32_e32 v27, 2, v5
	ds_bpermute_b32 v6, v27, v0
	v_cmp_eq_u32_e32 vcc, 0, v25
	v_lshlrev_b32_e32 v5, 2, v31
	s_and_saveexec_b64 s[2:3], vcc
	s_cbranch_execz .LBB188_15
; %bb.14:
	s_waitcnt lgkmcnt(0)
	v_max_f32_e32 v6, v6, v6
	v_max_f32_e32 v0, v0, v0
	;; [unrolled: 1-line block ×3, first 2 shown]
	ds_write_b32 v5, v0 offset:384
.LBB188_15:
	s_or_b64 exec, exec, s[2:3]
	v_cmp_gt_u32_e64 s[2:3], 2, v25
	v_mov_b32_e32 v0, 0xff7fffff
	s_waitcnt lgkmcnt(0)
	v_lshlrev_b32_e32 v6, 2, v25
	s_barrier
	s_and_saveexec_b64 s[4:5], s[2:3]
	s_cbranch_execz .LBB188_17
; %bb.16:
	ds_read_b32 v0, v6 offset:384
.LBB188_17:
	s_or_b64 exec, exec, s[4:5]
	v_xor_b32_e32 v7, 1, v83
	v_cmp_lt_i32_e64 s[4:5], v7, v8
	v_cndmask_b32_e64 v7, v83, v7, s[4:5]
	v_lshlrev_b32_e32 v28, 2, v7
	s_waitcnt lgkmcnt(0)
	ds_bpermute_b32 v7, v28, v0
	v_max_f32_e32 v0, v0, v0
	s_sub_i32 s4, s23, s9
	s_lshl_b32 s4, s4, 5
	s_add_i32 s4, s4, s40
	s_waitcnt lgkmcnt(0)
	v_max_f32_e32 v7, v7, v7
	v_max_f32_e32 v0, v0, v7
	v_lshlrev_b32_e32 v7, 2, v83
	v_and_b32_e32 v7, 0xffffff00, v7
	ds_bpermute_b32 v0, v7, v0
	s_min_i32 s15, s4, s33
	s_sub_i32 s9, s15, s40
	v_cmp_gt_i32_e64 s[4:5], s9, v24
	v_mov_b32_e32 v8, 0
	s_and_saveexec_b64 s[34:35], s[4:5]
	s_cbranch_execz .LBB188_21
; %bb.18:
	v_mov_b32_e32 v8, 0x190
	v_lshl_add_u32 v9, v24, 2, v8
	s_mov_b64 s[36:37], 0
	v_mov_b32_e32 v8, 0
	v_mov_b32_e32 v12, v24
.LBB188_19:                             ; =>This Inner Loop Header: Depth=1
	ds_read_b32 v13, v9
	v_add_u32_e32 v12, 0x80, v12
	v_cmp_le_i32_e64 s[10:11], s9, v12
	s_or_b64 s[36:37], s[10:11], s[36:37]
	s_waitcnt lgkmcnt(0)
	v_sub_f32_e32 v13, v13, v0
	v_mul_f32_e32 v13, 0x3fb8aa3b, v13
	v_exp_f32_e32 v13, v13
	ds_write_b32 v9, v13
	v_add_f32_e32 v8, v8, v13
	v_add_u32_e32 v9, 0x200, v9
	s_andn2_b64 exec, exec, s[36:37]
	s_cbranch_execnz .LBB188_19
; %bb.20:
	s_or_b64 exec, exec, s[36:37]
.LBB188_21:
	s_or_b64 exec, exec, s[34:35]
	ds_bpermute_b32 v1, v1, v8
	s_waitcnt lgkmcnt(0)
	v_add_f32_e32 v1, v8, v1
	ds_bpermute_b32 v2, v2, v1
	s_waitcnt lgkmcnt(0)
	v_add_f32_e32 v1, v1, v2
	;; [unrolled: 3-line block ×6, first 2 shown]
	s_and_saveexec_b64 s[10:11], vcc
	s_cbranch_execz .LBB188_23
; %bb.22:
	ds_write_b32 v5, v1 offset:392
.LBB188_23:
	s_or_b64 exec, exec, s[10:11]
	s_waitcnt lgkmcnt(0)
	s_barrier
	s_and_saveexec_b64 s[10:11], s[2:3]
	s_cbranch_execz .LBB188_25
; %bb.24:
	ds_read_b32 v1, v6 offset:392
.LBB188_25:
	s_or_b64 exec, exec, s[10:11]
	s_waitcnt lgkmcnt(0)
	ds_bpermute_b32 v2, v28, v1
	s_waitcnt lgkmcnt(0)
	v_add_f32_e32 v1, v1, v2
	ds_bpermute_b32 v1, v7, v1
	s_and_saveexec_b64 s[2:3], s[4:5]
	s_cbranch_execz .LBB188_38
; %bb.26:
	s_waitcnt lgkmcnt(0)
	v_add_f32_e32 v2, 0x358637bd, v1
	v_div_scale_f32 v3, s[4:5], v2, v2, 1.0
	v_rcp_f32_e32 v4, v3
	v_div_scale_f32 v5, vcc, 1.0, v2, 1.0
	s_movk_i32 s4, 0x7f
	v_fma_f32 v6, -v3, v4, 1.0
	v_fmac_f32_e32 v4, v6, v4
	v_mul_f32_e32 v6, v5, v4
	v_fma_f32 v7, -v3, v6, v5
	v_fmac_f32_e32 v6, v7, v4
	v_fma_f32 v3, -v3, v6, v5
	v_div_fmas_f32 v3, v3, v4, v6
	v_div_fixup_f32 v2, v3, v2, 1.0
	v_xad_u32 v3, v24, -1, s15
	v_subrev_u32_e32 v4, s40, v3
	v_cmp_lt_u32_e32 vcc, s4, v4
	s_mov_b64 s[10:11], -1
	v_mov_b32_e32 v3, v24
	s_and_saveexec_b64 s[4:5], vcc
	s_cbranch_execz .LBB188_35
; %bb.27:
	v_lshrrev_b32_e32 v4, 7, v4
	v_add_u32_e32 v6, -1, v4
	v_lshrrev_b32_e32 v5, 1, v6
	v_mov_b32_e32 v3, v2
	v_add_u32_e32 v5, 1, v5
	v_cmp_lt_u32_e32 vcc, 13, v6
	v_mov_b32_e32 v8, 0
	s_and_saveexec_b64 s[10:11], vcc
	s_cbranch_execz .LBB188_31
; %bb.28:
	v_mov_b32_e32 v7, 0x190
	v_and_b32_e32 v6, -8, v5
	v_lshl_add_u32 v7, v24, 2, v7
	s_mov_b32 s15, 0
	s_mov_b64 s[34:35], 0
.LBB188_29:                             ; =>This Inner Loop Header: Depth=1
	ds_read2st64_b32 v[8:9], v7 offset1:2
	ds_read2st64_b32 v[12:13], v7 offset0:4 offset1:6
	ds_read2st64_b32 v[14:15], v7 offset0:8 offset1:10
	ds_read2st64_b32 v[16:17], v7 offset0:12 offset1:14
	v_add_u32_e32 v6, -8, v6
	s_waitcnt lgkmcnt(3)
	v_pk_mul_f32 v[8:9], v[2:3], v[8:9]
	s_waitcnt lgkmcnt(2)
	v_pk_mul_f32 v[12:13], v[2:3], v[12:13]
	ds_write2st64_b32 v7, v8, v9 offset1:2
	ds_write2st64_b32 v7, v12, v13 offset0:4 offset1:6
	ds_read2st64_b32 v[12:13], v7 offset0:16 offset1:18
	s_waitcnt lgkmcnt(4)
	v_pk_mul_f32 v[8:9], v[2:3], v[14:15]
	ds_write2st64_b32 v7, v8, v9 offset0:8 offset1:10
	s_waitcnt lgkmcnt(4)
	v_pk_mul_f32 v[8:9], v[2:3], v[16:17]
	ds_write2st64_b32 v7, v8, v9 offset0:12 offset1:14
	ds_read2st64_b32 v[8:9], v7 offset0:20 offset1:22
	s_waitcnt lgkmcnt(3)
	v_pk_mul_f32 v[12:13], v[2:3], v[12:13]
	ds_read2st64_b32 v[14:15], v7 offset0:24 offset1:26
	ds_write2st64_b32 v7, v12, v13 offset0:16 offset1:18
	ds_read2st64_b32 v[12:13], v7 offset0:28 offset1:30
	s_waitcnt lgkmcnt(3)
	v_pk_mul_f32 v[8:9], v[2:3], v[8:9]
	ds_write2st64_b32 v7, v8, v9 offset0:20 offset1:22
	s_waitcnt lgkmcnt(3)
	v_pk_mul_f32 v[8:9], v[2:3], v[14:15]
	ds_write2st64_b32 v7, v8, v9 offset0:24 offset1:26
	s_waitcnt lgkmcnt(2)
	v_pk_mul_f32 v[8:9], v[2:3], v[12:13]
	s_add_i32 s15, s15, 16
	v_cmp_eq_u32_e32 vcc, 0, v6
	ds_write2st64_b32 v7, v8, v9 offset0:28 offset1:30
	v_add_u32_e32 v7, 0x2000, v7
	s_or_b64 s[34:35], vcc, s[34:35]
	v_mov_b32_e32 v8, s15
	s_andn2_b64 exec, exec, s[34:35]
	s_cbranch_execnz .LBB188_29
; %bb.30:
	s_or_b64 exec, exec, s[34:35]
.LBB188_31:
	s_or_b64 exec, exec, s[10:11]
	v_and_b32_e32 v5, 7, v5
	v_cmp_ne_u32_e32 vcc, 0, v5
	s_and_saveexec_b64 s[10:11], vcc
	s_cbranch_execz .LBB188_34
; %bb.32:
	v_lshlrev_b32_e32 v6, 9, v8
	v_lshlrev_b32_e32 v7, 2, v24
	s_movk_i32 s15, 0x190
	v_add3_u32 v6, v6, v7, s15
	s_mov_b64 s[34:35], 0
.LBB188_33:                             ; =>This Inner Loop Header: Depth=1
	ds_read2st64_b32 v[8:9], v6 offset1:2
	v_add_u32_e32 v5, -1, v5
	v_cmp_eq_u32_e32 vcc, 0, v5
	s_or_b64 s[34:35], vcc, s[34:35]
	s_waitcnt lgkmcnt(0)
	v_pk_mul_f32 v[8:9], v[2:3], v[8:9]
	ds_write2st64_b32 v6, v8, v9 offset1:2
	v_add_u32_e32 v6, 0x400, v6
	s_andn2_b64 exec, exec, s[34:35]
	s_cbranch_execnz .LBB188_33
.LBB188_34:
	s_or_b64 exec, exec, s[10:11]
	v_add_u32_e32 v4, 1, v4
	v_and_b32_e32 v5, 0x3fffffe, v4
	v_cmp_ne_u32_e32 vcc, v4, v5
	v_lshl_add_u32 v3, v5, 7, v24
	s_orn2_b64 s[10:11], vcc, exec
.LBB188_35:
	s_or_b64 exec, exec, s[4:5]
	s_and_b64 exec, exec, s[10:11]
	s_cbranch_execz .LBB188_38
; %bb.36:
	v_mov_b32_e32 v4, 0x190
	v_lshl_add_u32 v4, v3, 2, v4
	s_mov_b64 s[4:5], 0
.LBB188_37:                             ; =>This Inner Loop Header: Depth=1
	ds_read_b32 v5, v4
	v_add_u32_e32 v3, 0x80, v3
	v_cmp_le_i32_e32 vcc, s9, v3
	s_or_b64 s[4:5], vcc, s[4:5]
	s_waitcnt lgkmcnt(0)
	v_mul_f32_e32 v5, v2, v5
	ds_write_b32 v4, v5
	v_add_u32_e32 v4, 0x200, v4
	s_andn2_b64 exec, exec, s[4:5]
	s_cbranch_execnz .LBB188_37
.LBB188_38:
	s_or_b64 exec, exec, s[2:3]
	v_cmp_eq_u32_e32 vcc, 0, v24
	s_waitcnt lgkmcnt(0)
	s_barrier
	s_and_saveexec_b64 s[2:3], vcc
	s_cbranch_execz .LBB188_40
; %bb.39:
	s_mul_i32 s4, s12, s20
	s_mul_i32 s4, s4, s21
	s_ashr_i32 s5, s4, 31
	s_lshl_b64 s[4:5], s[4:5], 2
	s_add_u32 s9, s18, s4
	s_mul_i32 s10, s12, s6
	s_addc_u32 s15, s19, s5
	s_ashr_i32 s11, s10, 31
	s_lshl_b64 s[10:11], s[10:11], 2
	s_add_u32 s6, s9, s10
	s_addc_u32 s15, s15, s11
	s_ashr_i32 s9, s8, 31
	s_lshl_b64 s[18:19], s[8:9], 2
	s_add_u32 s34, s6, s18
	s_addc_u32 s35, s15, s19
	s_add_u32 s4, s16, s4
	s_addc_u32 s5, s17, s5
	;; [unrolled: 2-line block ×3, first 2 shown]
	s_add_u32 s4, s4, s18
	v_mov_b32_e32 v2, 0
	s_addc_u32 s5, s5, s19
	global_store_dword v2, v0, s[34:35]
	global_store_dword v2, v1, s[4:5]
.LBB188_40:
	s_or_b64 exec, exec, s[2:3]
	v_mov_b32_e32 v22, 0
	v_and_b32_e32 v26, 3, v24
	v_mov_b32_e32 v23, 0
	v_mov_b32_e32 v20, 0
	;; [unrolled: 1-line block ×11, first 2 shown]
	s_and_saveexec_b64 s[2:3], s[0:1]
	s_cbranch_execz .LBB188_484
; %bb.41:
	v_and_b32_e32 v0, 0x1f8, v29
	v_or_b32_e32 v2, 0x800, v0
	v_or_b32_e32 v4, 0xa00, v0
	;; [unrolled: 1-line block ×8, first 2 shown]
	v_lshlrev_b32_e32 v0, 1, v0
	buffer_store_dword v28, off, s[44:47], 0 offset:52 ; 4-byte Folded Spill
	buffer_store_dword v27, off, s[44:47], 0 offset:48 ; 4-byte Folded Spill
	;; [unrolled: 1-line block ×3, first 2 shown]
	s_ashr_i32 s15, s14, 31
	buffer_store_dword v0, off, s[44:47], 0 offset:4 ; 4-byte Folded Spill
	v_lshlrev_b32_e32 v0, 1, v2
	s_lshl_b64 s[0:1], s[14:15], 1
	buffer_store_dword v0, off, s[44:47], 0 offset:8 ; 4-byte Folded Spill
	v_lshlrev_b32_e32 v0, 1, v4
	s_add_u32 s10, s30, s0
	buffer_store_dword v0, off, s[44:47], 0 offset:12 ; 4-byte Folded Spill
	v_lshlrev_b32_e32 v0, 1, v6
	v_and_b32_e32 v1, 24, v29
	s_mov_b32 s9, s13
	s_addc_u32 s11, s31, s1
	s_add_i32 s13, s7, -1
	v_lshl_add_u32 v3, v31, 5, s40
	s_lshl_b64 s[0:1], s[28:29], 2
	buffer_store_dword v0, off, s[44:47], 0 offset:16 ; 4-byte Folded Spill
	v_lshlrev_b32_e32 v0, 1, v8
	v_add3_u32 v30, v3, v1, 7
	v_lshlrev_b32_e32 v1, 5, v26
	s_add_u32 s0, s26, s0
	buffer_store_dword v0, off, s[44:47], 0 offset:20 ; 4-byte Folded Spill
	v_lshlrev_b32_e32 v0, 1, v12
	v_lshl_or_b32 v1, v31, 7, v1
	v_lshlrev_b64 v[20:21], 2, v[10:11]
	s_addc_u32 s1, s27, s1
	buffer_store_dword v0, off, s[44:47], 0 offset:24 ; 4-byte Folded Spill
	v_lshlrev_b32_e32 v0, 1, v14
	v_add_u32_e32 v31, 0x190, v1
	v_mov_b32_e32 v1, s1
	v_add_co_u32_e32 v24, vcc, s0, v20
	buffer_store_dword v0, off, s[44:47], 0 offset:28 ; 4-byte Folded Spill
	v_lshlrev_b32_e32 v0, 1, v16
	v_mov_b32_e32 v29, 0
	v_addc_co_u32_e32 v25, vcc, v1, v21, vcc
	s_mov_b64 s[4:5], 0
	s_mov_b32 s14, 0x7f800000
	s_movk_i32 s15, 0x7fff
	buffer_store_dword v0, off, s[44:47], 0 offset:32 ; 4-byte Folded Spill
	v_lshlrev_b32_e32 v0, 1, v18
	v_mov_b32_e32 v13, 0
	v_mov_b32_e32 v12, 0
	v_mov_b32_e32 v15, 0
	v_mov_b32_e32 v14, 0
	v_mov_b32_e32 v17, 0
	v_mov_b32_e32 v16, 0
	v_mov_b32_e32 v19, 0
	v_mov_b32_e32 v18, 0
	v_mov_b32_e32 v21, 0
	v_mov_b32_e32 v20, 0
	v_mov_b32_e32 v23, 0
	v_mov_b32_e32 v22, 0
	buffer_store_dword v26, off, s[44:47], 0 offset:44 ; 4-byte Folded Spill
	buffer_store_dword v0, off, s[44:47], 0 offset:36 ; 4-byte Folded Spill
	s_branch .LBB188_43
.LBB188_42:                             ;   in Loop: Header=BB188_43 Depth=1
	s_or_b64 exec, exec, s[0:1]
	v_and_b32_e32 v34, 0xffff0000, v34
	v_and_b32_e32 v33, 0xffff0000, v33
	;; [unrolled: 1-line block ×6, first 2 shown]
	v_add_f32_e32 v11, v11, v32
	v_add_f32_e32 v32, v33, v34
	v_and_b32_e32 v36, 0xffff0000, v37
	v_and_b32_e32 v37, 0xffff0000, v38
	v_add_f32_e32 v11, v11, v32
	v_add_f32_e32 v8, v35, v8
	;; [unrolled: 1-line block ×6, first 2 shown]
	v_and_b32_e32 v8, 0xffff0000, v26
	v_and_b32_e32 v11, 0xffff0000, v127
	;; [unrolled: 1-line block ×6, first 2 shown]
	v_add_f32_e32 v0, v0, v32
	v_add_f32_e32 v11, v26, v11
	v_and_b32_e32 v27, 0xffff0000, v27
	v_and_b32_e32 v28, 0xffff0000, v28
	v_add_f32_e32 v0, v0, v11
	v_add_f32_e32 v1, v8, v1
	v_add_f32_e32 v0, v0, v1
	v_add_f32_e32 v1, v27, v28
	v_add_f32_e32 v0, v0, v1
	v_and_b32_e32 v8, 0xffff0000, v120
	v_and_b32_e32 v11, 0xffff0000, v119
	v_and_b32_e32 v26, 0xffff0000, v118
	v_and_b32_e32 v27, 0xffff0000, v117
	v_add_f32_e32 v15, v15, v0
	v_and_b32_e32 v0, 0xffff0000, v122
	v_and_b32_e32 v1, 0xffff0000, v121
	v_add_f32_e32 v26, v27, v26
	v_add_f32_e32 v8, v11, v8
	v_and_b32_e32 v28, 0xffff0000, v123
	v_and_b32_e32 v32, 0xffff0000, v124
	v_add_f32_e32 v8, v26, v8
	v_add_f32_e32 v0, v1, v0
	v_add_f32_e32 v0, v8, v0
	v_add_f32_e32 v1, v28, v32
	v_add_f32_e32 v0, v0, v1
	v_and_b32_e32 v8, 0xffff0000, v112
	v_and_b32_e32 v11, 0xffff0000, v111
	v_and_b32_e32 v26, 0xffff0000, v110
	v_and_b32_e32 v27, 0xffff0000, v109
	v_add_f32_e32 v14, v14, v0
	v_and_b32_e32 v0, 0xffff0000, v114
	v_and_b32_e32 v1, 0xffff0000, v113
	;; [unrolled: 16-line block ×7, first 2 shown]
	v_add_f32_e32 v8, v11, v8
	v_add_f32_e32 v6, v7, v6
	;; [unrolled: 1-line block ×5, first 2 shown]
	v_and_b32_e32 v6, 0xffff0000, v66
	v_and_b32_e32 v7, 0xffff0000, v61
	v_add_f32_e32 v6, v7, v6
	v_and_b32_e32 v7, 0xffff0000, v9
	buffer_load_dword v9, off, s[44:47], 0  ; 4-byte Folded Reload
	v_and_b32_e32 v26, 0xffff0000, v77
	v_and_b32_e32 v27, 0xffff0000, v78
	v_add_f32_e32 v1, v26, v27
	v_add_f32_e32 v0, v0, v1
	v_and_b32_e32 v8, 0xffff0000, v48
	v_and_b32_e32 v11, 0xffff0000, v46
	v_add_f32_e32 v20, v20, v0
	v_and_b32_e32 v0, 0xffff0000, v68
	v_and_b32_e32 v1, 0xffff0000, v67
	v_add_f32_e32 v8, v11, v8
	v_and_b32_e32 v26, 0xffff0000, v69
	v_and_b32_e32 v27, 0xffff0000, v70
	v_add_f32_e32 v6, v8, v6
	v_add_f32_e32 v0, v1, v0
	;; [unrolled: 1-line block ×5, first 2 shown]
	v_and_b32_e32 v6, 0xffff0000, v41
	v_and_b32_e32 v8, 0xffff0000, v40
	v_add_f32_e32 v23, v23, v0
	v_and_b32_e32 v0, 0xffff0000, v43
	v_and_b32_e32 v1, 0xffff0000, v42
	v_add_f32_e32 v6, v7, v6
	;; [unrolled: 3-line block ×3, first 2 shown]
	v_add_f32_e32 v1, v11, v26
	v_and_b32_e32 v7, 0xffff0000, v49
	v_and_b32_e32 v3, 0xffff0000, v3
	v_and_b32_e32 v2, 0xffff0000, v2
	v_and_b32_e32 v5, 0xffff0000, v5
	v_and_b32_e32 v4, 0xffff0000, v4
	v_add_u32_e32 v10, 2, v10
	v_cmp_le_i32_e32 vcc, s23, v10
	s_or_b64 s[4:5], vcc, s[4:5]
	v_add_co_u32_e32 v24, vcc, 8, v24
	v_add_u32_e32 v30, 64, v30
	v_add_u32_e32 v31, 0x100, v31
	v_addc_co_u32_e32 v25, vcc, 0, v25, vcc
	s_waitcnt vmcnt(0)
	v_and_b32_e32 v9, 0xffff0000, v9
	v_add_f32_e32 v8, v9, v8
	v_add_f32_e32 v6, v8, v6
	;; [unrolled: 1-line block ×4, first 2 shown]
	v_and_b32_e32 v6, 0xffff0000, v47
	v_add_f32_e32 v22, v22, v0
	v_and_b32_e32 v1, 0xffff0000, v51
	v_and_b32_e32 v0, 0xffff0000, v50
	v_pk_add_f32 v[2:3], v[2:3], v[6:7]
	v_pk_add_f32 v[0:1], v[4:5], v[0:1]
	v_add_f32_e32 v2, v2, v3
	v_add_f32_e32 v0, v2, v0
	;; [unrolled: 1-line block ×4, first 2 shown]
	s_andn2_b64 exec, exec, s[4:5]
	s_cbranch_execz .LBB188_483
.LBB188_43:                             ; =>This Inner Loop Header: Depth=1
	global_load_dword v34, v[24:25], off
	ds_read2_b64 v[6:9], v31 offset1:1
	ds_read2_b64 v[2:5], v31 offset0:2 offset1:3
                                        ; implicit-def: $vgpr33
	s_waitcnt lgkmcnt(1)
	v_and_b32_e32 v0, 0x7f800000, v6
	v_cmp_ne_u32_e32 vcc, s14, v0
	s_and_saveexec_b64 s[0:1], vcc
	s_xor_b64 s[0:1], exec, s[0:1]
; %bb.44:                               ;   in Loop: Header=BB188_43 Depth=1
	v_bfe_u32 v0, v6, 16, 1
	v_add3_u32 v33, v6, v0, s15
; %bb.45:                               ;   in Loop: Header=BB188_43 Depth=1
	s_andn2_saveexec_b64 s[0:1], s[0:1]
; %bb.46:                               ;   in Loop: Header=BB188_43 Depth=1
	v_or_b32_e32 v0, 0x10000, v6
	v_cmp_eq_u32_sdwa vcc, v6, v29 src0_sel:WORD_0 src1_sel:DWORD
	v_cndmask_b32_e32 v33, v0, v6, vcc
; %bb.47:                               ;   in Loop: Header=BB188_43 Depth=1
	s_or_b64 exec, exec, s[0:1]
	v_and_b32_e32 v0, 0x7f800000, v7
	v_cmp_ne_u32_e32 vcc, s14, v0
                                        ; implicit-def: $vgpr32
	s_and_saveexec_b64 s[0:1], vcc
	s_xor_b64 s[0:1], exec, s[0:1]
; %bb.48:                               ;   in Loop: Header=BB188_43 Depth=1
	v_bfe_u32 v0, v7, 16, 1
	v_add3_u32 v32, v7, v0, s15
; %bb.49:                               ;   in Loop: Header=BB188_43 Depth=1
	s_andn2_saveexec_b64 s[0:1], s[0:1]
; %bb.50:                               ;   in Loop: Header=BB188_43 Depth=1
	v_or_b32_e32 v0, 0x10000, v7
	v_cmp_eq_u32_sdwa vcc, v7, v29 src0_sel:WORD_0 src1_sel:DWORD
	v_cndmask_b32_e32 v32, v0, v7, vcc
; %bb.51:                               ;   in Loop: Header=BB188_43 Depth=1
	s_or_b64 exec, exec, s[0:1]
	v_and_b32_e32 v0, 0x7f800000, v8
	v_cmp_ne_u32_e32 vcc, s14, v0
                                        ; implicit-def: $vgpr28
	s_and_saveexec_b64 s[0:1], vcc
	s_xor_b64 s[0:1], exec, s[0:1]
; %bb.52:                               ;   in Loop: Header=BB188_43 Depth=1
	v_bfe_u32 v0, v8, 16, 1
	v_add3_u32 v28, v8, v0, s15
; %bb.53:                               ;   in Loop: Header=BB188_43 Depth=1
	s_andn2_saveexec_b64 s[0:1], s[0:1]
; %bb.54:                               ;   in Loop: Header=BB188_43 Depth=1
	v_or_b32_e32 v0, 0x10000, v8
	v_cmp_eq_u32_sdwa vcc, v8, v29 src0_sel:WORD_0 src1_sel:DWORD
	v_cndmask_b32_e32 v28, v0, v8, vcc
; %bb.55:                               ;   in Loop: Header=BB188_43 Depth=1
	s_or_b64 exec, exec, s[0:1]
	v_and_b32_e32 v0, 0x7f800000, v9
	v_cmp_ne_u32_e32 vcc, s14, v0
                                        ; implicit-def: $vgpr27
	s_and_saveexec_b64 s[0:1], vcc
	s_xor_b64 s[0:1], exec, s[0:1]
; %bb.56:                               ;   in Loop: Header=BB188_43 Depth=1
	v_bfe_u32 v0, v9, 16, 1
	v_add3_u32 v27, v9, v0, s15
                                        ; implicit-def: $vgpr6_vgpr7_vgpr8_vgpr9
; %bb.57:                               ;   in Loop: Header=BB188_43 Depth=1
	s_andn2_saveexec_b64 s[0:1], s[0:1]
; %bb.58:                               ;   in Loop: Header=BB188_43 Depth=1
	v_or_b32_e32 v0, 0x10000, v9
	v_cmp_eq_u32_sdwa vcc, v9, v29 src0_sel:WORD_0 src1_sel:DWORD
	v_cndmask_b32_e32 v27, v0, v9, vcc
; %bb.59:                               ;   in Loop: Header=BB188_43 Depth=1
	s_or_b64 exec, exec, s[0:1]
	s_waitcnt lgkmcnt(0)
	v_and_b32_e32 v0, 0x7f800000, v2
	v_cmp_ne_u32_e32 vcc, s14, v0
                                        ; implicit-def: $vgpr26
	s_and_saveexec_b64 s[0:1], vcc
	s_xor_b64 s[0:1], exec, s[0:1]
; %bb.60:                               ;   in Loop: Header=BB188_43 Depth=1
	v_bfe_u32 v0, v2, 16, 1
	v_add3_u32 v26, v2, v0, s15
; %bb.61:                               ;   in Loop: Header=BB188_43 Depth=1
	s_andn2_saveexec_b64 s[0:1], s[0:1]
; %bb.62:                               ;   in Loop: Header=BB188_43 Depth=1
	v_or_b32_e32 v0, 0x10000, v2
	v_cmp_eq_u32_sdwa vcc, v2, v29 src0_sel:WORD_0 src1_sel:DWORD
	v_cndmask_b32_e32 v26, v0, v2, vcc
; %bb.63:                               ;   in Loop: Header=BB188_43 Depth=1
	s_or_b64 exec, exec, s[0:1]
	v_and_b32_e32 v0, 0x7f800000, v3
	v_cmp_ne_u32_e32 vcc, s14, v0
                                        ; implicit-def: $vgpr11
	s_and_saveexec_b64 s[0:1], vcc
	s_xor_b64 s[0:1], exec, s[0:1]
; %bb.64:                               ;   in Loop: Header=BB188_43 Depth=1
	v_bfe_u32 v0, v3, 16, 1
	v_add3_u32 v11, v3, v0, s15
; %bb.65:                               ;   in Loop: Header=BB188_43 Depth=1
	s_andn2_saveexec_b64 s[0:1], s[0:1]
; %bb.66:                               ;   in Loop: Header=BB188_43 Depth=1
	v_or_b32_e32 v0, 0x10000, v3
	v_cmp_eq_u32_sdwa vcc, v3, v29 src0_sel:WORD_0 src1_sel:DWORD
	v_cndmask_b32_e32 v11, v0, v3, vcc
; %bb.67:                               ;   in Loop: Header=BB188_43 Depth=1
	s_or_b64 exec, exec, s[0:1]
	v_and_b32_e32 v0, 0x7f800000, v4
	v_cmp_ne_u32_e32 vcc, s14, v0
                                        ; implicit-def: $vgpr1
	s_and_saveexec_b64 s[0:1], vcc
	s_xor_b64 s[0:1], exec, s[0:1]
; %bb.68:                               ;   in Loop: Header=BB188_43 Depth=1
	v_bfe_u32 v0, v4, 16, 1
	v_add3_u32 v1, v4, v0, s15
; %bb.69:                               ;   in Loop: Header=BB188_43 Depth=1
	s_andn2_saveexec_b64 s[0:1], s[0:1]
; %bb.70:                               ;   in Loop: Header=BB188_43 Depth=1
	v_or_b32_e32 v0, 0x10000, v4
	v_cmp_eq_u32_sdwa vcc, v4, v29 src0_sel:WORD_0 src1_sel:DWORD
	v_cndmask_b32_e32 v1, v0, v4, vcc
; %bb.71:                               ;   in Loop: Header=BB188_43 Depth=1
	s_or_b64 exec, exec, s[0:1]
	v_and_b32_e32 v0, 0x7f800000, v5
	v_cmp_ne_u32_e32 vcc, s14, v0
                                        ; implicit-def: $vgpr0
	s_and_saveexec_b64 s[0:1], vcc
	s_xor_b64 s[0:1], exec, s[0:1]
; %bb.72:                               ;   in Loop: Header=BB188_43 Depth=1
	v_bfe_u32 v0, v5, 16, 1
	v_add3_u32 v0, v5, v0, s15
                                        ; implicit-def: $vgpr2_vgpr3_vgpr4_vgpr5
; %bb.73:                               ;   in Loop: Header=BB188_43 Depth=1
	s_andn2_saveexec_b64 s[0:1], s[0:1]
; %bb.74:                               ;   in Loop: Header=BB188_43 Depth=1
	v_or_b32_e32 v0, 0x10000, v5
	v_cmp_eq_u32_sdwa vcc, v5, v29 src0_sel:WORD_0 src1_sel:DWORD
	v_cndmask_b32_e32 v0, v0, v5, vcc
; %bb.75:                               ;   in Loop: Header=BB188_43 Depth=1
	s_or_b64 exec, exec, s[0:1]
	s_waitcnt vmcnt(0)
	v_mad_i64_i32 v[2:3], s[0:1], v34, s9, 0
	v_lshlrev_b64 v[2:3], 1, v[2:3]
	v_add_co_u32_e32 v55, vcc, s10, v2
	buffer_load_dword v2, off, s[44:47], 0 offset:4 ; 4-byte Folded Reload
	v_mov_b32_e32 v4, s11
	v_addc_co_u32_e32 v56, vcc, v4, v3, vcc
	v_add_u32_e32 v47, -7, v30
	v_add_u32_e32 v54, -6, v30
	;; [unrolled: 1-line block ×7, first 2 shown]
	s_waitcnt vmcnt(0)
	v_add_co_u32_e32 v6, vcc, v55, v2
	v_addc_co_u32_e32 v7, vcc, 0, v56, vcc
	global_load_dwordx4 v[2:5], v[6:7], off
	v_cmp_eq_u32_e32 vcc, s13, v10
	s_waitcnt vmcnt(0)
	v_lshrrev_b32_e32 v8, 16, v2
	v_lshrrev_b32_e32 v36, 16, v3
	v_lshrrev_b32_e32 v35, 16, v4
	v_lshrrev_b32_e32 v34, 16, v5
	s_and_saveexec_b64 s[6:7], vcc
	s_cbranch_execz .LBB188_77
; %bb.76:                               ;   in Loop: Header=BB188_43 Depth=1
	v_cmp_gt_i32_e64 s[0:1], s33, v47
	v_cndmask_b32_e64 v2, 0, v2, s[0:1]
	v_cmp_gt_i32_e64 s[0:1], s33, v54
	v_cndmask_b32_e64 v8, 0, v8, s[0:1]
	;; [unrolled: 2-line block ×8, first 2 shown]
.LBB188_77:                             ;   in Loop: Header=BB188_43 Depth=1
	s_or_b64 exec, exec, s[6:7]
	v_and_b32_e32 v57, 0xffff0000, v33
	v_lshlrev_b32_e32 v2, 16, v2
	v_mul_f32_e32 v2, v57, v2
	v_and_b32_e32 v9, 0x7f800000, v2
	v_cmp_ne_u32_e64 s[0:1], s14, v9
                                        ; implicit-def: $vgpr9
                                        ; kill: killed $vgpr9
	s_and_saveexec_b64 s[6:7], s[0:1]
	s_xor_b64 s[0:1], exec, s[6:7]
	s_cbranch_execz .LBB188_79
; %bb.78:                               ;   in Loop: Header=BB188_43 Depth=1
	v_bfe_u32 v9, v2, 16, 1
	v_add3_u32 v2, v2, v9, s15
	buffer_store_dword v2, off, s[44:47], 0 ; 4-byte Folded Spill
                                        ; implicit-def: $vgpr2
.LBB188_79:                             ;   in Loop: Header=BB188_43 Depth=1
	s_andn2_saveexec_b64 s[6:7], s[0:1]
	s_cbranch_execz .LBB188_81
; %bb.80:                               ;   in Loop: Header=BB188_43 Depth=1
	v_or_b32_e32 v9, 0x10000, v2
	v_cmp_eq_u32_sdwa s[0:1], v2, v29 src0_sel:WORD_0 src1_sel:DWORD
	v_cndmask_b32_e64 v2, v9, v2, s[0:1]
	buffer_store_dword v2, off, s[44:47], 0 ; 4-byte Folded Spill
.LBB188_81:                             ;   in Loop: Header=BB188_43 Depth=1
	s_or_b64 exec, exec, s[6:7]
	v_and_b32_e32 v58, 0xffff0000, v32
	v_lshlrev_b32_e32 v2, 16, v8
	v_mul_f32_e32 v2, v58, v2
	v_and_b32_e32 v8, 0x7f800000, v2
	v_cmp_ne_u32_e64 s[0:1], s14, v8
                                        ; implicit-def: $vgpr40
	s_and_saveexec_b64 s[6:7], s[0:1]
	s_xor_b64 s[0:1], exec, s[6:7]
; %bb.82:                               ;   in Loop: Header=BB188_43 Depth=1
	v_bfe_u32 v8, v2, 16, 1
	v_add3_u32 v40, v2, v8, s15
                                        ; implicit-def: $vgpr2
; %bb.83:                               ;   in Loop: Header=BB188_43 Depth=1
	s_andn2_saveexec_b64 s[6:7], s[0:1]
; %bb.84:                               ;   in Loop: Header=BB188_43 Depth=1
	v_or_b32_e32 v8, 0x10000, v2
	v_cmp_eq_u32_sdwa s[0:1], v2, v29 src0_sel:WORD_0 src1_sel:DWORD
	v_cndmask_b32_e64 v40, v8, v2, s[0:1]
; %bb.85:                               ;   in Loop: Header=BB188_43 Depth=1
	s_or_b64 exec, exec, s[6:7]
	v_and_b32_e32 v59, 0xffff0000, v28
	v_lshlrev_b32_e32 v2, 16, v3
	v_mul_f32_e32 v2, v59, v2
	v_and_b32_e32 v3, 0x7f800000, v2
	v_cmp_ne_u32_e64 s[0:1], s14, v3
                                        ; implicit-def: $vgpr9
	s_and_saveexec_b64 s[6:7], s[0:1]
	s_xor_b64 s[0:1], exec, s[6:7]
; %bb.86:                               ;   in Loop: Header=BB188_43 Depth=1
	v_bfe_u32 v3, v2, 16, 1
	v_add3_u32 v9, v2, v3, s15
                                        ; implicit-def: $vgpr2
; %bb.87:                               ;   in Loop: Header=BB188_43 Depth=1
	s_andn2_saveexec_b64 s[6:7], s[0:1]
; %bb.88:                               ;   in Loop: Header=BB188_43 Depth=1
	v_or_b32_e32 v3, 0x10000, v2
	v_cmp_eq_u32_sdwa s[0:1], v2, v29 src0_sel:WORD_0 src1_sel:DWORD
	v_cndmask_b32_e64 v9, v3, v2, s[0:1]
; %bb.89:                               ;   in Loop: Header=BB188_43 Depth=1
	s_or_b64 exec, exec, s[6:7]
	v_and_b32_e32 v60, 0xffff0000, v27
	v_lshlrev_b32_e32 v2, 16, v36
	v_mul_f32_e32 v2, v60, v2
	v_and_b32_e32 v3, 0x7f800000, v2
	v_cmp_ne_u32_e64 s[0:1], s14, v3
                                        ; implicit-def: $vgpr41
	s_and_saveexec_b64 s[6:7], s[0:1]
	s_xor_b64 s[0:1], exec, s[6:7]
; %bb.90:                               ;   in Loop: Header=BB188_43 Depth=1
	v_bfe_u32 v3, v2, 16, 1
	v_add3_u32 v41, v2, v3, s15
                                        ; implicit-def: $vgpr2
; %bb.91:                               ;   in Loop: Header=BB188_43 Depth=1
	s_andn2_saveexec_b64 s[6:7], s[0:1]
; %bb.92:                               ;   in Loop: Header=BB188_43 Depth=1
	v_or_b32_e32 v3, 0x10000, v2
	v_cmp_eq_u32_sdwa s[0:1], v2, v29 src0_sel:WORD_0 src1_sel:DWORD
	v_cndmask_b32_e64 v41, v3, v2, s[0:1]
; %bb.93:                               ;   in Loop: Header=BB188_43 Depth=1
	s_or_b64 exec, exec, s[6:7]
	v_and_b32_e32 v62, 0xffff0000, v26
	v_lshlrev_b32_e32 v2, 16, v4
	v_mul_f32_e32 v2, v62, v2
	v_and_b32_e32 v3, 0x7f800000, v2
	v_cmp_ne_u32_e64 s[0:1], s14, v3
                                        ; implicit-def: $vgpr42
	s_and_saveexec_b64 s[6:7], s[0:1]
	s_xor_b64 s[0:1], exec, s[6:7]
; %bb.94:                               ;   in Loop: Header=BB188_43 Depth=1
	v_bfe_u32 v3, v2, 16, 1
	v_add3_u32 v42, v2, v3, s15
                                        ; implicit-def: $vgpr2
; %bb.95:                               ;   in Loop: Header=BB188_43 Depth=1
	s_andn2_saveexec_b64 s[6:7], s[0:1]
; %bb.96:                               ;   in Loop: Header=BB188_43 Depth=1
	v_or_b32_e32 v3, 0x10000, v2
	v_cmp_eq_u32_sdwa s[0:1], v2, v29 src0_sel:WORD_0 src1_sel:DWORD
	v_cndmask_b32_e64 v42, v3, v2, s[0:1]
; %bb.97:                               ;   in Loop: Header=BB188_43 Depth=1
	s_or_b64 exec, exec, s[6:7]
	v_and_b32_e32 v63, 0xffff0000, v11
	v_lshlrev_b32_e32 v2, 16, v35
	v_mul_f32_e32 v2, v63, v2
	v_and_b32_e32 v3, 0x7f800000, v2
	v_cmp_ne_u32_e64 s[0:1], s14, v3
                                        ; implicit-def: $vgpr43
	s_and_saveexec_b64 s[6:7], s[0:1]
	s_xor_b64 s[0:1], exec, s[6:7]
; %bb.98:                               ;   in Loop: Header=BB188_43 Depth=1
	v_bfe_u32 v3, v2, 16, 1
	v_add3_u32 v43, v2, v3, s15
                                        ; implicit-def: $vgpr2
; %bb.99:                               ;   in Loop: Header=BB188_43 Depth=1
	s_andn2_saveexec_b64 s[6:7], s[0:1]
; %bb.100:                              ;   in Loop: Header=BB188_43 Depth=1
	v_or_b32_e32 v3, 0x10000, v2
	v_cmp_eq_u32_sdwa s[0:1], v2, v29 src0_sel:WORD_0 src1_sel:DWORD
	v_cndmask_b32_e64 v43, v3, v2, s[0:1]
; %bb.101:                              ;   in Loop: Header=BB188_43 Depth=1
	s_or_b64 exec, exec, s[6:7]
	v_and_b32_e32 v64, 0xffff0000, v1
	v_lshlrev_b32_e32 v1, 16, v5
	v_mul_f32_e32 v1, v64, v1
	v_and_b32_e32 v2, 0x7f800000, v1
	v_cmp_ne_u32_e64 s[0:1], s14, v2
                                        ; implicit-def: $vgpr44
	s_and_saveexec_b64 s[6:7], s[0:1]
	s_xor_b64 s[0:1], exec, s[6:7]
; %bb.102:                              ;   in Loop: Header=BB188_43 Depth=1
	v_bfe_u32 v2, v1, 16, 1
	v_add3_u32 v44, v1, v2, s15
                                        ; implicit-def: $vgpr1
; %bb.103:                              ;   in Loop: Header=BB188_43 Depth=1
	s_andn2_saveexec_b64 s[6:7], s[0:1]
; %bb.104:                              ;   in Loop: Header=BB188_43 Depth=1
	v_or_b32_e32 v2, 0x10000, v1
	v_cmp_eq_u32_sdwa s[0:1], v1, v29 src0_sel:WORD_0 src1_sel:DWORD
	v_cndmask_b32_e64 v44, v2, v1, s[0:1]
; %bb.105:                              ;   in Loop: Header=BB188_43 Depth=1
	s_or_b64 exec, exec, s[6:7]
	v_and_b32_e32 v65, 0xffff0000, v0
	v_lshlrev_b32_e32 v0, 16, v34
	v_mul_f32_e32 v0, v65, v0
	v_and_b32_e32 v1, 0x7f800000, v0
	v_cmp_ne_u32_e64 s[0:1], s14, v1
                                        ; implicit-def: $vgpr45
	s_and_saveexec_b64 s[6:7], s[0:1]
	s_xor_b64 s[0:1], exec, s[6:7]
; %bb.106:                              ;   in Loop: Header=BB188_43 Depth=1
	v_bfe_u32 v1, v0, 16, 1
	v_add3_u32 v45, v0, v1, s15
                                        ; implicit-def: $vgpr0
; %bb.107:                              ;   in Loop: Header=BB188_43 Depth=1
	s_andn2_saveexec_b64 s[6:7], s[0:1]
; %bb.108:                              ;   in Loop: Header=BB188_43 Depth=1
	v_or_b32_e32 v1, 0x10000, v0
	v_cmp_eq_u32_sdwa s[0:1], v0, v29 src0_sel:WORD_0 src1_sel:DWORD
	v_cndmask_b32_e64 v45, v1, v0, s[0:1]
; %bb.109:                              ;   in Loop: Header=BB188_43 Depth=1
	s_or_b64 exec, exec, s[6:7]
	global_load_dwordx4 v[2:5], v[6:7], off offset:1024
	s_waitcnt vmcnt(0)
	v_lshrrev_b32_e32 v26, 16, v2
	v_lshrrev_b32_e32 v11, 16, v3
	;; [unrolled: 1-line block ×4, first 2 shown]
	s_and_saveexec_b64 s[6:7], vcc
	s_cbranch_execz .LBB188_111
; %bb.110:                              ;   in Loop: Header=BB188_43 Depth=1
	v_cmp_gt_i32_e64 s[0:1], s33, v47
	v_cndmask_b32_e64 v2, 0, v2, s[0:1]
	v_cmp_gt_i32_e64 s[0:1], s33, v54
	v_cndmask_b32_e64 v26, 0, v26, s[0:1]
	;; [unrolled: 2-line block ×8, first 2 shown]
.LBB188_111:                            ;   in Loop: Header=BB188_43 Depth=1
	s_or_b64 exec, exec, s[6:7]
	v_lshlrev_b32_e32 v2, 16, v2
	v_mul_f32_e32 v2, v57, v2
	v_and_b32_e32 v8, 0x7f800000, v2
	v_cmp_ne_u32_e64 s[0:1], s14, v8
                                        ; implicit-def: $vgpr46
	s_and_saveexec_b64 s[6:7], s[0:1]
	s_xor_b64 s[0:1], exec, s[6:7]
; %bb.112:                              ;   in Loop: Header=BB188_43 Depth=1
	v_bfe_u32 v8, v2, 16, 1
	v_add3_u32 v46, v2, v8, s15
                                        ; implicit-def: $vgpr2
; %bb.113:                              ;   in Loop: Header=BB188_43 Depth=1
	s_andn2_saveexec_b64 s[6:7], s[0:1]
; %bb.114:                              ;   in Loop: Header=BB188_43 Depth=1
	v_or_b32_e32 v8, 0x10000, v2
	v_cmp_eq_u32_sdwa s[0:1], v2, v29 src0_sel:WORD_0 src1_sel:DWORD
	v_cndmask_b32_e64 v46, v8, v2, s[0:1]
; %bb.115:                              ;   in Loop: Header=BB188_43 Depth=1
	s_or_b64 exec, exec, s[6:7]
	v_lshlrev_b32_e32 v2, 16, v26
	v_mul_f32_e32 v2, v58, v2
	v_and_b32_e32 v8, 0x7f800000, v2
	v_cmp_ne_u32_e64 s[0:1], s14, v8
                                        ; implicit-def: $vgpr48
	s_and_saveexec_b64 s[6:7], s[0:1]
	s_xor_b64 s[0:1], exec, s[6:7]
; %bb.116:                              ;   in Loop: Header=BB188_43 Depth=1
	v_bfe_u32 v8, v2, 16, 1
	v_add3_u32 v48, v2, v8, s15
                                        ; implicit-def: $vgpr2
; %bb.117:                              ;   in Loop: Header=BB188_43 Depth=1
	s_andn2_saveexec_b64 s[6:7], s[0:1]
; %bb.118:                              ;   in Loop: Header=BB188_43 Depth=1
	v_or_b32_e32 v8, 0x10000, v2
	v_cmp_eq_u32_sdwa s[0:1], v2, v29 src0_sel:WORD_0 src1_sel:DWORD
	v_cndmask_b32_e64 v48, v8, v2, s[0:1]
; %bb.119:                              ;   in Loop: Header=BB188_43 Depth=1
	s_or_b64 exec, exec, s[6:7]
	v_lshlrev_b32_e32 v2, 16, v3
	v_mul_f32_e32 v2, v59, v2
	v_and_b32_e32 v3, 0x7f800000, v2
	v_cmp_ne_u32_e64 s[0:1], s14, v3
                                        ; implicit-def: $vgpr61
	s_and_saveexec_b64 s[6:7], s[0:1]
	s_xor_b64 s[0:1], exec, s[6:7]
; %bb.120:                              ;   in Loop: Header=BB188_43 Depth=1
	v_bfe_u32 v3, v2, 16, 1
	v_add3_u32 v61, v2, v3, s15
                                        ; implicit-def: $vgpr2
; %bb.121:                              ;   in Loop: Header=BB188_43 Depth=1
	s_andn2_saveexec_b64 s[6:7], s[0:1]
; %bb.122:                              ;   in Loop: Header=BB188_43 Depth=1
	v_or_b32_e32 v3, 0x10000, v2
	v_cmp_eq_u32_sdwa s[0:1], v2, v29 src0_sel:WORD_0 src1_sel:DWORD
	v_cndmask_b32_e64 v61, v3, v2, s[0:1]
; %bb.123:                              ;   in Loop: Header=BB188_43 Depth=1
	s_or_b64 exec, exec, s[6:7]
	v_lshlrev_b32_e32 v2, 16, v11
	v_mul_f32_e32 v2, v60, v2
	v_and_b32_e32 v3, 0x7f800000, v2
	v_cmp_ne_u32_e64 s[0:1], s14, v3
                                        ; implicit-def: $vgpr66
	s_and_saveexec_b64 s[6:7], s[0:1]
	s_xor_b64 s[0:1], exec, s[6:7]
; %bb.124:                              ;   in Loop: Header=BB188_43 Depth=1
	v_bfe_u32 v3, v2, 16, 1
	v_add3_u32 v66, v2, v3, s15
                                        ; implicit-def: $vgpr2
; %bb.125:                              ;   in Loop: Header=BB188_43 Depth=1
	s_andn2_saveexec_b64 s[6:7], s[0:1]
; %bb.126:                              ;   in Loop: Header=BB188_43 Depth=1
	v_or_b32_e32 v3, 0x10000, v2
	v_cmp_eq_u32_sdwa s[0:1], v2, v29 src0_sel:WORD_0 src1_sel:DWORD
	v_cndmask_b32_e64 v66, v3, v2, s[0:1]
; %bb.127:                              ;   in Loop: Header=BB188_43 Depth=1
	s_or_b64 exec, exec, s[6:7]
	v_lshlrev_b32_e32 v2, 16, v4
	v_mul_f32_e32 v2, v62, v2
	v_and_b32_e32 v3, 0x7f800000, v2
	v_cmp_ne_u32_e64 s[0:1], s14, v3
                                        ; implicit-def: $vgpr67
	s_and_saveexec_b64 s[6:7], s[0:1]
	s_xor_b64 s[0:1], exec, s[6:7]
; %bb.128:                              ;   in Loop: Header=BB188_43 Depth=1
	v_bfe_u32 v3, v2, 16, 1
	v_add3_u32 v67, v2, v3, s15
                                        ; implicit-def: $vgpr2
; %bb.129:                              ;   in Loop: Header=BB188_43 Depth=1
	s_andn2_saveexec_b64 s[6:7], s[0:1]
; %bb.130:                              ;   in Loop: Header=BB188_43 Depth=1
	v_or_b32_e32 v3, 0x10000, v2
	v_cmp_eq_u32_sdwa s[0:1], v2, v29 src0_sel:WORD_0 src1_sel:DWORD
	v_cndmask_b32_e64 v67, v3, v2, s[0:1]
; %bb.131:                              ;   in Loop: Header=BB188_43 Depth=1
	s_or_b64 exec, exec, s[6:7]
	v_lshlrev_b32_e32 v1, 16, v1
	v_mul_f32_e32 v1, v63, v1
	v_and_b32_e32 v2, 0x7f800000, v1
	v_cmp_ne_u32_e64 s[0:1], s14, v2
                                        ; implicit-def: $vgpr68
	s_and_saveexec_b64 s[6:7], s[0:1]
	s_xor_b64 s[0:1], exec, s[6:7]
; %bb.132:                              ;   in Loop: Header=BB188_43 Depth=1
	v_bfe_u32 v2, v1, 16, 1
	v_add3_u32 v68, v1, v2, s15
                                        ; implicit-def: $vgpr1
; %bb.133:                              ;   in Loop: Header=BB188_43 Depth=1
	s_andn2_saveexec_b64 s[6:7], s[0:1]
; %bb.134:                              ;   in Loop: Header=BB188_43 Depth=1
	v_or_b32_e32 v2, 0x10000, v1
	v_cmp_eq_u32_sdwa s[0:1], v1, v29 src0_sel:WORD_0 src1_sel:DWORD
	v_cndmask_b32_e64 v68, v2, v1, s[0:1]
; %bb.135:                              ;   in Loop: Header=BB188_43 Depth=1
	s_or_b64 exec, exec, s[6:7]
	v_lshlrev_b32_e32 v1, 16, v5
	v_mul_f32_e32 v1, v64, v1
	v_and_b32_e32 v2, 0x7f800000, v1
	v_cmp_ne_u32_e64 s[0:1], s14, v2
                                        ; implicit-def: $vgpr69
	s_and_saveexec_b64 s[6:7], s[0:1]
	s_xor_b64 s[0:1], exec, s[6:7]
; %bb.136:                              ;   in Loop: Header=BB188_43 Depth=1
	v_bfe_u32 v2, v1, 16, 1
	v_add3_u32 v69, v1, v2, s15
                                        ; implicit-def: $vgpr1
; %bb.137:                              ;   in Loop: Header=BB188_43 Depth=1
	s_andn2_saveexec_b64 s[6:7], s[0:1]
; %bb.138:                              ;   in Loop: Header=BB188_43 Depth=1
	v_or_b32_e32 v2, 0x10000, v1
	v_cmp_eq_u32_sdwa s[0:1], v1, v29 src0_sel:WORD_0 src1_sel:DWORD
	v_cndmask_b32_e64 v69, v2, v1, s[0:1]
; %bb.139:                              ;   in Loop: Header=BB188_43 Depth=1
	s_or_b64 exec, exec, s[6:7]
	v_lshlrev_b32_e32 v0, 16, v0
	v_mul_f32_e32 v0, v65, v0
	v_and_b32_e32 v1, 0x7f800000, v0
	v_cmp_ne_u32_e64 s[0:1], s14, v1
                                        ; implicit-def: $vgpr70
	s_and_saveexec_b64 s[6:7], s[0:1]
	s_xor_b64 s[0:1], exec, s[6:7]
; %bb.140:                              ;   in Loop: Header=BB188_43 Depth=1
	v_bfe_u32 v1, v0, 16, 1
	v_add3_u32 v70, v0, v1, s15
                                        ; implicit-def: $vgpr0
; %bb.141:                              ;   in Loop: Header=BB188_43 Depth=1
	s_andn2_saveexec_b64 s[6:7], s[0:1]
; %bb.142:                              ;   in Loop: Header=BB188_43 Depth=1
	v_or_b32_e32 v1, 0x10000, v0
	v_cmp_eq_u32_sdwa s[0:1], v0, v29 src0_sel:WORD_0 src1_sel:DWORD
	v_cndmask_b32_e64 v70, v1, v0, s[0:1]
; %bb.143:                              ;   in Loop: Header=BB188_43 Depth=1
	s_or_b64 exec, exec, s[6:7]
	global_load_dwordx4 v[2:5], v[6:7], off offset:2048
	s_waitcnt vmcnt(0)
	v_lshrrev_b32_e32 v26, 16, v2
	v_lshrrev_b32_e32 v11, 16, v3
	;; [unrolled: 1-line block ×4, first 2 shown]
	s_and_saveexec_b64 s[6:7], vcc
	s_cbranch_execz .LBB188_145
; %bb.144:                              ;   in Loop: Header=BB188_43 Depth=1
	v_cmp_gt_i32_e64 s[0:1], s33, v47
	v_cndmask_b32_e64 v2, 0, v2, s[0:1]
	v_cmp_gt_i32_e64 s[0:1], s33, v54
	v_cndmask_b32_e64 v26, 0, v26, s[0:1]
	;; [unrolled: 2-line block ×8, first 2 shown]
.LBB188_145:                            ;   in Loop: Header=BB188_43 Depth=1
	s_or_b64 exec, exec, s[6:7]
	v_lshlrev_b32_e32 v2, 16, v2
	v_mul_f32_e32 v2, v57, v2
	v_and_b32_e32 v8, 0x7f800000, v2
	v_cmp_ne_u32_e64 s[0:1], s14, v8
                                        ; implicit-def: $vgpr71
	s_and_saveexec_b64 s[6:7], s[0:1]
	s_xor_b64 s[0:1], exec, s[6:7]
; %bb.146:                              ;   in Loop: Header=BB188_43 Depth=1
	v_bfe_u32 v8, v2, 16, 1
	v_add3_u32 v71, v2, v8, s15
                                        ; implicit-def: $vgpr2
; %bb.147:                              ;   in Loop: Header=BB188_43 Depth=1
	s_andn2_saveexec_b64 s[6:7], s[0:1]
; %bb.148:                              ;   in Loop: Header=BB188_43 Depth=1
	v_or_b32_e32 v8, 0x10000, v2
	v_cmp_eq_u32_sdwa s[0:1], v2, v29 src0_sel:WORD_0 src1_sel:DWORD
	v_cndmask_b32_e64 v71, v8, v2, s[0:1]
; %bb.149:                              ;   in Loop: Header=BB188_43 Depth=1
	s_or_b64 exec, exec, s[6:7]
	v_lshlrev_b32_e32 v2, 16, v26
	v_mul_f32_e32 v2, v58, v2
	v_and_b32_e32 v8, 0x7f800000, v2
	v_cmp_ne_u32_e64 s[0:1], s14, v8
                                        ; implicit-def: $vgpr72
	s_and_saveexec_b64 s[6:7], s[0:1]
	s_xor_b64 s[0:1], exec, s[6:7]
; %bb.150:                              ;   in Loop: Header=BB188_43 Depth=1
	v_bfe_u32 v8, v2, 16, 1
	v_add3_u32 v72, v2, v8, s15
                                        ; implicit-def: $vgpr2
; %bb.151:                              ;   in Loop: Header=BB188_43 Depth=1
	s_andn2_saveexec_b64 s[6:7], s[0:1]
; %bb.152:                              ;   in Loop: Header=BB188_43 Depth=1
	v_or_b32_e32 v8, 0x10000, v2
	v_cmp_eq_u32_sdwa s[0:1], v2, v29 src0_sel:WORD_0 src1_sel:DWORD
	v_cndmask_b32_e64 v72, v8, v2, s[0:1]
; %bb.153:                              ;   in Loop: Header=BB188_43 Depth=1
	s_or_b64 exec, exec, s[6:7]
	v_lshlrev_b32_e32 v2, 16, v3
	v_mul_f32_e32 v2, v59, v2
	v_and_b32_e32 v3, 0x7f800000, v2
	v_cmp_ne_u32_e64 s[0:1], s14, v3
                                        ; implicit-def: $vgpr73
	s_and_saveexec_b64 s[6:7], s[0:1]
	s_xor_b64 s[0:1], exec, s[6:7]
; %bb.154:                              ;   in Loop: Header=BB188_43 Depth=1
	v_bfe_u32 v3, v2, 16, 1
	v_add3_u32 v73, v2, v3, s15
                                        ; implicit-def: $vgpr2
; %bb.155:                              ;   in Loop: Header=BB188_43 Depth=1
	s_andn2_saveexec_b64 s[6:7], s[0:1]
; %bb.156:                              ;   in Loop: Header=BB188_43 Depth=1
	v_or_b32_e32 v3, 0x10000, v2
	v_cmp_eq_u32_sdwa s[0:1], v2, v29 src0_sel:WORD_0 src1_sel:DWORD
	v_cndmask_b32_e64 v73, v3, v2, s[0:1]
; %bb.157:                              ;   in Loop: Header=BB188_43 Depth=1
	s_or_b64 exec, exec, s[6:7]
	v_lshlrev_b32_e32 v2, 16, v11
	v_mul_f32_e32 v2, v60, v2
	v_and_b32_e32 v3, 0x7f800000, v2
	v_cmp_ne_u32_e64 s[0:1], s14, v3
                                        ; implicit-def: $vgpr74
	s_and_saveexec_b64 s[6:7], s[0:1]
	s_xor_b64 s[0:1], exec, s[6:7]
; %bb.158:                              ;   in Loop: Header=BB188_43 Depth=1
	v_bfe_u32 v3, v2, 16, 1
	v_add3_u32 v74, v2, v3, s15
                                        ; implicit-def: $vgpr2
; %bb.159:                              ;   in Loop: Header=BB188_43 Depth=1
	s_andn2_saveexec_b64 s[6:7], s[0:1]
; %bb.160:                              ;   in Loop: Header=BB188_43 Depth=1
	v_or_b32_e32 v3, 0x10000, v2
	v_cmp_eq_u32_sdwa s[0:1], v2, v29 src0_sel:WORD_0 src1_sel:DWORD
	v_cndmask_b32_e64 v74, v3, v2, s[0:1]
; %bb.161:                              ;   in Loop: Header=BB188_43 Depth=1
	s_or_b64 exec, exec, s[6:7]
	v_lshlrev_b32_e32 v2, 16, v4
	v_mul_f32_e32 v2, v62, v2
	v_and_b32_e32 v3, 0x7f800000, v2
	v_cmp_ne_u32_e64 s[0:1], s14, v3
                                        ; implicit-def: $vgpr75
	s_and_saveexec_b64 s[6:7], s[0:1]
	s_xor_b64 s[0:1], exec, s[6:7]
; %bb.162:                              ;   in Loop: Header=BB188_43 Depth=1
	v_bfe_u32 v3, v2, 16, 1
	v_add3_u32 v75, v2, v3, s15
                                        ; implicit-def: $vgpr2
; %bb.163:                              ;   in Loop: Header=BB188_43 Depth=1
	s_andn2_saveexec_b64 s[6:7], s[0:1]
; %bb.164:                              ;   in Loop: Header=BB188_43 Depth=1
	v_or_b32_e32 v3, 0x10000, v2
	v_cmp_eq_u32_sdwa s[0:1], v2, v29 src0_sel:WORD_0 src1_sel:DWORD
	v_cndmask_b32_e64 v75, v3, v2, s[0:1]
; %bb.165:                              ;   in Loop: Header=BB188_43 Depth=1
	s_or_b64 exec, exec, s[6:7]
	v_lshlrev_b32_e32 v1, 16, v1
	v_mul_f32_e32 v1, v63, v1
	v_and_b32_e32 v2, 0x7f800000, v1
	v_cmp_ne_u32_e64 s[0:1], s14, v2
                                        ; implicit-def: $vgpr76
	s_and_saveexec_b64 s[6:7], s[0:1]
	s_xor_b64 s[0:1], exec, s[6:7]
; %bb.166:                              ;   in Loop: Header=BB188_43 Depth=1
	v_bfe_u32 v2, v1, 16, 1
	v_add3_u32 v76, v1, v2, s15
                                        ; implicit-def: $vgpr1
; %bb.167:                              ;   in Loop: Header=BB188_43 Depth=1
	s_andn2_saveexec_b64 s[6:7], s[0:1]
; %bb.168:                              ;   in Loop: Header=BB188_43 Depth=1
	v_or_b32_e32 v2, 0x10000, v1
	v_cmp_eq_u32_sdwa s[0:1], v1, v29 src0_sel:WORD_0 src1_sel:DWORD
	v_cndmask_b32_e64 v76, v2, v1, s[0:1]
; %bb.169:                              ;   in Loop: Header=BB188_43 Depth=1
	s_or_b64 exec, exec, s[6:7]
	v_lshlrev_b32_e32 v1, 16, v5
	v_mul_f32_e32 v1, v64, v1
	v_and_b32_e32 v2, 0x7f800000, v1
	v_cmp_ne_u32_e64 s[0:1], s14, v2
                                        ; implicit-def: $vgpr77
	s_and_saveexec_b64 s[6:7], s[0:1]
	s_xor_b64 s[0:1], exec, s[6:7]
; %bb.170:                              ;   in Loop: Header=BB188_43 Depth=1
	v_bfe_u32 v2, v1, 16, 1
	v_add3_u32 v77, v1, v2, s15
                                        ; implicit-def: $vgpr1
; %bb.171:                              ;   in Loop: Header=BB188_43 Depth=1
	s_andn2_saveexec_b64 s[6:7], s[0:1]
; %bb.172:                              ;   in Loop: Header=BB188_43 Depth=1
	v_or_b32_e32 v2, 0x10000, v1
	v_cmp_eq_u32_sdwa s[0:1], v1, v29 src0_sel:WORD_0 src1_sel:DWORD
	v_cndmask_b32_e64 v77, v2, v1, s[0:1]
; %bb.173:                              ;   in Loop: Header=BB188_43 Depth=1
	s_or_b64 exec, exec, s[6:7]
	v_lshlrev_b32_e32 v0, 16, v0
	v_mul_f32_e32 v0, v65, v0
	v_and_b32_e32 v1, 0x7f800000, v0
	v_cmp_ne_u32_e64 s[0:1], s14, v1
                                        ; implicit-def: $vgpr78
	s_and_saveexec_b64 s[6:7], s[0:1]
	s_xor_b64 s[0:1], exec, s[6:7]
; %bb.174:                              ;   in Loop: Header=BB188_43 Depth=1
	v_bfe_u32 v1, v0, 16, 1
	v_add3_u32 v78, v0, v1, s15
                                        ; implicit-def: $vgpr0
; %bb.175:                              ;   in Loop: Header=BB188_43 Depth=1
	s_andn2_saveexec_b64 s[6:7], s[0:1]
; %bb.176:                              ;   in Loop: Header=BB188_43 Depth=1
	v_or_b32_e32 v1, 0x10000, v0
	v_cmp_eq_u32_sdwa s[0:1], v0, v29 src0_sel:WORD_0 src1_sel:DWORD
	v_cndmask_b32_e64 v78, v1, v0, s[0:1]
; %bb.177:                              ;   in Loop: Header=BB188_43 Depth=1
	s_or_b64 exec, exec, s[6:7]
	global_load_dwordx4 v[2:5], v[6:7], off offset:3072
	s_waitcnt vmcnt(0)
	v_lshrrev_b32_e32 v7, 16, v2
	v_lshrrev_b32_e32 v11, 16, v3
	;; [unrolled: 1-line block ×4, first 2 shown]
	s_and_saveexec_b64 s[6:7], vcc
	s_cbranch_execz .LBB188_179
; %bb.178:                              ;   in Loop: Header=BB188_43 Depth=1
	v_cmp_gt_i32_e64 s[0:1], s33, v47
	v_cndmask_b32_e64 v2, 0, v2, s[0:1]
	v_cmp_gt_i32_e64 s[0:1], s33, v54
	v_cndmask_b32_e64 v7, 0, v7, s[0:1]
	;; [unrolled: 2-line block ×8, first 2 shown]
.LBB188_179:                            ;   in Loop: Header=BB188_43 Depth=1
	s_or_b64 exec, exec, s[6:7]
	v_lshlrev_b32_e32 v2, 16, v2
	v_mul_f32_e32 v2, v57, v2
	v_and_b32_e32 v6, 0x7f800000, v2
	v_cmp_ne_u32_e64 s[0:1], s14, v6
                                        ; implicit-def: $vgpr6
	s_and_saveexec_b64 s[6:7], s[0:1]
	s_xor_b64 s[0:1], exec, s[6:7]
; %bb.180:                              ;   in Loop: Header=BB188_43 Depth=1
	v_bfe_u32 v6, v2, 16, 1
	v_add3_u32 v6, v2, v6, s15
                                        ; implicit-def: $vgpr2
; %bb.181:                              ;   in Loop: Header=BB188_43 Depth=1
	s_andn2_saveexec_b64 s[6:7], s[0:1]
; %bb.182:                              ;   in Loop: Header=BB188_43 Depth=1
	v_or_b32_e32 v6, 0x10000, v2
	v_cmp_eq_u32_sdwa s[0:1], v2, v29 src0_sel:WORD_0 src1_sel:DWORD
	v_cndmask_b32_e64 v6, v6, v2, s[0:1]
; %bb.183:                              ;   in Loop: Header=BB188_43 Depth=1
	s_or_b64 exec, exec, s[6:7]
	v_lshlrev_b32_e32 v2, 16, v7
	v_mul_f32_e32 v2, v58, v2
	v_and_b32_e32 v7, 0x7f800000, v2
	v_cmp_ne_u32_e64 s[0:1], s14, v7
                                        ; implicit-def: $vgpr7
	s_and_saveexec_b64 s[6:7], s[0:1]
	s_xor_b64 s[0:1], exec, s[6:7]
; %bb.184:                              ;   in Loop: Header=BB188_43 Depth=1
	v_bfe_u32 v7, v2, 16, 1
	v_add3_u32 v7, v2, v7, s15
                                        ; implicit-def: $vgpr2
; %bb.185:                              ;   in Loop: Header=BB188_43 Depth=1
	s_andn2_saveexec_b64 s[6:7], s[0:1]
; %bb.186:                              ;   in Loop: Header=BB188_43 Depth=1
	v_or_b32_e32 v7, 0x10000, v2
	v_cmp_eq_u32_sdwa s[0:1], v2, v29 src0_sel:WORD_0 src1_sel:DWORD
	v_cndmask_b32_e64 v7, v7, v2, s[0:1]
; %bb.187:                              ;   in Loop: Header=BB188_43 Depth=1
	s_or_b64 exec, exec, s[6:7]
	v_lshlrev_b32_e32 v2, 16, v3
	v_mul_f32_e32 v2, v59, v2
	v_and_b32_e32 v3, 0x7f800000, v2
	v_cmp_ne_u32_e64 s[0:1], s14, v3
                                        ; implicit-def: $vgpr79
	s_and_saveexec_b64 s[6:7], s[0:1]
	s_xor_b64 s[0:1], exec, s[6:7]
; %bb.188:                              ;   in Loop: Header=BB188_43 Depth=1
	v_bfe_u32 v3, v2, 16, 1
	v_add3_u32 v79, v2, v3, s15
                                        ; implicit-def: $vgpr2
; %bb.189:                              ;   in Loop: Header=BB188_43 Depth=1
	s_andn2_saveexec_b64 s[6:7], s[0:1]
; %bb.190:                              ;   in Loop: Header=BB188_43 Depth=1
	v_or_b32_e32 v3, 0x10000, v2
	v_cmp_eq_u32_sdwa s[0:1], v2, v29 src0_sel:WORD_0 src1_sel:DWORD
	v_cndmask_b32_e64 v79, v3, v2, s[0:1]
; %bb.191:                              ;   in Loop: Header=BB188_43 Depth=1
	s_or_b64 exec, exec, s[6:7]
	v_lshlrev_b32_e32 v2, 16, v11
	v_mul_f32_e32 v2, v60, v2
	v_and_b32_e32 v3, 0x7f800000, v2
	v_cmp_ne_u32_e64 s[0:1], s14, v3
                                        ; implicit-def: $vgpr80
	s_and_saveexec_b64 s[6:7], s[0:1]
	s_xor_b64 s[0:1], exec, s[6:7]
; %bb.192:                              ;   in Loop: Header=BB188_43 Depth=1
	v_bfe_u32 v3, v2, 16, 1
	v_add3_u32 v80, v2, v3, s15
                                        ; implicit-def: $vgpr2
; %bb.193:                              ;   in Loop: Header=BB188_43 Depth=1
	s_andn2_saveexec_b64 s[6:7], s[0:1]
; %bb.194:                              ;   in Loop: Header=BB188_43 Depth=1
	v_or_b32_e32 v3, 0x10000, v2
	v_cmp_eq_u32_sdwa s[0:1], v2, v29 src0_sel:WORD_0 src1_sel:DWORD
	v_cndmask_b32_e64 v80, v3, v2, s[0:1]
; %bb.195:                              ;   in Loop: Header=BB188_43 Depth=1
	s_or_b64 exec, exec, s[6:7]
	v_lshlrev_b32_e32 v2, 16, v4
	v_mul_f32_e32 v2, v62, v2
	v_and_b32_e32 v3, 0x7f800000, v2
	v_cmp_ne_u32_e64 s[0:1], s14, v3
                                        ; implicit-def: $vgpr81
	s_and_saveexec_b64 s[6:7], s[0:1]
	s_xor_b64 s[0:1], exec, s[6:7]
; %bb.196:                              ;   in Loop: Header=BB188_43 Depth=1
	v_bfe_u32 v3, v2, 16, 1
	v_add3_u32 v81, v2, v3, s15
                                        ; implicit-def: $vgpr2
; %bb.197:                              ;   in Loop: Header=BB188_43 Depth=1
	s_andn2_saveexec_b64 s[6:7], s[0:1]
; %bb.198:                              ;   in Loop: Header=BB188_43 Depth=1
	v_or_b32_e32 v3, 0x10000, v2
	v_cmp_eq_u32_sdwa s[0:1], v2, v29 src0_sel:WORD_0 src1_sel:DWORD
	v_cndmask_b32_e64 v81, v3, v2, s[0:1]
; %bb.199:                              ;   in Loop: Header=BB188_43 Depth=1
	s_or_b64 exec, exec, s[6:7]
	v_lshlrev_b32_e32 v1, 16, v1
	v_mul_f32_e32 v1, v63, v1
	v_and_b32_e32 v2, 0x7f800000, v1
	v_cmp_ne_u32_e64 s[0:1], s14, v2
                                        ; implicit-def: $vgpr82
	s_and_saveexec_b64 s[6:7], s[0:1]
	s_xor_b64 s[0:1], exec, s[6:7]
; %bb.200:                              ;   in Loop: Header=BB188_43 Depth=1
	v_bfe_u32 v2, v1, 16, 1
	v_add3_u32 v82, v1, v2, s15
                                        ; implicit-def: $vgpr1
; %bb.201:                              ;   in Loop: Header=BB188_43 Depth=1
	s_andn2_saveexec_b64 s[6:7], s[0:1]
; %bb.202:                              ;   in Loop: Header=BB188_43 Depth=1
	v_or_b32_e32 v2, 0x10000, v1
	v_cmp_eq_u32_sdwa s[0:1], v1, v29 src0_sel:WORD_0 src1_sel:DWORD
	v_cndmask_b32_e64 v82, v2, v1, s[0:1]
; %bb.203:                              ;   in Loop: Header=BB188_43 Depth=1
	s_or_b64 exec, exec, s[6:7]
	v_lshlrev_b32_e32 v1, 16, v5
	v_mul_f32_e32 v1, v64, v1
	v_and_b32_e32 v2, 0x7f800000, v1
	v_cmp_ne_u32_e64 s[0:1], s14, v2
                                        ; implicit-def: $vgpr83
	s_and_saveexec_b64 s[6:7], s[0:1]
	s_xor_b64 s[0:1], exec, s[6:7]
; %bb.204:                              ;   in Loop: Header=BB188_43 Depth=1
	v_bfe_u32 v2, v1, 16, 1
	v_add3_u32 v83, v1, v2, s15
                                        ; implicit-def: $vgpr1
; %bb.205:                              ;   in Loop: Header=BB188_43 Depth=1
	s_andn2_saveexec_b64 s[6:7], s[0:1]
; %bb.206:                              ;   in Loop: Header=BB188_43 Depth=1
	v_or_b32_e32 v2, 0x10000, v1
	v_cmp_eq_u32_sdwa s[0:1], v1, v29 src0_sel:WORD_0 src1_sel:DWORD
	v_cndmask_b32_e64 v83, v2, v1, s[0:1]
; %bb.207:                              ;   in Loop: Header=BB188_43 Depth=1
	s_or_b64 exec, exec, s[6:7]
	v_lshlrev_b32_e32 v0, 16, v0
	v_mul_f32_e32 v0, v65, v0
	v_and_b32_e32 v1, 0x7f800000, v0
	v_cmp_ne_u32_e64 s[0:1], s14, v1
                                        ; implicit-def: $vgpr84
	s_and_saveexec_b64 s[6:7], s[0:1]
	s_xor_b64 s[0:1], exec, s[6:7]
; %bb.208:                              ;   in Loop: Header=BB188_43 Depth=1
	v_bfe_u32 v1, v0, 16, 1
	v_add3_u32 v84, v0, v1, s15
                                        ; implicit-def: $vgpr0
; %bb.209:                              ;   in Loop: Header=BB188_43 Depth=1
	s_andn2_saveexec_b64 s[6:7], s[0:1]
; %bb.210:                              ;   in Loop: Header=BB188_43 Depth=1
	v_or_b32_e32 v1, 0x10000, v0
	v_cmp_eq_u32_sdwa s[0:1], v0, v29 src0_sel:WORD_0 src1_sel:DWORD
	v_cndmask_b32_e64 v84, v1, v0, s[0:1]
; %bb.211:                              ;   in Loop: Header=BB188_43 Depth=1
	s_or_b64 exec, exec, s[6:7]
	buffer_load_dword v0, off, s[44:47], 0 offset:8 ; 4-byte Folded Reload
	s_waitcnt vmcnt(0)
	v_add_co_u32_e64 v0, s[0:1], v55, v0
	v_addc_co_u32_e64 v1, s[0:1], 0, v56, s[0:1]
	global_load_dwordx4 v[2:5], v[0:1], off
	s_waitcnt vmcnt(0)
	v_lshrrev_b32_e32 v26, 16, v2
	v_lshrrev_b32_e32 v11, 16, v3
	;; [unrolled: 1-line block ×4, first 2 shown]
	s_and_saveexec_b64 s[6:7], vcc
	s_cbranch_execz .LBB188_213
; %bb.212:                              ;   in Loop: Header=BB188_43 Depth=1
	v_cmp_gt_i32_e64 s[0:1], s33, v47
	v_cndmask_b32_e64 v2, 0, v2, s[0:1]
	v_cmp_gt_i32_e64 s[0:1], s33, v54
	v_cndmask_b32_e64 v26, 0, v26, s[0:1]
	;; [unrolled: 2-line block ×8, first 2 shown]
.LBB188_213:                            ;   in Loop: Header=BB188_43 Depth=1
	s_or_b64 exec, exec, s[6:7]
	v_lshlrev_b32_e32 v2, 16, v2
	v_mul_f32_e32 v2, v57, v2
	v_and_b32_e32 v8, 0x7f800000, v2
	v_cmp_ne_u32_e64 s[0:1], s14, v8
                                        ; implicit-def: $vgpr85
	s_and_saveexec_b64 s[6:7], s[0:1]
	s_xor_b64 s[0:1], exec, s[6:7]
; %bb.214:                              ;   in Loop: Header=BB188_43 Depth=1
	v_bfe_u32 v8, v2, 16, 1
	v_add3_u32 v85, v2, v8, s15
                                        ; implicit-def: $vgpr2
; %bb.215:                              ;   in Loop: Header=BB188_43 Depth=1
	s_andn2_saveexec_b64 s[6:7], s[0:1]
; %bb.216:                              ;   in Loop: Header=BB188_43 Depth=1
	v_or_b32_e32 v8, 0x10000, v2
	v_cmp_eq_u32_sdwa s[0:1], v2, v29 src0_sel:WORD_0 src1_sel:DWORD
	v_cndmask_b32_e64 v85, v8, v2, s[0:1]
; %bb.217:                              ;   in Loop: Header=BB188_43 Depth=1
	s_or_b64 exec, exec, s[6:7]
	v_lshlrev_b32_e32 v2, 16, v26
	v_mul_f32_e32 v2, v58, v2
	v_and_b32_e32 v8, 0x7f800000, v2
	v_cmp_ne_u32_e64 s[0:1], s14, v8
                                        ; implicit-def: $vgpr86
	s_and_saveexec_b64 s[6:7], s[0:1]
	s_xor_b64 s[0:1], exec, s[6:7]
; %bb.218:                              ;   in Loop: Header=BB188_43 Depth=1
	v_bfe_u32 v8, v2, 16, 1
	v_add3_u32 v86, v2, v8, s15
                                        ; implicit-def: $vgpr2
; %bb.219:                              ;   in Loop: Header=BB188_43 Depth=1
	s_andn2_saveexec_b64 s[6:7], s[0:1]
; %bb.220:                              ;   in Loop: Header=BB188_43 Depth=1
	v_or_b32_e32 v8, 0x10000, v2
	v_cmp_eq_u32_sdwa s[0:1], v2, v29 src0_sel:WORD_0 src1_sel:DWORD
	v_cndmask_b32_e64 v86, v8, v2, s[0:1]
; %bb.221:                              ;   in Loop: Header=BB188_43 Depth=1
	s_or_b64 exec, exec, s[6:7]
	v_lshlrev_b32_e32 v2, 16, v3
	v_mul_f32_e32 v2, v59, v2
	v_and_b32_e32 v3, 0x7f800000, v2
	v_cmp_ne_u32_e64 s[0:1], s14, v3
                                        ; implicit-def: $vgpr87
	s_and_saveexec_b64 s[6:7], s[0:1]
	s_xor_b64 s[0:1], exec, s[6:7]
; %bb.222:                              ;   in Loop: Header=BB188_43 Depth=1
	v_bfe_u32 v3, v2, 16, 1
	v_add3_u32 v87, v2, v3, s15
                                        ; implicit-def: $vgpr2
; %bb.223:                              ;   in Loop: Header=BB188_43 Depth=1
	s_andn2_saveexec_b64 s[6:7], s[0:1]
; %bb.224:                              ;   in Loop: Header=BB188_43 Depth=1
	v_or_b32_e32 v3, 0x10000, v2
	v_cmp_eq_u32_sdwa s[0:1], v2, v29 src0_sel:WORD_0 src1_sel:DWORD
	v_cndmask_b32_e64 v87, v3, v2, s[0:1]
; %bb.225:                              ;   in Loop: Header=BB188_43 Depth=1
	s_or_b64 exec, exec, s[6:7]
	v_lshlrev_b32_e32 v2, 16, v11
	v_mul_f32_e32 v2, v60, v2
	v_and_b32_e32 v3, 0x7f800000, v2
	v_cmp_ne_u32_e64 s[0:1], s14, v3
                                        ; implicit-def: $vgpr88
	s_and_saveexec_b64 s[6:7], s[0:1]
	s_xor_b64 s[0:1], exec, s[6:7]
; %bb.226:                              ;   in Loop: Header=BB188_43 Depth=1
	v_bfe_u32 v3, v2, 16, 1
	v_add3_u32 v88, v2, v3, s15
                                        ; implicit-def: $vgpr2
; %bb.227:                              ;   in Loop: Header=BB188_43 Depth=1
	s_andn2_saveexec_b64 s[6:7], s[0:1]
; %bb.228:                              ;   in Loop: Header=BB188_43 Depth=1
	v_or_b32_e32 v3, 0x10000, v2
	v_cmp_eq_u32_sdwa s[0:1], v2, v29 src0_sel:WORD_0 src1_sel:DWORD
	v_cndmask_b32_e64 v88, v3, v2, s[0:1]
; %bb.229:                              ;   in Loop: Header=BB188_43 Depth=1
	s_or_b64 exec, exec, s[6:7]
	v_lshlrev_b32_e32 v2, 16, v4
	v_mul_f32_e32 v2, v62, v2
	v_and_b32_e32 v3, 0x7f800000, v2
	v_cmp_ne_u32_e64 s[0:1], s14, v3
                                        ; implicit-def: $vgpr89
	s_and_saveexec_b64 s[6:7], s[0:1]
	s_xor_b64 s[0:1], exec, s[6:7]
; %bb.230:                              ;   in Loop: Header=BB188_43 Depth=1
	v_bfe_u32 v3, v2, 16, 1
	v_add3_u32 v89, v2, v3, s15
                                        ; implicit-def: $vgpr2
; %bb.231:                              ;   in Loop: Header=BB188_43 Depth=1
	s_andn2_saveexec_b64 s[6:7], s[0:1]
; %bb.232:                              ;   in Loop: Header=BB188_43 Depth=1
	v_or_b32_e32 v3, 0x10000, v2
	v_cmp_eq_u32_sdwa s[0:1], v2, v29 src0_sel:WORD_0 src1_sel:DWORD
	v_cndmask_b32_e64 v89, v3, v2, s[0:1]
; %bb.233:                              ;   in Loop: Header=BB188_43 Depth=1
	s_or_b64 exec, exec, s[6:7]
	v_lshlrev_b32_e32 v1, 16, v1
	v_mul_f32_e32 v1, v63, v1
	v_and_b32_e32 v2, 0x7f800000, v1
	v_cmp_ne_u32_e64 s[0:1], s14, v2
                                        ; implicit-def: $vgpr90
	s_and_saveexec_b64 s[6:7], s[0:1]
	s_xor_b64 s[0:1], exec, s[6:7]
; %bb.234:                              ;   in Loop: Header=BB188_43 Depth=1
	v_bfe_u32 v2, v1, 16, 1
	v_add3_u32 v90, v1, v2, s15
                                        ; implicit-def: $vgpr1
; %bb.235:                              ;   in Loop: Header=BB188_43 Depth=1
	s_andn2_saveexec_b64 s[6:7], s[0:1]
; %bb.236:                              ;   in Loop: Header=BB188_43 Depth=1
	v_or_b32_e32 v2, 0x10000, v1
	v_cmp_eq_u32_sdwa s[0:1], v1, v29 src0_sel:WORD_0 src1_sel:DWORD
	v_cndmask_b32_e64 v90, v2, v1, s[0:1]
; %bb.237:                              ;   in Loop: Header=BB188_43 Depth=1
	s_or_b64 exec, exec, s[6:7]
	v_lshlrev_b32_e32 v1, 16, v5
	v_mul_f32_e32 v1, v64, v1
	v_and_b32_e32 v2, 0x7f800000, v1
	v_cmp_ne_u32_e64 s[0:1], s14, v2
                                        ; implicit-def: $vgpr91
	s_and_saveexec_b64 s[6:7], s[0:1]
	s_xor_b64 s[0:1], exec, s[6:7]
; %bb.238:                              ;   in Loop: Header=BB188_43 Depth=1
	v_bfe_u32 v2, v1, 16, 1
	v_add3_u32 v91, v1, v2, s15
                                        ; implicit-def: $vgpr1
; %bb.239:                              ;   in Loop: Header=BB188_43 Depth=1
	s_andn2_saveexec_b64 s[6:7], s[0:1]
; %bb.240:                              ;   in Loop: Header=BB188_43 Depth=1
	v_or_b32_e32 v2, 0x10000, v1
	v_cmp_eq_u32_sdwa s[0:1], v1, v29 src0_sel:WORD_0 src1_sel:DWORD
	v_cndmask_b32_e64 v91, v2, v1, s[0:1]
; %bb.241:                              ;   in Loop: Header=BB188_43 Depth=1
	s_or_b64 exec, exec, s[6:7]
	v_lshlrev_b32_e32 v0, 16, v0
	v_mul_f32_e32 v0, v65, v0
	v_and_b32_e32 v1, 0x7f800000, v0
	v_cmp_ne_u32_e64 s[0:1], s14, v1
                                        ; implicit-def: $vgpr92
	s_and_saveexec_b64 s[6:7], s[0:1]
	s_xor_b64 s[0:1], exec, s[6:7]
; %bb.242:                              ;   in Loop: Header=BB188_43 Depth=1
	v_bfe_u32 v1, v0, 16, 1
	v_add3_u32 v92, v0, v1, s15
                                        ; implicit-def: $vgpr0
; %bb.243:                              ;   in Loop: Header=BB188_43 Depth=1
	s_andn2_saveexec_b64 s[6:7], s[0:1]
; %bb.244:                              ;   in Loop: Header=BB188_43 Depth=1
	v_or_b32_e32 v1, 0x10000, v0
	v_cmp_eq_u32_sdwa s[0:1], v0, v29 src0_sel:WORD_0 src1_sel:DWORD
	v_cndmask_b32_e64 v92, v1, v0, s[0:1]
; %bb.245:                              ;   in Loop: Header=BB188_43 Depth=1
	s_or_b64 exec, exec, s[6:7]
	buffer_load_dword v0, off, s[44:47], 0 offset:12 ; 4-byte Folded Reload
	s_waitcnt vmcnt(0)
	v_add_co_u32_e64 v0, s[0:1], v55, v0
	v_addc_co_u32_e64 v1, s[0:1], 0, v56, s[0:1]
	global_load_dwordx4 v[2:5], v[0:1], off
	s_waitcnt vmcnt(0)
	v_lshrrev_b32_e32 v26, 16, v2
	v_lshrrev_b32_e32 v11, 16, v3
	v_lshrrev_b32_e32 v1, 16, v4
	v_lshrrev_b32_e32 v0, 16, v5
	s_and_saveexec_b64 s[6:7], vcc
	s_cbranch_execz .LBB188_247
; %bb.246:                              ;   in Loop: Header=BB188_43 Depth=1
	v_cmp_gt_i32_e64 s[0:1], s33, v47
	v_cndmask_b32_e64 v2, 0, v2, s[0:1]
	v_cmp_gt_i32_e64 s[0:1], s33, v54
	v_cndmask_b32_e64 v26, 0, v26, s[0:1]
	;; [unrolled: 2-line block ×8, first 2 shown]
.LBB188_247:                            ;   in Loop: Header=BB188_43 Depth=1
	s_or_b64 exec, exec, s[6:7]
	v_lshlrev_b32_e32 v2, 16, v2
	v_mul_f32_e32 v2, v57, v2
	v_and_b32_e32 v8, 0x7f800000, v2
	v_cmp_ne_u32_e64 s[0:1], s14, v8
                                        ; implicit-def: $vgpr93
	s_and_saveexec_b64 s[6:7], s[0:1]
	s_xor_b64 s[0:1], exec, s[6:7]
; %bb.248:                              ;   in Loop: Header=BB188_43 Depth=1
	v_bfe_u32 v8, v2, 16, 1
	v_add3_u32 v93, v2, v8, s15
                                        ; implicit-def: $vgpr2
; %bb.249:                              ;   in Loop: Header=BB188_43 Depth=1
	s_andn2_saveexec_b64 s[6:7], s[0:1]
; %bb.250:                              ;   in Loop: Header=BB188_43 Depth=1
	v_or_b32_e32 v8, 0x10000, v2
	v_cmp_eq_u32_sdwa s[0:1], v2, v29 src0_sel:WORD_0 src1_sel:DWORD
	v_cndmask_b32_e64 v93, v8, v2, s[0:1]
; %bb.251:                              ;   in Loop: Header=BB188_43 Depth=1
	s_or_b64 exec, exec, s[6:7]
	v_lshlrev_b32_e32 v2, 16, v26
	v_mul_f32_e32 v2, v58, v2
	v_and_b32_e32 v8, 0x7f800000, v2
	v_cmp_ne_u32_e64 s[0:1], s14, v8
                                        ; implicit-def: $vgpr94
	s_and_saveexec_b64 s[6:7], s[0:1]
	s_xor_b64 s[0:1], exec, s[6:7]
; %bb.252:                              ;   in Loop: Header=BB188_43 Depth=1
	v_bfe_u32 v8, v2, 16, 1
	v_add3_u32 v94, v2, v8, s15
                                        ; implicit-def: $vgpr2
; %bb.253:                              ;   in Loop: Header=BB188_43 Depth=1
	s_andn2_saveexec_b64 s[6:7], s[0:1]
; %bb.254:                              ;   in Loop: Header=BB188_43 Depth=1
	v_or_b32_e32 v8, 0x10000, v2
	v_cmp_eq_u32_sdwa s[0:1], v2, v29 src0_sel:WORD_0 src1_sel:DWORD
	v_cndmask_b32_e64 v94, v8, v2, s[0:1]
; %bb.255:                              ;   in Loop: Header=BB188_43 Depth=1
	s_or_b64 exec, exec, s[6:7]
	v_lshlrev_b32_e32 v2, 16, v3
	v_mul_f32_e32 v2, v59, v2
	v_and_b32_e32 v3, 0x7f800000, v2
	v_cmp_ne_u32_e64 s[0:1], s14, v3
                                        ; implicit-def: $vgpr95
	s_and_saveexec_b64 s[6:7], s[0:1]
	s_xor_b64 s[0:1], exec, s[6:7]
; %bb.256:                              ;   in Loop: Header=BB188_43 Depth=1
	v_bfe_u32 v3, v2, 16, 1
	v_add3_u32 v95, v2, v3, s15
                                        ; implicit-def: $vgpr2
; %bb.257:                              ;   in Loop: Header=BB188_43 Depth=1
	s_andn2_saveexec_b64 s[6:7], s[0:1]
; %bb.258:                              ;   in Loop: Header=BB188_43 Depth=1
	v_or_b32_e32 v3, 0x10000, v2
	v_cmp_eq_u32_sdwa s[0:1], v2, v29 src0_sel:WORD_0 src1_sel:DWORD
	v_cndmask_b32_e64 v95, v3, v2, s[0:1]
; %bb.259:                              ;   in Loop: Header=BB188_43 Depth=1
	s_or_b64 exec, exec, s[6:7]
	v_lshlrev_b32_e32 v2, 16, v11
	v_mul_f32_e32 v2, v60, v2
	v_and_b32_e32 v3, 0x7f800000, v2
	v_cmp_ne_u32_e64 s[0:1], s14, v3
                                        ; implicit-def: $vgpr96
	s_and_saveexec_b64 s[6:7], s[0:1]
	s_xor_b64 s[0:1], exec, s[6:7]
; %bb.260:                              ;   in Loop: Header=BB188_43 Depth=1
	v_bfe_u32 v3, v2, 16, 1
	v_add3_u32 v96, v2, v3, s15
                                        ; implicit-def: $vgpr2
; %bb.261:                              ;   in Loop: Header=BB188_43 Depth=1
	s_andn2_saveexec_b64 s[6:7], s[0:1]
; %bb.262:                              ;   in Loop: Header=BB188_43 Depth=1
	v_or_b32_e32 v3, 0x10000, v2
	v_cmp_eq_u32_sdwa s[0:1], v2, v29 src0_sel:WORD_0 src1_sel:DWORD
	v_cndmask_b32_e64 v96, v3, v2, s[0:1]
; %bb.263:                              ;   in Loop: Header=BB188_43 Depth=1
	s_or_b64 exec, exec, s[6:7]
	v_lshlrev_b32_e32 v2, 16, v4
	v_mul_f32_e32 v2, v62, v2
	v_and_b32_e32 v3, 0x7f800000, v2
	v_cmp_ne_u32_e64 s[0:1], s14, v3
                                        ; implicit-def: $vgpr97
	s_and_saveexec_b64 s[6:7], s[0:1]
	s_xor_b64 s[0:1], exec, s[6:7]
; %bb.264:                              ;   in Loop: Header=BB188_43 Depth=1
	v_bfe_u32 v3, v2, 16, 1
	v_add3_u32 v97, v2, v3, s15
                                        ; implicit-def: $vgpr2
; %bb.265:                              ;   in Loop: Header=BB188_43 Depth=1
	s_andn2_saveexec_b64 s[6:7], s[0:1]
; %bb.266:                              ;   in Loop: Header=BB188_43 Depth=1
	v_or_b32_e32 v3, 0x10000, v2
	v_cmp_eq_u32_sdwa s[0:1], v2, v29 src0_sel:WORD_0 src1_sel:DWORD
	v_cndmask_b32_e64 v97, v3, v2, s[0:1]
; %bb.267:                              ;   in Loop: Header=BB188_43 Depth=1
	s_or_b64 exec, exec, s[6:7]
	v_lshlrev_b32_e32 v1, 16, v1
	v_mul_f32_e32 v1, v63, v1
	v_and_b32_e32 v2, 0x7f800000, v1
	v_cmp_ne_u32_e64 s[0:1], s14, v2
                                        ; implicit-def: $vgpr98
	s_and_saveexec_b64 s[6:7], s[0:1]
	s_xor_b64 s[0:1], exec, s[6:7]
; %bb.268:                              ;   in Loop: Header=BB188_43 Depth=1
	v_bfe_u32 v2, v1, 16, 1
	v_add3_u32 v98, v1, v2, s15
                                        ; implicit-def: $vgpr1
; %bb.269:                              ;   in Loop: Header=BB188_43 Depth=1
	s_andn2_saveexec_b64 s[6:7], s[0:1]
; %bb.270:                              ;   in Loop: Header=BB188_43 Depth=1
	v_or_b32_e32 v2, 0x10000, v1
	v_cmp_eq_u32_sdwa s[0:1], v1, v29 src0_sel:WORD_0 src1_sel:DWORD
	v_cndmask_b32_e64 v98, v2, v1, s[0:1]
; %bb.271:                              ;   in Loop: Header=BB188_43 Depth=1
	s_or_b64 exec, exec, s[6:7]
	v_lshlrev_b32_e32 v1, 16, v5
	v_mul_f32_e32 v1, v64, v1
	v_and_b32_e32 v2, 0x7f800000, v1
	v_cmp_ne_u32_e64 s[0:1], s14, v2
                                        ; implicit-def: $vgpr99
	s_and_saveexec_b64 s[6:7], s[0:1]
	s_xor_b64 s[0:1], exec, s[6:7]
; %bb.272:                              ;   in Loop: Header=BB188_43 Depth=1
	v_bfe_u32 v2, v1, 16, 1
	v_add3_u32 v99, v1, v2, s15
                                        ; implicit-def: $vgpr1
; %bb.273:                              ;   in Loop: Header=BB188_43 Depth=1
	s_andn2_saveexec_b64 s[6:7], s[0:1]
; %bb.274:                              ;   in Loop: Header=BB188_43 Depth=1
	v_or_b32_e32 v2, 0x10000, v1
	v_cmp_eq_u32_sdwa s[0:1], v1, v29 src0_sel:WORD_0 src1_sel:DWORD
	v_cndmask_b32_e64 v99, v2, v1, s[0:1]
; %bb.275:                              ;   in Loop: Header=BB188_43 Depth=1
	s_or_b64 exec, exec, s[6:7]
	v_lshlrev_b32_e32 v0, 16, v0
	v_mul_f32_e32 v0, v65, v0
	v_and_b32_e32 v1, 0x7f800000, v0
	v_cmp_ne_u32_e64 s[0:1], s14, v1
                                        ; implicit-def: $vgpr100
	s_and_saveexec_b64 s[6:7], s[0:1]
	s_xor_b64 s[0:1], exec, s[6:7]
; %bb.276:                              ;   in Loop: Header=BB188_43 Depth=1
	v_bfe_u32 v1, v0, 16, 1
	v_add3_u32 v100, v0, v1, s15
                                        ; implicit-def: $vgpr0
; %bb.277:                              ;   in Loop: Header=BB188_43 Depth=1
	s_andn2_saveexec_b64 s[6:7], s[0:1]
; %bb.278:                              ;   in Loop: Header=BB188_43 Depth=1
	v_or_b32_e32 v1, 0x10000, v0
	v_cmp_eq_u32_sdwa s[0:1], v0, v29 src0_sel:WORD_0 src1_sel:DWORD
	v_cndmask_b32_e64 v100, v1, v0, s[0:1]
; %bb.279:                              ;   in Loop: Header=BB188_43 Depth=1
	s_or_b64 exec, exec, s[6:7]
	buffer_load_dword v0, off, s[44:47], 0 offset:16 ; 4-byte Folded Reload
	s_waitcnt vmcnt(0)
	v_add_co_u32_e64 v0, s[0:1], v55, v0
	v_addc_co_u32_e64 v1, s[0:1], 0, v56, s[0:1]
	global_load_dwordx4 v[2:5], v[0:1], off
	s_waitcnt vmcnt(0)
	v_lshrrev_b32_e32 v26, 16, v2
	v_lshrrev_b32_e32 v11, 16, v3
	;; [unrolled: 1-line block ×4, first 2 shown]
	s_and_saveexec_b64 s[6:7], vcc
	s_cbranch_execz .LBB188_281
; %bb.280:                              ;   in Loop: Header=BB188_43 Depth=1
	v_cmp_gt_i32_e64 s[0:1], s33, v47
	v_cndmask_b32_e64 v2, 0, v2, s[0:1]
	v_cmp_gt_i32_e64 s[0:1], s33, v54
	v_cndmask_b32_e64 v26, 0, v26, s[0:1]
	;; [unrolled: 2-line block ×8, first 2 shown]
.LBB188_281:                            ;   in Loop: Header=BB188_43 Depth=1
	s_or_b64 exec, exec, s[6:7]
	v_lshlrev_b32_e32 v2, 16, v2
	v_mul_f32_e32 v2, v57, v2
	v_and_b32_e32 v8, 0x7f800000, v2
	v_cmp_ne_u32_e64 s[0:1], s14, v8
                                        ; implicit-def: $vgpr101
	s_and_saveexec_b64 s[6:7], s[0:1]
	s_xor_b64 s[0:1], exec, s[6:7]
; %bb.282:                              ;   in Loop: Header=BB188_43 Depth=1
	v_bfe_u32 v8, v2, 16, 1
	v_add3_u32 v101, v2, v8, s15
                                        ; implicit-def: $vgpr2
; %bb.283:                              ;   in Loop: Header=BB188_43 Depth=1
	s_andn2_saveexec_b64 s[6:7], s[0:1]
; %bb.284:                              ;   in Loop: Header=BB188_43 Depth=1
	v_or_b32_e32 v8, 0x10000, v2
	v_cmp_eq_u32_sdwa s[0:1], v2, v29 src0_sel:WORD_0 src1_sel:DWORD
	v_cndmask_b32_e64 v101, v8, v2, s[0:1]
; %bb.285:                              ;   in Loop: Header=BB188_43 Depth=1
	s_or_b64 exec, exec, s[6:7]
	v_lshlrev_b32_e32 v2, 16, v26
	v_mul_f32_e32 v2, v58, v2
	v_and_b32_e32 v8, 0x7f800000, v2
	v_cmp_ne_u32_e64 s[0:1], s14, v8
                                        ; implicit-def: $vgpr102
	s_and_saveexec_b64 s[6:7], s[0:1]
	s_xor_b64 s[0:1], exec, s[6:7]
; %bb.286:                              ;   in Loop: Header=BB188_43 Depth=1
	v_bfe_u32 v8, v2, 16, 1
	v_add3_u32 v102, v2, v8, s15
                                        ; implicit-def: $vgpr2
; %bb.287:                              ;   in Loop: Header=BB188_43 Depth=1
	s_andn2_saveexec_b64 s[6:7], s[0:1]
; %bb.288:                              ;   in Loop: Header=BB188_43 Depth=1
	v_or_b32_e32 v8, 0x10000, v2
	v_cmp_eq_u32_sdwa s[0:1], v2, v29 src0_sel:WORD_0 src1_sel:DWORD
	v_cndmask_b32_e64 v102, v8, v2, s[0:1]
; %bb.289:                              ;   in Loop: Header=BB188_43 Depth=1
	s_or_b64 exec, exec, s[6:7]
	v_lshlrev_b32_e32 v2, 16, v3
	v_mul_f32_e32 v2, v59, v2
	v_and_b32_e32 v3, 0x7f800000, v2
	v_cmp_ne_u32_e64 s[0:1], s14, v3
                                        ; implicit-def: $vgpr103
	s_and_saveexec_b64 s[6:7], s[0:1]
	s_xor_b64 s[0:1], exec, s[6:7]
; %bb.290:                              ;   in Loop: Header=BB188_43 Depth=1
	v_bfe_u32 v3, v2, 16, 1
	v_add3_u32 v103, v2, v3, s15
                                        ; implicit-def: $vgpr2
; %bb.291:                              ;   in Loop: Header=BB188_43 Depth=1
	s_andn2_saveexec_b64 s[6:7], s[0:1]
; %bb.292:                              ;   in Loop: Header=BB188_43 Depth=1
	v_or_b32_e32 v3, 0x10000, v2
	v_cmp_eq_u32_sdwa s[0:1], v2, v29 src0_sel:WORD_0 src1_sel:DWORD
	v_cndmask_b32_e64 v103, v3, v2, s[0:1]
; %bb.293:                              ;   in Loop: Header=BB188_43 Depth=1
	s_or_b64 exec, exec, s[6:7]
	v_lshlrev_b32_e32 v2, 16, v11
	v_mul_f32_e32 v2, v60, v2
	v_and_b32_e32 v3, 0x7f800000, v2
	v_cmp_ne_u32_e64 s[0:1], s14, v3
                                        ; implicit-def: $vgpr104
	s_and_saveexec_b64 s[6:7], s[0:1]
	s_xor_b64 s[0:1], exec, s[6:7]
; %bb.294:                              ;   in Loop: Header=BB188_43 Depth=1
	v_bfe_u32 v3, v2, 16, 1
	v_add3_u32 v104, v2, v3, s15
                                        ; implicit-def: $vgpr2
; %bb.295:                              ;   in Loop: Header=BB188_43 Depth=1
	s_andn2_saveexec_b64 s[6:7], s[0:1]
; %bb.296:                              ;   in Loop: Header=BB188_43 Depth=1
	v_or_b32_e32 v3, 0x10000, v2
	v_cmp_eq_u32_sdwa s[0:1], v2, v29 src0_sel:WORD_0 src1_sel:DWORD
	v_cndmask_b32_e64 v104, v3, v2, s[0:1]
; %bb.297:                              ;   in Loop: Header=BB188_43 Depth=1
	s_or_b64 exec, exec, s[6:7]
	v_lshlrev_b32_e32 v2, 16, v4
	v_mul_f32_e32 v2, v62, v2
	v_and_b32_e32 v3, 0x7f800000, v2
	v_cmp_ne_u32_e64 s[0:1], s14, v3
                                        ; implicit-def: $vgpr105
	s_and_saveexec_b64 s[6:7], s[0:1]
	s_xor_b64 s[0:1], exec, s[6:7]
; %bb.298:                              ;   in Loop: Header=BB188_43 Depth=1
	v_bfe_u32 v3, v2, 16, 1
	v_add3_u32 v105, v2, v3, s15
                                        ; implicit-def: $vgpr2
; %bb.299:                              ;   in Loop: Header=BB188_43 Depth=1
	s_andn2_saveexec_b64 s[6:7], s[0:1]
; %bb.300:                              ;   in Loop: Header=BB188_43 Depth=1
	v_or_b32_e32 v3, 0x10000, v2
	v_cmp_eq_u32_sdwa s[0:1], v2, v29 src0_sel:WORD_0 src1_sel:DWORD
	v_cndmask_b32_e64 v105, v3, v2, s[0:1]
; %bb.301:                              ;   in Loop: Header=BB188_43 Depth=1
	s_or_b64 exec, exec, s[6:7]
	v_lshlrev_b32_e32 v1, 16, v1
	v_mul_f32_e32 v1, v63, v1
	v_and_b32_e32 v2, 0x7f800000, v1
	v_cmp_ne_u32_e64 s[0:1], s14, v2
                                        ; implicit-def: $vgpr106
	s_and_saveexec_b64 s[6:7], s[0:1]
	s_xor_b64 s[0:1], exec, s[6:7]
; %bb.302:                              ;   in Loop: Header=BB188_43 Depth=1
	v_bfe_u32 v2, v1, 16, 1
	v_add3_u32 v106, v1, v2, s15
                                        ; implicit-def: $vgpr1
; %bb.303:                              ;   in Loop: Header=BB188_43 Depth=1
	s_andn2_saveexec_b64 s[6:7], s[0:1]
; %bb.304:                              ;   in Loop: Header=BB188_43 Depth=1
	v_or_b32_e32 v2, 0x10000, v1
	v_cmp_eq_u32_sdwa s[0:1], v1, v29 src0_sel:WORD_0 src1_sel:DWORD
	v_cndmask_b32_e64 v106, v2, v1, s[0:1]
; %bb.305:                              ;   in Loop: Header=BB188_43 Depth=1
	s_or_b64 exec, exec, s[6:7]
	v_lshlrev_b32_e32 v1, 16, v5
	v_mul_f32_e32 v1, v64, v1
	v_and_b32_e32 v2, 0x7f800000, v1
	v_cmp_ne_u32_e64 s[0:1], s14, v2
                                        ; implicit-def: $vgpr107
	s_and_saveexec_b64 s[6:7], s[0:1]
	s_xor_b64 s[0:1], exec, s[6:7]
; %bb.306:                              ;   in Loop: Header=BB188_43 Depth=1
	v_bfe_u32 v2, v1, 16, 1
	v_add3_u32 v107, v1, v2, s15
                                        ; implicit-def: $vgpr1
; %bb.307:                              ;   in Loop: Header=BB188_43 Depth=1
	s_andn2_saveexec_b64 s[6:7], s[0:1]
; %bb.308:                              ;   in Loop: Header=BB188_43 Depth=1
	v_or_b32_e32 v2, 0x10000, v1
	v_cmp_eq_u32_sdwa s[0:1], v1, v29 src0_sel:WORD_0 src1_sel:DWORD
	v_cndmask_b32_e64 v107, v2, v1, s[0:1]
; %bb.309:                              ;   in Loop: Header=BB188_43 Depth=1
	s_or_b64 exec, exec, s[6:7]
	v_lshlrev_b32_e32 v0, 16, v0
	v_mul_f32_e32 v0, v65, v0
	v_and_b32_e32 v1, 0x7f800000, v0
	v_cmp_ne_u32_e64 s[0:1], s14, v1
                                        ; implicit-def: $vgpr108
	s_and_saveexec_b64 s[6:7], s[0:1]
	s_xor_b64 s[0:1], exec, s[6:7]
; %bb.310:                              ;   in Loop: Header=BB188_43 Depth=1
	v_bfe_u32 v1, v0, 16, 1
	v_add3_u32 v108, v0, v1, s15
                                        ; implicit-def: $vgpr0
; %bb.311:                              ;   in Loop: Header=BB188_43 Depth=1
	s_andn2_saveexec_b64 s[6:7], s[0:1]
; %bb.312:                              ;   in Loop: Header=BB188_43 Depth=1
	v_or_b32_e32 v1, 0x10000, v0
	v_cmp_eq_u32_sdwa s[0:1], v0, v29 src0_sel:WORD_0 src1_sel:DWORD
	v_cndmask_b32_e64 v108, v1, v0, s[0:1]
; %bb.313:                              ;   in Loop: Header=BB188_43 Depth=1
	s_or_b64 exec, exec, s[6:7]
	buffer_load_dword v0, off, s[44:47], 0 offset:20 ; 4-byte Folded Reload
	s_waitcnt vmcnt(0)
	v_add_co_u32_e64 v0, s[0:1], v55, v0
	v_addc_co_u32_e64 v1, s[0:1], 0, v56, s[0:1]
	global_load_dwordx4 v[2:5], v[0:1], off
	s_waitcnt vmcnt(0)
	v_lshrrev_b32_e32 v26, 16, v2
	v_lshrrev_b32_e32 v11, 16, v3
	v_lshrrev_b32_e32 v1, 16, v4
	v_lshrrev_b32_e32 v0, 16, v5
	s_and_saveexec_b64 s[6:7], vcc
	s_cbranch_execz .LBB188_315
; %bb.314:                              ;   in Loop: Header=BB188_43 Depth=1
	v_cmp_gt_i32_e64 s[0:1], s33, v47
	v_cndmask_b32_e64 v2, 0, v2, s[0:1]
	v_cmp_gt_i32_e64 s[0:1], s33, v54
	v_cndmask_b32_e64 v26, 0, v26, s[0:1]
	;; [unrolled: 2-line block ×8, first 2 shown]
.LBB188_315:                            ;   in Loop: Header=BB188_43 Depth=1
	s_or_b64 exec, exec, s[6:7]
	v_lshlrev_b32_e32 v2, 16, v2
	v_mul_f32_e32 v2, v57, v2
	v_and_b32_e32 v8, 0x7f800000, v2
	v_cmp_ne_u32_e64 s[0:1], s14, v8
                                        ; implicit-def: $vgpr109
	s_and_saveexec_b64 s[6:7], s[0:1]
	s_xor_b64 s[0:1], exec, s[6:7]
; %bb.316:                              ;   in Loop: Header=BB188_43 Depth=1
	v_bfe_u32 v8, v2, 16, 1
	v_add3_u32 v109, v2, v8, s15
                                        ; implicit-def: $vgpr2
; %bb.317:                              ;   in Loop: Header=BB188_43 Depth=1
	s_andn2_saveexec_b64 s[6:7], s[0:1]
; %bb.318:                              ;   in Loop: Header=BB188_43 Depth=1
	v_or_b32_e32 v8, 0x10000, v2
	v_cmp_eq_u32_sdwa s[0:1], v2, v29 src0_sel:WORD_0 src1_sel:DWORD
	v_cndmask_b32_e64 v109, v8, v2, s[0:1]
; %bb.319:                              ;   in Loop: Header=BB188_43 Depth=1
	s_or_b64 exec, exec, s[6:7]
	v_lshlrev_b32_e32 v2, 16, v26
	v_mul_f32_e32 v2, v58, v2
	v_and_b32_e32 v8, 0x7f800000, v2
	v_cmp_ne_u32_e64 s[0:1], s14, v8
                                        ; implicit-def: $vgpr110
	s_and_saveexec_b64 s[6:7], s[0:1]
	s_xor_b64 s[0:1], exec, s[6:7]
; %bb.320:                              ;   in Loop: Header=BB188_43 Depth=1
	v_bfe_u32 v8, v2, 16, 1
	v_add3_u32 v110, v2, v8, s15
                                        ; implicit-def: $vgpr2
; %bb.321:                              ;   in Loop: Header=BB188_43 Depth=1
	s_andn2_saveexec_b64 s[6:7], s[0:1]
; %bb.322:                              ;   in Loop: Header=BB188_43 Depth=1
	v_or_b32_e32 v8, 0x10000, v2
	v_cmp_eq_u32_sdwa s[0:1], v2, v29 src0_sel:WORD_0 src1_sel:DWORD
	v_cndmask_b32_e64 v110, v8, v2, s[0:1]
; %bb.323:                              ;   in Loop: Header=BB188_43 Depth=1
	s_or_b64 exec, exec, s[6:7]
	v_lshlrev_b32_e32 v2, 16, v3
	v_mul_f32_e32 v2, v59, v2
	v_and_b32_e32 v3, 0x7f800000, v2
	v_cmp_ne_u32_e64 s[0:1], s14, v3
                                        ; implicit-def: $vgpr111
	s_and_saveexec_b64 s[6:7], s[0:1]
	s_xor_b64 s[0:1], exec, s[6:7]
; %bb.324:                              ;   in Loop: Header=BB188_43 Depth=1
	v_bfe_u32 v3, v2, 16, 1
	v_add3_u32 v111, v2, v3, s15
                                        ; implicit-def: $vgpr2
; %bb.325:                              ;   in Loop: Header=BB188_43 Depth=1
	s_andn2_saveexec_b64 s[6:7], s[0:1]
; %bb.326:                              ;   in Loop: Header=BB188_43 Depth=1
	v_or_b32_e32 v3, 0x10000, v2
	v_cmp_eq_u32_sdwa s[0:1], v2, v29 src0_sel:WORD_0 src1_sel:DWORD
	v_cndmask_b32_e64 v111, v3, v2, s[0:1]
; %bb.327:                              ;   in Loop: Header=BB188_43 Depth=1
	s_or_b64 exec, exec, s[6:7]
	v_lshlrev_b32_e32 v2, 16, v11
	v_mul_f32_e32 v2, v60, v2
	v_and_b32_e32 v3, 0x7f800000, v2
	v_cmp_ne_u32_e64 s[0:1], s14, v3
                                        ; implicit-def: $vgpr112
	s_and_saveexec_b64 s[6:7], s[0:1]
	s_xor_b64 s[0:1], exec, s[6:7]
; %bb.328:                              ;   in Loop: Header=BB188_43 Depth=1
	v_bfe_u32 v3, v2, 16, 1
	v_add3_u32 v112, v2, v3, s15
                                        ; implicit-def: $vgpr2
; %bb.329:                              ;   in Loop: Header=BB188_43 Depth=1
	s_andn2_saveexec_b64 s[6:7], s[0:1]
; %bb.330:                              ;   in Loop: Header=BB188_43 Depth=1
	v_or_b32_e32 v3, 0x10000, v2
	v_cmp_eq_u32_sdwa s[0:1], v2, v29 src0_sel:WORD_0 src1_sel:DWORD
	v_cndmask_b32_e64 v112, v3, v2, s[0:1]
; %bb.331:                              ;   in Loop: Header=BB188_43 Depth=1
	s_or_b64 exec, exec, s[6:7]
	v_lshlrev_b32_e32 v2, 16, v4
	v_mul_f32_e32 v2, v62, v2
	v_and_b32_e32 v3, 0x7f800000, v2
	v_cmp_ne_u32_e64 s[0:1], s14, v3
                                        ; implicit-def: $vgpr113
	s_and_saveexec_b64 s[6:7], s[0:1]
	s_xor_b64 s[0:1], exec, s[6:7]
; %bb.332:                              ;   in Loop: Header=BB188_43 Depth=1
	v_bfe_u32 v3, v2, 16, 1
	v_add3_u32 v113, v2, v3, s15
                                        ; implicit-def: $vgpr2
; %bb.333:                              ;   in Loop: Header=BB188_43 Depth=1
	s_andn2_saveexec_b64 s[6:7], s[0:1]
; %bb.334:                              ;   in Loop: Header=BB188_43 Depth=1
	v_or_b32_e32 v3, 0x10000, v2
	v_cmp_eq_u32_sdwa s[0:1], v2, v29 src0_sel:WORD_0 src1_sel:DWORD
	v_cndmask_b32_e64 v113, v3, v2, s[0:1]
; %bb.335:                              ;   in Loop: Header=BB188_43 Depth=1
	s_or_b64 exec, exec, s[6:7]
	v_lshlrev_b32_e32 v1, 16, v1
	v_mul_f32_e32 v1, v63, v1
	v_and_b32_e32 v2, 0x7f800000, v1
	v_cmp_ne_u32_e64 s[0:1], s14, v2
                                        ; implicit-def: $vgpr114
	s_and_saveexec_b64 s[6:7], s[0:1]
	s_xor_b64 s[0:1], exec, s[6:7]
; %bb.336:                              ;   in Loop: Header=BB188_43 Depth=1
	v_bfe_u32 v2, v1, 16, 1
	v_add3_u32 v114, v1, v2, s15
                                        ; implicit-def: $vgpr1
; %bb.337:                              ;   in Loop: Header=BB188_43 Depth=1
	s_andn2_saveexec_b64 s[6:7], s[0:1]
; %bb.338:                              ;   in Loop: Header=BB188_43 Depth=1
	v_or_b32_e32 v2, 0x10000, v1
	v_cmp_eq_u32_sdwa s[0:1], v1, v29 src0_sel:WORD_0 src1_sel:DWORD
	v_cndmask_b32_e64 v114, v2, v1, s[0:1]
; %bb.339:                              ;   in Loop: Header=BB188_43 Depth=1
	s_or_b64 exec, exec, s[6:7]
	v_lshlrev_b32_e32 v1, 16, v5
	v_mul_f32_e32 v1, v64, v1
	v_and_b32_e32 v2, 0x7f800000, v1
	v_cmp_ne_u32_e64 s[0:1], s14, v2
                                        ; implicit-def: $vgpr115
	s_and_saveexec_b64 s[6:7], s[0:1]
	s_xor_b64 s[0:1], exec, s[6:7]
; %bb.340:                              ;   in Loop: Header=BB188_43 Depth=1
	v_bfe_u32 v2, v1, 16, 1
	v_add3_u32 v115, v1, v2, s15
                                        ; implicit-def: $vgpr1
; %bb.341:                              ;   in Loop: Header=BB188_43 Depth=1
	s_andn2_saveexec_b64 s[6:7], s[0:1]
; %bb.342:                              ;   in Loop: Header=BB188_43 Depth=1
	v_or_b32_e32 v2, 0x10000, v1
	v_cmp_eq_u32_sdwa s[0:1], v1, v29 src0_sel:WORD_0 src1_sel:DWORD
	v_cndmask_b32_e64 v115, v2, v1, s[0:1]
; %bb.343:                              ;   in Loop: Header=BB188_43 Depth=1
	s_or_b64 exec, exec, s[6:7]
	v_lshlrev_b32_e32 v0, 16, v0
	v_mul_f32_e32 v0, v65, v0
	v_and_b32_e32 v1, 0x7f800000, v0
	v_cmp_ne_u32_e64 s[0:1], s14, v1
                                        ; implicit-def: $vgpr116
	s_and_saveexec_b64 s[6:7], s[0:1]
	s_xor_b64 s[0:1], exec, s[6:7]
; %bb.344:                              ;   in Loop: Header=BB188_43 Depth=1
	v_bfe_u32 v1, v0, 16, 1
	v_add3_u32 v116, v0, v1, s15
                                        ; implicit-def: $vgpr0
; %bb.345:                              ;   in Loop: Header=BB188_43 Depth=1
	s_andn2_saveexec_b64 s[6:7], s[0:1]
; %bb.346:                              ;   in Loop: Header=BB188_43 Depth=1
	v_or_b32_e32 v1, 0x10000, v0
	v_cmp_eq_u32_sdwa s[0:1], v0, v29 src0_sel:WORD_0 src1_sel:DWORD
	v_cndmask_b32_e64 v116, v1, v0, s[0:1]
; %bb.347:                              ;   in Loop: Header=BB188_43 Depth=1
	s_or_b64 exec, exec, s[6:7]
	buffer_load_dword v0, off, s[44:47], 0 offset:24 ; 4-byte Folded Reload
	s_waitcnt vmcnt(0)
	v_add_co_u32_e64 v0, s[0:1], v55, v0
	v_addc_co_u32_e64 v1, s[0:1], 0, v56, s[0:1]
	global_load_dwordx4 v[2:5], v[0:1], off
	s_waitcnt vmcnt(0)
	v_lshrrev_b32_e32 v26, 16, v2
	v_lshrrev_b32_e32 v11, 16, v3
	;; [unrolled: 1-line block ×4, first 2 shown]
	s_and_saveexec_b64 s[6:7], vcc
	s_cbranch_execz .LBB188_349
; %bb.348:                              ;   in Loop: Header=BB188_43 Depth=1
	v_cmp_gt_i32_e64 s[0:1], s33, v47
	v_cndmask_b32_e64 v2, 0, v2, s[0:1]
	v_cmp_gt_i32_e64 s[0:1], s33, v54
	v_cndmask_b32_e64 v26, 0, v26, s[0:1]
	;; [unrolled: 2-line block ×8, first 2 shown]
.LBB188_349:                            ;   in Loop: Header=BB188_43 Depth=1
	s_or_b64 exec, exec, s[6:7]
	v_lshlrev_b32_e32 v2, 16, v2
	v_mul_f32_e32 v2, v57, v2
	v_and_b32_e32 v8, 0x7f800000, v2
	v_cmp_ne_u32_e64 s[0:1], s14, v8
                                        ; implicit-def: $vgpr117
	s_and_saveexec_b64 s[6:7], s[0:1]
	s_xor_b64 s[0:1], exec, s[6:7]
; %bb.350:                              ;   in Loop: Header=BB188_43 Depth=1
	v_bfe_u32 v8, v2, 16, 1
	v_add3_u32 v117, v2, v8, s15
                                        ; implicit-def: $vgpr2
; %bb.351:                              ;   in Loop: Header=BB188_43 Depth=1
	s_andn2_saveexec_b64 s[6:7], s[0:1]
; %bb.352:                              ;   in Loop: Header=BB188_43 Depth=1
	v_or_b32_e32 v8, 0x10000, v2
	v_cmp_eq_u32_sdwa s[0:1], v2, v29 src0_sel:WORD_0 src1_sel:DWORD
	v_cndmask_b32_e64 v117, v8, v2, s[0:1]
; %bb.353:                              ;   in Loop: Header=BB188_43 Depth=1
	s_or_b64 exec, exec, s[6:7]
	v_lshlrev_b32_e32 v2, 16, v26
	v_mul_f32_e32 v2, v58, v2
	v_and_b32_e32 v8, 0x7f800000, v2
	v_cmp_ne_u32_e64 s[0:1], s14, v8
                                        ; implicit-def: $vgpr118
	s_and_saveexec_b64 s[6:7], s[0:1]
	s_xor_b64 s[0:1], exec, s[6:7]
; %bb.354:                              ;   in Loop: Header=BB188_43 Depth=1
	v_bfe_u32 v8, v2, 16, 1
	v_add3_u32 v118, v2, v8, s15
                                        ; implicit-def: $vgpr2
; %bb.355:                              ;   in Loop: Header=BB188_43 Depth=1
	s_andn2_saveexec_b64 s[6:7], s[0:1]
; %bb.356:                              ;   in Loop: Header=BB188_43 Depth=1
	v_or_b32_e32 v8, 0x10000, v2
	v_cmp_eq_u32_sdwa s[0:1], v2, v29 src0_sel:WORD_0 src1_sel:DWORD
	v_cndmask_b32_e64 v118, v8, v2, s[0:1]
; %bb.357:                              ;   in Loop: Header=BB188_43 Depth=1
	s_or_b64 exec, exec, s[6:7]
	v_lshlrev_b32_e32 v2, 16, v3
	v_mul_f32_e32 v2, v59, v2
	v_and_b32_e32 v3, 0x7f800000, v2
	v_cmp_ne_u32_e64 s[0:1], s14, v3
                                        ; implicit-def: $vgpr119
	s_and_saveexec_b64 s[6:7], s[0:1]
	s_xor_b64 s[0:1], exec, s[6:7]
; %bb.358:                              ;   in Loop: Header=BB188_43 Depth=1
	v_bfe_u32 v3, v2, 16, 1
	v_add3_u32 v119, v2, v3, s15
                                        ; implicit-def: $vgpr2
; %bb.359:                              ;   in Loop: Header=BB188_43 Depth=1
	s_andn2_saveexec_b64 s[6:7], s[0:1]
; %bb.360:                              ;   in Loop: Header=BB188_43 Depth=1
	v_or_b32_e32 v3, 0x10000, v2
	v_cmp_eq_u32_sdwa s[0:1], v2, v29 src0_sel:WORD_0 src1_sel:DWORD
	v_cndmask_b32_e64 v119, v3, v2, s[0:1]
; %bb.361:                              ;   in Loop: Header=BB188_43 Depth=1
	s_or_b64 exec, exec, s[6:7]
	v_lshlrev_b32_e32 v2, 16, v11
	v_mul_f32_e32 v2, v60, v2
	v_and_b32_e32 v3, 0x7f800000, v2
	v_cmp_ne_u32_e64 s[0:1], s14, v3
                                        ; implicit-def: $vgpr120
	s_and_saveexec_b64 s[6:7], s[0:1]
	s_xor_b64 s[0:1], exec, s[6:7]
; %bb.362:                              ;   in Loop: Header=BB188_43 Depth=1
	v_bfe_u32 v3, v2, 16, 1
	v_add3_u32 v120, v2, v3, s15
                                        ; implicit-def: $vgpr2
; %bb.363:                              ;   in Loop: Header=BB188_43 Depth=1
	s_andn2_saveexec_b64 s[6:7], s[0:1]
; %bb.364:                              ;   in Loop: Header=BB188_43 Depth=1
	v_or_b32_e32 v3, 0x10000, v2
	v_cmp_eq_u32_sdwa s[0:1], v2, v29 src0_sel:WORD_0 src1_sel:DWORD
	v_cndmask_b32_e64 v120, v3, v2, s[0:1]
; %bb.365:                              ;   in Loop: Header=BB188_43 Depth=1
	s_or_b64 exec, exec, s[6:7]
	v_lshlrev_b32_e32 v2, 16, v4
	v_mul_f32_e32 v2, v62, v2
	v_and_b32_e32 v3, 0x7f800000, v2
	v_cmp_ne_u32_e64 s[0:1], s14, v3
                                        ; implicit-def: $vgpr121
	s_and_saveexec_b64 s[6:7], s[0:1]
	s_xor_b64 s[0:1], exec, s[6:7]
; %bb.366:                              ;   in Loop: Header=BB188_43 Depth=1
	v_bfe_u32 v3, v2, 16, 1
	v_add3_u32 v121, v2, v3, s15
                                        ; implicit-def: $vgpr2
; %bb.367:                              ;   in Loop: Header=BB188_43 Depth=1
	s_andn2_saveexec_b64 s[6:7], s[0:1]
; %bb.368:                              ;   in Loop: Header=BB188_43 Depth=1
	v_or_b32_e32 v3, 0x10000, v2
	v_cmp_eq_u32_sdwa s[0:1], v2, v29 src0_sel:WORD_0 src1_sel:DWORD
	v_cndmask_b32_e64 v121, v3, v2, s[0:1]
; %bb.369:                              ;   in Loop: Header=BB188_43 Depth=1
	s_or_b64 exec, exec, s[6:7]
	v_lshlrev_b32_e32 v1, 16, v1
	v_mul_f32_e32 v1, v63, v1
	v_and_b32_e32 v2, 0x7f800000, v1
	v_cmp_ne_u32_e64 s[0:1], s14, v2
                                        ; implicit-def: $vgpr122
	s_and_saveexec_b64 s[6:7], s[0:1]
	s_xor_b64 s[0:1], exec, s[6:7]
; %bb.370:                              ;   in Loop: Header=BB188_43 Depth=1
	v_bfe_u32 v2, v1, 16, 1
	v_add3_u32 v122, v1, v2, s15
                                        ; implicit-def: $vgpr1
; %bb.371:                              ;   in Loop: Header=BB188_43 Depth=1
	s_andn2_saveexec_b64 s[6:7], s[0:1]
; %bb.372:                              ;   in Loop: Header=BB188_43 Depth=1
	v_or_b32_e32 v2, 0x10000, v1
	v_cmp_eq_u32_sdwa s[0:1], v1, v29 src0_sel:WORD_0 src1_sel:DWORD
	v_cndmask_b32_e64 v122, v2, v1, s[0:1]
; %bb.373:                              ;   in Loop: Header=BB188_43 Depth=1
	s_or_b64 exec, exec, s[6:7]
	v_lshlrev_b32_e32 v1, 16, v5
	v_mul_f32_e32 v1, v64, v1
	v_and_b32_e32 v2, 0x7f800000, v1
	v_cmp_ne_u32_e64 s[0:1], s14, v2
                                        ; implicit-def: $vgpr123
	s_and_saveexec_b64 s[6:7], s[0:1]
	s_xor_b64 s[0:1], exec, s[6:7]
; %bb.374:                              ;   in Loop: Header=BB188_43 Depth=1
	v_bfe_u32 v2, v1, 16, 1
	v_add3_u32 v123, v1, v2, s15
                                        ; implicit-def: $vgpr1
; %bb.375:                              ;   in Loop: Header=BB188_43 Depth=1
	s_andn2_saveexec_b64 s[6:7], s[0:1]
; %bb.376:                              ;   in Loop: Header=BB188_43 Depth=1
	v_or_b32_e32 v2, 0x10000, v1
	v_cmp_eq_u32_sdwa s[0:1], v1, v29 src0_sel:WORD_0 src1_sel:DWORD
	v_cndmask_b32_e64 v123, v2, v1, s[0:1]
; %bb.377:                              ;   in Loop: Header=BB188_43 Depth=1
	s_or_b64 exec, exec, s[6:7]
	v_lshlrev_b32_e32 v0, 16, v0
	v_mul_f32_e32 v0, v65, v0
	v_and_b32_e32 v1, 0x7f800000, v0
	v_cmp_ne_u32_e64 s[0:1], s14, v1
                                        ; implicit-def: $vgpr124
	s_and_saveexec_b64 s[6:7], s[0:1]
	s_xor_b64 s[0:1], exec, s[6:7]
; %bb.378:                              ;   in Loop: Header=BB188_43 Depth=1
	v_bfe_u32 v1, v0, 16, 1
	v_add3_u32 v124, v0, v1, s15
                                        ; implicit-def: $vgpr0
; %bb.379:                              ;   in Loop: Header=BB188_43 Depth=1
	s_andn2_saveexec_b64 s[6:7], s[0:1]
; %bb.380:                              ;   in Loop: Header=BB188_43 Depth=1
	v_or_b32_e32 v1, 0x10000, v0
	v_cmp_eq_u32_sdwa s[0:1], v0, v29 src0_sel:WORD_0 src1_sel:DWORD
	v_cndmask_b32_e64 v124, v1, v0, s[0:1]
; %bb.381:                              ;   in Loop: Header=BB188_43 Depth=1
	s_or_b64 exec, exec, s[6:7]
	buffer_load_dword v0, off, s[44:47], 0 offset:28 ; 4-byte Folded Reload
	s_waitcnt vmcnt(0)
	v_add_co_u32_e64 v0, s[0:1], v55, v0
	v_addc_co_u32_e64 v1, s[0:1], 0, v56, s[0:1]
	global_load_dwordx4 v[2:5], v[0:1], off
	s_waitcnt vmcnt(0)
	v_lshrrev_b32_e32 v27, 16, v2
	v_lshrrev_b32_e32 v26, 16, v3
	;; [unrolled: 1-line block ×4, first 2 shown]
	s_and_saveexec_b64 s[6:7], vcc
	s_cbranch_execz .LBB188_383
; %bb.382:                              ;   in Loop: Header=BB188_43 Depth=1
	v_cmp_gt_i32_e64 s[0:1], s33, v47
	v_cndmask_b32_e64 v2, 0, v2, s[0:1]
	v_cmp_gt_i32_e64 s[0:1], s33, v54
	v_cndmask_b32_e64 v27, 0, v27, s[0:1]
	;; [unrolled: 2-line block ×8, first 2 shown]
.LBB188_383:                            ;   in Loop: Header=BB188_43 Depth=1
	s_or_b64 exec, exec, s[6:7]
	v_lshlrev_b32_e32 v0, 16, v2
	v_mul_f32_e32 v2, v57, v0
	v_and_b32_e32 v0, 0x7f800000, v2
	v_cmp_ne_u32_e64 s[0:1], s14, v0
                                        ; implicit-def: $vgpr0
	s_and_saveexec_b64 s[6:7], s[0:1]
	s_xor_b64 s[0:1], exec, s[6:7]
; %bb.384:                              ;   in Loop: Header=BB188_43 Depth=1
	v_bfe_u32 v0, v2, 16, 1
	v_add3_u32 v0, v2, v0, s15
                                        ; implicit-def: $vgpr2
; %bb.385:                              ;   in Loop: Header=BB188_43 Depth=1
	s_andn2_saveexec_b64 s[6:7], s[0:1]
; %bb.386:                              ;   in Loop: Header=BB188_43 Depth=1
	v_or_b32_e32 v0, 0x10000, v2
	v_cmp_eq_u32_sdwa s[0:1], v2, v29 src0_sel:WORD_0 src1_sel:DWORD
	v_cndmask_b32_e64 v0, v0, v2, s[0:1]
; %bb.387:                              ;   in Loop: Header=BB188_43 Depth=1
	s_or_b64 exec, exec, s[6:7]
	v_lshlrev_b32_e32 v2, 16, v27
	v_mul_f32_e32 v2, v58, v2
	v_and_b32_e32 v8, 0x7f800000, v2
	v_cmp_ne_u32_e64 s[0:1], s14, v8
                                        ; implicit-def: $vgpr125
	s_and_saveexec_b64 s[6:7], s[0:1]
	s_xor_b64 s[0:1], exec, s[6:7]
; %bb.388:                              ;   in Loop: Header=BB188_43 Depth=1
	v_bfe_u32 v8, v2, 16, 1
	v_add3_u32 v125, v2, v8, s15
                                        ; implicit-def: $vgpr2
; %bb.389:                              ;   in Loop: Header=BB188_43 Depth=1
	s_andn2_saveexec_b64 s[6:7], s[0:1]
; %bb.390:                              ;   in Loop: Header=BB188_43 Depth=1
	v_or_b32_e32 v8, 0x10000, v2
	v_cmp_eq_u32_sdwa s[0:1], v2, v29 src0_sel:WORD_0 src1_sel:DWORD
	v_cndmask_b32_e64 v125, v8, v2, s[0:1]
; %bb.391:                              ;   in Loop: Header=BB188_43 Depth=1
	s_or_b64 exec, exec, s[6:7]
	v_lshlrev_b32_e32 v2, 16, v3
	v_mul_f32_e32 v2, v59, v2
	v_and_b32_e32 v3, 0x7f800000, v2
	v_cmp_ne_u32_e64 s[0:1], s14, v3
                                        ; implicit-def: $vgpr126
	s_and_saveexec_b64 s[6:7], s[0:1]
	s_xor_b64 s[0:1], exec, s[6:7]
; %bb.392:                              ;   in Loop: Header=BB188_43 Depth=1
	v_bfe_u32 v3, v2, 16, 1
	v_add3_u32 v126, v2, v3, s15
                                        ; implicit-def: $vgpr2
; %bb.393:                              ;   in Loop: Header=BB188_43 Depth=1
	s_andn2_saveexec_b64 s[6:7], s[0:1]
; %bb.394:                              ;   in Loop: Header=BB188_43 Depth=1
	v_or_b32_e32 v3, 0x10000, v2
	v_cmp_eq_u32_sdwa s[0:1], v2, v29 src0_sel:WORD_0 src1_sel:DWORD
	v_cndmask_b32_e64 v126, v3, v2, s[0:1]
; %bb.395:                              ;   in Loop: Header=BB188_43 Depth=1
	s_or_b64 exec, exec, s[6:7]
	v_lshlrev_b32_e32 v2, 16, v26
	v_mul_f32_e32 v2, v60, v2
	v_and_b32_e32 v3, 0x7f800000, v2
	v_cmp_ne_u32_e64 s[0:1], s14, v3
                                        ; implicit-def: $vgpr127
	s_and_saveexec_b64 s[6:7], s[0:1]
	s_xor_b64 s[0:1], exec, s[6:7]
; %bb.396:                              ;   in Loop: Header=BB188_43 Depth=1
	v_bfe_u32 v3, v2, 16, 1
	v_add3_u32 v127, v2, v3, s15
                                        ; implicit-def: $vgpr2
; %bb.397:                              ;   in Loop: Header=BB188_43 Depth=1
	s_andn2_saveexec_b64 s[6:7], s[0:1]
; %bb.398:                              ;   in Loop: Header=BB188_43 Depth=1
	v_or_b32_e32 v3, 0x10000, v2
	v_cmp_eq_u32_sdwa s[0:1], v2, v29 src0_sel:WORD_0 src1_sel:DWORD
	v_cndmask_b32_e64 v127, v3, v2, s[0:1]
; %bb.399:                              ;   in Loop: Header=BB188_43 Depth=1
	s_or_b64 exec, exec, s[6:7]
	v_lshlrev_b32_e32 v2, 16, v4
	v_mul_f32_e32 v2, v62, v2
	v_and_b32_e32 v3, 0x7f800000, v2
	v_cmp_ne_u32_e64 s[0:1], s14, v3
                                        ; implicit-def: $vgpr26
	s_and_saveexec_b64 s[6:7], s[0:1]
	s_xor_b64 s[0:1], exec, s[6:7]
; %bb.400:                              ;   in Loop: Header=BB188_43 Depth=1
	v_bfe_u32 v3, v2, 16, 1
	v_add3_u32 v26, v2, v3, s15
                                        ; implicit-def: $vgpr2
; %bb.401:                              ;   in Loop: Header=BB188_43 Depth=1
	s_andn2_saveexec_b64 s[6:7], s[0:1]
; %bb.402:                              ;   in Loop: Header=BB188_43 Depth=1
	v_or_b32_e32 v3, 0x10000, v2
	v_cmp_eq_u32_sdwa s[0:1], v2, v29 src0_sel:WORD_0 src1_sel:DWORD
	v_cndmask_b32_e64 v26, v3, v2, s[0:1]
; %bb.403:                              ;   in Loop: Header=BB188_43 Depth=1
	s_or_b64 exec, exec, s[6:7]
	v_lshlrev_b32_e32 v1, 16, v1
	v_mul_f32_e32 v2, v63, v1
	v_and_b32_e32 v1, 0x7f800000, v2
	v_cmp_ne_u32_e64 s[0:1], s14, v1
                                        ; implicit-def: $vgpr1
	s_and_saveexec_b64 s[6:7], s[0:1]
	s_xor_b64 s[0:1], exec, s[6:7]
; %bb.404:                              ;   in Loop: Header=BB188_43 Depth=1
	v_bfe_u32 v1, v2, 16, 1
	v_add3_u32 v1, v2, v1, s15
                                        ; implicit-def: $vgpr2
; %bb.405:                              ;   in Loop: Header=BB188_43 Depth=1
	s_andn2_saveexec_b64 s[6:7], s[0:1]
; %bb.406:                              ;   in Loop: Header=BB188_43 Depth=1
	v_or_b32_e32 v1, 0x10000, v2
	v_cmp_eq_u32_sdwa s[0:1], v2, v29 src0_sel:WORD_0 src1_sel:DWORD
	v_cndmask_b32_e64 v1, v1, v2, s[0:1]
; %bb.407:                              ;   in Loop: Header=BB188_43 Depth=1
	s_or_b64 exec, exec, s[6:7]
	v_lshlrev_b32_e32 v2, 16, v5
	v_mul_f32_e32 v2, v64, v2
	v_and_b32_e32 v3, 0x7f800000, v2
	v_cmp_ne_u32_e64 s[0:1], s14, v3
                                        ; implicit-def: $vgpr27
	s_and_saveexec_b64 s[6:7], s[0:1]
	s_xor_b64 s[0:1], exec, s[6:7]
; %bb.408:                              ;   in Loop: Header=BB188_43 Depth=1
	v_bfe_u32 v3, v2, 16, 1
	v_add3_u32 v27, v2, v3, s15
                                        ; implicit-def: $vgpr2
; %bb.409:                              ;   in Loop: Header=BB188_43 Depth=1
	s_andn2_saveexec_b64 s[6:7], s[0:1]
; %bb.410:                              ;   in Loop: Header=BB188_43 Depth=1
	v_or_b32_e32 v3, 0x10000, v2
	v_cmp_eq_u32_sdwa s[0:1], v2, v29 src0_sel:WORD_0 src1_sel:DWORD
	v_cndmask_b32_e64 v27, v3, v2, s[0:1]
; %bb.411:                              ;   in Loop: Header=BB188_43 Depth=1
	s_or_b64 exec, exec, s[6:7]
	v_lshlrev_b32_e32 v2, 16, v11
	v_mul_f32_e32 v2, v65, v2
	v_and_b32_e32 v3, 0x7f800000, v2
	v_cmp_ne_u32_e64 s[0:1], s14, v3
                                        ; implicit-def: $vgpr28
	s_and_saveexec_b64 s[6:7], s[0:1]
	s_xor_b64 s[0:1], exec, s[6:7]
; %bb.412:                              ;   in Loop: Header=BB188_43 Depth=1
	v_bfe_u32 v3, v2, 16, 1
	v_add3_u32 v28, v2, v3, s15
                                        ; implicit-def: $vgpr2
; %bb.413:                              ;   in Loop: Header=BB188_43 Depth=1
	s_andn2_saveexec_b64 s[6:7], s[0:1]
; %bb.414:                              ;   in Loop: Header=BB188_43 Depth=1
	v_or_b32_e32 v3, 0x10000, v2
	v_cmp_eq_u32_sdwa s[0:1], v2, v29 src0_sel:WORD_0 src1_sel:DWORD
	v_cndmask_b32_e64 v28, v3, v2, s[0:1]
; %bb.415:                              ;   in Loop: Header=BB188_43 Depth=1
	s_or_b64 exec, exec, s[6:7]
	buffer_load_dword v2, off, s[44:47], 0 offset:32 ; 4-byte Folded Reload
	s_waitcnt vmcnt(0)
	v_add_co_u32_e64 v2, s[0:1], v55, v2
	v_addc_co_u32_e64 v3, s[0:1], 0, v56, s[0:1]
	global_load_dwordx4 v[2:5], v[2:3], off
	s_waitcnt vmcnt(0)
	v_lshrrev_b32_e32 v32, 16, v2
	v_lshrrev_b32_e32 v34, 16, v3
	;; [unrolled: 1-line block ×4, first 2 shown]
	s_and_saveexec_b64 s[6:7], vcc
	s_cbranch_execz .LBB188_417
; %bb.416:                              ;   in Loop: Header=BB188_43 Depth=1
	v_cmp_gt_i32_e64 s[0:1], s33, v47
	v_cndmask_b32_e64 v2, 0, v2, s[0:1]
	v_cmp_gt_i32_e64 s[0:1], s33, v54
	v_cndmask_b32_e64 v32, 0, v32, s[0:1]
	;; [unrolled: 2-line block ×8, first 2 shown]
.LBB188_417:                            ;   in Loop: Header=BB188_43 Depth=1
	s_or_b64 exec, exec, s[6:7]
	v_lshlrev_b32_e32 v2, 16, v2
	v_mul_f32_e32 v2, v57, v2
	v_and_b32_e32 v8, 0x7f800000, v2
	v_cmp_ne_u32_e64 s[0:1], s14, v8
                                        ; implicit-def: $vgpr11
	s_and_saveexec_b64 s[6:7], s[0:1]
	s_xor_b64 s[0:1], exec, s[6:7]
; %bb.418:                              ;   in Loop: Header=BB188_43 Depth=1
	v_bfe_u32 v8, v2, 16, 1
	v_add3_u32 v11, v2, v8, s15
                                        ; implicit-def: $vgpr2
; %bb.419:                              ;   in Loop: Header=BB188_43 Depth=1
	s_andn2_saveexec_b64 s[6:7], s[0:1]
; %bb.420:                              ;   in Loop: Header=BB188_43 Depth=1
	v_or_b32_e32 v8, 0x10000, v2
	v_cmp_eq_u32_sdwa s[0:1], v2, v29 src0_sel:WORD_0 src1_sel:DWORD
	v_cndmask_b32_e64 v11, v8, v2, s[0:1]
; %bb.421:                              ;   in Loop: Header=BB188_43 Depth=1
	s_or_b64 exec, exec, s[6:7]
	v_lshlrev_b32_e32 v2, 16, v32
	v_mul_f32_e32 v2, v58, v2
	v_and_b32_e32 v8, 0x7f800000, v2
	v_cmp_ne_u32_e64 s[0:1], s14, v8
                                        ; implicit-def: $vgpr32
	s_and_saveexec_b64 s[6:7], s[0:1]
	s_xor_b64 s[0:1], exec, s[6:7]
; %bb.422:                              ;   in Loop: Header=BB188_43 Depth=1
	v_bfe_u32 v8, v2, 16, 1
	v_add3_u32 v32, v2, v8, s15
                                        ; implicit-def: $vgpr2
; %bb.423:                              ;   in Loop: Header=BB188_43 Depth=1
	s_andn2_saveexec_b64 s[6:7], s[0:1]
; %bb.424:                              ;   in Loop: Header=BB188_43 Depth=1
	v_or_b32_e32 v8, 0x10000, v2
	v_cmp_eq_u32_sdwa s[0:1], v2, v29 src0_sel:WORD_0 src1_sel:DWORD
	v_cndmask_b32_e64 v32, v8, v2, s[0:1]
; %bb.425:                              ;   in Loop: Header=BB188_43 Depth=1
	s_or_b64 exec, exec, s[6:7]
	v_lshlrev_b32_e32 v2, 16, v3
	v_mul_f32_e32 v2, v59, v2
	v_and_b32_e32 v3, 0x7f800000, v2
	v_cmp_ne_u32_e64 s[0:1], s14, v3
                                        ; implicit-def: $vgpr33
	s_and_saveexec_b64 s[6:7], s[0:1]
	s_xor_b64 s[0:1], exec, s[6:7]
; %bb.426:                              ;   in Loop: Header=BB188_43 Depth=1
	v_bfe_u32 v3, v2, 16, 1
	v_add3_u32 v33, v2, v3, s15
                                        ; implicit-def: $vgpr2
; %bb.427:                              ;   in Loop: Header=BB188_43 Depth=1
	s_andn2_saveexec_b64 s[6:7], s[0:1]
; %bb.428:                              ;   in Loop: Header=BB188_43 Depth=1
	v_or_b32_e32 v3, 0x10000, v2
	v_cmp_eq_u32_sdwa s[0:1], v2, v29 src0_sel:WORD_0 src1_sel:DWORD
	v_cndmask_b32_e64 v33, v3, v2, s[0:1]
; %bb.429:                              ;   in Loop: Header=BB188_43 Depth=1
	s_or_b64 exec, exec, s[6:7]
	v_lshlrev_b32_e32 v2, 16, v34
	v_mul_f32_e32 v2, v60, v2
	v_and_b32_e32 v3, 0x7f800000, v2
	v_cmp_ne_u32_e64 s[0:1], s14, v3
                                        ; implicit-def: $vgpr34
	s_and_saveexec_b64 s[6:7], s[0:1]
	s_xor_b64 s[0:1], exec, s[6:7]
; %bb.430:                              ;   in Loop: Header=BB188_43 Depth=1
	v_bfe_u32 v3, v2, 16, 1
	v_add3_u32 v34, v2, v3, s15
                                        ; implicit-def: $vgpr2
; %bb.431:                              ;   in Loop: Header=BB188_43 Depth=1
	s_andn2_saveexec_b64 s[6:7], s[0:1]
; %bb.432:                              ;   in Loop: Header=BB188_43 Depth=1
	v_or_b32_e32 v3, 0x10000, v2
	v_cmp_eq_u32_sdwa s[0:1], v2, v29 src0_sel:WORD_0 src1_sel:DWORD
	v_cndmask_b32_e64 v34, v3, v2, s[0:1]
; %bb.433:                              ;   in Loop: Header=BB188_43 Depth=1
	s_or_b64 exec, exec, s[6:7]
	v_lshlrev_b32_e32 v2, 16, v4
	v_mul_f32_e32 v2, v62, v2
	v_and_b32_e32 v3, 0x7f800000, v2
	v_cmp_ne_u32_e64 s[0:1], s14, v3
                                        ; implicit-def: $vgpr35
	s_and_saveexec_b64 s[6:7], s[0:1]
	s_xor_b64 s[0:1], exec, s[6:7]
; %bb.434:                              ;   in Loop: Header=BB188_43 Depth=1
	v_bfe_u32 v3, v2, 16, 1
	v_add3_u32 v35, v2, v3, s15
                                        ; implicit-def: $vgpr2
; %bb.435:                              ;   in Loop: Header=BB188_43 Depth=1
	s_andn2_saveexec_b64 s[6:7], s[0:1]
; %bb.436:                              ;   in Loop: Header=BB188_43 Depth=1
	v_or_b32_e32 v3, 0x10000, v2
	v_cmp_eq_u32_sdwa s[0:1], v2, v29 src0_sel:WORD_0 src1_sel:DWORD
	v_cndmask_b32_e64 v35, v3, v2, s[0:1]
; %bb.437:                              ;   in Loop: Header=BB188_43 Depth=1
	s_or_b64 exec, exec, s[6:7]
	v_lshlrev_b32_e32 v2, 16, v36
	v_mul_f32_e32 v2, v63, v2
	v_and_b32_e32 v3, 0x7f800000, v2
	v_cmp_ne_u32_e64 s[0:1], s14, v3
                                        ; implicit-def: $vgpr36
	s_and_saveexec_b64 s[6:7], s[0:1]
	s_xor_b64 s[0:1], exec, s[6:7]
; %bb.438:                              ;   in Loop: Header=BB188_43 Depth=1
	v_bfe_u32 v3, v2, 16, 1
	v_add3_u32 v36, v2, v3, s15
                                        ; implicit-def: $vgpr2
; %bb.439:                              ;   in Loop: Header=BB188_43 Depth=1
	s_andn2_saveexec_b64 s[6:7], s[0:1]
; %bb.440:                              ;   in Loop: Header=BB188_43 Depth=1
	v_or_b32_e32 v3, 0x10000, v2
	v_cmp_eq_u32_sdwa s[0:1], v2, v29 src0_sel:WORD_0 src1_sel:DWORD
	v_cndmask_b32_e64 v36, v3, v2, s[0:1]
; %bb.441:                              ;   in Loop: Header=BB188_43 Depth=1
	s_or_b64 exec, exec, s[6:7]
	v_lshlrev_b32_e32 v2, 16, v5
	v_mul_f32_e32 v2, v64, v2
	v_and_b32_e32 v3, 0x7f800000, v2
	v_cmp_ne_u32_e64 s[0:1], s14, v3
                                        ; implicit-def: $vgpr37
	s_and_saveexec_b64 s[6:7], s[0:1]
	s_xor_b64 s[0:1], exec, s[6:7]
; %bb.442:                              ;   in Loop: Header=BB188_43 Depth=1
	v_bfe_u32 v3, v2, 16, 1
	v_add3_u32 v37, v2, v3, s15
                                        ; implicit-def: $vgpr2
; %bb.443:                              ;   in Loop: Header=BB188_43 Depth=1
	s_andn2_saveexec_b64 s[6:7], s[0:1]
; %bb.444:                              ;   in Loop: Header=BB188_43 Depth=1
	v_or_b32_e32 v3, 0x10000, v2
	v_cmp_eq_u32_sdwa s[0:1], v2, v29 src0_sel:WORD_0 src1_sel:DWORD
	v_cndmask_b32_e64 v37, v3, v2, s[0:1]
; %bb.445:                              ;   in Loop: Header=BB188_43 Depth=1
	s_or_b64 exec, exec, s[6:7]
	v_lshlrev_b32_e32 v2, 16, v38
	v_mul_f32_e32 v2, v65, v2
	v_and_b32_e32 v3, 0x7f800000, v2
	v_cmp_ne_u32_e64 s[0:1], s14, v3
                                        ; implicit-def: $vgpr38
	s_and_saveexec_b64 s[6:7], s[0:1]
	s_xor_b64 s[0:1], exec, s[6:7]
; %bb.446:                              ;   in Loop: Header=BB188_43 Depth=1
	v_bfe_u32 v3, v2, 16, 1
	v_add3_u32 v38, v2, v3, s15
                                        ; implicit-def: $vgpr2
; %bb.447:                              ;   in Loop: Header=BB188_43 Depth=1
	s_andn2_saveexec_b64 s[6:7], s[0:1]
; %bb.448:                              ;   in Loop: Header=BB188_43 Depth=1
	v_or_b32_e32 v3, 0x10000, v2
	v_cmp_eq_u32_sdwa s[0:1], v2, v29 src0_sel:WORD_0 src1_sel:DWORD
	v_cndmask_b32_e64 v38, v3, v2, s[0:1]
; %bb.449:                              ;   in Loop: Header=BB188_43 Depth=1
	s_or_b64 exec, exec, s[6:7]
	buffer_load_dword v2, off, s[44:47], 0 offset:36 ; 4-byte Folded Reload
	s_waitcnt vmcnt(0)
	v_add_co_u32_e64 v2, s[0:1], v55, v2
	v_addc_co_u32_e64 v3, s[0:1], 0, v56, s[0:1]
	global_load_dwordx4 v[2:5], v[2:3], off
	s_waitcnt vmcnt(0)
	v_lshrrev_b32_e32 v8, 16, v2
	v_lshrrev_b32_e32 v39, 16, v3
	;; [unrolled: 1-line block ×4, first 2 shown]
	s_and_saveexec_b64 s[0:1], vcc
	s_cbranch_execz .LBB188_451
; %bb.450:                              ;   in Loop: Header=BB188_43 Depth=1
	v_cmp_gt_i32_e32 vcc, s33, v47
	v_cndmask_b32_e32 v2, 0, v2, vcc
	v_cmp_gt_i32_e32 vcc, s33, v54
	v_cndmask_b32_e32 v8, 0, v8, vcc
	;; [unrolled: 2-line block ×8, first 2 shown]
.LBB188_451:                            ;   in Loop: Header=BB188_43 Depth=1
	s_or_b64 exec, exec, s[0:1]
	v_lshlrev_b32_e32 v2, 16, v2
	v_mul_f32_e32 v47, v57, v2
	v_and_b32_e32 v2, 0x7f800000, v47
	v_cmp_ne_u32_e32 vcc, s14, v2
                                        ; implicit-def: $vgpr2
	s_and_saveexec_b64 s[0:1], vcc
	s_xor_b64 s[0:1], exec, s[0:1]
; %bb.452:                              ;   in Loop: Header=BB188_43 Depth=1
	v_bfe_u32 v2, v47, 16, 1
	v_add3_u32 v2, v47, v2, s15
                                        ; implicit-def: $vgpr47
; %bb.453:                              ;   in Loop: Header=BB188_43 Depth=1
	s_andn2_saveexec_b64 s[0:1], s[0:1]
; %bb.454:                              ;   in Loop: Header=BB188_43 Depth=1
	v_or_b32_e32 v2, 0x10000, v47
	v_cmp_eq_u32_sdwa vcc, v47, v29 src0_sel:WORD_0 src1_sel:DWORD
	v_cndmask_b32_e32 v2, v2, v47, vcc
; %bb.455:                              ;   in Loop: Header=BB188_43 Depth=1
	s_or_b64 exec, exec, s[0:1]
	v_lshlrev_b32_e32 v8, 16, v8
	v_mul_f32_e32 v8, v58, v8
	v_and_b32_e32 v47, 0x7f800000, v8
	v_cmp_ne_u32_e32 vcc, s14, v47
                                        ; implicit-def: $vgpr47
	s_and_saveexec_b64 s[0:1], vcc
	s_xor_b64 s[0:1], exec, s[0:1]
; %bb.456:                              ;   in Loop: Header=BB188_43 Depth=1
	v_bfe_u32 v47, v8, 16, 1
	v_add3_u32 v47, v8, v47, s15
                                        ; implicit-def: $vgpr8
; %bb.457:                              ;   in Loop: Header=BB188_43 Depth=1
	s_andn2_saveexec_b64 s[0:1], s[0:1]
; %bb.458:                              ;   in Loop: Header=BB188_43 Depth=1
	v_or_b32_e32 v47, 0x10000, v8
	v_cmp_eq_u32_sdwa vcc, v8, v29 src0_sel:WORD_0 src1_sel:DWORD
	v_cndmask_b32_e32 v47, v47, v8, vcc
; %bb.459:                              ;   in Loop: Header=BB188_43 Depth=1
	s_or_b64 exec, exec, s[0:1]
	v_lshlrev_b32_e32 v3, 16, v3
	v_mul_f32_e32 v8, v59, v3
	v_and_b32_e32 v3, 0x7f800000, v8
	v_cmp_ne_u32_e32 vcc, s14, v3
                                        ; implicit-def: $vgpr3
	s_and_saveexec_b64 s[0:1], vcc
	s_xor_b64 s[0:1], exec, s[0:1]
; %bb.460:                              ;   in Loop: Header=BB188_43 Depth=1
	v_bfe_u32 v3, v8, 16, 1
	v_add3_u32 v3, v8, v3, s15
                                        ; implicit-def: $vgpr8
; %bb.461:                              ;   in Loop: Header=BB188_43 Depth=1
	s_andn2_saveexec_b64 s[0:1], s[0:1]
; %bb.462:                              ;   in Loop: Header=BB188_43 Depth=1
	v_or_b32_e32 v3, 0x10000, v8
	v_cmp_eq_u32_sdwa vcc, v8, v29 src0_sel:WORD_0 src1_sel:DWORD
	v_cndmask_b32_e32 v3, v3, v8, vcc
; %bb.463:                              ;   in Loop: Header=BB188_43 Depth=1
	s_or_b64 exec, exec, s[0:1]
	v_lshlrev_b32_e32 v8, 16, v39
	v_mul_f32_e32 v8, v60, v8
	v_and_b32_e32 v39, 0x7f800000, v8
	v_cmp_ne_u32_e32 vcc, s14, v39
                                        ; implicit-def: $vgpr49
	s_and_saveexec_b64 s[0:1], vcc
	s_xor_b64 s[0:1], exec, s[0:1]
; %bb.464:                              ;   in Loop: Header=BB188_43 Depth=1
	v_bfe_u32 v39, v8, 16, 1
	v_add3_u32 v49, v8, v39, s15
                                        ; implicit-def: $vgpr8
; %bb.465:                              ;   in Loop: Header=BB188_43 Depth=1
	s_andn2_saveexec_b64 s[0:1], s[0:1]
; %bb.466:                              ;   in Loop: Header=BB188_43 Depth=1
	v_or_b32_e32 v39, 0x10000, v8
	v_cmp_eq_u32_sdwa vcc, v8, v29 src0_sel:WORD_0 src1_sel:DWORD
	v_cndmask_b32_e32 v49, v39, v8, vcc
; %bb.467:                              ;   in Loop: Header=BB188_43 Depth=1
	s_or_b64 exec, exec, s[0:1]
	v_lshlrev_b32_e32 v4, 16, v4
	v_mul_f32_e32 v8, v62, v4
	v_and_b32_e32 v4, 0x7f800000, v8
	v_cmp_ne_u32_e32 vcc, s14, v4
                                        ; implicit-def: $vgpr4
	s_and_saveexec_b64 s[0:1], vcc
	s_xor_b64 s[0:1], exec, s[0:1]
; %bb.468:                              ;   in Loop: Header=BB188_43 Depth=1
	v_bfe_u32 v4, v8, 16, 1
	v_add3_u32 v4, v8, v4, s15
                                        ; implicit-def: $vgpr8
; %bb.469:                              ;   in Loop: Header=BB188_43 Depth=1
	s_andn2_saveexec_b64 s[0:1], s[0:1]
; %bb.470:                              ;   in Loop: Header=BB188_43 Depth=1
	v_or_b32_e32 v4, 0x10000, v8
	v_cmp_eq_u32_sdwa vcc, v8, v29 src0_sel:WORD_0 src1_sel:DWORD
	v_cndmask_b32_e32 v4, v4, v8, vcc
; %bb.471:                              ;   in Loop: Header=BB188_43 Depth=1
	s_or_b64 exec, exec, s[0:1]
	v_lshlrev_b32_e32 v8, 16, v56
	v_mul_f32_e32 v8, v63, v8
	v_and_b32_e32 v39, 0x7f800000, v8
	v_cmp_ne_u32_e32 vcc, s14, v39
                                        ; implicit-def: $vgpr50
	s_and_saveexec_b64 s[0:1], vcc
	s_xor_b64 s[0:1], exec, s[0:1]
; %bb.472:                              ;   in Loop: Header=BB188_43 Depth=1
	v_bfe_u32 v39, v8, 16, 1
	v_add3_u32 v50, v8, v39, s15
                                        ; implicit-def: $vgpr8
; %bb.473:                              ;   in Loop: Header=BB188_43 Depth=1
	s_andn2_saveexec_b64 s[0:1], s[0:1]
; %bb.474:                              ;   in Loop: Header=BB188_43 Depth=1
	v_or_b32_e32 v39, 0x10000, v8
	v_cmp_eq_u32_sdwa vcc, v8, v29 src0_sel:WORD_0 src1_sel:DWORD
	v_cndmask_b32_e32 v50, v39, v8, vcc
; %bb.475:                              ;   in Loop: Header=BB188_43 Depth=1
	s_or_b64 exec, exec, s[0:1]
	v_lshlrev_b32_e32 v5, 16, v5
	v_mul_f32_e32 v8, v64, v5
	v_and_b32_e32 v5, 0x7f800000, v8
	v_cmp_ne_u32_e32 vcc, s14, v5
                                        ; implicit-def: $vgpr5
	s_and_saveexec_b64 s[0:1], vcc
	s_xor_b64 s[0:1], exec, s[0:1]
; %bb.476:                              ;   in Loop: Header=BB188_43 Depth=1
	v_bfe_u32 v5, v8, 16, 1
	v_add3_u32 v5, v8, v5, s15
                                        ; implicit-def: $vgpr8
; %bb.477:                              ;   in Loop: Header=BB188_43 Depth=1
	s_andn2_saveexec_b64 s[0:1], s[0:1]
; %bb.478:                              ;   in Loop: Header=BB188_43 Depth=1
	v_or_b32_e32 v5, 0x10000, v8
	v_cmp_eq_u32_sdwa vcc, v8, v29 src0_sel:WORD_0 src1_sel:DWORD
	v_cndmask_b32_e32 v5, v5, v8, vcc
; %bb.479:                              ;   in Loop: Header=BB188_43 Depth=1
	s_or_b64 exec, exec, s[0:1]
	v_lshlrev_b32_e32 v8, 16, v55
	v_mul_f32_e32 v8, v65, v8
	v_and_b32_e32 v39, 0x7f800000, v8
	v_cmp_ne_u32_e32 vcc, s14, v39
                                        ; implicit-def: $vgpr51
	s_and_saveexec_b64 s[0:1], vcc
	s_xor_b64 s[0:1], exec, s[0:1]
; %bb.480:                              ;   in Loop: Header=BB188_43 Depth=1
	v_bfe_u32 v39, v8, 16, 1
	v_add3_u32 v51, v8, v39, s15
                                        ; implicit-def: $vgpr8
; %bb.481:                              ;   in Loop: Header=BB188_43 Depth=1
	s_andn2_saveexec_b64 s[0:1], s[0:1]
	s_cbranch_execz .LBB188_42
; %bb.482:                              ;   in Loop: Header=BB188_43 Depth=1
	v_or_b32_e32 v39, 0x10000, v8
	v_cmp_eq_u32_sdwa vcc, v8, v29 src0_sel:WORD_0 src1_sel:DWORD
	v_cndmask_b32_e32 v51, v39, v8, vcc
	s_branch .LBB188_42
.LBB188_483:
	s_or_b64 exec, exec, s[4:5]
	buffer_load_dword v24, off, s[44:47], 0 offset:132 ; 4-byte Folded Reload
	buffer_load_dword v25, off, s[44:47], 0 offset:40 ; 4-byte Folded Reload
	;; [unrolled: 1-line block ×5, first 2 shown]
.LBB188_484:
	s_or_b64 exec, exec, s[2:3]
	s_waitcnt vmcnt(1)
	ds_bpermute_b32 v0, v27, v22
	ds_bpermute_b32 v1, v27, v23
	ds_bpermute_b32 v2, v27, v20
	ds_bpermute_b32 v3, v27, v21
	ds_bpermute_b32 v6, v27, v18
	ds_bpermute_b32 v7, v27, v19
	s_waitcnt lgkmcnt(4)
	v_pk_add_f32 v[0:1], v[22:23], v[0:1]
	s_waitcnt vmcnt(0)
	ds_bpermute_b32 v4, v28, v0
	ds_bpermute_b32 v5, v28, v1
	s_waitcnt lgkmcnt(4)
	v_pk_add_f32 v[2:3], v[20:21], v[2:3]
	ds_bpermute_b32 v10, v27, v14
	ds_bpermute_b32 v11, v27, v15
	;; [unrolled: 1-line block ×3, first 2 shown]
	s_waitcnt lgkmcnt(3)
	v_pk_add_f32 v[20:21], v[0:1], v[4:5]
	ds_bpermute_b32 v4, v27, v16
	ds_bpermute_b32 v5, v27, v17
	v_pk_add_f32 v[0:1], v[18:19], v[6:7]
	ds_bpermute_b32 v9, v28, v3
	ds_bpermute_b32 v6, v28, v0
	;; [unrolled: 1-line block ×3, first 2 shown]
	s_waitcnt lgkmcnt(3)
	v_pk_add_f32 v[4:5], v[16:17], v[4:5]
	ds_bpermute_b32 v16, v28, v4
	ds_bpermute_b32 v17, v28, v5
	;; [unrolled: 1-line block ×4, first 2 shown]
	v_pk_add_f32 v[14:15], v[14:15], v[10:11]
	ds_bpermute_b32 v18, v28, v14
	ds_bpermute_b32 v19, v28, v15
	s_waitcnt lgkmcnt(8)
	v_pk_add_f32 v[10:11], v[2:3], v[8:9]
	s_waitcnt lgkmcnt(6)
	v_pk_add_f32 v[8:9], v[0:1], v[6:7]
	;; [unrolled: 2-line block ×4, first 2 shown]
	ds_bpermute_b32 v12, v28, v4
	ds_bpermute_b32 v13, v28, v5
	v_and_b32_e32 v0, 0x3c3, v24
	s_waitcnt lgkmcnt(2)
	v_pk_add_f32 v[2:3], v[14:15], v[18:19]
	v_cmp_ne_u32_e32 vcc, 64, v0
	s_waitcnt lgkmcnt(0)
	s_barrier
	s_and_saveexec_b64 s[0:1], vcc
	s_xor_b64 s[0:1], exec, s[0:1]
; %bb.485:
                                        ; implicit-def: $vgpr25
; %bb.486:
	s_or_saveexec_b64 s[0:1], s[0:1]
	v_pk_add_f32 v[4:5], v[4:5], v[12:13]
	s_xor_b64 exec, exec, s[0:1]
	s_cbranch_execz .LBB188_488
; %bb.487:
	v_add_u32_e32 v0, 0x190, v25
	ds_write2_b32 v0, v20, v21 offset1:16
	ds_write2_b32 v0, v10, v11 offset0:32 offset1:48
	ds_write2_b32 v0, v8, v9 offset0:64 offset1:80
	;; [unrolled: 1-line block ×5, first 2 shown]
.LBB188_488:
	s_or_b64 exec, exec, s[0:1]
	v_cmp_gt_u32_e32 vcc, 64, v24
	v_cmp_lt_u32_e64 s[0:1], 63, v24
	s_waitcnt lgkmcnt(0)
	s_barrier
	s_and_saveexec_b64 s[2:3], s[0:1]
	s_xor_b64 s[0:1], exec, s[2:3]
	s_andn2_saveexec_b64 s[2:3], s[0:1]
	s_cbranch_execz .LBB188_503
; %bb.489:
	v_cmp_eq_u32_e64 s[0:1], 0, v26
	v_lshrrev_b32_e32 v0, 2, v24
	s_and_saveexec_b64 s[4:5], s[0:1]
	s_cbranch_execnz .LBB188_555
; %bb.490:
	s_or_b64 exec, exec, s[4:5]
	s_and_saveexec_b64 s[4:5], s[0:1]
	s_cbranch_execnz .LBB188_556
.LBB188_491:
	s_or_b64 exec, exec, s[4:5]
	s_and_saveexec_b64 s[4:5], s[0:1]
	s_cbranch_execnz .LBB188_557
.LBB188_492:
	s_or_b64 exec, exec, s[4:5]
	s_and_saveexec_b64 s[4:5], s[0:1]
	s_cbranch_execnz .LBB188_558
.LBB188_493:
	s_or_b64 exec, exec, s[4:5]
	s_and_saveexec_b64 s[4:5], s[0:1]
	s_cbranch_execnz .LBB188_559
.LBB188_494:
	s_or_b64 exec, exec, s[4:5]
	s_and_saveexec_b64 s[4:5], s[0:1]
	s_cbranch_execnz .LBB188_560
.LBB188_495:
	s_or_b64 exec, exec, s[4:5]
	s_and_saveexec_b64 s[4:5], s[0:1]
	s_cbranch_execnz .LBB188_561
.LBB188_496:
	s_or_b64 exec, exec, s[4:5]
	s_and_saveexec_b64 s[4:5], s[0:1]
	s_cbranch_execnz .LBB188_562
.LBB188_497:
	s_or_b64 exec, exec, s[4:5]
	s_and_saveexec_b64 s[4:5], s[0:1]
	s_cbranch_execnz .LBB188_563
.LBB188_498:
	s_or_b64 exec, exec, s[4:5]
	s_and_saveexec_b64 s[4:5], s[0:1]
	s_cbranch_execnz .LBB188_564
.LBB188_499:
	s_or_b64 exec, exec, s[4:5]
	s_and_saveexec_b64 s[4:5], s[0:1]
	s_cbranch_execnz .LBB188_565
.LBB188_500:
	s_or_b64 exec, exec, s[4:5]
	s_and_saveexec_b64 s[4:5], s[0:1]
	s_cbranch_execz .LBB188_502
.LBB188_501:
	v_mov_b32_e32 v1, 0x190
	v_lshl_add_u32 v0, v0, 2, v1
	ds_read_b32 v0, v0 offset:704
	s_waitcnt lgkmcnt(0)
	v_add_f32_e32 v5, v5, v0
.LBB188_502:
	s_or_b64 exec, exec, s[4:5]
.LBB188_503:
	s_or_b64 exec, exec, s[2:3]
	s_barrier
	s_and_saveexec_b64 s[0:1], vcc
	s_cbranch_execz .LBB188_554
; %bb.504:
	v_cmp_eq_u32_e32 vcc, 0, v26
	s_and_b64 exec, exec, vcc
	s_cbranch_execz .LBB188_554
; %bb.505:
	s_mov_b32 s0, 0x7f800000
	v_and_b32_e32 v0, 0x7f800000, v20
	v_cmp_ne_u32_e32 vcc, s0, v0
                                        ; implicit-def: $vgpr12
	s_and_saveexec_b64 s[0:1], vcc
	s_xor_b64 s[0:1], exec, s[0:1]
; %bb.506:
	v_bfe_u32 v0, v20, 16, 1
	s_movk_i32 s2, 0x7fff
	v_add3_u32 v12, v20, v0, s2
; %bb.507:
	s_andn2_saveexec_b64 s[0:1], s[0:1]
; %bb.508:
	v_mov_b32_e32 v0, 0
	v_or_b32_e32 v1, 0x10000, v20
	v_cmp_eq_u32_sdwa vcc, v20, v0 src0_sel:WORD_0 src1_sel:DWORD
	v_cndmask_b32_e32 v12, v1, v20, vcc
; %bb.509:
	s_or_b64 exec, exec, s[0:1]
	s_mul_i32 s0, s12, s20
	s_mul_i32 s0, s0, s21
	s_mulk_i32 s0, 0xc0
	s_ashr_i32 s1, s0, 31
	s_lshl_b64 s[0:1], s[0:1], 1
	s_add_u32 s2, s24, s0
	s_mul_i32 s0, s12, s22
	s_addc_u32 s3, s25, s1
	s_ashr_i32 s1, s0, 31
	s_lshl_b64 s[0:1], s[0:1], 1
	s_add_u32 s2, s2, s0
	s_mul_i32 s0, s8, 0xc0
	s_addc_u32 s3, s3, s1
	s_ashr_i32 s1, s0, 31
	s_lshl_b64 s[0:1], s[0:1], 1
	s_add_u32 s0, s2, s0
	v_lshrrev_b32_e32 v0, 1, v24
	s_addc_u32 s1, s3, s1
	v_and_b32_e32 v13, 0x1fe, v0
	v_mov_b32_e32 v1, s1
	v_add_co_u32_e32 v0, vcc, s0, v13
	v_addc_co_u32_e32 v1, vcc, 0, v1, vcc
	global_store_short_d16_hi v13, v12, s[0:1]
	s_mov_b32 s0, 0x7f800000
	v_and_b32_e32 v12, 0x7f800000, v21
	v_cmp_ne_u32_e32 vcc, s0, v12
                                        ; implicit-def: $vgpr12
	s_and_saveexec_b64 s[0:1], vcc
	s_xor_b64 s[0:1], exec, s[0:1]
; %bb.510:
	v_bfe_u32 v12, v21, 16, 1
	s_movk_i32 s2, 0x7fff
	v_add3_u32 v12, v21, v12, s2
                                        ; implicit-def: $vgpr20_vgpr21
; %bb.511:
	s_andn2_saveexec_b64 s[0:1], s[0:1]
; %bb.512:
	v_mov_b32_e32 v12, 0
	v_or_b32_e32 v13, 0x10000, v21
	v_cmp_eq_u32_sdwa vcc, v21, v12 src0_sel:WORD_0 src1_sel:DWORD
	v_cndmask_b32_e32 v12, v13, v21, vcc
; %bb.513:
	s_or_b64 exec, exec, s[0:1]
	global_store_short_d16_hi v[0:1], v12, off offset:32
	s_mov_b32 s0, 0x7f800000
	v_and_b32_e32 v12, 0x7f800000, v10
	v_cmp_ne_u32_e32 vcc, s0, v12
                                        ; implicit-def: $vgpr12
	s_and_saveexec_b64 s[0:1], vcc
	s_xor_b64 s[0:1], exec, s[0:1]
; %bb.514:
	v_bfe_u32 v12, v10, 16, 1
	s_movk_i32 s2, 0x7fff
	v_add3_u32 v12, v10, v12, s2
; %bb.515:
	s_andn2_saveexec_b64 s[0:1], s[0:1]
; %bb.516:
	v_mov_b32_e32 v12, 0
	v_or_b32_e32 v13, 0x10000, v10
	v_cmp_eq_u32_sdwa vcc, v10, v12 src0_sel:WORD_0 src1_sel:DWORD
	v_cndmask_b32_e32 v12, v13, v10, vcc
; %bb.517:
	s_or_b64 exec, exec, s[0:1]
	s_mov_b32 s0, 0x7f800000
	v_and_b32_e32 v10, 0x7f800000, v11
	v_cmp_ne_u32_e32 vcc, s0, v10
	global_store_short_d16_hi v[0:1], v12, off offset:64
                                        ; implicit-def: $vgpr12
	s_and_saveexec_b64 s[0:1], vcc
	s_xor_b64 s[0:1], exec, s[0:1]
; %bb.518:
	v_bfe_u32 v10, v11, 16, 1
	s_movk_i32 s2, 0x7fff
	v_add3_u32 v12, v11, v10, s2
                                        ; implicit-def: $vgpr10_vgpr11
; %bb.519:
	s_andn2_saveexec_b64 s[0:1], s[0:1]
; %bb.520:
	v_mov_b32_e32 v10, 0
	v_or_b32_e32 v12, 0x10000, v11
	v_cmp_eq_u32_sdwa vcc, v11, v10 src0_sel:WORD_0 src1_sel:DWORD
	v_cndmask_b32_e32 v12, v12, v11, vcc
; %bb.521:
	s_or_b64 exec, exec, s[0:1]
	s_mov_b32 s0, 0x7f800000
	v_and_b32_e32 v10, 0x7f800000, v8
	v_cmp_ne_u32_e32 vcc, s0, v10
	global_store_short_d16_hi v[0:1], v12, off offset:96
                                        ; implicit-def: $vgpr10
	s_and_saveexec_b64 s[0:1], vcc
	s_xor_b64 s[0:1], exec, s[0:1]
; %bb.522:
	v_bfe_u32 v10, v8, 16, 1
	s_movk_i32 s2, 0x7fff
	v_add3_u32 v10, v8, v10, s2
; %bb.523:
	s_andn2_saveexec_b64 s[0:1], s[0:1]
; %bb.524:
	v_mov_b32_e32 v10, 0
	v_or_b32_e32 v11, 0x10000, v8
	v_cmp_eq_u32_sdwa vcc, v8, v10 src0_sel:WORD_0 src1_sel:DWORD
	v_cndmask_b32_e32 v10, v11, v8, vcc
; %bb.525:
	s_or_b64 exec, exec, s[0:1]
	s_mov_b32 s0, 0x7f800000
	v_and_b32_e32 v8, 0x7f800000, v9
	v_cmp_ne_u32_e32 vcc, s0, v8
	global_store_short_d16_hi v[0:1], v10, off offset:128
                                        ; implicit-def: $vgpr10
	s_and_saveexec_b64 s[0:1], vcc
	s_xor_b64 s[0:1], exec, s[0:1]
; %bb.526:
	v_bfe_u32 v8, v9, 16, 1
	s_movk_i32 s2, 0x7fff
	v_add3_u32 v10, v9, v8, s2
                                        ; implicit-def: $vgpr8_vgpr9
; %bb.527:
	s_andn2_saveexec_b64 s[0:1], s[0:1]
; %bb.528:
	v_mov_b32_e32 v8, 0
	v_or_b32_e32 v10, 0x10000, v9
	v_cmp_eq_u32_sdwa vcc, v9, v8 src0_sel:WORD_0 src1_sel:DWORD
	v_cndmask_b32_e32 v10, v10, v9, vcc
; %bb.529:
	s_or_b64 exec, exec, s[0:1]
	s_mov_b32 s0, 0x7f800000
	v_and_b32_e32 v8, 0x7f800000, v6
	v_cmp_ne_u32_e32 vcc, s0, v8
	global_store_short_d16_hi v[0:1], v10, off offset:160
                                        ; implicit-def: $vgpr8
	s_and_saveexec_b64 s[0:1], vcc
	s_xor_b64 s[0:1], exec, s[0:1]
; %bb.530:
	v_bfe_u32 v8, v6, 16, 1
	s_movk_i32 s2, 0x7fff
	v_add3_u32 v8, v6, v8, s2
; %bb.531:
	s_andn2_saveexec_b64 s[0:1], s[0:1]
; %bb.532:
	v_mov_b32_e32 v8, 0
	v_or_b32_e32 v9, 0x10000, v6
	v_cmp_eq_u32_sdwa vcc, v6, v8 src0_sel:WORD_0 src1_sel:DWORD
	v_cndmask_b32_e32 v8, v9, v6, vcc
; %bb.533:
	s_or_b64 exec, exec, s[0:1]
	s_mov_b32 s0, 0x7f800000
	v_and_b32_e32 v6, 0x7f800000, v7
	v_cmp_ne_u32_e32 vcc, s0, v6
	global_store_short_d16_hi v[0:1], v8, off offset:192
                                        ; implicit-def: $vgpr8
	s_and_saveexec_b64 s[0:1], vcc
	s_xor_b64 s[0:1], exec, s[0:1]
; %bb.534:
	v_bfe_u32 v6, v7, 16, 1
	s_movk_i32 s2, 0x7fff
	v_add3_u32 v8, v7, v6, s2
                                        ; implicit-def: $vgpr6_vgpr7
; %bb.535:
	s_andn2_saveexec_b64 s[0:1], s[0:1]
; %bb.536:
	v_mov_b32_e32 v6, 0
	v_or_b32_e32 v8, 0x10000, v7
	v_cmp_eq_u32_sdwa vcc, v7, v6 src0_sel:WORD_0 src1_sel:DWORD
	v_cndmask_b32_e32 v8, v8, v7, vcc
; %bb.537:
	s_or_b64 exec, exec, s[0:1]
	s_mov_b32 s0, 0x7f800000
	v_and_b32_e32 v6, 0x7f800000, v2
	v_cmp_ne_u32_e32 vcc, s0, v6
	global_store_short_d16_hi v[0:1], v8, off offset:224
                                        ; implicit-def: $vgpr6
	s_and_saveexec_b64 s[0:1], vcc
	s_xor_b64 s[0:1], exec, s[0:1]
; %bb.538:
	v_bfe_u32 v6, v2, 16, 1
	s_movk_i32 s2, 0x7fff
	v_add3_u32 v6, v2, v6, s2
; %bb.539:
	s_andn2_saveexec_b64 s[0:1], s[0:1]
; %bb.540:
	v_mov_b32_e32 v6, 0
	v_or_b32_e32 v7, 0x10000, v2
	v_cmp_eq_u32_sdwa vcc, v2, v6 src0_sel:WORD_0 src1_sel:DWORD
	v_cndmask_b32_e32 v6, v7, v2, vcc
; %bb.541:
	s_or_b64 exec, exec, s[0:1]
	s_mov_b32 s0, 0x7f800000
	v_and_b32_e32 v2, 0x7f800000, v3
	v_cmp_ne_u32_e32 vcc, s0, v2
	global_store_short_d16_hi v[0:1], v6, off offset:256
                                        ; implicit-def: $vgpr6
	s_and_saveexec_b64 s[0:1], vcc
	s_xor_b64 s[0:1], exec, s[0:1]
; %bb.542:
	v_bfe_u32 v2, v3, 16, 1
	s_movk_i32 s2, 0x7fff
	v_add3_u32 v6, v3, v2, s2
                                        ; implicit-def: $vgpr2_vgpr3
; %bb.543:
	s_andn2_saveexec_b64 s[0:1], s[0:1]
; %bb.544:
	v_mov_b32_e32 v2, 0
	v_or_b32_e32 v6, 0x10000, v3
	v_cmp_eq_u32_sdwa vcc, v3, v2 src0_sel:WORD_0 src1_sel:DWORD
	v_cndmask_b32_e32 v6, v6, v3, vcc
; %bb.545:
	s_or_b64 exec, exec, s[0:1]
	s_mov_b32 s0, 0x7f800000
	v_and_b32_e32 v2, 0x7f800000, v4
	v_cmp_ne_u32_e32 vcc, s0, v2
	global_store_short_d16_hi v[0:1], v6, off offset:288
                                        ; implicit-def: $vgpr2
	s_and_saveexec_b64 s[0:1], vcc
	s_xor_b64 s[0:1], exec, s[0:1]
; %bb.546:
	v_bfe_u32 v2, v4, 16, 1
	s_movk_i32 s2, 0x7fff
	v_add3_u32 v2, v4, v2, s2
; %bb.547:
	s_andn2_saveexec_b64 s[0:1], s[0:1]
; %bb.548:
	v_mov_b32_e32 v2, 0
	v_or_b32_e32 v3, 0x10000, v4
	v_cmp_eq_u32_sdwa vcc, v4, v2 src0_sel:WORD_0 src1_sel:DWORD
	v_cndmask_b32_e32 v2, v3, v4, vcc
; %bb.549:
	s_or_b64 exec, exec, s[0:1]
	global_store_short_d16_hi v[0:1], v2, off offset:320
	s_mov_b32 s0, 0x7f800000
	v_and_b32_e32 v2, 0x7f800000, v5
	v_cmp_ne_u32_e32 vcc, s0, v2
                                        ; implicit-def: $vgpr2
	s_and_saveexec_b64 s[0:1], vcc
	s_xor_b64 s[0:1], exec, s[0:1]
; %bb.550:
	v_bfe_u32 v2, v5, 16, 1
	s_movk_i32 s2, 0x7fff
	v_add3_u32 v2, v5, v2, s2
                                        ; implicit-def: $vgpr4_vgpr5
; %bb.551:
	s_andn2_saveexec_b64 s[0:1], s[0:1]
; %bb.552:
	v_mov_b32_e32 v2, 0
	v_or_b32_e32 v3, 0x10000, v5
	v_cmp_eq_u32_sdwa vcc, v5, v2 src0_sel:WORD_0 src1_sel:DWORD
	v_cndmask_b32_e32 v2, v3, v5, vcc
; %bb.553:
	s_or_b64 exec, exec, s[0:1]
	global_store_short_d16_hi v[0:1], v2, off offset:352
.LBB188_554:
	s_endpgm
.LBB188_555:
	v_mov_b32_e32 v1, 0x190
	v_lshl_add_u32 v1, v0, 2, v1
	ds_read_b32 v1, v1
	s_waitcnt lgkmcnt(0)
	v_add_f32_e32 v20, v20, v1
	s_or_b64 exec, exec, s[4:5]
	s_and_saveexec_b64 s[4:5], s[0:1]
	s_cbranch_execz .LBB188_491
.LBB188_556:
	v_mov_b32_e32 v1, 0x190
	v_lshl_add_u32 v1, v0, 2, v1
	ds_read_b32 v1, v1 offset:64
	s_waitcnt lgkmcnt(0)
	v_add_f32_e32 v21, v21, v1
	s_or_b64 exec, exec, s[4:5]
	s_and_saveexec_b64 s[4:5], s[0:1]
	s_cbranch_execz .LBB188_492
.LBB188_557:
	v_mov_b32_e32 v1, 0x190
	v_lshl_add_u32 v1, v0, 2, v1
	ds_read_b32 v1, v1 offset:128
	s_waitcnt lgkmcnt(0)
	v_add_f32_e32 v10, v10, v1
	s_or_b64 exec, exec, s[4:5]
	s_and_saveexec_b64 s[4:5], s[0:1]
	s_cbranch_execz .LBB188_493
.LBB188_558:
	v_mov_b32_e32 v1, 0x190
	v_lshl_add_u32 v1, v0, 2, v1
	ds_read_b32 v1, v1 offset:192
	s_waitcnt lgkmcnt(0)
	v_add_f32_e32 v11, v11, v1
	s_or_b64 exec, exec, s[4:5]
	s_and_saveexec_b64 s[4:5], s[0:1]
	s_cbranch_execz .LBB188_494
.LBB188_559:
	v_mov_b32_e32 v1, 0x190
	v_lshl_add_u32 v1, v0, 2, v1
	ds_read_b32 v1, v1 offset:256
	s_waitcnt lgkmcnt(0)
	v_add_f32_e32 v8, v8, v1
	s_or_b64 exec, exec, s[4:5]
	s_and_saveexec_b64 s[4:5], s[0:1]
	s_cbranch_execz .LBB188_495
.LBB188_560:
	v_mov_b32_e32 v1, 0x190
	v_lshl_add_u32 v1, v0, 2, v1
	ds_read_b32 v1, v1 offset:320
	s_waitcnt lgkmcnt(0)
	v_add_f32_e32 v9, v9, v1
	s_or_b64 exec, exec, s[4:5]
	s_and_saveexec_b64 s[4:5], s[0:1]
	s_cbranch_execz .LBB188_496
.LBB188_561:
	v_mov_b32_e32 v1, 0x190
	v_lshl_add_u32 v1, v0, 2, v1
	ds_read_b32 v1, v1 offset:384
	s_waitcnt lgkmcnt(0)
	v_add_f32_e32 v6, v6, v1
	s_or_b64 exec, exec, s[4:5]
	s_and_saveexec_b64 s[4:5], s[0:1]
	s_cbranch_execz .LBB188_497
.LBB188_562:
	v_mov_b32_e32 v1, 0x190
	v_lshl_add_u32 v1, v0, 2, v1
	ds_read_b32 v1, v1 offset:448
	s_waitcnt lgkmcnt(0)
	v_add_f32_e32 v7, v7, v1
	s_or_b64 exec, exec, s[4:5]
	s_and_saveexec_b64 s[4:5], s[0:1]
	s_cbranch_execz .LBB188_498
.LBB188_563:
	v_mov_b32_e32 v1, 0x190
	v_lshl_add_u32 v1, v0, 2, v1
	ds_read_b32 v1, v1 offset:512
	s_waitcnt lgkmcnt(0)
	v_add_f32_e32 v2, v2, v1
	s_or_b64 exec, exec, s[4:5]
	s_and_saveexec_b64 s[4:5], s[0:1]
	s_cbranch_execz .LBB188_499
.LBB188_564:
	v_mov_b32_e32 v1, 0x190
	v_lshl_add_u32 v1, v0, 2, v1
	ds_read_b32 v1, v1 offset:576
	s_waitcnt lgkmcnt(0)
	v_add_f32_e32 v3, v3, v1
	s_or_b64 exec, exec, s[4:5]
	s_and_saveexec_b64 s[4:5], s[0:1]
	s_cbranch_execz .LBB188_500
.LBB188_565:
	v_mov_b32_e32 v1, 0x190
	v_lshl_add_u32 v1, v0, 2, v1
	ds_read_b32 v1, v1 offset:640
	s_waitcnt lgkmcnt(0)
	v_add_f32_e32 v4, v4, v1
	s_or_b64 exec, exec, s[4:5]
	s_and_saveexec_b64 s[4:5], s[0:1]
	s_cbranch_execnz .LBB188_501
	s_branch .LBB188_502
	.section	.rodata,"a",@progbits
	.p2align	6, 0x0
	.amdhsa_kernel _ZN4vllm25paged_attention_v2_kernelI14__hip_bfloat16S1_Li192ELi32ELi128ELNS_18Fp8KVCacheDataTypeE0ELb0ELi512EEEvPfS3_PT_PKS4_PKT0_SA_ifPKiSC_iPKfiiiSE_SE_iiiii
		.amdhsa_group_segment_fixed_size 400
		.amdhsa_private_segment_fixed_size 152
		.amdhsa_kernarg_size 400
		.amdhsa_user_sgpr_count 6
		.amdhsa_user_sgpr_private_segment_buffer 1
		.amdhsa_user_sgpr_dispatch_ptr 0
		.amdhsa_user_sgpr_queue_ptr 0
		.amdhsa_user_sgpr_kernarg_segment_ptr 1
		.amdhsa_user_sgpr_dispatch_id 0
		.amdhsa_user_sgpr_flat_scratch_init 0
		.amdhsa_user_sgpr_kernarg_preload_length 0
		.amdhsa_user_sgpr_kernarg_preload_offset 0
		.amdhsa_user_sgpr_private_segment_size 0
		.amdhsa_uses_dynamic_stack 0
		.amdhsa_system_sgpr_private_segment_wavefront_offset 1
		.amdhsa_system_sgpr_workgroup_id_x 1
		.amdhsa_system_sgpr_workgroup_id_y 1
		.amdhsa_system_sgpr_workgroup_id_z 1
		.amdhsa_system_sgpr_workgroup_info 0
		.amdhsa_system_vgpr_workitem_id 0
		.amdhsa_next_free_vgpr 128
		.amdhsa_next_free_sgpr 48
		.amdhsa_accum_offset 128
		.amdhsa_reserve_vcc 1
		.amdhsa_reserve_flat_scratch 0
		.amdhsa_float_round_mode_32 0
		.amdhsa_float_round_mode_16_64 0
		.amdhsa_float_denorm_mode_32 3
		.amdhsa_float_denorm_mode_16_64 3
		.amdhsa_dx10_clamp 1
		.amdhsa_ieee_mode 1
		.amdhsa_fp16_overflow 0
		.amdhsa_tg_split 0
		.amdhsa_exception_fp_ieee_invalid_op 0
		.amdhsa_exception_fp_denorm_src 0
		.amdhsa_exception_fp_ieee_div_zero 0
		.amdhsa_exception_fp_ieee_overflow 0
		.amdhsa_exception_fp_ieee_underflow 0
		.amdhsa_exception_fp_ieee_inexact 0
		.amdhsa_exception_int_div_zero 0
	.end_amdhsa_kernel
	.section	.text._ZN4vllm25paged_attention_v2_kernelI14__hip_bfloat16S1_Li192ELi32ELi128ELNS_18Fp8KVCacheDataTypeE0ELb0ELi512EEEvPfS3_PT_PKS4_PKT0_SA_ifPKiSC_iPKfiiiSE_SE_iiiii,"axG",@progbits,_ZN4vllm25paged_attention_v2_kernelI14__hip_bfloat16S1_Li192ELi32ELi128ELNS_18Fp8KVCacheDataTypeE0ELb0ELi512EEEvPfS3_PT_PKS4_PKT0_SA_ifPKiSC_iPKfiiiSE_SE_iiiii,comdat
.Lfunc_end188:
	.size	_ZN4vllm25paged_attention_v2_kernelI14__hip_bfloat16S1_Li192ELi32ELi128ELNS_18Fp8KVCacheDataTypeE0ELb0ELi512EEEvPfS3_PT_PKS4_PKT0_SA_ifPKiSC_iPKfiiiSE_SE_iiiii, .Lfunc_end188-_ZN4vllm25paged_attention_v2_kernelI14__hip_bfloat16S1_Li192ELi32ELi128ELNS_18Fp8KVCacheDataTypeE0ELb0ELi512EEEvPfS3_PT_PKS4_PKT0_SA_ifPKiSC_iPKfiiiSE_SE_iiiii
                                        ; -- End function
	.section	.AMDGPU.csdata,"",@progbits
; Kernel info:
; codeLenInByte = 19808
; NumSgprs: 52
; NumVgprs: 128
; NumAgprs: 0
; TotalNumVgprs: 128
; ScratchSize: 152
; MemoryBound: 0
; FloatMode: 240
; IeeeMode: 1
; LDSByteSize: 400 bytes/workgroup (compile time only)
; SGPRBlocks: 6
; VGPRBlocks: 15
; NumSGPRsForWavesPerEU: 52
; NumVGPRsForWavesPerEU: 128
; AccumOffset: 128
; Occupancy: 4
; WaveLimiterHint : 1
; COMPUTE_PGM_RSRC2:SCRATCH_EN: 1
; COMPUTE_PGM_RSRC2:USER_SGPR: 6
; COMPUTE_PGM_RSRC2:TRAP_HANDLER: 0
; COMPUTE_PGM_RSRC2:TGID_X_EN: 1
; COMPUTE_PGM_RSRC2:TGID_Y_EN: 1
; COMPUTE_PGM_RSRC2:TGID_Z_EN: 1
; COMPUTE_PGM_RSRC2:TIDIG_COMP_CNT: 0
; COMPUTE_PGM_RSRC3_GFX90A:ACCUM_OFFSET: 31
; COMPUTE_PGM_RSRC3_GFX90A:TG_SPLIT: 0
	.text
	.p2align	2                               ; -- Begin function _ZN4vllm22paged_attention_kernelI14__hip_bfloat16S1_Li256ELi32ELi128ELNS_18Fp8KVCacheDataTypeE0ELb0ELi512EEEvPfS3_PT_PKS4_PKT0_SA_ifPKiSC_iPKfiiiSE_SE_iiiii
	.type	_ZN4vllm22paged_attention_kernelI14__hip_bfloat16S1_Li256ELi32ELi128ELNS_18Fp8KVCacheDataTypeE0ELb0ELi512EEEvPfS3_PT_PKS4_PKT0_SA_ifPKiSC_iPKfiiiSE_SE_iiiii,@function
_ZN4vllm22paged_attention_kernelI14__hip_bfloat16S1_Li256ELi32ELi128ELNS_18Fp8KVCacheDataTypeE0ELb0ELi512EEEvPfS3_PT_PKS4_PKT0_SA_ifPKiSC_iPKfiiiSE_SE_iiiii: ; @_ZN4vllm22paged_attention_kernelI14__hip_bfloat16S1_Li256ELi32ELi128ELNS_18Fp8KVCacheDataTypeE0ELb0ELi512EEEvPfS3_PT_PKS4_PKT0_SA_ifPKiSC_iPKfiiiSE_SE_iiiii
; %bb.0:
	s_waitcnt vmcnt(0) expcnt(0) lgkmcnt(0)
	s_or_saveexec_b64 s[4:5], -1
	buffer_store_dword v63, off, s[0:3], s32 offset:612 ; 4-byte Folded Spill
	s_mov_b64 exec, s[4:5]
	buffer_store_dword v40, off, s[0:3], s32 offset:184 ; 4-byte Folded Spill
	buffer_store_dword v41, off, s[0:3], s32 offset:180 ; 4-byte Folded Spill
	;; [unrolled: 1-line block ×46, first 2 shown]
	buffer_store_dword a63, off, s[0:3], s32 ; 4-byte Folded Spill
	v_writelane_b32 v63, s34, 0
	v_writelane_b32 v63, s35, 1
	;; [unrolled: 1-line block ×7, first 2 shown]
	s_mov_b32 s22, s13
	s_ashr_i32 s23, s13, 31
	s_lshl_b64 s[4:5], s[22:23], 2
	v_mov_b32_e32 v26, v1
	v_mov_b32_e32 v27, v0
	;; [unrolled: 1-line block ×3, first 2 shown]
	v_add_co_u32_e32 v0, vcc, s4, v16
	buffer_store_dword v22, off, s[0:3], s32 offset:192 ; 4-byte Folded Spill
	s_nop 0
	buffer_store_dword v23, off, s[0:3], s32 offset:196 ; 4-byte Folded Spill
	buffer_store_dword v13, off, s[0:3], s32 offset:528 ; 4-byte Folded Spill
	;; [unrolled: 1-line block ×4, first 2 shown]
	v_addc_co_u32_e32 v1, vcc, v17, v1, vcc
	flat_load_dword v62, v[0:1]
	s_lshl_b32 s36, s14, 9
	v_mov_b32_e32 v25, v20
	v_mov_b32_e32 v24, v19
	;; [unrolled: 1-line block ×4, first 2 shown]
	s_waitcnt vmcnt(0) lgkmcnt(0)
	v_cmp_lt_i32_e32 vcc, s36, v62
	s_and_saveexec_b64 s[20:21], vcc
	s_cbranch_execz .LBB189_710
; %bb.1:
	v_sub_u32_e32 v0, 0, v12
	v_max_i32_e32 v0, v12, v0
	v_cvt_f32_u32_e32 v1, v0
	s_load_dword s4, s[8:9], 0x10
	s_load_dword s6, s[8:9], 0x0
	v_sub_u32_e32 v3, 0, v0
	s_mov_b32 s24, s15
	v_rcp_iflag_f32_e32 v1, v1
	s_waitcnt lgkmcnt(0)
	s_lshr_b32 s4, s4, 16
	s_cmp_lg_u32 s4, 0
	s_cselect_b64 s[4:5], -1, 0
	v_mul_f32_e32 v1, 0x4f7ffffe, v1
	v_cvt_u32_f32_e32 v1, v1
	s_cmp_lg_u64 s[4:5], 0
	s_addc_u32 s23, s6, 0
	s_abs_i32 s4, s23
	v_mul_lo_u32 v3, v3, v1
	v_mul_hi_u32 v3, v1, v3
	v_add_u32_e32 v1, v1, v3
	v_mul_hi_u32 v1, s4, v1
	v_mul_lo_u32 v3, v1, v0
	v_sub_u32_e32 v3, s4, v3
	v_add_u32_e32 v4, 1, v1
	v_cmp_ge_u32_e32 vcc, v3, v0
	v_cndmask_b32_e32 v1, v1, v4, vcc
	v_sub_u32_e32 v4, v3, v0
	v_cndmask_b32_e32 v3, v3, v4, vcc
	v_xor_b32_e32 v2, s23, v12
	v_add_u32_e32 v4, 1, v1
	v_cmp_ge_u32_e32 vcc, v3, v0
	v_ashrrev_i32_e32 v2, 31, v2
	v_cndmask_b32_e32 v0, v1, v4, vcc
	v_xor_b32_e32 v0, v0, v2
	v_sub_u32_e32 v2, v0, v2
	v_sub_u32_e32 v0, 0, v2
	v_max_i32_e32 v3, v2, v0
	v_cvt_f32_u32_e32 v0, v3
	v_sub_u32_e32 v1, 0, v3
	s_abs_i32 s16, s12
	v_cmp_ne_u64_e32 vcc, 0, v[24:25]
	v_rcp_iflag_f32_e32 v0, v0
	v_mul_f32_e32 v0, 0x4f7ffffe, v0
	v_cvt_u32_f32_e32 v0, v0
	v_mul_lo_u32 v1, v1, v0
	v_mul_hi_u32 v1, v0, v1
	v_add_u32_e32 v0, v0, v1
	v_mad_u64_u32 v[0:1], s[4:5], s16, v0, 0
	v_mov_b32_e32 v0, 0
	buffer_store_dword v0, off, s[0:3], s32 offset:524 ; 4-byte Folded Spill
	s_and_saveexec_b64 s[4:5], vcc
	s_cbranch_execz .LBB189_3
; %bb.2:
	s_ashr_i32 s13, s12, 31
	s_lshl_b64 s[6:7], s[12:13], 2
	v_mov_b32_e32 v0, s7
	v_add_co_u32_e32 v4, vcc, s6, v24
	v_addc_co_u32_e32 v5, vcc, v25, v0, vcc
	flat_load_dword v0, v[4:5]
	s_waitcnt vmcnt(0) lgkmcnt(0)
	buffer_store_dword v0, off, s[0:3], s32 offset:524 ; 4-byte Folded Spill
.LBB189_3:
	s_or_b64 exec, exec, s[4:5]
	v_and_b32_e32 v22, 0x3ff, v31
	s_ashr_i32 s13, s12, 31
	v_ashrrev_i32_e32 v0, 31, v2
	v_and_b32_e32 v2, 1, v22
	s_lshl_b32 s26, s12, 8
	v_cmp_lt_u32_e64 s[6:7], 63, v22
	v_cmp_gt_u32_e64 s[4:5], 64, v22
	v_lshlrev_b32_e32 v35, 3, v22
	s_and_saveexec_b64 s[10:11], s[4:5]
	s_cbranch_execz .LBB189_5
; %bb.4:
	v_mul_lo_u32 v4, s22, v21
	v_ashrrev_i32_e32 v5, 31, v4
	v_lshlrev_b64 v[4:5], 1, v[4:5]
	v_add_co_u32_e32 v4, vcc, v6, v4
	s_ashr_i32 s27, s26, 31
	v_addc_co_u32_e32 v5, vcc, v7, v5, vcc
	s_lshl_b64 s[18:19], s[26:27], 1
	v_mov_b32_e32 v6, s19
	v_add_co_u32_e32 v4, vcc, s18, v4
	v_addc_co_u32_e32 v5, vcc, v5, v6, vcc
	v_add_co_u32_e32 v4, vcc, v4, v35
	v_addc_co_u32_e32 v5, vcc, 0, v5, vcc
	flat_load_dwordx2 v[4:5], v[4:5]
	v_lshlrev_b32_e32 v6, 2, v22
	v_and_b32_e32 v6, 0xff8, v6
	v_lshl_add_u32 v6, v2, 8, v6
	s_waitcnt vmcnt(0) lgkmcnt(0)
	ds_write_b64 v6, v[4:5]
.LBB189_5:
	s_or_b64 exec, exec, s[10:11]
	v_add_u32_e32 v4, 31, v62
	v_ashrrev_i32_e32 v5, 31, v4
	v_lshrrev_b32_e32 v5, 27, v5
	v_add_u32_e32 v4, v4, v5
	v_ashrrev_i32_e32 v39, 5, v4
	v_mul_lo_u32 v4, v1, v3
	v_sub_u32_e32 v4, s16, v4
	v_add_u32_e32 v5, 1, v1
	v_cmp_ge_u32_e32 vcc, v4, v3
	v_cndmask_b32_e32 v1, v1, v5, vcc
	v_sub_u32_e32 v5, v4, v3
	v_cndmask_b32_e32 v4, v4, v5, vcc
	v_add_u32_e32 v5, 1, v1
	v_cmp_ge_u32_e32 vcc, v4, v3
	s_lshl_b32 s15, s14, 4
	v_xor_b32_e32 v0, s13, v0
	v_cndmask_b32_e32 v1, v1, v5, vcc
	s_add_i32 s10, s15, 16
	v_lshrrev_b32_e32 v38, 6, v22
	v_xor_b32_e32 v1, v1, v0
	v_min_i32_e32 v6, s10, v39
	v_sub_u32_e32 v4, v1, v0
	v_mul_lo_u32 v0, s22, v18
	v_or_b32_e32 v36, s15, v38
	v_ashrrev_i32_e32 v1, 31, v0
	v_cmp_lt_i32_e64 s[16:17], v36, v6
	v_cmp_ge_i32_e32 vcc, v36, v6
	v_mbcnt_lo_u32_b32 v3, -1, 0
	s_waitcnt lgkmcnt(0)
	s_barrier
	buffer_store_dword v6, off, s[0:3], s32 offset:188 ; 4-byte Folded Spill
                                        ; implicit-def: $sgpr25
                                        ; implicit-def: $vgpr12
                                        ; implicit-def: $vgpr13
	s_and_saveexec_b64 s[10:11], vcc
	s_xor_b64 s[10:11], exec, s[10:11]
; %bb.6:
	v_mbcnt_hi_u32_b32 v12, -1, v3
	v_and_b32_e32 v2, 64, v12
	v_add_u32_e32 v13, 64, v2
                                        ; implicit-def: $vgpr2
	s_mov_b32 s25, 0xff7fffff
                                        ; kill: killed $vgpr2
                                        ; implicit-def: $vgpr2
                                        ; kill: killed $vgpr2
                                        ; implicit-def: $vgpr8
                                        ; implicit-def: $vgpr9
                                        ; implicit-def: $vgpr2
                                        ; implicit-def: $vgpr3
; %bb.7:
	s_or_saveexec_b64 s[18:19], s[10:11]
	s_load_dword s27, s[8:9], 0x14
	s_load_dword s13, s[8:9], 0x8
	v_mul_lo_u32 v50, v4, v23
	v_mov_b32_e32 v5, s25
	v_ashrrev_i32_e32 v37, 31, v36
	v_ashrrev_i32_e32 v51, 31, v50
	v_lshlrev_b64 v[48:49], 2, v[0:1]
	buffer_store_dword v22, off, s[0:3], s32 offset:532 ; 4-byte Folded Spill
	s_xor_b64 exec, exec, s[18:19]
	s_cbranch_execz .LBB189_13
; %bb.8:
	buffer_store_dword v39, off, s[0:3], s32 offset:544 ; 4-byte Folded Spill
	buffer_store_dword v29, off, s[0:3], s32 offset:576 ; 4-byte Folded Spill
	buffer_store_dword v28, off, s[0:3], s32 offset:580 ; 4-byte Folded Spill
	buffer_store_dword v27, off, s[0:3], s32 offset:584 ; 4-byte Folded Spill
	buffer_store_dword v26, off, s[0:3], s32 offset:592 ; 4-byte Folded Spill
	buffer_store_dword v10, off, s[0:3], s32 offset:596 ; 4-byte Folded Spill
	buffer_store_dword v11, off, s[0:3], s32 offset:600 ; 4-byte Folded Spill
	v_lshlrev_b32_e32 v0, 8, v2
	ds_read_b128 v[4:7], v0
	ds_read_b128 v[10:13], v0 offset:16
	ds_read_b128 v[24:27], v0 offset:32
	;; [unrolled: 1-line block ×3, first 2 shown]
	s_ashr_i32 s25, s24, 31
	s_waitcnt lgkmcnt(0)
	v_and_b32_e32 v1, 0xffff0000, v4
	buffer_store_dword v1, off, s[0:3], s32 offset:212 ; 4-byte Folded Spill
	v_lshlrev_b32_e32 v1, 16, v5
	buffer_store_dword v1, off, s[0:3], s32 offset:216 ; 4-byte Folded Spill
	v_and_b32_e32 v1, 0xffff0000, v5
	buffer_store_dword v1, off, s[0:3], s32 offset:220 ; 4-byte Folded Spill
	v_lshlrev_b32_e32 v1, 16, v6
	buffer_store_dword v1, off, s[0:3], s32 offset:224 ; 4-byte Folded Spill
	;; [unrolled: 4-line block ×12, first 2 shown]
	v_and_b32_e32 v1, 0xffff0000, v18
	buffer_store_dword v1, off, s[0:3], s32 offset:308 ; 4-byte Folded Spill
	v_lshlrev_b32_e32 v1, 16, v19
	v_lshlrev_b32_e32 v16, 16, v4
	buffer_store_dword v1, off, s[0:3], s32 offset:312 ; 4-byte Folded Spill
	v_and_b32_e32 v1, 0xffff0000, v19
	ds_read_b128 v[4:7], v0 offset:64
	ds_read_b128 v[10:13], v0 offset:80
	buffer_store_dword v1, off, s[0:3], s32 offset:316 ; 4-byte Folded Spill
	v_lshlrev_b32_e32 v1, 16, v20
	buffer_store_dword v1, off, s[0:3], s32 offset:320 ; 4-byte Folded Spill
	v_and_b32_e32 v1, 0xffff0000, v20
	buffer_store_dword v1, off, s[0:3], s32 offset:324 ; 4-byte Folded Spill
	v_lshlrev_b32_e32 v1, 16, v21
	buffer_store_dword v1, off, s[0:3], s32 offset:328 ; 4-byte Folded Spill
	v_and_b32_e32 v1, 0xffff0000, v21
	buffer_store_dword v1, off, s[0:3], s32 offset:332 ; 4-byte Folded Spill
	s_waitcnt lgkmcnt(1)
	v_lshlrev_b32_e32 v1, 16, v4
	buffer_store_dword v1, off, s[0:3], s32 offset:336 ; 4-byte Folded Spill
	v_and_b32_e32 v1, 0xffff0000, v4
	buffer_store_dword v1, off, s[0:3], s32 offset:340 ; 4-byte Folded Spill
	v_lshlrev_b32_e32 v1, 16, v5
	buffer_store_dword v1, off, s[0:3], s32 offset:344 ; 4-byte Folded Spill
	v_and_b32_e32 v1, 0xffff0000, v5
	buffer_store_dword v1, off, s[0:3], s32 offset:348 ; 4-byte Folded Spill
	;; [unrolled: 4-line block ×4, first 2 shown]
	s_waitcnt lgkmcnt(0)
	v_lshlrev_b32_e32 v1, 16, v10
	buffer_store_dword v1, off, s[0:3], s32 offset:368 ; 4-byte Folded Spill
	v_and_b32_e32 v1, 0xffff0000, v10
	buffer_store_dword v1, off, s[0:3], s32 offset:372 ; 4-byte Folded Spill
	v_lshlrev_b32_e32 v1, 16, v11
	buffer_store_dword v1, off, s[0:3], s32 offset:376 ; 4-byte Folded Spill
	v_and_b32_e32 v1, 0xffff0000, v11
	buffer_store_dword v1, off, s[0:3], s32 offset:380 ; 4-byte Folded Spill
	;; [unrolled: 4-line block ×4, first 2 shown]
	ds_read_b128 v[4:7], v0 offset:96
	ds_read_b128 v[10:13], v0 offset:112
	s_mov_b64 s[30:31], 0
	s_movk_i32 s37, 0x2000
	s_movk_i32 s38, 0x3000
	s_waitcnt lgkmcnt(1)
	v_lshlrev_b32_e32 v1, 16, v4
	buffer_store_dword v1, off, s[0:3], s32 offset:400 ; 4-byte Folded Spill
	v_and_b32_e32 v1, 0xffff0000, v4
	buffer_store_dword v1, off, s[0:3], s32 offset:404 ; 4-byte Folded Spill
	v_lshlrev_b32_e32 v1, 16, v5
	buffer_store_dword v1, off, s[0:3], s32 offset:408 ; 4-byte Folded Spill
	v_and_b32_e32 v1, 0xffff0000, v5
	buffer_store_dword v1, off, s[0:3], s32 offset:412 ; 4-byte Folded Spill
	;; [unrolled: 4-line block ×4, first 2 shown]
	s_waitcnt lgkmcnt(0)
	v_lshlrev_b32_e32 v1, 16, v10
	buffer_store_dword v1, off, s[0:3], s32 offset:432 ; 4-byte Folded Spill
	v_and_b32_e32 v1, 0xffff0000, v10
	buffer_store_dword v1, off, s[0:3], s32 offset:436 ; 4-byte Folded Spill
	v_lshlrev_b32_e32 v1, 16, v11
	buffer_store_dword v1, off, s[0:3], s32 offset:440 ; 4-byte Folded Spill
	v_and_b32_e32 v1, 0xffff0000, v11
	buffer_store_dword v1, off, s[0:3], s32 offset:444 ; 4-byte Folded Spill
	;; [unrolled: 4-line block ×4, first 2 shown]
	ds_read_b128 v[4:7], v0 offset:128
	ds_read_b128 v[10:13], v0 offset:144
	s_waitcnt lgkmcnt(1)
	v_lshlrev_b32_e32 v1, 16, v4
	buffer_store_dword v1, off, s[0:3], s32 offset:464 ; 4-byte Folded Spill
	v_and_b32_e32 v1, 0xffff0000, v4
	buffer_store_dword v1, off, s[0:3], s32 offset:468 ; 4-byte Folded Spill
	v_lshlrev_b32_e32 v1, 16, v5
	buffer_store_dword v1, off, s[0:3], s32 offset:472 ; 4-byte Folded Spill
	v_and_b32_e32 v1, 0xffff0000, v5
	buffer_store_dword v1, off, s[0:3], s32 offset:476 ; 4-byte Folded Spill
	;; [unrolled: 4-line block ×4, first 2 shown]
	s_waitcnt lgkmcnt(0)
	v_lshlrev_b32_e32 v1, 16, v10
	buffer_store_dword v1, off, s[0:3], s32 offset:500 ; 4-byte Folded Spill
	v_and_b32_e32 v1, 0xffff0000, v10
	buffer_store_dword v1, off, s[0:3], s32 offset:496 ; 4-byte Folded Spill
	v_lshlrev_b32_e32 v1, 16, v11
	buffer_store_dword v1, off, s[0:3], s32 offset:508 ; 4-byte Folded Spill
	v_and_b32_e32 v1, 0xffff0000, v11
	buffer_store_dword v1, off, s[0:3], s32 offset:504 ; 4-byte Folded Spill
	;; [unrolled: 4-line block ×3, first 2 shown]
	v_lshlrev_b32_e32 v1, 16, v13
	v_accvgpr_write_b32 a21, v1
	v_and_b32_e32 v1, 0xffff0000, v13
	buffer_store_dword v1, off, s[0:3], s32 offset:520 ; 4-byte Folded Spill
	ds_read_b128 v[4:7], v0 offset:160
	ds_read_b128 v[10:13], v0 offset:176
	s_waitcnt lgkmcnt(1)
	v_lshlrev_b32_e32 v1, 16, v4
	v_accvgpr_write_b32 a34, v1
	v_and_b32_e32 v1, 0xffff0000, v4
	v_accvgpr_write_b32 a35, v1
	v_lshlrev_b32_e32 v1, 16, v5
	v_accvgpr_write_b32 a36, v1
	v_and_b32_e32 v1, 0xffff0000, v5
	v_accvgpr_write_b32 a37, v1
	;; [unrolled: 4-line block ×4, first 2 shown]
	s_waitcnt lgkmcnt(0)
	v_lshlrev_b32_e32 v1, 16, v10
	v_accvgpr_write_b32 a42, v1
	v_and_b32_e32 v1, 0xffff0000, v10
	v_accvgpr_write_b32 a43, v1
	v_lshlrev_b32_e32 v1, 16, v11
	v_accvgpr_write_b32 a44, v1
	v_and_b32_e32 v1, 0xffff0000, v11
	v_accvgpr_write_b32 a45, v1
	;; [unrolled: 4-line block ×3, first 2 shown]
	v_lshlrev_b32_e32 v1, 16, v13
	v_accvgpr_write_b32 a48, v1
	v_and_b32_e32 v1, 0xffff0000, v13
	ds_read_b128 v[4:7], v0 offset:192
	ds_read_b128 v[10:13], v0 offset:208
	v_accvgpr_write_b32 a13, v1
	s_waitcnt lgkmcnt(1)
	v_lshlrev_b32_e32 v1, 16, v4
	v_accvgpr_write_b32 a49, v1
	v_and_b32_e32 v1, 0xffff0000, v4
	v_accvgpr_write_b32 a50, v1
	v_lshlrev_b32_e32 v1, 16, v5
	v_accvgpr_write_b32 a51, v1
	v_and_b32_e32 v1, 0xffff0000, v5
	v_accvgpr_write_b32 a52, v1
	;; [unrolled: 4-line block ×4, first 2 shown]
	s_waitcnt lgkmcnt(0)
	v_lshlrev_b32_e32 v1, 16, v10
	v_accvgpr_write_b32 a57, v1
	v_and_b32_e32 v1, 0xffff0000, v10
	v_accvgpr_write_b32 a58, v1
	v_lshlrev_b32_e32 v1, 16, v11
	v_accvgpr_write_b32 a59, v1
	v_and_b32_e32 v1, 0xffff0000, v11
	v_accvgpr_write_b32 a60, v1
	v_lshlrev_b32_e32 v1, 16, v12
	v_accvgpr_write_b32 a61, v1
	v_and_b32_e32 v1, 0xffff0000, v12
	v_accvgpr_write_b32 a62, v1
	v_lshlrev_b32_e32 v1, 16, v13
	v_accvgpr_write_b32 a63, v1
	v_and_b32_e32 v1, 0xffff0000, v13
	ds_read_b128 v[4:7], v0 offset:224
	ds_read_b128 v[10:13], v0 offset:240
	buffer_store_dword v50, off, s[0:3], s32 offset:548 ; 4-byte Folded Spill
	s_nop 0
	buffer_store_dword v51, off, s[0:3], s32 offset:552 ; 4-byte Folded Spill
	v_accvgpr_write_b32 a12, v1
	s_waitcnt lgkmcnt(1)
	v_lshlrev_b32_e32 v0, 16, v4
	v_accvgpr_write_b32 a17, v0
	v_and_b32_e32 v0, 0xffff0000, v4
	v_accvgpr_write_b32 a14, v0
	v_lshlrev_b32_e32 v0, 16, v5
	v_accvgpr_write_b32 a15, v0
	v_and_b32_e32 v0, 0xffff0000, v5
	v_accvgpr_write_b32 a10, v0
	;; [unrolled: 4-line block ×4, first 2 shown]
	s_waitcnt lgkmcnt(0)
	v_lshlrev_b32_e32 v0, 16, v10
	v_accvgpr_write_b32 a9, v0
	v_and_b32_e32 v0, 0xffff0000, v10
	v_accvgpr_write_b32 a8, v0
	v_lshlrev_b32_e32 v0, 16, v11
	v_accvgpr_write_b32 a5, v0
	v_and_b32_e32 v0, 0xffff0000, v11
	v_accvgpr_write_b32 a4, v0
	;; [unrolled: 4-line block ×4, first 2 shown]
	v_lshlrev_b64 v[0:1], 1, v[50:51]
	v_add_co_u32_e32 v4, vcc, v8, v0
	v_addc_co_u32_e32 v5, vcc, v9, v1, vcc
	v_lshlrev_b64 v[0:1], 2, v[36:37]
	v_add_co_u32_e64 v0, s[8:9], v48, v0
	buffer_store_dword v48, off, s[0:3], s32 offset:556 ; 4-byte Folded Spill
	s_nop 0
	buffer_store_dword v49, off, s[0:3], s32 offset:560 ; 4-byte Folded Spill
	v_cmp_eq_u32_e32 vcc, 0, v2
	buffer_store_dword v14, off, s[0:3], s32 offset:604 ; 4-byte Folded Spill
	buffer_store_dword v15, off, s[0:3], s32 offset:608 ; 4-byte Folded Spill
	;; [unrolled: 1-line block ×4, first 2 shown]
	v_addc_co_u32_e64 v1, s[8:9], v49, v1, s[8:9]
	v_add_co_u32_e64 v20, s[8:9], v14, v0
	v_bfe_u32 v0, v22, 1, 5
	v_addc_co_u32_e64 v21, s[8:9], v15, v1, s[8:9]
	v_lshlrev_b32_e32 v1, 4, v0
	v_add_co_u32_e64 v1, s[8:9], v4, v1
	v_addc_co_u32_e64 v2, s[8:9], 0, v5, s[8:9]
	v_and_b32_e32 v4, 8, v35
	v_add_co_u32_e64 v1, s[8:9], v1, v4
	v_accvgpr_write_b32 a18, v1
	v_addc_co_u32_e64 v1, s[8:9], 0, v2, s[8:9]
	v_mbcnt_hi_u32_b32 v2, -1, v3
	v_accvgpr_write_b32 a19, v1
	v_and_b32_e32 v1, 64, v2
	v_add_u32_e32 v3, 64, v1
	v_xor_b32_e32 v1, 1, v2
	v_cmp_lt_i32_e64 s[8:9], v1, v3
	v_cndmask_b32_e64 v1, v2, v1, s[8:9]
	v_lshlrev_b32_e32 v1, 2, v1
	v_accvgpr_write_b32 a20, v1
	buffer_load_dword v1, off, s[0:3], s32 offset:524 ; 4-byte Folded Reload
	s_lshl_b64 s[8:9], s[24:25], 2
	buffer_store_dword v3, off, s[0:3], s32 offset:588 ; 4-byte Folded Spill
	buffer_store_dword v2, off, s[0:3], s32 offset:568 ; 4-byte Folded Spill
	v_pk_mov_b32 v[2:3], v[36:37], v[36:37] op_sel:[0,1]
	s_getpc_b64 s[28:29]
	s_add_u32 s28, s28, llvm.amdgcn.dynlds.offset.table@rel32@lo+4
	s_addc_u32 s29, s29, llvm.amdgcn.dynlds.offset.table@rel32@hi+12
	s_add_u32 s28, s8, s28
	s_addc_u32 s29, s9, s29
	v_mov_b32_e32 v37, v16
	s_movk_i32 s25, 0x1000
	s_waitcnt vmcnt(2)
	v_cmp_neq_f32_e64 s[10:11], 0, v1
	v_lshlrev_b32_e32 v1, 5, v38
	v_add3_u32 v27, s36, v1, v0
	v_lshlrev_b32_e32 v0, 2, v0
	v_lshl_or_b32 v36, v38, 7, v0
	v_mov_b32_e32 v0, 0xff7fffff
	buffer_store_dword v0, off, s[0:3], s32 offset:208 ; 4-byte Folded Spill
	buffer_store_dword v2, off, s[0:3], s32 offset:200 ; 4-byte Folded Spill
	s_nop 0
	buffer_store_dword v3, off, s[0:3], s32 offset:204 ; 4-byte Folded Spill
	v_mov_b32_e32 v26, v2
	s_branch .LBB189_10
.LBB189_9:                              ;   in Loop: Header=BB189_10 Depth=1
	s_or_b64 exec, exec, s[34:35]
	buffer_load_dword v0, off, s[0:3], s32 offset:188 ; 4-byte Folded Reload
	v_add_co_u32_e64 v20, s[8:9], 8, v20
	v_add_u32_e32 v26, 2, v26
	v_addc_co_u32_e64 v21, s[8:9], 0, v21, s[8:9]
	v_add_u32_e32 v27, 64, v27
	v_add_u32_e32 v36, 0x100, v36
	s_waitcnt vmcnt(0)
	v_cmp_ge_i32_e64 s[8:9], v26, v0
	s_or_b64 s[30:31], s[8:9], s[30:31]
	s_andn2_b64 exec, exec, s[30:31]
	s_cbranch_execz .LBB189_12
.LBB189_10:                             ; =>This Inner Loop Header: Depth=1
	flat_load_dword v0, v[20:21]
	buffer_load_dword v2, off, s[0:3], s32 offset:192 ; 4-byte Folded Reload
	buffer_load_dword v3, off, s[0:3], s32 offset:196 ; 4-byte Folded Reload
	s_waitcnt vmcnt(0) lgkmcnt(0)
	v_mad_i64_i32 v[0:1], s[8:9], v0, v2, 0
	v_lshlrev_b64 v[0:1], 1, v[0:1]
	v_accvgpr_read_b32 v2, a18
	v_add_co_u32_e64 v28, s[8:9], v2, v0
	v_accvgpr_read_b32 v0, a19
	v_addc_co_u32_e64 v29, s[8:9], v0, v1, s[8:9]
	flat_load_dwordx2 v[12:13], v[28:29]
	flat_load_dwordx2 v[18:19], v[28:29] offset:512
	flat_load_dwordx2 v[8:9], v[28:29] offset:1024
	;; [unrolled: 1-line block ×7, first 2 shown]
	v_add_co_u32_e64 v30, s[8:9], s25, v28
	v_addc_co_u32_e64 v31, s[8:9], 0, v29, s[8:9]
	flat_load_dwordx2 v[10:11], v[30:31]
	flat_load_dwordx2 v[34:35], v[30:31] offset:512
	flat_load_dwordx2 v[4:5], v[30:31] offset:1024
	;; [unrolled: 1-line block ×7, first 2 shown]
	v_add_co_u32_e64 v30, s[8:9], s37, v28
	v_addc_co_u32_e64 v31, s[8:9], 0, v29, s[8:9]
	v_add_co_u32_e64 v24, s[8:9], s38, v28
	v_addc_co_u32_e64 v25, s[8:9], 0, v29, s[8:9]
	flat_load_dwordx2 v[44:45], v[30:31]
	flat_load_dwordx2 v[42:43], v[30:31] offset:512
	flat_load_dwordx2 v[40:41], v[30:31] offset:1024
	flat_load_dwordx2 v[54:55], v[30:31] offset:1536
	flat_load_dwordx2 v[52:53], v[30:31] offset:2048
	flat_load_dwordx2 v[50:51], v[30:31] offset:2560
	flat_load_dwordx2 v[48:49], v[30:31] offset:3072
	flat_load_dwordx2 v[38:39], v[30:31] offset:3584
	flat_load_dwordx2 v[28:29], v[24:25]
	s_nop 0
	flat_load_dwordx2 v[30:31], v[24:25] offset:512
	flat_load_dwordx2 a[32:33], v[24:25] offset:1024
	;; [unrolled: 1-line block ×7, first 2 shown]
	s_waitcnt vmcnt(0) lgkmcnt(0)
	v_lshlrev_b32_e32 v24, 16, v12
	v_and_b32_e32 v25, 0xffff0000, v12
	v_lshlrev_b32_e32 v33, 16, v13
	v_and_b32_e32 v32, 0xffff0000, v13
	;; [unrolled: 2-line block ×3, first 2 shown]
	buffer_load_dword v18, off, s[0:3], s32 offset:224 ; 4-byte Folded Reload
	s_waitcnt vmcnt(0)
	v_mul_f32_e32 v12, v18, v12
	buffer_load_dword v18, off, s[0:3], s32 offset:228 ; 4-byte Folded Reload
	v_fmac_f32_e32 v12, v37, v24
	buffer_load_dword v24, off, s[0:3], s32 offset:232 ; 4-byte Folded Reload
	s_waitcnt vmcnt(1)
	v_mul_f32_e32 v13, v18, v13
	buffer_load_dword v18, off, s[0:3], s32 offset:212 ; 4-byte Folded Reload
	s_waitcnt vmcnt(0)
	v_fmac_f32_e32 v13, v18, v25
	v_lshlrev_b32_e32 v18, 16, v19
	v_mul_f32_e32 v18, v24, v18
	buffer_load_dword v24, off, s[0:3], s32 offset:216 ; 4-byte Folded Reload
	buffer_load_dword v25, off, s[0:3], s32 offset:240 ; 4-byte Folded Reload
	v_and_b32_e32 v19, 0xffff0000, v19
	s_waitcnt vmcnt(1)
	v_fmac_f32_e32 v18, v24, v33
	buffer_load_dword v24, off, s[0:3], s32 offset:236 ; 4-byte Folded Reload
	s_waitcnt vmcnt(0)
	v_mul_f32_e32 v19, v24, v19
	buffer_load_dword v24, off, s[0:3], s32 offset:220 ; 4-byte Folded Reload
	s_waitcnt vmcnt(0)
	v_fmac_f32_e32 v19, v24, v32
	v_lshlrev_b32_e32 v24, 16, v8
	v_fmac_f32_e32 v12, v25, v24
	buffer_load_dword v24, off, s[0:3], s32 offset:244 ; 4-byte Folded Reload
	v_and_b32_e32 v8, 0xffff0000, v8
	s_waitcnt vmcnt(0)
	v_fmac_f32_e32 v13, v24, v8
	buffer_load_dword v24, off, s[0:3], s32 offset:248 ; 4-byte Folded Reload
	v_lshlrev_b32_e32 v8, 16, v9
	v_and_b32_e32 v9, 0xffff0000, v9
	s_waitcnt vmcnt(0)
	v_fmac_f32_e32 v18, v24, v8
	buffer_load_dword v8, off, s[0:3], s32 offset:252 ; 4-byte Folded Reload
	s_waitcnt vmcnt(0)
	v_fmac_f32_e32 v19, v8, v9
	v_lshlrev_b32_e32 v8, 16, v22
	v_and_b32_e32 v9, 0xffff0000, v22
	buffer_load_dword v22, off, s[0:3], s32 offset:256 ; 4-byte Folded Reload
	s_waitcnt vmcnt(0)
	v_fmac_f32_e32 v12, v22, v8
	buffer_load_dword v8, off, s[0:3], s32 offset:260 ; 4-byte Folded Reload
	buffer_load_dword v22, off, s[0:3], s32 offset:264 ; 4-byte Folded Reload
	s_waitcnt vmcnt(1)
	v_fmac_f32_e32 v13, v8, v9
	v_lshlrev_b32_e32 v8, 16, v23
	s_waitcnt vmcnt(0)
	v_fmac_f32_e32 v18, v22, v8
	buffer_load_dword v8, off, s[0:3], s32 offset:268 ; 4-byte Folded Reload
	v_and_b32_e32 v9, 0xffff0000, v23
	s_waitcnt vmcnt(0)
	v_fmac_f32_e32 v19, v8, v9
	v_lshlrev_b32_e32 v8, 16, v16
	v_and_b32_e32 v9, 0xffff0000, v16
	buffer_load_dword v16, off, s[0:3], s32 offset:272 ; 4-byte Folded Reload
	s_waitcnt vmcnt(0)
	v_fmac_f32_e32 v12, v16, v8
	buffer_load_dword v8, off, s[0:3], s32 offset:276 ; 4-byte Folded Reload
	buffer_load_dword v16, off, s[0:3], s32 offset:280 ; 4-byte Folded Reload
	s_waitcnt vmcnt(1)
	v_fmac_f32_e32 v13, v8, v9
	v_lshlrev_b32_e32 v8, 16, v17
	s_waitcnt vmcnt(0)
	v_fmac_f32_e32 v18, v16, v8
	buffer_load_dword v8, off, s[0:3], s32 offset:284 ; 4-byte Folded Reload
	v_and_b32_e32 v9, 0xffff0000, v17
	;; [unrolled: 16-line block ×3, first 2 shown]
	s_waitcnt vmcnt(0)
	v_fmac_f32_e32 v19, v8, v9
	buffer_load_dword v9, off, s[0:3], s32 offset:304 ; 4-byte Folded Reload
	v_lshlrev_b32_e32 v8, 16, v2
	v_and_b32_e32 v2, 0xffff0000, v2
	s_waitcnt vmcnt(0)
	v_fmac_f32_e32 v12, v9, v8
	buffer_load_dword v8, off, s[0:3], s32 offset:308 ; 4-byte Folded Reload
	s_waitcnt vmcnt(0)
	v_fmac_f32_e32 v13, v8, v2
	buffer_load_dword v8, off, s[0:3], s32 offset:312 ; 4-byte Folded Reload
	v_lshlrev_b32_e32 v2, 16, v3
	v_and_b32_e32 v3, 0xffff0000, v3
	s_waitcnt vmcnt(0)
	v_fmac_f32_e32 v18, v8, v2
	buffer_load_dword v2, off, s[0:3], s32 offset:316 ; 4-byte Folded Reload
	;; [unrolled: 8-line block ×4, first 2 shown]
	buffer_load_dword v2, off, s[0:3], s32 offset:336 ; 4-byte Folded Reload
	s_waitcnt vmcnt(1)
	v_fmac_f32_e32 v19, v0, v1
	v_lshlrev_b32_e32 v0, 16, v10
	s_waitcnt vmcnt(0)
	v_fmac_f32_e32 v12, v2, v0
	buffer_load_dword v0, off, s[0:3], s32 offset:340 ; 4-byte Folded Reload
	buffer_load_dword v2, off, s[0:3], s32 offset:344 ; 4-byte Folded Reload
	v_and_b32_e32 v1, 0xffff0000, v10
	s_waitcnt vmcnt(1)
	v_fmac_f32_e32 v13, v0, v1
	v_lshlrev_b32_e32 v0, 16, v11
	s_waitcnt vmcnt(0)
	v_fmac_f32_e32 v18, v2, v0
	buffer_load_dword v0, off, s[0:3], s32 offset:348 ; 4-byte Folded Reload
	buffer_load_dword v2, off, s[0:3], s32 offset:352 ; 4-byte Folded Reload
	v_and_b32_e32 v1, 0xffff0000, v11
	;; [unrolled: 8-line block ×22, first 2 shown]
	s_waitcnt vmcnt(1)
	v_fmac_f32_e32 v19, v0, v1
	v_lshlrev_b32_e32 v0, 16, v54
	s_waitcnt vmcnt(0)
	v_fmac_f32_e32 v12, v2, v0
	buffer_load_dword v0, off, s[0:3], s32 offset:512 ; 4-byte Folded Reload
	v_and_b32_e32 v1, 0xffff0000, v54
	v_accvgpr_read_b32 v2, a21
	s_waitcnt vmcnt(0)
	v_fmac_f32_e32 v13, v0, v1
	v_lshlrev_b32_e32 v0, 16, v55
	v_fmac_f32_e32 v18, v2, v0
	buffer_load_dword v0, off, s[0:3], s32 offset:520 ; 4-byte Folded Reload
	v_and_b32_e32 v1, 0xffff0000, v55
	v_accvgpr_read_b32 v2, a34
	s_waitcnt vmcnt(0)
	v_fmac_f32_e32 v19, v0, v1
	v_lshlrev_b32_e32 v0, 16, v52
	v_and_b32_e32 v1, 0xffff0000, v52
	v_fmac_f32_e32 v12, v2, v0
	v_accvgpr_read_b32 v0, a35
	v_fmac_f32_e32 v13, v0, v1
	v_lshlrev_b32_e32 v0, 16, v53
	v_accvgpr_read_b32 v2, a36
	v_and_b32_e32 v1, 0xffff0000, v53
	v_fmac_f32_e32 v18, v2, v0
	v_accvgpr_read_b32 v0, a37
	v_fmac_f32_e32 v19, v0, v1
	v_lshlrev_b32_e32 v0, 16, v50
	v_accvgpr_read_b32 v2, a38
	;; [unrolled: 6-line block ×11, first 2 shown]
	v_and_b32_e32 v1, 0xffff0000, v31
	v_fmac_f32_e32 v18, v2, v0
	v_accvgpr_read_b32 v0, a56
	v_accvgpr_read_b32 v2, a32
	v_fmac_f32_e32 v19, v0, v1
	v_lshlrev_b32_e32 v0, 16, v2
	v_and_b32_e32 v1, 0xffff0000, v2
	v_accvgpr_read_b32 v2, a57
	v_accvgpr_read_b32 v3, a33
	v_fmac_f32_e32 v12, v2, v0
	v_accvgpr_read_b32 v0, a58
	v_fmac_f32_e32 v13, v0, v1
	v_lshlrev_b32_e32 v0, 16, v3
	v_accvgpr_read_b32 v2, a59
	v_and_b32_e32 v1, 0xffff0000, v3
	v_fmac_f32_e32 v18, v2, v0
	v_accvgpr_read_b32 v0, a60
	v_accvgpr_read_b32 v2, a30
	v_fmac_f32_e32 v19, v0, v1
	v_lshlrev_b32_e32 v0, 16, v2
	v_and_b32_e32 v1, 0xffff0000, v2
	v_accvgpr_read_b32 v2, a61
	v_accvgpr_read_b32 v3, a31
	v_fmac_f32_e32 v12, v2, v0
	v_accvgpr_read_b32 v0, a62
	v_fmac_f32_e32 v13, v0, v1
	v_lshlrev_b32_e32 v0, 16, v3
	v_accvgpr_read_b32 v2, a63
	;; [unrolled: 14-line block ×6, first 2 shown]
	v_and_b32_e32 v1, 0xffff0000, v3
	v_fmac_f32_e32 v18, v2, v0
	v_accvgpr_read_b32 v0, a0
	v_fmac_f32_e32 v19, v0, v1
	v_add_f32_e32 v0, v12, v13
	v_add_f32_e32 v0, v0, v18
	;; [unrolled: 1-line block ×3, first 2 shown]
	v_accvgpr_read_b32 v1, a20
	ds_bpermute_b32 v1, v1, v0
	s_and_saveexec_b64 s[34:35], vcc
	s_cbranch_execz .LBB189_9
; %bb.11:                               ;   in Loop: Header=BB189_10 Depth=1
	buffer_load_dword v3, off, s[0:3], s32 offset:524 ; 4-byte Folded Reload
	v_sub_u32_e32 v2, 1, v62
	v_add_u32_e32 v2, v2, v27
	v_cvt_f32_i32_e32 v2, v2
	s_load_dword s8, s[28:29], 0x0
	s_waitcnt lgkmcnt(0)
	v_add_f32_e32 v0, v0, v1
	v_add_u32_e32 v1, s8, v36
	v_cmp_lt_i32_e64 s[8:9], v27, v62
	s_waitcnt vmcnt(0)
	v_mul_f32_e32 v2, v3, v2
	buffer_load_dword v3, off, s[0:3], s32 offset:528 ; 4-byte Folded Reload
	v_cndmask_b32_e64 v2, 0, v2, s[10:11]
	s_waitcnt vmcnt(0)
	v_fmac_f32_e32 v2, v0, v3
	v_cndmask_b32_e64 v0, 0, v2, s[8:9]
	ds_write_b32 v1, v0
	buffer_load_dword v1, off, s[0:3], s32 offset:208 ; 4-byte Folded Reload
	s_waitcnt vmcnt(0)
	v_max_f32_e32 v0, v1, v1
	v_max_f32_e32 v0, v0, v2
	v_cndmask_b32_e64 v1, v1, v0, s[8:9]
	buffer_store_dword v1, off, s[0:3], s32 offset:208 ; 4-byte Folded Spill
	s_branch .LBB189_9
.LBB189_12:
	s_or_b64 exec, exec, s[30:31]
	buffer_load_dword v22, off, s[0:3], s32 offset:532 ; 4-byte Folded Reload
	buffer_load_dword v36, off, s[0:3], s32 offset:200 ; 4-byte Folded Reload
	;; [unrolled: 1-line block ×21, first 2 shown]
.LBB189_13:
	s_or_b64 exec, exec, s[18:19]
	s_waitcnt vmcnt(2)
	v_xor_b32_e32 v0, 32, v12
	s_waitcnt vmcnt(1)
	v_cmp_lt_i32_e32 vcc, v0, v13
	v_cndmask_b32_e32 v0, v12, v0, vcc
	v_lshlrev_b32_e32 v0, 2, v0
	s_waitcnt vmcnt(0) lgkmcnt(0)
	ds_bpermute_b32 v1, v0, v5
	v_xor_b32_e32 v3, 16, v12
	v_max_f32_e32 v2, v5, v5
	v_cmp_lt_i32_e32 vcc, v3, v13
	v_xor_b32_e32 v4, 8, v12
	s_waitcnt lgkmcnt(0)
	v_max_f32_e32 v1, v1, v1
	v_max_f32_e32 v2, v2, v1
	v_cndmask_b32_e32 v1, v12, v3, vcc
	v_lshlrev_b32_e32 v1, 2, v1
	ds_bpermute_b32 v3, v1, v2
	v_cmp_lt_i32_e32 vcc, v4, v13
	v_xor_b32_e32 v5, 4, v12
	v_xor_b32_e32 v6, 2, v12
	v_and_b32_e32 v7, 63, v22
	s_waitcnt lgkmcnt(0)
	v_max_f32_e32 v3, v3, v3
	v_max_f32_e32 v2, v2, v3
	v_cndmask_b32_e32 v3, v12, v4, vcc
	v_lshlrev_b32_e32 v4, 2, v3
	ds_bpermute_b32 v3, v4, v2
	v_cmp_lt_i32_e32 vcc, v5, v13
	s_lshr_b32 s27, s27, 16
	s_waitcnt lgkmcnt(0)
	v_max_f32_e32 v3, v3, v3
	v_max_f32_e32 v2, v2, v3
	v_cndmask_b32_e32 v3, v12, v5, vcc
	v_lshlrev_b32_e32 v5, 2, v3
	ds_bpermute_b32 v3, v5, v2
	v_cmp_lt_i32_e32 vcc, v6, v13
	s_waitcnt lgkmcnt(0)
	v_max_f32_e32 v3, v3, v3
	v_max_f32_e32 v2, v2, v3
	v_cndmask_b32_e32 v3, v12, v6, vcc
	v_lshlrev_b32_e32 v34, 2, v3
	ds_bpermute_b32 v3, v34, v2
	v_cmp_eq_u32_e32 vcc, 0, v7
	v_lshlrev_b32_e32 v6, 2, v38
	s_and_saveexec_b64 s[8:9], vcc
	s_cbranch_execz .LBB189_15
; %bb.14:
	s_waitcnt lgkmcnt(0)
	v_max_f32_e32 v3, v3, v3
	v_max_f32_e32 v2, v2, v2
	;; [unrolled: 1-line block ×3, first 2 shown]
	ds_write_b32 v6, v2 offset:512
.LBB189_15:
	s_or_b64 exec, exec, s[8:9]
	s_waitcnt lgkmcnt(0)
	s_barrier
	v_cmp_gt_u32_e64 s[8:9], 2, v7
	v_mov_b32_e32 v2, 0xff7fffff
	buffer_store_dword v7, off, s[0:3], s32 offset:432 ; 4-byte Folded Spill
	v_lshlrev_b32_e32 v7, 2, v7
	s_and_saveexec_b64 s[10:11], s[8:9]
	s_cbranch_execz .LBB189_17
; %bb.16:
	ds_read_b32 v2, v7 offset:512
.LBB189_17:
	s_or_b64 exec, exec, s[10:11]
	buffer_load_dword v8, off, s[0:3], s32 offset:188 ; 4-byte Folded Reload
	v_xor_b32_e32 v3, 1, v12
	v_cmp_lt_i32_e64 s[10:11], v3, v13
	v_cndmask_b32_e64 v3, v12, v3, s[10:11]
	v_lshlrev_b32_e32 v16, 2, v3
	s_waitcnt lgkmcnt(0)
	ds_bpermute_b32 v3, v16, v2
	v_max_f32_e32 v2, v2, v2
	v_mov_b32_e32 v18, 0
	s_waitcnt lgkmcnt(0)
	v_max_f32_e32 v3, v3, v3
	v_max_f32_e32 v2, v2, v3
	v_lshlrev_b32_e32 v3, 2, v12
	v_and_b32_e32 v9, 0xffffff00, v3
	ds_bpermute_b32 v2, v9, v2
	s_waitcnt vmcnt(0)
	v_subrev_u32_e32 v8, s15, v8
	v_lshl_add_u32 v8, v8, 5, s36
	v_min_i32_e32 v8, v8, v62
	v_subrev_u32_e32 v3, s36, v8
	v_cmp_lt_i32_e64 s[10:11], v22, v3
	s_and_saveexec_b64 s[28:29], s[10:11]
	s_cbranch_execz .LBB189_21
; %bb.18:
	s_ashr_i32 s25, s24, 31
	s_lshl_b64 s[18:19], s[24:25], 2
	s_getpc_b64 s[30:31]
	s_add_u32 s30, s30, llvm.amdgcn.dynlds.offset.table@rel32@lo+4
	s_addc_u32 s31, s31, llvm.amdgcn.dynlds.offset.table@rel32@hi+12
	s_add_u32 s18, s18, s30
	s_addc_u32 s19, s19, s31
	s_load_dword s15, s[18:19], 0x0
	s_mov_b64 s[30:31], 0
	v_mov_b32_e32 v18, 0
	v_mov_b32_e32 v12, v22
	s_waitcnt lgkmcnt(0)
	v_lshl_add_u32 v17, v22, 2, s15
.LBB189_19:                             ; =>This Inner Loop Header: Depth=1
	ds_read_b32 v13, v17
	v_add_u32_e32 v12, 0x80, v12
	v_cmp_ge_i32_e64 s[18:19], v12, v3
	s_or_b64 s[30:31], s[18:19], s[30:31]
	s_waitcnt lgkmcnt(0)
	v_sub_f32_e32 v13, v13, v2
	v_mul_f32_e32 v13, 0x3fb8aa3b, v13
	v_exp_f32_e32 v13, v13
	ds_write_b32 v17, v13
	v_add_f32_e32 v18, v18, v13
	v_add_u32_e32 v17, 0x200, v17
	s_andn2_b64 exec, exec, s[30:31]
	s_cbranch_execnz .LBB189_19
; %bb.20:
	s_or_b64 exec, exec, s[30:31]
.LBB189_21:
	s_or_b64 exec, exec, s[28:29]
	ds_bpermute_b32 v0, v0, v18
	s_waitcnt lgkmcnt(0)
	v_add_f32_e32 v0, v18, v0
	ds_bpermute_b32 v1, v1, v0
	s_waitcnt lgkmcnt(0)
	v_add_f32_e32 v0, v0, v1
	;; [unrolled: 3-line block ×6, first 2 shown]
	s_and_saveexec_b64 s[18:19], vcc
	s_cbranch_execz .LBB189_23
; %bb.22:
	ds_write_b32 v6, v0 offset:520
.LBB189_23:
	s_or_b64 exec, exec, s[18:19]
	s_waitcnt lgkmcnt(0)
	s_barrier
	s_and_saveexec_b64 s[18:19], s[8:9]
	s_cbranch_execz .LBB189_25
; %bb.24:
	ds_read_b32 v0, v7 offset:520
.LBB189_25:
	s_or_b64 exec, exec, s[18:19]
	s_waitcnt lgkmcnt(0)
	ds_bpermute_b32 v1, v16, v0
	s_waitcnt lgkmcnt(0)
	v_add_f32_e32 v0, v0, v1
	ds_bpermute_b32 v4, v9, v0
	s_and_saveexec_b64 s[8:9], s[10:11]
	s_cbranch_execz .LBB189_38
; %bb.26:
	s_waitcnt lgkmcnt(0)
	v_add_f32_e32 v0, 0x358637bd, v4
	v_div_scale_f32 v1, s[10:11], v0, v0, 1.0
	v_rcp_f32_e32 v5, v1
	v_div_scale_f32 v6, vcc, 1.0, v0, 1.0
	s_movk_i32 s10, 0x7f
	v_fma_f32 v7, -v1, v5, 1.0
	v_fmac_f32_e32 v5, v7, v5
	v_mul_f32_e32 v7, v6, v5
	v_fma_f32 v9, -v1, v7, v6
	v_fmac_f32_e32 v7, v9, v5
	v_fma_f32 v1, -v1, v7, v6
	v_div_fmas_f32 v1, v1, v5, v7
	v_div_fixup_f32 v0, v1, v0, 1.0
	v_xad_u32 v1, v22, -1, v8
	v_subrev_u32_e32 v5, s36, v1
	v_cmp_lt_u32_e32 vcc, s10, v5
	s_mov_b64 s[18:19], -1
	v_mov_b32_e32 v1, v22
	s_and_saveexec_b64 s[10:11], vcc
	s_cbranch_execz .LBB189_35
; %bb.27:
	v_lshrrev_b32_e32 v5, 7, v5
	v_add_u32_e32 v7, -1, v5
	v_lshrrev_b32_e32 v6, 1, v7
	v_mov_b32_e32 v1, v0
	v_add_u32_e32 v6, 1, v6
	v_cmp_lt_u32_e32 vcc, 13, v7
	v_mov_b32_e32 v9, 0
	s_and_saveexec_b64 s[18:19], vcc
	s_cbranch_execz .LBB189_31
; %bb.28:
	s_ashr_i32 s25, s24, 31
	s_lshl_b64 s[28:29], s[24:25], 2
	s_getpc_b64 vcc
	s_add_u32 vcc_lo, vcc_lo, llvm.amdgcn.dynlds.offset.table@rel32@lo+4
	s_addc_u32 vcc_hi, vcc_hi, llvm.amdgcn.dynlds.offset.table@rel32@hi+12
	s_add_u32 s28, s28, vcc_lo
	s_addc_u32 s29, s29, vcc_hi
	s_load_dword s25, s[28:29], 0x0
	v_mov_b32_e32 v19, v16
	v_mov_b32_e32 v18, v34
	v_and_b32_e32 v7, -8, v6
	s_mov_b32 s15, 0
	s_waitcnt lgkmcnt(0)
	v_lshl_add_u32 v8, v22, 2, s25
	s_mov_b64 s[28:29], 0
.LBB189_29:                             ; =>This Inner Loop Header: Depth=1
	ds_read2st64_b32 v[24:25], v8 offset1:2
	ds_read2st64_b32 v[12:13], v8 offset0:4 offset1:6
	ds_read2st64_b32 v[20:21], v8 offset0:8 offset1:10
	;; [unrolled: 1-line block ×3, first 2 shown]
	v_add_u32_e32 v7, -8, v7
	s_waitcnt lgkmcnt(3)
	v_pk_mul_f32 v[24:25], v[0:1], v[24:25]
	s_waitcnt lgkmcnt(2)
	v_pk_mul_f32 v[12:13], v[0:1], v[12:13]
	ds_write2st64_b32 v8, v24, v25 offset1:2
	ds_write2st64_b32 v8, v12, v13 offset0:4 offset1:6
	ds_read2st64_b32 v[12:13], v8 offset0:16 offset1:18
	s_waitcnt lgkmcnt(4)
	v_pk_mul_f32 v[20:21], v[0:1], v[20:21]
	s_waitcnt lgkmcnt(3)
	v_pk_mul_f32 v[16:17], v[0:1], v[16:17]
	ds_write2st64_b32 v8, v20, v21 offset0:8 offset1:10
	ds_write2st64_b32 v8, v16, v17 offset0:12 offset1:14
	s_waitcnt lgkmcnt(2)
	v_pk_mul_f32 v[12:13], v[0:1], v[12:13]
	ds_read2st64_b32 v[20:21], v8 offset0:20 offset1:22
	ds_read2st64_b32 v[16:17], v8 offset0:24 offset1:26
	ds_write2st64_b32 v8, v12, v13 offset0:16 offset1:18
	ds_read2st64_b32 v[12:13], v8 offset0:28 offset1:30
	s_add_i32 s15, s15, 16
	s_waitcnt lgkmcnt(3)
	v_pk_mul_f32 v[20:21], v[0:1], v[20:21]
	s_waitcnt lgkmcnt(2)
	v_pk_mul_f32 v[16:17], v[0:1], v[16:17]
	v_cmp_eq_u32_e32 vcc, 0, v7
	s_waitcnt lgkmcnt(0)
	v_pk_mul_f32 v[12:13], v[0:1], v[12:13]
	ds_write2st64_b32 v8, v20, v21 offset0:20 offset1:22
	ds_write2st64_b32 v8, v16, v17 offset0:24 offset1:26
	;; [unrolled: 1-line block ×3, first 2 shown]
	v_add_u32_e32 v8, 0x2000, v8
	s_or_b64 s[28:29], vcc, s[28:29]
	v_mov_b32_e32 v9, s15
	s_andn2_b64 exec, exec, s[28:29]
	s_cbranch_execnz .LBB189_29
; %bb.30:
	s_or_b64 exec, exec, s[28:29]
	v_mov_b32_e32 v34, v18
	v_mov_b32_e32 v16, v19
.LBB189_31:
	s_or_b64 exec, exec, s[18:19]
	v_and_b32_e32 v6, 7, v6
	v_cmp_ne_u32_e32 vcc, 0, v6
	s_and_saveexec_b64 s[18:19], vcc
	s_cbranch_execz .LBB189_34
; %bb.32:
	s_ashr_i32 s25, s24, 31
	s_lshl_b64 s[28:29], s[24:25], 2
	s_getpc_b64 vcc
	s_add_u32 vcc_lo, vcc_lo, llvm.amdgcn.dynlds.offset.table@rel32@lo+4
	s_addc_u32 vcc_hi, vcc_hi, llvm.amdgcn.dynlds.offset.table@rel32@hi+12
	s_add_u32 s28, s28, vcc_lo
	s_addc_u32 s29, s29, vcc_hi
	s_load_dword s15, s[28:29], 0x0
	v_lshlrev_b32_e32 v7, 9, v9
	v_lshlrev_b32_e32 v8, 2, v22
	s_mov_b64 s[28:29], 0
	s_waitcnt lgkmcnt(0)
	v_add3_u32 v7, v7, v8, s15
.LBB189_33:                             ; =>This Inner Loop Header: Depth=1
	ds_read2st64_b32 v[8:9], v7 offset1:2
	v_add_u32_e32 v6, -1, v6
	v_cmp_eq_u32_e32 vcc, 0, v6
	s_or_b64 s[28:29], vcc, s[28:29]
	s_waitcnt lgkmcnt(0)
	v_pk_mul_f32 v[8:9], v[0:1], v[8:9]
	ds_write2st64_b32 v7, v8, v9 offset1:2
	v_add_u32_e32 v7, 0x400, v7
	s_andn2_b64 exec, exec, s[28:29]
	s_cbranch_execnz .LBB189_33
.LBB189_34:
	s_or_b64 exec, exec, s[18:19]
	v_add_u32_e32 v5, 1, v5
	v_and_b32_e32 v6, 0x3fffffe, v5
	v_cmp_ne_u32_e32 vcc, v5, v6
	v_lshl_add_u32 v1, v6, 7, v22
	s_orn2_b64 s[18:19], vcc, exec
.LBB189_35:
	s_or_b64 exec, exec, s[10:11]
	s_and_b64 exec, exec, s[18:19]
	s_cbranch_execz .LBB189_38
; %bb.36:
	s_ashr_i32 s25, s24, 31
	s_lshl_b64 s[10:11], s[24:25], 2
	s_getpc_b64 s[18:19]
	s_add_u32 s18, s18, llvm.amdgcn.dynlds.offset.table@rel32@lo+4
	s_addc_u32 s19, s19, llvm.amdgcn.dynlds.offset.table@rel32@hi+12
	s_add_u32 s10, s10, s18
	s_addc_u32 s11, s11, s19
	s_load_dword s10, s[10:11], 0x0
	s_waitcnt lgkmcnt(0)
	v_lshl_add_u32 v5, v1, 2, s10
	s_mov_b64 s[10:11], 0
.LBB189_37:                             ; =>This Inner Loop Header: Depth=1
	ds_read_b32 v6, v5
	v_add_u32_e32 v1, 0x80, v1
	v_cmp_ge_i32_e32 vcc, v1, v3
	s_or_b64 s[10:11], vcc, s[10:11]
	s_waitcnt lgkmcnt(0)
	v_mul_f32_e32 v6, v0, v6
	ds_write_b32 v5, v6
	v_add_u32_e32 v5, 0x200, v5
	s_andn2_b64 exec, exec, s[10:11]
	s_cbranch_execnz .LBB189_37
.LBB189_38:
	s_or_b64 exec, exec, s[8:9]
	v_cmp_ne_u16_e64 s[8:9], s27, 0
	s_cmp_lg_u64 s[8:9], 0
	s_addc_u32 s18, s13, 0
	v_cmp_eq_u32_e32 vcc, 0, v22
	s_waitcnt lgkmcnt(0)
	s_barrier
	s_and_saveexec_b64 s[8:9], vcc
	s_cbranch_execz .LBB189_40
; %bb.39:
	s_mul_i32 s10, s18, s22
	s_mul_i32 s10, s10, s23
	;; [unrolled: 1-line block ×3, first 2 shown]
	s_ashr_i32 s11, s10, 31
	s_ashr_i32 s13, s12, 31
	;; [unrolled: 1-line block ×3, first 2 shown]
	s_lshl_b64 s[10:11], s[10:11], 2
	s_lshl_b64 s[12:13], s[12:13], 2
	;; [unrolled: 1-line block ×3, first 2 shown]
	s_add_u32 s12, s28, s12
	s_addc_u32 s13, s29, s13
	s_add_u32 s10, s12, s10
	s_addc_u32 s11, s13, s11
	v_mov_b32_e32 v1, s11
	v_add_co_u32_e32 v0, vcc, s10, v29
	v_addc_co_u32_e32 v1, vcc, v1, v28, vcc
	flat_store_dword v[0:1], v2
	v_mov_b32_e32 v1, s11
	v_add_co_u32_e32 v0, vcc, s10, v27
	v_addc_co_u32_e32 v1, vcc, v1, v26, vcc
	flat_store_dword v[0:1], v4
.LBB189_40:
	s_or_b64 exec, exec, s[8:9]
	v_mov_b32_e32 v32, 0
	v_and_b32_e32 v0, 3, v22
	v_mov_b32_e32 v33, 0
	v_mov_b32_e32 v30, 0
	;; [unrolled: 1-line block ×15, first 2 shown]
	buffer_store_dword v0, off, s[0:3], s32 offset:428 ; 4-byte Folded Spill
	s_and_saveexec_b64 s[10:11], s[16:17]
	s_cbranch_execz .LBB189_620
; %bb.41:
	v_lshlrev_b64 v[0:1], 1, v[50:51]
	v_add_co_u32_e32 v0, vcc, v10, v0
	buffer_store_dword v16, off, s[0:3], s32 offset:436 ; 4-byte Folded Spill
	buffer_store_dword v34, off, s[0:3], s32 offset:440 ; 4-byte Folded Spill
	;; [unrolled: 1-line block ×3, first 2 shown]
	v_addc_co_u32_e32 v0, vcc, v11, v1, vcc
	v_lshlrev_b64 v[10:11], 2, v[36:37]
	v_add_co_u32_e32 v1, vcc, v48, v10
	v_addc_co_u32_e32 v5, vcc, v49, v11, vcc
	v_and_b32_e32 v3, 24, v35
	v_add_co_u32_e32 v10, vcc, v14, v1
	v_lshl_add_u32 v1, v38, 5, s36
	v_add3_u32 v22, v1, v3, 7
	buffer_load_dword v1, off, s[0:3], s32 offset:428 ; 4-byte Folded Reload
	s_ashr_i32 s25, s24, 31
	buffer_store_dword v0, off, s[0:3], s32 offset:424 ; 4-byte Folded Spill
	v_add_u32_e32 v0, -1, v39
	buffer_store_dword v0, off, s[0:3], s32 offset:364 ; 4-byte Folded Spill
	v_and_b32_e32 v0, 0x1f8, v35
	v_or_b32_e32 v2, 0x800, v0
	v_or_b32_e32 v4, 0xa00, v0
	;; [unrolled: 1-line block ×11, first 2 shown]
	v_lshlrev_b32_e32 v0, 1, v0
	buffer_store_dword v0, off, s[0:3], s32 offset:368 ; 4-byte Folded Spill
	v_lshlrev_b32_e32 v0, 1, v2
	buffer_store_dword v0, off, s[0:3], s32 offset:372 ; 4-byte Folded Spill
	v_lshlrev_b32_e32 v0, 1, v4
	s_lshl_b64 s[8:9], s[24:25], 2
	buffer_store_dword v0, off, s[0:3], s32 offset:376 ; 4-byte Folded Spill
	v_lshlrev_b32_e32 v0, 1, v6
	s_getpc_b64 s[12:13]
	s_add_u32 s12, s12, llvm.amdgcn.dynlds.offset.table@rel32@lo+4
	s_addc_u32 s13, s13, llvm.amdgcn.dynlds.offset.table@rel32@hi+12
	buffer_store_dword v0, off, s[0:3], s32 offset:380 ; 4-byte Folded Spill
	v_lshlrev_b32_e32 v0, 1, v8
	s_add_u32 s8, s8, s12
	buffer_store_dword v0, off, s[0:3], s32 offset:384 ; 4-byte Folded Spill
	v_lshlrev_b32_e32 v0, 1, v12
	s_addc_u32 s9, s9, s13
	buffer_store_dword v0, off, s[0:3], s32 offset:388 ; 4-byte Folded Spill
	v_lshlrev_b32_e32 v0, 1, v30
	s_load_dword s8, s[8:9], 0x0
	buffer_store_dword v0, off, s[0:3], s32 offset:392 ; 4-byte Folded Spill
	v_lshlrev_b32_e32 v0, 1, v16
	buffer_store_dword v0, off, s[0:3], s32 offset:396 ; 4-byte Folded Spill
	v_lshlrev_b32_e32 v0, 1, v18
	;; [unrolled: 2-line block ×4, first 2 shown]
	v_or_b32_e32 v28, 0x1e00, v35
	buffer_store_dword v0, off, s[0:3], s32 offset:408 ; 4-byte Folded Spill
	v_lshlrev_b32_e32 v0, 1, v26
	v_mov_b32_e32 v17, 0
	v_addc_co_u32_e32 v11, vcc, v15, v5, vcc
	s_mov_b64 s[12:13], 0
	s_mov_b32 s15, 0x7f800000
	s_movk_i32 s19, 0x7fff
	buffer_store_dword v0, off, s[0:3], s32 offset:412 ; 4-byte Folded Spill
	v_lshlrev_b32_e32 v0, 1, v28
	v_mov_b32_e32 v13, 0
	v_mov_b32_e32 v12, 0
	;; [unrolled: 1-line block ×16, first 2 shown]
	buffer_store_dword v0, off, s[0:3], s32 offset:416 ; 4-byte Folded Spill
	s_waitcnt vmcnt(0)
	v_lshlrev_b32_e32 v1, 5, v1
	v_lshl_or_b32 v1, v38, 7, v1
	s_waitcnt lgkmcnt(0)
	v_add_u32_e32 v1, s8, v1
	s_branch .LBB189_43
.LBB189_42:                             ;   in Loop: Header=BB189_43 Depth=1
	s_or_b64 exec, exec, s[8:9]
	v_and_b32_e32 v23, 0xffff0000, v45
	v_and_b32_e32 v7, 0xffff0000, v7
	v_add_f32_e32 v7, v7, v23
	v_and_b32_e32 v23, 0xffff0000, v47
	v_and_b32_e32 v51, 0xffff0000, v46
	v_add_f32_e32 v23, v51, v23
	v_add_f32_e32 v7, v7, v23
	v_and_b32_e32 v23, 0xffff0000, v57
	v_and_b32_e32 v51, 0xffff0000, v56
	v_add_f32_e32 v23, v51, v23
	;; [unrolled: 4-line block ×3, first 2 shown]
	v_add_f32_e32 v7, v7, v23
	v_add_f32_e32 v12, v12, v7
	v_and_b32_e32 v7, 0xffff0000, v8
	v_and_b32_e32 v8, 0xffff0000, v15
	v_add_f32_e32 v7, v8, v7
	v_and_b32_e32 v8, 0xffff0000, v41
	v_and_b32_e32 v9, 0xffff0000, v9
	v_add_f32_e32 v8, v9, v8
	v_add_f32_e32 v7, v7, v8
	v_and_b32_e32 v8, 0xffff0000, v43
	v_and_b32_e32 v9, 0xffff0000, v42
	v_add_f32_e32 v8, v9, v8
	;; [unrolled: 4-line block ×3, first 2 shown]
	v_add_f32_e32 v6, v7, v6
	v_add_f32_e32 v19, v19, v6
	v_and_b32_e32 v6, 0xffff0000, v61
	v_and_b32_e32 v7, 0xffff0000, v14
	v_add_f32_e32 v6, v7, v6
	v_and_b32_e32 v7, 0xffff0000, v35
	v_and_b32_e32 v8, 0xffff0000, v34
	v_add_f32_e32 v7, v8, v7
	v_add_f32_e32 v6, v6, v7
	v_and_b32_e32 v7, 0xffff0000, v36
	v_and_b32_e32 v8, 0xffff0000, v16
	v_add_f32_e32 v7, v8, v7
	v_add_f32_e32 v6, v6, v7
	v_and_b32_e32 v7, 0xffff0000, v37
	v_and_b32_e32 v8, 0xffff0000, v38
	v_add_f32_e32 v7, v7, v8
	v_add_f32_e32 v6, v6, v7
	v_accvgpr_read_b32 v5, a2
	v_add_f32_e32 v18, v18, v6
	v_and_b32_e32 v6, 0xffff0000, v5
	v_accvgpr_read_b32 v5, a63
	v_and_b32_e32 v7, 0xffff0000, v5
	v_accvgpr_read_b32 v5, a8
	v_add_f32_e32 v6, v7, v6
	v_and_b32_e32 v7, 0xffff0000, v5
	v_accvgpr_read_b32 v5, a9
	v_and_b32_e32 v8, 0xffff0000, v5
	v_add_f32_e32 v7, v8, v7
	v_accvgpr_read_b32 v5, a7
	v_add_f32_e32 v6, v6, v7
	v_and_b32_e32 v7, 0xffff0000, v5
	v_accvgpr_read_b32 v5, a5
	v_and_b32_e32 v8, 0xffff0000, v5
	v_add_f32_e32 v7, v8, v7
	;; [unrolled: 6-line block ×3, first 2 shown]
	v_add_f32_e32 v5, v6, v5
	v_add_f32_e32 v21, v21, v5
	v_accvgpr_read_b32 v5, a56
	v_accvgpr_read_b32 v6, a55
	v_and_b32_e32 v5, 0xffff0000, v5
	v_and_b32_e32 v6, 0xffff0000, v6
	v_add_f32_e32 v5, v6, v5
	v_accvgpr_read_b32 v6, a58
	v_accvgpr_read_b32 v7, a57
	v_and_b32_e32 v6, 0xffff0000, v6
	v_and_b32_e32 v7, 0xffff0000, v7
	v_add_f32_e32 v6, v7, v6
	v_add_f32_e32 v5, v5, v6
	v_accvgpr_read_b32 v6, a60
	v_accvgpr_read_b32 v7, a59
	v_and_b32_e32 v6, 0xffff0000, v6
	v_and_b32_e32 v7, 0xffff0000, v7
	v_add_f32_e32 v6, v7, v6
	v_add_f32_e32 v5, v5, v6
	v_accvgpr_read_b32 v6, a61
	v_accvgpr_read_b32 v7, a62
	v_and_b32_e32 v6, 0xffff0000, v6
	v_and_b32_e32 v7, 0xffff0000, v7
	v_add_f32_e32 v6, v6, v7
	v_add_f32_e32 v5, v5, v6
	v_add_f32_e32 v20, v20, v5
	v_accvgpr_read_b32 v5, a48
	v_accvgpr_read_b32 v6, a47
	v_and_b32_e32 v5, 0xffff0000, v5
	v_and_b32_e32 v6, 0xffff0000, v6
	v_add_f32_e32 v5, v6, v5
	v_accvgpr_read_b32 v6, a50
	v_accvgpr_read_b32 v7, a49
	v_and_b32_e32 v6, 0xffff0000, v6
	v_and_b32_e32 v7, 0xffff0000, v7
	v_add_f32_e32 v6, v7, v6
	v_add_f32_e32 v5, v5, v6
	v_accvgpr_read_b32 v6, a52
	v_accvgpr_read_b32 v7, a51
	v_and_b32_e32 v6, 0xffff0000, v6
	v_and_b32_e32 v7, 0xffff0000, v7
	v_add_f32_e32 v6, v7, v6
	v_add_f32_e32 v5, v5, v6
	v_accvgpr_read_b32 v6, a53
	v_accvgpr_read_b32 v7, a54
	v_and_b32_e32 v6, 0xffff0000, v6
	v_and_b32_e32 v7, 0xffff0000, v7
	v_add_f32_e32 v6, v6, v7
	;; [unrolled: 24-line block ×6, first 2 shown]
	v_add_f32_e32 v5, v5, v6
	v_add_f32_e32 v29, v29, v5
	buffer_load_dword v5, off, s[0:3], s32 offset:344 ; 4-byte Folded Reload
	buffer_load_dword v7, off, s[0:3], s32 offset:348 ; 4-byte Folded Reload
	;; [unrolled: 1-line block ×3, first 2 shown]
	v_and_b32_e32 v1, 0xffff0000, v1
	v_and_b32_e32 v0, 0xffff0000, v0
	;; [unrolled: 1-line block ×4, first 2 shown]
	v_add_co_u32_e32 v10, vcc, 8, v10
	v_addc_co_u32_e32 v11, vcc, 0, v11, vcc
	v_add_u32_e32 v22, 64, v22
	buffer_load_dword v8, off, s[0:3], s32 offset:332 ; 4-byte Folded Reload
	buffer_load_dword v9, off, s[0:3], s32 offset:336 ; 4-byte Folded Reload
	;; [unrolled: 1-line block ×5, first 2 shown]
	s_waitcnt vmcnt(7)
	v_and_b32_e32 v5, 0xffff0000, v5
	s_waitcnt vmcnt(6)
	v_and_b32_e32 v7, 0xffff0000, v7
	;; [unrolled: 2-line block ×3, first 2 shown]
	v_add_f32_e32 v5, v6, v5
	buffer_load_dword v6, off, s[0:3], s32 offset:352 ; 4-byte Folded Reload
	s_waitcnt vmcnt(5)
	v_and_b32_e32 v8, 0xffff0000, v8
	s_waitcnt vmcnt(4)
	v_and_b32_e32 v9, 0xffff0000, v9
	;; [unrolled: 2-line block ×6, first 2 shown]
	v_add_f32_e32 v6, v7, v6
	v_add_f32_e32 v5, v5, v6
	buffer_load_dword v6, off, s[0:3], s32 offset:360 ; 4-byte Folded Reload
	buffer_load_dword v7, off, s[0:3], s32 offset:356 ; 4-byte Folded Reload
	s_waitcnt vmcnt(1)
	v_and_b32_e32 v6, 0xffff0000, v6
	s_waitcnt vmcnt(0)
	v_and_b32_e32 v7, 0xffff0000, v7
	v_add_f32_e32 v6, v7, v6
	v_add_f32_e32 v5, v5, v6
	v_accvgpr_read_b32 v6, a12
	v_accvgpr_read_b32 v7, a14
	v_and_b32_e32 v6, 0xffff0000, v6
	v_and_b32_e32 v7, 0xffff0000, v7
	v_add_f32_e32 v6, v6, v7
	v_add_f32_e32 v5, v5, v6
	;; [unrolled: 1-line block ×3, first 2 shown]
	buffer_load_dword v5, off, s[0:3], s32 offset:312 ; 4-byte Folded Reload
	buffer_load_dword v7, off, s[0:3], s32 offset:316 ; 4-byte Folded Reload
	;; [unrolled: 1-line block ×3, first 2 shown]
	s_waitcnt vmcnt(2)
	v_and_b32_e32 v5, 0xffff0000, v5
	s_waitcnt vmcnt(1)
	v_and_b32_e32 v7, 0xffff0000, v7
	;; [unrolled: 2-line block ×3, first 2 shown]
	v_add_f32_e32 v5, v6, v5
	buffer_load_dword v6, off, s[0:3], s32 offset:320 ; 4-byte Folded Reload
	s_waitcnt vmcnt(0)
	v_and_b32_e32 v6, 0xffff0000, v6
	v_add_f32_e32 v6, v7, v6
	v_add_f32_e32 v5, v5, v6
	buffer_load_dword v6, off, s[0:3], s32 offset:328 ; 4-byte Folded Reload
	buffer_load_dword v7, off, s[0:3], s32 offset:324 ; 4-byte Folded Reload
	s_waitcnt vmcnt(1)
	v_and_b32_e32 v6, 0xffff0000, v6
	s_waitcnt vmcnt(0)
	v_and_b32_e32 v7, 0xffff0000, v7
	v_add_f32_e32 v6, v7, v6
	v_add_f32_e32 v5, v5, v6
	;; [unrolled: 1-line block ×5, first 2 shown]
	buffer_load_dword v5, off, s[0:3], s32 offset:296 ; 4-byte Folded Reload
	buffer_load_dword v6, off, s[0:3], s32 offset:292 ; 4-byte Folded Reload
	;; [unrolled: 1-line block ×5, first 2 shown]
	s_waitcnt vmcnt(4)
	v_and_b32_e32 v5, 0xffff0000, v5
	s_waitcnt vmcnt(3)
	v_and_b32_e32 v6, 0xffff0000, v6
	;; [unrolled: 2-line block ×5, first 2 shown]
	v_add_f32_e32 v9, v14, v9
	v_add_f32_e32 v7, v8, v7
	;; [unrolled: 1-line block ×8, first 2 shown]
	buffer_load_dword v5, off, s[0:3], s32 offset:264 ; 4-byte Folded Reload
	buffer_load_dword v15, off, s[0:3], s32 offset:268 ; 4-byte Folded Reload
	;; [unrolled: 1-line block ×8, first 2 shown]
	s_waitcnt vmcnt(7)
	v_and_b32_e32 v5, 0xffff0000, v5
	s_waitcnt vmcnt(6)
	v_and_b32_e32 v15, 0xffff0000, v15
	;; [unrolled: 2-line block ×8, first 2 shown]
	v_add_f32_e32 v9, v14, v9
	v_add_f32_e32 v7, v8, v7
	v_add_f32_e32 v7, v9, v7
	v_add_f32_e32 v5, v6, v5
	v_add_f32_e32 v5, v7, v5
	v_add_f32_e32 v6, v15, v16
	v_add_f32_e32 v5, v5, v6
	v_add_f32_e32 v33, v33, v5
	buffer_load_dword v5, off, s[0:3], s32 offset:232 ; 4-byte Folded Reload
	buffer_load_dword v15, off, s[0:3], s32 offset:236 ; 4-byte Folded Reload
	;; [unrolled: 1-line block ×10, first 2 shown]
	s_waitcnt vmcnt(9)
	v_and_b32_e32 v5, 0xffff0000, v5
	s_waitcnt vmcnt(8)
	v_and_b32_e32 v15, 0xffff0000, v15
	;; [unrolled: 2-line block ×8, first 2 shown]
	v_add_f32_e32 v9, v14, v9
	v_add_f32_e32 v7, v8, v7
	;; [unrolled: 1-line block ×7, first 2 shown]
	v_and_b32_e32 v7, 0xffff0000, v48
	v_and_b32_e32 v6, 0xffff0000, v39
	v_add_f32_e32 v32, v32, v5
	v_and_b32_e32 v5, 0xffff0000, v4
	v_and_b32_e32 v4, 0xffff0000, v50
	v_pk_add_f32 v[0:1], v[0:1], v[6:7]
	v_pk_add_f32 v[2:3], v[2:3], v[4:5]
	v_add_f32_e32 v0, v0, v1
	v_add_f32_e32 v0, v0, v2
	;; [unrolled: 1-line block ×4, first 2 shown]
	buffer_load_dword v0, off, s[0:3], s32 offset:188 ; 4-byte Folded Reload
	buffer_load_dword v1, off, s[0:3], s32 offset:208 ; 4-byte Folded Reload
	s_waitcnt vmcnt(3)
	v_add_u32_e32 v36, 2, v36
	s_waitcnt vmcnt(1)
	v_cmp_ge_i32_e32 vcc, v36, v0
	s_or_b64 s[12:13], vcc, s[12:13]
	s_waitcnt vmcnt(0)
	v_add_u32_e32 v1, 0x100, v1
	s_andn2_b64 exec, exec, s[12:13]
	s_cbranch_execz .LBB189_619
.LBB189_43:                             ; =>This Inner Loop Header: Depth=1
	flat_load_dword v35, v[10:11]
	ds_read2_b64 v[6:9], v1 offset1:1
	buffer_store_dword v1, off, s[0:3], s32 offset:208 ; 4-byte Folded Spill
	ds_read2_b64 v[0:3], v1 offset0:2 offset1:3
                                        ; implicit-def: $vgpr34
	s_waitcnt lgkmcnt(0)
	v_and_b32_e32 v4, 0x7f800000, v6
	v_cmp_ne_u32_e32 vcc, s15, v4
	s_and_saveexec_b64 s[8:9], vcc
	s_xor_b64 s[8:9], exec, s[8:9]
; %bb.44:                               ;   in Loop: Header=BB189_43 Depth=1
	v_bfe_u32 v4, v6, 16, 1
	v_add3_u32 v34, v6, v4, s19
; %bb.45:                               ;   in Loop: Header=BB189_43 Depth=1
	s_andn2_saveexec_b64 s[8:9], s[8:9]
; %bb.46:                               ;   in Loop: Header=BB189_43 Depth=1
	v_or_b32_e32 v4, 0x10000, v6
	v_cmp_eq_u32_sdwa vcc, v6, v17 src0_sel:WORD_0 src1_sel:DWORD
	v_cndmask_b32_e32 v34, v4, v6, vcc
; %bb.47:                               ;   in Loop: Header=BB189_43 Depth=1
	s_or_b64 exec, exec, s[8:9]
	v_and_b32_e32 v4, 0x7f800000, v7
	v_cmp_ne_u32_e32 vcc, s15, v4
                                        ; implicit-def: $vgpr16
	s_and_saveexec_b64 s[8:9], vcc
	s_xor_b64 s[8:9], exec, s[8:9]
; %bb.48:                               ;   in Loop: Header=BB189_43 Depth=1
	v_bfe_u32 v4, v7, 16, 1
	v_add3_u32 v16, v7, v4, s19
; %bb.49:                               ;   in Loop: Header=BB189_43 Depth=1
	s_andn2_saveexec_b64 s[8:9], s[8:9]
; %bb.50:                               ;   in Loop: Header=BB189_43 Depth=1
	v_or_b32_e32 v4, 0x10000, v7
	v_cmp_eq_u32_sdwa vcc, v7, v17 src0_sel:WORD_0 src1_sel:DWORD
	v_cndmask_b32_e32 v16, v4, v7, vcc
; %bb.51:                               ;   in Loop: Header=BB189_43 Depth=1
	s_or_b64 exec, exec, s[8:9]
	v_and_b32_e32 v4, 0x7f800000, v8
	v_cmp_ne_u32_e32 vcc, s15, v4
                                        ; implicit-def: $vgpr15
	s_and_saveexec_b64 s[8:9], vcc
	s_xor_b64 s[8:9], exec, s[8:9]
; %bb.52:                               ;   in Loop: Header=BB189_43 Depth=1
	v_bfe_u32 v4, v8, 16, 1
	v_add3_u32 v15, v8, v4, s19
; %bb.53:                               ;   in Loop: Header=BB189_43 Depth=1
	s_andn2_saveexec_b64 s[8:9], s[8:9]
; %bb.54:                               ;   in Loop: Header=BB189_43 Depth=1
	v_or_b32_e32 v4, 0x10000, v8
	v_cmp_eq_u32_sdwa vcc, v8, v17 src0_sel:WORD_0 src1_sel:DWORD
	v_cndmask_b32_e32 v15, v4, v8, vcc
; %bb.55:                               ;   in Loop: Header=BB189_43 Depth=1
	s_or_b64 exec, exec, s[8:9]
	v_and_b32_e32 v4, 0x7f800000, v9
	v_cmp_ne_u32_e32 vcc, s15, v4
                                        ; implicit-def: $vgpr14
	s_and_saveexec_b64 s[8:9], vcc
	s_xor_b64 s[8:9], exec, s[8:9]
; %bb.56:                               ;   in Loop: Header=BB189_43 Depth=1
	v_bfe_u32 v4, v9, 16, 1
	v_add3_u32 v14, v9, v4, s19
                                        ; implicit-def: $vgpr6_vgpr7_vgpr8_vgpr9
; %bb.57:                               ;   in Loop: Header=BB189_43 Depth=1
	s_andn2_saveexec_b64 s[8:9], s[8:9]
; %bb.58:                               ;   in Loop: Header=BB189_43 Depth=1
	v_or_b32_e32 v4, 0x10000, v9
	v_cmp_eq_u32_sdwa vcc, v9, v17 src0_sel:WORD_0 src1_sel:DWORD
	v_cndmask_b32_e32 v14, v4, v9, vcc
; %bb.59:                               ;   in Loop: Header=BB189_43 Depth=1
	s_or_b64 exec, exec, s[8:9]
	v_and_b32_e32 v4, 0x7f800000, v0
	v_cmp_ne_u32_e32 vcc, s15, v4
                                        ; implicit-def: $vgpr9
	s_and_saveexec_b64 s[8:9], vcc
	s_xor_b64 s[8:9], exec, s[8:9]
; %bb.60:                               ;   in Loop: Header=BB189_43 Depth=1
	v_bfe_u32 v4, v0, 16, 1
	v_add3_u32 v9, v0, v4, s19
; %bb.61:                               ;   in Loop: Header=BB189_43 Depth=1
	s_andn2_saveexec_b64 s[8:9], s[8:9]
; %bb.62:                               ;   in Loop: Header=BB189_43 Depth=1
	v_or_b32_e32 v4, 0x10000, v0
	v_cmp_eq_u32_sdwa vcc, v0, v17 src0_sel:WORD_0 src1_sel:DWORD
	v_cndmask_b32_e32 v9, v4, v0, vcc
; %bb.63:                               ;   in Loop: Header=BB189_43 Depth=1
	s_or_b64 exec, exec, s[8:9]
	v_and_b32_e32 v0, 0x7f800000, v1
	v_cmp_ne_u32_e32 vcc, s15, v0
                                        ; implicit-def: $vgpr8
	s_and_saveexec_b64 s[8:9], vcc
	s_xor_b64 s[8:9], exec, s[8:9]
; %bb.64:                               ;   in Loop: Header=BB189_43 Depth=1
	v_bfe_u32 v0, v1, 16, 1
	v_add3_u32 v8, v1, v0, s19
; %bb.65:                               ;   in Loop: Header=BB189_43 Depth=1
	s_andn2_saveexec_b64 s[8:9], s[8:9]
; %bb.66:                               ;   in Loop: Header=BB189_43 Depth=1
	v_or_b32_e32 v0, 0x10000, v1
	v_cmp_eq_u32_sdwa vcc, v1, v17 src0_sel:WORD_0 src1_sel:DWORD
	v_cndmask_b32_e32 v8, v0, v1, vcc
; %bb.67:                               ;   in Loop: Header=BB189_43 Depth=1
	s_or_b64 exec, exec, s[8:9]
	v_and_b32_e32 v0, 0x7f800000, v2
	v_cmp_ne_u32_e32 vcc, s15, v0
                                        ; implicit-def: $vgpr5
	s_and_saveexec_b64 s[8:9], vcc
	s_xor_b64 s[8:9], exec, s[8:9]
; %bb.68:                               ;   in Loop: Header=BB189_43 Depth=1
	v_bfe_u32 v0, v2, 16, 1
	v_add3_u32 v5, v2, v0, s19
; %bb.69:                               ;   in Loop: Header=BB189_43 Depth=1
	s_andn2_saveexec_b64 s[8:9], s[8:9]
; %bb.70:                               ;   in Loop: Header=BB189_43 Depth=1
	v_or_b32_e32 v0, 0x10000, v2
	v_cmp_eq_u32_sdwa vcc, v2, v17 src0_sel:WORD_0 src1_sel:DWORD
	v_cndmask_b32_e32 v5, v0, v2, vcc
; %bb.71:                               ;   in Loop: Header=BB189_43 Depth=1
	s_or_b64 exec, exec, s[8:9]
	v_and_b32_e32 v0, 0x7f800000, v3
	v_cmp_ne_u32_e32 vcc, s15, v0
                                        ; implicit-def: $vgpr4
	s_and_saveexec_b64 s[8:9], vcc
	s_xor_b64 s[8:9], exec, s[8:9]
; %bb.72:                               ;   in Loop: Header=BB189_43 Depth=1
	v_bfe_u32 v0, v3, 16, 1
	v_add3_u32 v4, v3, v0, s19
                                        ; implicit-def: $vgpr0_vgpr1_vgpr2_vgpr3
; %bb.73:                               ;   in Loop: Header=BB189_43 Depth=1
	s_andn2_saveexec_b64 s[8:9], s[8:9]
; %bb.74:                               ;   in Loop: Header=BB189_43 Depth=1
	v_or_b32_e32 v0, 0x10000, v3
	v_cmp_eq_u32_sdwa vcc, v3, v17 src0_sel:WORD_0 src1_sel:DWORD
	v_cndmask_b32_e32 v4, v0, v3, vcc
; %bb.75:                               ;   in Loop: Header=BB189_43 Depth=1
	s_or_b64 exec, exec, s[8:9]
	buffer_load_dword v0, off, s[0:3], s32 offset:192 ; 4-byte Folded Reload
	buffer_load_dword v1, off, s[0:3], s32 offset:196 ; 4-byte Folded Reload
	;; [unrolled: 1-line block ×3, first 2 shown]
	v_mov_b32_e32 v38, v36
	v_add_u32_e32 v23, -7, v22
	v_accvgpr_write_b32 a41, v23
	v_add_u32_e32 v49, -2, v22
	s_waitcnt vmcnt(0)
	v_mad_i64_i32 v[0:1], s[8:9], v35, v0, 0
	v_lshlrev_b64 v[0:1], 1, v[0:1]
	v_add_co_u32_e32 v39, vcc, v2, v0
	buffer_load_dword v0, off, s[0:3], s32 offset:424 ; 4-byte Folded Reload
	s_waitcnt vmcnt(0)
	v_addc_co_u32_e32 v48, vcc, v0, v1, vcc
	buffer_load_dword v0, off, s[0:3], s32 offset:368 ; 4-byte Folded Reload
	s_waitcnt vmcnt(0)
	v_add_co_u32_e32 v6, vcc, v39, v0
	v_addc_co_u32_e32 v7, vcc, 0, v48, vcc
	flat_load_dwordx4 v[0:3], v[6:7]
	s_nop 0
	buffer_store_dword v38, off, s[0:3], s32 offset:200 ; 4-byte Folded Spill
	s_nop 0
	buffer_store_dword v39, off, s[0:3], s32 offset:204 ; 4-byte Folded Spill
	buffer_load_dword v23, off, s[0:3], s32 offset:364 ; 4-byte Folded Reload
	v_add_u32_e32 v38, -1, v22
	v_accvgpr_write_b32 a45, v38
	s_waitcnt vmcnt(0) lgkmcnt(0)
	v_lshrrev_b32_e32 v37, 16, v0
	v_lshrrev_b32_e32 v35, 16, v3
	v_cmp_eq_u32_e32 vcc, v23, v36
	v_add_u32_e32 v23, -6, v22
	v_accvgpr_write_b32 a46, v23
	v_add_u32_e32 v23, -5, v22
	v_accvgpr_write_b32 a44, v23
	;; [unrolled: 2-line block ×4, first 2 shown]
	v_lshrrev_b32_e32 v23, 16, v1
	v_lshrrev_b32_e32 v36, 16, v2
	s_and_saveexec_b64 s[16:17], vcc
	s_cbranch_execz .LBB189_77
; %bb.76:                               ;   in Loop: Header=BB189_43 Depth=1
	v_accvgpr_read_b32 v38, a41
	v_cmp_lt_i32_e64 s[8:9], v38, v62
	v_accvgpr_read_b32 v38, a46
	v_cndmask_b32_e64 v0, 0, v0, s[8:9]
	v_cmp_lt_i32_e64 s[8:9], v38, v62
	v_accvgpr_read_b32 v38, a44
	v_cndmask_b32_e64 v37, 0, v37, s[8:9]
	;; [unrolled: 3-line block ×4, first 2 shown]
	v_cmp_lt_i32_e64 s[8:9], v38, v62
	v_cndmask_b32_e64 v2, 0, v2, s[8:9]
	v_cmp_lt_i32_e64 s[8:9], v49, v62
	v_accvgpr_read_b32 v38, a45
	v_cndmask_b32_e64 v36, 0, v36, s[8:9]
	v_cmp_lt_i32_e64 s[8:9], v38, v62
	v_cndmask_b32_e64 v3, 0, v3, s[8:9]
	v_cmp_lt_i32_e64 s[8:9], v22, v62
	v_cndmask_b32_e64 v35, 0, v35, s[8:9]
.LBB189_77:                             ;   in Loop: Header=BB189_43 Depth=1
	s_or_b64 exec, exec, s[16:17]
	v_and_b32_e32 v50, 0xffff0000, v34
	v_lshlrev_b32_e32 v0, 16, v0
	v_mul_f32_e32 v0, v50, v0
	v_and_b32_e32 v34, 0x7f800000, v0
	v_cmp_ne_u32_e64 s[8:9], s15, v34
                                        ; implicit-def: $vgpr34
                                        ; kill: killed $vgpr34
	s_and_saveexec_b64 s[16:17], s[8:9]
	s_xor_b64 s[8:9], exec, s[16:17]
	s_cbranch_execz .LBB189_79
; %bb.78:                               ;   in Loop: Header=BB189_43 Depth=1
	v_bfe_u32 v34, v0, 16, 1
	v_add3_u32 v0, v0, v34, s19
	buffer_store_dword v0, off, s[0:3], s32 offset:212 ; 4-byte Folded Spill
                                        ; implicit-def: $vgpr0
.LBB189_79:                             ;   in Loop: Header=BB189_43 Depth=1
	s_andn2_saveexec_b64 s[16:17], s[8:9]
	s_cbranch_execz .LBB189_81
; %bb.80:                               ;   in Loop: Header=BB189_43 Depth=1
	v_or_b32_e32 v34, 0x10000, v0
	v_cmp_eq_u32_sdwa s[8:9], v0, v17 src0_sel:WORD_0 src1_sel:DWORD
	v_cndmask_b32_e64 v0, v34, v0, s[8:9]
	buffer_store_dword v0, off, s[0:3], s32 offset:212 ; 4-byte Folded Spill
.LBB189_81:                             ;   in Loop: Header=BB189_43 Depth=1
	s_or_b64 exec, exec, s[16:17]
	v_and_b32_e32 v51, 0xffff0000, v16
	v_lshlrev_b32_e32 v0, 16, v37
	v_mul_f32_e32 v0, v51, v0
	v_and_b32_e32 v16, 0x7f800000, v0
	v_cmp_ne_u32_e64 s[8:9], s15, v16
                                        ; implicit-def: $vgpr16
                                        ; kill: killed $vgpr16
	s_and_saveexec_b64 s[16:17], s[8:9]
	s_xor_b64 s[8:9], exec, s[16:17]
	s_cbranch_execz .LBB189_83
; %bb.82:                               ;   in Loop: Header=BB189_43 Depth=1
	v_bfe_u32 v16, v0, 16, 1
	v_add3_u32 v0, v0, v16, s19
	buffer_store_dword v0, off, s[0:3], s32 offset:216 ; 4-byte Folded Spill
                                        ; implicit-def: $vgpr0
.LBB189_83:                             ;   in Loop: Header=BB189_43 Depth=1
	s_andn2_saveexec_b64 s[16:17], s[8:9]
	s_cbranch_execz .LBB189_85
; %bb.84:                               ;   in Loop: Header=BB189_43 Depth=1
	v_or_b32_e32 v16, 0x10000, v0
	v_cmp_eq_u32_sdwa s[8:9], v0, v17 src0_sel:WORD_0 src1_sel:DWORD
	v_cndmask_b32_e64 v0, v16, v0, s[8:9]
	buffer_store_dword v0, off, s[0:3], s32 offset:216 ; 4-byte Folded Spill
.LBB189_85:                             ;   in Loop: Header=BB189_43 Depth=1
	s_or_b64 exec, exec, s[16:17]
	v_and_b32_e32 v52, 0xffff0000, v15
	v_lshlrev_b32_e32 v0, 16, v1
	v_mul_f32_e32 v0, v52, v0
	v_and_b32_e32 v1, 0x7f800000, v0
	v_cmp_ne_u32_e64 s[8:9], s15, v1
                                        ; implicit-def: $vgpr1
                                        ; kill: killed $vgpr1
	s_and_saveexec_b64 s[16:17], s[8:9]
	s_xor_b64 s[8:9], exec, s[16:17]
	s_cbranch_execz .LBB189_87
; %bb.86:                               ;   in Loop: Header=BB189_43 Depth=1
	v_bfe_u32 v1, v0, 16, 1
	v_add3_u32 v0, v0, v1, s19
	buffer_store_dword v0, off, s[0:3], s32 offset:220 ; 4-byte Folded Spill
                                        ; implicit-def: $vgpr0
.LBB189_87:                             ;   in Loop: Header=BB189_43 Depth=1
	s_andn2_saveexec_b64 s[16:17], s[8:9]
	s_cbranch_execz .LBB189_89
; %bb.88:                               ;   in Loop: Header=BB189_43 Depth=1
	v_or_b32_e32 v1, 0x10000, v0
	v_cmp_eq_u32_sdwa s[8:9], v0, v17 src0_sel:WORD_0 src1_sel:DWORD
	v_cndmask_b32_e64 v0, v1, v0, s[8:9]
	buffer_store_dword v0, off, s[0:3], s32 offset:220 ; 4-byte Folded Spill
.LBB189_89:                             ;   in Loop: Header=BB189_43 Depth=1
	s_or_b64 exec, exec, s[16:17]
	v_and_b32_e32 v53, 0xffff0000, v14
	v_lshlrev_b32_e32 v0, 16, v23
	v_mul_f32_e32 v0, v53, v0
	v_and_b32_e32 v1, 0x7f800000, v0
	v_cmp_ne_u32_e64 s[8:9], s15, v1
                                        ; implicit-def: $vgpr1
                                        ; kill: killed $vgpr1
	;; [unrolled: 25-line block ×4, first 2 shown]
	s_and_saveexec_b64 s[16:17], s[8:9]
	s_xor_b64 s[8:9], exec, s[16:17]
	s_cbranch_execz .LBB189_99
; %bb.98:                               ;   in Loop: Header=BB189_43 Depth=1
	v_bfe_u32 v1, v0, 16, 1
	v_add3_u32 v0, v0, v1, s19
	buffer_store_dword v0, off, s[0:3], s32 offset:232 ; 4-byte Folded Spill
                                        ; implicit-def: $vgpr0
.LBB189_99:                             ;   in Loop: Header=BB189_43 Depth=1
	s_andn2_saveexec_b64 s[16:17], s[8:9]
	s_cbranch_execz .LBB189_101
; %bb.100:                              ;   in Loop: Header=BB189_43 Depth=1
	v_or_b32_e32 v1, 0x10000, v0
	v_cmp_eq_u32_sdwa s[8:9], v0, v17 src0_sel:WORD_0 src1_sel:DWORD
	v_cndmask_b32_e64 v0, v1, v0, s[8:9]
	buffer_store_dword v0, off, s[0:3], s32 offset:232 ; 4-byte Folded Spill
.LBB189_101:                            ;   in Loop: Header=BB189_43 Depth=1
	s_or_b64 exec, exec, s[16:17]
	v_and_b32_e32 v40, 0xffff0000, v5
	v_lshlrev_b32_e32 v0, 16, v3
	v_mul_f32_e32 v0, v40, v0
	v_and_b32_e32 v1, 0x7f800000, v0
	v_cmp_ne_u32_e64 s[8:9], s15, v1
                                        ; implicit-def: $vgpr1
                                        ; kill: killed $vgpr1
	s_and_saveexec_b64 s[16:17], s[8:9]
	s_xor_b64 s[8:9], exec, s[16:17]
	s_cbranch_execz .LBB189_103
; %bb.102:                              ;   in Loop: Header=BB189_43 Depth=1
	v_bfe_u32 v1, v0, 16, 1
	v_add3_u32 v0, v0, v1, s19
	buffer_store_dword v0, off, s[0:3], s32 offset:236 ; 4-byte Folded Spill
                                        ; implicit-def: $vgpr0
.LBB189_103:                            ;   in Loop: Header=BB189_43 Depth=1
	s_andn2_saveexec_b64 s[16:17], s[8:9]
	s_cbranch_execz .LBB189_105
; %bb.104:                              ;   in Loop: Header=BB189_43 Depth=1
	v_or_b32_e32 v1, 0x10000, v0
	v_cmp_eq_u32_sdwa s[8:9], v0, v17 src0_sel:WORD_0 src1_sel:DWORD
	v_cndmask_b32_e64 v0, v1, v0, s[8:9]
	buffer_store_dword v0, off, s[0:3], s32 offset:236 ; 4-byte Folded Spill
.LBB189_105:                            ;   in Loop: Header=BB189_43 Depth=1
	s_or_b64 exec, exec, s[16:17]
	v_and_b32_e32 v4, 0xffff0000, v4
	v_lshlrev_b32_e32 v0, 16, v35
	v_mul_f32_e32 v0, v4, v0
	v_and_b32_e32 v1, 0x7f800000, v0
	v_cmp_ne_u32_e64 s[8:9], s15, v1
                                        ; implicit-def: $vgpr1
                                        ; kill: killed $vgpr1
	s_and_saveexec_b64 s[16:17], s[8:9]
	s_xor_b64 s[8:9], exec, s[16:17]
	s_cbranch_execz .LBB189_107
; %bb.106:                              ;   in Loop: Header=BB189_43 Depth=1
	v_bfe_u32 v1, v0, 16, 1
	v_add3_u32 v0, v0, v1, s19
	buffer_store_dword v0, off, s[0:3], s32 offset:240 ; 4-byte Folded Spill
                                        ; implicit-def: $vgpr0
.LBB189_107:                            ;   in Loop: Header=BB189_43 Depth=1
	s_andn2_saveexec_b64 s[16:17], s[8:9]
	s_cbranch_execz .LBB189_109
; %bb.108:                              ;   in Loop: Header=BB189_43 Depth=1
	v_or_b32_e32 v1, 0x10000, v0
	v_cmp_eq_u32_sdwa s[8:9], v0, v17 src0_sel:WORD_0 src1_sel:DWORD
	v_cndmask_b32_e64 v0, v1, v0, s[8:9]
	buffer_store_dword v0, off, s[0:3], s32 offset:240 ; 4-byte Folded Spill
.LBB189_109:                            ;   in Loop: Header=BB189_43 Depth=1
	s_or_b64 exec, exec, s[16:17]
	flat_load_dwordx4 v[0:3], v[6:7] offset:1024
	s_waitcnt vmcnt(0) lgkmcnt(0)
	v_lshrrev_b32_e32 v14, 16, v0
	v_lshrrev_b32_e32 v9, 16, v1
	;; [unrolled: 1-line block ×4, first 2 shown]
	s_and_saveexec_b64 s[16:17], vcc
	s_cbranch_execz .LBB189_111
; %bb.110:                              ;   in Loop: Header=BB189_43 Depth=1
	v_accvgpr_read_b32 v15, a41
	v_cmp_lt_i32_e64 s[8:9], v15, v62
	v_accvgpr_read_b32 v15, a46
	v_cndmask_b32_e64 v0, 0, v0, s[8:9]
	v_cmp_lt_i32_e64 s[8:9], v15, v62
	v_accvgpr_read_b32 v15, a44
	v_cndmask_b32_e64 v14, 0, v14, s[8:9]
	;; [unrolled: 3-line block ×4, first 2 shown]
	v_cmp_lt_i32_e64 s[8:9], v15, v62
	v_cndmask_b32_e64 v2, 0, v2, s[8:9]
	v_cmp_lt_i32_e64 s[8:9], v49, v62
	v_accvgpr_read_b32 v15, a45
	v_cndmask_b32_e64 v8, 0, v8, s[8:9]
	v_cmp_lt_i32_e64 s[8:9], v15, v62
	v_cndmask_b32_e64 v3, 0, v3, s[8:9]
	v_cmp_lt_i32_e64 s[8:9], v22, v62
	v_cndmask_b32_e64 v5, 0, v5, s[8:9]
.LBB189_111:                            ;   in Loop: Header=BB189_43 Depth=1
	s_or_b64 exec, exec, s[16:17]
	v_lshlrev_b32_e32 v0, 16, v0
	v_mul_f32_e32 v0, v50, v0
	v_and_b32_e32 v15, 0x7f800000, v0
	v_cmp_ne_u32_e64 s[8:9], s15, v15
                                        ; implicit-def: $vgpr15
                                        ; kill: killed $vgpr15
	s_and_saveexec_b64 s[16:17], s[8:9]
	s_xor_b64 s[8:9], exec, s[16:17]
	s_cbranch_execz .LBB189_113
; %bb.112:                              ;   in Loop: Header=BB189_43 Depth=1
	v_bfe_u32 v15, v0, 16, 1
	v_add3_u32 v0, v0, v15, s19
	buffer_store_dword v0, off, s[0:3], s32 offset:244 ; 4-byte Folded Spill
                                        ; implicit-def: $vgpr0
.LBB189_113:                            ;   in Loop: Header=BB189_43 Depth=1
	s_andn2_saveexec_b64 s[16:17], s[8:9]
	s_cbranch_execz .LBB189_115
; %bb.114:                              ;   in Loop: Header=BB189_43 Depth=1
	v_or_b32_e32 v15, 0x10000, v0
	v_cmp_eq_u32_sdwa s[8:9], v0, v17 src0_sel:WORD_0 src1_sel:DWORD
	v_cndmask_b32_e64 v0, v15, v0, s[8:9]
	buffer_store_dword v0, off, s[0:3], s32 offset:244 ; 4-byte Folded Spill
.LBB189_115:                            ;   in Loop: Header=BB189_43 Depth=1
	s_or_b64 exec, exec, s[16:17]
	v_lshlrev_b32_e32 v0, 16, v14
	v_mul_f32_e32 v0, v51, v0
	v_and_b32_e32 v14, 0x7f800000, v0
	v_cmp_ne_u32_e64 s[8:9], s15, v14
                                        ; implicit-def: $vgpr14
                                        ; kill: killed $vgpr14
	s_and_saveexec_b64 s[16:17], s[8:9]
	s_xor_b64 s[8:9], exec, s[16:17]
	s_cbranch_execz .LBB189_117
; %bb.116:                              ;   in Loop: Header=BB189_43 Depth=1
	v_bfe_u32 v14, v0, 16, 1
	v_add3_u32 v0, v0, v14, s19
	buffer_store_dword v0, off, s[0:3], s32 offset:248 ; 4-byte Folded Spill
                                        ; implicit-def: $vgpr0
.LBB189_117:                            ;   in Loop: Header=BB189_43 Depth=1
	s_andn2_saveexec_b64 s[16:17], s[8:9]
	s_cbranch_execz .LBB189_119
; %bb.118:                              ;   in Loop: Header=BB189_43 Depth=1
	v_or_b32_e32 v14, 0x10000, v0
	v_cmp_eq_u32_sdwa s[8:9], v0, v17 src0_sel:WORD_0 src1_sel:DWORD
	v_cndmask_b32_e64 v0, v14, v0, s[8:9]
	buffer_store_dword v0, off, s[0:3], s32 offset:248 ; 4-byte Folded Spill
.LBB189_119:                            ;   in Loop: Header=BB189_43 Depth=1
	s_or_b64 exec, exec, s[16:17]
	v_lshlrev_b32_e32 v0, 16, v1
	v_mul_f32_e32 v0, v52, v0
	v_and_b32_e32 v1, 0x7f800000, v0
	v_cmp_ne_u32_e64 s[8:9], s15, v1
                                        ; implicit-def: $vgpr1
                                        ; kill: killed $vgpr1
	s_and_saveexec_b64 s[16:17], s[8:9]
	s_xor_b64 s[8:9], exec, s[16:17]
	s_cbranch_execz .LBB189_121
; %bb.120:                              ;   in Loop: Header=BB189_43 Depth=1
	v_bfe_u32 v1, v0, 16, 1
	v_add3_u32 v0, v0, v1, s19
	buffer_store_dword v0, off, s[0:3], s32 offset:252 ; 4-byte Folded Spill
                                        ; implicit-def: $vgpr0
.LBB189_121:                            ;   in Loop: Header=BB189_43 Depth=1
	s_andn2_saveexec_b64 s[16:17], s[8:9]
	s_cbranch_execz .LBB189_123
; %bb.122:                              ;   in Loop: Header=BB189_43 Depth=1
	v_or_b32_e32 v1, 0x10000, v0
	v_cmp_eq_u32_sdwa s[8:9], v0, v17 src0_sel:WORD_0 src1_sel:DWORD
	v_cndmask_b32_e64 v0, v1, v0, s[8:9]
	buffer_store_dword v0, off, s[0:3], s32 offset:252 ; 4-byte Folded Spill
.LBB189_123:                            ;   in Loop: Header=BB189_43 Depth=1
	s_or_b64 exec, exec, s[16:17]
	v_lshlrev_b32_e32 v0, 16, v9
	v_mul_f32_e32 v0, v53, v0
	v_and_b32_e32 v1, 0x7f800000, v0
	v_cmp_ne_u32_e64 s[8:9], s15, v1
                                        ; implicit-def: $vgpr1
                                        ; kill: killed $vgpr1
	;; [unrolled: 24-line block ×6, first 2 shown]
	s_and_saveexec_b64 s[16:17], s[8:9]
	s_xor_b64 s[8:9], exec, s[16:17]
	s_cbranch_execz .LBB189_141
; %bb.140:                              ;   in Loop: Header=BB189_43 Depth=1
	v_bfe_u32 v1, v0, 16, 1
	v_add3_u32 v0, v0, v1, s19
	buffer_store_dword v0, off, s[0:3], s32 offset:272 ; 4-byte Folded Spill
                                        ; implicit-def: $vgpr0
.LBB189_141:                            ;   in Loop: Header=BB189_43 Depth=1
	s_andn2_saveexec_b64 s[16:17], s[8:9]
	s_cbranch_execz .LBB189_143
; %bb.142:                              ;   in Loop: Header=BB189_43 Depth=1
	v_or_b32_e32 v1, 0x10000, v0
	v_cmp_eq_u32_sdwa s[8:9], v0, v17 src0_sel:WORD_0 src1_sel:DWORD
	v_cndmask_b32_e64 v0, v1, v0, s[8:9]
	buffer_store_dword v0, off, s[0:3], s32 offset:272 ; 4-byte Folded Spill
.LBB189_143:                            ;   in Loop: Header=BB189_43 Depth=1
	s_or_b64 exec, exec, s[16:17]
	flat_load_dwordx4 v[0:3], v[6:7] offset:2048
	s_waitcnt vmcnt(0) lgkmcnt(0)
	v_lshrrev_b32_e32 v14, 16, v0
	v_lshrrev_b32_e32 v9, 16, v1
	v_lshrrev_b32_e32 v8, 16, v2
	v_lshrrev_b32_e32 v5, 16, v3
	s_and_saveexec_b64 s[16:17], vcc
	s_cbranch_execz .LBB189_145
; %bb.144:                              ;   in Loop: Header=BB189_43 Depth=1
	v_accvgpr_read_b32 v15, a41
	v_cmp_lt_i32_e64 s[8:9], v15, v62
	v_accvgpr_read_b32 v15, a46
	v_cndmask_b32_e64 v0, 0, v0, s[8:9]
	v_cmp_lt_i32_e64 s[8:9], v15, v62
	v_accvgpr_read_b32 v15, a44
	v_cndmask_b32_e64 v14, 0, v14, s[8:9]
	;; [unrolled: 3-line block ×4, first 2 shown]
	v_cmp_lt_i32_e64 s[8:9], v15, v62
	v_cndmask_b32_e64 v2, 0, v2, s[8:9]
	v_cmp_lt_i32_e64 s[8:9], v49, v62
	v_accvgpr_read_b32 v15, a45
	v_cndmask_b32_e64 v8, 0, v8, s[8:9]
	v_cmp_lt_i32_e64 s[8:9], v15, v62
	v_cndmask_b32_e64 v3, 0, v3, s[8:9]
	v_cmp_lt_i32_e64 s[8:9], v22, v62
	v_cndmask_b32_e64 v5, 0, v5, s[8:9]
.LBB189_145:                            ;   in Loop: Header=BB189_43 Depth=1
	s_or_b64 exec, exec, s[16:17]
	v_lshlrev_b32_e32 v0, 16, v0
	v_mul_f32_e32 v0, v50, v0
	v_and_b32_e32 v15, 0x7f800000, v0
	v_cmp_ne_u32_e64 s[8:9], s15, v15
                                        ; implicit-def: $vgpr15
                                        ; kill: killed $vgpr15
	s_and_saveexec_b64 s[16:17], s[8:9]
	s_xor_b64 s[8:9], exec, s[16:17]
	s_cbranch_execz .LBB189_147
; %bb.146:                              ;   in Loop: Header=BB189_43 Depth=1
	v_bfe_u32 v15, v0, 16, 1
	v_add3_u32 v0, v0, v15, s19
	buffer_store_dword v0, off, s[0:3], s32 offset:276 ; 4-byte Folded Spill
                                        ; implicit-def: $vgpr0
.LBB189_147:                            ;   in Loop: Header=BB189_43 Depth=1
	s_andn2_saveexec_b64 s[16:17], s[8:9]
	s_cbranch_execz .LBB189_149
; %bb.148:                              ;   in Loop: Header=BB189_43 Depth=1
	v_or_b32_e32 v15, 0x10000, v0
	v_cmp_eq_u32_sdwa s[8:9], v0, v17 src0_sel:WORD_0 src1_sel:DWORD
	v_cndmask_b32_e64 v0, v15, v0, s[8:9]
	buffer_store_dword v0, off, s[0:3], s32 offset:276 ; 4-byte Folded Spill
.LBB189_149:                            ;   in Loop: Header=BB189_43 Depth=1
	s_or_b64 exec, exec, s[16:17]
	v_lshlrev_b32_e32 v0, 16, v14
	v_mul_f32_e32 v0, v51, v0
	v_and_b32_e32 v14, 0x7f800000, v0
	v_cmp_ne_u32_e64 s[8:9], s15, v14
                                        ; implicit-def: $vgpr14
                                        ; kill: killed $vgpr14
	s_and_saveexec_b64 s[16:17], s[8:9]
	s_xor_b64 s[8:9], exec, s[16:17]
	s_cbranch_execz .LBB189_151
; %bb.150:                              ;   in Loop: Header=BB189_43 Depth=1
	v_bfe_u32 v14, v0, 16, 1
	v_add3_u32 v0, v0, v14, s19
	buffer_store_dword v0, off, s[0:3], s32 offset:280 ; 4-byte Folded Spill
                                        ; implicit-def: $vgpr0
.LBB189_151:                            ;   in Loop: Header=BB189_43 Depth=1
	s_andn2_saveexec_b64 s[16:17], s[8:9]
	s_cbranch_execz .LBB189_153
; %bb.152:                              ;   in Loop: Header=BB189_43 Depth=1
	v_or_b32_e32 v14, 0x10000, v0
	v_cmp_eq_u32_sdwa s[8:9], v0, v17 src0_sel:WORD_0 src1_sel:DWORD
	v_cndmask_b32_e64 v0, v14, v0, s[8:9]
	buffer_store_dword v0, off, s[0:3], s32 offset:280 ; 4-byte Folded Spill
.LBB189_153:                            ;   in Loop: Header=BB189_43 Depth=1
	s_or_b64 exec, exec, s[16:17]
	v_lshlrev_b32_e32 v0, 16, v1
	v_mul_f32_e32 v0, v52, v0
	v_and_b32_e32 v1, 0x7f800000, v0
	v_cmp_ne_u32_e64 s[8:9], s15, v1
                                        ; implicit-def: $vgpr1
                                        ; kill: killed $vgpr1
	s_and_saveexec_b64 s[16:17], s[8:9]
	s_xor_b64 s[8:9], exec, s[16:17]
	s_cbranch_execz .LBB189_155
; %bb.154:                              ;   in Loop: Header=BB189_43 Depth=1
	v_bfe_u32 v1, v0, 16, 1
	v_add3_u32 v0, v0, v1, s19
	buffer_store_dword v0, off, s[0:3], s32 offset:284 ; 4-byte Folded Spill
                                        ; implicit-def: $vgpr0
.LBB189_155:                            ;   in Loop: Header=BB189_43 Depth=1
	s_andn2_saveexec_b64 s[16:17], s[8:9]
	s_cbranch_execz .LBB189_157
; %bb.156:                              ;   in Loop: Header=BB189_43 Depth=1
	v_or_b32_e32 v1, 0x10000, v0
	v_cmp_eq_u32_sdwa s[8:9], v0, v17 src0_sel:WORD_0 src1_sel:DWORD
	v_cndmask_b32_e64 v0, v1, v0, s[8:9]
	buffer_store_dword v0, off, s[0:3], s32 offset:284 ; 4-byte Folded Spill
.LBB189_157:                            ;   in Loop: Header=BB189_43 Depth=1
	s_or_b64 exec, exec, s[16:17]
	v_lshlrev_b32_e32 v0, 16, v9
	v_mul_f32_e32 v0, v53, v0
	v_and_b32_e32 v1, 0x7f800000, v0
	v_cmp_ne_u32_e64 s[8:9], s15, v1
                                        ; implicit-def: $vgpr1
                                        ; kill: killed $vgpr1
	;; [unrolled: 24-line block ×6, first 2 shown]
	s_and_saveexec_b64 s[16:17], s[8:9]
	s_xor_b64 s[8:9], exec, s[16:17]
	s_cbranch_execz .LBB189_175
; %bb.174:                              ;   in Loop: Header=BB189_43 Depth=1
	v_bfe_u32 v1, v0, 16, 1
	v_add3_u32 v0, v0, v1, s19
	buffer_store_dword v0, off, s[0:3], s32 offset:304 ; 4-byte Folded Spill
                                        ; implicit-def: $vgpr0
.LBB189_175:                            ;   in Loop: Header=BB189_43 Depth=1
	s_andn2_saveexec_b64 s[16:17], s[8:9]
	s_cbranch_execz .LBB189_177
; %bb.176:                              ;   in Loop: Header=BB189_43 Depth=1
	v_or_b32_e32 v1, 0x10000, v0
	v_cmp_eq_u32_sdwa s[8:9], v0, v17 src0_sel:WORD_0 src1_sel:DWORD
	v_cndmask_b32_e64 v0, v1, v0, s[8:9]
	buffer_store_dword v0, off, s[0:3], s32 offset:304 ; 4-byte Folded Spill
.LBB189_177:                            ;   in Loop: Header=BB189_43 Depth=1
	s_or_b64 exec, exec, s[16:17]
	flat_load_dwordx4 v[0:3], v[6:7] offset:3072
	s_waitcnt vmcnt(0) lgkmcnt(0)
	v_lshrrev_b32_e32 v8, 16, v0
	v_lshrrev_b32_e32 v7, 16, v1
	;; [unrolled: 1-line block ×4, first 2 shown]
	s_and_saveexec_b64 s[16:17], vcc
	s_cbranch_execz .LBB189_179
; %bb.178:                              ;   in Loop: Header=BB189_43 Depth=1
	v_accvgpr_read_b32 v9, a41
	v_cmp_lt_i32_e64 s[8:9], v9, v62
	v_accvgpr_read_b32 v9, a46
	v_cndmask_b32_e64 v0, 0, v0, s[8:9]
	v_cmp_lt_i32_e64 s[8:9], v9, v62
	v_accvgpr_read_b32 v9, a44
	v_cndmask_b32_e64 v8, 0, v8, s[8:9]
	;; [unrolled: 3-line block ×4, first 2 shown]
	v_cmp_lt_i32_e64 s[8:9], v9, v62
	v_cndmask_b32_e64 v2, 0, v2, s[8:9]
	v_cmp_lt_i32_e64 s[8:9], v49, v62
	v_accvgpr_read_b32 v9, a45
	v_cndmask_b32_e64 v6, 0, v6, s[8:9]
	v_cmp_lt_i32_e64 s[8:9], v9, v62
	v_cndmask_b32_e64 v3, 0, v3, s[8:9]
	v_cmp_lt_i32_e64 s[8:9], v22, v62
	v_cndmask_b32_e64 v5, 0, v5, s[8:9]
.LBB189_179:                            ;   in Loop: Header=BB189_43 Depth=1
	s_or_b64 exec, exec, s[16:17]
	v_lshlrev_b32_e32 v0, 16, v0
	v_mul_f32_e32 v0, v50, v0
	v_and_b32_e32 v9, 0x7f800000, v0
	v_cmp_ne_u32_e64 s[8:9], s15, v9
                                        ; implicit-def: $vgpr9
                                        ; kill: killed $vgpr9
	s_and_saveexec_b64 s[16:17], s[8:9]
	s_xor_b64 s[8:9], exec, s[16:17]
	s_cbranch_execz .LBB189_181
; %bb.180:                              ;   in Loop: Header=BB189_43 Depth=1
	v_bfe_u32 v9, v0, 16, 1
	v_add3_u32 v0, v0, v9, s19
	buffer_store_dword v0, off, s[0:3], s32 offset:308 ; 4-byte Folded Spill
                                        ; implicit-def: $vgpr0
.LBB189_181:                            ;   in Loop: Header=BB189_43 Depth=1
	s_andn2_saveexec_b64 s[16:17], s[8:9]
	s_cbranch_execz .LBB189_183
; %bb.182:                              ;   in Loop: Header=BB189_43 Depth=1
	v_or_b32_e32 v9, 0x10000, v0
	v_cmp_eq_u32_sdwa s[8:9], v0, v17 src0_sel:WORD_0 src1_sel:DWORD
	v_cndmask_b32_e64 v0, v9, v0, s[8:9]
	buffer_store_dword v0, off, s[0:3], s32 offset:308 ; 4-byte Folded Spill
.LBB189_183:                            ;   in Loop: Header=BB189_43 Depth=1
	s_or_b64 exec, exec, s[16:17]
	v_lshlrev_b32_e32 v0, 16, v8
	v_mul_f32_e32 v0, v51, v0
	v_and_b32_e32 v8, 0x7f800000, v0
	v_cmp_ne_u32_e64 s[8:9], s15, v8
                                        ; implicit-def: $vgpr8
                                        ; kill: killed $vgpr8
	s_and_saveexec_b64 s[16:17], s[8:9]
	s_xor_b64 s[8:9], exec, s[16:17]
	s_cbranch_execz .LBB189_185
; %bb.184:                              ;   in Loop: Header=BB189_43 Depth=1
	v_bfe_u32 v8, v0, 16, 1
	v_add3_u32 v0, v0, v8, s19
	buffer_store_dword v0, off, s[0:3], s32 offset:312 ; 4-byte Folded Spill
                                        ; implicit-def: $vgpr0
.LBB189_185:                            ;   in Loop: Header=BB189_43 Depth=1
	s_andn2_saveexec_b64 s[16:17], s[8:9]
	s_cbranch_execz .LBB189_187
; %bb.186:                              ;   in Loop: Header=BB189_43 Depth=1
	v_or_b32_e32 v8, 0x10000, v0
	v_cmp_eq_u32_sdwa s[8:9], v0, v17 src0_sel:WORD_0 src1_sel:DWORD
	v_cndmask_b32_e64 v0, v8, v0, s[8:9]
	buffer_store_dword v0, off, s[0:3], s32 offset:312 ; 4-byte Folded Spill
.LBB189_187:                            ;   in Loop: Header=BB189_43 Depth=1
	s_or_b64 exec, exec, s[16:17]
	v_lshlrev_b32_e32 v0, 16, v1
	v_mul_f32_e32 v0, v52, v0
	v_and_b32_e32 v1, 0x7f800000, v0
	v_cmp_ne_u32_e64 s[8:9], s15, v1
                                        ; implicit-def: $vgpr1
                                        ; kill: killed $vgpr1
	s_and_saveexec_b64 s[16:17], s[8:9]
	s_xor_b64 s[8:9], exec, s[16:17]
	s_cbranch_execz .LBB189_189
; %bb.188:                              ;   in Loop: Header=BB189_43 Depth=1
	v_bfe_u32 v1, v0, 16, 1
	v_add3_u32 v0, v0, v1, s19
	buffer_store_dword v0, off, s[0:3], s32 offset:316 ; 4-byte Folded Spill
                                        ; implicit-def: $vgpr0
.LBB189_189:                            ;   in Loop: Header=BB189_43 Depth=1
	s_andn2_saveexec_b64 s[16:17], s[8:9]
	s_cbranch_execz .LBB189_191
; %bb.190:                              ;   in Loop: Header=BB189_43 Depth=1
	v_or_b32_e32 v1, 0x10000, v0
	v_cmp_eq_u32_sdwa s[8:9], v0, v17 src0_sel:WORD_0 src1_sel:DWORD
	v_cndmask_b32_e64 v0, v1, v0, s[8:9]
	buffer_store_dword v0, off, s[0:3], s32 offset:316 ; 4-byte Folded Spill
.LBB189_191:                            ;   in Loop: Header=BB189_43 Depth=1
	s_or_b64 exec, exec, s[16:17]
	v_lshlrev_b32_e32 v0, 16, v7
	v_mul_f32_e32 v0, v53, v0
	v_and_b32_e32 v1, 0x7f800000, v0
	v_cmp_ne_u32_e64 s[8:9], s15, v1
                                        ; implicit-def: $vgpr1
                                        ; kill: killed $vgpr1
	;; [unrolled: 24-line block ×6, first 2 shown]
	s_and_saveexec_b64 s[16:17], s[8:9]
	s_xor_b64 s[8:9], exec, s[16:17]
	s_cbranch_execz .LBB189_209
; %bb.208:                              ;   in Loop: Header=BB189_43 Depth=1
	v_bfe_u32 v1, v0, 16, 1
	v_add3_u32 v0, v0, v1, s19
	buffer_store_dword v0, off, s[0:3], s32 offset:336 ; 4-byte Folded Spill
                                        ; implicit-def: $vgpr0
.LBB189_209:                            ;   in Loop: Header=BB189_43 Depth=1
	s_andn2_saveexec_b64 s[16:17], s[8:9]
	s_cbranch_execz .LBB189_211
; %bb.210:                              ;   in Loop: Header=BB189_43 Depth=1
	v_or_b32_e32 v1, 0x10000, v0
	v_cmp_eq_u32_sdwa s[8:9], v0, v17 src0_sel:WORD_0 src1_sel:DWORD
	v_cndmask_b32_e64 v0, v1, v0, s[8:9]
	buffer_store_dword v0, off, s[0:3], s32 offset:336 ; 4-byte Folded Spill
.LBB189_211:                            ;   in Loop: Header=BB189_43 Depth=1
	s_or_b64 exec, exec, s[16:17]
	buffer_load_dword v0, off, s[0:3], s32 offset:372 ; 4-byte Folded Reload
	s_waitcnt vmcnt(0)
	v_add_co_u32_e64 v0, s[8:9], v39, v0
	v_addc_co_u32_e64 v1, s[8:9], 0, v48, s[8:9]
	flat_load_dwordx4 v[0:3], v[0:1]
	s_waitcnt vmcnt(0) lgkmcnt(0)
	v_lshrrev_b32_e32 v8, 16, v0
	v_lshrrev_b32_e32 v7, 16, v1
	;; [unrolled: 1-line block ×4, first 2 shown]
	s_and_saveexec_b64 s[16:17], vcc
	s_cbranch_execz .LBB189_213
; %bb.212:                              ;   in Loop: Header=BB189_43 Depth=1
	v_accvgpr_read_b32 v9, a41
	v_cmp_lt_i32_e64 s[8:9], v9, v62
	v_accvgpr_read_b32 v9, a46
	v_cndmask_b32_e64 v0, 0, v0, s[8:9]
	v_cmp_lt_i32_e64 s[8:9], v9, v62
	v_accvgpr_read_b32 v9, a44
	v_cndmask_b32_e64 v8, 0, v8, s[8:9]
	;; [unrolled: 3-line block ×4, first 2 shown]
	v_cmp_lt_i32_e64 s[8:9], v9, v62
	v_cndmask_b32_e64 v2, 0, v2, s[8:9]
	v_cmp_lt_i32_e64 s[8:9], v49, v62
	v_accvgpr_read_b32 v9, a45
	v_cndmask_b32_e64 v6, 0, v6, s[8:9]
	v_cmp_lt_i32_e64 s[8:9], v9, v62
	v_cndmask_b32_e64 v3, 0, v3, s[8:9]
	v_cmp_lt_i32_e64 s[8:9], v22, v62
	v_cndmask_b32_e64 v5, 0, v5, s[8:9]
.LBB189_213:                            ;   in Loop: Header=BB189_43 Depth=1
	s_or_b64 exec, exec, s[16:17]
	v_lshlrev_b32_e32 v0, 16, v0
	v_mul_f32_e32 v0, v50, v0
	v_and_b32_e32 v9, 0x7f800000, v0
	v_cmp_ne_u32_e64 s[8:9], s15, v9
                                        ; implicit-def: $vgpr9
                                        ; kill: killed $vgpr9
	s_and_saveexec_b64 s[16:17], s[8:9]
	s_xor_b64 s[8:9], exec, s[16:17]
	s_cbranch_execz .LBB189_215
; %bb.214:                              ;   in Loop: Header=BB189_43 Depth=1
	v_bfe_u32 v9, v0, 16, 1
	v_add3_u32 v0, v0, v9, s19
	buffer_store_dword v0, off, s[0:3], s32 offset:340 ; 4-byte Folded Spill
                                        ; implicit-def: $vgpr0
.LBB189_215:                            ;   in Loop: Header=BB189_43 Depth=1
	s_andn2_saveexec_b64 s[16:17], s[8:9]
	s_cbranch_execz .LBB189_217
; %bb.216:                              ;   in Loop: Header=BB189_43 Depth=1
	v_or_b32_e32 v9, 0x10000, v0
	v_cmp_eq_u32_sdwa s[8:9], v0, v17 src0_sel:WORD_0 src1_sel:DWORD
	v_cndmask_b32_e64 v0, v9, v0, s[8:9]
	buffer_store_dword v0, off, s[0:3], s32 offset:340 ; 4-byte Folded Spill
.LBB189_217:                            ;   in Loop: Header=BB189_43 Depth=1
	s_or_b64 exec, exec, s[16:17]
	v_lshlrev_b32_e32 v0, 16, v8
	v_mul_f32_e32 v0, v51, v0
	v_and_b32_e32 v8, 0x7f800000, v0
	v_cmp_ne_u32_e64 s[8:9], s15, v8
                                        ; implicit-def: $vgpr8
                                        ; kill: killed $vgpr8
	s_and_saveexec_b64 s[16:17], s[8:9]
	s_xor_b64 s[8:9], exec, s[16:17]
	s_cbranch_execz .LBB189_219
; %bb.218:                              ;   in Loop: Header=BB189_43 Depth=1
	v_bfe_u32 v8, v0, 16, 1
	v_add3_u32 v0, v0, v8, s19
	buffer_store_dword v0, off, s[0:3], s32 offset:344 ; 4-byte Folded Spill
                                        ; implicit-def: $vgpr0
.LBB189_219:                            ;   in Loop: Header=BB189_43 Depth=1
	s_andn2_saveexec_b64 s[16:17], s[8:9]
	s_cbranch_execz .LBB189_221
; %bb.220:                              ;   in Loop: Header=BB189_43 Depth=1
	v_or_b32_e32 v8, 0x10000, v0
	v_cmp_eq_u32_sdwa s[8:9], v0, v17 src0_sel:WORD_0 src1_sel:DWORD
	v_cndmask_b32_e64 v0, v8, v0, s[8:9]
	buffer_store_dword v0, off, s[0:3], s32 offset:344 ; 4-byte Folded Spill
.LBB189_221:                            ;   in Loop: Header=BB189_43 Depth=1
	s_or_b64 exec, exec, s[16:17]
	v_lshlrev_b32_e32 v0, 16, v1
	v_mul_f32_e32 v0, v52, v0
	v_and_b32_e32 v1, 0x7f800000, v0
	v_cmp_ne_u32_e64 s[8:9], s15, v1
                                        ; implicit-def: $vgpr1
                                        ; kill: killed $vgpr1
	s_and_saveexec_b64 s[16:17], s[8:9]
	s_xor_b64 s[8:9], exec, s[16:17]
	s_cbranch_execz .LBB189_223
; %bb.222:                              ;   in Loop: Header=BB189_43 Depth=1
	v_bfe_u32 v1, v0, 16, 1
	v_add3_u32 v0, v0, v1, s19
	buffer_store_dword v0, off, s[0:3], s32 offset:348 ; 4-byte Folded Spill
                                        ; implicit-def: $vgpr0
.LBB189_223:                            ;   in Loop: Header=BB189_43 Depth=1
	s_andn2_saveexec_b64 s[16:17], s[8:9]
	s_cbranch_execz .LBB189_225
; %bb.224:                              ;   in Loop: Header=BB189_43 Depth=1
	v_or_b32_e32 v1, 0x10000, v0
	v_cmp_eq_u32_sdwa s[8:9], v0, v17 src0_sel:WORD_0 src1_sel:DWORD
	v_cndmask_b32_e64 v0, v1, v0, s[8:9]
	buffer_store_dword v0, off, s[0:3], s32 offset:348 ; 4-byte Folded Spill
.LBB189_225:                            ;   in Loop: Header=BB189_43 Depth=1
	s_or_b64 exec, exec, s[16:17]
	v_lshlrev_b32_e32 v0, 16, v7
	v_mul_f32_e32 v0, v53, v0
	v_and_b32_e32 v1, 0x7f800000, v0
	v_cmp_ne_u32_e64 s[8:9], s15, v1
                                        ; implicit-def: $vgpr1
                                        ; kill: killed $vgpr1
	;; [unrolled: 24-line block ×4, first 2 shown]
	s_and_saveexec_b64 s[16:17], s[8:9]
	s_xor_b64 s[8:9], exec, s[16:17]
	s_cbranch_execz .LBB189_235
; %bb.234:                              ;   in Loop: Header=BB189_43 Depth=1
	v_bfe_u32 v1, v0, 16, 1
	v_add3_u32 v0, v0, v1, s19
	buffer_store_dword v0, off, s[0:3], s32 offset:360 ; 4-byte Folded Spill
                                        ; implicit-def: $vgpr0
.LBB189_235:                            ;   in Loop: Header=BB189_43 Depth=1
	s_andn2_saveexec_b64 s[16:17], s[8:9]
	s_cbranch_execz .LBB189_237
; %bb.236:                              ;   in Loop: Header=BB189_43 Depth=1
	v_or_b32_e32 v1, 0x10000, v0
	v_cmp_eq_u32_sdwa s[8:9], v0, v17 src0_sel:WORD_0 src1_sel:DWORD
	v_cndmask_b32_e64 v0, v1, v0, s[8:9]
	buffer_store_dword v0, off, s[0:3], s32 offset:360 ; 4-byte Folded Spill
.LBB189_237:                            ;   in Loop: Header=BB189_43 Depth=1
	s_or_b64 exec, exec, s[16:17]
	v_lshlrev_b32_e32 v0, 16, v3
	v_mul_f32_e32 v0, v40, v0
	v_and_b32_e32 v1, 0x7f800000, v0
	v_cmp_ne_u32_e64 s[8:9], s15, v1
                                        ; implicit-def: $agpr12
	s_and_saveexec_b64 s[16:17], s[8:9]
	s_xor_b64 s[8:9], exec, s[16:17]
; %bb.238:                              ;   in Loop: Header=BB189_43 Depth=1
	v_bfe_u32 v1, v0, 16, 1
	v_add3_u32 v0, v0, v1, s19
	v_accvgpr_write_b32 a12, v0
                                        ; implicit-def: $vgpr0
; %bb.239:                              ;   in Loop: Header=BB189_43 Depth=1
	s_andn2_saveexec_b64 s[16:17], s[8:9]
; %bb.240:                              ;   in Loop: Header=BB189_43 Depth=1
	v_or_b32_e32 v1, 0x10000, v0
	v_cmp_eq_u32_sdwa s[8:9], v0, v17 src0_sel:WORD_0 src1_sel:DWORD
	v_cndmask_b32_e64 v0, v1, v0, s[8:9]
	v_accvgpr_write_b32 a12, v0
; %bb.241:                              ;   in Loop: Header=BB189_43 Depth=1
	s_or_b64 exec, exec, s[16:17]
	v_lshlrev_b32_e32 v0, 16, v5
	v_mul_f32_e32 v0, v4, v0
	v_and_b32_e32 v1, 0x7f800000, v0
	v_cmp_ne_u32_e64 s[8:9], s15, v1
                                        ; implicit-def: $agpr14
	s_and_saveexec_b64 s[16:17], s[8:9]
	s_xor_b64 s[8:9], exec, s[16:17]
; %bb.242:                              ;   in Loop: Header=BB189_43 Depth=1
	v_bfe_u32 v1, v0, 16, 1
	v_add3_u32 v0, v0, v1, s19
	v_accvgpr_write_b32 a14, v0
                                        ; implicit-def: $vgpr0
; %bb.243:                              ;   in Loop: Header=BB189_43 Depth=1
	s_andn2_saveexec_b64 s[16:17], s[8:9]
; %bb.244:                              ;   in Loop: Header=BB189_43 Depth=1
	v_or_b32_e32 v1, 0x10000, v0
	v_cmp_eq_u32_sdwa s[8:9], v0, v17 src0_sel:WORD_0 src1_sel:DWORD
	v_cndmask_b32_e64 v0, v1, v0, s[8:9]
	v_accvgpr_write_b32 a14, v0
; %bb.245:                              ;   in Loop: Header=BB189_43 Depth=1
	s_or_b64 exec, exec, s[16:17]
	buffer_load_dword v0, off, s[0:3], s32 offset:376 ; 4-byte Folded Reload
	s_waitcnt vmcnt(0)
	v_add_co_u32_e64 v0, s[8:9], v39, v0
	v_addc_co_u32_e64 v1, s[8:9], 0, v48, s[8:9]
	flat_load_dwordx4 v[0:3], v[0:1]
	s_waitcnt vmcnt(0) lgkmcnt(0)
	v_lshrrev_b32_e32 v8, 16, v0
	v_lshrrev_b32_e32 v7, 16, v1
	;; [unrolled: 1-line block ×4, first 2 shown]
	s_and_saveexec_b64 s[16:17], vcc
	s_cbranch_execz .LBB189_247
; %bb.246:                              ;   in Loop: Header=BB189_43 Depth=1
	v_accvgpr_read_b32 v9, a41
	v_cmp_lt_i32_e64 s[8:9], v9, v62
	v_accvgpr_read_b32 v9, a46
	v_cndmask_b32_e64 v0, 0, v0, s[8:9]
	v_cmp_lt_i32_e64 s[8:9], v9, v62
	v_accvgpr_read_b32 v9, a44
	v_cndmask_b32_e64 v8, 0, v8, s[8:9]
	;; [unrolled: 3-line block ×4, first 2 shown]
	v_cmp_lt_i32_e64 s[8:9], v9, v62
	v_cndmask_b32_e64 v2, 0, v2, s[8:9]
	v_cmp_lt_i32_e64 s[8:9], v49, v62
	v_accvgpr_read_b32 v9, a45
	v_cndmask_b32_e64 v6, 0, v6, s[8:9]
	v_cmp_lt_i32_e64 s[8:9], v9, v62
	v_cndmask_b32_e64 v3, 0, v3, s[8:9]
	v_cmp_lt_i32_e64 s[8:9], v22, v62
	v_cndmask_b32_e64 v5, 0, v5, s[8:9]
.LBB189_247:                            ;   in Loop: Header=BB189_43 Depth=1
	s_or_b64 exec, exec, s[16:17]
	v_lshlrev_b32_e32 v0, 16, v0
	v_mul_f32_e32 v0, v50, v0
	v_and_b32_e32 v9, 0x7f800000, v0
	v_cmp_ne_u32_e64 s[8:9], s15, v9
                                        ; implicit-def: $agpr15
	s_and_saveexec_b64 s[16:17], s[8:9]
	s_xor_b64 s[8:9], exec, s[16:17]
; %bb.248:                              ;   in Loop: Header=BB189_43 Depth=1
	v_bfe_u32 v9, v0, 16, 1
	v_add3_u32 v0, v0, v9, s19
	v_accvgpr_write_b32 a15, v0
                                        ; implicit-def: $vgpr0
; %bb.249:                              ;   in Loop: Header=BB189_43 Depth=1
	s_andn2_saveexec_b64 s[16:17], s[8:9]
; %bb.250:                              ;   in Loop: Header=BB189_43 Depth=1
	v_or_b32_e32 v9, 0x10000, v0
	v_cmp_eq_u32_sdwa s[8:9], v0, v17 src0_sel:WORD_0 src1_sel:DWORD
	v_cndmask_b32_e64 v0, v9, v0, s[8:9]
	v_accvgpr_write_b32 a15, v0
; %bb.251:                              ;   in Loop: Header=BB189_43 Depth=1
	s_or_b64 exec, exec, s[16:17]
	v_lshlrev_b32_e32 v0, 16, v8
	v_mul_f32_e32 v0, v51, v0
	v_and_b32_e32 v8, 0x7f800000, v0
	v_cmp_ne_u32_e64 s[8:9], s15, v8
                                        ; implicit-def: $agpr16
	s_and_saveexec_b64 s[16:17], s[8:9]
	s_xor_b64 s[8:9], exec, s[16:17]
; %bb.252:                              ;   in Loop: Header=BB189_43 Depth=1
	v_bfe_u32 v8, v0, 16, 1
	v_add3_u32 v0, v0, v8, s19
	v_accvgpr_write_b32 a16, v0
                                        ; implicit-def: $vgpr0
; %bb.253:                              ;   in Loop: Header=BB189_43 Depth=1
	s_andn2_saveexec_b64 s[16:17], s[8:9]
; %bb.254:                              ;   in Loop: Header=BB189_43 Depth=1
	v_or_b32_e32 v8, 0x10000, v0
	v_cmp_eq_u32_sdwa s[8:9], v0, v17 src0_sel:WORD_0 src1_sel:DWORD
	v_cndmask_b32_e64 v0, v8, v0, s[8:9]
	v_accvgpr_write_b32 a16, v0
; %bb.255:                              ;   in Loop: Header=BB189_43 Depth=1
	s_or_b64 exec, exec, s[16:17]
	v_lshlrev_b32_e32 v0, 16, v1
	v_mul_f32_e32 v0, v52, v0
	v_and_b32_e32 v1, 0x7f800000, v0
	v_cmp_ne_u32_e64 s[8:9], s15, v1
                                        ; implicit-def: $agpr17
	s_and_saveexec_b64 s[16:17], s[8:9]
	s_xor_b64 s[8:9], exec, s[16:17]
; %bb.256:                              ;   in Loop: Header=BB189_43 Depth=1
	v_bfe_u32 v1, v0, 16, 1
	v_add3_u32 v0, v0, v1, s19
	v_accvgpr_write_b32 a17, v0
                                        ; implicit-def: $vgpr0
; %bb.257:                              ;   in Loop: Header=BB189_43 Depth=1
	s_andn2_saveexec_b64 s[16:17], s[8:9]
; %bb.258:                              ;   in Loop: Header=BB189_43 Depth=1
	v_or_b32_e32 v1, 0x10000, v0
	v_cmp_eq_u32_sdwa s[8:9], v0, v17 src0_sel:WORD_0 src1_sel:DWORD
	v_cndmask_b32_e64 v0, v1, v0, s[8:9]
	v_accvgpr_write_b32 a17, v0
; %bb.259:                              ;   in Loop: Header=BB189_43 Depth=1
	s_or_b64 exec, exec, s[16:17]
	v_lshlrev_b32_e32 v0, 16, v7
	v_mul_f32_e32 v0, v53, v0
	v_and_b32_e32 v1, 0x7f800000, v0
	v_cmp_ne_u32_e64 s[8:9], s15, v1
                                        ; implicit-def: $agpr18
	s_and_saveexec_b64 s[16:17], s[8:9]
	s_xor_b64 s[8:9], exec, s[16:17]
; %bb.260:                              ;   in Loop: Header=BB189_43 Depth=1
	v_bfe_u32 v1, v0, 16, 1
	v_add3_u32 v0, v0, v1, s19
	v_accvgpr_write_b32 a18, v0
                                        ; implicit-def: $vgpr0
; %bb.261:                              ;   in Loop: Header=BB189_43 Depth=1
	s_andn2_saveexec_b64 s[16:17], s[8:9]
; %bb.262:                              ;   in Loop: Header=BB189_43 Depth=1
	v_or_b32_e32 v1, 0x10000, v0
	v_cmp_eq_u32_sdwa s[8:9], v0, v17 src0_sel:WORD_0 src1_sel:DWORD
	v_cndmask_b32_e64 v0, v1, v0, s[8:9]
	v_accvgpr_write_b32 a18, v0
; %bb.263:                              ;   in Loop: Header=BB189_43 Depth=1
	s_or_b64 exec, exec, s[16:17]
	v_lshlrev_b32_e32 v0, 16, v2
	v_mul_f32_e32 v0, v54, v0
	v_and_b32_e32 v1, 0x7f800000, v0
	v_cmp_ne_u32_e64 s[8:9], s15, v1
                                        ; implicit-def: $agpr19
	s_and_saveexec_b64 s[16:17], s[8:9]
	s_xor_b64 s[8:9], exec, s[16:17]
; %bb.264:                              ;   in Loop: Header=BB189_43 Depth=1
	v_bfe_u32 v1, v0, 16, 1
	v_add3_u32 v0, v0, v1, s19
	v_accvgpr_write_b32 a19, v0
                                        ; implicit-def: $vgpr0
; %bb.265:                              ;   in Loop: Header=BB189_43 Depth=1
	s_andn2_saveexec_b64 s[16:17], s[8:9]
; %bb.266:                              ;   in Loop: Header=BB189_43 Depth=1
	v_or_b32_e32 v1, 0x10000, v0
	v_cmp_eq_u32_sdwa s[8:9], v0, v17 src0_sel:WORD_0 src1_sel:DWORD
	v_cndmask_b32_e64 v0, v1, v0, s[8:9]
	v_accvgpr_write_b32 a19, v0
; %bb.267:                              ;   in Loop: Header=BB189_43 Depth=1
	s_or_b64 exec, exec, s[16:17]
	v_lshlrev_b32_e32 v0, 16, v6
	v_mul_f32_e32 v0, v55, v0
	v_and_b32_e32 v1, 0x7f800000, v0
	v_cmp_ne_u32_e64 s[8:9], s15, v1
                                        ; implicit-def: $agpr20
	s_and_saveexec_b64 s[16:17], s[8:9]
	s_xor_b64 s[8:9], exec, s[16:17]
; %bb.268:                              ;   in Loop: Header=BB189_43 Depth=1
	v_bfe_u32 v1, v0, 16, 1
	v_add3_u32 v0, v0, v1, s19
	v_accvgpr_write_b32 a20, v0
                                        ; implicit-def: $vgpr0
; %bb.269:                              ;   in Loop: Header=BB189_43 Depth=1
	s_andn2_saveexec_b64 s[16:17], s[8:9]
; %bb.270:                              ;   in Loop: Header=BB189_43 Depth=1
	v_or_b32_e32 v1, 0x10000, v0
	v_cmp_eq_u32_sdwa s[8:9], v0, v17 src0_sel:WORD_0 src1_sel:DWORD
	v_cndmask_b32_e64 v0, v1, v0, s[8:9]
	v_accvgpr_write_b32 a20, v0
; %bb.271:                              ;   in Loop: Header=BB189_43 Depth=1
	s_or_b64 exec, exec, s[16:17]
	v_lshlrev_b32_e32 v0, 16, v3
	v_mul_f32_e32 v0, v40, v0
	v_and_b32_e32 v1, 0x7f800000, v0
	v_cmp_ne_u32_e64 s[8:9], s15, v1
                                        ; implicit-def: $agpr21
	s_and_saveexec_b64 s[16:17], s[8:9]
	s_xor_b64 s[8:9], exec, s[16:17]
; %bb.272:                              ;   in Loop: Header=BB189_43 Depth=1
	v_bfe_u32 v1, v0, 16, 1
	v_add3_u32 v0, v0, v1, s19
	v_accvgpr_write_b32 a21, v0
                                        ; implicit-def: $vgpr0
; %bb.273:                              ;   in Loop: Header=BB189_43 Depth=1
	s_andn2_saveexec_b64 s[16:17], s[8:9]
; %bb.274:                              ;   in Loop: Header=BB189_43 Depth=1
	v_or_b32_e32 v1, 0x10000, v0
	v_cmp_eq_u32_sdwa s[8:9], v0, v17 src0_sel:WORD_0 src1_sel:DWORD
	v_cndmask_b32_e64 v0, v1, v0, s[8:9]
	v_accvgpr_write_b32 a21, v0
; %bb.275:                              ;   in Loop: Header=BB189_43 Depth=1
	s_or_b64 exec, exec, s[16:17]
	v_lshlrev_b32_e32 v0, 16, v5
	v_mul_f32_e32 v0, v4, v0
	v_and_b32_e32 v1, 0x7f800000, v0
	v_cmp_ne_u32_e64 s[8:9], s15, v1
                                        ; implicit-def: $agpr22
	s_and_saveexec_b64 s[16:17], s[8:9]
	s_xor_b64 s[8:9], exec, s[16:17]
; %bb.276:                              ;   in Loop: Header=BB189_43 Depth=1
	v_bfe_u32 v1, v0, 16, 1
	v_add3_u32 v0, v0, v1, s19
	v_accvgpr_write_b32 a22, v0
                                        ; implicit-def: $vgpr0
; %bb.277:                              ;   in Loop: Header=BB189_43 Depth=1
	s_andn2_saveexec_b64 s[16:17], s[8:9]
; %bb.278:                              ;   in Loop: Header=BB189_43 Depth=1
	v_or_b32_e32 v1, 0x10000, v0
	v_cmp_eq_u32_sdwa s[8:9], v0, v17 src0_sel:WORD_0 src1_sel:DWORD
	v_cndmask_b32_e64 v0, v1, v0, s[8:9]
	v_accvgpr_write_b32 a22, v0
; %bb.279:                              ;   in Loop: Header=BB189_43 Depth=1
	s_or_b64 exec, exec, s[16:17]
	buffer_load_dword v0, off, s[0:3], s32 offset:380 ; 4-byte Folded Reload
	s_waitcnt vmcnt(0)
	v_add_co_u32_e64 v0, s[8:9], v39, v0
	v_addc_co_u32_e64 v1, s[8:9], 0, v48, s[8:9]
	flat_load_dwordx4 v[0:3], v[0:1]
	s_waitcnt vmcnt(0) lgkmcnt(0)
	v_lshrrev_b32_e32 v8, 16, v0
	v_lshrrev_b32_e32 v7, 16, v1
	;; [unrolled: 1-line block ×4, first 2 shown]
	s_and_saveexec_b64 s[16:17], vcc
	s_cbranch_execz .LBB189_281
; %bb.280:                              ;   in Loop: Header=BB189_43 Depth=1
	v_accvgpr_read_b32 v9, a41
	v_cmp_lt_i32_e64 s[8:9], v9, v62
	v_accvgpr_read_b32 v9, a46
	v_cndmask_b32_e64 v0, 0, v0, s[8:9]
	v_cmp_lt_i32_e64 s[8:9], v9, v62
	v_accvgpr_read_b32 v9, a44
	v_cndmask_b32_e64 v8, 0, v8, s[8:9]
	;; [unrolled: 3-line block ×4, first 2 shown]
	v_cmp_lt_i32_e64 s[8:9], v9, v62
	v_cndmask_b32_e64 v2, 0, v2, s[8:9]
	v_cmp_lt_i32_e64 s[8:9], v49, v62
	v_accvgpr_read_b32 v9, a45
	v_cndmask_b32_e64 v6, 0, v6, s[8:9]
	v_cmp_lt_i32_e64 s[8:9], v9, v62
	v_cndmask_b32_e64 v3, 0, v3, s[8:9]
	v_cmp_lt_i32_e64 s[8:9], v22, v62
	v_cndmask_b32_e64 v5, 0, v5, s[8:9]
.LBB189_281:                            ;   in Loop: Header=BB189_43 Depth=1
	s_or_b64 exec, exec, s[16:17]
	v_lshlrev_b32_e32 v0, 16, v0
	v_mul_f32_e32 v0, v50, v0
	v_and_b32_e32 v9, 0x7f800000, v0
	v_cmp_ne_u32_e64 s[8:9], s15, v9
                                        ; implicit-def: $agpr23
	s_and_saveexec_b64 s[16:17], s[8:9]
	s_xor_b64 s[8:9], exec, s[16:17]
; %bb.282:                              ;   in Loop: Header=BB189_43 Depth=1
	v_bfe_u32 v9, v0, 16, 1
	v_add3_u32 v0, v0, v9, s19
	v_accvgpr_write_b32 a23, v0
                                        ; implicit-def: $vgpr0
; %bb.283:                              ;   in Loop: Header=BB189_43 Depth=1
	s_andn2_saveexec_b64 s[16:17], s[8:9]
; %bb.284:                              ;   in Loop: Header=BB189_43 Depth=1
	v_or_b32_e32 v9, 0x10000, v0
	v_cmp_eq_u32_sdwa s[8:9], v0, v17 src0_sel:WORD_0 src1_sel:DWORD
	v_cndmask_b32_e64 v0, v9, v0, s[8:9]
	v_accvgpr_write_b32 a23, v0
; %bb.285:                              ;   in Loop: Header=BB189_43 Depth=1
	s_or_b64 exec, exec, s[16:17]
	v_lshlrev_b32_e32 v0, 16, v8
	v_mul_f32_e32 v0, v51, v0
	v_and_b32_e32 v8, 0x7f800000, v0
	v_cmp_ne_u32_e64 s[8:9], s15, v8
                                        ; implicit-def: $agpr24
	s_and_saveexec_b64 s[16:17], s[8:9]
	s_xor_b64 s[8:9], exec, s[16:17]
; %bb.286:                              ;   in Loop: Header=BB189_43 Depth=1
	v_bfe_u32 v8, v0, 16, 1
	v_add3_u32 v0, v0, v8, s19
	v_accvgpr_write_b32 a24, v0
                                        ; implicit-def: $vgpr0
; %bb.287:                              ;   in Loop: Header=BB189_43 Depth=1
	s_andn2_saveexec_b64 s[16:17], s[8:9]
; %bb.288:                              ;   in Loop: Header=BB189_43 Depth=1
	v_or_b32_e32 v8, 0x10000, v0
	v_cmp_eq_u32_sdwa s[8:9], v0, v17 src0_sel:WORD_0 src1_sel:DWORD
	v_cndmask_b32_e64 v0, v8, v0, s[8:9]
	v_accvgpr_write_b32 a24, v0
; %bb.289:                              ;   in Loop: Header=BB189_43 Depth=1
	s_or_b64 exec, exec, s[16:17]
	v_lshlrev_b32_e32 v0, 16, v1
	v_mul_f32_e32 v0, v52, v0
	v_and_b32_e32 v1, 0x7f800000, v0
	v_cmp_ne_u32_e64 s[8:9], s15, v1
                                        ; implicit-def: $agpr25
	s_and_saveexec_b64 s[16:17], s[8:9]
	s_xor_b64 s[8:9], exec, s[16:17]
; %bb.290:                              ;   in Loop: Header=BB189_43 Depth=1
	v_bfe_u32 v1, v0, 16, 1
	v_add3_u32 v0, v0, v1, s19
	v_accvgpr_write_b32 a25, v0
                                        ; implicit-def: $vgpr0
; %bb.291:                              ;   in Loop: Header=BB189_43 Depth=1
	s_andn2_saveexec_b64 s[16:17], s[8:9]
; %bb.292:                              ;   in Loop: Header=BB189_43 Depth=1
	v_or_b32_e32 v1, 0x10000, v0
	v_cmp_eq_u32_sdwa s[8:9], v0, v17 src0_sel:WORD_0 src1_sel:DWORD
	v_cndmask_b32_e64 v0, v1, v0, s[8:9]
	v_accvgpr_write_b32 a25, v0
; %bb.293:                              ;   in Loop: Header=BB189_43 Depth=1
	s_or_b64 exec, exec, s[16:17]
	v_lshlrev_b32_e32 v0, 16, v7
	v_mul_f32_e32 v0, v53, v0
	v_and_b32_e32 v1, 0x7f800000, v0
	v_cmp_ne_u32_e64 s[8:9], s15, v1
                                        ; implicit-def: $agpr26
	s_and_saveexec_b64 s[16:17], s[8:9]
	s_xor_b64 s[8:9], exec, s[16:17]
; %bb.294:                              ;   in Loop: Header=BB189_43 Depth=1
	v_bfe_u32 v1, v0, 16, 1
	v_add3_u32 v0, v0, v1, s19
	v_accvgpr_write_b32 a26, v0
                                        ; implicit-def: $vgpr0
; %bb.295:                              ;   in Loop: Header=BB189_43 Depth=1
	s_andn2_saveexec_b64 s[16:17], s[8:9]
; %bb.296:                              ;   in Loop: Header=BB189_43 Depth=1
	v_or_b32_e32 v1, 0x10000, v0
	v_cmp_eq_u32_sdwa s[8:9], v0, v17 src0_sel:WORD_0 src1_sel:DWORD
	v_cndmask_b32_e64 v0, v1, v0, s[8:9]
	v_accvgpr_write_b32 a26, v0
; %bb.297:                              ;   in Loop: Header=BB189_43 Depth=1
	s_or_b64 exec, exec, s[16:17]
	v_lshlrev_b32_e32 v0, 16, v2
	v_mul_f32_e32 v0, v54, v0
	v_and_b32_e32 v1, 0x7f800000, v0
	v_cmp_ne_u32_e64 s[8:9], s15, v1
                                        ; implicit-def: $agpr3
	s_and_saveexec_b64 s[16:17], s[8:9]
	s_xor_b64 s[8:9], exec, s[16:17]
; %bb.298:                              ;   in Loop: Header=BB189_43 Depth=1
	v_bfe_u32 v1, v0, 16, 1
	v_add3_u32 v0, v0, v1, s19
	v_accvgpr_write_b32 a3, v0
                                        ; implicit-def: $vgpr0
; %bb.299:                              ;   in Loop: Header=BB189_43 Depth=1
	s_andn2_saveexec_b64 s[16:17], s[8:9]
; %bb.300:                              ;   in Loop: Header=BB189_43 Depth=1
	v_or_b32_e32 v1, 0x10000, v0
	v_cmp_eq_u32_sdwa s[8:9], v0, v17 src0_sel:WORD_0 src1_sel:DWORD
	v_cndmask_b32_e64 v0, v1, v0, s[8:9]
	v_accvgpr_write_b32 a3, v0
; %bb.301:                              ;   in Loop: Header=BB189_43 Depth=1
	s_or_b64 exec, exec, s[16:17]
	v_lshlrev_b32_e32 v0, 16, v6
	v_mul_f32_e32 v0, v55, v0
	v_and_b32_e32 v1, 0x7f800000, v0
	v_cmp_ne_u32_e64 s[8:9], s15, v1
                                        ; implicit-def: $agpr10
	s_and_saveexec_b64 s[16:17], s[8:9]
	s_xor_b64 s[8:9], exec, s[16:17]
; %bb.302:                              ;   in Loop: Header=BB189_43 Depth=1
	v_bfe_u32 v1, v0, 16, 1
	v_add3_u32 v0, v0, v1, s19
	v_accvgpr_write_b32 a10, v0
                                        ; implicit-def: $vgpr0
; %bb.303:                              ;   in Loop: Header=BB189_43 Depth=1
	s_andn2_saveexec_b64 s[16:17], s[8:9]
; %bb.304:                              ;   in Loop: Header=BB189_43 Depth=1
	v_or_b32_e32 v1, 0x10000, v0
	v_cmp_eq_u32_sdwa s[8:9], v0, v17 src0_sel:WORD_0 src1_sel:DWORD
	v_cndmask_b32_e64 v0, v1, v0, s[8:9]
	v_accvgpr_write_b32 a10, v0
; %bb.305:                              ;   in Loop: Header=BB189_43 Depth=1
	s_or_b64 exec, exec, s[16:17]
	v_lshlrev_b32_e32 v0, 16, v3
	v_mul_f32_e32 v0, v40, v0
	v_and_b32_e32 v1, 0x7f800000, v0
	v_cmp_ne_u32_e64 s[8:9], s15, v1
                                        ; implicit-def: $agpr11
	s_and_saveexec_b64 s[16:17], s[8:9]
	s_xor_b64 s[8:9], exec, s[16:17]
; %bb.306:                              ;   in Loop: Header=BB189_43 Depth=1
	v_bfe_u32 v1, v0, 16, 1
	v_add3_u32 v0, v0, v1, s19
	v_accvgpr_write_b32 a11, v0
                                        ; implicit-def: $vgpr0
; %bb.307:                              ;   in Loop: Header=BB189_43 Depth=1
	s_andn2_saveexec_b64 s[16:17], s[8:9]
; %bb.308:                              ;   in Loop: Header=BB189_43 Depth=1
	v_or_b32_e32 v1, 0x10000, v0
	v_cmp_eq_u32_sdwa s[8:9], v0, v17 src0_sel:WORD_0 src1_sel:DWORD
	v_cndmask_b32_e64 v0, v1, v0, s[8:9]
	v_accvgpr_write_b32 a11, v0
; %bb.309:                              ;   in Loop: Header=BB189_43 Depth=1
	s_or_b64 exec, exec, s[16:17]
	v_lshlrev_b32_e32 v0, 16, v5
	v_mul_f32_e32 v0, v4, v0
	v_and_b32_e32 v1, 0x7f800000, v0
	v_cmp_ne_u32_e64 s[8:9], s15, v1
                                        ; implicit-def: $agpr4
	s_and_saveexec_b64 s[16:17], s[8:9]
	s_xor_b64 s[8:9], exec, s[16:17]
; %bb.310:                              ;   in Loop: Header=BB189_43 Depth=1
	v_bfe_u32 v1, v0, 16, 1
	v_add3_u32 v0, v0, v1, s19
	v_accvgpr_write_b32 a4, v0
                                        ; implicit-def: $vgpr0
; %bb.311:                              ;   in Loop: Header=BB189_43 Depth=1
	s_andn2_saveexec_b64 s[16:17], s[8:9]
; %bb.312:                              ;   in Loop: Header=BB189_43 Depth=1
	v_or_b32_e32 v1, 0x10000, v0
	v_cmp_eq_u32_sdwa s[8:9], v0, v17 src0_sel:WORD_0 src1_sel:DWORD
	v_cndmask_b32_e64 v0, v1, v0, s[8:9]
	v_accvgpr_write_b32 a4, v0
; %bb.313:                              ;   in Loop: Header=BB189_43 Depth=1
	s_or_b64 exec, exec, s[16:17]
	buffer_load_dword v0, off, s[0:3], s32 offset:384 ; 4-byte Folded Reload
	s_waitcnt vmcnt(0)
	v_add_co_u32_e64 v0, s[8:9], v39, v0
	v_addc_co_u32_e64 v1, s[8:9], 0, v48, s[8:9]
	flat_load_dwordx4 v[0:3], v[0:1]
	s_waitcnt vmcnt(0) lgkmcnt(0)
	v_lshrrev_b32_e32 v8, 16, v0
	v_lshrrev_b32_e32 v7, 16, v1
	;; [unrolled: 1-line block ×4, first 2 shown]
	s_and_saveexec_b64 s[16:17], vcc
	s_cbranch_execz .LBB189_315
; %bb.314:                              ;   in Loop: Header=BB189_43 Depth=1
	v_accvgpr_read_b32 v9, a41
	v_cmp_lt_i32_e64 s[8:9], v9, v62
	v_accvgpr_read_b32 v9, a46
	v_cndmask_b32_e64 v0, 0, v0, s[8:9]
	v_cmp_lt_i32_e64 s[8:9], v9, v62
	v_accvgpr_read_b32 v9, a44
	v_cndmask_b32_e64 v8, 0, v8, s[8:9]
	;; [unrolled: 3-line block ×4, first 2 shown]
	v_cmp_lt_i32_e64 s[8:9], v9, v62
	v_cndmask_b32_e64 v2, 0, v2, s[8:9]
	v_cmp_lt_i32_e64 s[8:9], v49, v62
	v_accvgpr_read_b32 v9, a45
	v_cndmask_b32_e64 v6, 0, v6, s[8:9]
	v_cmp_lt_i32_e64 s[8:9], v9, v62
	v_cndmask_b32_e64 v3, 0, v3, s[8:9]
	v_cmp_lt_i32_e64 s[8:9], v22, v62
	v_cndmask_b32_e64 v5, 0, v5, s[8:9]
.LBB189_315:                            ;   in Loop: Header=BB189_43 Depth=1
	s_or_b64 exec, exec, s[16:17]
	v_lshlrev_b32_e32 v0, 16, v0
	v_mul_f32_e32 v0, v50, v0
	v_and_b32_e32 v9, 0x7f800000, v0
	v_cmp_ne_u32_e64 s[8:9], s15, v9
                                        ; implicit-def: $agpr13
	s_and_saveexec_b64 s[16:17], s[8:9]
	s_xor_b64 s[8:9], exec, s[16:17]
; %bb.316:                              ;   in Loop: Header=BB189_43 Depth=1
	v_bfe_u32 v9, v0, 16, 1
	v_add3_u32 v0, v0, v9, s19
	v_accvgpr_write_b32 a13, v0
                                        ; implicit-def: $vgpr0
; %bb.317:                              ;   in Loop: Header=BB189_43 Depth=1
	s_andn2_saveexec_b64 s[16:17], s[8:9]
; %bb.318:                              ;   in Loop: Header=BB189_43 Depth=1
	v_or_b32_e32 v9, 0x10000, v0
	v_cmp_eq_u32_sdwa s[8:9], v0, v17 src0_sel:WORD_0 src1_sel:DWORD
	v_cndmask_b32_e64 v0, v9, v0, s[8:9]
	v_accvgpr_write_b32 a13, v0
; %bb.319:                              ;   in Loop: Header=BB189_43 Depth=1
	s_or_b64 exec, exec, s[16:17]
	v_lshlrev_b32_e32 v0, 16, v8
	v_mul_f32_e32 v0, v51, v0
	v_and_b32_e32 v8, 0x7f800000, v0
	v_cmp_ne_u32_e64 s[8:9], s15, v8
                                        ; implicit-def: $agpr6
	s_and_saveexec_b64 s[16:17], s[8:9]
	s_xor_b64 s[8:9], exec, s[16:17]
; %bb.320:                              ;   in Loop: Header=BB189_43 Depth=1
	v_bfe_u32 v8, v0, 16, 1
	v_add3_u32 v0, v0, v8, s19
	v_accvgpr_write_b32 a6, v0
                                        ; implicit-def: $vgpr0
; %bb.321:                              ;   in Loop: Header=BB189_43 Depth=1
	s_andn2_saveexec_b64 s[16:17], s[8:9]
; %bb.322:                              ;   in Loop: Header=BB189_43 Depth=1
	v_or_b32_e32 v8, 0x10000, v0
	v_cmp_eq_u32_sdwa s[8:9], v0, v17 src0_sel:WORD_0 src1_sel:DWORD
	v_cndmask_b32_e64 v0, v8, v0, s[8:9]
	v_accvgpr_write_b32 a6, v0
; %bb.323:                              ;   in Loop: Header=BB189_43 Depth=1
	s_or_b64 exec, exec, s[16:17]
	v_lshlrev_b32_e32 v0, 16, v1
	v_mul_f32_e32 v0, v52, v0
	v_and_b32_e32 v1, 0x7f800000, v0
	v_cmp_ne_u32_e64 s[8:9], s15, v1
                                        ; implicit-def: $agpr27
	s_and_saveexec_b64 s[16:17], s[8:9]
	s_xor_b64 s[8:9], exec, s[16:17]
; %bb.324:                              ;   in Loop: Header=BB189_43 Depth=1
	v_bfe_u32 v1, v0, 16, 1
	v_add3_u32 v0, v0, v1, s19
	v_accvgpr_write_b32 a27, v0
                                        ; implicit-def: $vgpr0
; %bb.325:                              ;   in Loop: Header=BB189_43 Depth=1
	s_andn2_saveexec_b64 s[16:17], s[8:9]
; %bb.326:                              ;   in Loop: Header=BB189_43 Depth=1
	v_or_b32_e32 v1, 0x10000, v0
	v_cmp_eq_u32_sdwa s[8:9], v0, v17 src0_sel:WORD_0 src1_sel:DWORD
	v_cndmask_b32_e64 v0, v1, v0, s[8:9]
	v_accvgpr_write_b32 a27, v0
; %bb.327:                              ;   in Loop: Header=BB189_43 Depth=1
	s_or_b64 exec, exec, s[16:17]
	v_lshlrev_b32_e32 v0, 16, v7
	v_mul_f32_e32 v0, v53, v0
	v_and_b32_e32 v1, 0x7f800000, v0
	v_cmp_ne_u32_e64 s[8:9], s15, v1
                                        ; implicit-def: $agpr28
	s_and_saveexec_b64 s[16:17], s[8:9]
	s_xor_b64 s[8:9], exec, s[16:17]
; %bb.328:                              ;   in Loop: Header=BB189_43 Depth=1
	v_bfe_u32 v1, v0, 16, 1
	v_add3_u32 v0, v0, v1, s19
	v_accvgpr_write_b32 a28, v0
                                        ; implicit-def: $vgpr0
; %bb.329:                              ;   in Loop: Header=BB189_43 Depth=1
	s_andn2_saveexec_b64 s[16:17], s[8:9]
; %bb.330:                              ;   in Loop: Header=BB189_43 Depth=1
	v_or_b32_e32 v1, 0x10000, v0
	v_cmp_eq_u32_sdwa s[8:9], v0, v17 src0_sel:WORD_0 src1_sel:DWORD
	v_cndmask_b32_e64 v0, v1, v0, s[8:9]
	v_accvgpr_write_b32 a28, v0
; %bb.331:                              ;   in Loop: Header=BB189_43 Depth=1
	s_or_b64 exec, exec, s[16:17]
	v_lshlrev_b32_e32 v0, 16, v2
	v_mul_f32_e32 v0, v54, v0
	v_and_b32_e32 v1, 0x7f800000, v0
	v_cmp_ne_u32_e64 s[8:9], s15, v1
                                        ; implicit-def: $agpr29
	s_and_saveexec_b64 s[16:17], s[8:9]
	s_xor_b64 s[8:9], exec, s[16:17]
; %bb.332:                              ;   in Loop: Header=BB189_43 Depth=1
	v_bfe_u32 v1, v0, 16, 1
	v_add3_u32 v0, v0, v1, s19
	v_accvgpr_write_b32 a29, v0
                                        ; implicit-def: $vgpr0
; %bb.333:                              ;   in Loop: Header=BB189_43 Depth=1
	s_andn2_saveexec_b64 s[16:17], s[8:9]
; %bb.334:                              ;   in Loop: Header=BB189_43 Depth=1
	v_or_b32_e32 v1, 0x10000, v0
	v_cmp_eq_u32_sdwa s[8:9], v0, v17 src0_sel:WORD_0 src1_sel:DWORD
	v_cndmask_b32_e64 v0, v1, v0, s[8:9]
	v_accvgpr_write_b32 a29, v0
; %bb.335:                              ;   in Loop: Header=BB189_43 Depth=1
	s_or_b64 exec, exec, s[16:17]
	v_lshlrev_b32_e32 v0, 16, v6
	v_mul_f32_e32 v0, v55, v0
	v_and_b32_e32 v1, 0x7f800000, v0
	v_cmp_ne_u32_e64 s[8:9], s15, v1
                                        ; implicit-def: $agpr30
	s_and_saveexec_b64 s[16:17], s[8:9]
	s_xor_b64 s[8:9], exec, s[16:17]
; %bb.336:                              ;   in Loop: Header=BB189_43 Depth=1
	v_bfe_u32 v1, v0, 16, 1
	v_add3_u32 v0, v0, v1, s19
	v_accvgpr_write_b32 a30, v0
                                        ; implicit-def: $vgpr0
; %bb.337:                              ;   in Loop: Header=BB189_43 Depth=1
	s_andn2_saveexec_b64 s[16:17], s[8:9]
; %bb.338:                              ;   in Loop: Header=BB189_43 Depth=1
	v_or_b32_e32 v1, 0x10000, v0
	v_cmp_eq_u32_sdwa s[8:9], v0, v17 src0_sel:WORD_0 src1_sel:DWORD
	v_cndmask_b32_e64 v0, v1, v0, s[8:9]
	v_accvgpr_write_b32 a30, v0
; %bb.339:                              ;   in Loop: Header=BB189_43 Depth=1
	s_or_b64 exec, exec, s[16:17]
	v_lshlrev_b32_e32 v0, 16, v3
	v_mul_f32_e32 v0, v40, v0
	v_and_b32_e32 v1, 0x7f800000, v0
	v_cmp_ne_u32_e64 s[8:9], s15, v1
                                        ; implicit-def: $agpr31
	s_and_saveexec_b64 s[16:17], s[8:9]
	s_xor_b64 s[8:9], exec, s[16:17]
; %bb.340:                              ;   in Loop: Header=BB189_43 Depth=1
	v_bfe_u32 v1, v0, 16, 1
	v_add3_u32 v0, v0, v1, s19
	v_accvgpr_write_b32 a31, v0
                                        ; implicit-def: $vgpr0
; %bb.341:                              ;   in Loop: Header=BB189_43 Depth=1
	s_andn2_saveexec_b64 s[16:17], s[8:9]
; %bb.342:                              ;   in Loop: Header=BB189_43 Depth=1
	v_or_b32_e32 v1, 0x10000, v0
	v_cmp_eq_u32_sdwa s[8:9], v0, v17 src0_sel:WORD_0 src1_sel:DWORD
	v_cndmask_b32_e64 v0, v1, v0, s[8:9]
	v_accvgpr_write_b32 a31, v0
; %bb.343:                              ;   in Loop: Header=BB189_43 Depth=1
	s_or_b64 exec, exec, s[16:17]
	v_lshlrev_b32_e32 v0, 16, v5
	v_mul_f32_e32 v0, v4, v0
	v_and_b32_e32 v1, 0x7f800000, v0
	v_cmp_ne_u32_e64 s[8:9], s15, v1
                                        ; implicit-def: $agpr32
	s_and_saveexec_b64 s[16:17], s[8:9]
	s_xor_b64 s[8:9], exec, s[16:17]
; %bb.344:                              ;   in Loop: Header=BB189_43 Depth=1
	v_bfe_u32 v1, v0, 16, 1
	v_add3_u32 v0, v0, v1, s19
	v_accvgpr_write_b32 a32, v0
                                        ; implicit-def: $vgpr0
; %bb.345:                              ;   in Loop: Header=BB189_43 Depth=1
	s_andn2_saveexec_b64 s[16:17], s[8:9]
; %bb.346:                              ;   in Loop: Header=BB189_43 Depth=1
	v_or_b32_e32 v1, 0x10000, v0
	v_cmp_eq_u32_sdwa s[8:9], v0, v17 src0_sel:WORD_0 src1_sel:DWORD
	v_cndmask_b32_e64 v0, v1, v0, s[8:9]
	v_accvgpr_write_b32 a32, v0
; %bb.347:                              ;   in Loop: Header=BB189_43 Depth=1
	s_or_b64 exec, exec, s[16:17]
	buffer_load_dword v0, off, s[0:3], s32 offset:388 ; 4-byte Folded Reload
	s_waitcnt vmcnt(0)
	v_add_co_u32_e64 v0, s[8:9], v39, v0
	v_addc_co_u32_e64 v1, s[8:9], 0, v48, s[8:9]
	flat_load_dwordx4 v[0:3], v[0:1]
	s_waitcnt vmcnt(0) lgkmcnt(0)
	v_lshrrev_b32_e32 v8, 16, v0
	v_lshrrev_b32_e32 v7, 16, v1
	;; [unrolled: 1-line block ×4, first 2 shown]
	s_and_saveexec_b64 s[16:17], vcc
	s_cbranch_execz .LBB189_349
; %bb.348:                              ;   in Loop: Header=BB189_43 Depth=1
	v_accvgpr_read_b32 v9, a41
	v_cmp_lt_i32_e64 s[8:9], v9, v62
	v_accvgpr_read_b32 v9, a46
	v_cndmask_b32_e64 v0, 0, v0, s[8:9]
	v_cmp_lt_i32_e64 s[8:9], v9, v62
	v_accvgpr_read_b32 v9, a44
	v_cndmask_b32_e64 v8, 0, v8, s[8:9]
	;; [unrolled: 3-line block ×4, first 2 shown]
	v_cmp_lt_i32_e64 s[8:9], v9, v62
	v_cndmask_b32_e64 v2, 0, v2, s[8:9]
	v_cmp_lt_i32_e64 s[8:9], v49, v62
	v_accvgpr_read_b32 v9, a45
	v_cndmask_b32_e64 v6, 0, v6, s[8:9]
	v_cmp_lt_i32_e64 s[8:9], v9, v62
	v_cndmask_b32_e64 v3, 0, v3, s[8:9]
	v_cmp_lt_i32_e64 s[8:9], v22, v62
	v_cndmask_b32_e64 v5, 0, v5, s[8:9]
.LBB189_349:                            ;   in Loop: Header=BB189_43 Depth=1
	s_or_b64 exec, exec, s[16:17]
	v_lshlrev_b32_e32 v0, 16, v0
	v_mul_f32_e32 v0, v50, v0
	v_and_b32_e32 v9, 0x7f800000, v0
	v_cmp_ne_u32_e64 s[8:9], s15, v9
                                        ; implicit-def: $agpr33
	s_and_saveexec_b64 s[16:17], s[8:9]
	s_xor_b64 s[8:9], exec, s[16:17]
; %bb.350:                              ;   in Loop: Header=BB189_43 Depth=1
	v_bfe_u32 v9, v0, 16, 1
	v_add3_u32 v0, v0, v9, s19
	v_accvgpr_write_b32 a33, v0
                                        ; implicit-def: $vgpr0
; %bb.351:                              ;   in Loop: Header=BB189_43 Depth=1
	s_andn2_saveexec_b64 s[16:17], s[8:9]
; %bb.352:                              ;   in Loop: Header=BB189_43 Depth=1
	v_or_b32_e32 v9, 0x10000, v0
	v_cmp_eq_u32_sdwa s[8:9], v0, v17 src0_sel:WORD_0 src1_sel:DWORD
	v_cndmask_b32_e64 v0, v9, v0, s[8:9]
	v_accvgpr_write_b32 a33, v0
; %bb.353:                              ;   in Loop: Header=BB189_43 Depth=1
	s_or_b64 exec, exec, s[16:17]
	v_lshlrev_b32_e32 v0, 16, v8
	v_mul_f32_e32 v0, v51, v0
	v_and_b32_e32 v8, 0x7f800000, v0
	v_cmp_ne_u32_e64 s[8:9], s15, v8
                                        ; implicit-def: $agpr34
	s_and_saveexec_b64 s[16:17], s[8:9]
	s_xor_b64 s[8:9], exec, s[16:17]
; %bb.354:                              ;   in Loop: Header=BB189_43 Depth=1
	v_bfe_u32 v8, v0, 16, 1
	v_add3_u32 v0, v0, v8, s19
	v_accvgpr_write_b32 a34, v0
                                        ; implicit-def: $vgpr0
; %bb.355:                              ;   in Loop: Header=BB189_43 Depth=1
	s_andn2_saveexec_b64 s[16:17], s[8:9]
; %bb.356:                              ;   in Loop: Header=BB189_43 Depth=1
	v_or_b32_e32 v8, 0x10000, v0
	v_cmp_eq_u32_sdwa s[8:9], v0, v17 src0_sel:WORD_0 src1_sel:DWORD
	v_cndmask_b32_e64 v0, v8, v0, s[8:9]
	v_accvgpr_write_b32 a34, v0
; %bb.357:                              ;   in Loop: Header=BB189_43 Depth=1
	s_or_b64 exec, exec, s[16:17]
	v_lshlrev_b32_e32 v0, 16, v1
	v_mul_f32_e32 v0, v52, v0
	v_and_b32_e32 v1, 0x7f800000, v0
	v_cmp_ne_u32_e64 s[8:9], s15, v1
                                        ; implicit-def: $agpr35
	s_and_saveexec_b64 s[16:17], s[8:9]
	s_xor_b64 s[8:9], exec, s[16:17]
; %bb.358:                              ;   in Loop: Header=BB189_43 Depth=1
	v_bfe_u32 v1, v0, 16, 1
	v_add3_u32 v0, v0, v1, s19
	v_accvgpr_write_b32 a35, v0
                                        ; implicit-def: $vgpr0
; %bb.359:                              ;   in Loop: Header=BB189_43 Depth=1
	s_andn2_saveexec_b64 s[16:17], s[8:9]
; %bb.360:                              ;   in Loop: Header=BB189_43 Depth=1
	v_or_b32_e32 v1, 0x10000, v0
	v_cmp_eq_u32_sdwa s[8:9], v0, v17 src0_sel:WORD_0 src1_sel:DWORD
	v_cndmask_b32_e64 v0, v1, v0, s[8:9]
	v_accvgpr_write_b32 a35, v0
; %bb.361:                              ;   in Loop: Header=BB189_43 Depth=1
	s_or_b64 exec, exec, s[16:17]
	v_lshlrev_b32_e32 v0, 16, v7
	v_mul_f32_e32 v0, v53, v0
	v_and_b32_e32 v1, 0x7f800000, v0
	v_cmp_ne_u32_e64 s[8:9], s15, v1
                                        ; implicit-def: $agpr36
	s_and_saveexec_b64 s[16:17], s[8:9]
	s_xor_b64 s[8:9], exec, s[16:17]
; %bb.362:                              ;   in Loop: Header=BB189_43 Depth=1
	v_bfe_u32 v1, v0, 16, 1
	v_add3_u32 v0, v0, v1, s19
	v_accvgpr_write_b32 a36, v0
                                        ; implicit-def: $vgpr0
; %bb.363:                              ;   in Loop: Header=BB189_43 Depth=1
	s_andn2_saveexec_b64 s[16:17], s[8:9]
; %bb.364:                              ;   in Loop: Header=BB189_43 Depth=1
	v_or_b32_e32 v1, 0x10000, v0
	v_cmp_eq_u32_sdwa s[8:9], v0, v17 src0_sel:WORD_0 src1_sel:DWORD
	v_cndmask_b32_e64 v0, v1, v0, s[8:9]
	v_accvgpr_write_b32 a36, v0
; %bb.365:                              ;   in Loop: Header=BB189_43 Depth=1
	s_or_b64 exec, exec, s[16:17]
	v_lshlrev_b32_e32 v0, 16, v2
	v_mul_f32_e32 v0, v54, v0
	v_and_b32_e32 v1, 0x7f800000, v0
	v_cmp_ne_u32_e64 s[8:9], s15, v1
                                        ; implicit-def: $agpr37
	s_and_saveexec_b64 s[16:17], s[8:9]
	s_xor_b64 s[8:9], exec, s[16:17]
; %bb.366:                              ;   in Loop: Header=BB189_43 Depth=1
	v_bfe_u32 v1, v0, 16, 1
	v_add3_u32 v0, v0, v1, s19
	v_accvgpr_write_b32 a37, v0
                                        ; implicit-def: $vgpr0
; %bb.367:                              ;   in Loop: Header=BB189_43 Depth=1
	s_andn2_saveexec_b64 s[16:17], s[8:9]
; %bb.368:                              ;   in Loop: Header=BB189_43 Depth=1
	v_or_b32_e32 v1, 0x10000, v0
	v_cmp_eq_u32_sdwa s[8:9], v0, v17 src0_sel:WORD_0 src1_sel:DWORD
	v_cndmask_b32_e64 v0, v1, v0, s[8:9]
	v_accvgpr_write_b32 a37, v0
; %bb.369:                              ;   in Loop: Header=BB189_43 Depth=1
	s_or_b64 exec, exec, s[16:17]
	v_lshlrev_b32_e32 v0, 16, v6
	v_mul_f32_e32 v0, v55, v0
	v_and_b32_e32 v1, 0x7f800000, v0
	v_cmp_ne_u32_e64 s[8:9], s15, v1
                                        ; implicit-def: $agpr38
	s_and_saveexec_b64 s[16:17], s[8:9]
	s_xor_b64 s[8:9], exec, s[16:17]
; %bb.370:                              ;   in Loop: Header=BB189_43 Depth=1
	v_bfe_u32 v1, v0, 16, 1
	v_add3_u32 v0, v0, v1, s19
	v_accvgpr_write_b32 a38, v0
                                        ; implicit-def: $vgpr0
; %bb.371:                              ;   in Loop: Header=BB189_43 Depth=1
	s_andn2_saveexec_b64 s[16:17], s[8:9]
; %bb.372:                              ;   in Loop: Header=BB189_43 Depth=1
	v_or_b32_e32 v1, 0x10000, v0
	v_cmp_eq_u32_sdwa s[8:9], v0, v17 src0_sel:WORD_0 src1_sel:DWORD
	v_cndmask_b32_e64 v0, v1, v0, s[8:9]
	v_accvgpr_write_b32 a38, v0
; %bb.373:                              ;   in Loop: Header=BB189_43 Depth=1
	s_or_b64 exec, exec, s[16:17]
	v_lshlrev_b32_e32 v0, 16, v3
	v_mul_f32_e32 v0, v40, v0
	v_and_b32_e32 v1, 0x7f800000, v0
	v_cmp_ne_u32_e64 s[8:9], s15, v1
                                        ; implicit-def: $agpr39
	s_and_saveexec_b64 s[16:17], s[8:9]
	s_xor_b64 s[8:9], exec, s[16:17]
; %bb.374:                              ;   in Loop: Header=BB189_43 Depth=1
	v_bfe_u32 v1, v0, 16, 1
	v_add3_u32 v0, v0, v1, s19
	v_accvgpr_write_b32 a39, v0
                                        ; implicit-def: $vgpr0
; %bb.375:                              ;   in Loop: Header=BB189_43 Depth=1
	s_andn2_saveexec_b64 s[16:17], s[8:9]
; %bb.376:                              ;   in Loop: Header=BB189_43 Depth=1
	v_or_b32_e32 v1, 0x10000, v0
	v_cmp_eq_u32_sdwa s[8:9], v0, v17 src0_sel:WORD_0 src1_sel:DWORD
	v_cndmask_b32_e64 v0, v1, v0, s[8:9]
	v_accvgpr_write_b32 a39, v0
; %bb.377:                              ;   in Loop: Header=BB189_43 Depth=1
	s_or_b64 exec, exec, s[16:17]
	v_lshlrev_b32_e32 v0, 16, v5
	v_mul_f32_e32 v0, v4, v0
	v_and_b32_e32 v1, 0x7f800000, v0
	v_cmp_ne_u32_e64 s[8:9], s15, v1
                                        ; implicit-def: $agpr40
	s_and_saveexec_b64 s[16:17], s[8:9]
	s_xor_b64 s[8:9], exec, s[16:17]
; %bb.378:                              ;   in Loop: Header=BB189_43 Depth=1
	v_bfe_u32 v1, v0, 16, 1
	v_add3_u32 v0, v0, v1, s19
	v_accvgpr_write_b32 a40, v0
                                        ; implicit-def: $vgpr0
; %bb.379:                              ;   in Loop: Header=BB189_43 Depth=1
	s_andn2_saveexec_b64 s[16:17], s[8:9]
; %bb.380:                              ;   in Loop: Header=BB189_43 Depth=1
	v_or_b32_e32 v1, 0x10000, v0
	v_cmp_eq_u32_sdwa s[8:9], v0, v17 src0_sel:WORD_0 src1_sel:DWORD
	v_cndmask_b32_e64 v0, v1, v0, s[8:9]
	v_accvgpr_write_b32 a40, v0
; %bb.381:                              ;   in Loop: Header=BB189_43 Depth=1
	s_or_b64 exec, exec, s[16:17]
	buffer_load_dword v0, off, s[0:3], s32 offset:392 ; 4-byte Folded Reload
	s_waitcnt vmcnt(0)
	v_add_co_u32_e64 v0, s[8:9], v39, v0
	v_addc_co_u32_e64 v1, s[8:9], 0, v48, s[8:9]
	flat_load_dwordx4 v[0:3], v[0:1]
	s_waitcnt vmcnt(0) lgkmcnt(0)
	v_lshrrev_b32_e32 v8, 16, v0
	v_lshrrev_b32_e32 v7, 16, v1
	;; [unrolled: 1-line block ×4, first 2 shown]
	s_and_saveexec_b64 s[16:17], vcc
	s_cbranch_execz .LBB189_383
; %bb.382:                              ;   in Loop: Header=BB189_43 Depth=1
	v_accvgpr_read_b32 v9, a41
	v_cmp_lt_i32_e64 s[8:9], v9, v62
	v_accvgpr_read_b32 v9, a46
	v_cndmask_b32_e64 v0, 0, v0, s[8:9]
	v_cmp_lt_i32_e64 s[8:9], v9, v62
	v_accvgpr_read_b32 v9, a44
	v_cndmask_b32_e64 v8, 0, v8, s[8:9]
	;; [unrolled: 3-line block ×4, first 2 shown]
	v_cmp_lt_i32_e64 s[8:9], v9, v62
	v_cndmask_b32_e64 v2, 0, v2, s[8:9]
	v_cmp_lt_i32_e64 s[8:9], v49, v62
	v_accvgpr_read_b32 v9, a45
	v_cndmask_b32_e64 v6, 0, v6, s[8:9]
	v_cmp_lt_i32_e64 s[8:9], v9, v62
	v_cndmask_b32_e64 v3, 0, v3, s[8:9]
	v_cmp_lt_i32_e64 s[8:9], v22, v62
	v_cndmask_b32_e64 v5, 0, v5, s[8:9]
.LBB189_383:                            ;   in Loop: Header=BB189_43 Depth=1
	s_or_b64 exec, exec, s[16:17]
	v_lshlrev_b32_e32 v0, 16, v0
	v_mul_f32_e32 v0, v50, v0
	v_and_b32_e32 v9, 0x7f800000, v0
	v_cmp_ne_u32_e64 s[8:9], s15, v9
                                        ; implicit-def: $agpr47
	s_and_saveexec_b64 s[16:17], s[8:9]
	s_xor_b64 s[8:9], exec, s[16:17]
; %bb.384:                              ;   in Loop: Header=BB189_43 Depth=1
	v_bfe_u32 v9, v0, 16, 1
	v_add3_u32 v0, v0, v9, s19
	v_accvgpr_write_b32 a47, v0
                                        ; implicit-def: $vgpr0
; %bb.385:                              ;   in Loop: Header=BB189_43 Depth=1
	s_andn2_saveexec_b64 s[16:17], s[8:9]
; %bb.386:                              ;   in Loop: Header=BB189_43 Depth=1
	v_or_b32_e32 v9, 0x10000, v0
	v_cmp_eq_u32_sdwa s[8:9], v0, v17 src0_sel:WORD_0 src1_sel:DWORD
	v_cndmask_b32_e64 v0, v9, v0, s[8:9]
	v_accvgpr_write_b32 a47, v0
; %bb.387:                              ;   in Loop: Header=BB189_43 Depth=1
	s_or_b64 exec, exec, s[16:17]
	v_lshlrev_b32_e32 v0, 16, v8
	v_mul_f32_e32 v0, v51, v0
	v_and_b32_e32 v8, 0x7f800000, v0
	v_cmp_ne_u32_e64 s[8:9], s15, v8
                                        ; implicit-def: $agpr48
	s_and_saveexec_b64 s[16:17], s[8:9]
	s_xor_b64 s[8:9], exec, s[16:17]
; %bb.388:                              ;   in Loop: Header=BB189_43 Depth=1
	v_bfe_u32 v8, v0, 16, 1
	v_add3_u32 v0, v0, v8, s19
	v_accvgpr_write_b32 a48, v0
                                        ; implicit-def: $vgpr0
; %bb.389:                              ;   in Loop: Header=BB189_43 Depth=1
	s_andn2_saveexec_b64 s[16:17], s[8:9]
; %bb.390:                              ;   in Loop: Header=BB189_43 Depth=1
	v_or_b32_e32 v8, 0x10000, v0
	v_cmp_eq_u32_sdwa s[8:9], v0, v17 src0_sel:WORD_0 src1_sel:DWORD
	v_cndmask_b32_e64 v0, v8, v0, s[8:9]
	v_accvgpr_write_b32 a48, v0
; %bb.391:                              ;   in Loop: Header=BB189_43 Depth=1
	s_or_b64 exec, exec, s[16:17]
	v_lshlrev_b32_e32 v0, 16, v1
	v_mul_f32_e32 v0, v52, v0
	v_and_b32_e32 v1, 0x7f800000, v0
	v_cmp_ne_u32_e64 s[8:9], s15, v1
                                        ; implicit-def: $agpr49
	s_and_saveexec_b64 s[16:17], s[8:9]
	s_xor_b64 s[8:9], exec, s[16:17]
; %bb.392:                              ;   in Loop: Header=BB189_43 Depth=1
	v_bfe_u32 v1, v0, 16, 1
	v_add3_u32 v0, v0, v1, s19
	v_accvgpr_write_b32 a49, v0
                                        ; implicit-def: $vgpr0
; %bb.393:                              ;   in Loop: Header=BB189_43 Depth=1
	s_andn2_saveexec_b64 s[16:17], s[8:9]
; %bb.394:                              ;   in Loop: Header=BB189_43 Depth=1
	v_or_b32_e32 v1, 0x10000, v0
	v_cmp_eq_u32_sdwa s[8:9], v0, v17 src0_sel:WORD_0 src1_sel:DWORD
	v_cndmask_b32_e64 v0, v1, v0, s[8:9]
	v_accvgpr_write_b32 a49, v0
; %bb.395:                              ;   in Loop: Header=BB189_43 Depth=1
	s_or_b64 exec, exec, s[16:17]
	v_lshlrev_b32_e32 v0, 16, v7
	v_mul_f32_e32 v0, v53, v0
	v_and_b32_e32 v1, 0x7f800000, v0
	v_cmp_ne_u32_e64 s[8:9], s15, v1
                                        ; implicit-def: $agpr50
	s_and_saveexec_b64 s[16:17], s[8:9]
	s_xor_b64 s[8:9], exec, s[16:17]
; %bb.396:                              ;   in Loop: Header=BB189_43 Depth=1
	v_bfe_u32 v1, v0, 16, 1
	v_add3_u32 v0, v0, v1, s19
	v_accvgpr_write_b32 a50, v0
                                        ; implicit-def: $vgpr0
; %bb.397:                              ;   in Loop: Header=BB189_43 Depth=1
	s_andn2_saveexec_b64 s[16:17], s[8:9]
; %bb.398:                              ;   in Loop: Header=BB189_43 Depth=1
	v_or_b32_e32 v1, 0x10000, v0
	v_cmp_eq_u32_sdwa s[8:9], v0, v17 src0_sel:WORD_0 src1_sel:DWORD
	v_cndmask_b32_e64 v0, v1, v0, s[8:9]
	v_accvgpr_write_b32 a50, v0
; %bb.399:                              ;   in Loop: Header=BB189_43 Depth=1
	s_or_b64 exec, exec, s[16:17]
	v_lshlrev_b32_e32 v0, 16, v2
	v_mul_f32_e32 v0, v54, v0
	v_and_b32_e32 v1, 0x7f800000, v0
	v_cmp_ne_u32_e64 s[8:9], s15, v1
                                        ; implicit-def: $agpr51
	s_and_saveexec_b64 s[16:17], s[8:9]
	s_xor_b64 s[8:9], exec, s[16:17]
; %bb.400:                              ;   in Loop: Header=BB189_43 Depth=1
	v_bfe_u32 v1, v0, 16, 1
	v_add3_u32 v0, v0, v1, s19
	v_accvgpr_write_b32 a51, v0
                                        ; implicit-def: $vgpr0
; %bb.401:                              ;   in Loop: Header=BB189_43 Depth=1
	s_andn2_saveexec_b64 s[16:17], s[8:9]
; %bb.402:                              ;   in Loop: Header=BB189_43 Depth=1
	v_or_b32_e32 v1, 0x10000, v0
	v_cmp_eq_u32_sdwa s[8:9], v0, v17 src0_sel:WORD_0 src1_sel:DWORD
	v_cndmask_b32_e64 v0, v1, v0, s[8:9]
	v_accvgpr_write_b32 a51, v0
; %bb.403:                              ;   in Loop: Header=BB189_43 Depth=1
	s_or_b64 exec, exec, s[16:17]
	v_lshlrev_b32_e32 v0, 16, v6
	v_mul_f32_e32 v0, v55, v0
	v_and_b32_e32 v1, 0x7f800000, v0
	v_cmp_ne_u32_e64 s[8:9], s15, v1
                                        ; implicit-def: $agpr52
	s_and_saveexec_b64 s[16:17], s[8:9]
	s_xor_b64 s[8:9], exec, s[16:17]
; %bb.404:                              ;   in Loop: Header=BB189_43 Depth=1
	v_bfe_u32 v1, v0, 16, 1
	v_add3_u32 v0, v0, v1, s19
	v_accvgpr_write_b32 a52, v0
                                        ; implicit-def: $vgpr0
; %bb.405:                              ;   in Loop: Header=BB189_43 Depth=1
	s_andn2_saveexec_b64 s[16:17], s[8:9]
; %bb.406:                              ;   in Loop: Header=BB189_43 Depth=1
	v_or_b32_e32 v1, 0x10000, v0
	v_cmp_eq_u32_sdwa s[8:9], v0, v17 src0_sel:WORD_0 src1_sel:DWORD
	v_cndmask_b32_e64 v0, v1, v0, s[8:9]
	v_accvgpr_write_b32 a52, v0
; %bb.407:                              ;   in Loop: Header=BB189_43 Depth=1
	s_or_b64 exec, exec, s[16:17]
	v_lshlrev_b32_e32 v0, 16, v3
	v_mul_f32_e32 v0, v40, v0
	v_and_b32_e32 v1, 0x7f800000, v0
	v_cmp_ne_u32_e64 s[8:9], s15, v1
                                        ; implicit-def: $agpr53
	s_and_saveexec_b64 s[16:17], s[8:9]
	s_xor_b64 s[8:9], exec, s[16:17]
; %bb.408:                              ;   in Loop: Header=BB189_43 Depth=1
	v_bfe_u32 v1, v0, 16, 1
	v_add3_u32 v0, v0, v1, s19
	v_accvgpr_write_b32 a53, v0
                                        ; implicit-def: $vgpr0
; %bb.409:                              ;   in Loop: Header=BB189_43 Depth=1
	s_andn2_saveexec_b64 s[16:17], s[8:9]
; %bb.410:                              ;   in Loop: Header=BB189_43 Depth=1
	v_or_b32_e32 v1, 0x10000, v0
	v_cmp_eq_u32_sdwa s[8:9], v0, v17 src0_sel:WORD_0 src1_sel:DWORD
	v_cndmask_b32_e64 v0, v1, v0, s[8:9]
	v_accvgpr_write_b32 a53, v0
; %bb.411:                              ;   in Loop: Header=BB189_43 Depth=1
	s_or_b64 exec, exec, s[16:17]
	v_lshlrev_b32_e32 v0, 16, v5
	v_mul_f32_e32 v0, v4, v0
	v_and_b32_e32 v1, 0x7f800000, v0
	v_cmp_ne_u32_e64 s[8:9], s15, v1
                                        ; implicit-def: $agpr54
	s_and_saveexec_b64 s[16:17], s[8:9]
	s_xor_b64 s[8:9], exec, s[16:17]
; %bb.412:                              ;   in Loop: Header=BB189_43 Depth=1
	v_bfe_u32 v1, v0, 16, 1
	v_add3_u32 v0, v0, v1, s19
	v_accvgpr_write_b32 a54, v0
                                        ; implicit-def: $vgpr0
; %bb.413:                              ;   in Loop: Header=BB189_43 Depth=1
	s_andn2_saveexec_b64 s[16:17], s[8:9]
; %bb.414:                              ;   in Loop: Header=BB189_43 Depth=1
	v_or_b32_e32 v1, 0x10000, v0
	v_cmp_eq_u32_sdwa s[8:9], v0, v17 src0_sel:WORD_0 src1_sel:DWORD
	v_cndmask_b32_e64 v0, v1, v0, s[8:9]
	v_accvgpr_write_b32 a54, v0
; %bb.415:                              ;   in Loop: Header=BB189_43 Depth=1
	s_or_b64 exec, exec, s[16:17]
	buffer_load_dword v0, off, s[0:3], s32 offset:396 ; 4-byte Folded Reload
	s_waitcnt vmcnt(0)
	v_add_co_u32_e64 v0, s[8:9], v39, v0
	v_addc_co_u32_e64 v1, s[8:9], 0, v48, s[8:9]
	flat_load_dwordx4 v[0:3], v[0:1]
	s_waitcnt vmcnt(0) lgkmcnt(0)
	v_lshrrev_b32_e32 v8, 16, v0
	v_lshrrev_b32_e32 v7, 16, v1
	;; [unrolled: 1-line block ×4, first 2 shown]
	s_and_saveexec_b64 s[16:17], vcc
	s_cbranch_execz .LBB189_417
; %bb.416:                              ;   in Loop: Header=BB189_43 Depth=1
	v_accvgpr_read_b32 v9, a41
	v_cmp_lt_i32_e64 s[8:9], v9, v62
	v_accvgpr_read_b32 v9, a46
	v_cndmask_b32_e64 v0, 0, v0, s[8:9]
	v_cmp_lt_i32_e64 s[8:9], v9, v62
	v_accvgpr_read_b32 v9, a44
	v_cndmask_b32_e64 v8, 0, v8, s[8:9]
	;; [unrolled: 3-line block ×4, first 2 shown]
	v_cmp_lt_i32_e64 s[8:9], v9, v62
	v_cndmask_b32_e64 v2, 0, v2, s[8:9]
	v_cmp_lt_i32_e64 s[8:9], v49, v62
	v_accvgpr_read_b32 v9, a45
	v_cndmask_b32_e64 v6, 0, v6, s[8:9]
	v_cmp_lt_i32_e64 s[8:9], v9, v62
	v_cndmask_b32_e64 v3, 0, v3, s[8:9]
	v_cmp_lt_i32_e64 s[8:9], v22, v62
	v_cndmask_b32_e64 v5, 0, v5, s[8:9]
.LBB189_417:                            ;   in Loop: Header=BB189_43 Depth=1
	s_or_b64 exec, exec, s[16:17]
	v_lshlrev_b32_e32 v0, 16, v0
	v_mul_f32_e32 v0, v50, v0
	v_and_b32_e32 v9, 0x7f800000, v0
	v_cmp_ne_u32_e64 s[8:9], s15, v9
                                        ; implicit-def: $agpr55
	s_and_saveexec_b64 s[16:17], s[8:9]
	s_xor_b64 s[8:9], exec, s[16:17]
; %bb.418:                              ;   in Loop: Header=BB189_43 Depth=1
	v_bfe_u32 v9, v0, 16, 1
	v_add3_u32 v0, v0, v9, s19
	v_accvgpr_write_b32 a55, v0
                                        ; implicit-def: $vgpr0
; %bb.419:                              ;   in Loop: Header=BB189_43 Depth=1
	s_andn2_saveexec_b64 s[16:17], s[8:9]
; %bb.420:                              ;   in Loop: Header=BB189_43 Depth=1
	v_or_b32_e32 v9, 0x10000, v0
	v_cmp_eq_u32_sdwa s[8:9], v0, v17 src0_sel:WORD_0 src1_sel:DWORD
	v_cndmask_b32_e64 v0, v9, v0, s[8:9]
	v_accvgpr_write_b32 a55, v0
; %bb.421:                              ;   in Loop: Header=BB189_43 Depth=1
	s_or_b64 exec, exec, s[16:17]
	v_lshlrev_b32_e32 v0, 16, v8
	v_mul_f32_e32 v0, v51, v0
	v_and_b32_e32 v8, 0x7f800000, v0
	v_cmp_ne_u32_e64 s[8:9], s15, v8
                                        ; implicit-def: $agpr56
	s_and_saveexec_b64 s[16:17], s[8:9]
	s_xor_b64 s[8:9], exec, s[16:17]
; %bb.422:                              ;   in Loop: Header=BB189_43 Depth=1
	v_bfe_u32 v8, v0, 16, 1
	v_add3_u32 v0, v0, v8, s19
	v_accvgpr_write_b32 a56, v0
                                        ; implicit-def: $vgpr0
; %bb.423:                              ;   in Loop: Header=BB189_43 Depth=1
	s_andn2_saveexec_b64 s[16:17], s[8:9]
; %bb.424:                              ;   in Loop: Header=BB189_43 Depth=1
	v_or_b32_e32 v8, 0x10000, v0
	v_cmp_eq_u32_sdwa s[8:9], v0, v17 src0_sel:WORD_0 src1_sel:DWORD
	v_cndmask_b32_e64 v0, v8, v0, s[8:9]
	v_accvgpr_write_b32 a56, v0
; %bb.425:                              ;   in Loop: Header=BB189_43 Depth=1
	s_or_b64 exec, exec, s[16:17]
	v_lshlrev_b32_e32 v0, 16, v1
	v_mul_f32_e32 v0, v52, v0
	v_and_b32_e32 v1, 0x7f800000, v0
	v_cmp_ne_u32_e64 s[8:9], s15, v1
                                        ; implicit-def: $agpr57
	s_and_saveexec_b64 s[16:17], s[8:9]
	s_xor_b64 s[8:9], exec, s[16:17]
; %bb.426:                              ;   in Loop: Header=BB189_43 Depth=1
	v_bfe_u32 v1, v0, 16, 1
	v_add3_u32 v0, v0, v1, s19
	v_accvgpr_write_b32 a57, v0
                                        ; implicit-def: $vgpr0
; %bb.427:                              ;   in Loop: Header=BB189_43 Depth=1
	s_andn2_saveexec_b64 s[16:17], s[8:9]
; %bb.428:                              ;   in Loop: Header=BB189_43 Depth=1
	v_or_b32_e32 v1, 0x10000, v0
	v_cmp_eq_u32_sdwa s[8:9], v0, v17 src0_sel:WORD_0 src1_sel:DWORD
	v_cndmask_b32_e64 v0, v1, v0, s[8:9]
	v_accvgpr_write_b32 a57, v0
; %bb.429:                              ;   in Loop: Header=BB189_43 Depth=1
	s_or_b64 exec, exec, s[16:17]
	v_lshlrev_b32_e32 v0, 16, v7
	v_mul_f32_e32 v0, v53, v0
	v_and_b32_e32 v1, 0x7f800000, v0
	v_cmp_ne_u32_e64 s[8:9], s15, v1
                                        ; implicit-def: $agpr58
	s_and_saveexec_b64 s[16:17], s[8:9]
	s_xor_b64 s[8:9], exec, s[16:17]
; %bb.430:                              ;   in Loop: Header=BB189_43 Depth=1
	v_bfe_u32 v1, v0, 16, 1
	v_add3_u32 v0, v0, v1, s19
	v_accvgpr_write_b32 a58, v0
                                        ; implicit-def: $vgpr0
; %bb.431:                              ;   in Loop: Header=BB189_43 Depth=1
	s_andn2_saveexec_b64 s[16:17], s[8:9]
; %bb.432:                              ;   in Loop: Header=BB189_43 Depth=1
	v_or_b32_e32 v1, 0x10000, v0
	v_cmp_eq_u32_sdwa s[8:9], v0, v17 src0_sel:WORD_0 src1_sel:DWORD
	v_cndmask_b32_e64 v0, v1, v0, s[8:9]
	v_accvgpr_write_b32 a58, v0
; %bb.433:                              ;   in Loop: Header=BB189_43 Depth=1
	s_or_b64 exec, exec, s[16:17]
	v_lshlrev_b32_e32 v0, 16, v2
	v_mul_f32_e32 v0, v54, v0
	v_and_b32_e32 v1, 0x7f800000, v0
	v_cmp_ne_u32_e64 s[8:9], s15, v1
                                        ; implicit-def: $agpr59
	s_and_saveexec_b64 s[16:17], s[8:9]
	s_xor_b64 s[8:9], exec, s[16:17]
; %bb.434:                              ;   in Loop: Header=BB189_43 Depth=1
	v_bfe_u32 v1, v0, 16, 1
	v_add3_u32 v0, v0, v1, s19
	v_accvgpr_write_b32 a59, v0
                                        ; implicit-def: $vgpr0
; %bb.435:                              ;   in Loop: Header=BB189_43 Depth=1
	s_andn2_saveexec_b64 s[16:17], s[8:9]
; %bb.436:                              ;   in Loop: Header=BB189_43 Depth=1
	v_or_b32_e32 v1, 0x10000, v0
	v_cmp_eq_u32_sdwa s[8:9], v0, v17 src0_sel:WORD_0 src1_sel:DWORD
	v_cndmask_b32_e64 v0, v1, v0, s[8:9]
	v_accvgpr_write_b32 a59, v0
; %bb.437:                              ;   in Loop: Header=BB189_43 Depth=1
	s_or_b64 exec, exec, s[16:17]
	v_lshlrev_b32_e32 v0, 16, v6
	v_mul_f32_e32 v0, v55, v0
	v_and_b32_e32 v1, 0x7f800000, v0
	v_cmp_ne_u32_e64 s[8:9], s15, v1
                                        ; implicit-def: $agpr60
	s_and_saveexec_b64 s[16:17], s[8:9]
	s_xor_b64 s[8:9], exec, s[16:17]
; %bb.438:                              ;   in Loop: Header=BB189_43 Depth=1
	v_bfe_u32 v1, v0, 16, 1
	v_add3_u32 v0, v0, v1, s19
	v_accvgpr_write_b32 a60, v0
                                        ; implicit-def: $vgpr0
; %bb.439:                              ;   in Loop: Header=BB189_43 Depth=1
	s_andn2_saveexec_b64 s[16:17], s[8:9]
; %bb.440:                              ;   in Loop: Header=BB189_43 Depth=1
	v_or_b32_e32 v1, 0x10000, v0
	v_cmp_eq_u32_sdwa s[8:9], v0, v17 src0_sel:WORD_0 src1_sel:DWORD
	v_cndmask_b32_e64 v0, v1, v0, s[8:9]
	v_accvgpr_write_b32 a60, v0
; %bb.441:                              ;   in Loop: Header=BB189_43 Depth=1
	s_or_b64 exec, exec, s[16:17]
	v_lshlrev_b32_e32 v0, 16, v3
	v_mul_f32_e32 v0, v40, v0
	v_and_b32_e32 v1, 0x7f800000, v0
	v_cmp_ne_u32_e64 s[8:9], s15, v1
                                        ; implicit-def: $agpr61
	s_and_saveexec_b64 s[16:17], s[8:9]
	s_xor_b64 s[8:9], exec, s[16:17]
; %bb.442:                              ;   in Loop: Header=BB189_43 Depth=1
	v_bfe_u32 v1, v0, 16, 1
	v_add3_u32 v0, v0, v1, s19
	v_accvgpr_write_b32 a61, v0
                                        ; implicit-def: $vgpr0
; %bb.443:                              ;   in Loop: Header=BB189_43 Depth=1
	s_andn2_saveexec_b64 s[16:17], s[8:9]
; %bb.444:                              ;   in Loop: Header=BB189_43 Depth=1
	v_or_b32_e32 v1, 0x10000, v0
	v_cmp_eq_u32_sdwa s[8:9], v0, v17 src0_sel:WORD_0 src1_sel:DWORD
	v_cndmask_b32_e64 v0, v1, v0, s[8:9]
	v_accvgpr_write_b32 a61, v0
; %bb.445:                              ;   in Loop: Header=BB189_43 Depth=1
	s_or_b64 exec, exec, s[16:17]
	v_lshlrev_b32_e32 v0, 16, v5
	v_mul_f32_e32 v0, v4, v0
	v_and_b32_e32 v1, 0x7f800000, v0
	v_cmp_ne_u32_e64 s[8:9], s15, v1
                                        ; implicit-def: $agpr62
	s_and_saveexec_b64 s[16:17], s[8:9]
	s_xor_b64 s[8:9], exec, s[16:17]
; %bb.446:                              ;   in Loop: Header=BB189_43 Depth=1
	v_bfe_u32 v1, v0, 16, 1
	v_add3_u32 v0, v0, v1, s19
	v_accvgpr_write_b32 a62, v0
                                        ; implicit-def: $vgpr0
; %bb.447:                              ;   in Loop: Header=BB189_43 Depth=1
	s_andn2_saveexec_b64 s[16:17], s[8:9]
; %bb.448:                              ;   in Loop: Header=BB189_43 Depth=1
	v_or_b32_e32 v1, 0x10000, v0
	v_cmp_eq_u32_sdwa s[8:9], v0, v17 src0_sel:WORD_0 src1_sel:DWORD
	v_cndmask_b32_e64 v0, v1, v0, s[8:9]
	v_accvgpr_write_b32 a62, v0
; %bb.449:                              ;   in Loop: Header=BB189_43 Depth=1
	s_or_b64 exec, exec, s[16:17]
	buffer_load_dword v0, off, s[0:3], s32 offset:400 ; 4-byte Folded Reload
	s_waitcnt vmcnt(0)
	v_add_co_u32_e64 v0, s[8:9], v39, v0
	v_addc_co_u32_e64 v1, s[8:9], 0, v48, s[8:9]
	flat_load_dwordx4 v[0:3], v[0:1]
	s_waitcnt vmcnt(0) lgkmcnt(0)
	v_lshrrev_b32_e32 v8, 16, v0
	v_lshrrev_b32_e32 v7, 16, v1
	v_lshrrev_b32_e32 v6, 16, v2
	v_lshrrev_b32_e32 v5, 16, v3
	s_and_saveexec_b64 s[16:17], vcc
	s_cbranch_execz .LBB189_451
; %bb.450:                              ;   in Loop: Header=BB189_43 Depth=1
	v_accvgpr_read_b32 v9, a41
	v_cmp_lt_i32_e64 s[8:9], v9, v62
	v_accvgpr_read_b32 v9, a46
	v_cndmask_b32_e64 v0, 0, v0, s[8:9]
	v_cmp_lt_i32_e64 s[8:9], v9, v62
	v_accvgpr_read_b32 v9, a44
	v_cndmask_b32_e64 v8, 0, v8, s[8:9]
	;; [unrolled: 3-line block ×4, first 2 shown]
	v_cmp_lt_i32_e64 s[8:9], v9, v62
	v_cndmask_b32_e64 v2, 0, v2, s[8:9]
	v_cmp_lt_i32_e64 s[8:9], v49, v62
	v_accvgpr_read_b32 v9, a45
	v_cndmask_b32_e64 v6, 0, v6, s[8:9]
	v_cmp_lt_i32_e64 s[8:9], v9, v62
	v_cndmask_b32_e64 v3, 0, v3, s[8:9]
	v_cmp_lt_i32_e64 s[8:9], v22, v62
	v_cndmask_b32_e64 v5, 0, v5, s[8:9]
.LBB189_451:                            ;   in Loop: Header=BB189_43 Depth=1
	s_or_b64 exec, exec, s[16:17]
	v_lshlrev_b32_e32 v0, 16, v0
	v_mul_f32_e32 v0, v50, v0
	v_and_b32_e32 v9, 0x7f800000, v0
	v_cmp_ne_u32_e64 s[8:9], s15, v9
                                        ; implicit-def: $agpr63
	s_and_saveexec_b64 s[16:17], s[8:9]
	s_xor_b64 s[8:9], exec, s[16:17]
; %bb.452:                              ;   in Loop: Header=BB189_43 Depth=1
	v_bfe_u32 v9, v0, 16, 1
	v_add3_u32 v0, v0, v9, s19
	v_accvgpr_write_b32 a63, v0
                                        ; implicit-def: $vgpr0
; %bb.453:                              ;   in Loop: Header=BB189_43 Depth=1
	s_andn2_saveexec_b64 s[16:17], s[8:9]
; %bb.454:                              ;   in Loop: Header=BB189_43 Depth=1
	v_or_b32_e32 v9, 0x10000, v0
	v_cmp_eq_u32_sdwa s[8:9], v0, v17 src0_sel:WORD_0 src1_sel:DWORD
	v_cndmask_b32_e64 v0, v9, v0, s[8:9]
	v_accvgpr_write_b32 a63, v0
; %bb.455:                              ;   in Loop: Header=BB189_43 Depth=1
	s_or_b64 exec, exec, s[16:17]
	v_lshlrev_b32_e32 v0, 16, v8
	v_mul_f32_e32 v0, v51, v0
	v_and_b32_e32 v8, 0x7f800000, v0
	v_cmp_ne_u32_e64 s[8:9], s15, v8
                                        ; implicit-def: $agpr2
	s_and_saveexec_b64 s[16:17], s[8:9]
	s_xor_b64 s[8:9], exec, s[16:17]
; %bb.456:                              ;   in Loop: Header=BB189_43 Depth=1
	v_bfe_u32 v8, v0, 16, 1
	v_add3_u32 v0, v0, v8, s19
	v_accvgpr_write_b32 a2, v0
                                        ; implicit-def: $vgpr0
; %bb.457:                              ;   in Loop: Header=BB189_43 Depth=1
	s_andn2_saveexec_b64 s[16:17], s[8:9]
; %bb.458:                              ;   in Loop: Header=BB189_43 Depth=1
	v_or_b32_e32 v8, 0x10000, v0
	v_cmp_eq_u32_sdwa s[8:9], v0, v17 src0_sel:WORD_0 src1_sel:DWORD
	v_cndmask_b32_e64 v0, v8, v0, s[8:9]
	v_accvgpr_write_b32 a2, v0
; %bb.459:                              ;   in Loop: Header=BB189_43 Depth=1
	s_or_b64 exec, exec, s[16:17]
	v_lshlrev_b32_e32 v0, 16, v1
	v_mul_f32_e32 v0, v52, v0
	v_and_b32_e32 v1, 0x7f800000, v0
	v_cmp_ne_u32_e64 s[8:9], s15, v1
                                        ; implicit-def: $agpr9
	s_and_saveexec_b64 s[16:17], s[8:9]
	s_xor_b64 s[8:9], exec, s[16:17]
; %bb.460:                              ;   in Loop: Header=BB189_43 Depth=1
	v_bfe_u32 v1, v0, 16, 1
	v_add3_u32 v0, v0, v1, s19
	v_accvgpr_write_b32 a9, v0
                                        ; implicit-def: $vgpr0
; %bb.461:                              ;   in Loop: Header=BB189_43 Depth=1
	s_andn2_saveexec_b64 s[16:17], s[8:9]
; %bb.462:                              ;   in Loop: Header=BB189_43 Depth=1
	v_or_b32_e32 v1, 0x10000, v0
	v_cmp_eq_u32_sdwa s[8:9], v0, v17 src0_sel:WORD_0 src1_sel:DWORD
	v_cndmask_b32_e64 v0, v1, v0, s[8:9]
	v_accvgpr_write_b32 a9, v0
; %bb.463:                              ;   in Loop: Header=BB189_43 Depth=1
	s_or_b64 exec, exec, s[16:17]
	v_lshlrev_b32_e32 v0, 16, v7
	v_mul_f32_e32 v0, v53, v0
	v_and_b32_e32 v1, 0x7f800000, v0
	v_cmp_ne_u32_e64 s[8:9], s15, v1
                                        ; implicit-def: $agpr8
	s_and_saveexec_b64 s[16:17], s[8:9]
	s_xor_b64 s[8:9], exec, s[16:17]
; %bb.464:                              ;   in Loop: Header=BB189_43 Depth=1
	v_bfe_u32 v1, v0, 16, 1
	v_add3_u32 v0, v0, v1, s19
	v_accvgpr_write_b32 a8, v0
                                        ; implicit-def: $vgpr0
; %bb.465:                              ;   in Loop: Header=BB189_43 Depth=1
	s_andn2_saveexec_b64 s[16:17], s[8:9]
; %bb.466:                              ;   in Loop: Header=BB189_43 Depth=1
	v_or_b32_e32 v1, 0x10000, v0
	v_cmp_eq_u32_sdwa s[8:9], v0, v17 src0_sel:WORD_0 src1_sel:DWORD
	v_cndmask_b32_e64 v0, v1, v0, s[8:9]
	v_accvgpr_write_b32 a8, v0
; %bb.467:                              ;   in Loop: Header=BB189_43 Depth=1
	s_or_b64 exec, exec, s[16:17]
	v_lshlrev_b32_e32 v0, 16, v2
	v_mul_f32_e32 v0, v54, v0
	v_and_b32_e32 v1, 0x7f800000, v0
	v_cmp_ne_u32_e64 s[8:9], s15, v1
                                        ; implicit-def: $agpr5
	s_and_saveexec_b64 s[16:17], s[8:9]
	s_xor_b64 s[8:9], exec, s[16:17]
; %bb.468:                              ;   in Loop: Header=BB189_43 Depth=1
	v_bfe_u32 v1, v0, 16, 1
	v_add3_u32 v0, v0, v1, s19
	v_accvgpr_write_b32 a5, v0
                                        ; implicit-def: $vgpr0
; %bb.469:                              ;   in Loop: Header=BB189_43 Depth=1
	s_andn2_saveexec_b64 s[16:17], s[8:9]
; %bb.470:                              ;   in Loop: Header=BB189_43 Depth=1
	v_or_b32_e32 v1, 0x10000, v0
	v_cmp_eq_u32_sdwa s[8:9], v0, v17 src0_sel:WORD_0 src1_sel:DWORD
	v_cndmask_b32_e64 v0, v1, v0, s[8:9]
	v_accvgpr_write_b32 a5, v0
; %bb.471:                              ;   in Loop: Header=BB189_43 Depth=1
	s_or_b64 exec, exec, s[16:17]
	v_lshlrev_b32_e32 v0, 16, v6
	v_mul_f32_e32 v0, v55, v0
	v_and_b32_e32 v1, 0x7f800000, v0
	v_cmp_ne_u32_e64 s[8:9], s15, v1
                                        ; implicit-def: $agpr7
	s_and_saveexec_b64 s[16:17], s[8:9]
	s_xor_b64 s[8:9], exec, s[16:17]
; %bb.472:                              ;   in Loop: Header=BB189_43 Depth=1
	v_bfe_u32 v1, v0, 16, 1
	v_add3_u32 v0, v0, v1, s19
	v_accvgpr_write_b32 a7, v0
                                        ; implicit-def: $vgpr0
; %bb.473:                              ;   in Loop: Header=BB189_43 Depth=1
	s_andn2_saveexec_b64 s[16:17], s[8:9]
; %bb.474:                              ;   in Loop: Header=BB189_43 Depth=1
	v_or_b32_e32 v1, 0x10000, v0
	v_cmp_eq_u32_sdwa s[8:9], v0, v17 src0_sel:WORD_0 src1_sel:DWORD
	v_cndmask_b32_e64 v0, v1, v0, s[8:9]
	v_accvgpr_write_b32 a7, v0
; %bb.475:                              ;   in Loop: Header=BB189_43 Depth=1
	s_or_b64 exec, exec, s[16:17]
	v_lshlrev_b32_e32 v0, 16, v3
	v_mul_f32_e32 v0, v40, v0
	v_and_b32_e32 v1, 0x7f800000, v0
	v_cmp_ne_u32_e64 s[8:9], s15, v1
                                        ; implicit-def: $agpr0
	s_and_saveexec_b64 s[16:17], s[8:9]
	s_xor_b64 s[8:9], exec, s[16:17]
; %bb.476:                              ;   in Loop: Header=BB189_43 Depth=1
	v_bfe_u32 v1, v0, 16, 1
	v_add3_u32 v0, v0, v1, s19
	v_accvgpr_write_b32 a0, v0
                                        ; implicit-def: $vgpr0
; %bb.477:                              ;   in Loop: Header=BB189_43 Depth=1
	s_andn2_saveexec_b64 s[16:17], s[8:9]
; %bb.478:                              ;   in Loop: Header=BB189_43 Depth=1
	v_or_b32_e32 v1, 0x10000, v0
	v_cmp_eq_u32_sdwa s[8:9], v0, v17 src0_sel:WORD_0 src1_sel:DWORD
	v_cndmask_b32_e64 v0, v1, v0, s[8:9]
	v_accvgpr_write_b32 a0, v0
; %bb.479:                              ;   in Loop: Header=BB189_43 Depth=1
	s_or_b64 exec, exec, s[16:17]
	v_lshlrev_b32_e32 v0, 16, v5
	v_mul_f32_e32 v0, v4, v0
	v_and_b32_e32 v1, 0x7f800000, v0
	v_cmp_ne_u32_e64 s[8:9], s15, v1
                                        ; implicit-def: $agpr1
	s_and_saveexec_b64 s[16:17], s[8:9]
	s_xor_b64 s[8:9], exec, s[16:17]
; %bb.480:                              ;   in Loop: Header=BB189_43 Depth=1
	v_bfe_u32 v1, v0, 16, 1
	v_add3_u32 v0, v0, v1, s19
	v_accvgpr_write_b32 a1, v0
                                        ; implicit-def: $vgpr0
; %bb.481:                              ;   in Loop: Header=BB189_43 Depth=1
	s_andn2_saveexec_b64 s[16:17], s[8:9]
; %bb.482:                              ;   in Loop: Header=BB189_43 Depth=1
	v_or_b32_e32 v1, 0x10000, v0
	v_cmp_eq_u32_sdwa s[8:9], v0, v17 src0_sel:WORD_0 src1_sel:DWORD
	v_cndmask_b32_e64 v0, v1, v0, s[8:9]
	v_accvgpr_write_b32 a1, v0
; %bb.483:                              ;   in Loop: Header=BB189_43 Depth=1
	s_or_b64 exec, exec, s[16:17]
	buffer_load_dword v0, off, s[0:3], s32 offset:404 ; 4-byte Folded Reload
	s_waitcnt vmcnt(0)
	v_add_co_u32_e64 v0, s[8:9], v39, v0
	v_addc_co_u32_e64 v1, s[8:9], 0, v48, s[8:9]
	flat_load_dwordx4 v[0:3], v[0:1]
	s_waitcnt vmcnt(0) lgkmcnt(0)
	v_lshrrev_b32_e32 v9, 16, v0
	v_lshrrev_b32_e32 v8, 16, v1
	;; [unrolled: 1-line block ×4, first 2 shown]
	s_and_saveexec_b64 s[16:17], vcc
	s_cbranch_execz .LBB189_485
; %bb.484:                              ;   in Loop: Header=BB189_43 Depth=1
	v_accvgpr_read_b32 v14, a41
	v_cmp_lt_i32_e64 s[8:9], v14, v62
	v_accvgpr_read_b32 v5, a46
	v_cndmask_b32_e64 v0, 0, v0, s[8:9]
	v_cmp_lt_i32_e64 s[8:9], v5, v62
	v_accvgpr_read_b32 v5, a44
	v_cndmask_b32_e64 v9, 0, v9, s[8:9]
	v_cmp_lt_i32_e64 s[8:9], v5, v62
	v_accvgpr_read_b32 v5, a43
	v_cndmask_b32_e64 v1, 0, v1, s[8:9]
	v_cmp_lt_i32_e64 s[8:9], v5, v62
	v_accvgpr_read_b32 v5, a42
	v_cndmask_b32_e64 v8, 0, v8, s[8:9]
	v_cmp_lt_i32_e64 s[8:9], v5, v62
	v_cndmask_b32_e64 v2, 0, v2, s[8:9]
	v_cmp_lt_i32_e64 s[8:9], v49, v62
	v_accvgpr_read_b32 v5, a45
	v_cndmask_b32_e64 v7, 0, v7, s[8:9]
	v_cmp_lt_i32_e64 s[8:9], v5, v62
	v_cndmask_b32_e64 v3, 0, v3, s[8:9]
	v_cmp_lt_i32_e64 s[8:9], v22, v62
	v_cndmask_b32_e64 v6, 0, v6, s[8:9]
.LBB189_485:                            ;   in Loop: Header=BB189_43 Depth=1
	s_or_b64 exec, exec, s[16:17]
	v_lshlrev_b32_e32 v0, 16, v0
	v_mul_f32_e32 v0, v50, v0
	v_and_b32_e32 v14, 0x7f800000, v0
	v_cmp_ne_u32_e64 s[8:9], s15, v14
                                        ; implicit-def: $vgpr14
	s_and_saveexec_b64 s[16:17], s[8:9]
	s_xor_b64 s[8:9], exec, s[16:17]
; %bb.486:                              ;   in Loop: Header=BB189_43 Depth=1
	v_bfe_u32 v14, v0, 16, 1
	v_add3_u32 v14, v0, v14, s19
                                        ; implicit-def: $vgpr0
; %bb.487:                              ;   in Loop: Header=BB189_43 Depth=1
	s_andn2_saveexec_b64 s[16:17], s[8:9]
; %bb.488:                              ;   in Loop: Header=BB189_43 Depth=1
	v_or_b32_e32 v14, 0x10000, v0
	v_cmp_eq_u32_sdwa s[8:9], v0, v17 src0_sel:WORD_0 src1_sel:DWORD
	v_cndmask_b32_e64 v14, v14, v0, s[8:9]
; %bb.489:                              ;   in Loop: Header=BB189_43 Depth=1
	s_or_b64 exec, exec, s[16:17]
	v_lshlrev_b32_e32 v0, 16, v9
	v_mul_f32_e32 v0, v51, v0
	v_and_b32_e32 v9, 0x7f800000, v0
	v_cmp_ne_u32_e64 s[8:9], s15, v9
                                        ; implicit-def: $vgpr61
	s_and_saveexec_b64 s[16:17], s[8:9]
	s_xor_b64 s[8:9], exec, s[16:17]
; %bb.490:                              ;   in Loop: Header=BB189_43 Depth=1
	v_bfe_u32 v9, v0, 16, 1
	v_add3_u32 v61, v0, v9, s19
                                        ; implicit-def: $vgpr0
; %bb.491:                              ;   in Loop: Header=BB189_43 Depth=1
	s_andn2_saveexec_b64 s[16:17], s[8:9]
; %bb.492:                              ;   in Loop: Header=BB189_43 Depth=1
	v_or_b32_e32 v9, 0x10000, v0
	v_cmp_eq_u32_sdwa s[8:9], v0, v17 src0_sel:WORD_0 src1_sel:DWORD
	v_cndmask_b32_e64 v61, v9, v0, s[8:9]
; %bb.493:                              ;   in Loop: Header=BB189_43 Depth=1
	s_or_b64 exec, exec, s[16:17]
	v_lshlrev_b32_e32 v0, 16, v1
	v_mul_f32_e32 v0, v52, v0
	v_and_b32_e32 v1, 0x7f800000, v0
	v_cmp_ne_u32_e64 s[8:9], s15, v1
                                        ; implicit-def: $vgpr34
	s_and_saveexec_b64 s[16:17], s[8:9]
	s_xor_b64 s[8:9], exec, s[16:17]
; %bb.494:                              ;   in Loop: Header=BB189_43 Depth=1
	v_bfe_u32 v1, v0, 16, 1
	v_add3_u32 v34, v0, v1, s19
                                        ; implicit-def: $vgpr0
; %bb.495:                              ;   in Loop: Header=BB189_43 Depth=1
	s_andn2_saveexec_b64 s[16:17], s[8:9]
; %bb.496:                              ;   in Loop: Header=BB189_43 Depth=1
	v_or_b32_e32 v1, 0x10000, v0
	v_cmp_eq_u32_sdwa s[8:9], v0, v17 src0_sel:WORD_0 src1_sel:DWORD
	v_cndmask_b32_e64 v34, v1, v0, s[8:9]
; %bb.497:                              ;   in Loop: Header=BB189_43 Depth=1
	s_or_b64 exec, exec, s[16:17]
	v_lshlrev_b32_e32 v0, 16, v8
	v_mul_f32_e32 v0, v53, v0
	v_and_b32_e32 v1, 0x7f800000, v0
	v_cmp_ne_u32_e64 s[8:9], s15, v1
                                        ; implicit-def: $vgpr35
	s_and_saveexec_b64 s[16:17], s[8:9]
	s_xor_b64 s[8:9], exec, s[16:17]
; %bb.498:                              ;   in Loop: Header=BB189_43 Depth=1
	v_bfe_u32 v1, v0, 16, 1
	v_add3_u32 v35, v0, v1, s19
                                        ; implicit-def: $vgpr0
; %bb.499:                              ;   in Loop: Header=BB189_43 Depth=1
	s_andn2_saveexec_b64 s[16:17], s[8:9]
; %bb.500:                              ;   in Loop: Header=BB189_43 Depth=1
	v_or_b32_e32 v1, 0x10000, v0
	v_cmp_eq_u32_sdwa s[8:9], v0, v17 src0_sel:WORD_0 src1_sel:DWORD
	v_cndmask_b32_e64 v35, v1, v0, s[8:9]
; %bb.501:                              ;   in Loop: Header=BB189_43 Depth=1
	s_or_b64 exec, exec, s[16:17]
	v_lshlrev_b32_e32 v0, 16, v2
	v_mul_f32_e32 v0, v54, v0
	v_and_b32_e32 v1, 0x7f800000, v0
	v_cmp_ne_u32_e64 s[8:9], s15, v1
                                        ; implicit-def: $vgpr16
	s_and_saveexec_b64 s[16:17], s[8:9]
	s_xor_b64 s[8:9], exec, s[16:17]
; %bb.502:                              ;   in Loop: Header=BB189_43 Depth=1
	v_bfe_u32 v1, v0, 16, 1
	v_add3_u32 v16, v0, v1, s19
                                        ; implicit-def: $vgpr0
; %bb.503:                              ;   in Loop: Header=BB189_43 Depth=1
	s_andn2_saveexec_b64 s[16:17], s[8:9]
; %bb.504:                              ;   in Loop: Header=BB189_43 Depth=1
	v_or_b32_e32 v1, 0x10000, v0
	v_cmp_eq_u32_sdwa s[8:9], v0, v17 src0_sel:WORD_0 src1_sel:DWORD
	v_cndmask_b32_e64 v16, v1, v0, s[8:9]
; %bb.505:                              ;   in Loop: Header=BB189_43 Depth=1
	s_or_b64 exec, exec, s[16:17]
	v_lshlrev_b32_e32 v0, 16, v7
	v_mul_f32_e32 v0, v55, v0
	v_and_b32_e32 v1, 0x7f800000, v0
	v_cmp_ne_u32_e64 s[8:9], s15, v1
                                        ; implicit-def: $vgpr36
	s_and_saveexec_b64 s[16:17], s[8:9]
	s_xor_b64 s[8:9], exec, s[16:17]
; %bb.506:                              ;   in Loop: Header=BB189_43 Depth=1
	v_bfe_u32 v1, v0, 16, 1
	v_add3_u32 v36, v0, v1, s19
                                        ; implicit-def: $vgpr0
; %bb.507:                              ;   in Loop: Header=BB189_43 Depth=1
	s_andn2_saveexec_b64 s[16:17], s[8:9]
; %bb.508:                              ;   in Loop: Header=BB189_43 Depth=1
	v_or_b32_e32 v1, 0x10000, v0
	v_cmp_eq_u32_sdwa s[8:9], v0, v17 src0_sel:WORD_0 src1_sel:DWORD
	v_cndmask_b32_e64 v36, v1, v0, s[8:9]
; %bb.509:                              ;   in Loop: Header=BB189_43 Depth=1
	s_or_b64 exec, exec, s[16:17]
	v_lshlrev_b32_e32 v0, 16, v3
	v_mul_f32_e32 v0, v40, v0
	v_and_b32_e32 v1, 0x7f800000, v0
	v_cmp_ne_u32_e64 s[8:9], s15, v1
                                        ; implicit-def: $vgpr37
	s_and_saveexec_b64 s[16:17], s[8:9]
	s_xor_b64 s[8:9], exec, s[16:17]
; %bb.510:                              ;   in Loop: Header=BB189_43 Depth=1
	v_bfe_u32 v1, v0, 16, 1
	v_add3_u32 v37, v0, v1, s19
                                        ; implicit-def: $vgpr0
; %bb.511:                              ;   in Loop: Header=BB189_43 Depth=1
	s_andn2_saveexec_b64 s[16:17], s[8:9]
; %bb.512:                              ;   in Loop: Header=BB189_43 Depth=1
	v_or_b32_e32 v1, 0x10000, v0
	v_cmp_eq_u32_sdwa s[8:9], v0, v17 src0_sel:WORD_0 src1_sel:DWORD
	v_cndmask_b32_e64 v37, v1, v0, s[8:9]
; %bb.513:                              ;   in Loop: Header=BB189_43 Depth=1
	s_or_b64 exec, exec, s[16:17]
	v_lshlrev_b32_e32 v0, 16, v6
	v_mul_f32_e32 v0, v4, v0
	v_and_b32_e32 v1, 0x7f800000, v0
	v_cmp_ne_u32_e64 s[8:9], s15, v1
                                        ; implicit-def: $vgpr38
	s_and_saveexec_b64 s[16:17], s[8:9]
	s_xor_b64 s[8:9], exec, s[16:17]
; %bb.514:                              ;   in Loop: Header=BB189_43 Depth=1
	v_bfe_u32 v1, v0, 16, 1
	v_add3_u32 v38, v0, v1, s19
                                        ; implicit-def: $vgpr0
; %bb.515:                              ;   in Loop: Header=BB189_43 Depth=1
	s_andn2_saveexec_b64 s[16:17], s[8:9]
; %bb.516:                              ;   in Loop: Header=BB189_43 Depth=1
	v_or_b32_e32 v1, 0x10000, v0
	v_cmp_eq_u32_sdwa s[8:9], v0, v17 src0_sel:WORD_0 src1_sel:DWORD
	v_cndmask_b32_e64 v38, v1, v0, s[8:9]
; %bb.517:                              ;   in Loop: Header=BB189_43 Depth=1
	s_or_b64 exec, exec, s[16:17]
	buffer_load_dword v0, off, s[0:3], s32 offset:408 ; 4-byte Folded Reload
	s_waitcnt vmcnt(0)
	v_add_co_u32_e64 v0, s[8:9], v39, v0
	v_addc_co_u32_e64 v1, s[8:9], 0, v48, s[8:9]
	flat_load_dwordx4 v[0:3], v[0:1]
	s_waitcnt vmcnt(0) lgkmcnt(0)
	v_lshrrev_b32_e32 v8, 16, v0
	v_lshrrev_b32_e32 v23, 16, v1
	;; [unrolled: 1-line block ×4, first 2 shown]
	s_and_saveexec_b64 s[16:17], vcc
	s_cbranch_execz .LBB189_519
; %bb.518:                              ;   in Loop: Header=BB189_43 Depth=1
	v_accvgpr_read_b32 v9, a41
	v_cmp_lt_i32_e64 s[8:9], v9, v62
	v_accvgpr_read_b32 v5, a46
	v_cndmask_b32_e64 v0, 0, v0, s[8:9]
	v_cmp_lt_i32_e64 s[8:9], v5, v62
	v_accvgpr_read_b32 v5, a44
	v_cndmask_b32_e64 v8, 0, v8, s[8:9]
	;; [unrolled: 3-line block ×4, first 2 shown]
	v_cmp_lt_i32_e64 s[8:9], v5, v62
	v_cndmask_b32_e64 v2, 0, v2, s[8:9]
	v_cmp_lt_i32_e64 s[8:9], v49, v62
	v_accvgpr_read_b32 v5, a45
	v_cndmask_b32_e64 v7, 0, v7, s[8:9]
	v_cmp_lt_i32_e64 s[8:9], v5, v62
	v_cndmask_b32_e64 v3, 0, v3, s[8:9]
	v_cmp_lt_i32_e64 s[8:9], v22, v62
	v_cndmask_b32_e64 v6, 0, v6, s[8:9]
.LBB189_519:                            ;   in Loop: Header=BB189_43 Depth=1
	s_or_b64 exec, exec, s[16:17]
	v_lshlrev_b32_e32 v0, 16, v0
	v_mul_f32_e32 v0, v50, v0
	v_and_b32_e32 v9, 0x7f800000, v0
	v_cmp_ne_u32_e64 s[8:9], s15, v9
                                        ; implicit-def: $vgpr15
	s_and_saveexec_b64 s[16:17], s[8:9]
	s_xor_b64 s[8:9], exec, s[16:17]
; %bb.520:                              ;   in Loop: Header=BB189_43 Depth=1
	v_bfe_u32 v9, v0, 16, 1
	v_add3_u32 v15, v0, v9, s19
                                        ; implicit-def: $vgpr0
; %bb.521:                              ;   in Loop: Header=BB189_43 Depth=1
	s_andn2_saveexec_b64 s[16:17], s[8:9]
; %bb.522:                              ;   in Loop: Header=BB189_43 Depth=1
	v_or_b32_e32 v9, 0x10000, v0
	v_cmp_eq_u32_sdwa s[8:9], v0, v17 src0_sel:WORD_0 src1_sel:DWORD
	v_cndmask_b32_e64 v15, v9, v0, s[8:9]
; %bb.523:                              ;   in Loop: Header=BB189_43 Depth=1
	s_or_b64 exec, exec, s[16:17]
	v_lshlrev_b32_e32 v0, 16, v8
	v_mul_f32_e32 v0, v51, v0
	v_and_b32_e32 v8, 0x7f800000, v0
	v_cmp_ne_u32_e64 s[8:9], s15, v8
                                        ; implicit-def: $vgpr8
	s_and_saveexec_b64 s[16:17], s[8:9]
	s_xor_b64 s[8:9], exec, s[16:17]
; %bb.524:                              ;   in Loop: Header=BB189_43 Depth=1
	v_bfe_u32 v8, v0, 16, 1
	v_add3_u32 v8, v0, v8, s19
                                        ; implicit-def: $vgpr0
; %bb.525:                              ;   in Loop: Header=BB189_43 Depth=1
	s_andn2_saveexec_b64 s[16:17], s[8:9]
; %bb.526:                              ;   in Loop: Header=BB189_43 Depth=1
	v_or_b32_e32 v8, 0x10000, v0
	v_cmp_eq_u32_sdwa s[8:9], v0, v17 src0_sel:WORD_0 src1_sel:DWORD
	v_cndmask_b32_e64 v8, v8, v0, s[8:9]
; %bb.527:                              ;   in Loop: Header=BB189_43 Depth=1
	s_or_b64 exec, exec, s[16:17]
	v_lshlrev_b32_e32 v0, 16, v1
	v_mul_f32_e32 v0, v52, v0
	v_and_b32_e32 v1, 0x7f800000, v0
	v_cmp_ne_u32_e64 s[8:9], s15, v1
                                        ; implicit-def: $vgpr9
	s_and_saveexec_b64 s[16:17], s[8:9]
	s_xor_b64 s[8:9], exec, s[16:17]
; %bb.528:                              ;   in Loop: Header=BB189_43 Depth=1
	v_bfe_u32 v1, v0, 16, 1
	v_add3_u32 v9, v0, v1, s19
                                        ; implicit-def: $vgpr0
; %bb.529:                              ;   in Loop: Header=BB189_43 Depth=1
	s_andn2_saveexec_b64 s[16:17], s[8:9]
; %bb.530:                              ;   in Loop: Header=BB189_43 Depth=1
	v_or_b32_e32 v1, 0x10000, v0
	v_cmp_eq_u32_sdwa s[8:9], v0, v17 src0_sel:WORD_0 src1_sel:DWORD
	v_cndmask_b32_e64 v9, v1, v0, s[8:9]
; %bb.531:                              ;   in Loop: Header=BB189_43 Depth=1
	s_or_b64 exec, exec, s[16:17]
	v_lshlrev_b32_e32 v0, 16, v23
	v_mul_f32_e32 v0, v53, v0
	v_and_b32_e32 v1, 0x7f800000, v0
	v_cmp_ne_u32_e64 s[8:9], s15, v1
                                        ; implicit-def: $vgpr41
	s_and_saveexec_b64 s[16:17], s[8:9]
	s_xor_b64 s[8:9], exec, s[16:17]
; %bb.532:                              ;   in Loop: Header=BB189_43 Depth=1
	v_bfe_u32 v1, v0, 16, 1
	v_add3_u32 v41, v0, v1, s19
                                        ; implicit-def: $vgpr0
; %bb.533:                              ;   in Loop: Header=BB189_43 Depth=1
	s_andn2_saveexec_b64 s[16:17], s[8:9]
; %bb.534:                              ;   in Loop: Header=BB189_43 Depth=1
	v_or_b32_e32 v1, 0x10000, v0
	v_cmp_eq_u32_sdwa s[8:9], v0, v17 src0_sel:WORD_0 src1_sel:DWORD
	v_cndmask_b32_e64 v41, v1, v0, s[8:9]
; %bb.535:                              ;   in Loop: Header=BB189_43 Depth=1
	s_or_b64 exec, exec, s[16:17]
	v_lshlrev_b32_e32 v0, 16, v2
	v_mul_f32_e32 v0, v54, v0
	v_and_b32_e32 v1, 0x7f800000, v0
	v_cmp_ne_u32_e64 s[8:9], s15, v1
                                        ; implicit-def: $vgpr42
	s_and_saveexec_b64 s[16:17], s[8:9]
	s_xor_b64 s[8:9], exec, s[16:17]
; %bb.536:                              ;   in Loop: Header=BB189_43 Depth=1
	v_bfe_u32 v1, v0, 16, 1
	v_add3_u32 v42, v0, v1, s19
                                        ; implicit-def: $vgpr0
; %bb.537:                              ;   in Loop: Header=BB189_43 Depth=1
	s_andn2_saveexec_b64 s[16:17], s[8:9]
; %bb.538:                              ;   in Loop: Header=BB189_43 Depth=1
	v_or_b32_e32 v1, 0x10000, v0
	v_cmp_eq_u32_sdwa s[8:9], v0, v17 src0_sel:WORD_0 src1_sel:DWORD
	v_cndmask_b32_e64 v42, v1, v0, s[8:9]
; %bb.539:                              ;   in Loop: Header=BB189_43 Depth=1
	s_or_b64 exec, exec, s[16:17]
	v_lshlrev_b32_e32 v0, 16, v7
	v_mul_f32_e32 v0, v55, v0
	v_and_b32_e32 v1, 0x7f800000, v0
	v_cmp_ne_u32_e64 s[8:9], s15, v1
                                        ; implicit-def: $vgpr43
	s_and_saveexec_b64 s[16:17], s[8:9]
	s_xor_b64 s[8:9], exec, s[16:17]
; %bb.540:                              ;   in Loop: Header=BB189_43 Depth=1
	v_bfe_u32 v1, v0, 16, 1
	v_add3_u32 v43, v0, v1, s19
                                        ; implicit-def: $vgpr0
; %bb.541:                              ;   in Loop: Header=BB189_43 Depth=1
	s_andn2_saveexec_b64 s[16:17], s[8:9]
; %bb.542:                              ;   in Loop: Header=BB189_43 Depth=1
	v_or_b32_e32 v1, 0x10000, v0
	v_cmp_eq_u32_sdwa s[8:9], v0, v17 src0_sel:WORD_0 src1_sel:DWORD
	v_cndmask_b32_e64 v43, v1, v0, s[8:9]
; %bb.543:                              ;   in Loop: Header=BB189_43 Depth=1
	s_or_b64 exec, exec, s[16:17]
	v_lshlrev_b32_e32 v0, 16, v3
	v_mul_f32_e32 v0, v40, v0
	v_and_b32_e32 v1, 0x7f800000, v0
	v_cmp_ne_u32_e64 s[8:9], s15, v1
                                        ; implicit-def: $vgpr44
	s_and_saveexec_b64 s[16:17], s[8:9]
	s_xor_b64 s[8:9], exec, s[16:17]
; %bb.544:                              ;   in Loop: Header=BB189_43 Depth=1
	v_bfe_u32 v1, v0, 16, 1
	v_add3_u32 v44, v0, v1, s19
                                        ; implicit-def: $vgpr0
; %bb.545:                              ;   in Loop: Header=BB189_43 Depth=1
	s_andn2_saveexec_b64 s[16:17], s[8:9]
; %bb.546:                              ;   in Loop: Header=BB189_43 Depth=1
	v_or_b32_e32 v1, 0x10000, v0
	v_cmp_eq_u32_sdwa s[8:9], v0, v17 src0_sel:WORD_0 src1_sel:DWORD
	v_cndmask_b32_e64 v44, v1, v0, s[8:9]
; %bb.547:                              ;   in Loop: Header=BB189_43 Depth=1
	s_or_b64 exec, exec, s[16:17]
	v_lshlrev_b32_e32 v0, 16, v6
	v_mul_f32_e32 v0, v4, v0
	v_and_b32_e32 v1, 0x7f800000, v0
	v_cmp_ne_u32_e64 s[8:9], s15, v1
                                        ; implicit-def: $vgpr6
	s_and_saveexec_b64 s[16:17], s[8:9]
	s_xor_b64 s[8:9], exec, s[16:17]
; %bb.548:                              ;   in Loop: Header=BB189_43 Depth=1
	v_bfe_u32 v1, v0, 16, 1
	v_add3_u32 v6, v0, v1, s19
                                        ; implicit-def: $vgpr0
; %bb.549:                              ;   in Loop: Header=BB189_43 Depth=1
	s_andn2_saveexec_b64 s[16:17], s[8:9]
; %bb.550:                              ;   in Loop: Header=BB189_43 Depth=1
	v_or_b32_e32 v1, 0x10000, v0
	v_cmp_eq_u32_sdwa s[8:9], v0, v17 src0_sel:WORD_0 src1_sel:DWORD
	v_cndmask_b32_e64 v6, v1, v0, s[8:9]
; %bb.551:                              ;   in Loop: Header=BB189_43 Depth=1
	s_or_b64 exec, exec, s[16:17]
	buffer_load_dword v0, off, s[0:3], s32 offset:412 ; 4-byte Folded Reload
	s_waitcnt vmcnt(0)
	v_add_co_u32_e64 v0, s[8:9], v39, v0
	v_addc_co_u32_e64 v1, s[8:9], 0, v48, s[8:9]
	flat_load_dwordx4 v[0:3], v[0:1]
	s_waitcnt vmcnt(0) lgkmcnt(0)
	v_lshrrev_b32_e32 v45, 16, v0
	v_lshrrev_b32_e32 v23, 16, v1
	;; [unrolled: 1-line block ×4, first 2 shown]
	s_and_saveexec_b64 s[16:17], vcc
	s_cbranch_execz .LBB189_553
; %bb.552:                              ;   in Loop: Header=BB189_43 Depth=1
	v_accvgpr_read_b32 v7, a41
	v_cmp_lt_i32_e64 s[8:9], v7, v62
	v_accvgpr_read_b32 v5, a46
	v_cndmask_b32_e64 v0, 0, v0, s[8:9]
	v_cmp_lt_i32_e64 s[8:9], v5, v62
	v_accvgpr_read_b32 v5, a44
	v_cndmask_b32_e64 v45, 0, v45, s[8:9]
	;; [unrolled: 3-line block ×4, first 2 shown]
	v_cmp_lt_i32_e64 s[8:9], v5, v62
	v_cndmask_b32_e64 v2, 0, v2, s[8:9]
	v_cmp_lt_i32_e64 s[8:9], v49, v62
	v_accvgpr_read_b32 v5, a45
	v_cndmask_b32_e64 v57, 0, v57, s[8:9]
	v_cmp_lt_i32_e64 s[8:9], v5, v62
	v_cndmask_b32_e64 v3, 0, v3, s[8:9]
	v_cmp_lt_i32_e64 s[8:9], v22, v62
	v_cndmask_b32_e64 v59, 0, v59, s[8:9]
.LBB189_553:                            ;   in Loop: Header=BB189_43 Depth=1
	s_or_b64 exec, exec, s[16:17]
	v_lshlrev_b32_e32 v0, 16, v0
	v_mul_f32_e32 v0, v50, v0
	v_and_b32_e32 v7, 0x7f800000, v0
	v_cmp_ne_u32_e64 s[8:9], s15, v7
                                        ; implicit-def: $vgpr7
	s_and_saveexec_b64 s[16:17], s[8:9]
	s_xor_b64 s[8:9], exec, s[16:17]
; %bb.554:                              ;   in Loop: Header=BB189_43 Depth=1
	v_bfe_u32 v7, v0, 16, 1
	v_add3_u32 v7, v0, v7, s19
                                        ; implicit-def: $vgpr0
; %bb.555:                              ;   in Loop: Header=BB189_43 Depth=1
	s_andn2_saveexec_b64 s[16:17], s[8:9]
; %bb.556:                              ;   in Loop: Header=BB189_43 Depth=1
	v_or_b32_e32 v7, 0x10000, v0
	v_cmp_eq_u32_sdwa s[8:9], v0, v17 src0_sel:WORD_0 src1_sel:DWORD
	v_cndmask_b32_e64 v7, v7, v0, s[8:9]
; %bb.557:                              ;   in Loop: Header=BB189_43 Depth=1
	s_or_b64 exec, exec, s[16:17]
	v_lshlrev_b32_e32 v0, 16, v45
	v_mul_f32_e32 v0, v51, v0
	v_and_b32_e32 v45, 0x7f800000, v0
	v_cmp_ne_u32_e64 s[8:9], s15, v45
                                        ; implicit-def: $vgpr45
	s_and_saveexec_b64 s[16:17], s[8:9]
	s_xor_b64 s[8:9], exec, s[16:17]
; %bb.558:                              ;   in Loop: Header=BB189_43 Depth=1
	v_bfe_u32 v45, v0, 16, 1
	v_add3_u32 v45, v0, v45, s19
                                        ; implicit-def: $vgpr0
; %bb.559:                              ;   in Loop: Header=BB189_43 Depth=1
	s_andn2_saveexec_b64 s[16:17], s[8:9]
; %bb.560:                              ;   in Loop: Header=BB189_43 Depth=1
	v_or_b32_e32 v45, 0x10000, v0
	v_cmp_eq_u32_sdwa s[8:9], v0, v17 src0_sel:WORD_0 src1_sel:DWORD
	v_cndmask_b32_e64 v45, v45, v0, s[8:9]
; %bb.561:                              ;   in Loop: Header=BB189_43 Depth=1
	s_or_b64 exec, exec, s[16:17]
	v_lshlrev_b32_e32 v0, 16, v1
	v_mul_f32_e32 v0, v52, v0
	v_and_b32_e32 v1, 0x7f800000, v0
	v_cmp_ne_u32_e64 s[8:9], s15, v1
                                        ; implicit-def: $vgpr46
	s_and_saveexec_b64 s[16:17], s[8:9]
	s_xor_b64 s[8:9], exec, s[16:17]
; %bb.562:                              ;   in Loop: Header=BB189_43 Depth=1
	v_bfe_u32 v1, v0, 16, 1
	v_add3_u32 v46, v0, v1, s19
                                        ; implicit-def: $vgpr0
; %bb.563:                              ;   in Loop: Header=BB189_43 Depth=1
	s_andn2_saveexec_b64 s[16:17], s[8:9]
; %bb.564:                              ;   in Loop: Header=BB189_43 Depth=1
	v_or_b32_e32 v1, 0x10000, v0
	v_cmp_eq_u32_sdwa s[8:9], v0, v17 src0_sel:WORD_0 src1_sel:DWORD
	v_cndmask_b32_e64 v46, v1, v0, s[8:9]
; %bb.565:                              ;   in Loop: Header=BB189_43 Depth=1
	s_or_b64 exec, exec, s[16:17]
	v_lshlrev_b32_e32 v0, 16, v23
	v_mul_f32_e32 v0, v53, v0
	v_and_b32_e32 v1, 0x7f800000, v0
	v_cmp_ne_u32_e64 s[8:9], s15, v1
                                        ; implicit-def: $vgpr47
	s_and_saveexec_b64 s[16:17], s[8:9]
	s_xor_b64 s[8:9], exec, s[16:17]
; %bb.566:                              ;   in Loop: Header=BB189_43 Depth=1
	v_bfe_u32 v1, v0, 16, 1
	v_add3_u32 v47, v0, v1, s19
                                        ; implicit-def: $vgpr0
; %bb.567:                              ;   in Loop: Header=BB189_43 Depth=1
	s_andn2_saveexec_b64 s[16:17], s[8:9]
; %bb.568:                              ;   in Loop: Header=BB189_43 Depth=1
	v_or_b32_e32 v1, 0x10000, v0
	v_cmp_eq_u32_sdwa s[8:9], v0, v17 src0_sel:WORD_0 src1_sel:DWORD
	v_cndmask_b32_e64 v47, v1, v0, s[8:9]
; %bb.569:                              ;   in Loop: Header=BB189_43 Depth=1
	s_or_b64 exec, exec, s[16:17]
	v_lshlrev_b32_e32 v0, 16, v2
	v_mul_f32_e32 v0, v54, v0
	v_and_b32_e32 v1, 0x7f800000, v0
	v_cmp_ne_u32_e64 s[8:9], s15, v1
                                        ; implicit-def: $vgpr56
	s_and_saveexec_b64 s[16:17], s[8:9]
	s_xor_b64 s[8:9], exec, s[16:17]
; %bb.570:                              ;   in Loop: Header=BB189_43 Depth=1
	v_bfe_u32 v1, v0, 16, 1
	v_add3_u32 v56, v0, v1, s19
                                        ; implicit-def: $vgpr0
; %bb.571:                              ;   in Loop: Header=BB189_43 Depth=1
	s_andn2_saveexec_b64 s[16:17], s[8:9]
; %bb.572:                              ;   in Loop: Header=BB189_43 Depth=1
	v_or_b32_e32 v1, 0x10000, v0
	v_cmp_eq_u32_sdwa s[8:9], v0, v17 src0_sel:WORD_0 src1_sel:DWORD
	v_cndmask_b32_e64 v56, v1, v0, s[8:9]
; %bb.573:                              ;   in Loop: Header=BB189_43 Depth=1
	s_or_b64 exec, exec, s[16:17]
	v_lshlrev_b32_e32 v0, 16, v57
	v_mul_f32_e32 v0, v55, v0
	v_and_b32_e32 v1, 0x7f800000, v0
	v_cmp_ne_u32_e64 s[8:9], s15, v1
                                        ; implicit-def: $vgpr57
	s_and_saveexec_b64 s[16:17], s[8:9]
	s_xor_b64 s[8:9], exec, s[16:17]
; %bb.574:                              ;   in Loop: Header=BB189_43 Depth=1
	v_bfe_u32 v1, v0, 16, 1
	v_add3_u32 v57, v0, v1, s19
                                        ; implicit-def: $vgpr0
; %bb.575:                              ;   in Loop: Header=BB189_43 Depth=1
	s_andn2_saveexec_b64 s[16:17], s[8:9]
; %bb.576:                              ;   in Loop: Header=BB189_43 Depth=1
	v_or_b32_e32 v1, 0x10000, v0
	v_cmp_eq_u32_sdwa s[8:9], v0, v17 src0_sel:WORD_0 src1_sel:DWORD
	v_cndmask_b32_e64 v57, v1, v0, s[8:9]
; %bb.577:                              ;   in Loop: Header=BB189_43 Depth=1
	s_or_b64 exec, exec, s[16:17]
	v_lshlrev_b32_e32 v0, 16, v3
	v_mul_f32_e32 v0, v40, v0
	v_and_b32_e32 v1, 0x7f800000, v0
	v_cmp_ne_u32_e64 s[8:9], s15, v1
                                        ; implicit-def: $vgpr58
	s_and_saveexec_b64 s[16:17], s[8:9]
	s_xor_b64 s[8:9], exec, s[16:17]
; %bb.578:                              ;   in Loop: Header=BB189_43 Depth=1
	v_bfe_u32 v1, v0, 16, 1
	v_add3_u32 v58, v0, v1, s19
                                        ; implicit-def: $vgpr0
; %bb.579:                              ;   in Loop: Header=BB189_43 Depth=1
	s_andn2_saveexec_b64 s[16:17], s[8:9]
; %bb.580:                              ;   in Loop: Header=BB189_43 Depth=1
	v_or_b32_e32 v1, 0x10000, v0
	v_cmp_eq_u32_sdwa s[8:9], v0, v17 src0_sel:WORD_0 src1_sel:DWORD
	v_cndmask_b32_e64 v58, v1, v0, s[8:9]
; %bb.581:                              ;   in Loop: Header=BB189_43 Depth=1
	s_or_b64 exec, exec, s[16:17]
	v_lshlrev_b32_e32 v0, 16, v59
	v_mul_f32_e32 v0, v4, v0
	v_and_b32_e32 v1, 0x7f800000, v0
	v_cmp_ne_u32_e64 s[8:9], s15, v1
                                        ; implicit-def: $vgpr59
	s_and_saveexec_b64 s[16:17], s[8:9]
	s_xor_b64 s[8:9], exec, s[16:17]
; %bb.582:                              ;   in Loop: Header=BB189_43 Depth=1
	v_bfe_u32 v1, v0, 16, 1
	v_add3_u32 v59, v0, v1, s19
                                        ; implicit-def: $vgpr0
; %bb.583:                              ;   in Loop: Header=BB189_43 Depth=1
	s_andn2_saveexec_b64 s[16:17], s[8:9]
; %bb.584:                              ;   in Loop: Header=BB189_43 Depth=1
	v_or_b32_e32 v1, 0x10000, v0
	v_cmp_eq_u32_sdwa s[8:9], v0, v17 src0_sel:WORD_0 src1_sel:DWORD
	v_cndmask_b32_e64 v59, v1, v0, s[8:9]
; %bb.585:                              ;   in Loop: Header=BB189_43 Depth=1
	s_or_b64 exec, exec, s[16:17]
	buffer_load_dword v0, off, s[0:3], s32 offset:416 ; 4-byte Folded Reload
	s_waitcnt vmcnt(0)
	v_add_co_u32_e64 v0, s[8:9], v39, v0
	v_addc_co_u32_e64 v1, s[8:9], 0, v48, s[8:9]
	flat_load_dwordx4 v[0:3], v[0:1]
	s_waitcnt vmcnt(0) lgkmcnt(0)
	v_lshrrev_b32_e32 v39, 16, v0
	v_lshrrev_b32_e32 v48, 16, v1
	;; [unrolled: 1-line block ×4, first 2 shown]
	s_and_saveexec_b64 s[8:9], vcc
	s_cbranch_execz .LBB189_587
; %bb.586:                              ;   in Loop: Header=BB189_43 Depth=1
	v_mov_b32_e32 v5, v49
	v_accvgpr_read_b32 v49, a41
	v_cmp_lt_i32_e32 vcc, v49, v62
	v_accvgpr_read_b32 v49, a46
	v_cndmask_b32_e32 v0, 0, v0, vcc
	v_cmp_lt_i32_e32 vcc, v49, v62
	v_accvgpr_read_b32 v49, a44
	v_cndmask_b32_e32 v39, 0, v39, vcc
	;; [unrolled: 3-line block ×4, first 2 shown]
	v_cmp_lt_i32_e32 vcc, v49, v62
	v_cndmask_b32_e32 v2, 0, v2, vcc
	v_cmp_lt_i32_e32 vcc, v5, v62
	v_accvgpr_read_b32 v5, a45
	v_cndmask_b32_e32 v23, 0, v23, vcc
	v_cmp_lt_i32_e32 vcc, v5, v62
	v_cndmask_b32_e32 v3, 0, v3, vcc
	v_cmp_lt_i32_e32 vcc, v22, v62
	v_cndmask_b32_e32 v60, 0, v60, vcc
.LBB189_587:                            ;   in Loop: Header=BB189_43 Depth=1
	s_or_b64 exec, exec, s[8:9]
	v_lshlrev_b32_e32 v0, 16, v0
	v_mul_f32_e32 v50, v50, v0
	v_and_b32_e32 v0, 0x7f800000, v50
	v_cmp_ne_u32_e32 vcc, s15, v0
                                        ; implicit-def: $vgpr0
	s_and_saveexec_b64 s[8:9], vcc
	s_xor_b64 s[8:9], exec, s[8:9]
; %bb.588:                              ;   in Loop: Header=BB189_43 Depth=1
	v_bfe_u32 v0, v50, 16, 1
	v_add3_u32 v0, v50, v0, s19
                                        ; implicit-def: $vgpr50
; %bb.589:                              ;   in Loop: Header=BB189_43 Depth=1
	s_andn2_saveexec_b64 s[8:9], s[8:9]
; %bb.590:                              ;   in Loop: Header=BB189_43 Depth=1
	v_or_b32_e32 v0, 0x10000, v50
	v_cmp_eq_u32_sdwa vcc, v50, v17 src0_sel:WORD_0 src1_sel:DWORD
	v_cndmask_b32_e32 v0, v0, v50, vcc
; %bb.591:                              ;   in Loop: Header=BB189_43 Depth=1
	s_or_b64 exec, exec, s[8:9]
	v_lshlrev_b32_e32 v39, 16, v39
	v_mul_f32_e32 v50, v51, v39
	v_and_b32_e32 v39, 0x7f800000, v50
	v_cmp_ne_u32_e32 vcc, s15, v39
                                        ; implicit-def: $vgpr39
	s_and_saveexec_b64 s[8:9], vcc
	s_xor_b64 s[8:9], exec, s[8:9]
; %bb.592:                              ;   in Loop: Header=BB189_43 Depth=1
	v_bfe_u32 v39, v50, 16, 1
	v_add3_u32 v39, v50, v39, s19
                                        ; implicit-def: $vgpr50
; %bb.593:                              ;   in Loop: Header=BB189_43 Depth=1
	s_andn2_saveexec_b64 s[8:9], s[8:9]
; %bb.594:                              ;   in Loop: Header=BB189_43 Depth=1
	v_or_b32_e32 v39, 0x10000, v50
	v_cmp_eq_u32_sdwa vcc, v50, v17 src0_sel:WORD_0 src1_sel:DWORD
	v_cndmask_b32_e32 v39, v39, v50, vcc
; %bb.595:                              ;   in Loop: Header=BB189_43 Depth=1
	s_or_b64 exec, exec, s[8:9]
	v_lshlrev_b32_e32 v1, 16, v1
	v_mul_f32_e32 v50, v52, v1
	v_and_b32_e32 v1, 0x7f800000, v50
	v_cmp_ne_u32_e32 vcc, s15, v1
                                        ; implicit-def: $vgpr1
	s_and_saveexec_b64 s[8:9], vcc
	s_xor_b64 s[8:9], exec, s[8:9]
; %bb.596:                              ;   in Loop: Header=BB189_43 Depth=1
	v_bfe_u32 v1, v50, 16, 1
	v_add3_u32 v1, v50, v1, s19
                                        ; implicit-def: $vgpr50
; %bb.597:                              ;   in Loop: Header=BB189_43 Depth=1
	s_andn2_saveexec_b64 s[8:9], s[8:9]
; %bb.598:                              ;   in Loop: Header=BB189_43 Depth=1
	v_or_b32_e32 v1, 0x10000, v50
	v_cmp_eq_u32_sdwa vcc, v50, v17 src0_sel:WORD_0 src1_sel:DWORD
	v_cndmask_b32_e32 v1, v1, v50, vcc
; %bb.599:                              ;   in Loop: Header=BB189_43 Depth=1
	s_or_b64 exec, exec, s[8:9]
	v_lshlrev_b32_e32 v48, 16, v48
	v_mul_f32_e32 v50, v53, v48
	v_and_b32_e32 v48, 0x7f800000, v50
	v_cmp_ne_u32_e32 vcc, s15, v48
                                        ; implicit-def: $vgpr48
	s_and_saveexec_b64 s[8:9], vcc
	s_xor_b64 s[8:9], exec, s[8:9]
; %bb.600:                              ;   in Loop: Header=BB189_43 Depth=1
	v_bfe_u32 v48, v50, 16, 1
	v_add3_u32 v48, v50, v48, s19
                                        ; implicit-def: $vgpr50
; %bb.601:                              ;   in Loop: Header=BB189_43 Depth=1
	s_andn2_saveexec_b64 s[8:9], s[8:9]
; %bb.602:                              ;   in Loop: Header=BB189_43 Depth=1
	v_or_b32_e32 v48, 0x10000, v50
	v_cmp_eq_u32_sdwa vcc, v50, v17 src0_sel:WORD_0 src1_sel:DWORD
	v_cndmask_b32_e32 v48, v48, v50, vcc
; %bb.603:                              ;   in Loop: Header=BB189_43 Depth=1
	s_or_b64 exec, exec, s[8:9]
	v_lshlrev_b32_e32 v2, 16, v2
	v_mul_f32_e32 v50, v54, v2
	v_and_b32_e32 v2, 0x7f800000, v50
	v_cmp_ne_u32_e32 vcc, s15, v2
                                        ; implicit-def: $vgpr2
	s_and_saveexec_b64 s[8:9], vcc
	s_xor_b64 s[8:9], exec, s[8:9]
; %bb.604:                              ;   in Loop: Header=BB189_43 Depth=1
	v_bfe_u32 v2, v50, 16, 1
	v_add3_u32 v2, v50, v2, s19
                                        ; implicit-def: $vgpr50
; %bb.605:                              ;   in Loop: Header=BB189_43 Depth=1
	s_andn2_saveexec_b64 s[8:9], s[8:9]
; %bb.606:                              ;   in Loop: Header=BB189_43 Depth=1
	v_or_b32_e32 v2, 0x10000, v50
	v_cmp_eq_u32_sdwa vcc, v50, v17 src0_sel:WORD_0 src1_sel:DWORD
	v_cndmask_b32_e32 v2, v2, v50, vcc
; %bb.607:                              ;   in Loop: Header=BB189_43 Depth=1
	s_or_b64 exec, exec, s[8:9]
	v_lshlrev_b32_e32 v23, 16, v23
	v_mul_f32_e32 v23, v55, v23
	v_and_b32_e32 v50, 0x7f800000, v23
	v_cmp_ne_u32_e32 vcc, s15, v50
                                        ; implicit-def: $vgpr50
	s_and_saveexec_b64 s[8:9], vcc
	s_xor_b64 s[8:9], exec, s[8:9]
; %bb.608:                              ;   in Loop: Header=BB189_43 Depth=1
	v_bfe_u32 v50, v23, 16, 1
	v_add3_u32 v50, v23, v50, s19
                                        ; implicit-def: $vgpr23
; %bb.609:                              ;   in Loop: Header=BB189_43 Depth=1
	s_andn2_saveexec_b64 s[8:9], s[8:9]
; %bb.610:                              ;   in Loop: Header=BB189_43 Depth=1
	v_or_b32_e32 v50, 0x10000, v23
	v_cmp_eq_u32_sdwa vcc, v23, v17 src0_sel:WORD_0 src1_sel:DWORD
	v_cndmask_b32_e32 v50, v50, v23, vcc
; %bb.611:                              ;   in Loop: Header=BB189_43 Depth=1
	s_or_b64 exec, exec, s[8:9]
	v_lshlrev_b32_e32 v3, 16, v3
	v_mul_f32_e32 v23, v40, v3
	v_and_b32_e32 v3, 0x7f800000, v23
	v_cmp_ne_u32_e32 vcc, s15, v3
                                        ; implicit-def: $vgpr3
	s_and_saveexec_b64 s[8:9], vcc
	s_xor_b64 s[8:9], exec, s[8:9]
; %bb.612:                              ;   in Loop: Header=BB189_43 Depth=1
	v_bfe_u32 v3, v23, 16, 1
	v_add3_u32 v3, v23, v3, s19
                                        ; implicit-def: $vgpr23
; %bb.613:                              ;   in Loop: Header=BB189_43 Depth=1
	s_andn2_saveexec_b64 s[8:9], s[8:9]
; %bb.614:                              ;   in Loop: Header=BB189_43 Depth=1
	v_or_b32_e32 v3, 0x10000, v23
	v_cmp_eq_u32_sdwa vcc, v23, v17 src0_sel:WORD_0 src1_sel:DWORD
	v_cndmask_b32_e32 v3, v3, v23, vcc
; %bb.615:                              ;   in Loop: Header=BB189_43 Depth=1
	s_or_b64 exec, exec, s[8:9]
	v_lshlrev_b32_e32 v23, 16, v60
	v_mul_f32_e32 v23, v4, v23
	v_and_b32_e32 v4, 0x7f800000, v23
	v_cmp_ne_u32_e32 vcc, s15, v4
                                        ; implicit-def: $vgpr4
	s_and_saveexec_b64 s[8:9], vcc
	s_xor_b64 s[8:9], exec, s[8:9]
; %bb.616:                              ;   in Loop: Header=BB189_43 Depth=1
	v_bfe_u32 v4, v23, 16, 1
	v_add3_u32 v4, v23, v4, s19
                                        ; implicit-def: $vgpr23
; %bb.617:                              ;   in Loop: Header=BB189_43 Depth=1
	s_andn2_saveexec_b64 s[8:9], s[8:9]
	s_cbranch_execz .LBB189_42
; %bb.618:                              ;   in Loop: Header=BB189_43 Depth=1
	v_or_b32_e32 v4, 0x10000, v23
	v_cmp_eq_u32_sdwa vcc, v23, v17 src0_sel:WORD_0 src1_sel:DWORD
	v_cndmask_b32_e32 v4, v4, v23, vcc
	s_branch .LBB189_42
.LBB189_619:
	s_or_b64 exec, exec, s[12:13]
	buffer_load_dword v34, off, s[0:3], s32 offset:440 ; 4-byte Folded Reload
	buffer_load_dword v16, off, s[0:3], s32 offset:436 ; 4-byte Folded Reload
.LBB189_620:
	s_or_b64 exec, exec, s[10:11]
	s_waitcnt vmcnt(0)
	ds_bpermute_b32 v0, v34, v32
	ds_bpermute_b32 v1, v34, v33
	;; [unrolled: 1-line block ×6, first 2 shown]
	s_waitcnt lgkmcnt(0)
	v_pk_add_f32 v[0:1], v[32:33], v[0:1]
	ds_bpermute_b32 v4, v16, v0
	ds_bpermute_b32 v5, v16, v1
	v_pk_add_f32 v[2:3], v[30:31], v[2:3]
	ds_bpermute_b32 v8, v16, v2
	ds_bpermute_b32 v9, v16, v3
	;; [unrolled: 1-line block ×3, first 2 shown]
	s_waitcnt lgkmcnt(3)
	v_pk_add_f32 v[22:23], v[0:1], v[4:5]
	v_pk_add_f32 v[0:1], v[28:29], v[6:7]
	ds_bpermute_b32 v4, v16, v0
	ds_bpermute_b32 v5, v16, v1
	;; [unrolled: 1-line block ×5, first 2 shown]
	v_mov_b32_e32 v29, v16
	s_waitcnt lgkmcnt(6)
	v_pk_add_f32 v[16:17], v[2:3], v[8:9]
	ds_bpermute_b32 v2, v34, v24
	ds_bpermute_b32 v3, v34, v25
	s_waitcnt lgkmcnt(5)
	v_pk_add_f32 v[14:15], v[0:1], v[4:5]
	s_waitcnt lgkmcnt(3)
	v_pk_add_f32 v[0:1], v[26:27], v[6:7]
	;; [unrolled: 2-line block ×3, first 2 shown]
	ds_bpermute_b32 v4, v29, v0
	ds_bpermute_b32 v5, v29, v1
	s_waitcnt lgkmcnt(2)
	v_pk_add_f32 v[2:3], v[24:25], v[2:3]
	ds_bpermute_b32 v24, v29, v18
	ds_bpermute_b32 v25, v29, v19
	s_waitcnt lgkmcnt(0)
	v_pk_add_f32 v[10:11], v[0:1], v[4:5]
	s_barrier
	v_pk_add_f32 v[0:1], v[18:19], v[24:25]
	buffer_load_dword v18, off, s[0:3], s32 offset:532 ; 4-byte Folded Reload
	ds_bpermute_b32 v6, v34, v20
	ds_bpermute_b32 v7, v34, v21
	;; [unrolled: 1-line block ×6, first 2 shown]
	s_waitcnt lgkmcnt(4)
	v_pk_add_f32 v[6:7], v[20:21], v[6:7]
	ds_bpermute_b32 v20, v29, v6
	ds_bpermute_b32 v21, v29, v7
	s_waitcnt lgkmcnt(4)
	v_pk_add_f32 v[8:9], v[2:3], v[8:9]
	s_waitcnt lgkmcnt(2)
	v_pk_add_f32 v[2:3], v[12:13], v[26:27]
	ds_bpermute_b32 v4, v29, v2
	ds_bpermute_b32 v5, v29, v3
	s_waitcnt lgkmcnt(2)
	v_pk_add_f32 v[6:7], v[6:7], v[20:21]
	s_waitcnt vmcnt(0)
	v_and_b32_e32 v12, 0x3c3, v18
	v_cmp_ne_u32_e32 vcc, 64, v12
	s_and_saveexec_b64 s[8:9], vcc
	s_xor_b64 s[8:9], exec, s[8:9]
; %bb.621:
                                        ; implicit-def: $vgpr12
                                        ; kill: killed $vgpr12
; %bb.622:
	s_or_saveexec_b64 s[8:9], s[8:9]
	s_waitcnt lgkmcnt(0)
	v_pk_add_f32 v[2:3], v[2:3], v[4:5]
	s_xor_b64 exec, exec, s[8:9]
	s_cbranch_execz .LBB189_624
; %bb.623:
	buffer_load_dword v4, off, s[0:3], s32 offset:432 ; 4-byte Folded Reload
	s_ashr_i32 s25, s24, 31
	s_lshl_b64 s[10:11], s[24:25], 2
	s_getpc_b64 s[12:13]
	s_add_u32 s12, s12, llvm.amdgcn.dynlds.offset.table@rel32@lo+4
	s_addc_u32 s13, s13, llvm.amdgcn.dynlds.offset.table@rel32@hi+12
	s_add_u32 s10, s10, s12
	s_addc_u32 s11, s11, s13
	s_load_dword s10, s[10:11], 0x0
	s_waitcnt vmcnt(0) lgkmcnt(0)
	v_add_u32_e32 v4, s10, v4
	ds_write2_b32 v4, v22, v23 offset1:16
	ds_write2_b32 v4, v16, v17 offset0:32 offset1:48
	ds_write2_b32 v4, v14, v15 offset0:64 offset1:80
	;; [unrolled: 1-line block ×7, first 2 shown]
.LBB189_624:
	s_or_b64 exec, exec, s[8:9]
	s_waitcnt lgkmcnt(0)
	s_barrier
	s_and_saveexec_b64 s[8:9], s[6:7]
	s_xor_b64 s[6:7], exec, s[8:9]
	s_andn2_saveexec_b64 s[6:7], s[6:7]
	s_cbranch_execz .LBB189_643
; %bb.625:
	buffer_load_dword v4, off, s[0:3], s32 offset:428 ; 4-byte Folded Reload
	s_waitcnt vmcnt(0)
	v_cmp_eq_u32_e32 vcc, 0, v4
	v_lshrrev_b32_e32 v4, 2, v18
	s_and_saveexec_b64 s[8:9], vcc
	s_cbranch_execnz .LBB189_711
; %bb.626:
	s_or_b64 exec, exec, s[8:9]
	s_and_saveexec_b64 s[8:9], vcc
	s_cbranch_execnz .LBB189_712
.LBB189_627:
	s_or_b64 exec, exec, s[8:9]
	s_and_saveexec_b64 s[8:9], vcc
	s_cbranch_execnz .LBB189_713
.LBB189_628:
	s_or_b64 exec, exec, s[8:9]
	s_and_saveexec_b64 s[8:9], vcc
	s_cbranch_execnz .LBB189_714
.LBB189_629:
	s_or_b64 exec, exec, s[8:9]
	s_and_saveexec_b64 s[8:9], vcc
	s_cbranch_execnz .LBB189_715
.LBB189_630:
	s_or_b64 exec, exec, s[8:9]
	s_and_saveexec_b64 s[8:9], vcc
	s_cbranch_execnz .LBB189_716
.LBB189_631:
	s_or_b64 exec, exec, s[8:9]
	s_and_saveexec_b64 s[8:9], vcc
	s_cbranch_execnz .LBB189_717
.LBB189_632:
	s_or_b64 exec, exec, s[8:9]
	s_and_saveexec_b64 s[8:9], vcc
	s_cbranch_execnz .LBB189_718
.LBB189_633:
	s_or_b64 exec, exec, s[8:9]
	s_and_saveexec_b64 s[8:9], vcc
	s_cbranch_execnz .LBB189_719
.LBB189_634:
	s_or_b64 exec, exec, s[8:9]
	s_and_saveexec_b64 s[8:9], vcc
	s_cbranch_execnz .LBB189_720
.LBB189_635:
	s_or_b64 exec, exec, s[8:9]
	s_and_saveexec_b64 s[8:9], vcc
	s_cbranch_execnz .LBB189_721
.LBB189_636:
	s_or_b64 exec, exec, s[8:9]
	s_and_saveexec_b64 s[8:9], vcc
	s_cbranch_execnz .LBB189_722
.LBB189_637:
	s_or_b64 exec, exec, s[8:9]
	s_and_saveexec_b64 s[8:9], vcc
	s_cbranch_execnz .LBB189_723
.LBB189_638:
	s_or_b64 exec, exec, s[8:9]
	s_and_saveexec_b64 s[8:9], vcc
	s_cbranch_execnz .LBB189_724
.LBB189_639:
	s_or_b64 exec, exec, s[8:9]
	s_and_saveexec_b64 s[8:9], vcc
	s_cbranch_execnz .LBB189_725
.LBB189_640:
	s_or_b64 exec, exec, s[8:9]
	s_and_saveexec_b64 s[8:9], vcc
	s_cbranch_execz .LBB189_642
.LBB189_641:
	s_ashr_i32 s25, s24, 31
	s_lshl_b64 s[10:11], s[24:25], 2
	s_getpc_b64 s[12:13]
	s_add_u32 s12, s12, llvm.amdgcn.dynlds.offset.table@rel32@lo+4
	s_addc_u32 s13, s13, llvm.amdgcn.dynlds.offset.table@rel32@hi+12
	s_add_u32 s10, s10, s12
	s_addc_u32 s11, s11, s13
	s_load_dword s10, s[10:11], 0x0
	s_waitcnt lgkmcnt(0)
	v_lshl_add_u32 v4, v4, 2, s10
	ds_read_b32 v4, v4 offset:960
	s_waitcnt lgkmcnt(0)
	v_add_f32_e32 v3, v4, v3
.LBB189_642:
	s_or_b64 exec, exec, s[8:9]
.LBB189_643:
	s_or_b64 exec, exec, s[6:7]
	s_barrier
	s_and_b64 exec, exec, s[4:5]
	s_cbranch_execz .LBB189_710
; %bb.644:
	buffer_load_dword v4, off, s[0:3], s32 offset:428 ; 4-byte Folded Reload
	s_waitcnt vmcnt(0)
	v_cmp_eq_u32_e32 vcc, 0, v4
	s_and_b64 exec, exec, vcc
	s_cbranch_execz .LBB189_710
; %bb.645:
	s_mov_b32 s4, 0x7f800000
	v_and_b32_e32 v4, 0x7f800000, v22
	v_cmp_ne_u32_e32 vcc, s4, v4
                                        ; implicit-def: $vgpr12
	s_and_saveexec_b64 s[4:5], vcc
	s_xor_b64 s[4:5], exec, s[4:5]
; %bb.646:
	v_bfe_u32 v4, v22, 16, 1
	s_movk_i32 s6, 0x7fff
	v_add3_u32 v12, v22, v4, s6
; %bb.647:
	s_andn2_saveexec_b64 s[4:5], s[4:5]
; %bb.648:
	v_mov_b32_e32 v4, 0
	v_or_b32_e32 v5, 0x10000, v22
	v_cmp_eq_u32_sdwa vcc, v22, v4 src0_sel:WORD_0 src1_sel:DWORD
	v_cndmask_b32_e32 v12, v5, v22, vcc
; %bb.649:
	s_or_b64 exec, exec, s[4:5]
	buffer_load_dword v5, off, s[0:3], s32 offset:540 ; 4-byte Folded Reload
	buffer_load_dword v13, off, s[0:3], s32 offset:536 ; 4-byte Folded Reload
	s_mul_i32 s4, s18, s22
	s_mul_i32 s4, s4, s23
	s_lshl_b32 s4, s4, 8
	s_mul_i32 s6, s26, s18
	s_lshl_b32 s8, s14, 8
	s_ashr_i32 s5, s4, 31
	s_ashr_i32 s7, s6, 31
	s_ashr_i32 s9, s8, 31
	s_lshl_b64 s[4:5], s[4:5], 1
	s_lshl_b64 s[6:7], s[6:7], 1
	;; [unrolled: 1-line block ×3, first 2 shown]
	s_add_u32 s6, s8, s6
	s_addc_u32 s7, s9, s7
	s_add_u32 s4, s6, s4
	s_addc_u32 s5, s7, s5
	v_mov_b32_e32 v4, s5
	s_waitcnt vmcnt(1)
	v_add_co_u32_e32 v5, vcc, s4, v5
	s_waitcnt vmcnt(0)
	v_addc_co_u32_e32 v13, vcc, v4, v13, vcc
	v_lshrrev_b32_e32 v4, 1, v18
	v_and_b32_e32 v4, 0x1fe, v4
	v_add_co_u32_e32 v4, vcc, v5, v4
	v_addc_co_u32_e32 v5, vcc, 0, v13, vcc
	flat_store_short_d16_hi v[4:5], v12
	s_mov_b32 s4, 0x7f800000
	v_and_b32_e32 v12, 0x7f800000, v23
	v_cmp_ne_u32_e32 vcc, s4, v12
                                        ; implicit-def: $vgpr12
	s_and_saveexec_b64 s[4:5], vcc
	s_xor_b64 s[4:5], exec, s[4:5]
; %bb.650:
	v_bfe_u32 v12, v23, 16, 1
	s_movk_i32 s6, 0x7fff
	v_add3_u32 v12, v23, v12, s6
                                        ; implicit-def: $vgpr22_vgpr23
; %bb.651:
	s_andn2_saveexec_b64 s[4:5], s[4:5]
; %bb.652:
	v_mov_b32_e32 v12, 0
	v_or_b32_e32 v13, 0x10000, v23
	v_cmp_eq_u32_sdwa vcc, v23, v12 src0_sel:WORD_0 src1_sel:DWORD
	v_cndmask_b32_e32 v12, v13, v23, vcc
; %bb.653:
	s_or_b64 exec, exec, s[4:5]
	flat_store_short_d16_hi v[4:5], v12 offset:32
	s_mov_b32 s4, 0x7f800000
	v_and_b32_e32 v12, 0x7f800000, v16
	v_cmp_ne_u32_e32 vcc, s4, v12
                                        ; implicit-def: $vgpr12
	s_and_saveexec_b64 s[4:5], vcc
	s_xor_b64 s[4:5], exec, s[4:5]
; %bb.654:
	v_bfe_u32 v12, v16, 16, 1
	s_movk_i32 s6, 0x7fff
	v_add3_u32 v12, v16, v12, s6
; %bb.655:
	s_andn2_saveexec_b64 s[4:5], s[4:5]
; %bb.656:
	v_mov_b32_e32 v12, 0
	v_or_b32_e32 v13, 0x10000, v16
	v_cmp_eq_u32_sdwa vcc, v16, v12 src0_sel:WORD_0 src1_sel:DWORD
	v_cndmask_b32_e32 v12, v13, v16, vcc
; %bb.657:
	s_or_b64 exec, exec, s[4:5]
	flat_store_short_d16_hi v[4:5], v12 offset:64
	s_mov_b32 s4, 0x7f800000
	v_and_b32_e32 v12, 0x7f800000, v17
	v_cmp_ne_u32_e32 vcc, s4, v12
                                        ; implicit-def: $vgpr12
	s_and_saveexec_b64 s[4:5], vcc
	s_xor_b64 s[4:5], exec, s[4:5]
; %bb.658:
	v_bfe_u32 v12, v17, 16, 1
	s_movk_i32 s6, 0x7fff
	v_add3_u32 v12, v17, v12, s6
                                        ; implicit-def: $vgpr16_vgpr17
; %bb.659:
	s_andn2_saveexec_b64 s[4:5], s[4:5]
; %bb.660:
	v_mov_b32_e32 v12, 0
	v_or_b32_e32 v13, 0x10000, v17
	v_cmp_eq_u32_sdwa vcc, v17, v12 src0_sel:WORD_0 src1_sel:DWORD
	v_cndmask_b32_e32 v12, v13, v17, vcc
; %bb.661:
	s_or_b64 exec, exec, s[4:5]
	flat_store_short_d16_hi v[4:5], v12 offset:96
	s_mov_b32 s4, 0x7f800000
	v_and_b32_e32 v12, 0x7f800000, v14
	v_cmp_ne_u32_e32 vcc, s4, v12
                                        ; implicit-def: $vgpr12
	s_and_saveexec_b64 s[4:5], vcc
	s_xor_b64 s[4:5], exec, s[4:5]
; %bb.662:
	v_bfe_u32 v12, v14, 16, 1
	s_movk_i32 s6, 0x7fff
	v_add3_u32 v12, v14, v12, s6
; %bb.663:
	s_andn2_saveexec_b64 s[4:5], s[4:5]
; %bb.664:
	v_mov_b32_e32 v12, 0
	v_or_b32_e32 v13, 0x10000, v14
	v_cmp_eq_u32_sdwa vcc, v14, v12 src0_sel:WORD_0 src1_sel:DWORD
	v_cndmask_b32_e32 v12, v13, v14, vcc
; %bb.665:
	s_or_b64 exec, exec, s[4:5]
	flat_store_short_d16_hi v[4:5], v12 offset:128
	s_mov_b32 s4, 0x7f800000
	v_and_b32_e32 v12, 0x7f800000, v15
	v_cmp_ne_u32_e32 vcc, s4, v12
                                        ; implicit-def: $vgpr12
	s_and_saveexec_b64 s[4:5], vcc
	s_xor_b64 s[4:5], exec, s[4:5]
; %bb.666:
	v_bfe_u32 v12, v15, 16, 1
	s_movk_i32 s6, 0x7fff
	v_add3_u32 v12, v15, v12, s6
                                        ; implicit-def: $vgpr14_vgpr15
; %bb.667:
	s_andn2_saveexec_b64 s[4:5], s[4:5]
; %bb.668:
	v_mov_b32_e32 v12, 0
	v_or_b32_e32 v13, 0x10000, v15
	v_cmp_eq_u32_sdwa vcc, v15, v12 src0_sel:WORD_0 src1_sel:DWORD
	v_cndmask_b32_e32 v12, v13, v15, vcc
; %bb.669:
	s_or_b64 exec, exec, s[4:5]
	flat_store_short_d16_hi v[4:5], v12 offset:160
	s_mov_b32 s4, 0x7f800000
	v_and_b32_e32 v12, 0x7f800000, v10
	v_cmp_ne_u32_e32 vcc, s4, v12
                                        ; implicit-def: $vgpr12
	s_and_saveexec_b64 s[4:5], vcc
	s_xor_b64 s[4:5], exec, s[4:5]
; %bb.670:
	v_bfe_u32 v12, v10, 16, 1
	s_movk_i32 s6, 0x7fff
	v_add3_u32 v12, v10, v12, s6
; %bb.671:
	s_andn2_saveexec_b64 s[4:5], s[4:5]
; %bb.672:
	v_mov_b32_e32 v12, 0
	v_or_b32_e32 v13, 0x10000, v10
	v_cmp_eq_u32_sdwa vcc, v10, v12 src0_sel:WORD_0 src1_sel:DWORD
	v_cndmask_b32_e32 v12, v13, v10, vcc
; %bb.673:
	s_or_b64 exec, exec, s[4:5]
	s_mov_b32 s4, 0x7f800000
	v_and_b32_e32 v10, 0x7f800000, v11
	v_cmp_ne_u32_e32 vcc, s4, v10
	flat_store_short_d16_hi v[4:5], v12 offset:192
                                        ; implicit-def: $vgpr12
	s_and_saveexec_b64 s[4:5], vcc
	s_xor_b64 s[4:5], exec, s[4:5]
; %bb.674:
	v_bfe_u32 v10, v11, 16, 1
	s_movk_i32 s6, 0x7fff
	v_add3_u32 v12, v11, v10, s6
                                        ; implicit-def: $vgpr10_vgpr11
; %bb.675:
	s_andn2_saveexec_b64 s[4:5], s[4:5]
; %bb.676:
	v_mov_b32_e32 v10, 0
	v_or_b32_e32 v12, 0x10000, v11
	v_cmp_eq_u32_sdwa vcc, v11, v10 src0_sel:WORD_0 src1_sel:DWORD
	v_cndmask_b32_e32 v12, v12, v11, vcc
; %bb.677:
	s_or_b64 exec, exec, s[4:5]
	s_mov_b32 s4, 0x7f800000
	v_and_b32_e32 v10, 0x7f800000, v8
	v_cmp_ne_u32_e32 vcc, s4, v10
	flat_store_short_d16_hi v[4:5], v12 offset:224
                                        ; implicit-def: $vgpr10
	s_and_saveexec_b64 s[4:5], vcc
	s_xor_b64 s[4:5], exec, s[4:5]
; %bb.678:
	v_bfe_u32 v10, v8, 16, 1
	s_movk_i32 s6, 0x7fff
	v_add3_u32 v10, v8, v10, s6
; %bb.679:
	s_andn2_saveexec_b64 s[4:5], s[4:5]
; %bb.680:
	v_mov_b32_e32 v10, 0
	v_or_b32_e32 v11, 0x10000, v8
	v_cmp_eq_u32_sdwa vcc, v8, v10 src0_sel:WORD_0 src1_sel:DWORD
	v_cndmask_b32_e32 v10, v11, v8, vcc
; %bb.681:
	s_or_b64 exec, exec, s[4:5]
	s_mov_b32 s4, 0x7f800000
	v_and_b32_e32 v8, 0x7f800000, v9
	v_cmp_ne_u32_e32 vcc, s4, v8
	flat_store_short_d16_hi v[4:5], v10 offset:256
                                        ; implicit-def: $vgpr10
	s_and_saveexec_b64 s[4:5], vcc
	s_xor_b64 s[4:5], exec, s[4:5]
; %bb.682:
	v_bfe_u32 v8, v9, 16, 1
	s_movk_i32 s6, 0x7fff
	v_add3_u32 v10, v9, v8, s6
                                        ; implicit-def: $vgpr8_vgpr9
; %bb.683:
	s_andn2_saveexec_b64 s[4:5], s[4:5]
; %bb.684:
	v_mov_b32_e32 v8, 0
	v_or_b32_e32 v10, 0x10000, v9
	v_cmp_eq_u32_sdwa vcc, v9, v8 src0_sel:WORD_0 src1_sel:DWORD
	v_cndmask_b32_e32 v10, v10, v9, vcc
; %bb.685:
	s_or_b64 exec, exec, s[4:5]
	s_mov_b32 s4, 0x7f800000
	v_and_b32_e32 v8, 0x7f800000, v6
	v_cmp_ne_u32_e32 vcc, s4, v8
	flat_store_short_d16_hi v[4:5], v10 offset:288
                                        ; implicit-def: $vgpr8
	s_and_saveexec_b64 s[4:5], vcc
	s_xor_b64 s[4:5], exec, s[4:5]
; %bb.686:
	v_bfe_u32 v8, v6, 16, 1
	s_movk_i32 s6, 0x7fff
	v_add3_u32 v8, v6, v8, s6
; %bb.687:
	s_andn2_saveexec_b64 s[4:5], s[4:5]
; %bb.688:
	v_mov_b32_e32 v8, 0
	v_or_b32_e32 v9, 0x10000, v6
	v_cmp_eq_u32_sdwa vcc, v6, v8 src0_sel:WORD_0 src1_sel:DWORD
	v_cndmask_b32_e32 v8, v9, v6, vcc
; %bb.689:
	s_or_b64 exec, exec, s[4:5]
	s_mov_b32 s4, 0x7f800000
	v_and_b32_e32 v6, 0x7f800000, v7
	v_cmp_ne_u32_e32 vcc, s4, v6
	flat_store_short_d16_hi v[4:5], v8 offset:320
                                        ; implicit-def: $vgpr8
	s_and_saveexec_b64 s[4:5], vcc
	s_xor_b64 s[4:5], exec, s[4:5]
; %bb.690:
	v_bfe_u32 v6, v7, 16, 1
	s_movk_i32 s6, 0x7fff
	v_add3_u32 v8, v7, v6, s6
                                        ; implicit-def: $vgpr6_vgpr7
; %bb.691:
	s_andn2_saveexec_b64 s[4:5], s[4:5]
; %bb.692:
	v_mov_b32_e32 v6, 0
	v_or_b32_e32 v8, 0x10000, v7
	v_cmp_eq_u32_sdwa vcc, v7, v6 src0_sel:WORD_0 src1_sel:DWORD
	v_cndmask_b32_e32 v8, v8, v7, vcc
; %bb.693:
	s_or_b64 exec, exec, s[4:5]
	s_mov_b32 s4, 0x7f800000
	v_and_b32_e32 v6, 0x7f800000, v0
	v_cmp_ne_u32_e32 vcc, s4, v6
	flat_store_short_d16_hi v[4:5], v8 offset:352
                                        ; implicit-def: $vgpr6
	s_and_saveexec_b64 s[4:5], vcc
	s_xor_b64 s[4:5], exec, s[4:5]
; %bb.694:
	v_bfe_u32 v6, v0, 16, 1
	s_movk_i32 s6, 0x7fff
	v_add3_u32 v6, v0, v6, s6
; %bb.695:
	s_andn2_saveexec_b64 s[4:5], s[4:5]
; %bb.696:
	v_mov_b32_e32 v6, 0
	v_or_b32_e32 v7, 0x10000, v0
	v_cmp_eq_u32_sdwa vcc, v0, v6 src0_sel:WORD_0 src1_sel:DWORD
	v_cndmask_b32_e32 v6, v7, v0, vcc
; %bb.697:
	s_or_b64 exec, exec, s[4:5]
	s_mov_b32 s4, 0x7f800000
	v_and_b32_e32 v0, 0x7f800000, v1
	v_cmp_ne_u32_e32 vcc, s4, v0
	flat_store_short_d16_hi v[4:5], v6 offset:384
                                        ; implicit-def: $vgpr6
	s_and_saveexec_b64 s[4:5], vcc
	s_xor_b64 s[4:5], exec, s[4:5]
; %bb.698:
	v_bfe_u32 v0, v1, 16, 1
	s_movk_i32 s6, 0x7fff
	v_add3_u32 v6, v1, v0, s6
                                        ; implicit-def: $vgpr0_vgpr1
; %bb.699:
	s_andn2_saveexec_b64 s[4:5], s[4:5]
; %bb.700:
	v_mov_b32_e32 v0, 0
	v_or_b32_e32 v6, 0x10000, v1
	v_cmp_eq_u32_sdwa vcc, v1, v0 src0_sel:WORD_0 src1_sel:DWORD
	v_cndmask_b32_e32 v6, v6, v1, vcc
; %bb.701:
	s_or_b64 exec, exec, s[4:5]
	s_mov_b32 s4, 0x7f800000
	v_and_b32_e32 v0, 0x7f800000, v2
	v_cmp_ne_u32_e32 vcc, s4, v0
	flat_store_short_d16_hi v[4:5], v6 offset:416
                                        ; implicit-def: $vgpr0
	s_and_saveexec_b64 s[4:5], vcc
	s_xor_b64 s[4:5], exec, s[4:5]
; %bb.702:
	v_bfe_u32 v0, v2, 16, 1
	s_movk_i32 s6, 0x7fff
	v_add3_u32 v0, v2, v0, s6
; %bb.703:
	s_andn2_saveexec_b64 s[4:5], s[4:5]
; %bb.704:
	v_mov_b32_e32 v0, 0
	v_or_b32_e32 v1, 0x10000, v2
	v_cmp_eq_u32_sdwa vcc, v2, v0 src0_sel:WORD_0 src1_sel:DWORD
	v_cndmask_b32_e32 v0, v1, v2, vcc
; %bb.705:
	s_or_b64 exec, exec, s[4:5]
	flat_store_short_d16_hi v[4:5], v0 offset:448
	s_mov_b32 s4, 0x7f800000
	v_and_b32_e32 v0, 0x7f800000, v3
	v_cmp_ne_u32_e32 vcc, s4, v0
                                        ; implicit-def: $vgpr0
	s_and_saveexec_b64 s[4:5], vcc
	s_xor_b64 s[4:5], exec, s[4:5]
; %bb.706:
	v_bfe_u32 v0, v3, 16, 1
	s_movk_i32 s6, 0x7fff
	v_add3_u32 v0, v3, v0, s6
                                        ; implicit-def: $vgpr2_vgpr3
; %bb.707:
	s_andn2_saveexec_b64 s[4:5], s[4:5]
; %bb.708:
	v_mov_b32_e32 v0, 0
	v_or_b32_e32 v1, 0x10000, v3
	v_cmp_eq_u32_sdwa vcc, v3, v0 src0_sel:WORD_0 src1_sel:DWORD
	v_cndmask_b32_e32 v0, v1, v3, vcc
; %bb.709:
	s_or_b64 exec, exec, s[4:5]
	flat_store_short_d16_hi v[4:5], v0 offset:480
.LBB189_710:
	s_or_b64 exec, exec, s[20:21]
	buffer_load_dword a63, off, s[0:3], s32 ; 4-byte Folded Reload
	buffer_load_dword a62, off, s[0:3], s32 offset:4 ; 4-byte Folded Reload
	buffer_load_dword a61, off, s[0:3], s32 offset:8 ; 4-byte Folded Reload
	;; [unrolled: 1-line block ×46, first 2 shown]
	v_readlane_b32 s30, v63, 5
	v_readlane_b32 s31, v63, 6
	;; [unrolled: 1-line block ×7, first 2 shown]
	s_or_saveexec_b64 s[4:5], -1
	buffer_load_dword v63, off, s[0:3], s32 offset:612 ; 4-byte Folded Reload
	s_mov_b64 exec, s[4:5]
	s_waitcnt vmcnt(0) lgkmcnt(0)
	s_setpc_b64 s[30:31]
.LBB189_711:
	s_ashr_i32 s25, s24, 31
	s_lshl_b64 s[10:11], s[24:25], 2
	s_getpc_b64 s[12:13]
	s_add_u32 s12, s12, llvm.amdgcn.dynlds.offset.table@rel32@lo+4
	s_addc_u32 s13, s13, llvm.amdgcn.dynlds.offset.table@rel32@hi+12
	s_add_u32 s10, s10, s12
	s_addc_u32 s11, s11, s13
	s_load_dword s10, s[10:11], 0x0
	s_waitcnt lgkmcnt(0)
	v_lshl_add_u32 v5, v4, 2, s10
	ds_read_b32 v5, v5
	s_waitcnt lgkmcnt(0)
	v_add_f32_e32 v22, v5, v22
	s_or_b64 exec, exec, s[8:9]
	s_and_saveexec_b64 s[8:9], vcc
	s_cbranch_execz .LBB189_627
.LBB189_712:
	s_ashr_i32 s25, s24, 31
	s_lshl_b64 s[10:11], s[24:25], 2
	s_getpc_b64 s[12:13]
	s_add_u32 s12, s12, llvm.amdgcn.dynlds.offset.table@rel32@lo+4
	s_addc_u32 s13, s13, llvm.amdgcn.dynlds.offset.table@rel32@hi+12
	s_add_u32 s10, s10, s12
	s_addc_u32 s11, s11, s13
	s_load_dword s10, s[10:11], 0x0
	s_waitcnt lgkmcnt(0)
	v_lshl_add_u32 v5, v4, 2, s10
	ds_read_b32 v5, v5 offset:64
	s_waitcnt lgkmcnt(0)
	v_add_f32_e32 v23, v5, v23
	s_or_b64 exec, exec, s[8:9]
	s_and_saveexec_b64 s[8:9], vcc
	s_cbranch_execz .LBB189_628
.LBB189_713:
	s_ashr_i32 s25, s24, 31
	s_lshl_b64 s[10:11], s[24:25], 2
	s_getpc_b64 s[12:13]
	s_add_u32 s12, s12, llvm.amdgcn.dynlds.offset.table@rel32@lo+4
	s_addc_u32 s13, s13, llvm.amdgcn.dynlds.offset.table@rel32@hi+12
	s_add_u32 s10, s10, s12
	s_addc_u32 s11, s11, s13
	s_load_dword s10, s[10:11], 0x0
	s_waitcnt lgkmcnt(0)
	v_lshl_add_u32 v5, v4, 2, s10
	ds_read_b32 v5, v5 offset:128
	s_waitcnt lgkmcnt(0)
	v_add_f32_e32 v16, v5, v16
	s_or_b64 exec, exec, s[8:9]
	s_and_saveexec_b64 s[8:9], vcc
	s_cbranch_execz .LBB189_629
.LBB189_714:
	s_ashr_i32 s25, s24, 31
	s_lshl_b64 s[10:11], s[24:25], 2
	s_getpc_b64 s[12:13]
	s_add_u32 s12, s12, llvm.amdgcn.dynlds.offset.table@rel32@lo+4
	s_addc_u32 s13, s13, llvm.amdgcn.dynlds.offset.table@rel32@hi+12
	s_add_u32 s10, s10, s12
	s_addc_u32 s11, s11, s13
	s_load_dword s10, s[10:11], 0x0
	s_waitcnt lgkmcnt(0)
	v_lshl_add_u32 v5, v4, 2, s10
	ds_read_b32 v5, v5 offset:192
	s_waitcnt lgkmcnt(0)
	v_add_f32_e32 v17, v5, v17
	s_or_b64 exec, exec, s[8:9]
	s_and_saveexec_b64 s[8:9], vcc
	s_cbranch_execz .LBB189_630
.LBB189_715:
	s_ashr_i32 s25, s24, 31
	s_lshl_b64 s[10:11], s[24:25], 2
	s_getpc_b64 s[12:13]
	s_add_u32 s12, s12, llvm.amdgcn.dynlds.offset.table@rel32@lo+4
	s_addc_u32 s13, s13, llvm.amdgcn.dynlds.offset.table@rel32@hi+12
	s_add_u32 s10, s10, s12
	s_addc_u32 s11, s11, s13
	s_load_dword s10, s[10:11], 0x0
	s_waitcnt lgkmcnt(0)
	v_lshl_add_u32 v5, v4, 2, s10
	ds_read_b32 v5, v5 offset:256
	s_waitcnt lgkmcnt(0)
	v_add_f32_e32 v14, v5, v14
	s_or_b64 exec, exec, s[8:9]
	s_and_saveexec_b64 s[8:9], vcc
	s_cbranch_execz .LBB189_631
.LBB189_716:
	s_ashr_i32 s25, s24, 31
	s_lshl_b64 s[10:11], s[24:25], 2
	s_getpc_b64 s[12:13]
	s_add_u32 s12, s12, llvm.amdgcn.dynlds.offset.table@rel32@lo+4
	s_addc_u32 s13, s13, llvm.amdgcn.dynlds.offset.table@rel32@hi+12
	s_add_u32 s10, s10, s12
	s_addc_u32 s11, s11, s13
	s_load_dword s10, s[10:11], 0x0
	s_waitcnt lgkmcnt(0)
	v_lshl_add_u32 v5, v4, 2, s10
	ds_read_b32 v5, v5 offset:320
	s_waitcnt lgkmcnt(0)
	v_add_f32_e32 v15, v5, v15
	s_or_b64 exec, exec, s[8:9]
	s_and_saveexec_b64 s[8:9], vcc
	s_cbranch_execz .LBB189_632
.LBB189_717:
	s_ashr_i32 s25, s24, 31
	s_lshl_b64 s[10:11], s[24:25], 2
	s_getpc_b64 s[12:13]
	s_add_u32 s12, s12, llvm.amdgcn.dynlds.offset.table@rel32@lo+4
	s_addc_u32 s13, s13, llvm.amdgcn.dynlds.offset.table@rel32@hi+12
	s_add_u32 s10, s10, s12
	s_addc_u32 s11, s11, s13
	s_load_dword s10, s[10:11], 0x0
	s_waitcnt lgkmcnt(0)
	v_lshl_add_u32 v5, v4, 2, s10
	ds_read_b32 v5, v5 offset:384
	s_waitcnt lgkmcnt(0)
	v_add_f32_e32 v10, v5, v10
	s_or_b64 exec, exec, s[8:9]
	s_and_saveexec_b64 s[8:9], vcc
	s_cbranch_execz .LBB189_633
.LBB189_718:
	s_ashr_i32 s25, s24, 31
	s_lshl_b64 s[10:11], s[24:25], 2
	s_getpc_b64 s[12:13]
	s_add_u32 s12, s12, llvm.amdgcn.dynlds.offset.table@rel32@lo+4
	s_addc_u32 s13, s13, llvm.amdgcn.dynlds.offset.table@rel32@hi+12
	s_add_u32 s10, s10, s12
	s_addc_u32 s11, s11, s13
	s_load_dword s10, s[10:11], 0x0
	s_waitcnt lgkmcnt(0)
	v_lshl_add_u32 v5, v4, 2, s10
	ds_read_b32 v5, v5 offset:448
	s_waitcnt lgkmcnt(0)
	v_add_f32_e32 v11, v5, v11
	s_or_b64 exec, exec, s[8:9]
	s_and_saveexec_b64 s[8:9], vcc
	s_cbranch_execz .LBB189_634
.LBB189_719:
	s_ashr_i32 s25, s24, 31
	s_lshl_b64 s[10:11], s[24:25], 2
	s_getpc_b64 s[12:13]
	s_add_u32 s12, s12, llvm.amdgcn.dynlds.offset.table@rel32@lo+4
	s_addc_u32 s13, s13, llvm.amdgcn.dynlds.offset.table@rel32@hi+12
	s_add_u32 s10, s10, s12
	s_addc_u32 s11, s11, s13
	s_load_dword s10, s[10:11], 0x0
	s_waitcnt lgkmcnt(0)
	v_lshl_add_u32 v5, v4, 2, s10
	ds_read_b32 v5, v5 offset:512
	s_waitcnt lgkmcnt(0)
	v_add_f32_e32 v8, v5, v8
	s_or_b64 exec, exec, s[8:9]
	s_and_saveexec_b64 s[8:9], vcc
	s_cbranch_execz .LBB189_635
.LBB189_720:
	s_ashr_i32 s25, s24, 31
	s_lshl_b64 s[10:11], s[24:25], 2
	s_getpc_b64 s[12:13]
	s_add_u32 s12, s12, llvm.amdgcn.dynlds.offset.table@rel32@lo+4
	s_addc_u32 s13, s13, llvm.amdgcn.dynlds.offset.table@rel32@hi+12
	s_add_u32 s10, s10, s12
	s_addc_u32 s11, s11, s13
	s_load_dword s10, s[10:11], 0x0
	s_waitcnt lgkmcnt(0)
	v_lshl_add_u32 v5, v4, 2, s10
	ds_read_b32 v5, v5 offset:576
	s_waitcnt lgkmcnt(0)
	v_add_f32_e32 v9, v5, v9
	s_or_b64 exec, exec, s[8:9]
	s_and_saveexec_b64 s[8:9], vcc
	s_cbranch_execz .LBB189_636
.LBB189_721:
	s_ashr_i32 s25, s24, 31
	s_lshl_b64 s[10:11], s[24:25], 2
	s_getpc_b64 s[12:13]
	s_add_u32 s12, s12, llvm.amdgcn.dynlds.offset.table@rel32@lo+4
	s_addc_u32 s13, s13, llvm.amdgcn.dynlds.offset.table@rel32@hi+12
	s_add_u32 s10, s10, s12
	s_addc_u32 s11, s11, s13
	s_load_dword s10, s[10:11], 0x0
	s_waitcnt lgkmcnt(0)
	v_lshl_add_u32 v5, v4, 2, s10
	ds_read_b32 v5, v5 offset:640
	s_waitcnt lgkmcnt(0)
	v_add_f32_e32 v6, v5, v6
	s_or_b64 exec, exec, s[8:9]
	s_and_saveexec_b64 s[8:9], vcc
	s_cbranch_execz .LBB189_637
.LBB189_722:
	s_ashr_i32 s25, s24, 31
	s_lshl_b64 s[10:11], s[24:25], 2
	s_getpc_b64 s[12:13]
	s_add_u32 s12, s12, llvm.amdgcn.dynlds.offset.table@rel32@lo+4
	s_addc_u32 s13, s13, llvm.amdgcn.dynlds.offset.table@rel32@hi+12
	s_add_u32 s10, s10, s12
	s_addc_u32 s11, s11, s13
	s_load_dword s10, s[10:11], 0x0
	s_waitcnt lgkmcnt(0)
	v_lshl_add_u32 v5, v4, 2, s10
	ds_read_b32 v5, v5 offset:704
	s_waitcnt lgkmcnt(0)
	v_add_f32_e32 v7, v5, v7
	s_or_b64 exec, exec, s[8:9]
	s_and_saveexec_b64 s[8:9], vcc
	s_cbranch_execz .LBB189_638
.LBB189_723:
	s_ashr_i32 s25, s24, 31
	s_lshl_b64 s[10:11], s[24:25], 2
	s_getpc_b64 s[12:13]
	s_add_u32 s12, s12, llvm.amdgcn.dynlds.offset.table@rel32@lo+4
	s_addc_u32 s13, s13, llvm.amdgcn.dynlds.offset.table@rel32@hi+12
	s_add_u32 s10, s10, s12
	s_addc_u32 s11, s11, s13
	s_load_dword s10, s[10:11], 0x0
	s_waitcnt lgkmcnt(0)
	v_lshl_add_u32 v5, v4, 2, s10
	ds_read_b32 v5, v5 offset:768
	s_waitcnt lgkmcnt(0)
	v_add_f32_e32 v0, v5, v0
	s_or_b64 exec, exec, s[8:9]
	s_and_saveexec_b64 s[8:9], vcc
	s_cbranch_execz .LBB189_639
.LBB189_724:
	s_ashr_i32 s25, s24, 31
	s_lshl_b64 s[10:11], s[24:25], 2
	s_getpc_b64 s[12:13]
	s_add_u32 s12, s12, llvm.amdgcn.dynlds.offset.table@rel32@lo+4
	s_addc_u32 s13, s13, llvm.amdgcn.dynlds.offset.table@rel32@hi+12
	s_add_u32 s10, s10, s12
	s_addc_u32 s11, s11, s13
	s_load_dword s10, s[10:11], 0x0
	s_waitcnt lgkmcnt(0)
	v_lshl_add_u32 v5, v4, 2, s10
	ds_read_b32 v5, v5 offset:832
	s_waitcnt lgkmcnt(0)
	v_add_f32_e32 v1, v5, v1
	s_or_b64 exec, exec, s[8:9]
	s_and_saveexec_b64 s[8:9], vcc
	s_cbranch_execz .LBB189_640
.LBB189_725:
	s_ashr_i32 s25, s24, 31
	s_lshl_b64 s[10:11], s[24:25], 2
	s_getpc_b64 s[12:13]
	s_add_u32 s12, s12, llvm.amdgcn.dynlds.offset.table@rel32@lo+4
	s_addc_u32 s13, s13, llvm.amdgcn.dynlds.offset.table@rel32@hi+12
	s_add_u32 s10, s10, s12
	s_addc_u32 s11, s11, s13
	s_load_dword s10, s[10:11], 0x0
	s_waitcnt lgkmcnt(0)
	v_lshl_add_u32 v5, v4, 2, s10
	ds_read_b32 v5, v5 offset:896
	s_waitcnt lgkmcnt(0)
	v_add_f32_e32 v2, v5, v2
	s_or_b64 exec, exec, s[8:9]
	s_and_saveexec_b64 s[8:9], vcc
	s_cbranch_execnz .LBB189_641
	s_branch .LBB189_642
.Lfunc_end189:
	.size	_ZN4vllm22paged_attention_kernelI14__hip_bfloat16S1_Li256ELi32ELi128ELNS_18Fp8KVCacheDataTypeE0ELb0ELi512EEEvPfS3_PT_PKS4_PKT0_SA_ifPKiSC_iPKfiiiSE_SE_iiiii, .Lfunc_end189-_ZN4vllm22paged_attention_kernelI14__hip_bfloat16S1_Li256ELi32ELi128ELNS_18Fp8KVCacheDataTypeE0ELb0ELi512EEEvPfS3_PT_PKS4_PKT0_SA_ifPKiSC_iPKfiiiSE_SE_iiiii
                                        ; -- End function
	.section	.AMDGPU.csdata,"",@progbits
; Function info:
; codeLenInByte = 32852
; NumSgprs: 43
; NumVgprs: 64
; NumAgprs: 64
; TotalNumVgprs: 128
; ScratchSize: 620
; MemoryBound: 0
	.section	.text._ZN4vllm25paged_attention_v2_kernelI14__hip_bfloat16S1_Li256ELi32ELi128ELNS_18Fp8KVCacheDataTypeE0ELb0ELi512EEEvPfS3_PT_PKS4_PKT0_SA_ifPKiSC_iPKfiiiSE_SE_iiiii,"axG",@progbits,_ZN4vllm25paged_attention_v2_kernelI14__hip_bfloat16S1_Li256ELi32ELi128ELNS_18Fp8KVCacheDataTypeE0ELb0ELi512EEEvPfS3_PT_PKS4_PKT0_SA_ifPKiSC_iPKfiiiSE_SE_iiiii,comdat
	.protected	_ZN4vllm25paged_attention_v2_kernelI14__hip_bfloat16S1_Li256ELi32ELi128ELNS_18Fp8KVCacheDataTypeE0ELb0ELi512EEEvPfS3_PT_PKS4_PKT0_SA_ifPKiSC_iPKfiiiSE_SE_iiiii ; -- Begin function _ZN4vllm25paged_attention_v2_kernelI14__hip_bfloat16S1_Li256ELi32ELi128ELNS_18Fp8KVCacheDataTypeE0ELb0ELi512EEEvPfS3_PT_PKS4_PKT0_SA_ifPKiSC_iPKfiiiSE_SE_iiiii
	.globl	_ZN4vllm25paged_attention_v2_kernelI14__hip_bfloat16S1_Li256ELi32ELi128ELNS_18Fp8KVCacheDataTypeE0ELb0ELi512EEEvPfS3_PT_PKS4_PKT0_SA_ifPKiSC_iPKfiiiSE_SE_iiiii
	.p2align	8
	.type	_ZN4vllm25paged_attention_v2_kernelI14__hip_bfloat16S1_Li256ELi32ELi128ELNS_18Fp8KVCacheDataTypeE0ELb0ELi512EEEvPfS3_PT_PKS4_PKT0_SA_ifPKiSC_iPKfiiiSE_SE_iiiii,@function
_ZN4vllm25paged_attention_v2_kernelI14__hip_bfloat16S1_Li256ELi32ELi128ELNS_18Fp8KVCacheDataTypeE0ELb0ELi512EEEvPfS3_PT_PKS4_PKT0_SA_ifPKiSC_iPKfiiiSE_SE_iiiii: ; @_ZN4vllm25paged_attention_v2_kernelI14__hip_bfloat16S1_Li256ELi32ELi128ELNS_18Fp8KVCacheDataTypeE0ELb0ELi512EEEvPfS3_PT_PKS4_PKT0_SA_ifPKiSC_iPKfiiiSE_SE_iiiii
; %bb.0:
	s_add_u32 flat_scratch_lo, s6, s11
	s_addc_u32 flat_scratch_hi, s7, 0
	s_add_u32 s0, s0, s11
	s_load_dwordx8 s[24:31], s[4:5], 0x0
	s_load_dwordx8 s[16:23], s[4:5], 0x20
	s_load_dwordx2 s[6:7], s[4:5], 0x40
	s_load_dwordx2 s[34:35], s[4:5], 0x50
	s_load_dword s11, s[4:5], 0x48
	s_load_dwordx4 s[36:39], s[4:5], 0x58
	s_addc_u32 s1, s1, 0
	s_mov_b32 s12, s8
	s_add_u32 s8, s4, 0x90
	s_mov_b32 s13, s9
	s_addc_u32 s9, s5, 0
	s_mov_b32 s14, s10
	s_mov_b32 s15, 0
	v_mov_b32_e32 v31, v0
	s_waitcnt lgkmcnt(0)
	v_mov_b32_e32 v0, s24
	v_mov_b32_e32 v1, s25
	;; [unrolled: 1-line block ×24, first 2 shown]
	s_mov_b32 s32, 0
	s_getpc_b64 s[4:5]
	s_add_u32 s4, s4, _ZN4vllm22paged_attention_kernelI14__hip_bfloat16S1_Li256ELi32ELi128ELNS_18Fp8KVCacheDataTypeE0ELb0ELi512EEEvPfS3_PT_PKS4_PKT0_SA_ifPKiSC_iPKfiiiSE_SE_iiiii@rel32@lo+4
	s_addc_u32 s5, s5, _ZN4vllm22paged_attention_kernelI14__hip_bfloat16S1_Li256ELi32ELi128ELNS_18Fp8KVCacheDataTypeE0ELb0ELi512EEEvPfS3_PT_PKS4_PKT0_SA_ifPKiSC_iPKfiiiSE_SE_iiiii@rel32@hi+12
	s_swappc_b64 s[30:31], s[4:5]
	s_endpgm
	.section	.rodata,"a",@progbits
	.p2align	6, 0x0
	.amdhsa_kernel _ZN4vllm25paged_attention_v2_kernelI14__hip_bfloat16S1_Li256ELi32ELi128ELNS_18Fp8KVCacheDataTypeE0ELb0ELi512EEEvPfS3_PT_PKS4_PKT0_SA_ifPKiSC_iPKfiiiSE_SE_iiiii
		.amdhsa_group_segment_fixed_size 528
		.amdhsa_private_segment_fixed_size 620
		.amdhsa_kernarg_size 400
		.amdhsa_user_sgpr_count 8
		.amdhsa_user_sgpr_private_segment_buffer 1
		.amdhsa_user_sgpr_dispatch_ptr 0
		.amdhsa_user_sgpr_queue_ptr 0
		.amdhsa_user_sgpr_kernarg_segment_ptr 1
		.amdhsa_user_sgpr_dispatch_id 0
		.amdhsa_user_sgpr_flat_scratch_init 1
		.amdhsa_user_sgpr_kernarg_preload_length 0
		.amdhsa_user_sgpr_kernarg_preload_offset 0
		.amdhsa_user_sgpr_private_segment_size 0
		.amdhsa_uses_dynamic_stack 0
		.amdhsa_system_sgpr_private_segment_wavefront_offset 1
		.amdhsa_system_sgpr_workgroup_id_x 1
		.amdhsa_system_sgpr_workgroup_id_y 1
		.amdhsa_system_sgpr_workgroup_id_z 1
		.amdhsa_system_sgpr_workgroup_info 0
		.amdhsa_system_vgpr_workitem_id 0
		.amdhsa_next_free_vgpr 128
		.amdhsa_next_free_sgpr 40
		.amdhsa_accum_offset 64
		.amdhsa_reserve_vcc 1
		.amdhsa_reserve_flat_scratch 1
		.amdhsa_float_round_mode_32 0
		.amdhsa_float_round_mode_16_64 0
		.amdhsa_float_denorm_mode_32 3
		.amdhsa_float_denorm_mode_16_64 3
		.amdhsa_dx10_clamp 1
		.amdhsa_ieee_mode 1
		.amdhsa_fp16_overflow 0
		.amdhsa_tg_split 0
		.amdhsa_exception_fp_ieee_invalid_op 0
		.amdhsa_exception_fp_denorm_src 0
		.amdhsa_exception_fp_ieee_div_zero 0
		.amdhsa_exception_fp_ieee_overflow 0
		.amdhsa_exception_fp_ieee_underflow 0
		.amdhsa_exception_fp_ieee_inexact 0
		.amdhsa_exception_int_div_zero 0
	.end_amdhsa_kernel
	.section	.text._ZN4vllm25paged_attention_v2_kernelI14__hip_bfloat16S1_Li256ELi32ELi128ELNS_18Fp8KVCacheDataTypeE0ELb0ELi512EEEvPfS3_PT_PKS4_PKT0_SA_ifPKiSC_iPKfiiiSE_SE_iiiii,"axG",@progbits,_ZN4vllm25paged_attention_v2_kernelI14__hip_bfloat16S1_Li256ELi32ELi128ELNS_18Fp8KVCacheDataTypeE0ELb0ELi512EEEvPfS3_PT_PKS4_PKT0_SA_ifPKiSC_iPKfiiiSE_SE_iiiii,comdat
.Lfunc_end190:
	.size	_ZN4vllm25paged_attention_v2_kernelI14__hip_bfloat16S1_Li256ELi32ELi128ELNS_18Fp8KVCacheDataTypeE0ELb0ELi512EEEvPfS3_PT_PKS4_PKT0_SA_ifPKiSC_iPKfiiiSE_SE_iiiii, .Lfunc_end190-_ZN4vllm25paged_attention_v2_kernelI14__hip_bfloat16S1_Li256ELi32ELi128ELNS_18Fp8KVCacheDataTypeE0ELb0ELi512EEEvPfS3_PT_PKS4_PKT0_SA_ifPKiSC_iPKfiiiSE_SE_iiiii
                                        ; -- End function
	.section	.AMDGPU.csdata,"",@progbits
; Kernel info:
; codeLenInByte = 228
; NumSgprs: 46
; NumVgprs: 64
; NumAgprs: 64
; TotalNumVgprs: 128
; ScratchSize: 620
; MemoryBound: 0
; FloatMode: 240
; IeeeMode: 1
; LDSByteSize: 528 bytes/workgroup (compile time only)
; SGPRBlocks: 5
; VGPRBlocks: 15
; NumSGPRsForWavesPerEU: 46
; NumVGPRsForWavesPerEU: 128
; AccumOffset: 64
; Occupancy: 4
; WaveLimiterHint : 1
; COMPUTE_PGM_RSRC2:SCRATCH_EN: 1
; COMPUTE_PGM_RSRC2:USER_SGPR: 8
; COMPUTE_PGM_RSRC2:TRAP_HANDLER: 0
; COMPUTE_PGM_RSRC2:TGID_X_EN: 1
; COMPUTE_PGM_RSRC2:TGID_Y_EN: 1
; COMPUTE_PGM_RSRC2:TGID_Z_EN: 1
; COMPUTE_PGM_RSRC2:TIDIG_COMP_CNT: 0
; COMPUTE_PGM_RSRC3_GFX90A:ACCUM_OFFSET: 15
; COMPUTE_PGM_RSRC3_GFX90A:TG_SPLIT: 0
	.section	.text._ZN4vllm25paged_attention_v2_kernelIfhLi32ELi8ELi128ELNS_18Fp8KVCacheDataTypeE1ELb1ELi512EEEvPfS2_PT_PKS3_PKT0_S9_ifPKiSB_iPKfiiiSD_SD_iiiii,"axG",@progbits,_ZN4vllm25paged_attention_v2_kernelIfhLi32ELi8ELi128ELNS_18Fp8KVCacheDataTypeE1ELb1ELi512EEEvPfS2_PT_PKS3_PKT0_S9_ifPKiSB_iPKfiiiSD_SD_iiiii,comdat
	.protected	_ZN4vllm25paged_attention_v2_kernelIfhLi32ELi8ELi128ELNS_18Fp8KVCacheDataTypeE1ELb1ELi512EEEvPfS2_PT_PKS3_PKT0_S9_ifPKiSB_iPKfiiiSD_SD_iiiii ; -- Begin function _ZN4vllm25paged_attention_v2_kernelIfhLi32ELi8ELi128ELNS_18Fp8KVCacheDataTypeE1ELb1ELi512EEEvPfS2_PT_PKS3_PKT0_S9_ifPKiSB_iPKfiiiSD_SD_iiiii
	.globl	_ZN4vllm25paged_attention_v2_kernelIfhLi32ELi8ELi128ELNS_18Fp8KVCacheDataTypeE1ELb1ELi512EEEvPfS2_PT_PKS3_PKT0_S9_ifPKiSB_iPKfiiiSD_SD_iiiii
	.p2align	8
	.type	_ZN4vllm25paged_attention_v2_kernelIfhLi32ELi8ELi128ELNS_18Fp8KVCacheDataTypeE1ELb1ELi512EEEvPfS2_PT_PKS3_PKT0_S9_ifPKiSB_iPKfiiiSD_SD_iiiii,@function
_ZN4vllm25paged_attention_v2_kernelIfhLi32ELi8ELi128ELNS_18Fp8KVCacheDataTypeE1ELb1ELi512EEEvPfS2_PT_PKS3_PKT0_S9_ifPKiSB_iPKfiiiSD_SD_iiiii: ; @_ZN4vllm25paged_attention_v2_kernelIfhLi32ELi8ELi128ELNS_18Fp8KVCacheDataTypeE1ELb1ELi512EEEvPfS2_PT_PKS3_PKT0_S9_ifPKiSB_iPKfiiiSD_SD_iiiii
; %bb.0:
	s_load_dwordx2 s[0:1], s[4:5], 0x40
	s_mov_b32 s34, s7
	s_ashr_i32 s35, s7, 31
	s_lshl_b64 s[2:3], s[34:35], 2
	s_waitcnt lgkmcnt(0)
	s_add_u32 s0, s0, s2
	s_addc_u32 s1, s1, s3
	s_load_dword s33, s[0:1], 0x0
	s_lshl_b32 s55, s8, 9
	s_waitcnt lgkmcnt(0)
	s_cmp_ge_i32 s55, s33
	s_cbranch_scc1 .LBB191_109
; %bb.1:
	s_load_dword s9, s[4:5], 0x90
	s_load_dwordx2 s[42:43], s[4:5], 0x30
	s_mov_b32 s56, 0
	s_waitcnt lgkmcnt(0)
	s_abs_i32 s2, s9
	s_abs_i32 s0, s42
	v_cvt_f32_u32_e32 v1, s0
	s_sub_i32 s3, 0, s0
	s_xor_b32 s1, s9, s42
	s_ashr_i32 s1, s1, 31
	v_rcp_iflag_f32_e32 v1, v1
	v_mul_f32_e32 v1, 0x4f7ffffe, v1
	v_cvt_u32_f32_e32 v1, v1
	v_readfirstlane_b32 s7, v1
	s_mul_i32 s3, s3, s7
	s_mul_hi_u32 s3, s7, s3
	s_add_i32 s7, s7, s3
	s_mul_hi_u32 s3, s2, s7
	s_mul_i32 s7, s3, s0
	s_sub_i32 s2, s2, s7
	s_add_i32 s10, s3, 1
	s_sub_i32 s7, s2, s0
	s_cmp_ge_u32 s2, s0
	s_cselect_b32 s3, s10, s3
	s_cselect_b32 s2, s7, s2
	s_add_i32 s7, s3, 1
	s_cmp_ge_u32 s2, s0
	s_cselect_b32 s0, s7, s3
	s_xor_b32 s0, s0, s1
	s_sub_i32 s11, s0, s1
	s_abs_i32 s2, s11
	v_cvt_f32_u32_e32 v1, s2
	s_load_dwordx2 s[0:1], s[4:5], 0x50
	s_sub_i32 s7, 0, s2
	s_abs_i32 s3, s6
	v_rcp_iflag_f32_e32 v1, v1
	v_mul_f32_e32 v1, 0x4f7ffffe, v1
	v_cvt_u32_f32_e32 v1, v1
	v_readfirstlane_b32 s10, v1
	s_mul_i32 s7, s7, s10
	s_mul_hi_u32 s7, s10, s7
	s_add_i32 s10, s10, s7
	s_waitcnt lgkmcnt(0)
	s_cmp_eq_u64 s[0:1], 0
	s_mul_hi_u32 s10, s3, s10
	s_cbranch_scc1 .LBB191_3
; %bb.2:
	s_ashr_i32 s7, s6, 31
	s_lshl_b64 s[12:13], s[6:7], 2
	s_add_u32 s0, s0, s12
	s_addc_u32 s1, s1, s13
	s_load_dword s56, s[0:1], 0x0
.LBB191_3:
	s_load_dwordx4 s[16:19], s[4:5], 0x58
	s_ashr_i32 s7, s6, 31
	s_ashr_i32 s11, s11, 31
	v_and_b32_e32 v8, 7, v0
	s_lshl_b32 s28, s6, 5
	v_cmp_gt_u32_e32 vcc, 32, v0
	v_lshlrev_b32_e32 v9, 2, v0
	s_and_saveexec_b64 s[0:1], vcc
	s_cbranch_execz .LBB191_5
; %bb.4:
	s_load_dwordx2 s[12:13], s[4:5], 0x18
	s_waitcnt lgkmcnt(0)
	s_mul_i32 s14, s34, s16
	s_ashr_i32 s15, s14, 31
	s_lshl_b64 s[14:15], s[14:15], 2
	v_lshrrev_b32_e32 v2, 1, v0
	s_add_u32 s14, s12, s14
	s_addc_u32 s15, s13, s15
	s_ashr_i32 s29, s28, 31
	s_lshl_b64 s[12:13], s[28:29], 2
	s_add_u32 s12, s14, s12
	s_addc_u32 s13, s15, s13
	global_load_dword v1, v9, s[12:13]
	v_and_b32_e32 v2, 0x1fc, v2
	v_lshl_add_u32 v2, v8, 4, v2
	s_waitcnt vmcnt(0)
	ds_write_b32 v2, v1
.LBB191_5:
	s_or_b64 exec, exec, s[0:1]
	s_mul_i32 s1, s10, s2
	s_sub_i32 s1, s3, s1
	s_xor_b32 s0, s7, s11
	s_add_i32 s3, s10, 1
	s_sub_i32 s7, s1, s2
	s_load_dwordx4 s[20:23], s[4:5], 0x78
	s_cmp_ge_u32 s1, s2
	s_cselect_b32 s3, s3, s10
	s_load_dword s10, s[4:5], 0x88
	s_cselect_b32 s1, s7, s1
	s_add_i32 s7, s3, 1
	s_cmp_ge_u32 s1, s2
	s_cselect_b32 s1, s7, s3
	s_waitcnt lgkmcnt(0)
	s_abs_i32 s29, s23
	v_cvt_f32_u32_e32 v1, s29
	s_xor_b32 s1, s1, s0
	s_sub_i32 s2, s1, s0
	s_sub_i32 s0, 0, s29
	v_rcp_iflag_f32_e32 v1, v1
	s_add_i32 s11, s33, -1
	s_abs_i32 s3, s11
	v_mul_f32_e32 v1, 0x4f7ffffe, v1
	v_cvt_u32_f32_e32 v1, v1
	s_barrier
	v_readfirstlane_b32 s52, v1
	s_mul_i32 s0, s0, s52
	s_mul_hi_u32 s0, s52, s0
	s_add_i32 s52, s52, s0
	s_cmp_lt_i32 s10, 0
	s_mul_hi_u32 s7, s3, s52
	s_cbranch_scc0 .LBB191_7
; %bb.6:
	s_mul_i32 s0, s20, s42
	s_add_i32 s0, s2, s0
	s_mul_i32 s0, s0, s10
	s_sub_i32 s42, 1, s0
	s_mov_b64 s[0:1], 0
	s_branch .LBB191_8
.LBB191_7:
	s_mov_b64 s[0:1], -1
                                        ; implicit-def: $sgpr42
.LBB191_8:
	s_load_dwordx2 s[36:37], s[4:5], 0x38
	s_ashr_i32 s11, s11, 31
	s_andn2_b64 vcc, exec, s[0:1]
	s_ashr_i32 s53, s23, 31
	s_cbranch_vccnz .LBB191_10
; %bb.9:
	s_mul_i32 s0, s9, s20
	s_add_i32 s0, s0, s6
	s_mul_i32 s0, s0, s10
	s_add_i32 s42, s0, 1
.LBB191_10:
	s_load_dwordx2 s[40:41], s[4:5], 0x28
	s_load_dword s0, s[4:5], 0x48
	s_load_dwordx4 s[24:27], s[4:5], 0x0
	s_load_dwordx2 s[30:31], s[4:5], 0x10
	s_load_dword s35, s[4:5], 0x98
	s_load_dwordx4 s[12:15], s[4:5], 0x68
	s_mul_i32 s1, s7, s29
	s_waitcnt lgkmcnt(0)
	s_mul_i32 s38, s34, s0
	s_sub_i32 s1, s3, s1
	s_ashr_i32 s39, s38, 31
	s_xor_b32 s0, s11, s53
	s_add_i32 s3, s7, 1
	s_sub_i32 s10, s1, s29
	s_cmp_ge_u32 s1, s29
	s_cselect_b32 s3, s3, s7
	s_cselect_b32 s1, s10, s1
	s_add_i32 s7, s3, 1
	s_cmp_ge_u32 s1, s29
	s_cselect_b32 s1, s7, s3
	s_xor_b32 s1, s1, s0
	s_sub_i32 s7, s1, s0
	s_add_i32 s0, s33, 7
	s_ashr_i32 s1, s0, 31
	s_lshr_b32 s1, s1, 29
	s_add_i32 s0, s0, s1
	s_lshl_b32 s23, s8, 6
	s_ashr_i32 s16, s0, 3
	s_add_i32 s0, s23, 64
	v_lshrrev_b32_e32 v17, 6, v0
	s_min_i32 s54, s0, s16
	v_or_b32_e32 v6, s23, v17
	v_cmp_gt_i32_e64 s[0:1], s54, v6
	v_mov_b32_e32 v21, 0xff7fffff
	s_mul_i32 s20, s2, s18
	v_ashrrev_i32_e32 v7, 31, v6
	v_lshl_add_u32 v1, v17, 3, s55
	v_mbcnt_lo_u32_b32 v18, -1, 0
	s_and_saveexec_b64 s[18:19], s[0:1]
	s_cbranch_execz .LBB191_44
; %bb.11:
	s_load_dwordx2 s[2:3], s[4:5], 0x20
	s_sub_i32 s57, s7, s21
	s_ashr_i32 s4, s20, 31
	v_bfe_u32 v19, v0, 3, 3
	v_lshlrev_b32_e32 v3, 4, v19
	s_waitcnt lgkmcnt(0)
	s_add_u32 s2, s2, s20
	s_addc_u32 s3, s3, s4
	s_abs_i32 s58, s22
	v_cvt_f32_u32_e32 v2, s58
	s_sub_i32 s4, 0, s58
	v_mov_b32_e32 v4, s3
	v_add_co_u32_e64 v10, s[2:3], s2, v3
	v_rcp_iflag_f32_e32 v2, v2
	v_addc_co_u32_e64 v11, s[2:3], 0, v4, s[2:3]
	v_cmp_eq_u32_e32 vcc, 0, v8
	v_mul_f32_e32 v2, 0x4f7ffffe, v2
	v_cvt_u32_f32_e32 v2, v2
	s_mov_b32 s59, s17
	v_lshlrev_b32_e32 v20, 4, v8
	v_cmp_neq_f32_e64 s[2:3], s56, 0
	v_mul_lo_u32 v3, s4, v2
	s_lshl_b64 s[4:5], s[38:39], 2
	v_mul_hi_u32 v3, v2, v3
	s_add_u32 s4, s36, s4
	v_add_u32_e32 v22, v2, v3
	v_lshlrev_b64 v[2:3], 2, v[6:7]
	s_addc_u32 s5, s37, s5
	v_mov_b32_e32 v4, s5
	v_add_co_u32_e64 v12, s[4:5], s4, v2
	v_lshlrev_b32_e32 v2, 2, v19
	v_lshl_or_b32 v2, v17, 5, v2
	v_add_u32_e32 v24, 0x90, v2
	v_subrev_u32_e32 v2, s33, v19
	v_addc_co_u32_e64 v13, s[4:5], v4, v3, s[4:5]
	v_lshl_add_u32 v23, v17, 3, s55
	v_add_u32_e32 v25, 1, v2
	s_mov_b64 s[44:45], 0
	v_mov_b32_e32 v26, 0xff7fffff
	s_movk_i32 s60, 0x80
	s_movk_i32 s61, 0x7f
	v_bfrev_b32_e32 v27, 60
	v_mbcnt_hi_u32_b32 v28, -1, v18
	v_mov_b32_e32 v21, 0xff7fffff
	v_mov_b32_e32 v29, v6
	s_branch .LBB191_14
.LBB191_12:                             ;   in Loop: Header=BB191_14 Depth=1
	s_or_b64 exec, exec, s[46:47]
.LBB191_13:                             ;   in Loop: Header=BB191_14 Depth=1
	s_or_b64 exec, exec, s[10:11]
	v_add_co_u32_e64 v12, s[4:5], 8, v12
	v_add_u32_e32 v29, 2, v29
	v_addc_co_u32_e64 v13, s[4:5], 0, v13, s[4:5]
	v_cmp_le_i32_e64 s[4:5], s54, v29
	v_add_u32_e32 v23, 16, v23
	s_or_b64 s[44:45], s[4:5], s[44:45]
	v_add_u32_e32 v24, 64, v24
	s_andn2_b64 exec, exec, s[44:45]
	s_cbranch_execz .LBB191_43
.LBB191_14:                             ; =>This Inner Loop Header: Depth=1
	s_waitcnt lgkmcnt(0)
	v_sub_u32_e32 v3, 0, v23
	v_max_i32_e32 v3, v23, v3
	v_mul_hi_u32 v4, v3, s52
	v_mul_lo_u32 v5, v4, s29
	v_sub_u32_e32 v3, v3, v5
	v_add_u32_e32 v5, 1, v4
	v_cmp_le_u32_e64 s[4:5], s29, v3
	v_cndmask_b32_e64 v4, v4, v5, s[4:5]
	v_subrev_u32_e32 v5, s29, v3
	v_cndmask_b32_e64 v3, v3, v5, s[4:5]
	v_ashrrev_i32_e32 v2, 31, v23
	v_add_u32_e32 v5, 1, v4
	v_cmp_le_u32_e64 s[4:5], s29, v3
	v_xor_b32_e32 v2, s53, v2
	v_cndmask_b32_e64 v3, v4, v5, s[4:5]
	v_xor_b32_e32 v3, v3, v2
	v_sub_u32_e32 v2, v3, v2
	v_add_u32_e32 v3, s42, v2
	v_sub_u32_e32 v5, 0, v3
	v_ashrrev_i32_e32 v4, 31, v3
	v_max_i32_e32 v3, v3, v5
	v_mul_hi_u32 v5, v3, v22
	v_mul_lo_u32 v5, v5, s58
	v_sub_u32_e32 v3, v3, v5
	v_subrev_u32_e32 v5, s58, v3
	v_cmp_le_u32_e64 s[4:5], s58, v3
	v_cndmask_b32_e64 v3, v3, v5, s[4:5]
	v_subrev_u32_e32 v5, s58, v3
	v_cmp_le_u32_e64 s[4:5], s58, v3
	v_cndmask_b32_e64 v3, v3, v5, s[4:5]
	v_xor_b32_e32 v3, v3, v4
	v_sub_u32_e32 v3, v3, v4
	v_cmp_ne_u32_e64 s[4:5], 0, v3
	v_cmp_ge_i32_e64 s[10:11], s57, v2
	s_and_b64 s[4:5], s[4:5], s[10:11]
	s_and_b64 s[46:47], vcc, s[4:5]
	s_and_saveexec_b64 s[10:11], s[46:47]
	s_cbranch_execz .LBB191_16
; %bb.15:                               ;   in Loop: Header=BB191_14 Depth=1
	ds_write_b32 v24, v26
.LBB191_16:                             ;   in Loop: Header=BB191_14 Depth=1
	s_or_b64 exec, exec, s[10:11]
	s_xor_b64 s[4:5], s[4:5], -1
	s_and_saveexec_b64 s[10:11], s[4:5]
	s_cbranch_execz .LBB191_13
; %bb.17:                               ;   in Loop: Header=BB191_14 Depth=1
	global_load_dword v2, v[12:13], off
	s_load_dword s62, s[12:13], 0x0
	v_mov_b32_e32 v30, 0
	v_mov_b32_e32 v31, 0
	s_waitcnt vmcnt(0)
	v_mad_i64_i32 v[2:3], s[4:5], v2, s59, v[10:11]
	v_add_co_u32_e64 v14, s[4:5], v2, v8
	v_addc_co_u32_e64 v15, s[4:5], 0, v3, s[4:5]
	global_load_ubyte v32, v[14:15], off
	ds_read_b128 v[2:5], v20
	s_waitcnt vmcnt(0)
	v_cmp_ne_u16_e64 s[4:5], 0, v32
	s_and_saveexec_b64 s[46:47], s[4:5]
	s_cbranch_execz .LBB191_23
; %bb.18:                               ;   in Loop: Header=BB191_14 Depth=1
	v_cmp_ne_u16_e64 s[4:5], s60, v32
	v_bfrev_b32_e32 v31, 1
	s_and_saveexec_b64 s[48:49], s[4:5]
	s_cbranch_execz .LBB191_22
; %bb.19:                               ;   in Loop: Header=BB191_14 Depth=1
	v_and_b32_e32 v16, 0xffff, v32
	v_and_b32_e32 v33, 0x7f, v16
	v_cmp_ne_u32_e64 s[4:5], s61, v33
	v_mov_b32_e32 v31, 0x7f800001
	s_and_saveexec_b64 s[50:51], s[4:5]
	s_cbranch_execz .LBB191_21
; %bb.20:                               ;   in Loop: Header=BB191_14 Depth=1
	v_and_b32_e32 v31, 7, v16
	v_ffbh_u32_e32 v34, v31
	v_min_u32_e32 v37, 32, v34
	v_subrev_u32_e32 v34, 28, v37
	v_lshlrev_b64 v[34:35], v34, v[16:17]
	v_lshrrev_b32_e32 v36, 3, v33
	v_sub_u32_e32 v16, 29, v37
	v_and_b32_e32 v34, 7, v34
	v_cmp_gt_u32_e64 s[4:5], 8, v33
	v_cndmask_b32_e64 v16, v36, v16, s[4:5]
	v_cndmask_b32_e64 v31, v31, v34, s[4:5]
	v_lshlrev_b32_e32 v32, 24, v32
	v_lshlrev_b32_e32 v31, 20, v31
	v_and_b32_e32 v32, 0x80000000, v32
	v_lshl_add_u32 v16, v16, 23, v27
	v_or3_b32 v31, v32, v16, v31
.LBB191_21:                             ;   in Loop: Header=BB191_14 Depth=1
	s_or_b64 exec, exec, s[50:51]
.LBB191_22:                             ;   in Loop: Header=BB191_14 Depth=1
	s_or_b64 exec, exec, s[48:49]
.LBB191_23:                             ;   in Loop: Header=BB191_14 Depth=1
	s_or_b64 exec, exec, s[46:47]
	global_load_ubyte v32, v[14:15], off offset:8
	s_waitcnt vmcnt(0)
	v_cmp_ne_u16_e64 s[4:5], 0, v32
	s_and_saveexec_b64 s[46:47], s[4:5]
	s_cbranch_execz .LBB191_29
; %bb.24:                               ;   in Loop: Header=BB191_14 Depth=1
	v_cmp_ne_u16_e64 s[4:5], s60, v32
	v_bfrev_b32_e32 v30, 1
	s_and_saveexec_b64 s[48:49], s[4:5]
	s_cbranch_execz .LBB191_28
; %bb.25:                               ;   in Loop: Header=BB191_14 Depth=1
	v_and_b32_e32 v16, 0xffff, v32
	v_and_b32_e32 v33, 0x7f, v16
	v_cmp_ne_u32_e64 s[4:5], s61, v33
	v_mov_b32_e32 v30, 0x7f800001
	s_and_saveexec_b64 s[50:51], s[4:5]
	s_cbranch_execz .LBB191_27
; %bb.26:                               ;   in Loop: Header=BB191_14 Depth=1
	v_and_b32_e32 v30, 7, v16
	v_ffbh_u32_e32 v34, v30
	v_min_u32_e32 v37, 32, v34
	v_subrev_u32_e32 v34, 28, v37
	v_lshlrev_b64 v[34:35], v34, v[16:17]
	v_lshrrev_b32_e32 v36, 3, v33
	v_sub_u32_e32 v16, 29, v37
	v_and_b32_e32 v34, 7, v34
	v_cmp_gt_u32_e64 s[4:5], 8, v33
	v_cndmask_b32_e64 v16, v36, v16, s[4:5]
	v_cndmask_b32_e64 v30, v30, v34, s[4:5]
	v_lshlrev_b32_e32 v32, 24, v32
	v_lshlrev_b32_e32 v30, 20, v30
	v_and_b32_e32 v32, 0x80000000, v32
	v_lshl_add_u32 v16, v16, 23, v27
	v_or3_b32 v30, v32, v16, v30
.LBB191_27:                             ;   in Loop: Header=BB191_14 Depth=1
	s_or_b64 exec, exec, s[50:51]
.LBB191_28:                             ;   in Loop: Header=BB191_14 Depth=1
	s_or_b64 exec, exec, s[48:49]
.LBB191_29:                             ;   in Loop: Header=BB191_14 Depth=1
	s_or_b64 exec, exec, s[46:47]
	global_load_ubyte v34, v[14:15], off offset:128
	v_mov_b32_e32 v32, 0
	v_mov_b32_e32 v33, 0
	s_waitcnt vmcnt(0)
	v_cmp_ne_u16_e64 s[4:5], 0, v34
	s_and_saveexec_b64 s[46:47], s[4:5]
	s_cbranch_execz .LBB191_35
; %bb.30:                               ;   in Loop: Header=BB191_14 Depth=1
	v_cmp_ne_u16_e64 s[4:5], s60, v34
	v_bfrev_b32_e32 v33, 1
	s_and_saveexec_b64 s[48:49], s[4:5]
	s_cbranch_execz .LBB191_34
; %bb.31:                               ;   in Loop: Header=BB191_14 Depth=1
	v_and_b32_e32 v16, 0xffff, v34
	v_and_b32_e32 v35, 0x7f, v16
	v_cmp_ne_u32_e64 s[4:5], s61, v35
	v_mov_b32_e32 v33, 0x7f800001
	s_and_saveexec_b64 s[50:51], s[4:5]
	s_cbranch_execz .LBB191_33
; %bb.32:                               ;   in Loop: Header=BB191_14 Depth=1
	v_and_b32_e32 v33, 7, v16
	v_ffbh_u32_e32 v36, v33
	v_min_u32_e32 v39, 32, v36
	v_subrev_u32_e32 v36, 28, v39
	v_lshlrev_b64 v[36:37], v36, v[16:17]
	v_lshrrev_b32_e32 v38, 3, v35
	v_sub_u32_e32 v16, 29, v39
	v_and_b32_e32 v36, 7, v36
	v_cmp_gt_u32_e64 s[4:5], 8, v35
	v_cndmask_b32_e64 v16, v38, v16, s[4:5]
	v_cndmask_b32_e64 v33, v33, v36, s[4:5]
	v_lshlrev_b32_e32 v34, 24, v34
	v_lshlrev_b32_e32 v33, 20, v33
	v_and_b32_e32 v34, 0x80000000, v34
	v_lshl_add_u32 v16, v16, 23, v27
	v_or3_b32 v33, v34, v16, v33
.LBB191_33:                             ;   in Loop: Header=BB191_14 Depth=1
	s_or_b64 exec, exec, s[50:51]
.LBB191_34:                             ;   in Loop: Header=BB191_14 Depth=1
	s_or_b64 exec, exec, s[48:49]
.LBB191_35:                             ;   in Loop: Header=BB191_14 Depth=1
	s_or_b64 exec, exec, s[46:47]
	global_load_ubyte v15, v[14:15], off offset:136
	s_waitcnt vmcnt(0)
	v_cmp_ne_u16_e64 s[4:5], 0, v15
	s_and_saveexec_b64 s[46:47], s[4:5]
	s_cbranch_execz .LBB191_41
; %bb.36:                               ;   in Loop: Header=BB191_14 Depth=1
	v_cmp_ne_u16_e64 s[4:5], s60, v15
	v_bfrev_b32_e32 v32, 1
	s_and_saveexec_b64 s[48:49], s[4:5]
	s_cbranch_execz .LBB191_40
; %bb.37:                               ;   in Loop: Header=BB191_14 Depth=1
	v_and_b32_e32 v14, 0xffff, v15
	v_and_b32_e32 v16, 0x7f, v14
	v_cmp_ne_u32_e64 s[4:5], s61, v16
	v_mov_b32_e32 v32, 0x7f800001
	s_and_saveexec_b64 s[50:51], s[4:5]
	s_cbranch_execz .LBB191_39
; %bb.38:                               ;   in Loop: Header=BB191_14 Depth=1
	v_and_b32_e32 v32, 7, v14
	v_ffbh_u32_e32 v34, v32
	v_min_u32_e32 v37, 32, v34
	v_subrev_u32_e32 v34, 28, v37
	v_lshlrev_b64 v[34:35], v34, v[14:15]
	v_lshrrev_b32_e32 v36, 3, v16
	v_sub_u32_e32 v14, 29, v37
	v_and_b32_e32 v34, 7, v34
	v_cmp_gt_u32_e64 s[4:5], 8, v16
	v_cndmask_b32_e64 v14, v36, v14, s[4:5]
	v_cndmask_b32_e64 v16, v32, v34, s[4:5]
	v_lshlrev_b32_e32 v15, 24, v15
	v_lshlrev_b32_e32 v16, 20, v16
	v_and_b32_e32 v15, 0x80000000, v15
	v_lshl_add_u32 v14, v14, 23, v27
	v_or3_b32 v32, v15, v14, v16
.LBB191_39:                             ;   in Loop: Header=BB191_14 Depth=1
	s_or_b64 exec, exec, s[50:51]
.LBB191_40:                             ;   in Loop: Header=BB191_14 Depth=1
	s_or_b64 exec, exec, s[48:49]
.LBB191_41:                             ;   in Loop: Header=BB191_14 Depth=1
	s_or_b64 exec, exec, s[46:47]
	s_waitcnt lgkmcnt(0)
	v_mul_f32_e32 v15, s62, v30
	v_and_b32_e32 v30, 64, v28
	v_mul_f32_e32 v16, s62, v31
	v_add_u32_e32 v30, 64, v30
	v_xor_b32_e32 v31, 4, v28
	v_mul_f32_e32 v3, v3, v15
	v_mul_f32_e32 v14, s62, v33
	v_cmp_lt_i32_e64 s[4:5], v31, v30
	v_fmac_f32_e32 v3, v2, v16
	v_cndmask_b32_e64 v31, v28, v31, s[4:5]
	v_mul_f32_e32 v32, s62, v32
	v_fmac_f32_e32 v3, v4, v14
	v_lshlrev_b32_e32 v31, 2, v31
	v_fmac_f32_e32 v3, v5, v32
	ds_bpermute_b32 v2, v31, v3
	v_xor_b32_e32 v4, 2, v28
	v_cmp_lt_i32_e64 s[4:5], v4, v30
	v_cndmask_b32_e64 v4, v28, v4, s[4:5]
	v_lshlrev_b32_e32 v4, 2, v4
	s_waitcnt lgkmcnt(0)
	v_add_f32_e32 v2, v3, v2
	ds_bpermute_b32 v3, v4, v2
	v_xor_b32_e32 v4, 1, v28
	v_cmp_lt_i32_e64 s[4:5], v4, v30
	v_cndmask_b32_e64 v4, v28, v4, s[4:5]
	v_lshlrev_b32_e32 v4, 2, v4
	s_waitcnt lgkmcnt(0)
	v_add_f32_e32 v2, v2, v3
	ds_bpermute_b32 v3, v4, v2
	s_and_saveexec_b64 s[46:47], vcc
	s_cbranch_execz .LBB191_12
; %bb.42:                               ;   in Loop: Header=BB191_14 Depth=1
	v_add_u32_e32 v4, v25, v23
	v_cvt_f32_i32_e32 v4, v4
	s_waitcnt lgkmcnt(0)
	v_add_f32_e32 v2, v2, v3
	v_add_u32_e32 v5, v19, v23
	v_cmp_gt_i32_e64 s[4:5], s33, v5
	v_mul_f32_e32 v3, s56, v4
	v_cndmask_b32_e64 v3, 0, v3, s[2:3]
	v_fmac_f32_e32 v3, s43, v2
	v_cndmask_b32_e64 v2, 0, v3, s[4:5]
	ds_write_b32 v24, v2
	v_max_f32_e32 v2, v21, v21
	v_max_f32_e32 v2, v2, v3
	v_cndmask_b32_e64 v21, v21, v2, s[4:5]
	s_branch .LBB191_12
.LBB191_43:
	s_or_b64 exec, exec, s[44:45]
.LBB191_44:
	s_or_b64 exec, exec, s[18:19]
	v_mbcnt_hi_u32_b32 v2, -1, v18
	s_waitcnt lgkmcnt(0)
	v_and_b32_e32 v3, 64, v2
	v_add_u32_e32 v3, 64, v3
	v_xor_b32_e32 v4, 32, v2
	v_cmp_lt_i32_e32 vcc, v4, v3
	v_cndmask_b32_e32 v4, v2, v4, vcc
	v_lshlrev_b32_e32 v8, 2, v4
	ds_bpermute_b32 v4, v8, v21
	v_xor_b32_e32 v10, 16, v2
	v_max_f32_e32 v5, v21, v21
	v_cmp_lt_i32_e32 vcc, v10, v3
	v_and_b32_e32 v24, 63, v0
	s_waitcnt lgkmcnt(0)
	v_max_f32_e32 v4, v4, v4
	v_max_f32_e32 v4, v5, v4
	v_cndmask_b32_e32 v5, v2, v10, vcc
	v_lshlrev_b32_e32 v11, 2, v5
	ds_bpermute_b32 v5, v11, v4
	v_xor_b32_e32 v10, 8, v2
	v_cmp_lt_i32_e32 vcc, v10, v3
	s_waitcnt lgkmcnt(0)
	v_max_f32_e32 v5, v5, v5
	v_max_f32_e32 v4, v4, v5
	v_cndmask_b32_e32 v5, v2, v10, vcc
	v_lshlrev_b32_e32 v12, 2, v5
	ds_bpermute_b32 v10, v12, v4
	v_cmp_eq_u32_e32 vcc, 0, v24
	v_lshlrev_b32_e32 v5, 2, v17
	s_and_saveexec_b64 s[2:3], vcc
	s_cbranch_execz .LBB191_46
; %bb.45:
	s_waitcnt lgkmcnt(0)
	v_max_f32_e32 v10, v10, v10
	v_max_f32_e32 v4, v4, v4
	;; [unrolled: 1-line block ×3, first 2 shown]
	ds_write_b32 v5, v4 offset:128
.LBB191_46:
	s_or_b64 exec, exec, s[2:3]
	v_cmp_gt_u32_e64 s[2:3], 2, v24
	v_mov_b32_e32 v4, 0xff7fffff
	s_waitcnt lgkmcnt(0)
	v_lshlrev_b32_e32 v10, 2, v24
	s_barrier
	s_and_saveexec_b64 s[4:5], s[2:3]
	s_cbranch_execz .LBB191_48
; %bb.47:
	ds_read_b32 v4, v10 offset:128
.LBB191_48:
	s_or_b64 exec, exec, s[4:5]
	v_xor_b32_e32 v13, 1, v2
	v_cmp_lt_i32_e64 s[4:5], v13, v3
	v_cndmask_b32_e64 v13, v2, v13, s[4:5]
	v_lshlrev_b32_e32 v25, 2, v13
	s_waitcnt lgkmcnt(0)
	ds_bpermute_b32 v13, v25, v4
	v_max_f32_e32 v4, v4, v4
	s_sub_i32 s4, s54, s23
	s_lshl_b32 s4, s4, 3
	s_add_i32 s4, s4, s55
	s_waitcnt lgkmcnt(0)
	v_max_f32_e32 v13, v13, v13
	v_max_f32_e32 v4, v4, v13
	v_lshlrev_b32_e32 v13, 2, v2
	v_and_b32_e32 v13, 0x100, v13
	ds_bpermute_b32 v4, v13, v4
	s_min_i32 s43, s4, s33
	s_sub_i32 s23, s43, s55
	v_cmp_gt_i32_e64 s[4:5], s23, v0
	v_mov_b32_e32 v14, 0
	s_and_saveexec_b64 s[12:13], s[4:5]
	s_cbranch_execz .LBB191_52
; %bb.49:
	v_mov_b32_e32 v14, 0x90
	v_lshl_add_u32 v15, v0, 2, v14
	s_mov_b64 s[18:19], 0
	v_mov_b32_e32 v14, 0
	v_mov_b32_e32 v16, v0
.LBB191_50:                             ; =>This Inner Loop Header: Depth=1
	ds_read_b32 v18, v15
	v_add_u32_e32 v16, 0x80, v16
	v_cmp_le_i32_e64 s[10:11], s23, v16
	s_or_b64 s[18:19], s[10:11], s[18:19]
	s_waitcnt lgkmcnt(0)
	v_sub_f32_e32 v18, v18, v4
	v_mul_f32_e32 v18, 0x3fb8aa3b, v18
	v_exp_f32_e32 v18, v18
	ds_write_b32 v15, v18
	v_add_f32_e32 v14, v14, v18
	v_add_u32_e32 v15, 0x200, v15
	s_andn2_b64 exec, exec, s[18:19]
	s_cbranch_execnz .LBB191_50
; %bb.51:
	s_or_b64 exec, exec, s[18:19]
.LBB191_52:
	s_or_b64 exec, exec, s[12:13]
	ds_bpermute_b32 v8, v8, v14
	s_waitcnt lgkmcnt(0)
	v_add_f32_e32 v8, v14, v8
	ds_bpermute_b32 v11, v11, v8
	s_waitcnt lgkmcnt(0)
	v_add_f32_e32 v8, v8, v11
	ds_bpermute_b32 v11, v12, v8
	v_xor_b32_e32 v12, 4, v2
	v_cmp_lt_i32_e64 s[10:11], v12, v3
	v_cndmask_b32_e64 v12, v2, v12, s[10:11]
	v_lshlrev_b32_e32 v12, 2, v12
	s_waitcnt lgkmcnt(0)
	v_add_f32_e32 v8, v8, v11
	ds_bpermute_b32 v11, v12, v8
	v_xor_b32_e32 v12, 2, v2
	v_cmp_lt_i32_e64 s[10:11], v12, v3
	v_cndmask_b32_e64 v2, v2, v12, s[10:11]
	v_lshlrev_b32_e32 v2, 2, v2
	s_waitcnt lgkmcnt(0)
	v_add_f32_e32 v3, v8, v11
	ds_bpermute_b32 v2, v2, v3
	s_waitcnt lgkmcnt(0)
	v_add_f32_e32 v2, v3, v2
	ds_bpermute_b32 v3, v25, v2
	s_waitcnt lgkmcnt(0)
	v_add_f32_e32 v2, v2, v3
	s_and_saveexec_b64 s[10:11], vcc
	s_cbranch_execz .LBB191_54
; %bb.53:
	ds_write_b32 v5, v2 offset:136
.LBB191_54:
	s_or_b64 exec, exec, s[10:11]
	s_waitcnt lgkmcnt(0)
	s_barrier
	s_and_saveexec_b64 s[10:11], s[2:3]
	s_cbranch_execz .LBB191_56
; %bb.55:
	ds_read_b32 v2, v10 offset:136
.LBB191_56:
	s_or_b64 exec, exec, s[10:11]
	s_waitcnt lgkmcnt(0)
	ds_bpermute_b32 v3, v25, v2
	s_waitcnt lgkmcnt(0)
	v_add_f32_e32 v2, v2, v3
	ds_bpermute_b32 v5, v13, v2
	s_and_saveexec_b64 s[2:3], s[4:5]
	s_cbranch_execz .LBB191_69
; %bb.57:
	s_waitcnt lgkmcnt(0)
	v_add_f32_e32 v2, 0x358637bd, v5
	v_div_scale_f32 v3, s[4:5], v2, v2, 1.0
	v_rcp_f32_e32 v8, v3
	v_div_scale_f32 v10, vcc, 1.0, v2, 1.0
	s_movk_i32 s4, 0x7f
	v_fma_f32 v11, -v3, v8, 1.0
	v_fmac_f32_e32 v8, v11, v8
	v_mul_f32_e32 v11, v10, v8
	v_fma_f32 v12, -v3, v11, v10
	v_fmac_f32_e32 v11, v12, v8
	v_fma_f32 v3, -v3, v11, v10
	v_div_fmas_f32 v3, v3, v8, v11
	v_div_fixup_f32 v2, v3, v2, 1.0
	v_xad_u32 v3, v0, -1, s43
	v_subrev_u32_e32 v8, s55, v3
	v_cmp_lt_u32_e32 vcc, s4, v8
	s_mov_b64 s[10:11], -1
	v_mov_b32_e32 v3, v0
	s_and_saveexec_b64 s[4:5], vcc
	s_cbranch_execz .LBB191_66
; %bb.58:
	v_lshrrev_b32_e32 v8, 7, v8
	v_add_u32_e32 v11, -1, v8
	v_lshrrev_b32_e32 v10, 1, v11
	v_mov_b32_e32 v3, v2
	v_add_u32_e32 v10, 1, v10
	v_cmp_lt_u32_e32 vcc, 13, v11
	v_mov_b32_e32 v13, 0
	s_and_saveexec_b64 s[10:11], vcc
	s_cbranch_execz .LBB191_62
; %bb.59:
	v_mov_b32_e32 v12, 0x90
	v_and_b32_e32 v11, -8, v10
	v_lshl_add_u32 v12, v0, 2, v12
	s_mov_b32 s18, 0
	s_mov_b64 s[12:13], 0
.LBB191_60:                             ; =>This Inner Loop Header: Depth=1
	ds_read2st64_b32 v[14:15], v12 offset1:2
	ds_read2st64_b32 v[18:19], v12 offset0:4 offset1:6
	ds_read2st64_b32 v[20:21], v12 offset0:8 offset1:10
	;; [unrolled: 1-line block ×3, first 2 shown]
	v_add_u32_e32 v11, -8, v11
	s_waitcnt lgkmcnt(3)
	v_pk_mul_f32 v[14:15], v[2:3], v[14:15]
	s_waitcnt lgkmcnt(2)
	v_pk_mul_f32 v[18:19], v[2:3], v[18:19]
	ds_write2st64_b32 v12, v14, v15 offset1:2
	ds_write2st64_b32 v12, v18, v19 offset0:4 offset1:6
	ds_read2st64_b32 v[18:19], v12 offset0:16 offset1:18
	s_waitcnt lgkmcnt(4)
	v_pk_mul_f32 v[14:15], v[2:3], v[20:21]
	ds_write2st64_b32 v12, v14, v15 offset0:8 offset1:10
	s_waitcnt lgkmcnt(4)
	v_pk_mul_f32 v[14:15], v[2:3], v[22:23]
	ds_write2st64_b32 v12, v14, v15 offset0:12 offset1:14
	ds_read2st64_b32 v[14:15], v12 offset0:20 offset1:22
	s_waitcnt lgkmcnt(3)
	v_pk_mul_f32 v[18:19], v[2:3], v[18:19]
	ds_read2st64_b32 v[20:21], v12 offset0:24 offset1:26
	ds_write2st64_b32 v12, v18, v19 offset0:16 offset1:18
	ds_read2st64_b32 v[18:19], v12 offset0:28 offset1:30
	s_waitcnt lgkmcnt(3)
	v_pk_mul_f32 v[14:15], v[2:3], v[14:15]
	ds_write2st64_b32 v12, v14, v15 offset0:20 offset1:22
	s_waitcnt lgkmcnt(3)
	v_pk_mul_f32 v[14:15], v[2:3], v[20:21]
	ds_write2st64_b32 v12, v14, v15 offset0:24 offset1:26
	s_waitcnt lgkmcnt(2)
	v_pk_mul_f32 v[14:15], v[2:3], v[18:19]
	s_add_i32 s18, s18, 16
	v_cmp_eq_u32_e32 vcc, 0, v11
	ds_write2st64_b32 v12, v14, v15 offset0:28 offset1:30
	v_add_u32_e32 v12, 0x2000, v12
	s_or_b64 s[12:13], vcc, s[12:13]
	v_mov_b32_e32 v13, s18
	s_andn2_b64 exec, exec, s[12:13]
	s_cbranch_execnz .LBB191_60
; %bb.61:
	s_or_b64 exec, exec, s[12:13]
.LBB191_62:
	s_or_b64 exec, exec, s[10:11]
	v_and_b32_e32 v10, 7, v10
	v_cmp_ne_u32_e32 vcc, 0, v10
	s_and_saveexec_b64 s[10:11], vcc
	s_cbranch_execz .LBB191_65
; %bb.63:
	v_lshlrev_b32_e32 v11, 9, v13
	s_movk_i32 s12, 0x90
	v_add3_u32 v11, v11, v9, s12
	s_mov_b64 s[12:13], 0
.LBB191_64:                             ; =>This Inner Loop Header: Depth=1
	ds_read2st64_b32 v[12:13], v11 offset1:2
	v_add_u32_e32 v10, -1, v10
	v_cmp_eq_u32_e32 vcc, 0, v10
	s_or_b64 s[12:13], vcc, s[12:13]
	s_waitcnt lgkmcnt(0)
	v_pk_mul_f32 v[12:13], v[2:3], v[12:13]
	ds_write2st64_b32 v11, v12, v13 offset1:2
	v_add_u32_e32 v11, 0x400, v11
	s_andn2_b64 exec, exec, s[12:13]
	s_cbranch_execnz .LBB191_64
.LBB191_65:
	s_or_b64 exec, exec, s[10:11]
	v_add_u32_e32 v8, 1, v8
	v_and_b32_e32 v10, 0x3fffffe, v8
	v_cmp_ne_u32_e32 vcc, v8, v10
	v_lshl_add_u32 v3, v10, 7, v0
	s_orn2_b64 s[10:11], vcc, exec
.LBB191_66:
	s_or_b64 exec, exec, s[4:5]
	s_and_b64 exec, exec, s[10:11]
	s_cbranch_execz .LBB191_69
; %bb.67:
	v_mov_b32_e32 v8, 0x90
	v_lshl_add_u32 v8, v3, 2, v8
	s_mov_b64 s[4:5], 0
.LBB191_68:                             ; =>This Inner Loop Header: Depth=1
	ds_read_b32 v10, v8
	v_add_u32_e32 v3, 0x80, v3
	v_cmp_le_i32_e32 vcc, s23, v3
	s_or_b64 s[4:5], vcc, s[4:5]
	s_waitcnt lgkmcnt(0)
	v_mul_f32_e32 v10, v2, v10
	ds_write_b32 v8, v10
	v_add_u32_e32 v8, 0x200, v8
	s_andn2_b64 exec, exec, s[4:5]
	s_cbranch_execnz .LBB191_68
.LBB191_69:
	s_or_b64 exec, exec, s[2:3]
	s_mul_i32 s2, s35, s34
	v_cmp_eq_u32_e32 vcc, 0, v0
	s_mul_i32 s2, s2, s9
	s_waitcnt lgkmcnt(0)
	s_barrier
	s_and_saveexec_b64 s[4:5], vcc
	s_cbranch_execz .LBB191_71
; %bb.70:
	s_ashr_i32 s3, s2, 31
	s_lshl_b64 s[10:11], s[2:3], 2
	s_add_u32 s3, s26, s10
	s_mul_i32 s12, s35, s6
	s_addc_u32 s9, s27, s11
	s_ashr_i32 s13, s12, 31
	s_lshl_b64 s[12:13], s[12:13], 2
	s_add_u32 s3, s3, s12
	s_addc_u32 s6, s9, s13
	s_ashr_i32 s9, s8, 31
	s_lshl_b64 s[18:19], s[8:9], 2
	s_add_u32 s26, s3, s18
	s_addc_u32 s27, s6, s19
	s_add_u32 s3, s24, s10
	s_addc_u32 s6, s25, s11
	;; [unrolled: 2-line block ×3, first 2 shown]
	s_add_u32 s10, s3, s18
	v_mov_b32_e32 v2, 0
	s_addc_u32 s11, s6, s19
	global_store_dword v2, v4, s[26:27]
	global_store_dword v2, v5, s[10:11]
.LBB191_71:
	s_or_b64 exec, exec, s[4:5]
	v_mov_b32_e32 v28, 0
	s_and_saveexec_b64 s[4:5], s[0:1]
	s_cbranch_execz .LBB191_103
; %bb.72:
	s_sub_i32 s3, s7, s21
	s_ashr_i32 s0, s20, 31
	s_add_u32 s1, s40, s20
	s_addc_u32 s0, s41, s0
	s_abs_i32 s9, s22
	v_cvt_f32_u32_e32 v2, s9
	v_and_b32_e32 v3, 0xfc, v9
	v_mov_b32_e32 v4, s0
	s_sub_i32 s0, 0, s9
	v_rcp_iflag_f32_e32 v2, v2
	v_add_co_u32_e32 v8, vcc, s1, v3
	s_add_i32 s25, s16, -1
	v_mul_f32_e32 v2, 0x4f7ffffe, v2
	v_cvt_u32_f32_e32 v2, v2
	v_and_b32_e32 v26, 4, v9
	v_addc_co_u32_e32 v9, vcc, 0, v4, vcc
	v_mul_lo_u32 v3, s0, v2
	v_mul_hi_u32 v3, v2, v3
	s_lshl_b64 s[0:1], s[38:39], 2
	v_add_u32_e32 v27, v2, v3
	v_lshlrev_b64 v[2:3], 2, v[6:7]
	s_add_u32 s0, s36, s0
	v_add_co_u32_e32 v10, vcc, s0, v2
	v_and_b32_e32 v2, 1, v0
	s_addc_u32 s1, s37, s1
	v_lshlrev_b32_e32 v2, 4, v2
	s_mov_b32 s6, 0
	v_mov_b32_e32 v4, s1
	v_lshl_or_b32 v2, v17, 5, v2
	s_mov_b32 s24, s17
	s_brev_b32 s7, 1
	v_addc_co_u32_e32 v11, vcc, v4, v3, vcc
	v_add_u32_e32 v7, 0x90, v2
	s_mov_b64 s[10:11], 0
	v_mov_b32_e32 v13, 0
	s_movk_i32 s26, 0x80
	s_movk_i32 s27, 0x7f
	s_mov_b32 s13, 0x7f800001
	s_mov_b32 s34, 0xffffff
	v_bfrev_b32_e32 v29, 60
	v_mov_b32_e32 v30, 7
	v_mov_b32_e32 v31, 24
	;; [unrolled: 1-line block ×3, first 2 shown]
	s_branch .LBB191_75
.LBB191_73:                             ;   in Loop: Header=BB191_75 Depth=1
	s_or_b64 exec, exec, s[16:17]
	v_mul_f32_e32 v3, v3, v15
	v_fmac_f32_e32 v3, v2, v14
	v_fmac_f32_e32 v3, v4, v16
	;; [unrolled: 1-line block ×3, first 2 shown]
	v_add_f32_e32 v28, v28, v3
.LBB191_74:                             ;   in Loop: Header=BB191_75 Depth=1
	s_or_b64 exec, exec, s[0:1]
	v_add_co_u32_e32 v10, vcc, 8, v10
	v_add_u32_e32 v6, 2, v6
	v_addc_co_u32_e32 v11, vcc, 0, v11, vcc
	v_cmp_le_i32_e32 vcc, s54, v6
	v_add_u32_e32 v1, 16, v1
	s_or_b64 s[10:11], vcc, s[10:11]
	v_add_u32_e32 v7, 64, v7
	s_andn2_b64 exec, exec, s[10:11]
	s_cbranch_execz .LBB191_102
.LBB191_75:                             ; =>This Inner Loop Header: Depth=1
	v_sub_u32_e32 v3, 0, v1
	v_max_i32_e32 v3, v1, v3
	v_mul_hi_u32 v4, v3, s52
	v_mul_lo_u32 v5, v4, s29
	v_sub_u32_e32 v3, v3, v5
	v_add_u32_e32 v5, 1, v4
	v_cmp_le_u32_e32 vcc, s29, v3
	v_cndmask_b32_e32 v4, v4, v5, vcc
	v_subrev_u32_e32 v5, s29, v3
	v_cndmask_b32_e32 v3, v3, v5, vcc
	v_ashrrev_i32_e32 v2, 31, v1
	v_add_u32_e32 v5, 1, v4
	v_cmp_le_u32_e32 vcc, s29, v3
	v_xor_b32_e32 v2, s53, v2
	v_cndmask_b32_e32 v3, v4, v5, vcc
	v_xor_b32_e32 v3, v3, v2
	v_sub_u32_e32 v2, v3, v2
	v_add_u32_e32 v3, s42, v2
	v_sub_u32_e32 v5, 0, v3
	v_ashrrev_i32_e32 v4, 31, v3
	v_max_i32_e32 v3, v3, v5
	v_mul_hi_u32 v5, v3, v27
	v_mul_lo_u32 v5, v5, s9
	v_sub_u32_e32 v3, v3, v5
	v_subrev_u32_e32 v5, s9, v3
	v_cmp_le_u32_e32 vcc, s9, v3
	v_cndmask_b32_e32 v3, v3, v5, vcc
	v_subrev_u32_e32 v5, s9, v3
	v_cmp_le_u32_e32 vcc, s9, v3
	v_cndmask_b32_e32 v3, v3, v5, vcc
	v_xor_b32_e32 v3, v3, v4
	v_sub_u32_e32 v3, v3, v4
	v_cmp_eq_u32_e32 vcc, 0, v3
	v_cmp_lt_i32_e64 s[0:1], s3, v2
	s_or_b64 s[16:17], vcc, s[0:1]
	s_and_saveexec_b64 s[0:1], s[16:17]
	s_cbranch_execz .LBB191_74
; %bb.76:                               ;   in Loop: Header=BB191_75 Depth=1
	global_load_dword v2, v[10:11], off
	v_pk_mov_b32 v[18:19], 0, 0
	v_pk_mov_b32 v[16:17], v[18:19], v[18:19] op_sel:[0,1]
	s_waitcnt vmcnt(0)
	v_mad_i64_i32 v[2:3], s[16:17], v2, s24, v[8:9]
	global_load_dword v14, v[2:3], off
	ds_read_b128 v[2:5], v7
	s_load_dword s16, s[14:15], 0x0
	s_waitcnt vmcnt(0)
	v_cmp_ne_u16_sdwa s[20:21], v14, v13 src0_sel:BYTE_0 src1_sel:DWORD
	s_and_saveexec_b64 s[18:19], s[20:21]
	s_cbranch_execz .LBB191_82
; %bb.77:                               ;   in Loop: Header=BB191_75 Depth=1
	v_bfrev_b32_e32 v16, 1
	v_cmp_ne_u16_sdwa s[22:23], v14, s26 src0_sel:BYTE_0 src1_sel:DWORD
	v_mov_b32_e32 v17, 0
	s_and_saveexec_b64 s[20:21], s[22:23]
	s_cbranch_execz .LBB191_81
; %bb.78:                               ;   in Loop: Header=BB191_75 Depth=1
	v_and_b32_e32 v12, 0x7f, v14
	v_mov_b32_e32 v16, 0x7f800001
	v_cmp_ne_u32_e32 vcc, s27, v12
	v_mov_b32_e32 v17, 0
	s_and_saveexec_b64 s[22:23], vcc
	s_cbranch_execz .LBB191_80
; %bb.79:                               ;   in Loop: Header=BB191_75 Depth=1
	v_and_b32_e32 v15, 7, v14
	v_ffbh_u32_e32 v16, v15
	v_min_u32_e32 v21, 32, v16
	v_subrev_u32_e32 v16, 28, v21
	v_lshlrev_b64 v[16:17], v16, v[14:15]
	v_lshrrev_b32_e32 v20, 3, v12
	v_sub_u32_e32 v17, 29, v21
	v_and_b32_e32 v16, 7, v16
	v_cmp_gt_u32_e32 vcc, 8, v12
	v_cndmask_b32_e32 v12, v20, v17, vcc
	v_cndmask_b32_e32 v15, v15, v16, vcc
	v_lshlrev_b32_e32 v15, 20, v15
	v_and_b32_sdwa v16, sext(v14), s7 dst_sel:DWORD dst_unused:UNUSED_PAD src0_sel:BYTE_0 src1_sel:DWORD
	v_lshl_add_u32 v12, v12, 23, v29
	v_or3_b32 v12, v16, v12, v15
	v_pk_mov_b32 v[16:17], v[12:13], v[12:13] op_sel:[0,1]
.LBB191_80:                             ;   in Loop: Header=BB191_75 Depth=1
	s_or_b64 exec, exec, s[22:23]
.LBB191_81:                             ;   in Loop: Header=BB191_75 Depth=1
	s_or_b64 exec, exec, s[20:21]
.LBB191_82:                             ;   in Loop: Header=BB191_75 Depth=1
	s_or_b64 exec, exec, s[18:19]
	v_cmp_ne_u16_sdwa s[20:21], v14, v13 src0_sel:BYTE_1 src1_sel:DWORD
	s_and_saveexec_b64 s[18:19], s[20:21]
	s_cbranch_execz .LBB191_88
; %bb.83:                               ;   in Loop: Header=BB191_75 Depth=1
	v_cmp_ne_u16_sdwa s[22:23], v14, s26 src0_sel:BYTE_1 src1_sel:DWORD
	v_pk_mov_b32 v[18:19], s[6:7], s[6:7] op_sel:[0,1]
	s_and_saveexec_b64 s[20:21], s[22:23]
	s_cbranch_execz .LBB191_87
; %bb.84:                               ;   in Loop: Header=BB191_75 Depth=1
	v_and_b32_sdwa v15, v14, s27 dst_sel:DWORD dst_unused:UNUSED_PAD src0_sel:BYTE_1 src1_sel:DWORD
	s_mov_b32 s12, s6
	v_cmp_ne_u32_e32 vcc, s27, v15
	v_pk_mov_b32 v[18:19], s[12:13], s[12:13] op_sel:[0,1]
	s_and_saveexec_b64 s[22:23], vcc
	s_cbranch_execz .LBB191_86
; %bb.85:                               ;   in Loop: Header=BB191_75 Depth=1
	v_and_b32_sdwa v12, v14, v30 dst_sel:DWORD dst_unused:UNUSED_PAD src0_sel:BYTE_1 src1_sel:DWORD
	v_ffbh_u32_e32 v18, v12
	v_min_u32_e32 v21, 32, v18
	v_subrev_u32_e32 v18, 28, v21
	v_lshlrev_b64 v[18:19], v18, v[12:13]
	v_lshrrev_b32_e32 v20, 3, v15
	v_sub_u32_e32 v19, 29, v21
	v_cmp_gt_u32_e32 vcc, 8, v15
	v_and_b32_e32 v18, 7, v18
	v_cndmask_b32_e32 v15, v20, v19, vcc
	v_cndmask_b32_e32 v12, v12, v18, vcc
	v_lshlrev_b32_e32 v18, 16, v14
	v_lshl_add_u32 v15, v15, 23, v29
	v_and_or_b32 v15, v18, s7, v15
	v_lshlrev_b32_e32 v12, 20, v12
	v_or_b32_e32 v19, v15, v12
	v_mov_b32_e32 v18, v13
.LBB191_86:                             ;   in Loop: Header=BB191_75 Depth=1
	s_or_b64 exec, exec, s[22:23]
.LBB191_87:                             ;   in Loop: Header=BB191_75 Depth=1
	s_or_b64 exec, exec, s[20:21]
.LBB191_88:                             ;   in Loop: Header=BB191_75 Depth=1
	s_or_b64 exec, exec, s[18:19]
	v_lshrrev_b32_e32 v12, 16, v14
	v_pk_mov_b32 v[22:23], 0, 0
	v_cmp_ne_u16_sdwa s[20:21], v12, v13 src0_sel:BYTE_0 src1_sel:DWORD
	v_pk_mov_b32 v[20:21], v[22:23], v[22:23] op_sel:[0,1]
	s_and_saveexec_b64 s[18:19], s[20:21]
	s_cbranch_execz .LBB191_94
; %bb.89:                               ;   in Loop: Header=BB191_75 Depth=1
	v_bfrev_b32_e32 v20, 1
	v_cmp_ne_u16_sdwa s[22:23], v12, s26 src0_sel:BYTE_0 src1_sel:DWORD
	v_mov_b32_e32 v21, 0
	s_and_saveexec_b64 s[20:21], s[22:23]
	s_cbranch_execz .LBB191_93
; %bb.90:                               ;   in Loop: Header=BB191_75 Depth=1
	v_bfe_u32 v15, v14, 16, 7
	v_mov_b32_e32 v20, 0x7f800001
	v_cmp_ne_u32_e32 vcc, s27, v15
	v_mov_b32_e32 v21, 0
	s_and_saveexec_b64 s[22:23], vcc
	s_cbranch_execz .LBB191_92
; %bb.91:                               ;   in Loop: Header=BB191_75 Depth=1
	v_and_b32_e32 v32, 7, v12
	v_ffbh_u32_e32 v20, v32
	v_min_u32_e32 v34, 32, v20
	v_subrev_u32_e32 v20, 28, v34
	v_lshlrev_b64 v[20:21], v20, v[12:13]
	v_lshrrev_b32_e32 v33, 3, v15
	v_sub_u32_e32 v21, 29, v34
	v_and_b32_e32 v20, 7, v20
	v_cmp_gt_u32_e32 vcc, 8, v15
	v_cndmask_b32_e32 v15, v33, v21, vcc
	v_cndmask_b32_e32 v20, v32, v20, vcc
	v_lshlrev_b32_e32 v20, 20, v20
	v_and_b32_sdwa v12, sext(v12), s7 dst_sel:DWORD dst_unused:UNUSED_PAD src0_sel:BYTE_0 src1_sel:DWORD
	v_lshl_add_u32 v15, v15, 23, v29
	v_or3_b32 v12, v12, v15, v20
	v_pk_mov_b32 v[20:21], v[12:13], v[12:13] op_sel:[0,1]
.LBB191_92:                             ;   in Loop: Header=BB191_75 Depth=1
	s_or_b64 exec, exec, s[22:23]
.LBB191_93:                             ;   in Loop: Header=BB191_75 Depth=1
	s_or_b64 exec, exec, s[20:21]
.LBB191_94:                             ;   in Loop: Header=BB191_75 Depth=1
	s_or_b64 exec, exec, s[18:19]
	v_cmp_lt_u32_e32 vcc, s34, v14
	s_and_saveexec_b64 s[18:19], vcc
	s_cbranch_execz .LBB191_100
; %bb.95:                               ;   in Loop: Header=BB191_75 Depth=1
	v_cmp_ne_u32_sdwa s[22:23], v14, s26 src0_sel:BYTE_3 src1_sel:DWORD
	v_pk_mov_b32 v[22:23], s[6:7], s[6:7] op_sel:[0,1]
	s_and_saveexec_b64 s[20:21], s[22:23]
	s_cbranch_execz .LBB191_99
; %bb.96:                               ;   in Loop: Header=BB191_75 Depth=1
	v_bfe_u32 v15, v14, 24, 7
	s_mov_b32 s12, s6
	v_cmp_ne_u32_e32 vcc, s27, v15
	v_pk_mov_b32 v[22:23], s[12:13], s[12:13] op_sel:[0,1]
	s_and_saveexec_b64 s[22:23], vcc
	s_cbranch_execz .LBB191_98
; %bb.97:                               ;   in Loop: Header=BB191_75 Depth=1
	v_and_b32_sdwa v12, v14, v30 dst_sel:DWORD dst_unused:UNUSED_PAD src0_sel:BYTE_3 src1_sel:DWORD
	v_ffbh_u32_e32 v22, v12
	v_min_u32_e32 v33, 32, v22
	v_subrev_u32_e32 v22, 28, v33
	v_lshlrev_b64 v[22:23], v22, v[12:13]
	v_lshrrev_b32_e32 v32, 3, v15
	v_sub_u32_e32 v23, 29, v33
	v_cmp_gt_u32_e32 vcc, 8, v15
	v_and_b32_e32 v22, 7, v22
	v_cndmask_b32_e32 v15, v32, v23, vcc
	v_cndmask_b32_e32 v12, v12, v22, vcc
	v_lshlrev_b32_sdwa v14, v31, v14 dst_sel:DWORD dst_unused:UNUSED_PAD src0_sel:DWORD src1_sel:BYTE_3
	v_lshl_add_u32 v15, v15, 23, v29
	v_and_or_b32 v14, v14, s7, v15
	v_lshlrev_b32_e32 v12, 20, v12
	v_or_b32_e32 v23, v14, v12
	v_mov_b32_e32 v22, v13
.LBB191_98:                             ;   in Loop: Header=BB191_75 Depth=1
	s_or_b64 exec, exec, s[22:23]
.LBB191_99:                             ;   in Loop: Header=BB191_75 Depth=1
	s_or_b64 exec, exec, s[20:21]
.LBB191_100:                            ;   in Loop: Header=BB191_75 Depth=1
	s_or_b64 exec, exec, s[18:19]
	v_or_b32_e32 v15, v19, v17
	v_or_b32_e32 v14, v18, v16
	;; [unrolled: 1-line block ×4, first 2 shown]
	s_waitcnt lgkmcnt(0)
	v_pk_mul_f32 v[14:15], s[16:17], v[14:15] op_sel_hi:[0,1]
	v_pk_mul_f32 v[16:17], s[16:17], v[16:17] op_sel_hi:[0,1]
	v_cmp_eq_u32_e32 vcc, s25, v6
	s_and_saveexec_b64 s[16:17], vcc
	s_cbranch_execz .LBB191_73
; %bb.101:                              ;   in Loop: Header=BB191_75 Depth=1
	v_add_u32_e32 v12, v26, v1
	v_cmp_gt_i32_e32 vcc, s33, v12
	v_add_u32_e32 v18, 1, v12
	v_cndmask_b32_e32 v14, 0, v14, vcc
	v_cmp_gt_i32_e32 vcc, s33, v18
	v_add_u32_e32 v18, 2, v12
	v_cndmask_b32_e32 v15, 0, v15, vcc
	;; [unrolled: 3-line block ×3, first 2 shown]
	v_cmp_gt_i32_e32 vcc, s33, v12
	v_cndmask_b32_e32 v17, 0, v17, vcc
	s_branch .LBB191_73
.LBB191_102:
	s_or_b64 exec, exec, s[10:11]
.LBB191_103:
	s_or_b64 exec, exec, s[4:5]
	ds_bpermute_b32 v1, v25, v28
	v_and_b32_e32 v2, 0x3c1, v0
	v_cmp_eq_u32_e32 vcc, 64, v2
	s_waitcnt lgkmcnt(0)
	s_barrier
	v_add_f32_e32 v1, v28, v1
	s_and_saveexec_b64 s[0:1], vcc
	s_cbranch_execz .LBB191_105
; %bb.104:
	v_mov_b32_e32 v3, 0x90
	v_lshl_add_u32 v3, v24, 1, v3
	ds_write_b32 v3, v1
.LBB191_105:
	s_or_b64 exec, exec, s[0:1]
	v_cmp_eq_u32_e32 vcc, 0, v2
	s_waitcnt lgkmcnt(0)
	s_barrier
	s_and_saveexec_b64 s[0:1], vcc
	s_cbranch_execz .LBB191_107
; %bb.106:
	v_mov_b32_e32 v2, 0x90
	v_lshl_add_u32 v2, v0, 1, v2
	ds_read_b32 v2, v2
	s_waitcnt lgkmcnt(0)
	v_add_f32_e32 v1, v1, v2
.LBB191_107:
	s_or_b64 exec, exec, s[0:1]
	s_barrier
	s_and_saveexec_b64 s[0:1], vcc
	s_cbranch_execz .LBB191_109
; %bb.108:
	s_lshl_b32 s0, s2, 5
	s_ashr_i32 s1, s0, 31
	s_lshl_b64 s[0:1], s[0:1], 2
	s_add_u32 s2, s30, s0
	s_mul_i32 s0, s35, s28
	s_addc_u32 s3, s31, s1
	s_ashr_i32 s1, s0, 31
	s_lshl_b64 s[0:1], s[0:1], 2
	s_add_u32 s2, s2, s0
	s_addc_u32 s3, s3, s1
	s_lshl_b32 s0, s8, 5
	s_ashr_i32 s1, s0, 31
	s_lshl_b64 s[0:1], s[0:1], 2
	s_add_u32 s0, s2, s0
	s_addc_u32 s1, s3, s1
	v_lshlrev_b32_e32 v0, 1, v0
	global_store_dword v0, v1, s[0:1]
.LBB191_109:
	s_endpgm
	.section	.rodata,"a",@progbits
	.p2align	6, 0x0
	.amdhsa_kernel _ZN4vllm25paged_attention_v2_kernelIfhLi32ELi8ELi128ELNS_18Fp8KVCacheDataTypeE1ELb1ELi512EEEvPfS2_PT_PKS3_PKT0_S9_ifPKiSB_iPKfiiiSD_SD_iiiii
		.amdhsa_group_segment_fixed_size 144
		.amdhsa_private_segment_fixed_size 0
		.amdhsa_kernarg_size 400
		.amdhsa_user_sgpr_count 6
		.amdhsa_user_sgpr_private_segment_buffer 1
		.amdhsa_user_sgpr_dispatch_ptr 0
		.amdhsa_user_sgpr_queue_ptr 0
		.amdhsa_user_sgpr_kernarg_segment_ptr 1
		.amdhsa_user_sgpr_dispatch_id 0
		.amdhsa_user_sgpr_flat_scratch_init 0
		.amdhsa_user_sgpr_kernarg_preload_length 0
		.amdhsa_user_sgpr_kernarg_preload_offset 0
		.amdhsa_user_sgpr_private_segment_size 0
		.amdhsa_uses_dynamic_stack 0
		.amdhsa_system_sgpr_private_segment_wavefront_offset 0
		.amdhsa_system_sgpr_workgroup_id_x 1
		.amdhsa_system_sgpr_workgroup_id_y 1
		.amdhsa_system_sgpr_workgroup_id_z 1
		.amdhsa_system_sgpr_workgroup_info 0
		.amdhsa_system_vgpr_workitem_id 0
		.amdhsa_next_free_vgpr 40
		.amdhsa_next_free_sgpr 63
		.amdhsa_accum_offset 40
		.amdhsa_reserve_vcc 1
		.amdhsa_reserve_flat_scratch 0
		.amdhsa_float_round_mode_32 0
		.amdhsa_float_round_mode_16_64 0
		.amdhsa_float_denorm_mode_32 3
		.amdhsa_float_denorm_mode_16_64 3
		.amdhsa_dx10_clamp 1
		.amdhsa_ieee_mode 1
		.amdhsa_fp16_overflow 0
		.amdhsa_tg_split 0
		.amdhsa_exception_fp_ieee_invalid_op 0
		.amdhsa_exception_fp_denorm_src 0
		.amdhsa_exception_fp_ieee_div_zero 0
		.amdhsa_exception_fp_ieee_overflow 0
		.amdhsa_exception_fp_ieee_underflow 0
		.amdhsa_exception_fp_ieee_inexact 0
		.amdhsa_exception_int_div_zero 0
	.end_amdhsa_kernel
	.section	.text._ZN4vllm25paged_attention_v2_kernelIfhLi32ELi8ELi128ELNS_18Fp8KVCacheDataTypeE1ELb1ELi512EEEvPfS2_PT_PKS3_PKT0_S9_ifPKiSB_iPKfiiiSD_SD_iiiii,"axG",@progbits,_ZN4vllm25paged_attention_v2_kernelIfhLi32ELi8ELi128ELNS_18Fp8KVCacheDataTypeE1ELb1ELi512EEEvPfS2_PT_PKS3_PKT0_S9_ifPKiSB_iPKfiiiSD_SD_iiiii,comdat
.Lfunc_end191:
	.size	_ZN4vllm25paged_attention_v2_kernelIfhLi32ELi8ELi128ELNS_18Fp8KVCacheDataTypeE1ELb1ELi512EEEvPfS2_PT_PKS3_PKT0_S9_ifPKiSB_iPKfiiiSD_SD_iiiii, .Lfunc_end191-_ZN4vllm25paged_attention_v2_kernelIfhLi32ELi8ELi128ELNS_18Fp8KVCacheDataTypeE1ELb1ELi512EEEvPfS2_PT_PKS3_PKT0_S9_ifPKiSB_iPKfiiiSD_SD_iiiii
                                        ; -- End function
	.section	.AMDGPU.csdata,"",@progbits
; Kernel info:
; codeLenInByte = 5456
; NumSgprs: 67
; NumVgprs: 40
; NumAgprs: 0
; TotalNumVgprs: 40
; ScratchSize: 0
; MemoryBound: 0
; FloatMode: 240
; IeeeMode: 1
; LDSByteSize: 144 bytes/workgroup (compile time only)
; SGPRBlocks: 8
; VGPRBlocks: 4
; NumSGPRsForWavesPerEU: 67
; NumVGPRsForWavesPerEU: 40
; AccumOffset: 40
; Occupancy: 8
; WaveLimiterHint : 1
; COMPUTE_PGM_RSRC2:SCRATCH_EN: 0
; COMPUTE_PGM_RSRC2:USER_SGPR: 6
; COMPUTE_PGM_RSRC2:TRAP_HANDLER: 0
; COMPUTE_PGM_RSRC2:TGID_X_EN: 1
; COMPUTE_PGM_RSRC2:TGID_Y_EN: 1
; COMPUTE_PGM_RSRC2:TGID_Z_EN: 1
; COMPUTE_PGM_RSRC2:TIDIG_COMP_CNT: 0
; COMPUTE_PGM_RSRC3_GFX90A:ACCUM_OFFSET: 9
; COMPUTE_PGM_RSRC3_GFX90A:TG_SPLIT: 0
	.section	.text._ZN4vllm25paged_attention_v2_kernelIfhLi64ELi8ELi128ELNS_18Fp8KVCacheDataTypeE1ELb1ELi512EEEvPfS2_PT_PKS3_PKT0_S9_ifPKiSB_iPKfiiiSD_SD_iiiii,"axG",@progbits,_ZN4vllm25paged_attention_v2_kernelIfhLi64ELi8ELi128ELNS_18Fp8KVCacheDataTypeE1ELb1ELi512EEEvPfS2_PT_PKS3_PKT0_S9_ifPKiSB_iPKfiiiSD_SD_iiiii,comdat
	.protected	_ZN4vllm25paged_attention_v2_kernelIfhLi64ELi8ELi128ELNS_18Fp8KVCacheDataTypeE1ELb1ELi512EEEvPfS2_PT_PKS3_PKT0_S9_ifPKiSB_iPKfiiiSD_SD_iiiii ; -- Begin function _ZN4vllm25paged_attention_v2_kernelIfhLi64ELi8ELi128ELNS_18Fp8KVCacheDataTypeE1ELb1ELi512EEEvPfS2_PT_PKS3_PKT0_S9_ifPKiSB_iPKfiiiSD_SD_iiiii
	.globl	_ZN4vllm25paged_attention_v2_kernelIfhLi64ELi8ELi128ELNS_18Fp8KVCacheDataTypeE1ELb1ELi512EEEvPfS2_PT_PKS3_PKT0_S9_ifPKiSB_iPKfiiiSD_SD_iiiii
	.p2align	8
	.type	_ZN4vllm25paged_attention_v2_kernelIfhLi64ELi8ELi128ELNS_18Fp8KVCacheDataTypeE1ELb1ELi512EEEvPfS2_PT_PKS3_PKT0_S9_ifPKiSB_iPKfiiiSD_SD_iiiii,@function
_ZN4vllm25paged_attention_v2_kernelIfhLi64ELi8ELi128ELNS_18Fp8KVCacheDataTypeE1ELb1ELi512EEEvPfS2_PT_PKS3_PKT0_S9_ifPKiSB_iPKfiiiSD_SD_iiiii: ; @_ZN4vllm25paged_attention_v2_kernelIfhLi64ELi8ELi128ELNS_18Fp8KVCacheDataTypeE1ELb1ELi512EEEvPfS2_PT_PKS3_PKT0_S9_ifPKiSB_iPKfiiiSD_SD_iiiii
; %bb.0:
	s_load_dwordx2 s[0:1], s[4:5], 0x40
	s_mov_b32 s36, s7
	s_ashr_i32 s37, s7, 31
	s_lshl_b64 s[2:3], s[36:37], 2
	s_waitcnt lgkmcnt(0)
	s_add_u32 s0, s0, s2
	s_addc_u32 s1, s1, s3
	s_load_dword s33, s[0:1], 0x0
	s_lshl_b32 s58, s8, 9
	s_waitcnt lgkmcnt(0)
	s_cmp_ge_i32 s58, s33
	s_cbranch_scc1 .LBB192_163
; %bb.1:
	s_load_dword s9, s[4:5], 0x90
	s_load_dwordx2 s[44:45], s[4:5], 0x30
	s_waitcnt lgkmcnt(0)
	s_abs_i32 s2, s9
	s_abs_i32 s0, s44
	v_cvt_f32_u32_e32 v1, s0
	s_sub_i32 s3, 0, s0
	s_xor_b32 s1, s9, s44
	s_ashr_i32 s1, s1, 31
	v_rcp_iflag_f32_e32 v1, v1
	v_mul_f32_e32 v1, 0x4f7ffffe, v1
	v_cvt_u32_f32_e32 v1, v1
	v_readfirstlane_b32 s7, v1
	s_mul_i32 s3, s3, s7
	s_mul_hi_u32 s3, s7, s3
	s_add_i32 s7, s7, s3
	s_mul_hi_u32 s3, s2, s7
	s_mul_i32 s7, s3, s0
	s_sub_i32 s2, s2, s7
	s_add_i32 s10, s3, 1
	s_sub_i32 s7, s2, s0
	s_cmp_ge_u32 s2, s0
	s_cselect_b32 s3, s10, s3
	s_cselect_b32 s2, s7, s2
	s_add_i32 s7, s3, 1
	s_cmp_ge_u32 s2, s0
	s_cselect_b32 s0, s7, s3
	s_xor_b32 s0, s0, s1
	s_sub_i32 s2, s0, s1
	s_abs_i32 s10, s2
	v_cvt_f32_u32_e32 v1, s10
	s_load_dwordx2 s[0:1], s[4:5], 0x50
	s_sub_i32 s3, 0, s10
	s_abs_i32 s11, s6
	v_rcp_iflag_f32_e32 v1, v1
	s_mov_b32 s7, 0
	v_mul_f32_e32 v1, 0x4f7ffffe, v1
	v_cvt_u32_f32_e32 v1, v1
	v_readfirstlane_b32 s12, v1
	s_mul_i32 s3, s3, s12
	s_mul_hi_u32 s3, s12, s3
	s_add_i32 s12, s12, s3
	s_waitcnt lgkmcnt(0)
	s_cmp_eq_u64 s[0:1], 0
	s_mul_hi_u32 s12, s11, s12
	s_cbranch_scc1 .LBB192_3
; %bb.2:
	s_ashr_i32 s7, s6, 31
	s_lshl_b64 s[14:15], s[6:7], 2
	s_add_u32 s0, s0, s14
	s_addc_u32 s1, s1, s15
	s_load_dword s7, s[0:1], 0x0
.LBB192_3:
	s_load_dwordx4 s[20:23], s[4:5], 0x58
	s_ashr_i32 s13, s6, 31
	s_ashr_i32 s16, s2, 31
	v_and_b32_e32 v12, 7, v0
	s_lshl_b32 s14, s6, 6
	v_cmp_gt_u32_e64 s[0:1], 64, v0
	v_lshlrev_b32_e32 v13, 2, v0
	v_lshrrev_b32_e32 v1, 1, v0
	s_and_saveexec_b64 s[2:3], s[0:1]
	s_cbranch_execz .LBB192_5
; %bb.4:
	s_load_dwordx2 s[18:19], s[4:5], 0x18
	s_waitcnt lgkmcnt(0)
	s_mul_i32 s24, s36, s20
	s_ashr_i32 s25, s24, 31
	s_lshl_b64 s[24:25], s[24:25], 2
	v_and_b32_e32 v3, 0x1fc, v1
	s_add_u32 s17, s18, s24
	s_addc_u32 s20, s19, s25
	s_ashr_i32 s15, s14, 31
	s_lshl_b64 s[18:19], s[14:15], 2
	s_add_u32 s18, s17, s18
	s_addc_u32 s19, s20, s19
	global_load_dword v2, v13, s[18:19]
	v_lshl_add_u32 v3, v12, 5, v3
	s_waitcnt vmcnt(0)
	ds_write_b32 v3, v2
.LBB192_5:
	s_or_b64 exec, exec, s[2:3]
	s_mul_i32 s3, s12, s10
	s_sub_i32 s3, s11, s3
	s_xor_b32 s2, s13, s16
	s_add_i32 s11, s12, 1
	s_sub_i32 s13, s3, s10
	s_load_dwordx4 s[24:27], s[4:5], 0x78
	s_cmp_ge_u32 s3, s10
	s_cselect_b32 s11, s11, s12
	s_cselect_b32 s3, s13, s3
	s_add_i32 s12, s11, 1
	s_cmp_ge_u32 s3, s10
	s_cselect_b32 s3, s12, s11
	s_load_dword s12, s[4:5], 0x88
	s_waitcnt lgkmcnt(0)
	s_abs_i32 s37, s27
	v_cvt_f32_u32_e32 v2, s37
	s_xor_b32 s3, s3, s2
	s_sub_i32 s57, s3, s2
	s_sub_i32 s2, 0, s37
	v_rcp_iflag_f32_e32 v2, v2
	s_add_i32 s13, s33, -1
	s_abs_i32 s10, s13
	v_mul_f32_e32 v2, 0x4f7ffffe, v2
	v_cvt_u32_f32_e32 v2, v2
	s_barrier
	v_readfirstlane_b32 s54, v2
	s_mul_i32 s2, s2, s54
	s_mul_hi_u32 s2, s54, s2
	s_add_i32 s54, s54, s2
	s_cmp_lt_i32 s12, 0
	s_mul_hi_u32 s11, s10, s54
	s_cbranch_scc0 .LBB192_7
; %bb.6:
	s_mul_i32 s2, s24, s44
	s_add_i32 s2, s57, s2
	s_mul_i32 s2, s2, s12
	s_sub_i32 s44, 1, s2
	s_mov_b64 s[2:3], 0
	s_branch .LBB192_8
.LBB192_7:
	s_mov_b64 s[2:3], -1
                                        ; implicit-def: $sgpr44
.LBB192_8:
	s_load_dwordx2 s[38:39], s[4:5], 0x38
	s_ashr_i32 s13, s13, 31
	s_andn2_b64 vcc, exec, s[2:3]
	s_ashr_i32 s55, s27, 31
	s_cbranch_vccnz .LBB192_10
; %bb.9:
	s_mul_i32 s2, s9, s24
	s_add_i32 s2, s2, s6
	s_mul_i32 s2, s2, s12
	s_add_i32 s44, s2, 1
.LBB192_10:
	s_load_dwordx2 s[42:43], s[4:5], 0x28
	s_load_dword s2, s[4:5], 0x48
	s_load_dwordx4 s[28:31], s[4:5], 0x0
	s_load_dwordx2 s[34:35], s[4:5], 0x10
	s_load_dword s15, s[4:5], 0x98
	s_load_dwordx4 s[16:19], s[4:5], 0x68
	s_mul_i32 s3, s11, s37
	s_waitcnt lgkmcnt(0)
	s_mul_i32 s40, s36, s2
	s_sub_i32 s3, s10, s3
	s_ashr_i32 s41, s40, 31
	s_xor_b32 s2, s13, s55
	s_add_i32 s10, s11, 1
	s_sub_i32 s12, s3, s37
	s_cmp_ge_u32 s3, s37
	s_cselect_b32 s10, s10, s11
	s_cselect_b32 s3, s12, s3
	s_add_i32 s11, s10, 1
	s_cmp_ge_u32 s3, s37
	s_cselect_b32 s3, s11, s10
	s_xor_b32 s3, s3, s2
	s_sub_i32 s27, s3, s2
	s_add_i32 s2, s33, 7
	s_ashr_i32 s3, s2, 31
	s_lshr_b32 s3, s3, 29
	s_add_i32 s2, s2, s3
	s_lshl_b32 s20, s8, 6
	s_ashr_i32 s24, s2, 3
	s_add_i32 s2, s20, 64
	v_lshrrev_b32_e32 v21, 6, v0
	s_min_i32 s56, s2, s24
	v_or_b32_e32 v10, s20, v21
	v_cmp_gt_i32_e64 s[2:3], s56, v10
	v_mov_b32_e32 v25, 0xff7fffff
	s_mul_i32 s57, s57, s22
	v_ashrrev_i32_e32 v11, 31, v10
	v_lshl_add_u32 v32, v21, 3, s58
	v_mbcnt_lo_u32_b32 v22, -1, 0
	s_and_saveexec_b64 s[22:23], s[2:3]
	s_cbranch_execz .LBB192_68
; %bb.11:
	s_load_dwordx2 s[4:5], s[4:5], 0x20
	s_sub_i32 s59, s27, s25
	s_ashr_i32 s10, s57, 31
	v_bfe_u32 v23, v0, 3, 3
	v_lshlrev_b32_e32 v3, 4, v23
	s_waitcnt lgkmcnt(0)
	s_add_u32 s4, s4, s57
	s_addc_u32 s5, s5, s10
	s_abs_i32 s60, s26
	v_cvt_f32_u32_e32 v2, s60
	s_sub_i32 s10, 0, s60
	v_mov_b32_e32 v4, s5
	v_add_co_u32_e64 v14, s[4:5], s4, v3
	v_rcp_iflag_f32_e32 v2, v2
	v_addc_co_u32_e64 v15, s[4:5], 0, v4, s[4:5]
	v_cmp_eq_u32_e32 vcc, 0, v12
	v_mul_f32_e32 v2, 0x4f7ffffe, v2
	v_cvt_u32_f32_e32 v2, v2
	s_mov_b32 s61, s21
	v_lshlrev_b32_e32 v24, 5, v12
	v_cmp_neq_f32_e64 s[4:5], s7, 0
	v_mul_lo_u32 v3, s10, v2
	s_lshl_b64 s[10:11], s[40:41], 2
	v_mul_hi_u32 v3, v2, v3
	s_add_u32 s10, s38, s10
	v_add_u32_e32 v26, v2, v3
	v_lshlrev_b64 v[2:3], 2, v[10:11]
	s_addc_u32 s11, s39, s11
	v_mov_b32_e32 v4, s11
	v_add_co_u32_e64 v16, s[10:11], s10, v2
	v_lshlrev_b32_e32 v2, 2, v23
	v_lshl_or_b32 v2, v21, 5, v2
	v_add_u32_e32 v28, 0x110, v2
	v_subrev_u32_e32 v2, s33, v23
	v_addc_co_u32_e64 v17, s[10:11], v4, v3, s[10:11]
	v_lshl_add_u32 v27, v21, 3, s58
	v_add_u32_e32 v29, 1, v2
	s_mov_b64 s[46:47], 0
	v_mov_b32_e32 v30, 0xff7fffff
	s_movk_i32 s62, 0x80
	s_movk_i32 s63, 0x7f
	v_bfrev_b32_e32 v31, 60
	v_mbcnt_hi_u32_b32 v33, -1, v22
	v_mov_b32_e32 v25, 0xff7fffff
	v_mov_b32_e32 v34, v10
	s_branch .LBB192_14
.LBB192_12:                             ;   in Loop: Header=BB192_14 Depth=1
	s_or_b64 exec, exec, s[48:49]
.LBB192_13:                             ;   in Loop: Header=BB192_14 Depth=1
	s_or_b64 exec, exec, s[12:13]
	v_add_co_u32_e64 v16, s[10:11], 8, v16
	v_add_u32_e32 v34, 2, v34
	v_addc_co_u32_e64 v17, s[10:11], 0, v17, s[10:11]
	v_cmp_le_i32_e64 s[10:11], s56, v34
	v_add_u32_e32 v27, 16, v27
	s_or_b64 s[46:47], s[10:11], s[46:47]
	v_add_u32_e32 v28, 64, v28
	s_andn2_b64 exec, exec, s[46:47]
	s_cbranch_execz .LBB192_67
.LBB192_14:                             ; =>This Inner Loop Header: Depth=1
	s_waitcnt lgkmcnt(0)
	v_sub_u32_e32 v3, 0, v27
	v_max_i32_e32 v3, v27, v3
	v_mul_hi_u32 v4, v3, s54
	v_mul_lo_u32 v5, v4, s37
	v_sub_u32_e32 v3, v3, v5
	v_add_u32_e32 v5, 1, v4
	v_cmp_le_u32_e64 s[10:11], s37, v3
	v_cndmask_b32_e64 v4, v4, v5, s[10:11]
	v_subrev_u32_e32 v5, s37, v3
	v_cndmask_b32_e64 v3, v3, v5, s[10:11]
	v_ashrrev_i32_e32 v2, 31, v27
	v_add_u32_e32 v5, 1, v4
	v_cmp_le_u32_e64 s[10:11], s37, v3
	v_xor_b32_e32 v2, s55, v2
	v_cndmask_b32_e64 v3, v4, v5, s[10:11]
	v_xor_b32_e32 v3, v3, v2
	v_sub_u32_e32 v2, v3, v2
	v_add_u32_e32 v3, s44, v2
	v_sub_u32_e32 v5, 0, v3
	v_ashrrev_i32_e32 v4, 31, v3
	v_max_i32_e32 v3, v3, v5
	v_mul_hi_u32 v5, v3, v26
	v_mul_lo_u32 v5, v5, s60
	v_sub_u32_e32 v3, v3, v5
	v_subrev_u32_e32 v5, s60, v3
	v_cmp_le_u32_e64 s[10:11], s60, v3
	v_cndmask_b32_e64 v3, v3, v5, s[10:11]
	v_subrev_u32_e32 v5, s60, v3
	v_cmp_le_u32_e64 s[10:11], s60, v3
	v_cndmask_b32_e64 v3, v3, v5, s[10:11]
	v_xor_b32_e32 v3, v3, v4
	v_sub_u32_e32 v3, v3, v4
	v_cmp_ne_u32_e64 s[10:11], 0, v3
	v_cmp_ge_i32_e64 s[12:13], s59, v2
	s_and_b64 s[10:11], s[10:11], s[12:13]
	s_and_b64 s[48:49], vcc, s[10:11]
	s_and_saveexec_b64 s[12:13], s[48:49]
	s_cbranch_execz .LBB192_16
; %bb.15:                               ;   in Loop: Header=BB192_14 Depth=1
	ds_write_b32 v28, v30
.LBB192_16:                             ;   in Loop: Header=BB192_14 Depth=1
	s_or_b64 exec, exec, s[12:13]
	s_xor_b64 s[10:11], s[10:11], -1
	s_and_saveexec_b64 s[12:13], s[10:11]
	s_cbranch_execz .LBB192_13
; %bb.17:                               ;   in Loop: Header=BB192_14 Depth=1
	global_load_dword v2, v[16:17], off
	v_mov_b32_e32 v35, 0
	v_mov_b32_e32 v36, 0
	s_waitcnt vmcnt(0)
	v_mad_i64_i32 v[2:3], s[10:11], v2, s61, v[14:15]
	v_add_co_u32_e64 v18, s[10:11], v2, v12
	v_addc_co_u32_e64 v19, s[10:11], 0, v3, s[10:11]
	global_load_ubyte v37, v[18:19], off
	ds_read_b128 v[6:9], v24
	ds_read_b128 v[2:5], v24 offset:16
	s_load_dword s64, s[16:17], 0x0
	s_waitcnt vmcnt(0)
	v_cmp_ne_u16_e64 s[10:11], 0, v37
	s_and_saveexec_b64 s[48:49], s[10:11]
	s_cbranch_execz .LBB192_23
; %bb.18:                               ;   in Loop: Header=BB192_14 Depth=1
	v_cmp_ne_u16_e64 s[10:11], s62, v37
	v_bfrev_b32_e32 v36, 1
	s_and_saveexec_b64 s[50:51], s[10:11]
	s_cbranch_execz .LBB192_22
; %bb.19:                               ;   in Loop: Header=BB192_14 Depth=1
	v_and_b32_e32 v20, 0xffff, v37
	v_and_b32_e32 v38, 0x7f, v20
	v_cmp_ne_u32_e64 s[10:11], s63, v38
	v_mov_b32_e32 v36, 0x7f800001
	s_and_saveexec_b64 s[52:53], s[10:11]
	s_cbranch_execz .LBB192_21
; %bb.20:                               ;   in Loop: Header=BB192_14 Depth=1
	v_and_b32_e32 v36, 7, v20
	v_ffbh_u32_e32 v40, v36
	v_min_u32_e32 v42, 32, v40
	v_subrev_u32_e32 v40, 28, v42
	v_lshlrev_b64 v[40:41], v40, v[20:21]
	v_lshrrev_b32_e32 v39, 3, v38
	v_sub_u32_e32 v20, 29, v42
	v_and_b32_e32 v40, 7, v40
	v_cmp_gt_u32_e64 s[10:11], 8, v38
	v_cndmask_b32_e64 v20, v39, v20, s[10:11]
	v_cndmask_b32_e64 v36, v36, v40, s[10:11]
	v_lshlrev_b32_e32 v37, 24, v37
	v_lshlrev_b32_e32 v36, 20, v36
	v_and_b32_e32 v37, 0x80000000, v37
	v_lshl_add_u32 v20, v20, 23, v31
	v_or3_b32 v36, v37, v20, v36
.LBB192_21:                             ;   in Loop: Header=BB192_14 Depth=1
	s_or_b64 exec, exec, s[52:53]
.LBB192_22:                             ;   in Loop: Header=BB192_14 Depth=1
	s_or_b64 exec, exec, s[50:51]
.LBB192_23:                             ;   in Loop: Header=BB192_14 Depth=1
	s_or_b64 exec, exec, s[48:49]
	global_load_ubyte v37, v[18:19], off offset:8
	s_waitcnt vmcnt(0)
	v_cmp_ne_u16_e64 s[10:11], 0, v37
	s_and_saveexec_b64 s[48:49], s[10:11]
	s_cbranch_execz .LBB192_29
; %bb.24:                               ;   in Loop: Header=BB192_14 Depth=1
	v_cmp_ne_u16_e64 s[10:11], s62, v37
	v_bfrev_b32_e32 v35, 1
	s_and_saveexec_b64 s[50:51], s[10:11]
	s_cbranch_execz .LBB192_28
; %bb.25:                               ;   in Loop: Header=BB192_14 Depth=1
	v_and_b32_e32 v20, 0xffff, v37
	v_and_b32_e32 v38, 0x7f, v20
	v_cmp_ne_u32_e64 s[10:11], s63, v38
	v_mov_b32_e32 v35, 0x7f800001
	s_and_saveexec_b64 s[52:53], s[10:11]
	s_cbranch_execz .LBB192_27
; %bb.26:                               ;   in Loop: Header=BB192_14 Depth=1
	v_and_b32_e32 v35, 7, v20
	v_ffbh_u32_e32 v40, v35
	v_min_u32_e32 v42, 32, v40
	v_subrev_u32_e32 v40, 28, v42
	v_lshlrev_b64 v[40:41], v40, v[20:21]
	v_lshrrev_b32_e32 v39, 3, v38
	v_sub_u32_e32 v20, 29, v42
	v_and_b32_e32 v40, 7, v40
	v_cmp_gt_u32_e64 s[10:11], 8, v38
	v_cndmask_b32_e64 v20, v39, v20, s[10:11]
	v_cndmask_b32_e64 v35, v35, v40, s[10:11]
	v_lshlrev_b32_e32 v37, 24, v37
	v_lshlrev_b32_e32 v35, 20, v35
	v_and_b32_e32 v37, 0x80000000, v37
	v_lshl_add_u32 v20, v20, 23, v31
	v_or3_b32 v35, v37, v20, v35
.LBB192_27:                             ;   in Loop: Header=BB192_14 Depth=1
	s_or_b64 exec, exec, s[52:53]
.LBB192_28:                             ;   in Loop: Header=BB192_14 Depth=1
	s_or_b64 exec, exec, s[50:51]
.LBB192_29:                             ;   in Loop: Header=BB192_14 Depth=1
	s_or_b64 exec, exec, s[48:49]
	global_load_ubyte v39, v[18:19], off offset:128
	v_mov_b32_e32 v37, 0
	v_mov_b32_e32 v38, 0
	s_waitcnt vmcnt(0)
	v_cmp_ne_u16_e64 s[10:11], 0, v39
	s_and_saveexec_b64 s[48:49], s[10:11]
	s_cbranch_execz .LBB192_35
; %bb.30:                               ;   in Loop: Header=BB192_14 Depth=1
	v_cmp_ne_u16_e64 s[10:11], s62, v39
	v_bfrev_b32_e32 v38, 1
	s_and_saveexec_b64 s[50:51], s[10:11]
	s_cbranch_execz .LBB192_34
; %bb.31:                               ;   in Loop: Header=BB192_14 Depth=1
	v_and_b32_e32 v20, 0xffff, v39
	v_and_b32_e32 v40, 0x7f, v20
	v_cmp_ne_u32_e64 s[10:11], s63, v40
	v_mov_b32_e32 v38, 0x7f800001
	s_and_saveexec_b64 s[52:53], s[10:11]
	s_cbranch_execz .LBB192_33
; %bb.32:                               ;   in Loop: Header=BB192_14 Depth=1
	v_and_b32_e32 v38, 7, v20
	v_ffbh_u32_e32 v42, v38
	v_min_u32_e32 v44, 32, v42
	v_subrev_u32_e32 v42, 28, v44
	v_lshlrev_b64 v[42:43], v42, v[20:21]
	v_lshrrev_b32_e32 v41, 3, v40
	v_sub_u32_e32 v20, 29, v44
	v_and_b32_e32 v42, 7, v42
	v_cmp_gt_u32_e64 s[10:11], 8, v40
	v_cndmask_b32_e64 v20, v41, v20, s[10:11]
	v_cndmask_b32_e64 v38, v38, v42, s[10:11]
	v_lshlrev_b32_e32 v39, 24, v39
	v_lshlrev_b32_e32 v38, 20, v38
	v_and_b32_e32 v39, 0x80000000, v39
	v_lshl_add_u32 v20, v20, 23, v31
	v_or3_b32 v38, v39, v20, v38
.LBB192_33:                             ;   in Loop: Header=BB192_14 Depth=1
	s_or_b64 exec, exec, s[52:53]
.LBB192_34:                             ;   in Loop: Header=BB192_14 Depth=1
	s_or_b64 exec, exec, s[50:51]
.LBB192_35:                             ;   in Loop: Header=BB192_14 Depth=1
	s_or_b64 exec, exec, s[48:49]
	global_load_ubyte v39, v[18:19], off offset:136
	s_waitcnt vmcnt(0)
	v_cmp_ne_u16_e64 s[10:11], 0, v39
	s_and_saveexec_b64 s[48:49], s[10:11]
	s_cbranch_execz .LBB192_41
; %bb.36:                               ;   in Loop: Header=BB192_14 Depth=1
	v_cmp_ne_u16_e64 s[10:11], s62, v39
	v_bfrev_b32_e32 v37, 1
	s_and_saveexec_b64 s[50:51], s[10:11]
	s_cbranch_execz .LBB192_40
; %bb.37:                               ;   in Loop: Header=BB192_14 Depth=1
	v_and_b32_e32 v20, 0xffff, v39
	v_and_b32_e32 v40, 0x7f, v20
	v_cmp_ne_u32_e64 s[10:11], s63, v40
	v_mov_b32_e32 v37, 0x7f800001
	s_and_saveexec_b64 s[52:53], s[10:11]
	s_cbranch_execz .LBB192_39
; %bb.38:                               ;   in Loop: Header=BB192_14 Depth=1
	v_and_b32_e32 v37, 7, v20
	v_ffbh_u32_e32 v42, v37
	v_min_u32_e32 v44, 32, v42
	v_subrev_u32_e32 v42, 28, v44
	v_lshlrev_b64 v[42:43], v42, v[20:21]
	v_lshrrev_b32_e32 v41, 3, v40
	v_sub_u32_e32 v20, 29, v44
	v_and_b32_e32 v42, 7, v42
	v_cmp_gt_u32_e64 s[10:11], 8, v40
	v_cndmask_b32_e64 v20, v41, v20, s[10:11]
	v_cndmask_b32_e64 v37, v37, v42, s[10:11]
	v_lshlrev_b32_e32 v39, 24, v39
	v_lshlrev_b32_e32 v37, 20, v37
	v_and_b32_e32 v39, 0x80000000, v39
	v_lshl_add_u32 v20, v20, 23, v31
	v_or3_b32 v37, v39, v20, v37
.LBB192_39:                             ;   in Loop: Header=BB192_14 Depth=1
	s_or_b64 exec, exec, s[52:53]
.LBB192_40:                             ;   in Loop: Header=BB192_14 Depth=1
	s_or_b64 exec, exec, s[50:51]
.LBB192_41:                             ;   in Loop: Header=BB192_14 Depth=1
	s_or_b64 exec, exec, s[48:49]
	global_load_ubyte v41, v[18:19], off offset:256
	v_mov_b32_e32 v39, 0
	v_mov_b32_e32 v40, 0
	s_waitcnt vmcnt(0)
	v_cmp_ne_u16_e64 s[10:11], 0, v41
	s_and_saveexec_b64 s[48:49], s[10:11]
	s_cbranch_execz .LBB192_47
; %bb.42:                               ;   in Loop: Header=BB192_14 Depth=1
	v_cmp_ne_u16_e64 s[10:11], s62, v41
	v_bfrev_b32_e32 v40, 1
	s_and_saveexec_b64 s[50:51], s[10:11]
	s_cbranch_execz .LBB192_46
; %bb.43:                               ;   in Loop: Header=BB192_14 Depth=1
	v_and_b32_e32 v20, 0xffff, v41
	v_and_b32_e32 v42, 0x7f, v20
	v_cmp_ne_u32_e64 s[10:11], s63, v42
	v_mov_b32_e32 v40, 0x7f800001
	s_and_saveexec_b64 s[52:53], s[10:11]
	s_cbranch_execz .LBB192_45
; %bb.44:                               ;   in Loop: Header=BB192_14 Depth=1
	v_and_b32_e32 v40, 7, v20
	v_ffbh_u32_e32 v44, v40
	v_min_u32_e32 v46, 32, v44
	v_subrev_u32_e32 v44, 28, v46
	v_lshlrev_b64 v[44:45], v44, v[20:21]
	v_lshrrev_b32_e32 v43, 3, v42
	v_sub_u32_e32 v20, 29, v46
	v_and_b32_e32 v44, 7, v44
	v_cmp_gt_u32_e64 s[10:11], 8, v42
	v_cndmask_b32_e64 v20, v43, v20, s[10:11]
	v_cndmask_b32_e64 v40, v40, v44, s[10:11]
	v_lshlrev_b32_e32 v41, 24, v41
	v_lshlrev_b32_e32 v40, 20, v40
	v_and_b32_e32 v41, 0x80000000, v41
	v_lshl_add_u32 v20, v20, 23, v31
	v_or3_b32 v40, v41, v20, v40
.LBB192_45:                             ;   in Loop: Header=BB192_14 Depth=1
	s_or_b64 exec, exec, s[52:53]
.LBB192_46:                             ;   in Loop: Header=BB192_14 Depth=1
	s_or_b64 exec, exec, s[50:51]
.LBB192_47:                             ;   in Loop: Header=BB192_14 Depth=1
	s_or_b64 exec, exec, s[48:49]
	global_load_ubyte v41, v[18:19], off offset:264
	s_waitcnt vmcnt(0)
	v_cmp_ne_u16_e64 s[10:11], 0, v41
	s_and_saveexec_b64 s[48:49], s[10:11]
	s_cbranch_execz .LBB192_53
; %bb.48:                               ;   in Loop: Header=BB192_14 Depth=1
	v_cmp_ne_u16_e64 s[10:11], s62, v41
	v_bfrev_b32_e32 v39, 1
	s_and_saveexec_b64 s[50:51], s[10:11]
	s_cbranch_execz .LBB192_52
; %bb.49:                               ;   in Loop: Header=BB192_14 Depth=1
	v_and_b32_e32 v20, 0xffff, v41
	v_and_b32_e32 v42, 0x7f, v20
	v_cmp_ne_u32_e64 s[10:11], s63, v42
	v_mov_b32_e32 v39, 0x7f800001
	s_and_saveexec_b64 s[52:53], s[10:11]
	s_cbranch_execz .LBB192_51
; %bb.50:                               ;   in Loop: Header=BB192_14 Depth=1
	v_and_b32_e32 v39, 7, v20
	v_ffbh_u32_e32 v44, v39
	v_min_u32_e32 v46, 32, v44
	v_subrev_u32_e32 v44, 28, v46
	v_lshlrev_b64 v[44:45], v44, v[20:21]
	v_lshrrev_b32_e32 v43, 3, v42
	v_sub_u32_e32 v20, 29, v46
	v_and_b32_e32 v44, 7, v44
	v_cmp_gt_u32_e64 s[10:11], 8, v42
	v_cndmask_b32_e64 v20, v43, v20, s[10:11]
	v_cndmask_b32_e64 v39, v39, v44, s[10:11]
	v_lshlrev_b32_e32 v41, 24, v41
	v_lshlrev_b32_e32 v39, 20, v39
	v_and_b32_e32 v41, 0x80000000, v41
	v_lshl_add_u32 v20, v20, 23, v31
	v_or3_b32 v39, v41, v20, v39
.LBB192_51:                             ;   in Loop: Header=BB192_14 Depth=1
	s_or_b64 exec, exec, s[52:53]
.LBB192_52:                             ;   in Loop: Header=BB192_14 Depth=1
	s_or_b64 exec, exec, s[50:51]
.LBB192_53:                             ;   in Loop: Header=BB192_14 Depth=1
	s_or_b64 exec, exec, s[48:49]
	global_load_ubyte v43, v[18:19], off offset:384
	v_mov_b32_e32 v41, 0
	v_mov_b32_e32 v42, 0
	s_waitcnt vmcnt(0)
	v_cmp_ne_u16_e64 s[10:11], 0, v43
	s_and_saveexec_b64 s[48:49], s[10:11]
	s_cbranch_execz .LBB192_59
; %bb.54:                               ;   in Loop: Header=BB192_14 Depth=1
	v_cmp_ne_u16_e64 s[10:11], s62, v43
	v_bfrev_b32_e32 v42, 1
	s_and_saveexec_b64 s[50:51], s[10:11]
	s_cbranch_execz .LBB192_58
; %bb.55:                               ;   in Loop: Header=BB192_14 Depth=1
	v_and_b32_e32 v20, 0xffff, v43
	v_and_b32_e32 v44, 0x7f, v20
	v_cmp_ne_u32_e64 s[10:11], s63, v44
	v_mov_b32_e32 v42, 0x7f800001
	s_and_saveexec_b64 s[52:53], s[10:11]
	s_cbranch_execz .LBB192_57
; %bb.56:                               ;   in Loop: Header=BB192_14 Depth=1
	v_and_b32_e32 v42, 7, v20
	v_ffbh_u32_e32 v46, v42
	v_min_u32_e32 v48, 32, v46
	v_subrev_u32_e32 v46, 28, v48
	v_lshlrev_b64 v[46:47], v46, v[20:21]
	v_lshrrev_b32_e32 v45, 3, v44
	v_sub_u32_e32 v20, 29, v48
	v_and_b32_e32 v46, 7, v46
	v_cmp_gt_u32_e64 s[10:11], 8, v44
	v_cndmask_b32_e64 v20, v45, v20, s[10:11]
	v_cndmask_b32_e64 v42, v42, v46, s[10:11]
	v_lshlrev_b32_e32 v43, 24, v43
	v_lshlrev_b32_e32 v42, 20, v42
	v_and_b32_e32 v43, 0x80000000, v43
	v_lshl_add_u32 v20, v20, 23, v31
	v_or3_b32 v42, v43, v20, v42
.LBB192_57:                             ;   in Loop: Header=BB192_14 Depth=1
	s_or_b64 exec, exec, s[52:53]
.LBB192_58:                             ;   in Loop: Header=BB192_14 Depth=1
	s_or_b64 exec, exec, s[50:51]
.LBB192_59:                             ;   in Loop: Header=BB192_14 Depth=1
	s_or_b64 exec, exec, s[48:49]
	global_load_ubyte v19, v[18:19], off offset:392
	s_waitcnt vmcnt(0)
	v_cmp_ne_u16_e64 s[10:11], 0, v19
	s_and_saveexec_b64 s[48:49], s[10:11]
	s_cbranch_execz .LBB192_65
; %bb.60:                               ;   in Loop: Header=BB192_14 Depth=1
	v_cmp_ne_u16_e64 s[10:11], s62, v19
	v_bfrev_b32_e32 v41, 1
	s_and_saveexec_b64 s[50:51], s[10:11]
	s_cbranch_execz .LBB192_64
; %bb.61:                               ;   in Loop: Header=BB192_14 Depth=1
	v_and_b32_e32 v18, 0xffff, v19
	v_and_b32_e32 v20, 0x7f, v18
	v_cmp_ne_u32_e64 s[10:11], s63, v20
	v_mov_b32_e32 v41, 0x7f800001
	s_and_saveexec_b64 s[52:53], s[10:11]
	s_cbranch_execz .LBB192_63
; %bb.62:                               ;   in Loop: Header=BB192_14 Depth=1
	v_and_b32_e32 v41, 7, v18
	v_ffbh_u32_e32 v44, v41
	v_min_u32_e32 v46, 32, v44
	v_subrev_u32_e32 v44, 28, v46
	v_lshlrev_b64 v[44:45], v44, v[18:19]
	v_lshrrev_b32_e32 v43, 3, v20
	v_sub_u32_e32 v18, 29, v46
	v_and_b32_e32 v44, 7, v44
	v_cmp_gt_u32_e64 s[10:11], 8, v20
	v_cndmask_b32_e64 v18, v43, v18, s[10:11]
	v_cndmask_b32_e64 v20, v41, v44, s[10:11]
	v_lshlrev_b32_e32 v19, 24, v19
	v_lshlrev_b32_e32 v20, 20, v20
	v_and_b32_e32 v19, 0x80000000, v19
	v_lshl_add_u32 v18, v18, 23, v31
	v_or3_b32 v41, v19, v18, v20
.LBB192_63:                             ;   in Loop: Header=BB192_14 Depth=1
	s_or_b64 exec, exec, s[52:53]
.LBB192_64:                             ;   in Loop: Header=BB192_14 Depth=1
	s_or_b64 exec, exec, s[50:51]
.LBB192_65:                             ;   in Loop: Header=BB192_14 Depth=1
	s_or_b64 exec, exec, s[48:49]
	s_waitcnt lgkmcnt(0)
	v_mul_f32_e32 v35, s64, v35
	v_mul_f32_e32 v36, s64, v36
	;; [unrolled: 1-line block ×4, first 2 shown]
	v_fmac_f32_e32 v7, v6, v36
	v_mul_f32_e32 v37, s64, v37
	v_fmac_f32_e32 v7, v8, v38
	v_mul_f32_e32 v19, s64, v39
	v_mul_f32_e32 v20, s64, v40
	v_and_b32_e32 v39, 64, v33
	v_fmac_f32_e32 v7, v9, v37
	v_add_u32_e32 v39, 64, v39
	v_xor_b32_e32 v40, 4, v33
	v_fmac_f32_e32 v7, v2, v20
	v_mul_f32_e32 v18, s64, v42
	v_cmp_lt_i32_e64 s[10:11], v40, v39
	v_fmac_f32_e32 v7, v3, v19
	v_cndmask_b32_e64 v40, v33, v40, s[10:11]
	v_mul_f32_e32 v41, s64, v41
	v_fmac_f32_e32 v7, v4, v18
	v_lshlrev_b32_e32 v40, 2, v40
	v_fmac_f32_e32 v7, v5, v41
	ds_bpermute_b32 v2, v40, v7
	v_xor_b32_e32 v3, 2, v33
	v_cmp_lt_i32_e64 s[10:11], v3, v39
	v_cndmask_b32_e64 v3, v33, v3, s[10:11]
	v_lshlrev_b32_e32 v3, 2, v3
	s_waitcnt lgkmcnt(0)
	v_add_f32_e32 v2, v7, v2
	ds_bpermute_b32 v3, v3, v2
	v_xor_b32_e32 v4, 1, v33
	v_cmp_lt_i32_e64 s[10:11], v4, v39
	v_cndmask_b32_e64 v4, v33, v4, s[10:11]
	v_lshlrev_b32_e32 v4, 2, v4
	s_waitcnt lgkmcnt(0)
	v_add_f32_e32 v2, v2, v3
	ds_bpermute_b32 v3, v4, v2
	s_and_saveexec_b64 s[48:49], vcc
	s_cbranch_execz .LBB192_12
; %bb.66:                               ;   in Loop: Header=BB192_14 Depth=1
	v_add_u32_e32 v4, v29, v27
	v_cvt_f32_i32_e32 v4, v4
	s_waitcnt lgkmcnt(0)
	v_add_f32_e32 v2, v2, v3
	v_add_u32_e32 v5, v23, v27
	v_cmp_gt_i32_e64 s[10:11], s33, v5
	v_mul_f32_e32 v3, s7, v4
	v_cndmask_b32_e64 v3, 0, v3, s[4:5]
	v_fmac_f32_e32 v3, s45, v2
	v_cndmask_b32_e64 v2, 0, v3, s[10:11]
	ds_write_b32 v28, v2
	v_max_f32_e32 v2, v25, v25
	v_max_f32_e32 v2, v2, v3
	v_cndmask_b32_e64 v25, v25, v2, s[10:11]
	s_branch .LBB192_12
.LBB192_67:
	s_or_b64 exec, exec, s[46:47]
.LBB192_68:
	s_or_b64 exec, exec, s[22:23]
	v_mbcnt_hi_u32_b32 v2, -1, v22
	s_waitcnt lgkmcnt(0)
	v_and_b32_e32 v3, 64, v2
	v_add_u32_e32 v3, 64, v3
	v_xor_b32_e32 v4, 32, v2
	v_cmp_lt_i32_e32 vcc, v4, v3
	v_cndmask_b32_e32 v4, v2, v4, vcc
	v_lshlrev_b32_e32 v6, 2, v4
	ds_bpermute_b32 v4, v6, v25
	v_xor_b32_e32 v7, 16, v2
	v_max_f32_e32 v5, v25, v25
	v_cmp_lt_i32_e32 vcc, v7, v3
	v_and_b32_e32 v33, 63, v0
	s_waitcnt lgkmcnt(0)
	v_max_f32_e32 v4, v4, v4
	v_max_f32_e32 v4, v5, v4
	v_cndmask_b32_e32 v5, v2, v7, vcc
	v_lshlrev_b32_e32 v8, 2, v5
	ds_bpermute_b32 v5, v8, v4
	v_xor_b32_e32 v7, 8, v2
	v_cmp_lt_i32_e32 vcc, v7, v3
	s_waitcnt lgkmcnt(0)
	v_max_f32_e32 v5, v5, v5
	v_max_f32_e32 v4, v4, v5
	v_cndmask_b32_e32 v5, v2, v7, vcc
	v_lshlrev_b32_e32 v9, 2, v5
	ds_bpermute_b32 v7, v9, v4
	v_cmp_eq_u32_e32 vcc, 0, v33
	v_lshlrev_b32_e32 v5, 2, v21
	s_and_saveexec_b64 s[4:5], vcc
	s_cbranch_execz .LBB192_70
; %bb.69:
	s_waitcnt lgkmcnt(0)
	v_max_f32_e32 v7, v7, v7
	v_max_f32_e32 v4, v4, v4
	;; [unrolled: 1-line block ×3, first 2 shown]
	ds_write_b32 v5, v4 offset:256
.LBB192_70:
	s_or_b64 exec, exec, s[4:5]
	v_cmp_gt_u32_e64 s[4:5], 2, v33
	v_mov_b32_e32 v4, 0xff7fffff
	s_waitcnt lgkmcnt(0)
	v_lshlrev_b32_e32 v7, 2, v33
	s_barrier
	s_and_saveexec_b64 s[10:11], s[4:5]
	s_cbranch_execz .LBB192_72
; %bb.71:
	ds_read_b32 v4, v7 offset:256
.LBB192_72:
	s_or_b64 exec, exec, s[10:11]
	v_xor_b32_e32 v12, 1, v2
	v_cmp_lt_i32_e64 s[10:11], v12, v3
	v_cndmask_b32_e64 v12, v2, v12, s[10:11]
	v_lshlrev_b32_e32 v34, 2, v12
	s_waitcnt lgkmcnt(0)
	ds_bpermute_b32 v12, v34, v4
	v_max_f32_e32 v4, v4, v4
	s_sub_i32 s7, s56, s20
	s_lshl_b32 s7, s7, 3
	s_add_i32 s7, s7, s58
	s_waitcnt lgkmcnt(0)
	v_max_f32_e32 v12, v12, v12
	v_max_f32_e32 v4, v4, v12
	v_lshlrev_b32_e32 v12, 2, v2
	v_and_b32_e32 v12, 0x100, v12
	ds_bpermute_b32 v4, v12, v4
	s_min_i32 s45, s7, s33
	s_sub_i32 s7, s45, s58
	v_cmp_gt_i32_e64 s[10:11], s7, v0
	v_mov_b32_e32 v14, 0
	s_and_saveexec_b64 s[16:17], s[10:11]
	s_cbranch_execz .LBB192_76
; %bb.73:
	v_mov_b32_e32 v14, 0x110
	v_lshl_add_u32 v15, v0, 2, v14
	s_mov_b64 s[22:23], 0
	v_mov_b32_e32 v14, 0
	v_mov_b32_e32 v16, v0
.LBB192_74:                             ; =>This Inner Loop Header: Depth=1
	ds_read_b32 v17, v15
	v_add_u32_e32 v16, 0x80, v16
	v_cmp_le_i32_e64 s[12:13], s7, v16
	s_or_b64 s[22:23], s[12:13], s[22:23]
	s_waitcnt lgkmcnt(0)
	v_sub_f32_e32 v17, v17, v4
	v_mul_f32_e32 v17, 0x3fb8aa3b, v17
	v_exp_f32_e32 v17, v17
	ds_write_b32 v15, v17
	v_add_f32_e32 v14, v14, v17
	v_add_u32_e32 v15, 0x200, v15
	s_andn2_b64 exec, exec, s[22:23]
	s_cbranch_execnz .LBB192_74
; %bb.75:
	s_or_b64 exec, exec, s[22:23]
.LBB192_76:
	s_or_b64 exec, exec, s[16:17]
	ds_bpermute_b32 v6, v6, v14
	s_waitcnt lgkmcnt(0)
	v_add_f32_e32 v6, v14, v6
	ds_bpermute_b32 v8, v8, v6
	s_waitcnt lgkmcnt(0)
	v_add_f32_e32 v6, v6, v8
	ds_bpermute_b32 v8, v9, v6
	v_xor_b32_e32 v9, 4, v2
	v_cmp_lt_i32_e64 s[12:13], v9, v3
	v_cndmask_b32_e64 v9, v2, v9, s[12:13]
	v_lshlrev_b32_e32 v9, 2, v9
	s_waitcnt lgkmcnt(0)
	v_add_f32_e32 v6, v6, v8
	ds_bpermute_b32 v8, v9, v6
	v_xor_b32_e32 v9, 2, v2
	v_cmp_lt_i32_e64 s[12:13], v9, v3
	v_cndmask_b32_e64 v2, v2, v9, s[12:13]
	v_lshlrev_b32_e32 v2, 2, v2
	s_waitcnt lgkmcnt(0)
	v_add_f32_e32 v3, v6, v8
	ds_bpermute_b32 v2, v2, v3
	s_waitcnt lgkmcnt(0)
	v_add_f32_e32 v2, v3, v2
	ds_bpermute_b32 v3, v34, v2
	s_waitcnt lgkmcnt(0)
	v_add_f32_e32 v2, v2, v3
	s_and_saveexec_b64 s[12:13], vcc
	s_cbranch_execz .LBB192_78
; %bb.77:
	ds_write_b32 v5, v2 offset:264
.LBB192_78:
	s_or_b64 exec, exec, s[12:13]
	s_waitcnt lgkmcnt(0)
	s_barrier
	s_and_saveexec_b64 s[12:13], s[4:5]
	s_cbranch_execz .LBB192_80
; %bb.79:
	ds_read_b32 v2, v7 offset:264
.LBB192_80:
	s_or_b64 exec, exec, s[12:13]
	s_waitcnt lgkmcnt(0)
	ds_bpermute_b32 v3, v34, v2
	s_waitcnt lgkmcnt(0)
	v_add_f32_e32 v2, v2, v3
	ds_bpermute_b32 v5, v12, v2
	s_and_saveexec_b64 s[4:5], s[10:11]
	s_cbranch_execz .LBB192_93
; %bb.81:
	s_waitcnt lgkmcnt(0)
	v_add_f32_e32 v2, 0x358637bd, v5
	v_div_scale_f32 v3, s[10:11], v2, v2, 1.0
	v_rcp_f32_e32 v6, v3
	v_div_scale_f32 v7, vcc, 1.0, v2, 1.0
	s_movk_i32 s10, 0x7f
	v_fma_f32 v8, -v3, v6, 1.0
	v_fmac_f32_e32 v6, v8, v6
	v_mul_f32_e32 v8, v7, v6
	v_fma_f32 v9, -v3, v8, v7
	v_fmac_f32_e32 v8, v9, v6
	v_fma_f32 v3, -v3, v8, v7
	v_div_fmas_f32 v3, v3, v6, v8
	v_div_fixup_f32 v2, v3, v2, 1.0
	v_xad_u32 v3, v0, -1, s45
	v_subrev_u32_e32 v6, s58, v3
	v_cmp_lt_u32_e32 vcc, s10, v6
	s_mov_b64 s[12:13], -1
	v_mov_b32_e32 v3, v0
	s_and_saveexec_b64 s[10:11], vcc
	s_cbranch_execz .LBB192_90
; %bb.82:
	v_lshrrev_b32_e32 v6, 7, v6
	v_add_u32_e32 v8, -1, v6
	v_lshrrev_b32_e32 v7, 1, v8
	v_mov_b32_e32 v3, v2
	v_add_u32_e32 v7, 1, v7
	v_cmp_lt_u32_e32 vcc, 13, v8
	v_mov_b32_e32 v12, 0
	s_and_saveexec_b64 s[12:13], vcc
	s_cbranch_execz .LBB192_86
; %bb.83:
	v_mov_b32_e32 v9, 0x110
	v_and_b32_e32 v8, -8, v7
	v_lshl_add_u32 v9, v0, 2, v9
	s_mov_b32 s22, 0
	s_mov_b64 s[16:17], 0
.LBB192_84:                             ; =>This Inner Loop Header: Depth=1
	ds_read2st64_b32 v[14:15], v9 offset1:2
	ds_read2st64_b32 v[16:17], v9 offset0:4 offset1:6
	ds_read2st64_b32 v[18:19], v9 offset0:8 offset1:10
	;; [unrolled: 1-line block ×3, first 2 shown]
	v_add_u32_e32 v8, -8, v8
	s_waitcnt lgkmcnt(3)
	v_pk_mul_f32 v[14:15], v[2:3], v[14:15]
	s_waitcnt lgkmcnt(2)
	v_pk_mul_f32 v[16:17], v[2:3], v[16:17]
	ds_write2st64_b32 v9, v14, v15 offset1:2
	ds_write2st64_b32 v9, v16, v17 offset0:4 offset1:6
	ds_read2st64_b32 v[16:17], v9 offset0:16 offset1:18
	s_waitcnt lgkmcnt(4)
	v_pk_mul_f32 v[14:15], v[2:3], v[18:19]
	ds_write2st64_b32 v9, v14, v15 offset0:8 offset1:10
	s_waitcnt lgkmcnt(4)
	v_pk_mul_f32 v[14:15], v[2:3], v[22:23]
	ds_write2st64_b32 v9, v14, v15 offset0:12 offset1:14
	ds_read2st64_b32 v[14:15], v9 offset0:20 offset1:22
	s_waitcnt lgkmcnt(3)
	v_pk_mul_f32 v[16:17], v[2:3], v[16:17]
	ds_read2st64_b32 v[18:19], v9 offset0:24 offset1:26
	ds_write2st64_b32 v9, v16, v17 offset0:16 offset1:18
	ds_read2st64_b32 v[16:17], v9 offset0:28 offset1:30
	s_waitcnt lgkmcnt(3)
	v_pk_mul_f32 v[14:15], v[2:3], v[14:15]
	ds_write2st64_b32 v9, v14, v15 offset0:20 offset1:22
	s_waitcnt lgkmcnt(3)
	v_pk_mul_f32 v[14:15], v[2:3], v[18:19]
	ds_write2st64_b32 v9, v14, v15 offset0:24 offset1:26
	s_waitcnt lgkmcnt(2)
	v_pk_mul_f32 v[14:15], v[2:3], v[16:17]
	s_add_i32 s22, s22, 16
	v_cmp_eq_u32_e32 vcc, 0, v8
	ds_write2st64_b32 v9, v14, v15 offset0:28 offset1:30
	v_add_u32_e32 v9, 0x2000, v9
	s_or_b64 s[16:17], vcc, s[16:17]
	v_mov_b32_e32 v12, s22
	s_andn2_b64 exec, exec, s[16:17]
	s_cbranch_execnz .LBB192_84
; %bb.85:
	s_or_b64 exec, exec, s[16:17]
.LBB192_86:
	s_or_b64 exec, exec, s[12:13]
	v_and_b32_e32 v7, 7, v7
	v_cmp_ne_u32_e32 vcc, 0, v7
	s_and_saveexec_b64 s[12:13], vcc
	s_cbranch_execz .LBB192_89
; %bb.87:
	v_lshlrev_b32_e32 v8, 9, v12
	s_movk_i32 s16, 0x110
	v_add3_u32 v8, v8, v13, s16
	s_mov_b64 s[16:17], 0
.LBB192_88:                             ; =>This Inner Loop Header: Depth=1
	ds_read2st64_b32 v[14:15], v8 offset1:2
	v_add_u32_e32 v7, -1, v7
	v_cmp_eq_u32_e32 vcc, 0, v7
	s_or_b64 s[16:17], vcc, s[16:17]
	s_waitcnt lgkmcnt(0)
	v_pk_mul_f32 v[14:15], v[2:3], v[14:15]
	ds_write2st64_b32 v8, v14, v15 offset1:2
	v_add_u32_e32 v8, 0x400, v8
	s_andn2_b64 exec, exec, s[16:17]
	s_cbranch_execnz .LBB192_88
.LBB192_89:
	s_or_b64 exec, exec, s[12:13]
	v_add_u32_e32 v6, 1, v6
	v_and_b32_e32 v7, 0x3fffffe, v6
	v_cmp_ne_u32_e32 vcc, v6, v7
	v_lshl_add_u32 v3, v7, 7, v0
	s_orn2_b64 s[12:13], vcc, exec
.LBB192_90:
	s_or_b64 exec, exec, s[10:11]
	s_and_b64 exec, exec, s[12:13]
	s_cbranch_execz .LBB192_93
; %bb.91:
	v_mov_b32_e32 v6, 0x110
	v_lshl_add_u32 v6, v3, 2, v6
	s_mov_b64 s[10:11], 0
.LBB192_92:                             ; =>This Inner Loop Header: Depth=1
	ds_read_b32 v7, v6
	v_add_u32_e32 v3, 0x80, v3
	v_cmp_le_i32_e32 vcc, s7, v3
	s_or_b64 s[10:11], vcc, s[10:11]
	s_waitcnt lgkmcnt(0)
	v_mul_f32_e32 v7, v2, v7
	ds_write_b32 v6, v7
	v_add_u32_e32 v6, 0x200, v6
	s_andn2_b64 exec, exec, s[10:11]
	s_cbranch_execnz .LBB192_92
.LBB192_93:
	s_or_b64 exec, exec, s[4:5]
	s_mul_i32 s4, s15, s36
	v_cmp_eq_u32_e32 vcc, 0, v0
	s_mul_i32 s4, s4, s9
	s_waitcnt lgkmcnt(0)
	s_barrier
	s_and_saveexec_b64 s[10:11], vcc
	s_cbranch_execz .LBB192_95
; %bb.94:
	s_ashr_i32 s5, s4, 31
	s_lshl_b64 s[12:13], s[4:5], 2
	s_add_u32 s5, s30, s12
	s_mul_i32 s6, s15, s6
	s_addc_u32 s9, s31, s13
	s_ashr_i32 s7, s6, 31
	s_lshl_b64 s[6:7], s[6:7], 2
	s_add_u32 s5, s5, s6
	s_addc_u32 s17, s9, s7
	s_ashr_i32 s9, s8, 31
	s_lshl_b64 s[8:9], s[8:9], 2
	s_add_u32 s16, s5, s8
	s_addc_u32 s17, s17, s9
	s_add_u32 s5, s28, s12
	s_addc_u32 s12, s29, s13
	;; [unrolled: 2-line block ×3, first 2 shown]
	s_add_u32 s6, s5, s8
	v_mov_b32_e32 v2, 0
	s_addc_u32 s7, s7, s9
	global_store_dword v2, v4, s[16:17]
	global_store_dword v2, v5, s[6:7]
.LBB192_95:
	s_or_b64 exec, exec, s[10:11]
	s_mov_b32 s8, 0
	v_mov_b32_e32 v9, 0
	v_and_b32_e32 v35, 1, v0
	v_mov_b32_e32 v8, 0
	s_and_saveexec_b64 s[6:7], s[2:3]
	s_cbranch_execz .LBB192_153
; %bb.96:
	s_sub_i32 s5, s27, s25
	s_ashr_i32 s2, s57, 31
	s_add_u32 s3, s42, s57
	s_addc_u32 s2, s43, s2
	s_abs_i32 s30, s26
	v_cvt_f32_u32_e32 v2, s30
	s_sub_i32 s9, 0, s30
	v_and_b32_e32 v3, 0xfc, v13
	s_add_i32 s31, s24, -1
	v_rcp_iflag_f32_e32 v2, v2
	v_mov_b32_e32 v4, s2
	v_add_co_u32_e32 v6, vcc, s3, v3
	v_mul_f32_e32 v2, 0x4f7ffffe, v2
	v_cvt_u32_f32_e32 v2, v2
	s_lshl_b64 s[2:3], s[40:41], 2
	v_addc_co_u32_e32 v7, vcc, 0, v4, vcc
	v_mul_lo_u32 v5, s9, v2
	v_mul_hi_u32 v5, v2, v5
	v_add_u32_e32 v37, v2, v5
	v_lshlrev_b64 v[2:3], 2, v[10:11]
	s_add_u32 s2, s38, s2
	s_addc_u32 s3, s39, s3
	v_add_co_u32_e32 v12, vcc, s2, v2
	v_lshlrev_b32_e32 v2, 4, v35
	v_mov_b32_e32 v4, s3
	v_lshl_or_b32 v2, v21, 5, v2
	v_and_b32_e32 v36, 4, v13
	v_addc_co_u32_e32 v13, vcc, v4, v3, vcc
	v_add_u32_e32 v11, 0x110, v2
	s_mov_b64 s[10:11], 0
	v_mov_b32_e32 v14, 0
	s_movk_i32 s36, 0x80
	s_movk_i32 s38, 0x7f
	v_mov_b32_e32 v17, 0
	s_brev_b32 s9, 1
	s_mov_b32 s13, 0x7f800001
	s_mov_b32 s39, 0xffffff
	v_bfrev_b32_e32 v38, 60
	v_mov_b32_e32 v39, 7
	v_mov_b32_e32 v40, 24
	;; [unrolled: 1-line block ×4, first 2 shown]
	s_branch .LBB192_99
.LBB192_97:                             ;   in Loop: Header=BB192_99 Depth=1
	s_or_b64 exec, exec, s[2:3]
	v_mul_f32_e32 v15, v3, v19
	v_mul_f32_e32 v3, v3, v23
	v_fmac_f32_e32 v15, v2, v18
	v_fmac_f32_e32 v3, v2, v22
	;; [unrolled: 1-line block ×6, first 2 shown]
	v_add_f32_e32 v8, v8, v15
	v_add_f32_e32 v9, v9, v3
.LBB192_98:                             ;   in Loop: Header=BB192_99 Depth=1
	s_or_b64 exec, exec, s[16:17]
	v_add_co_u32_e32 v12, vcc, 8, v12
	v_add_u32_e32 v10, 2, v10
	v_addc_co_u32_e32 v13, vcc, 0, v13, vcc
	v_cmp_le_i32_e32 vcc, s56, v10
	v_add_u32_e32 v32, 16, v32
	s_or_b64 s[10:11], vcc, s[10:11]
	v_add_u32_e32 v11, 64, v11
	s_andn2_b64 exec, exec, s[10:11]
	s_cbranch_execz .LBB192_152
.LBB192_99:                             ; =>This Inner Loop Header: Depth=1
	v_sub_u32_e32 v3, 0, v32
	v_max_i32_e32 v3, v32, v3
	v_mul_hi_u32 v4, v3, s54
	v_mul_lo_u32 v5, v4, s37
	v_sub_u32_e32 v3, v3, v5
	v_add_u32_e32 v5, 1, v4
	v_cmp_le_u32_e32 vcc, s37, v3
	v_cndmask_b32_e32 v4, v4, v5, vcc
	v_subrev_u32_e32 v5, s37, v3
	v_cndmask_b32_e32 v3, v3, v5, vcc
	v_ashrrev_i32_e32 v2, 31, v32
	v_add_u32_e32 v5, 1, v4
	v_cmp_le_u32_e32 vcc, s37, v3
	v_xor_b32_e32 v2, s55, v2
	v_cndmask_b32_e32 v3, v4, v5, vcc
	v_xor_b32_e32 v3, v3, v2
	v_sub_u32_e32 v2, v3, v2
	v_add_u32_e32 v3, s44, v2
	v_sub_u32_e32 v5, 0, v3
	v_ashrrev_i32_e32 v4, 31, v3
	v_max_i32_e32 v3, v3, v5
	v_mul_hi_u32 v5, v3, v37
	v_mul_lo_u32 v5, v5, s30
	v_sub_u32_e32 v3, v3, v5
	v_subrev_u32_e32 v5, s30, v3
	v_cmp_le_u32_e32 vcc, s30, v3
	v_cndmask_b32_e32 v3, v3, v5, vcc
	v_subrev_u32_e32 v5, s30, v3
	v_cmp_le_u32_e32 vcc, s30, v3
	v_cndmask_b32_e32 v3, v3, v5, vcc
	v_xor_b32_e32 v3, v3, v4
	v_sub_u32_e32 v3, v3, v4
	v_cmp_eq_u32_e32 vcc, 0, v3
	v_cmp_lt_i32_e64 s[2:3], s5, v2
	s_or_b64 s[2:3], vcc, s[2:3]
	s_and_saveexec_b64 s[16:17], s[2:3]
	s_cbranch_execz .LBB192_98
; %bb.100:                              ;   in Loop: Header=BB192_99 Depth=1
	global_load_dword v2, v[12:13], off
	s_load_dword s22, s[18:19], 0x0
	v_pk_mov_b32 v[24:25], 0, 0
	v_pk_mov_b32 v[20:21], v[24:25], v[24:25] op_sel:[0,1]
	s_waitcnt vmcnt(0)
	v_mad_i64_i32 v[22:23], s[2:3], v2, s21, v[6:7]
	global_load_dword v18, v[22:23], off
	ds_read_b128 v[2:5], v11
	s_waitcnt vmcnt(0)
	v_cmp_ne_u16_sdwa s[24:25], v18, v14 src0_sel:BYTE_0 src1_sel:DWORD
	s_and_saveexec_b64 s[2:3], s[24:25]
	s_cbranch_execz .LBB192_106
; %bb.101:                              ;   in Loop: Header=BB192_99 Depth=1
	v_bfrev_b32_e32 v20, 1
	v_cmp_ne_u16_sdwa s[26:27], v18, s36 src0_sel:BYTE_0 src1_sel:DWORD
	v_mov_b32_e32 v21, 0
	s_and_saveexec_b64 s[24:25], s[26:27]
	s_cbranch_execz .LBB192_105
; %bb.102:                              ;   in Loop: Header=BB192_99 Depth=1
	v_and_b32_e32 v15, 0x7f, v18
	v_mov_b32_e32 v20, 0x7f800001
	v_cmp_ne_u32_e32 vcc, s38, v15
	v_mov_b32_e32 v21, 0
	s_and_saveexec_b64 s[26:27], vcc
	s_cbranch_execz .LBB192_104
; %bb.103:                              ;   in Loop: Header=BB192_99 Depth=1
	v_and_b32_e32 v16, 7, v18
	v_ffbh_u32_e32 v20, v16
	v_min_u32_e32 v26, 32, v20
	v_lshrrev_b32_e32 v19, 3, v15
	v_subrev_u32_e32 v20, 28, v26
	v_lshlrev_b64 v[20:21], v20, v[18:19]
	v_sub_u32_e32 v21, 29, v26
	v_and_b32_e32 v20, 7, v20
	v_cmp_gt_u32_e32 vcc, 8, v15
	v_cndmask_b32_e32 v15, v19, v21, vcc
	v_cndmask_b32_e32 v16, v16, v20, vcc
	v_lshlrev_b32_e32 v16, 20, v16
	v_and_b32_sdwa v19, sext(v18), s9 dst_sel:DWORD dst_unused:UNUSED_PAD src0_sel:BYTE_0 src1_sel:DWORD
	v_lshl_add_u32 v15, v15, 23, v38
	v_or3_b32 v16, v19, v15, v16
	v_pk_mov_b32 v[20:21], v[16:17], v[16:17] op_sel:[0,1]
.LBB192_104:                            ;   in Loop: Header=BB192_99 Depth=1
	s_or_b64 exec, exec, s[26:27]
.LBB192_105:                            ;   in Loop: Header=BB192_99 Depth=1
	s_or_b64 exec, exec, s[24:25]
.LBB192_106:                            ;   in Loop: Header=BB192_99 Depth=1
	s_or_b64 exec, exec, s[2:3]
	v_cmp_ne_u16_sdwa s[24:25], v18, v14 src0_sel:BYTE_1 src1_sel:DWORD
	s_and_saveexec_b64 s[2:3], s[24:25]
	s_cbranch_execz .LBB192_112
; %bb.107:                              ;   in Loop: Header=BB192_99 Depth=1
	v_cmp_ne_u16_sdwa s[26:27], v18, s36 src0_sel:BYTE_1 src1_sel:DWORD
	v_pk_mov_b32 v[24:25], s[8:9], s[8:9] op_sel:[0,1]
	s_and_saveexec_b64 s[24:25], s[26:27]
	s_cbranch_execz .LBB192_111
; %bb.108:                              ;   in Loop: Header=BB192_99 Depth=1
	v_and_b32_sdwa v15, v18, s38 dst_sel:DWORD dst_unused:UNUSED_PAD src0_sel:BYTE_1 src1_sel:DWORD
	s_mov_b32 s12, s8
	v_cmp_ne_u32_e32 vcc, s38, v15
	v_pk_mov_b32 v[24:25], s[12:13], s[12:13] op_sel:[0,1]
	s_and_saveexec_b64 s[26:27], vcc
	s_cbranch_execz .LBB192_110
; %bb.109:                              ;   in Loop: Header=BB192_99 Depth=1
	v_and_b32_sdwa v16, v18, v39 dst_sel:DWORD dst_unused:UNUSED_PAD src0_sel:BYTE_1 src1_sel:DWORD
	v_ffbh_u32_e32 v24, v16
	v_min_u32_e32 v26, 32, v24
	v_subrev_u32_e32 v24, 28, v26
	v_lshlrev_b64 v[24:25], v24, v[16:17]
	v_lshrrev_b32_e32 v19, 3, v15
	v_sub_u32_e32 v25, 29, v26
	v_cmp_gt_u32_e32 vcc, 8, v15
	v_and_b32_e32 v24, 7, v24
	v_cndmask_b32_e32 v15, v19, v25, vcc
	v_cndmask_b32_e32 v16, v16, v24, vcc
	v_lshlrev_b32_e32 v19, 16, v18
	v_lshl_add_u32 v15, v15, 23, v38
	v_and_or_b32 v15, v19, s9, v15
	v_lshlrev_b32_e32 v16, 20, v16
	v_or_b32_e32 v15, v15, v16
	v_pk_mov_b32 v[24:25], v[14:15], v[14:15] op_sel:[0,1]
.LBB192_110:                            ;   in Loop: Header=BB192_99 Depth=1
	s_or_b64 exec, exec, s[26:27]
.LBB192_111:                            ;   in Loop: Header=BB192_99 Depth=1
	s_or_b64 exec, exec, s[24:25]
.LBB192_112:                            ;   in Loop: Header=BB192_99 Depth=1
	s_or_b64 exec, exec, s[2:3]
	v_lshrrev_b32_e32 v16, 16, v18
	v_pk_mov_b32 v[28:29], 0, 0
	v_cmp_ne_u16_sdwa s[24:25], v16, v14 src0_sel:BYTE_0 src1_sel:DWORD
	v_pk_mov_b32 v[26:27], v[28:29], v[28:29] op_sel:[0,1]
	s_and_saveexec_b64 s[2:3], s[24:25]
	s_cbranch_execz .LBB192_118
; %bb.113:                              ;   in Loop: Header=BB192_99 Depth=1
	v_bfrev_b32_e32 v26, 1
	v_cmp_ne_u16_sdwa s[26:27], v16, s36 src0_sel:BYTE_0 src1_sel:DWORD
	v_mov_b32_e32 v27, 0
	s_and_saveexec_b64 s[24:25], s[26:27]
	s_cbranch_execz .LBB192_117
; %bb.114:                              ;   in Loop: Header=BB192_99 Depth=1
	v_bfe_u32 v15, v18, 16, 7
	v_mov_b32_e32 v26, 0x7f800001
	v_cmp_ne_u32_e32 vcc, s38, v15
	v_mov_b32_e32 v27, 0
	s_and_saveexec_b64 s[26:27], vcc
	s_cbranch_execz .LBB192_116
; %bb.115:                              ;   in Loop: Header=BB192_99 Depth=1
	v_and_b32_e32 v19, 7, v16
	v_ffbh_u32_e32 v26, v19
	v_min_u32_e32 v31, 32, v26
	v_subrev_u32_e32 v26, 28, v31
	v_lshlrev_b64 v[26:27], v26, v[16:17]
	v_lshrrev_b32_e32 v30, 3, v15
	v_sub_u32_e32 v27, 29, v31
	v_and_b32_e32 v26, 7, v26
	v_cmp_gt_u32_e32 vcc, 8, v15
	v_cndmask_b32_e32 v15, v30, v27, vcc
	v_cndmask_b32_e32 v19, v19, v26, vcc
	v_lshlrev_b32_e32 v19, 20, v19
	v_and_b32_sdwa v16, sext(v16), s9 dst_sel:DWORD dst_unused:UNUSED_PAD src0_sel:BYTE_0 src1_sel:DWORD
	v_lshl_add_u32 v15, v15, 23, v38
	v_or3_b32 v16, v16, v15, v19
	v_pk_mov_b32 v[26:27], v[16:17], v[16:17] op_sel:[0,1]
.LBB192_116:                            ;   in Loop: Header=BB192_99 Depth=1
	s_or_b64 exec, exec, s[26:27]
.LBB192_117:                            ;   in Loop: Header=BB192_99 Depth=1
	s_or_b64 exec, exec, s[24:25]
.LBB192_118:                            ;   in Loop: Header=BB192_99 Depth=1
	s_or_b64 exec, exec, s[2:3]
	v_cmp_lt_u32_e32 vcc, s39, v18
	s_and_saveexec_b64 s[2:3], vcc
	s_cbranch_execz .LBB192_124
; %bb.119:                              ;   in Loop: Header=BB192_99 Depth=1
	v_cmp_ne_u32_sdwa s[26:27], v18, s36 src0_sel:BYTE_3 src1_sel:DWORD
	v_pk_mov_b32 v[28:29], s[8:9], s[8:9] op_sel:[0,1]
	s_and_saveexec_b64 s[24:25], s[26:27]
	s_cbranch_execz .LBB192_123
; %bb.120:                              ;   in Loop: Header=BB192_99 Depth=1
	v_bfe_u32 v15, v18, 24, 7
	s_mov_b32 s12, s8
	v_cmp_ne_u32_e32 vcc, s38, v15
	v_pk_mov_b32 v[28:29], s[12:13], s[12:13] op_sel:[0,1]
	s_and_saveexec_b64 s[26:27], vcc
	s_cbranch_execz .LBB192_122
; %bb.121:                              ;   in Loop: Header=BB192_99 Depth=1
	v_and_b32_sdwa v16, v18, v39 dst_sel:DWORD dst_unused:UNUSED_PAD src0_sel:BYTE_3 src1_sel:DWORD
	v_ffbh_u32_e32 v28, v16
	v_min_u32_e32 v30, 32, v28
	v_subrev_u32_e32 v28, 28, v30
	v_lshlrev_b64 v[28:29], v28, v[16:17]
	v_lshrrev_b32_e32 v19, 3, v15
	v_sub_u32_e32 v29, 29, v30
	v_cmp_gt_u32_e32 vcc, 8, v15
	v_and_b32_e32 v28, 7, v28
	v_cndmask_b32_e32 v15, v19, v29, vcc
	v_cndmask_b32_e32 v16, v16, v28, vcc
	v_lshlrev_b32_sdwa v18, v40, v18 dst_sel:DWORD dst_unused:UNUSED_PAD src0_sel:DWORD src1_sel:BYTE_3
	v_lshl_add_u32 v15, v15, 23, v38
	v_and_or_b32 v15, v18, s9, v15
	v_lshlrev_b32_e32 v16, 20, v16
	v_or_b32_e32 v15, v15, v16
	v_pk_mov_b32 v[28:29], v[14:15], v[14:15] op_sel:[0,1]
.LBB192_122:                            ;   in Loop: Header=BB192_99 Depth=1
	s_or_b64 exec, exec, s[26:27]
.LBB192_123:                            ;   in Loop: Header=BB192_99 Depth=1
	s_or_b64 exec, exec, s[24:25]
.LBB192_124:                            ;   in Loop: Header=BB192_99 Depth=1
	s_or_b64 exec, exec, s[2:3]
	v_add_u32_e32 v41, v36, v32
	v_or_b32_e32 v19, v25, v21
	v_or_b32_e32 v18, v24, v20
	;; [unrolled: 1-line block ×4, first 2 shown]
	v_cmp_eq_u32_e32 vcc, s31, v10
	s_waitcnt lgkmcnt(0)
	v_pk_mul_f32 v[18:19], s[22:23], v[18:19] op_sel_hi:[0,1]
	v_pk_mul_f32 v[20:21], s[22:23], v[20:21] op_sel_hi:[0,1]
	v_add_u32_e32 v44, 1, v41
	v_add_u32_e32 v43, 2, v41
	;; [unrolled: 1-line block ×3, first 2 shown]
	s_and_saveexec_b64 s[24:25], vcc
; %bb.125:                              ;   in Loop: Header=BB192_99 Depth=1
	v_cmp_gt_i32_e64 s[2:3], s33, v41
	v_cndmask_b32_e64 v18, 0, v18, s[2:3]
	v_cmp_gt_i32_e64 s[2:3], s33, v44
	v_cndmask_b32_e64 v19, 0, v19, s[2:3]
	;; [unrolled: 2-line block ×4, first 2 shown]
; %bb.126:                              ;   in Loop: Header=BB192_99 Depth=1
	s_or_b64 exec, exec, s[24:25]
	global_load_dword v22, v[22:23], off offset:256
	v_pk_mov_b32 v[26:27], 0, 0
	v_pk_mov_b32 v[24:25], v[26:27], v[26:27] op_sel:[0,1]
	s_waitcnt vmcnt(0)
	v_cmp_ne_u16_sdwa s[2:3], v22, v14 src0_sel:BYTE_0 src1_sel:DWORD
	s_and_saveexec_b64 s[24:25], s[2:3]
	s_cbranch_execz .LBB192_132
; %bb.127:                              ;   in Loop: Header=BB192_99 Depth=1
	v_bfrev_b32_e32 v24, 1
	v_cmp_ne_u16_sdwa s[2:3], v22, s36 src0_sel:BYTE_0 src1_sel:DWORD
	v_mov_b32_e32 v25, 0
	s_and_saveexec_b64 s[26:27], s[2:3]
	s_cbranch_execz .LBB192_131
; %bb.128:                              ;   in Loop: Header=BB192_99 Depth=1
	v_and_b32_e32 v15, 0x7f, v22
	v_mov_b32_e32 v24, 0x7f800001
	v_cmp_ne_u32_e64 s[2:3], s38, v15
	v_mov_b32_e32 v25, 0
	s_and_saveexec_b64 s[28:29], s[2:3]
	s_cbranch_execz .LBB192_130
; %bb.129:                              ;   in Loop: Header=BB192_99 Depth=1
	v_and_b32_e32 v16, 7, v22
	v_ffbh_u32_e32 v24, v16
	v_min_u32_e32 v28, 32, v24
	v_lshrrev_b32_e32 v23, 3, v15
	v_subrev_u32_e32 v24, 28, v28
	v_lshlrev_b64 v[24:25], v24, v[22:23]
	v_sub_u32_e32 v25, 29, v28
	v_and_b32_e32 v24, 7, v24
	v_cmp_gt_u32_e64 s[2:3], 8, v15
	v_cndmask_b32_e64 v15, v23, v25, s[2:3]
	v_cndmask_b32_e64 v16, v16, v24, s[2:3]
	v_lshlrev_b32_e32 v16, 20, v16
	v_and_b32_sdwa v23, sext(v22), s9 dst_sel:DWORD dst_unused:UNUSED_PAD src0_sel:BYTE_0 src1_sel:DWORD
	v_lshl_add_u32 v15, v15, 23, v38
	v_or3_b32 v16, v23, v15, v16
	v_pk_mov_b32 v[24:25], v[16:17], v[16:17] op_sel:[0,1]
.LBB192_130:                            ;   in Loop: Header=BB192_99 Depth=1
	s_or_b64 exec, exec, s[28:29]
.LBB192_131:                            ;   in Loop: Header=BB192_99 Depth=1
	s_or_b64 exec, exec, s[26:27]
.LBB192_132:                            ;   in Loop: Header=BB192_99 Depth=1
	s_or_b64 exec, exec, s[24:25]
	v_cmp_ne_u16_sdwa s[2:3], v22, v14 src0_sel:BYTE_1 src1_sel:DWORD
	s_and_saveexec_b64 s[24:25], s[2:3]
	s_cbranch_execz .LBB192_138
; %bb.133:                              ;   in Loop: Header=BB192_99 Depth=1
	v_cmp_ne_u16_sdwa s[2:3], v22, s36 src0_sel:BYTE_1 src1_sel:DWORD
	v_pk_mov_b32 v[26:27], s[8:9], s[8:9] op_sel:[0,1]
	s_and_saveexec_b64 s[26:27], s[2:3]
	s_cbranch_execz .LBB192_137
; %bb.134:                              ;   in Loop: Header=BB192_99 Depth=1
	v_and_b32_sdwa v15, v22, s38 dst_sel:DWORD dst_unused:UNUSED_PAD src0_sel:BYTE_1 src1_sel:DWORD
	s_mov_b32 s12, s8
	v_cmp_ne_u32_e64 s[2:3], s38, v15
	v_pk_mov_b32 v[26:27], s[12:13], s[12:13] op_sel:[0,1]
	s_and_saveexec_b64 s[28:29], s[2:3]
	s_cbranch_execz .LBB192_136
; %bb.135:                              ;   in Loop: Header=BB192_99 Depth=1
	v_and_b32_sdwa v16, v22, v39 dst_sel:DWORD dst_unused:UNUSED_PAD src0_sel:BYTE_1 src1_sel:DWORD
	v_ffbh_u32_e32 v26, v16
	v_min_u32_e32 v28, 32, v26
	v_subrev_u32_e32 v26, 28, v28
	v_lshlrev_b64 v[26:27], v26, v[16:17]
	v_lshrrev_b32_e32 v23, 3, v15
	v_sub_u32_e32 v27, 29, v28
	v_cmp_gt_u32_e64 s[2:3], 8, v15
	v_and_b32_e32 v26, 7, v26
	v_cndmask_b32_e64 v15, v23, v27, s[2:3]
	v_cndmask_b32_e64 v16, v16, v26, s[2:3]
	v_lshlrev_b32_e32 v23, 16, v22
	v_lshl_add_u32 v15, v15, 23, v38
	v_and_or_b32 v15, v23, s9, v15
	v_lshlrev_b32_e32 v16, 20, v16
	v_or_b32_e32 v15, v15, v16
	v_pk_mov_b32 v[26:27], v[14:15], v[14:15] op_sel:[0,1]
.LBB192_136:                            ;   in Loop: Header=BB192_99 Depth=1
	s_or_b64 exec, exec, s[28:29]
.LBB192_137:                            ;   in Loop: Header=BB192_99 Depth=1
	s_or_b64 exec, exec, s[26:27]
.LBB192_138:                            ;   in Loop: Header=BB192_99 Depth=1
	s_or_b64 exec, exec, s[24:25]
	v_lshrrev_b32_e32 v16, 16, v22
	v_pk_mov_b32 v[30:31], 0, 0
	v_cmp_ne_u16_sdwa s[2:3], v16, v14 src0_sel:BYTE_0 src1_sel:DWORD
	v_pk_mov_b32 v[28:29], v[30:31], v[30:31] op_sel:[0,1]
	s_and_saveexec_b64 s[24:25], s[2:3]
	s_cbranch_execz .LBB192_144
; %bb.139:                              ;   in Loop: Header=BB192_99 Depth=1
	v_bfrev_b32_e32 v28, 1
	v_cmp_ne_u16_sdwa s[2:3], v16, s36 src0_sel:BYTE_0 src1_sel:DWORD
	v_mov_b32_e32 v29, 0
	s_and_saveexec_b64 s[26:27], s[2:3]
	s_cbranch_execz .LBB192_143
; %bb.140:                              ;   in Loop: Header=BB192_99 Depth=1
	v_bfe_u32 v15, v22, 16, 7
	v_mov_b32_e32 v28, 0x7f800001
	v_cmp_ne_u32_e64 s[2:3], s38, v15
	v_mov_b32_e32 v29, 0
	s_and_saveexec_b64 s[28:29], s[2:3]
	s_cbranch_execz .LBB192_142
; %bb.141:                              ;   in Loop: Header=BB192_99 Depth=1
	v_and_b32_e32 v23, 7, v16
	v_ffbh_u32_e32 v28, v23
	v_min_u32_e32 v46, 32, v28
	v_subrev_u32_e32 v28, 28, v46
	v_lshlrev_b64 v[28:29], v28, v[16:17]
	v_lshrrev_b32_e32 v45, 3, v15
	v_sub_u32_e32 v29, 29, v46
	v_and_b32_e32 v28, 7, v28
	v_cmp_gt_u32_e64 s[2:3], 8, v15
	v_cndmask_b32_e64 v15, v45, v29, s[2:3]
	v_cndmask_b32_e64 v23, v23, v28, s[2:3]
	v_lshlrev_b32_e32 v23, 20, v23
	v_and_b32_sdwa v16, sext(v16), s9 dst_sel:DWORD dst_unused:UNUSED_PAD src0_sel:BYTE_0 src1_sel:DWORD
	v_lshl_add_u32 v15, v15, 23, v38
	v_or3_b32 v16, v16, v15, v23
	v_pk_mov_b32 v[28:29], v[16:17], v[16:17] op_sel:[0,1]
.LBB192_142:                            ;   in Loop: Header=BB192_99 Depth=1
	s_or_b64 exec, exec, s[28:29]
.LBB192_143:                            ;   in Loop: Header=BB192_99 Depth=1
	s_or_b64 exec, exec, s[26:27]
.LBB192_144:                            ;   in Loop: Header=BB192_99 Depth=1
	s_or_b64 exec, exec, s[24:25]
	v_cmp_lt_u32_e64 s[2:3], s39, v22
	s_and_saveexec_b64 s[24:25], s[2:3]
	s_cbranch_execz .LBB192_150
; %bb.145:                              ;   in Loop: Header=BB192_99 Depth=1
	v_cmp_ne_u32_sdwa s[2:3], v22, s36 src0_sel:BYTE_3 src1_sel:DWORD
	v_pk_mov_b32 v[30:31], s[8:9], s[8:9] op_sel:[0,1]
	s_and_saveexec_b64 s[26:27], s[2:3]
	s_cbranch_execz .LBB192_149
; %bb.146:                              ;   in Loop: Header=BB192_99 Depth=1
	v_bfe_u32 v15, v22, 24, 7
	s_mov_b32 s12, s8
	v_cmp_ne_u32_e64 s[2:3], s38, v15
	v_pk_mov_b32 v[30:31], s[12:13], s[12:13] op_sel:[0,1]
	s_and_saveexec_b64 s[28:29], s[2:3]
	s_cbranch_execz .LBB192_148
; %bb.147:                              ;   in Loop: Header=BB192_99 Depth=1
	v_and_b32_sdwa v16, v22, v39 dst_sel:DWORD dst_unused:UNUSED_PAD src0_sel:BYTE_3 src1_sel:DWORD
	v_ffbh_u32_e32 v30, v16
	v_min_u32_e32 v45, 32, v30
	v_subrev_u32_e32 v30, 28, v45
	v_lshlrev_b64 v[30:31], v30, v[16:17]
	v_lshrrev_b32_e32 v23, 3, v15
	v_sub_u32_e32 v31, 29, v45
	v_cmp_gt_u32_e64 s[2:3], 8, v15
	v_and_b32_e32 v30, 7, v30
	v_cndmask_b32_e64 v15, v23, v31, s[2:3]
	v_cndmask_b32_e64 v16, v16, v30, s[2:3]
	v_lshlrev_b32_sdwa v22, v40, v22 dst_sel:DWORD dst_unused:UNUSED_PAD src0_sel:DWORD src1_sel:BYTE_3
	v_lshl_add_u32 v15, v15, 23, v38
	v_and_or_b32 v15, v22, s9, v15
	v_lshlrev_b32_e32 v16, 20, v16
	v_or_b32_e32 v15, v15, v16
	v_pk_mov_b32 v[30:31], v[14:15], v[14:15] op_sel:[0,1]
.LBB192_148:                            ;   in Loop: Header=BB192_99 Depth=1
	s_or_b64 exec, exec, s[28:29]
.LBB192_149:                            ;   in Loop: Header=BB192_99 Depth=1
	s_or_b64 exec, exec, s[26:27]
.LBB192_150:                            ;   in Loop: Header=BB192_99 Depth=1
	s_or_b64 exec, exec, s[24:25]
	s_mov_b32 s23, s22
	v_or_b32_e32 v23, v27, v25
	v_or_b32_e32 v22, v26, v24
	;; [unrolled: 1-line block ×4, first 2 shown]
	v_pk_mul_f32 v[22:23], s[22:23], v[22:23]
	v_pk_mul_f32 v[24:25], s[22:23], v[24:25]
	s_and_saveexec_b64 s[2:3], vcc
	s_cbranch_execz .LBB192_97
; %bb.151:                              ;   in Loop: Header=BB192_99 Depth=1
	v_cmp_gt_i32_e32 vcc, s33, v41
	v_cndmask_b32_e32 v22, 0, v22, vcc
	v_cmp_gt_i32_e32 vcc, s33, v44
	v_cndmask_b32_e32 v23, 0, v23, vcc
	;; [unrolled: 2-line block ×4, first 2 shown]
	s_branch .LBB192_97
.LBB192_152:
	s_or_b64 exec, exec, s[10:11]
.LBB192_153:
	s_or_b64 exec, exec, s[6:7]
	ds_bpermute_b32 v2, v34, v8
	ds_bpermute_b32 v3, v34, v9
	v_and_b32_e32 v4, 0x3c1, v0
	v_cmp_eq_u32_e32 vcc, 64, v4
	s_waitcnt lgkmcnt(0)
	s_barrier
	v_pk_add_f32 v[2:3], v[8:9], v[2:3]
	s_and_saveexec_b64 s[2:3], vcc
	s_cbranch_execz .LBB192_155
; %bb.154:
	v_mov_b32_e32 v5, 0x110
	v_lshl_add_u32 v5, v33, 1, v5
	ds_write2_b32 v5, v2, v3 offset1:32
.LBB192_155:
	s_or_b64 exec, exec, s[2:3]
	s_waitcnt lgkmcnt(0)
	s_barrier
	s_and_saveexec_b64 s[2:3], s[0:1]
	s_cbranch_execz .LBB192_161
; %bb.156:
	v_cmp_eq_u32_e32 vcc, 0, v35
	s_and_saveexec_b64 s[0:1], vcc
	s_cbranch_execz .LBB192_158
; %bb.157:
	v_mov_b32_e32 v5, 0x110
	v_lshl_add_u32 v5, v1, 2, v5
	ds_read_b32 v5, v5
	s_waitcnt lgkmcnt(0)
	v_add_f32_e32 v2, v2, v5
.LBB192_158:
	s_or_b64 exec, exec, s[0:1]
	s_and_saveexec_b64 s[0:1], vcc
	s_cbranch_execz .LBB192_160
; %bb.159:
	v_mov_b32_e32 v5, 0x110
	v_lshl_add_u32 v1, v1, 2, v5
	ds_read_b32 v1, v1 offset:128
	s_waitcnt lgkmcnt(0)
	v_add_f32_e32 v3, v3, v1
.LBB192_160:
	s_or_b64 exec, exec, s[0:1]
.LBB192_161:
	s_or_b64 exec, exec, s[2:3]
	v_cmp_eq_u32_e32 vcc, 0, v4
	s_barrier
	s_and_saveexec_b64 s[0:1], vcc
	s_cbranch_execz .LBB192_163
; %bb.162:
	s_lshl_b32 s0, s4, 6
	s_ashr_i32 s1, s0, 31
	s_lshl_b64 s[0:1], s[0:1], 2
	s_add_u32 s2, s34, s0
	s_mul_i32 s0, s15, s14
	s_addc_u32 s3, s35, s1
	s_ashr_i32 s1, s0, 31
	s_lshl_b64 s[0:1], s[0:1], 2
	s_add_u32 s2, s2, s0
	s_addc_u32 s3, s3, s1
	s_ashr_i32 s21, s20, 31
	s_lshl_b64 s[0:1], s[20:21], 2
	s_add_u32 s0, s2, s0
	s_addc_u32 s1, s3, s1
	v_lshlrev_b32_e32 v0, 1, v0
	global_store_dword v0, v2, s[0:1]
	global_store_dword v0, v3, s[0:1] offset:128
.LBB192_163:
	s_endpgm
	.section	.rodata,"a",@progbits
	.p2align	6, 0x0
	.amdhsa_kernel _ZN4vllm25paged_attention_v2_kernelIfhLi64ELi8ELi128ELNS_18Fp8KVCacheDataTypeE1ELb1ELi512EEEvPfS2_PT_PKS3_PKT0_S9_ifPKiSB_iPKfiiiSD_SD_iiiii
		.amdhsa_group_segment_fixed_size 272
		.amdhsa_private_segment_fixed_size 0
		.amdhsa_kernarg_size 400
		.amdhsa_user_sgpr_count 6
		.amdhsa_user_sgpr_private_segment_buffer 1
		.amdhsa_user_sgpr_dispatch_ptr 0
		.amdhsa_user_sgpr_queue_ptr 0
		.amdhsa_user_sgpr_kernarg_segment_ptr 1
		.amdhsa_user_sgpr_dispatch_id 0
		.amdhsa_user_sgpr_flat_scratch_init 0
		.amdhsa_user_sgpr_kernarg_preload_length 0
		.amdhsa_user_sgpr_kernarg_preload_offset 0
		.amdhsa_user_sgpr_private_segment_size 0
		.amdhsa_uses_dynamic_stack 0
		.amdhsa_system_sgpr_private_segment_wavefront_offset 0
		.amdhsa_system_sgpr_workgroup_id_x 1
		.amdhsa_system_sgpr_workgroup_id_y 1
		.amdhsa_system_sgpr_workgroup_id_z 1
		.amdhsa_system_sgpr_workgroup_info 0
		.amdhsa_system_vgpr_workitem_id 0
		.amdhsa_next_free_vgpr 49
		.amdhsa_next_free_sgpr 65
		.amdhsa_accum_offset 52
		.amdhsa_reserve_vcc 1
		.amdhsa_reserve_flat_scratch 0
		.amdhsa_float_round_mode_32 0
		.amdhsa_float_round_mode_16_64 0
		.amdhsa_float_denorm_mode_32 3
		.amdhsa_float_denorm_mode_16_64 3
		.amdhsa_dx10_clamp 1
		.amdhsa_ieee_mode 1
		.amdhsa_fp16_overflow 0
		.amdhsa_tg_split 0
		.amdhsa_exception_fp_ieee_invalid_op 0
		.amdhsa_exception_fp_denorm_src 0
		.amdhsa_exception_fp_ieee_div_zero 0
		.amdhsa_exception_fp_ieee_overflow 0
		.amdhsa_exception_fp_ieee_underflow 0
		.amdhsa_exception_fp_ieee_inexact 0
		.amdhsa_exception_int_div_zero 0
	.end_amdhsa_kernel
	.section	.text._ZN4vllm25paged_attention_v2_kernelIfhLi64ELi8ELi128ELNS_18Fp8KVCacheDataTypeE1ELb1ELi512EEEvPfS2_PT_PKS3_PKT0_S9_ifPKiSB_iPKfiiiSD_SD_iiiii,"axG",@progbits,_ZN4vllm25paged_attention_v2_kernelIfhLi64ELi8ELi128ELNS_18Fp8KVCacheDataTypeE1ELb1ELi512EEEvPfS2_PT_PKS3_PKT0_S9_ifPKiSB_iPKfiiiSD_SD_iiiii,comdat
.Lfunc_end192:
	.size	_ZN4vllm25paged_attention_v2_kernelIfhLi64ELi8ELi128ELNS_18Fp8KVCacheDataTypeE1ELb1ELi512EEEvPfS2_PT_PKS3_PKT0_S9_ifPKiSB_iPKfiiiSD_SD_iiiii, .Lfunc_end192-_ZN4vllm25paged_attention_v2_kernelIfhLi64ELi8ELi128ELNS_18Fp8KVCacheDataTypeE1ELb1ELi512EEEvPfS2_PT_PKS3_PKT0_S9_ifPKiSB_iPKfiiiSD_SD_iiiii
                                        ; -- End function
	.section	.AMDGPU.csdata,"",@progbits
; Kernel info:
; codeLenInByte = 7300
; NumSgprs: 69
; NumVgprs: 49
; NumAgprs: 0
; TotalNumVgprs: 49
; ScratchSize: 0
; MemoryBound: 0
; FloatMode: 240
; IeeeMode: 1
; LDSByteSize: 272 bytes/workgroup (compile time only)
; SGPRBlocks: 8
; VGPRBlocks: 6
; NumSGPRsForWavesPerEU: 69
; NumVGPRsForWavesPerEU: 49
; AccumOffset: 52
; Occupancy: 8
; WaveLimiterHint : 1
; COMPUTE_PGM_RSRC2:SCRATCH_EN: 0
; COMPUTE_PGM_RSRC2:USER_SGPR: 6
; COMPUTE_PGM_RSRC2:TRAP_HANDLER: 0
; COMPUTE_PGM_RSRC2:TGID_X_EN: 1
; COMPUTE_PGM_RSRC2:TGID_Y_EN: 1
; COMPUTE_PGM_RSRC2:TGID_Z_EN: 1
; COMPUTE_PGM_RSRC2:TIDIG_COMP_CNT: 0
; COMPUTE_PGM_RSRC3_GFX90A:ACCUM_OFFSET: 12
; COMPUTE_PGM_RSRC3_GFX90A:TG_SPLIT: 0
	.section	.text._ZN4vllm25paged_attention_v2_kernelIfhLi80ELi8ELi128ELNS_18Fp8KVCacheDataTypeE1ELb1ELi512EEEvPfS2_PT_PKS3_PKT0_S9_ifPKiSB_iPKfiiiSD_SD_iiiii,"axG",@progbits,_ZN4vllm25paged_attention_v2_kernelIfhLi80ELi8ELi128ELNS_18Fp8KVCacheDataTypeE1ELb1ELi512EEEvPfS2_PT_PKS3_PKT0_S9_ifPKiSB_iPKfiiiSD_SD_iiiii,comdat
	.protected	_ZN4vllm25paged_attention_v2_kernelIfhLi80ELi8ELi128ELNS_18Fp8KVCacheDataTypeE1ELb1ELi512EEEvPfS2_PT_PKS3_PKT0_S9_ifPKiSB_iPKfiiiSD_SD_iiiii ; -- Begin function _ZN4vllm25paged_attention_v2_kernelIfhLi80ELi8ELi128ELNS_18Fp8KVCacheDataTypeE1ELb1ELi512EEEvPfS2_PT_PKS3_PKT0_S9_ifPKiSB_iPKfiiiSD_SD_iiiii
	.globl	_ZN4vllm25paged_attention_v2_kernelIfhLi80ELi8ELi128ELNS_18Fp8KVCacheDataTypeE1ELb1ELi512EEEvPfS2_PT_PKS3_PKT0_S9_ifPKiSB_iPKfiiiSD_SD_iiiii
	.p2align	8
	.type	_ZN4vllm25paged_attention_v2_kernelIfhLi80ELi8ELi128ELNS_18Fp8KVCacheDataTypeE1ELb1ELi512EEEvPfS2_PT_PKS3_PKT0_S9_ifPKiSB_iPKfiiiSD_SD_iiiii,@function
_ZN4vllm25paged_attention_v2_kernelIfhLi80ELi8ELi128ELNS_18Fp8KVCacheDataTypeE1ELb1ELi512EEEvPfS2_PT_PKS3_PKT0_S9_ifPKiSB_iPKfiiiSD_SD_iiiii: ; @_ZN4vllm25paged_attention_v2_kernelIfhLi80ELi8ELi128ELNS_18Fp8KVCacheDataTypeE1ELb1ELi512EEEvPfS2_PT_PKS3_PKT0_S9_ifPKiSB_iPKfiiiSD_SD_iiiii
; %bb.0:
	s_load_dwordx2 s[0:1], s[4:5], 0x40
	s_mov_b32 s34, s7
	s_ashr_i32 s35, s7, 31
	s_lshl_b64 s[2:3], s[34:35], 2
	s_waitcnt lgkmcnt(0)
	s_add_u32 s0, s0, s2
	s_addc_u32 s1, s1, s3
	s_load_dword s33, s[0:1], 0x0
	s_lshl_b32 s35, s8, 9
	s_waitcnt lgkmcnt(0)
	s_cmp_ge_i32 s35, s33
	s_cbranch_scc1 .LBB193_211
; %bb.1:
	s_load_dword s9, s[4:5], 0x90
	s_load_dwordx2 s[42:43], s[4:5], 0x30
	s_mov_b32 s56, 0
	s_waitcnt lgkmcnt(0)
	s_abs_i32 s2, s9
	s_abs_i32 s0, s42
	v_cvt_f32_u32_e32 v1, s0
	s_sub_i32 s3, 0, s0
	s_xor_b32 s1, s9, s42
	s_ashr_i32 s1, s1, 31
	v_rcp_iflag_f32_e32 v1, v1
	v_mul_f32_e32 v1, 0x4f7ffffe, v1
	v_cvt_u32_f32_e32 v1, v1
	v_readfirstlane_b32 s7, v1
	s_mul_i32 s3, s3, s7
	s_mul_hi_u32 s3, s7, s3
	s_add_i32 s7, s7, s3
	s_mul_hi_u32 s3, s2, s7
	s_mul_i32 s7, s3, s0
	s_sub_i32 s2, s2, s7
	s_add_i32 s10, s3, 1
	s_sub_i32 s7, s2, s0
	s_cmp_ge_u32 s2, s0
	s_cselect_b32 s3, s10, s3
	s_cselect_b32 s2, s7, s2
	s_add_i32 s7, s3, 1
	s_cmp_ge_u32 s2, s0
	s_cselect_b32 s0, s7, s3
	s_xor_b32 s0, s0, s1
	s_sub_i32 s11, s0, s1
	s_abs_i32 s2, s11
	v_cvt_f32_u32_e32 v1, s2
	s_load_dwordx2 s[0:1], s[4:5], 0x50
	s_sub_i32 s7, 0, s2
	s_abs_i32 s3, s6
	v_rcp_iflag_f32_e32 v1, v1
	v_mul_f32_e32 v1, 0x4f7ffffe, v1
	v_cvt_u32_f32_e32 v1, v1
	v_readfirstlane_b32 s10, v1
	s_mul_i32 s7, s7, s10
	s_mul_hi_u32 s7, s10, s7
	s_add_i32 s10, s10, s7
	s_waitcnt lgkmcnt(0)
	s_cmp_eq_u64 s[0:1], 0
	s_mul_hi_u32 s10, s3, s10
	s_cbranch_scc1 .LBB193_3
; %bb.2:
	s_ashr_i32 s7, s6, 31
	s_lshl_b64 s[12:13], s[6:7], 2
	s_add_u32 s0, s0, s12
	s_addc_u32 s1, s1, s13
	s_load_dword s56, s[0:1], 0x0
.LBB193_3:
	s_load_dwordx4 s[16:19], s[4:5], 0x58
	s_movk_i32 s0, 0x50
	s_ashr_i32 s7, s6, 31
	s_ashr_i32 s11, s11, 31
	v_and_b32_e32 v12, 7, v0
	s_mul_i32 s28, s6, 0x50
	v_cmp_gt_u32_e32 vcc, s0, v0
	v_lshlrev_b32_e32 v23, 2, v0
	v_lshrrev_b32_e32 v1, 1, v0
	s_and_saveexec_b64 s[0:1], vcc
	s_cbranch_execz .LBB193_5
; %bb.4:
	s_load_dwordx2 s[12:13], s[4:5], 0x18
	s_waitcnt lgkmcnt(0)
	s_mul_i32 s14, s34, s16
	s_ashr_i32 s15, s14, 31
	s_lshl_b64 s[14:15], s[14:15], 2
	v_and_b32_e32 v3, 0x1fc, v1
	s_add_u32 s14, s12, s14
	s_addc_u32 s15, s13, s15
	s_ashr_i32 s29, s28, 31
	s_lshl_b64 s[12:13], s[28:29], 2
	s_add_u32 s12, s14, s12
	s_addc_u32 s13, s15, s13
	global_load_dword v2, v23, s[12:13]
	v_mad_u32_u24 v3, v12, 40, v3
	s_waitcnt vmcnt(0)
	ds_write_b32 v3, v2
.LBB193_5:
	s_or_b64 exec, exec, s[0:1]
	s_mul_i32 s1, s10, s2
	s_sub_i32 s1, s3, s1
	s_xor_b32 s0, s7, s11
	s_add_i32 s3, s10, 1
	s_sub_i32 s7, s1, s2
	s_load_dwordx4 s[20:23], s[4:5], 0x78
	s_cmp_ge_u32 s1, s2
	s_cselect_b32 s3, s3, s10
	s_load_dword s10, s[4:5], 0x88
	s_cselect_b32 s1, s7, s1
	s_add_i32 s7, s3, 1
	s_cmp_ge_u32 s1, s2
	s_cselect_b32 s1, s7, s3
	s_waitcnt lgkmcnt(0)
	s_abs_i32 s52, s23
	v_cvt_f32_u32_e32 v2, s52
	s_xor_b32 s1, s1, s0
	s_sub_i32 s2, s1, s0
	s_sub_i32 s0, 0, s52
	v_rcp_iflag_f32_e32 v2, v2
	s_add_i32 s11, s33, -1
	s_abs_i32 s3, s11
	v_mul_f32_e32 v2, 0x4f7ffffe, v2
	v_cvt_u32_f32_e32 v2, v2
	s_barrier
	v_readfirstlane_b32 s53, v2
	s_mul_i32 s0, s0, s53
	s_mul_hi_u32 s0, s53, s0
	s_add_i32 s53, s53, s0
	s_cmp_lt_i32 s10, 0
	s_mul_hi_u32 s7, s3, s53
	s_cbranch_scc0 .LBB193_7
; %bb.6:
	s_mul_i32 s0, s20, s42
	s_add_i32 s0, s2, s0
	s_mul_i32 s0, s0, s10
	s_sub_i32 s42, 1, s0
	s_mov_b64 s[0:1], 0
	s_branch .LBB193_8
.LBB193_7:
	s_mov_b64 s[0:1], -1
                                        ; implicit-def: $sgpr42
.LBB193_8:
	s_load_dwordx2 s[36:37], s[4:5], 0x38
	s_ashr_i32 s11, s11, 31
	s_andn2_b64 vcc, exec, s[0:1]
	s_ashr_i32 s54, s23, 31
	s_cbranch_vccnz .LBB193_10
; %bb.9:
	s_mul_i32 s0, s9, s20
	s_add_i32 s0, s0, s6
	s_mul_i32 s0, s0, s10
	s_add_i32 s42, s0, 1
.LBB193_10:
	s_load_dwordx2 s[40:41], s[4:5], 0x28
	s_load_dword s0, s[4:5], 0x48
	s_load_dwordx4 s[24:27], s[4:5], 0x0
	s_load_dwordx2 s[30:31], s[4:5], 0x10
	s_load_dword s29, s[4:5], 0x98
	s_load_dwordx4 s[12:15], s[4:5], 0x68
	s_mul_i32 s1, s7, s52
	s_waitcnt lgkmcnt(0)
	s_mul_i32 s38, s34, s0
	s_sub_i32 s1, s3, s1
	s_ashr_i32 s39, s38, 31
	s_xor_b32 s0, s11, s54
	s_add_i32 s3, s7, 1
	s_sub_i32 s10, s1, s52
	s_cmp_ge_u32 s1, s52
	s_cselect_b32 s3, s3, s7
	s_cselect_b32 s1, s10, s1
	s_add_i32 s7, s3, 1
	s_cmp_ge_u32 s1, s52
	s_cselect_b32 s1, s7, s3
	s_xor_b32 s1, s1, s0
	s_sub_i32 s16, s1, s0
	s_add_i32 s0, s33, 7
	s_ashr_i32 s1, s0, 31
	s_lshr_b32 s1, s1, 29
	s_add_i32 s0, s0, s1
	s_lshl_b32 s23, s8, 6
	s_ashr_i32 s7, s0, 3
	s_add_i32 s0, s23, 64
	v_lshrrev_b32_e32 v24, 6, v0
	s_min_i32 s55, s0, s7
	v_or_b32_e32 v10, s23, v24
	v_cmp_gt_i32_e64 s[0:1], s55, v10
	v_mov_b32_e32 v28, 0xff7fffff
	s_mul_i32 s20, s2, s18
	v_ashrrev_i32_e32 v11, 31, v10
	v_lshl_add_u32 v13, v24, 3, s35
	v_mbcnt_lo_u32_b32 v25, -1, 0
	s_and_saveexec_b64 s[18:19], s[0:1]
	s_cbranch_execz .LBB193_80
; %bb.11:
	s_load_dwordx2 s[2:3], s[4:5], 0x20
	s_sub_i32 s57, s16, s21
	s_ashr_i32 s4, s20, 31
	v_bfe_u32 v26, v0, 3, 3
	v_lshlrev_b32_e32 v3, 4, v26
	s_waitcnt lgkmcnt(0)
	s_add_u32 s2, s2, s20
	s_addc_u32 s3, s3, s4
	s_abs_i32 s58, s22
	v_cvt_f32_u32_e32 v2, s58
	s_sub_i32 s4, 0, s58
	v_mov_b32_e32 v4, s3
	v_add_co_u32_e64 v14, s[2:3], s2, v3
	v_rcp_iflag_f32_e32 v2, v2
	v_addc_co_u32_e64 v15, s[2:3], 0, v4, s[2:3]
	v_cmp_eq_u32_e32 vcc, 0, v12
	v_mul_f32_e32 v2, 0x4f7ffffe, v2
	v_cvt_u32_f32_e32 v2, v2
	s_mov_b32 s59, s17
	v_mul_u32_u24_e32 v27, 40, v12
	v_cmp_neq_f32_e64 s[2:3], s56, 0
	v_mul_lo_u32 v3, s4, v2
	s_lshl_b64 s[4:5], s[38:39], 2
	v_mul_hi_u32 v3, v2, v3
	s_add_u32 s4, s36, s4
	v_add_u32_e32 v29, v2, v3
	v_lshlrev_b64 v[2:3], 2, v[10:11]
	s_addc_u32 s5, s37, s5
	v_mov_b32_e32 v4, s5
	v_add_co_u32_e64 v16, s[4:5], s4, v2
	v_lshlrev_b32_e32 v2, 2, v26
	v_lshl_or_b32 v2, v24, 5, v2
	v_add_u32_e32 v31, 0x150, v2
	v_subrev_u32_e32 v2, s33, v26
	v_addc_co_u32_e64 v17, s[4:5], v4, v3, s[4:5]
	v_lshl_add_u32 v30, v24, 3, s35
	v_add_u32_e32 v32, 1, v2
	s_mov_b64 s[44:45], 0
	v_mov_b32_e32 v33, 0xff7fffff
	s_movk_i32 s60, 0x80
	s_movk_i32 s61, 0x7f
	v_bfrev_b32_e32 v34, 60
	v_mbcnt_hi_u32_b32 v35, -1, v25
	v_mov_b32_e32 v28, 0xff7fffff
	v_mov_b32_e32 v36, v10
	s_branch .LBB193_14
.LBB193_12:                             ;   in Loop: Header=BB193_14 Depth=1
	s_or_b64 exec, exec, s[46:47]
.LBB193_13:                             ;   in Loop: Header=BB193_14 Depth=1
	s_or_b64 exec, exec, s[10:11]
	v_add_co_u32_e64 v16, s[4:5], 8, v16
	v_add_u32_e32 v36, 2, v36
	v_addc_co_u32_e64 v17, s[4:5], 0, v17, s[4:5]
	v_cmp_le_i32_e64 s[4:5], s55, v36
	v_add_u32_e32 v30, 16, v30
	s_or_b64 s[44:45], s[4:5], s[44:45]
	v_add_u32_e32 v31, 64, v31
	s_andn2_b64 exec, exec, s[44:45]
	s_cbranch_execz .LBB193_79
.LBB193_14:                             ; =>This Inner Loop Header: Depth=1
	s_waitcnt lgkmcnt(0)
	v_sub_u32_e32 v3, 0, v30
	v_max_i32_e32 v3, v30, v3
	v_mul_hi_u32 v4, v3, s53
	v_mul_lo_u32 v5, v4, s52
	v_sub_u32_e32 v3, v3, v5
	v_add_u32_e32 v5, 1, v4
	v_cmp_le_u32_e64 s[4:5], s52, v3
	v_cndmask_b32_e64 v4, v4, v5, s[4:5]
	v_subrev_u32_e32 v5, s52, v3
	v_cndmask_b32_e64 v3, v3, v5, s[4:5]
	v_ashrrev_i32_e32 v2, 31, v30
	v_add_u32_e32 v5, 1, v4
	v_cmp_le_u32_e64 s[4:5], s52, v3
	v_xor_b32_e32 v2, s54, v2
	v_cndmask_b32_e64 v3, v4, v5, s[4:5]
	v_xor_b32_e32 v3, v3, v2
	v_sub_u32_e32 v2, v3, v2
	v_add_u32_e32 v3, s42, v2
	v_sub_u32_e32 v5, 0, v3
	v_ashrrev_i32_e32 v4, 31, v3
	v_max_i32_e32 v3, v3, v5
	v_mul_hi_u32 v5, v3, v29
	v_mul_lo_u32 v5, v5, s58
	v_sub_u32_e32 v3, v3, v5
	v_subrev_u32_e32 v5, s58, v3
	v_cmp_le_u32_e64 s[4:5], s58, v3
	v_cndmask_b32_e64 v3, v3, v5, s[4:5]
	v_subrev_u32_e32 v5, s58, v3
	v_cmp_le_u32_e64 s[4:5], s58, v3
	v_cndmask_b32_e64 v3, v3, v5, s[4:5]
	v_xor_b32_e32 v3, v3, v4
	v_sub_u32_e32 v3, v3, v4
	v_cmp_ne_u32_e64 s[4:5], 0, v3
	v_cmp_ge_i32_e64 s[10:11], s57, v2
	s_and_b64 s[4:5], s[4:5], s[10:11]
	s_and_b64 s[46:47], vcc, s[4:5]
	s_and_saveexec_b64 s[10:11], s[46:47]
	s_cbranch_execz .LBB193_16
; %bb.15:                               ;   in Loop: Header=BB193_14 Depth=1
	ds_write_b32 v31, v33
.LBB193_16:                             ;   in Loop: Header=BB193_14 Depth=1
	s_or_b64 exec, exec, s[10:11]
	s_xor_b64 s[4:5], s[4:5], -1
	s_and_saveexec_b64 s[10:11], s[4:5]
	s_cbranch_execz .LBB193_13
; %bb.17:                               ;   in Loop: Header=BB193_14 Depth=1
	global_load_dword v2, v[16:17], off
	v_mov_b32_e32 v37, 0
	v_mov_b32_e32 v38, 0
	s_waitcnt vmcnt(0)
	v_mad_i64_i32 v[2:3], s[4:5], v2, s59, v[14:15]
	v_add_co_u32_e64 v20, s[4:5], v2, v12
	v_addc_co_u32_e64 v21, s[4:5], 0, v3, s[4:5]
	global_load_ubyte v39, v[20:21], off
	ds_read2_b64 v[6:9], v27 offset1:1
	ds_read2_b64 v[2:5], v27 offset0:2 offset1:3
	ds_read_b64 v[18:19], v27 offset:32
	s_load_dword s62, s[12:13], 0x0
	s_waitcnt vmcnt(0)
	v_cmp_ne_u16_e64 s[4:5], 0, v39
	s_and_saveexec_b64 s[46:47], s[4:5]
	s_cbranch_execz .LBB193_23
; %bb.18:                               ;   in Loop: Header=BB193_14 Depth=1
	v_cmp_ne_u16_e64 s[4:5], s60, v39
	v_bfrev_b32_e32 v38, 1
	s_and_saveexec_b64 s[48:49], s[4:5]
	s_cbranch_execz .LBB193_22
; %bb.19:                               ;   in Loop: Header=BB193_14 Depth=1
	v_and_b32_e32 v22, 0xffff, v39
	v_and_b32_e32 v40, 0x7f, v22
	v_cmp_ne_u32_e64 s[4:5], s61, v40
	v_mov_b32_e32 v38, 0x7f800001
	s_and_saveexec_b64 s[50:51], s[4:5]
	s_cbranch_execz .LBB193_21
; %bb.20:                               ;   in Loop: Header=BB193_14 Depth=1
	v_and_b32_e32 v38, 7, v22
	v_ffbh_u32_e32 v42, v38
	v_min_u32_e32 v44, 32, v42
	v_subrev_u32_e32 v42, 28, v44
	v_lshlrev_b64 v[42:43], v42, v[22:23]
	v_lshrrev_b32_e32 v41, 3, v40
	v_sub_u32_e32 v22, 29, v44
	v_and_b32_e32 v42, 7, v42
	v_cmp_gt_u32_e64 s[4:5], 8, v40
	v_cndmask_b32_e64 v22, v41, v22, s[4:5]
	v_cndmask_b32_e64 v38, v38, v42, s[4:5]
	v_lshlrev_b32_e32 v39, 24, v39
	v_lshlrev_b32_e32 v38, 20, v38
	v_and_b32_e32 v39, 0x80000000, v39
	v_lshl_add_u32 v22, v22, 23, v34
	v_or3_b32 v38, v39, v22, v38
.LBB193_21:                             ;   in Loop: Header=BB193_14 Depth=1
	s_or_b64 exec, exec, s[50:51]
.LBB193_22:                             ;   in Loop: Header=BB193_14 Depth=1
	s_or_b64 exec, exec, s[48:49]
.LBB193_23:                             ;   in Loop: Header=BB193_14 Depth=1
	s_or_b64 exec, exec, s[46:47]
	global_load_ubyte v39, v[20:21], off offset:8
	s_waitcnt vmcnt(0)
	v_cmp_ne_u16_e64 s[4:5], 0, v39
	s_and_saveexec_b64 s[46:47], s[4:5]
	s_cbranch_execz .LBB193_29
; %bb.24:                               ;   in Loop: Header=BB193_14 Depth=1
	v_cmp_ne_u16_e64 s[4:5], s60, v39
	v_bfrev_b32_e32 v37, 1
	s_and_saveexec_b64 s[48:49], s[4:5]
	s_cbranch_execz .LBB193_28
; %bb.25:                               ;   in Loop: Header=BB193_14 Depth=1
	v_and_b32_e32 v22, 0xffff, v39
	v_and_b32_e32 v40, 0x7f, v22
	v_cmp_ne_u32_e64 s[4:5], s61, v40
	v_mov_b32_e32 v37, 0x7f800001
	s_and_saveexec_b64 s[50:51], s[4:5]
	s_cbranch_execz .LBB193_27
; %bb.26:                               ;   in Loop: Header=BB193_14 Depth=1
	v_and_b32_e32 v37, 7, v22
	v_ffbh_u32_e32 v42, v37
	v_min_u32_e32 v44, 32, v42
	v_subrev_u32_e32 v42, 28, v44
	v_lshlrev_b64 v[42:43], v42, v[22:23]
	v_lshrrev_b32_e32 v41, 3, v40
	v_sub_u32_e32 v22, 29, v44
	v_and_b32_e32 v42, 7, v42
	v_cmp_gt_u32_e64 s[4:5], 8, v40
	v_cndmask_b32_e64 v22, v41, v22, s[4:5]
	v_cndmask_b32_e64 v37, v37, v42, s[4:5]
	v_lshlrev_b32_e32 v39, 24, v39
	v_lshlrev_b32_e32 v37, 20, v37
	v_and_b32_e32 v39, 0x80000000, v39
	v_lshl_add_u32 v22, v22, 23, v34
	v_or3_b32 v37, v39, v22, v37
.LBB193_27:                             ;   in Loop: Header=BB193_14 Depth=1
	s_or_b64 exec, exec, s[50:51]
.LBB193_28:                             ;   in Loop: Header=BB193_14 Depth=1
	s_or_b64 exec, exec, s[48:49]
.LBB193_29:                             ;   in Loop: Header=BB193_14 Depth=1
	s_or_b64 exec, exec, s[46:47]
	global_load_ubyte v41, v[20:21], off offset:128
	v_mov_b32_e32 v39, 0
	v_mov_b32_e32 v40, 0
	s_waitcnt vmcnt(0)
	v_cmp_ne_u16_e64 s[4:5], 0, v41
	s_and_saveexec_b64 s[46:47], s[4:5]
	s_cbranch_execz .LBB193_35
; %bb.30:                               ;   in Loop: Header=BB193_14 Depth=1
	v_cmp_ne_u16_e64 s[4:5], s60, v41
	v_bfrev_b32_e32 v40, 1
	s_and_saveexec_b64 s[48:49], s[4:5]
	s_cbranch_execz .LBB193_34
; %bb.31:                               ;   in Loop: Header=BB193_14 Depth=1
	v_and_b32_e32 v22, 0xffff, v41
	v_and_b32_e32 v42, 0x7f, v22
	v_cmp_ne_u32_e64 s[4:5], s61, v42
	v_mov_b32_e32 v40, 0x7f800001
	s_and_saveexec_b64 s[50:51], s[4:5]
	s_cbranch_execz .LBB193_33
; %bb.32:                               ;   in Loop: Header=BB193_14 Depth=1
	v_and_b32_e32 v40, 7, v22
	v_ffbh_u32_e32 v44, v40
	v_min_u32_e32 v46, 32, v44
	v_subrev_u32_e32 v44, 28, v46
	v_lshlrev_b64 v[44:45], v44, v[22:23]
	v_lshrrev_b32_e32 v43, 3, v42
	v_sub_u32_e32 v22, 29, v46
	v_and_b32_e32 v44, 7, v44
	v_cmp_gt_u32_e64 s[4:5], 8, v42
	v_cndmask_b32_e64 v22, v43, v22, s[4:5]
	v_cndmask_b32_e64 v40, v40, v44, s[4:5]
	v_lshlrev_b32_e32 v41, 24, v41
	v_lshlrev_b32_e32 v40, 20, v40
	v_and_b32_e32 v41, 0x80000000, v41
	v_lshl_add_u32 v22, v22, 23, v34
	v_or3_b32 v40, v41, v22, v40
.LBB193_33:                             ;   in Loop: Header=BB193_14 Depth=1
	s_or_b64 exec, exec, s[50:51]
.LBB193_34:                             ;   in Loop: Header=BB193_14 Depth=1
	s_or_b64 exec, exec, s[48:49]
.LBB193_35:                             ;   in Loop: Header=BB193_14 Depth=1
	s_or_b64 exec, exec, s[46:47]
	global_load_ubyte v41, v[20:21], off offset:136
	s_waitcnt vmcnt(0)
	v_cmp_ne_u16_e64 s[4:5], 0, v41
	s_and_saveexec_b64 s[46:47], s[4:5]
	s_cbranch_execz .LBB193_41
; %bb.36:                               ;   in Loop: Header=BB193_14 Depth=1
	v_cmp_ne_u16_e64 s[4:5], s60, v41
	v_bfrev_b32_e32 v39, 1
	s_and_saveexec_b64 s[48:49], s[4:5]
	s_cbranch_execz .LBB193_40
; %bb.37:                               ;   in Loop: Header=BB193_14 Depth=1
	v_and_b32_e32 v22, 0xffff, v41
	v_and_b32_e32 v42, 0x7f, v22
	v_cmp_ne_u32_e64 s[4:5], s61, v42
	v_mov_b32_e32 v39, 0x7f800001
	s_and_saveexec_b64 s[50:51], s[4:5]
	s_cbranch_execz .LBB193_39
; %bb.38:                               ;   in Loop: Header=BB193_14 Depth=1
	v_and_b32_e32 v39, 7, v22
	v_ffbh_u32_e32 v44, v39
	v_min_u32_e32 v46, 32, v44
	v_subrev_u32_e32 v44, 28, v46
	v_lshlrev_b64 v[44:45], v44, v[22:23]
	v_lshrrev_b32_e32 v43, 3, v42
	v_sub_u32_e32 v22, 29, v46
	v_and_b32_e32 v44, 7, v44
	v_cmp_gt_u32_e64 s[4:5], 8, v42
	v_cndmask_b32_e64 v22, v43, v22, s[4:5]
	v_cndmask_b32_e64 v39, v39, v44, s[4:5]
	v_lshlrev_b32_e32 v41, 24, v41
	v_lshlrev_b32_e32 v39, 20, v39
	v_and_b32_e32 v41, 0x80000000, v41
	v_lshl_add_u32 v22, v22, 23, v34
	v_or3_b32 v39, v41, v22, v39
.LBB193_39:                             ;   in Loop: Header=BB193_14 Depth=1
	s_or_b64 exec, exec, s[50:51]
.LBB193_40:                             ;   in Loop: Header=BB193_14 Depth=1
	s_or_b64 exec, exec, s[48:49]
.LBB193_41:                             ;   in Loop: Header=BB193_14 Depth=1
	s_or_b64 exec, exec, s[46:47]
	global_load_ubyte v43, v[20:21], off offset:256
	v_mov_b32_e32 v41, 0
	v_mov_b32_e32 v42, 0
	s_waitcnt vmcnt(0)
	v_cmp_ne_u16_e64 s[4:5], 0, v43
	s_and_saveexec_b64 s[46:47], s[4:5]
	s_cbranch_execz .LBB193_47
; %bb.42:                               ;   in Loop: Header=BB193_14 Depth=1
	v_cmp_ne_u16_e64 s[4:5], s60, v43
	v_bfrev_b32_e32 v42, 1
	s_and_saveexec_b64 s[48:49], s[4:5]
	s_cbranch_execz .LBB193_46
; %bb.43:                               ;   in Loop: Header=BB193_14 Depth=1
	v_and_b32_e32 v22, 0xffff, v43
	v_and_b32_e32 v44, 0x7f, v22
	v_cmp_ne_u32_e64 s[4:5], s61, v44
	v_mov_b32_e32 v42, 0x7f800001
	s_and_saveexec_b64 s[50:51], s[4:5]
	s_cbranch_execz .LBB193_45
; %bb.44:                               ;   in Loop: Header=BB193_14 Depth=1
	v_and_b32_e32 v42, 7, v22
	v_ffbh_u32_e32 v46, v42
	v_min_u32_e32 v48, 32, v46
	v_subrev_u32_e32 v46, 28, v48
	v_lshlrev_b64 v[46:47], v46, v[22:23]
	v_lshrrev_b32_e32 v45, 3, v44
	v_sub_u32_e32 v22, 29, v48
	v_and_b32_e32 v46, 7, v46
	v_cmp_gt_u32_e64 s[4:5], 8, v44
	v_cndmask_b32_e64 v22, v45, v22, s[4:5]
	v_cndmask_b32_e64 v42, v42, v46, s[4:5]
	v_lshlrev_b32_e32 v43, 24, v43
	v_lshlrev_b32_e32 v42, 20, v42
	v_and_b32_e32 v43, 0x80000000, v43
	v_lshl_add_u32 v22, v22, 23, v34
	v_or3_b32 v42, v43, v22, v42
.LBB193_45:                             ;   in Loop: Header=BB193_14 Depth=1
	s_or_b64 exec, exec, s[50:51]
.LBB193_46:                             ;   in Loop: Header=BB193_14 Depth=1
	s_or_b64 exec, exec, s[48:49]
.LBB193_47:                             ;   in Loop: Header=BB193_14 Depth=1
	s_or_b64 exec, exec, s[46:47]
	global_load_ubyte v43, v[20:21], off offset:264
	s_waitcnt vmcnt(0)
	v_cmp_ne_u16_e64 s[4:5], 0, v43
	s_and_saveexec_b64 s[46:47], s[4:5]
	s_cbranch_execz .LBB193_53
; %bb.48:                               ;   in Loop: Header=BB193_14 Depth=1
	v_cmp_ne_u16_e64 s[4:5], s60, v43
	v_bfrev_b32_e32 v41, 1
	s_and_saveexec_b64 s[48:49], s[4:5]
	s_cbranch_execz .LBB193_52
; %bb.49:                               ;   in Loop: Header=BB193_14 Depth=1
	v_and_b32_e32 v22, 0xffff, v43
	v_and_b32_e32 v44, 0x7f, v22
	v_cmp_ne_u32_e64 s[4:5], s61, v44
	v_mov_b32_e32 v41, 0x7f800001
	s_and_saveexec_b64 s[50:51], s[4:5]
	s_cbranch_execz .LBB193_51
; %bb.50:                               ;   in Loop: Header=BB193_14 Depth=1
	v_and_b32_e32 v41, 7, v22
	v_ffbh_u32_e32 v46, v41
	v_min_u32_e32 v48, 32, v46
	v_subrev_u32_e32 v46, 28, v48
	v_lshlrev_b64 v[46:47], v46, v[22:23]
	v_lshrrev_b32_e32 v45, 3, v44
	v_sub_u32_e32 v22, 29, v48
	v_and_b32_e32 v46, 7, v46
	v_cmp_gt_u32_e64 s[4:5], 8, v44
	v_cndmask_b32_e64 v22, v45, v22, s[4:5]
	v_cndmask_b32_e64 v41, v41, v46, s[4:5]
	v_lshlrev_b32_e32 v43, 24, v43
	v_lshlrev_b32_e32 v41, 20, v41
	v_and_b32_e32 v43, 0x80000000, v43
	v_lshl_add_u32 v22, v22, 23, v34
	v_or3_b32 v41, v43, v22, v41
.LBB193_51:                             ;   in Loop: Header=BB193_14 Depth=1
	s_or_b64 exec, exec, s[50:51]
.LBB193_52:                             ;   in Loop: Header=BB193_14 Depth=1
	s_or_b64 exec, exec, s[48:49]
.LBB193_53:                             ;   in Loop: Header=BB193_14 Depth=1
	s_or_b64 exec, exec, s[46:47]
	global_load_ubyte v45, v[20:21], off offset:384
	v_mov_b32_e32 v43, 0
	v_mov_b32_e32 v44, 0
	s_waitcnt vmcnt(0)
	v_cmp_ne_u16_e64 s[4:5], 0, v45
	s_and_saveexec_b64 s[46:47], s[4:5]
	s_cbranch_execz .LBB193_59
; %bb.54:                               ;   in Loop: Header=BB193_14 Depth=1
	v_cmp_ne_u16_e64 s[4:5], s60, v45
	v_bfrev_b32_e32 v44, 1
	s_and_saveexec_b64 s[48:49], s[4:5]
	s_cbranch_execz .LBB193_58
; %bb.55:                               ;   in Loop: Header=BB193_14 Depth=1
	v_and_b32_e32 v22, 0xffff, v45
	v_and_b32_e32 v46, 0x7f, v22
	v_cmp_ne_u32_e64 s[4:5], s61, v46
	v_mov_b32_e32 v44, 0x7f800001
	s_and_saveexec_b64 s[50:51], s[4:5]
	s_cbranch_execz .LBB193_57
; %bb.56:                               ;   in Loop: Header=BB193_14 Depth=1
	v_and_b32_e32 v44, 7, v22
	v_ffbh_u32_e32 v48, v44
	v_min_u32_e32 v50, 32, v48
	v_subrev_u32_e32 v48, 28, v50
	v_lshlrev_b64 v[48:49], v48, v[22:23]
	v_lshrrev_b32_e32 v47, 3, v46
	v_sub_u32_e32 v22, 29, v50
	v_and_b32_e32 v48, 7, v48
	v_cmp_gt_u32_e64 s[4:5], 8, v46
	v_cndmask_b32_e64 v22, v47, v22, s[4:5]
	v_cndmask_b32_e64 v44, v44, v48, s[4:5]
	v_lshlrev_b32_e32 v45, 24, v45
	v_lshlrev_b32_e32 v44, 20, v44
	v_and_b32_e32 v45, 0x80000000, v45
	v_lshl_add_u32 v22, v22, 23, v34
	v_or3_b32 v44, v45, v22, v44
.LBB193_57:                             ;   in Loop: Header=BB193_14 Depth=1
	s_or_b64 exec, exec, s[50:51]
.LBB193_58:                             ;   in Loop: Header=BB193_14 Depth=1
	s_or_b64 exec, exec, s[48:49]
.LBB193_59:                             ;   in Loop: Header=BB193_14 Depth=1
	s_or_b64 exec, exec, s[46:47]
	global_load_ubyte v45, v[20:21], off offset:392
	s_waitcnt vmcnt(0)
	v_cmp_ne_u16_e64 s[4:5], 0, v45
	s_and_saveexec_b64 s[46:47], s[4:5]
	s_cbranch_execz .LBB193_65
; %bb.60:                               ;   in Loop: Header=BB193_14 Depth=1
	v_cmp_ne_u16_e64 s[4:5], s60, v45
	v_bfrev_b32_e32 v43, 1
	s_and_saveexec_b64 s[48:49], s[4:5]
	s_cbranch_execz .LBB193_64
; %bb.61:                               ;   in Loop: Header=BB193_14 Depth=1
	v_and_b32_e32 v22, 0xffff, v45
	v_and_b32_e32 v46, 0x7f, v22
	v_cmp_ne_u32_e64 s[4:5], s61, v46
	v_mov_b32_e32 v43, 0x7f800001
	s_and_saveexec_b64 s[50:51], s[4:5]
	s_cbranch_execz .LBB193_63
; %bb.62:                               ;   in Loop: Header=BB193_14 Depth=1
	v_and_b32_e32 v43, 7, v22
	v_ffbh_u32_e32 v48, v43
	v_min_u32_e32 v50, 32, v48
	v_subrev_u32_e32 v48, 28, v50
	v_lshlrev_b64 v[48:49], v48, v[22:23]
	v_lshrrev_b32_e32 v47, 3, v46
	v_sub_u32_e32 v22, 29, v50
	v_and_b32_e32 v48, 7, v48
	v_cmp_gt_u32_e64 s[4:5], 8, v46
	v_cndmask_b32_e64 v22, v47, v22, s[4:5]
	v_cndmask_b32_e64 v43, v43, v48, s[4:5]
	v_lshlrev_b32_e32 v45, 24, v45
	v_lshlrev_b32_e32 v43, 20, v43
	v_and_b32_e32 v45, 0x80000000, v45
	v_lshl_add_u32 v22, v22, 23, v34
	v_or3_b32 v43, v45, v22, v43
.LBB193_63:                             ;   in Loop: Header=BB193_14 Depth=1
	s_or_b64 exec, exec, s[50:51]
.LBB193_64:                             ;   in Loop: Header=BB193_14 Depth=1
	s_or_b64 exec, exec, s[48:49]
.LBB193_65:                             ;   in Loop: Header=BB193_14 Depth=1
	s_or_b64 exec, exec, s[46:47]
	global_load_ubyte v47, v[20:21], off offset:512
	v_mov_b32_e32 v45, 0
	v_mov_b32_e32 v46, 0
	s_waitcnt vmcnt(0)
	v_cmp_ne_u16_e64 s[4:5], 0, v47
	s_and_saveexec_b64 s[46:47], s[4:5]
	s_cbranch_execz .LBB193_71
; %bb.66:                               ;   in Loop: Header=BB193_14 Depth=1
	v_cmp_ne_u16_e64 s[4:5], s60, v47
	v_bfrev_b32_e32 v46, 1
	s_and_saveexec_b64 s[48:49], s[4:5]
	s_cbranch_execz .LBB193_70
; %bb.67:                               ;   in Loop: Header=BB193_14 Depth=1
	v_and_b32_e32 v22, 0xffff, v47
	v_and_b32_e32 v48, 0x7f, v22
	v_cmp_ne_u32_e64 s[4:5], s61, v48
	v_mov_b32_e32 v46, 0x7f800001
	s_and_saveexec_b64 s[50:51], s[4:5]
	s_cbranch_execz .LBB193_69
; %bb.68:                               ;   in Loop: Header=BB193_14 Depth=1
	v_and_b32_e32 v46, 7, v22
	v_ffbh_u32_e32 v50, v46
	v_min_u32_e32 v52, 32, v50
	v_subrev_u32_e32 v50, 28, v52
	v_lshlrev_b64 v[50:51], v50, v[22:23]
	v_lshrrev_b32_e32 v49, 3, v48
	v_sub_u32_e32 v22, 29, v52
	v_and_b32_e32 v50, 7, v50
	v_cmp_gt_u32_e64 s[4:5], 8, v48
	v_cndmask_b32_e64 v22, v49, v22, s[4:5]
	v_cndmask_b32_e64 v46, v46, v50, s[4:5]
	v_lshlrev_b32_e32 v47, 24, v47
	v_lshlrev_b32_e32 v46, 20, v46
	v_and_b32_e32 v47, 0x80000000, v47
	v_lshl_add_u32 v22, v22, 23, v34
	v_or3_b32 v46, v47, v22, v46
.LBB193_69:                             ;   in Loop: Header=BB193_14 Depth=1
	s_or_b64 exec, exec, s[50:51]
.LBB193_70:                             ;   in Loop: Header=BB193_14 Depth=1
	s_or_b64 exec, exec, s[48:49]
.LBB193_71:                             ;   in Loop: Header=BB193_14 Depth=1
	s_or_b64 exec, exec, s[46:47]
	global_load_ubyte v21, v[20:21], off offset:520
	s_waitcnt vmcnt(0)
	v_cmp_ne_u16_e64 s[4:5], 0, v21
	s_and_saveexec_b64 s[46:47], s[4:5]
	s_cbranch_execz .LBB193_77
; %bb.72:                               ;   in Loop: Header=BB193_14 Depth=1
	v_cmp_ne_u16_e64 s[4:5], s60, v21
	v_bfrev_b32_e32 v45, 1
	s_and_saveexec_b64 s[48:49], s[4:5]
	s_cbranch_execz .LBB193_76
; %bb.73:                               ;   in Loop: Header=BB193_14 Depth=1
	v_and_b32_e32 v20, 0xffff, v21
	v_and_b32_e32 v22, 0x7f, v20
	v_cmp_ne_u32_e64 s[4:5], s61, v22
	v_mov_b32_e32 v45, 0x7f800001
	s_and_saveexec_b64 s[50:51], s[4:5]
	s_cbranch_execz .LBB193_75
; %bb.74:                               ;   in Loop: Header=BB193_14 Depth=1
	v_and_b32_e32 v45, 7, v20
	v_ffbh_u32_e32 v48, v45
	v_min_u32_e32 v50, 32, v48
	v_subrev_u32_e32 v48, 28, v50
	v_lshlrev_b64 v[48:49], v48, v[20:21]
	v_lshrrev_b32_e32 v47, 3, v22
	v_sub_u32_e32 v20, 29, v50
	v_and_b32_e32 v48, 7, v48
	v_cmp_gt_u32_e64 s[4:5], 8, v22
	v_cndmask_b32_e64 v20, v47, v20, s[4:5]
	v_cndmask_b32_e64 v22, v45, v48, s[4:5]
	v_lshlrev_b32_e32 v21, 24, v21
	v_lshlrev_b32_e32 v22, 20, v22
	v_and_b32_e32 v21, 0x80000000, v21
	v_lshl_add_u32 v20, v20, 23, v34
	v_or3_b32 v45, v21, v20, v22
.LBB193_75:                             ;   in Loop: Header=BB193_14 Depth=1
	s_or_b64 exec, exec, s[50:51]
.LBB193_76:                             ;   in Loop: Header=BB193_14 Depth=1
	s_or_b64 exec, exec, s[48:49]
.LBB193_77:                             ;   in Loop: Header=BB193_14 Depth=1
	s_or_b64 exec, exec, s[46:47]
	s_waitcnt lgkmcnt(0)
	v_mul_f32_e32 v37, s62, v37
	v_mul_f32_e32 v38, s62, v38
	;; [unrolled: 1-line block ×4, first 2 shown]
	v_fmac_f32_e32 v7, v6, v38
	v_mul_f32_e32 v39, s62, v39
	v_fmac_f32_e32 v7, v8, v40
	v_mul_f32_e32 v42, s62, v42
	;; [unrolled: 2-line block ×4, first 2 shown]
	v_mul_f32_e32 v22, s62, v44
	v_and_b32_e32 v43, 64, v35
	v_fmac_f32_e32 v7, v3, v41
	v_add_u32_e32 v43, 64, v43
	v_xor_b32_e32 v44, 4, v35
	v_fmac_f32_e32 v7, v4, v22
	v_mul_f32_e32 v20, s62, v46
	v_cmp_lt_i32_e64 s[4:5], v44, v43
	v_fmac_f32_e32 v7, v5, v21
	v_cndmask_b32_e64 v44, v35, v44, s[4:5]
	v_mul_f32_e32 v45, s62, v45
	v_fmac_f32_e32 v7, v18, v20
	v_lshlrev_b32_e32 v44, 2, v44
	v_fmac_f32_e32 v7, v19, v45
	ds_bpermute_b32 v2, v44, v7
	v_xor_b32_e32 v3, 2, v35
	v_cmp_lt_i32_e64 s[4:5], v3, v43
	v_cndmask_b32_e64 v3, v35, v3, s[4:5]
	v_lshlrev_b32_e32 v3, 2, v3
	s_waitcnt lgkmcnt(0)
	v_add_f32_e32 v2, v7, v2
	ds_bpermute_b32 v3, v3, v2
	v_xor_b32_e32 v4, 1, v35
	v_cmp_lt_i32_e64 s[4:5], v4, v43
	v_cndmask_b32_e64 v4, v35, v4, s[4:5]
	v_lshlrev_b32_e32 v4, 2, v4
	s_waitcnt lgkmcnt(0)
	v_add_f32_e32 v2, v2, v3
	ds_bpermute_b32 v3, v4, v2
	s_and_saveexec_b64 s[46:47], vcc
	s_cbranch_execz .LBB193_12
; %bb.78:                               ;   in Loop: Header=BB193_14 Depth=1
	v_add_u32_e32 v4, v32, v30
	v_cvt_f32_i32_e32 v4, v4
	s_waitcnt lgkmcnt(0)
	v_add_f32_e32 v2, v2, v3
	v_add_u32_e32 v5, v26, v30
	v_cmp_gt_i32_e64 s[4:5], s33, v5
	v_mul_f32_e32 v3, s56, v4
	v_cndmask_b32_e64 v3, 0, v3, s[2:3]
	v_fmac_f32_e32 v3, s43, v2
	v_cndmask_b32_e64 v2, 0, v3, s[4:5]
	ds_write_b32 v31, v2
	v_max_f32_e32 v2, v28, v28
	v_max_f32_e32 v2, v2, v3
	v_cndmask_b32_e64 v28, v28, v2, s[4:5]
	s_branch .LBB193_12
.LBB193_79:
	s_or_b64 exec, exec, s[44:45]
.LBB193_80:
	s_or_b64 exec, exec, s[18:19]
	v_mbcnt_hi_u32_b32 v2, -1, v25
	s_waitcnt lgkmcnt(0)
	v_and_b32_e32 v3, 64, v2
	v_add_u32_e32 v3, 64, v3
	v_xor_b32_e32 v4, 32, v2
	v_cmp_lt_i32_e32 vcc, v4, v3
	v_cndmask_b32_e32 v4, v2, v4, vcc
	v_lshlrev_b32_e32 v7, 2, v4
	ds_bpermute_b32 v4, v7, v28
	v_xor_b32_e32 v6, 16, v2
	v_max_f32_e32 v5, v28, v28
	v_cmp_lt_i32_e32 vcc, v6, v3
	s_waitcnt lgkmcnt(0)
	v_max_f32_e32 v4, v4, v4
	v_max_f32_e32 v4, v5, v4
	v_cndmask_b32_e32 v5, v2, v6, vcc
	v_lshlrev_b32_e32 v12, 2, v5
	ds_bpermute_b32 v5, v12, v4
	v_xor_b32_e32 v6, 8, v2
	v_cmp_lt_i32_e32 vcc, v6, v3
	s_waitcnt lgkmcnt(0)
	v_max_f32_e32 v5, v5, v5
	v_max_f32_e32 v5, v4, v5
	v_cndmask_b32_e32 v4, v2, v6, vcc
	v_lshlrev_b32_e32 v14, 2, v4
	ds_bpermute_b32 v8, v14, v5
	v_and_b32_e32 v4, 63, v0
	v_cmp_eq_u32_e32 vcc, 0, v4
	v_lshlrev_b32_e32 v6, 2, v24
	s_and_saveexec_b64 s[2:3], vcc
	s_cbranch_execz .LBB193_82
; %bb.81:
	s_waitcnt lgkmcnt(0)
	v_max_f32_e32 v8, v8, v8
	v_max_f32_e32 v5, v5, v5
	;; [unrolled: 1-line block ×3, first 2 shown]
	ds_write_b32 v6, v5 offset:320
.LBB193_82:
	s_or_b64 exec, exec, s[2:3]
	v_cmp_gt_u32_e64 s[2:3], 2, v4
	v_mov_b32_e32 v5, 0xff7fffff
	s_waitcnt lgkmcnt(0)
	v_lshlrev_b32_e32 v8, 2, v4
	s_barrier
	s_and_saveexec_b64 s[4:5], s[2:3]
	s_cbranch_execz .LBB193_84
; %bb.83:
	ds_read_b32 v5, v8 offset:320
.LBB193_84:
	s_or_b64 exec, exec, s[4:5]
	v_xor_b32_e32 v9, 1, v2
	v_cmp_lt_i32_e64 s[4:5], v9, v3
	v_cndmask_b32_e64 v9, v2, v9, s[4:5]
	v_lshlrev_b32_e32 v9, 2, v9
	s_waitcnt lgkmcnt(0)
	ds_bpermute_b32 v15, v9, v5
	v_max_f32_e32 v5, v5, v5
	s_sub_i32 s4, s55, s23
	s_lshl_b32 s4, s4, 3
	s_add_i32 s4, s4, s35
	s_waitcnt lgkmcnt(0)
	v_max_f32_e32 v15, v15, v15
	v_max_f32_e32 v5, v5, v15
	v_lshlrev_b32_e32 v15, 2, v2
	v_and_b32_e32 v15, 0x100, v15
	ds_bpermute_b32 v5, v15, v5
	s_min_i32 s43, s4, s33
	s_sub_i32 s23, s43, s35
	v_cmp_gt_i32_e64 s[4:5], s23, v0
	v_mov_b32_e32 v16, 0
	s_and_saveexec_b64 s[12:13], s[4:5]
	s_cbranch_execz .LBB193_88
; %bb.85:
	v_mov_b32_e32 v16, 0x150
	v_lshl_add_u32 v17, v0, 2, v16
	s_mov_b64 s[18:19], 0
	v_mov_b32_e32 v16, 0
	v_mov_b32_e32 v18, v0
.LBB193_86:                             ; =>This Inner Loop Header: Depth=1
	ds_read_b32 v19, v17
	v_add_u32_e32 v18, 0x80, v18
	v_cmp_le_i32_e64 s[10:11], s23, v18
	s_or_b64 s[18:19], s[10:11], s[18:19]
	s_waitcnt lgkmcnt(0)
	v_sub_f32_e32 v19, v19, v5
	v_mul_f32_e32 v19, 0x3fb8aa3b, v19
	v_exp_f32_e32 v19, v19
	ds_write_b32 v17, v19
	v_add_f32_e32 v16, v16, v19
	v_add_u32_e32 v17, 0x200, v17
	s_andn2_b64 exec, exec, s[18:19]
	s_cbranch_execnz .LBB193_86
; %bb.87:
	s_or_b64 exec, exec, s[18:19]
.LBB193_88:
	s_or_b64 exec, exec, s[12:13]
	ds_bpermute_b32 v7, v7, v16
	s_waitcnt lgkmcnt(0)
	v_add_f32_e32 v7, v16, v7
	ds_bpermute_b32 v12, v12, v7
	s_waitcnt lgkmcnt(0)
	v_add_f32_e32 v7, v7, v12
	ds_bpermute_b32 v12, v14, v7
	v_xor_b32_e32 v14, 4, v2
	v_cmp_lt_i32_e64 s[10:11], v14, v3
	v_cndmask_b32_e64 v14, v2, v14, s[10:11]
	v_lshlrev_b32_e32 v14, 2, v14
	s_waitcnt lgkmcnt(0)
	v_add_f32_e32 v7, v7, v12
	ds_bpermute_b32 v12, v14, v7
	v_xor_b32_e32 v14, 2, v2
	v_cmp_lt_i32_e64 s[10:11], v14, v3
	v_cndmask_b32_e64 v2, v2, v14, s[10:11]
	v_lshlrev_b32_e32 v2, 2, v2
	s_waitcnt lgkmcnt(0)
	v_add_f32_e32 v3, v7, v12
	ds_bpermute_b32 v2, v2, v3
	s_waitcnt lgkmcnt(0)
	v_add_f32_e32 v2, v3, v2
	ds_bpermute_b32 v3, v9, v2
	s_waitcnt lgkmcnt(0)
	v_add_f32_e32 v2, v2, v3
	s_and_saveexec_b64 s[10:11], vcc
	s_cbranch_execz .LBB193_90
; %bb.89:
	ds_write_b32 v6, v2 offset:328
.LBB193_90:
	s_or_b64 exec, exec, s[10:11]
	s_waitcnt lgkmcnt(0)
	s_barrier
	s_and_saveexec_b64 s[10:11], s[2:3]
	s_cbranch_execz .LBB193_92
; %bb.91:
	ds_read_b32 v2, v8 offset:328
.LBB193_92:
	s_or_b64 exec, exec, s[10:11]
	s_waitcnt lgkmcnt(0)
	ds_bpermute_b32 v3, v9, v2
	s_waitcnt lgkmcnt(0)
	v_add_f32_e32 v2, v2, v3
	ds_bpermute_b32 v6, v15, v2
	s_and_saveexec_b64 s[2:3], s[4:5]
	s_cbranch_execz .LBB193_105
; %bb.93:
	s_waitcnt lgkmcnt(0)
	v_add_f32_e32 v2, 0x358637bd, v6
	v_div_scale_f32 v3, s[4:5], v2, v2, 1.0
	v_rcp_f32_e32 v7, v3
	v_div_scale_f32 v8, vcc, 1.0, v2, 1.0
	s_movk_i32 s4, 0x7f
	v_fma_f32 v12, -v3, v7, 1.0
	v_fmac_f32_e32 v7, v12, v7
	v_mul_f32_e32 v12, v8, v7
	v_fma_f32 v14, -v3, v12, v8
	v_fmac_f32_e32 v12, v14, v7
	v_fma_f32 v3, -v3, v12, v8
	v_div_fmas_f32 v3, v3, v7, v12
	v_div_fixup_f32 v2, v3, v2, 1.0
	v_xad_u32 v3, v0, -1, s43
	v_subrev_u32_e32 v7, s35, v3
	v_cmp_lt_u32_e32 vcc, s4, v7
	s_mov_b64 s[10:11], -1
	v_mov_b32_e32 v3, v0
	s_and_saveexec_b64 s[4:5], vcc
	s_cbranch_execz .LBB193_102
; %bb.94:
	v_lshrrev_b32_e32 v7, 7, v7
	v_add_u32_e32 v12, -1, v7
	v_lshrrev_b32_e32 v8, 1, v12
	v_mov_b32_e32 v3, v2
	v_add_u32_e32 v8, 1, v8
	v_cmp_lt_u32_e32 vcc, 13, v12
	v_mov_b32_e32 v15, 0
	s_and_saveexec_b64 s[10:11], vcc
	s_cbranch_execz .LBB193_98
; %bb.95:
	v_mov_b32_e32 v14, 0x150
	v_and_b32_e32 v12, -8, v8
	v_lshl_add_u32 v14, v0, 2, v14
	s_mov_b32 s18, 0
	s_mov_b64 s[12:13], 0
.LBB193_96:                             ; =>This Inner Loop Header: Depth=1
	ds_read2st64_b32 v[16:17], v14 offset1:2
	ds_read2st64_b32 v[18:19], v14 offset0:4 offset1:6
	ds_read2st64_b32 v[20:21], v14 offset0:8 offset1:10
	;; [unrolled: 1-line block ×3, first 2 shown]
	v_add_u32_e32 v12, -8, v12
	s_waitcnt lgkmcnt(3)
	v_pk_mul_f32 v[16:17], v[2:3], v[16:17]
	s_waitcnt lgkmcnt(2)
	v_pk_mul_f32 v[18:19], v[2:3], v[18:19]
	ds_write2st64_b32 v14, v16, v17 offset1:2
	ds_write2st64_b32 v14, v18, v19 offset0:4 offset1:6
	ds_read2st64_b32 v[18:19], v14 offset0:16 offset1:18
	s_waitcnt lgkmcnt(4)
	v_pk_mul_f32 v[16:17], v[2:3], v[20:21]
	ds_write2st64_b32 v14, v16, v17 offset0:8 offset1:10
	s_waitcnt lgkmcnt(4)
	v_pk_mul_f32 v[16:17], v[2:3], v[26:27]
	ds_write2st64_b32 v14, v16, v17 offset0:12 offset1:14
	ds_read2st64_b32 v[16:17], v14 offset0:20 offset1:22
	s_waitcnt lgkmcnt(3)
	v_pk_mul_f32 v[18:19], v[2:3], v[18:19]
	ds_read2st64_b32 v[20:21], v14 offset0:24 offset1:26
	ds_write2st64_b32 v14, v18, v19 offset0:16 offset1:18
	ds_read2st64_b32 v[18:19], v14 offset0:28 offset1:30
	s_waitcnt lgkmcnt(3)
	v_pk_mul_f32 v[16:17], v[2:3], v[16:17]
	ds_write2st64_b32 v14, v16, v17 offset0:20 offset1:22
	s_waitcnt lgkmcnt(3)
	v_pk_mul_f32 v[16:17], v[2:3], v[20:21]
	ds_write2st64_b32 v14, v16, v17 offset0:24 offset1:26
	s_waitcnt lgkmcnt(2)
	v_pk_mul_f32 v[16:17], v[2:3], v[18:19]
	s_add_i32 s18, s18, 16
	v_cmp_eq_u32_e32 vcc, 0, v12
	ds_write2st64_b32 v14, v16, v17 offset0:28 offset1:30
	v_add_u32_e32 v14, 0x2000, v14
	s_or_b64 s[12:13], vcc, s[12:13]
	v_mov_b32_e32 v15, s18
	s_andn2_b64 exec, exec, s[12:13]
	s_cbranch_execnz .LBB193_96
; %bb.97:
	s_or_b64 exec, exec, s[12:13]
.LBB193_98:
	s_or_b64 exec, exec, s[10:11]
	v_and_b32_e32 v8, 7, v8
	v_cmp_ne_u32_e32 vcc, 0, v8
	s_and_saveexec_b64 s[10:11], vcc
	s_cbranch_execz .LBB193_101
; %bb.99:
	v_lshlrev_b32_e32 v12, 9, v15
	s_movk_i32 s12, 0x150
	v_add3_u32 v12, v12, v23, s12
	s_mov_b64 s[12:13], 0
.LBB193_100:                            ; =>This Inner Loop Header: Depth=1
	ds_read2st64_b32 v[14:15], v12 offset1:2
	v_add_u32_e32 v8, -1, v8
	v_cmp_eq_u32_e32 vcc, 0, v8
	s_or_b64 s[12:13], vcc, s[12:13]
	s_waitcnt lgkmcnt(0)
	v_pk_mul_f32 v[14:15], v[2:3], v[14:15]
	ds_write2st64_b32 v12, v14, v15 offset1:2
	v_add_u32_e32 v12, 0x400, v12
	s_andn2_b64 exec, exec, s[12:13]
	s_cbranch_execnz .LBB193_100
.LBB193_101:
	s_or_b64 exec, exec, s[10:11]
	v_add_u32_e32 v7, 1, v7
	v_and_b32_e32 v8, 0x3fffffe, v7
	v_cmp_ne_u32_e32 vcc, v7, v8
	v_lshl_add_u32 v3, v8, 7, v0
	s_orn2_b64 s[10:11], vcc, exec
.LBB193_102:
	s_or_b64 exec, exec, s[4:5]
	s_and_b64 exec, exec, s[10:11]
	s_cbranch_execz .LBB193_105
; %bb.103:
	v_mov_b32_e32 v7, 0x150
	v_lshl_add_u32 v7, v3, 2, v7
	s_mov_b64 s[4:5], 0
.LBB193_104:                            ; =>This Inner Loop Header: Depth=1
	ds_read_b32 v8, v7
	v_add_u32_e32 v3, 0x80, v3
	v_cmp_le_i32_e32 vcc, s23, v3
	s_or_b64 s[4:5], vcc, s[4:5]
	s_waitcnt lgkmcnt(0)
	v_mul_f32_e32 v8, v2, v8
	ds_write_b32 v7, v8
	v_add_u32_e32 v7, 0x200, v7
	s_andn2_b64 exec, exec, s[4:5]
	s_cbranch_execnz .LBB193_104
.LBB193_105:
	s_or_b64 exec, exec, s[2:3]
	s_mul_i32 s2, s29, s34
	v_cmp_eq_u32_e32 vcc, 0, v0
	s_mul_i32 s10, s2, s9
	s_waitcnt lgkmcnt(0)
	s_barrier
	s_and_saveexec_b64 s[2:3], vcc
	s_cbranch_execz .LBB193_107
; %bb.106:
	s_ashr_i32 s11, s10, 31
	s_lshl_b64 s[4:5], s[10:11], 2
	s_add_u32 s9, s26, s4
	s_mul_i32 s12, s29, s6
	s_addc_u32 s11, s27, s5
	s_ashr_i32 s13, s12, 31
	s_lshl_b64 s[12:13], s[12:13], 2
	s_add_u32 s6, s9, s12
	s_addc_u32 s11, s11, s13
	s_ashr_i32 s9, s8, 31
	s_lshl_b64 s[18:19], s[8:9], 2
	s_add_u32 s26, s6, s18
	s_addc_u32 s27, s11, s19
	s_add_u32 s4, s24, s4
	s_addc_u32 s5, s25, s5
	;; [unrolled: 2-line block ×3, first 2 shown]
	s_add_u32 s4, s4, s18
	v_mov_b32_e32 v2, 0
	s_addc_u32 s5, s5, s19
	global_store_dword v2, v5, s[26:27]
	global_store_dword v2, v6, s[4:5]
.LBB193_107:
	s_or_b64 exec, exec, s[2:3]
	s_mov_b32 s4, 0
	v_mov_b32_e32 v8, 0
	v_lshrrev_b32_e32 v36, 1, v4
	v_and_b32_e32 v17, 1, v0
	v_mov_b32_e32 v7, 0
	v_mov_b32_e32 v6, 0
	s_and_saveexec_b64 s[12:13], s[0:1]
	s_cbranch_execz .LBB193_193
; %bb.108:
	s_sub_i32 s9, s16, s21
	s_ashr_i32 s0, s20, 31
	s_add_u32 s18, s40, s20
	s_addc_u32 s19, s41, s0
	s_abs_i32 s11, s22
	v_cvt_f32_u32_e32 v2, s11
	v_or_b32_e32 v3, 64, v36
	s_movk_i32 s0, 0x50
	v_and_b32_e32 v37, 4, v23
	v_rcp_iflag_f32_e32 v2, v2
	v_cmp_gt_u32_e32 vcc, s0, v3
	s_sub_i32 s0, 0, s11
	s_add_i32 s41, s7, -1
	v_mul_f32_e32 v2, 0x4f7ffffe, v2
	v_cvt_u32_f32_e32 v2, v2
	v_lshl_or_b32 v16, v3, 3, v37
	s_mov_b32 s6, s4
	s_mov_b32 s5, s4
	v_mul_lo_u32 v3, s0, v2
	s_lshl_b64 s[0:1], s[38:39], 2
	v_mul_hi_u32 v3, v2, v3
	s_add_u32 s0, s36, s0
	v_add_u32_e32 v38, v2, v3
	v_lshlrev_b64 v[2:3], 2, v[10:11]
	s_addc_u32 s1, s37, s1
	v_mov_b32_e32 v4, s1
	v_add_co_u32_e64 v18, s[0:1], s0, v2
	v_lshlrev_b32_e32 v2, 4, v17
	v_lshl_or_b32 v2, v24, 5, v2
	v_mov_b32_e32 v8, s6
	s_mov_b32 s40, s17
	v_lshl_or_b32 v12, v36, 3, v37
	v_mov_b32_e32 v15, 0
	v_addc_co_u32_e64 v19, s[0:1], v4, v3, s[0:1]
	v_add_u32_e32 v11, 0x150, v2
	s_mov_b64 s[16:17], 0
	v_mov_b32_e32 v7, s5
	v_mov_b32_e32 v6, s4
	s_movk_i32 s38, 0x80
	s_movk_i32 s39, 0x7f
	s_brev_b32 s5, 1
	s_mov_b32 s7, 0x7f800001
	s_mov_b32 s43, 0xffffff
	v_bfrev_b32_e32 v39, 60
	v_mov_b32_e32 v40, 7
	v_mov_b32_e32 v41, 24
	s_branch .LBB193_112
.LBB193_109:                            ;   in Loop: Header=BB193_112 Depth=1
	s_or_b64 exec, exec, s[2:3]
	v_mul_f32_e32 v3, v3, v21
	v_fmac_f32_e32 v3, v2, v20
	v_fmac_f32_e32 v3, v4, v22
	;; [unrolled: 1-line block ×3, first 2 shown]
	v_add_f32_e32 v8, v8, v3
.LBB193_110:                            ;   in Loop: Header=BB193_112 Depth=1
	s_or_b64 exec, exec, s[24:25]
.LBB193_111:                            ;   in Loop: Header=BB193_112 Depth=1
	s_or_b64 exec, exec, s[20:21]
	v_add_co_u32_e64 v18, s[0:1], 8, v18
	v_add_u32_e32 v10, 2, v10
	v_addc_co_u32_e64 v19, s[0:1], 0, v19, s[0:1]
	v_cmp_le_i32_e64 s[0:1], s55, v10
	v_add_u32_e32 v13, 16, v13
	s_or_b64 s[16:17], s[0:1], s[16:17]
	v_add_u32_e32 v11, 64, v11
	s_andn2_b64 exec, exec, s[16:17]
	s_cbranch_execz .LBB193_192
.LBB193_112:                            ; =>This Inner Loop Header: Depth=1
	v_sub_u32_e32 v3, 0, v13
	v_max_i32_e32 v3, v13, v3
	v_mul_hi_u32 v4, v3, s53
	v_mul_lo_u32 v5, v4, s52
	v_sub_u32_e32 v3, v3, v5
	v_add_u32_e32 v5, 1, v4
	v_cmp_le_u32_e64 s[0:1], s52, v3
	v_cndmask_b32_e64 v4, v4, v5, s[0:1]
	v_subrev_u32_e32 v5, s52, v3
	v_cndmask_b32_e64 v3, v3, v5, s[0:1]
	v_ashrrev_i32_e32 v2, 31, v13
	v_add_u32_e32 v5, 1, v4
	v_cmp_le_u32_e64 s[0:1], s52, v3
	v_xor_b32_e32 v2, s54, v2
	v_cndmask_b32_e64 v3, v4, v5, s[0:1]
	v_xor_b32_e32 v3, v3, v2
	v_sub_u32_e32 v2, v3, v2
	v_add_u32_e32 v3, s42, v2
	v_sub_u32_e32 v5, 0, v3
	v_ashrrev_i32_e32 v4, 31, v3
	v_max_i32_e32 v3, v3, v5
	v_mul_hi_u32 v5, v3, v38
	v_mul_lo_u32 v5, v5, s11
	v_sub_u32_e32 v3, v3, v5
	v_subrev_u32_e32 v5, s11, v3
	v_cmp_le_u32_e64 s[0:1], s11, v3
	v_cndmask_b32_e64 v3, v3, v5, s[0:1]
	v_subrev_u32_e32 v5, s11, v3
	v_cmp_le_u32_e64 s[0:1], s11, v3
	v_cndmask_b32_e64 v3, v3, v5, s[0:1]
	v_xor_b32_e32 v3, v3, v4
	v_sub_u32_e32 v3, v3, v4
	v_cmp_eq_u32_e64 s[0:1], 0, v3
	v_cmp_lt_i32_e64 s[2:3], s9, v2
	s_or_b64 s[0:1], s[0:1], s[2:3]
	s_and_saveexec_b64 s[20:21], s[0:1]
	s_cbranch_execz .LBB193_111
; %bb.113:                              ;   in Loop: Header=BB193_112 Depth=1
	global_load_dword v4, v[18:19], off
	v_pk_mov_b32 v[2:3], s[18:19], s[18:19] op_sel:[0,1]
	s_load_dword s22, s[14:15], 0x0
	v_pk_mov_b32 v[28:29], 0, 0
	v_pk_mov_b32 v[24:25], v[28:29], v[28:29] op_sel:[0,1]
	s_waitcnt vmcnt(0)
	v_mad_i64_i32 v[20:21], s[0:1], v4, s40, v[2:3]
	v_add_co_u32_e64 v26, s[0:1], v20, v12
	v_addc_co_u32_e64 v27, s[0:1], 0, v21, s[0:1]
	global_load_dword v22, v[26:27], off
	ds_read_b128 v[2:5], v11
	s_waitcnt vmcnt(0)
	v_cmp_ne_u16_sdwa s[0:1], v22, v15 src0_sel:BYTE_0 src1_sel:DWORD
	s_and_saveexec_b64 s[2:3], s[0:1]
	s_cbranch_execz .LBB193_119
; %bb.114:                              ;   in Loop: Header=BB193_112 Depth=1
	v_bfrev_b32_e32 v24, 1
	v_cmp_ne_u16_sdwa s[0:1], v22, s38 src0_sel:BYTE_0 src1_sel:DWORD
	v_mov_b32_e32 v25, 0
	s_and_saveexec_b64 s[24:25], s[0:1]
	s_cbranch_execz .LBB193_118
; %bb.115:                              ;   in Loop: Header=BB193_112 Depth=1
	v_and_b32_e32 v14, 0x7f, v22
	v_mov_b32_e32 v24, 0x7f800001
	v_cmp_ne_u32_e64 s[0:1], s39, v14
	v_mov_b32_e32 v25, 0
	s_and_saveexec_b64 s[26:27], s[0:1]
	s_cbranch_execz .LBB193_117
; %bb.116:                              ;   in Loop: Header=BB193_112 Depth=1
	v_and_b32_e32 v23, 7, v22
	v_ffbh_u32_e32 v24, v23
	v_min_u32_e32 v31, 32, v24
	v_subrev_u32_e32 v24, 28, v31
	v_lshlrev_b64 v[24:25], v24, v[22:23]
	v_lshrrev_b32_e32 v30, 3, v14
	v_sub_u32_e32 v25, 29, v31
	v_and_b32_e32 v24, 7, v24
	v_cmp_gt_u32_e64 s[0:1], 8, v14
	v_cndmask_b32_e64 v14, v30, v25, s[0:1]
	v_cndmask_b32_e64 v23, v23, v24, s[0:1]
	v_lshlrev_b32_e32 v23, 20, v23
	v_and_b32_sdwa v24, sext(v22), s5 dst_sel:DWORD dst_unused:UNUSED_PAD src0_sel:BYTE_0 src1_sel:DWORD
	v_lshl_add_u32 v14, v14, 23, v39
	v_or3_b32 v14, v24, v14, v23
	v_pk_mov_b32 v[24:25], v[14:15], v[14:15] op_sel:[0,1]
.LBB193_117:                            ;   in Loop: Header=BB193_112 Depth=1
	s_or_b64 exec, exec, s[26:27]
.LBB193_118:                            ;   in Loop: Header=BB193_112 Depth=1
	s_or_b64 exec, exec, s[24:25]
.LBB193_119:                            ;   in Loop: Header=BB193_112 Depth=1
	s_or_b64 exec, exec, s[2:3]
	v_cmp_ne_u16_sdwa s[0:1], v22, v15 src0_sel:BYTE_1 src1_sel:DWORD
	s_and_saveexec_b64 s[2:3], s[0:1]
	s_cbranch_execz .LBB193_125
; %bb.120:                              ;   in Loop: Header=BB193_112 Depth=1
	v_cmp_ne_u16_sdwa s[0:1], v22, s38 src0_sel:BYTE_1 src1_sel:DWORD
	v_pk_mov_b32 v[28:29], s[4:5], s[4:5] op_sel:[0,1]
	s_and_saveexec_b64 s[24:25], s[0:1]
	s_cbranch_execz .LBB193_124
; %bb.121:                              ;   in Loop: Header=BB193_112 Depth=1
	v_and_b32_sdwa v23, v22, s39 dst_sel:DWORD dst_unused:UNUSED_PAD src0_sel:BYTE_1 src1_sel:DWORD
	s_mov_b32 s6, s4
	v_cmp_ne_u32_e64 s[0:1], s39, v23
	v_pk_mov_b32 v[28:29], s[6:7], s[6:7] op_sel:[0,1]
	s_and_saveexec_b64 s[26:27], s[0:1]
	s_cbranch_execz .LBB193_123
; %bb.122:                              ;   in Loop: Header=BB193_112 Depth=1
	v_and_b32_sdwa v14, v22, v40 dst_sel:DWORD dst_unused:UNUSED_PAD src0_sel:BYTE_1 src1_sel:DWORD
	v_ffbh_u32_e32 v28, v14
	v_min_u32_e32 v31, 32, v28
	v_subrev_u32_e32 v28, 28, v31
	v_lshlrev_b64 v[28:29], v28, v[14:15]
	v_lshrrev_b32_e32 v30, 3, v23
	v_sub_u32_e32 v29, 29, v31
	v_cmp_gt_u32_e64 s[0:1], 8, v23
	v_and_b32_e32 v28, 7, v28
	v_cndmask_b32_e64 v23, v30, v29, s[0:1]
	v_cndmask_b32_e64 v14, v14, v28, s[0:1]
	v_lshlrev_b32_e32 v28, 16, v22
	v_lshl_add_u32 v23, v23, 23, v39
	v_and_or_b32 v23, v28, s5, v23
	v_lshlrev_b32_e32 v14, 20, v14
	v_or_b32_e32 v29, v23, v14
	v_mov_b32_e32 v28, v15
.LBB193_123:                            ;   in Loop: Header=BB193_112 Depth=1
	s_or_b64 exec, exec, s[26:27]
.LBB193_124:                            ;   in Loop: Header=BB193_112 Depth=1
	s_or_b64 exec, exec, s[24:25]
.LBB193_125:                            ;   in Loop: Header=BB193_112 Depth=1
	s_or_b64 exec, exec, s[2:3]
	v_lshrrev_b32_e32 v14, 16, v22
	v_pk_mov_b32 v[32:33], 0, 0
	v_cmp_ne_u16_sdwa s[0:1], v14, v15 src0_sel:BYTE_0 src1_sel:DWORD
	v_pk_mov_b32 v[30:31], v[32:33], v[32:33] op_sel:[0,1]
	s_and_saveexec_b64 s[2:3], s[0:1]
	s_cbranch_execz .LBB193_131
; %bb.126:                              ;   in Loop: Header=BB193_112 Depth=1
	v_bfrev_b32_e32 v30, 1
	v_cmp_ne_u16_sdwa s[0:1], v14, s38 src0_sel:BYTE_0 src1_sel:DWORD
	v_mov_b32_e32 v31, 0
	s_and_saveexec_b64 s[24:25], s[0:1]
	s_cbranch_execz .LBB193_130
; %bb.127:                              ;   in Loop: Header=BB193_112 Depth=1
	v_bfe_u32 v23, v22, 16, 7
	v_mov_b32_e32 v30, 0x7f800001
	v_cmp_ne_u32_e64 s[0:1], s39, v23
	v_mov_b32_e32 v31, 0
	s_and_saveexec_b64 s[26:27], s[0:1]
	s_cbranch_execz .LBB193_129
; %bb.128:                              ;   in Loop: Header=BB193_112 Depth=1
	v_and_b32_e32 v34, 7, v14
	v_ffbh_u32_e32 v30, v34
	v_min_u32_e32 v42, 32, v30
	v_subrev_u32_e32 v30, 28, v42
	v_lshlrev_b64 v[30:31], v30, v[14:15]
	v_lshrrev_b32_e32 v35, 3, v23
	v_sub_u32_e32 v31, 29, v42
	v_and_b32_e32 v30, 7, v30
	v_cmp_gt_u32_e64 s[0:1], 8, v23
	v_cndmask_b32_e64 v23, v35, v31, s[0:1]
	v_cndmask_b32_e64 v30, v34, v30, s[0:1]
	v_lshlrev_b32_e32 v30, 20, v30
	v_and_b32_sdwa v14, sext(v14), s5 dst_sel:DWORD dst_unused:UNUSED_PAD src0_sel:BYTE_0 src1_sel:DWORD
	v_lshl_add_u32 v23, v23, 23, v39
	v_or3_b32 v14, v14, v23, v30
	v_pk_mov_b32 v[30:31], v[14:15], v[14:15] op_sel:[0,1]
.LBB193_129:                            ;   in Loop: Header=BB193_112 Depth=1
	s_or_b64 exec, exec, s[26:27]
.LBB193_130:                            ;   in Loop: Header=BB193_112 Depth=1
	s_or_b64 exec, exec, s[24:25]
.LBB193_131:                            ;   in Loop: Header=BB193_112 Depth=1
	s_or_b64 exec, exec, s[2:3]
	v_cmp_lt_u32_e64 s[0:1], s43, v22
	s_and_saveexec_b64 s[2:3], s[0:1]
	s_cbranch_execz .LBB193_137
; %bb.132:                              ;   in Loop: Header=BB193_112 Depth=1
	v_cmp_ne_u32_sdwa s[0:1], v22, s38 src0_sel:BYTE_3 src1_sel:DWORD
	v_pk_mov_b32 v[32:33], s[4:5], s[4:5] op_sel:[0,1]
	s_and_saveexec_b64 s[24:25], s[0:1]
	s_cbranch_execz .LBB193_136
; %bb.133:                              ;   in Loop: Header=BB193_112 Depth=1
	v_bfe_u32 v23, v22, 24, 7
	s_mov_b32 s6, s4
	v_cmp_ne_u32_e64 s[0:1], s39, v23
	v_pk_mov_b32 v[32:33], s[6:7], s[6:7] op_sel:[0,1]
	s_and_saveexec_b64 s[26:27], s[0:1]
	s_cbranch_execz .LBB193_135
; %bb.134:                              ;   in Loop: Header=BB193_112 Depth=1
	v_and_b32_sdwa v14, v22, v40 dst_sel:DWORD dst_unused:UNUSED_PAD src0_sel:BYTE_3 src1_sel:DWORD
	v_ffbh_u32_e32 v32, v14
	v_min_u32_e32 v35, 32, v32
	v_subrev_u32_e32 v32, 28, v35
	v_lshlrev_b64 v[32:33], v32, v[14:15]
	v_lshrrev_b32_e32 v34, 3, v23
	v_sub_u32_e32 v33, 29, v35
	v_cmp_gt_u32_e64 s[0:1], 8, v23
	v_and_b32_e32 v32, 7, v32
	v_cndmask_b32_e64 v23, v34, v33, s[0:1]
	v_cndmask_b32_e64 v14, v14, v32, s[0:1]
	v_lshlrev_b32_sdwa v22, v41, v22 dst_sel:DWORD dst_unused:UNUSED_PAD src0_sel:DWORD src1_sel:BYTE_3
	v_lshl_add_u32 v23, v23, 23, v39
	v_and_or_b32 v22, v22, s5, v23
	v_lshlrev_b32_e32 v14, 20, v14
	v_or_b32_e32 v33, v22, v14
	v_mov_b32_e32 v32, v15
.LBB193_135:                            ;   in Loop: Header=BB193_112 Depth=1
	s_or_b64 exec, exec, s[26:27]
.LBB193_136:                            ;   in Loop: Header=BB193_112 Depth=1
	s_or_b64 exec, exec, s[24:25]
.LBB193_137:                            ;   in Loop: Header=BB193_112 Depth=1
	s_or_b64 exec, exec, s[2:3]
	v_or_b32_e32 v23, v29, v25
	v_or_b32_e32 v22, v28, v24
	;; [unrolled: 1-line block ×4, first 2 shown]
	v_add_u32_e32 v42, v37, v13
	v_cmp_eq_u32_e64 s[0:1], s41, v10
	s_waitcnt lgkmcnt(0)
	v_pk_mul_f32 v[22:23], s[22:23], v[22:23] op_sel_hi:[0,1]
	v_pk_mul_f32 v[24:25], s[22:23], v[24:25] op_sel_hi:[0,1]
	s_and_saveexec_b64 s[24:25], s[0:1]
; %bb.138:                              ;   in Loop: Header=BB193_112 Depth=1
	v_cmp_gt_i32_e64 s[2:3], s33, v42
	v_add_u32_e32 v14, 1, v42
	v_cndmask_b32_e64 v22, 0, v22, s[2:3]
	v_cmp_gt_i32_e64 s[2:3], s33, v14
	v_add_u32_e32 v14, 2, v42
	v_cndmask_b32_e64 v23, 0, v23, s[2:3]
	;; [unrolled: 3-line block ×3, first 2 shown]
	v_cmp_gt_i32_e64 s[2:3], s33, v14
	v_cndmask_b32_e64 v25, 0, v25, s[2:3]
; %bb.139:                              ;   in Loop: Header=BB193_112 Depth=1
	s_or_b64 exec, exec, s[24:25]
	global_load_dword v26, v[26:27], off offset:256
	v_pk_mov_b32 v[30:31], 0, 0
	v_pk_mov_b32 v[28:29], v[30:31], v[30:31] op_sel:[0,1]
	s_waitcnt vmcnt(0)
	v_cmp_ne_u16_sdwa s[2:3], v26, v15 src0_sel:BYTE_0 src1_sel:DWORD
	s_and_saveexec_b64 s[24:25], s[2:3]
	s_cbranch_execz .LBB193_145
; %bb.140:                              ;   in Loop: Header=BB193_112 Depth=1
	v_bfrev_b32_e32 v28, 1
	v_cmp_ne_u16_sdwa s[2:3], v26, s38 src0_sel:BYTE_0 src1_sel:DWORD
	v_mov_b32_e32 v29, 0
	s_and_saveexec_b64 s[26:27], s[2:3]
	s_cbranch_execz .LBB193_144
; %bb.141:                              ;   in Loop: Header=BB193_112 Depth=1
	v_and_b32_e32 v14, 0x7f, v26
	v_mov_b32_e32 v28, 0x7f800001
	v_cmp_ne_u32_e64 s[2:3], s39, v14
	v_mov_b32_e32 v29, 0
	s_and_saveexec_b64 s[34:35], s[2:3]
	s_cbranch_execz .LBB193_143
; %bb.142:                              ;   in Loop: Header=BB193_112 Depth=1
	v_and_b32_e32 v27, 7, v26
	v_ffbh_u32_e32 v28, v27
	v_min_u32_e32 v33, 32, v28
	v_subrev_u32_e32 v28, 28, v33
	v_lshlrev_b64 v[28:29], v28, v[26:27]
	v_lshrrev_b32_e32 v32, 3, v14
	v_sub_u32_e32 v29, 29, v33
	v_and_b32_e32 v28, 7, v28
	v_cmp_gt_u32_e64 s[2:3], 8, v14
	v_cndmask_b32_e64 v14, v32, v29, s[2:3]
	v_cndmask_b32_e64 v27, v27, v28, s[2:3]
	v_lshlrev_b32_e32 v27, 20, v27
	v_and_b32_sdwa v28, sext(v26), s5 dst_sel:DWORD dst_unused:UNUSED_PAD src0_sel:BYTE_0 src1_sel:DWORD
	v_lshl_add_u32 v14, v14, 23, v39
	v_or3_b32 v14, v28, v14, v27
	v_pk_mov_b32 v[28:29], v[14:15], v[14:15] op_sel:[0,1]
.LBB193_143:                            ;   in Loop: Header=BB193_112 Depth=1
	s_or_b64 exec, exec, s[34:35]
.LBB193_144:                            ;   in Loop: Header=BB193_112 Depth=1
	s_or_b64 exec, exec, s[26:27]
.LBB193_145:                            ;   in Loop: Header=BB193_112 Depth=1
	s_or_b64 exec, exec, s[24:25]
	v_cmp_ne_u16_sdwa s[2:3], v26, v15 src0_sel:BYTE_1 src1_sel:DWORD
	s_and_saveexec_b64 s[24:25], s[2:3]
	s_cbranch_execz .LBB193_151
; %bb.146:                              ;   in Loop: Header=BB193_112 Depth=1
	v_cmp_ne_u16_sdwa s[2:3], v26, s38 src0_sel:BYTE_1 src1_sel:DWORD
	v_pk_mov_b32 v[30:31], s[4:5], s[4:5] op_sel:[0,1]
	s_and_saveexec_b64 s[26:27], s[2:3]
	s_cbranch_execz .LBB193_150
; %bb.147:                              ;   in Loop: Header=BB193_112 Depth=1
	v_and_b32_sdwa v27, v26, s39 dst_sel:DWORD dst_unused:UNUSED_PAD src0_sel:BYTE_1 src1_sel:DWORD
	s_mov_b32 s6, s4
	v_cmp_ne_u32_e64 s[2:3], s39, v27
	v_pk_mov_b32 v[30:31], s[6:7], s[6:7] op_sel:[0,1]
	s_and_saveexec_b64 s[34:35], s[2:3]
	s_cbranch_execz .LBB193_149
; %bb.148:                              ;   in Loop: Header=BB193_112 Depth=1
	v_and_b32_sdwa v14, v26, v40 dst_sel:DWORD dst_unused:UNUSED_PAD src0_sel:BYTE_1 src1_sel:DWORD
	v_ffbh_u32_e32 v30, v14
	v_min_u32_e32 v33, 32, v30
	v_subrev_u32_e32 v30, 28, v33
	v_lshlrev_b64 v[30:31], v30, v[14:15]
	v_lshrrev_b32_e32 v32, 3, v27
	v_sub_u32_e32 v31, 29, v33
	v_cmp_gt_u32_e64 s[2:3], 8, v27
	v_and_b32_e32 v30, 7, v30
	v_cndmask_b32_e64 v27, v32, v31, s[2:3]
	v_cndmask_b32_e64 v14, v14, v30, s[2:3]
	v_lshlrev_b32_e32 v30, 16, v26
	v_lshl_add_u32 v27, v27, 23, v39
	v_and_or_b32 v27, v30, s5, v27
	v_lshlrev_b32_e32 v14, 20, v14
	v_or_b32_e32 v31, v27, v14
	v_mov_b32_e32 v30, v15
.LBB193_149:                            ;   in Loop: Header=BB193_112 Depth=1
	s_or_b64 exec, exec, s[34:35]
.LBB193_150:                            ;   in Loop: Header=BB193_112 Depth=1
	s_or_b64 exec, exec, s[26:27]
.LBB193_151:                            ;   in Loop: Header=BB193_112 Depth=1
	s_or_b64 exec, exec, s[24:25]
	v_lshrrev_b32_e32 v14, 16, v26
	v_pk_mov_b32 v[34:35], 0, 0
	v_cmp_ne_u16_sdwa s[2:3], v14, v15 src0_sel:BYTE_0 src1_sel:DWORD
	v_pk_mov_b32 v[32:33], v[34:35], v[34:35] op_sel:[0,1]
	s_and_saveexec_b64 s[24:25], s[2:3]
	s_cbranch_execz .LBB193_157
; %bb.152:                              ;   in Loop: Header=BB193_112 Depth=1
	v_bfrev_b32_e32 v32, 1
	v_cmp_ne_u16_sdwa s[2:3], v14, s38 src0_sel:BYTE_0 src1_sel:DWORD
	v_mov_b32_e32 v33, 0
	s_and_saveexec_b64 s[26:27], s[2:3]
	s_cbranch_execz .LBB193_156
; %bb.153:                              ;   in Loop: Header=BB193_112 Depth=1
	v_bfe_u32 v27, v26, 16, 7
	v_mov_b32_e32 v32, 0x7f800001
	v_cmp_ne_u32_e64 s[2:3], s39, v27
	v_mov_b32_e32 v33, 0
	s_and_saveexec_b64 s[34:35], s[2:3]
	s_cbranch_execz .LBB193_155
; %bb.154:                              ;   in Loop: Header=BB193_112 Depth=1
	v_and_b32_e32 v43, 7, v14
	v_ffbh_u32_e32 v32, v43
	v_min_u32_e32 v45, 32, v32
	v_subrev_u32_e32 v32, 28, v45
	v_lshlrev_b64 v[32:33], v32, v[14:15]
	v_lshrrev_b32_e32 v44, 3, v27
	v_sub_u32_e32 v33, 29, v45
	v_and_b32_e32 v32, 7, v32
	v_cmp_gt_u32_e64 s[2:3], 8, v27
	v_cndmask_b32_e64 v27, v44, v33, s[2:3]
	v_cndmask_b32_e64 v32, v43, v32, s[2:3]
	v_lshlrev_b32_e32 v32, 20, v32
	v_and_b32_sdwa v14, sext(v14), s5 dst_sel:DWORD dst_unused:UNUSED_PAD src0_sel:BYTE_0 src1_sel:DWORD
	v_lshl_add_u32 v27, v27, 23, v39
	v_or3_b32 v14, v14, v27, v32
	v_pk_mov_b32 v[32:33], v[14:15], v[14:15] op_sel:[0,1]
.LBB193_155:                            ;   in Loop: Header=BB193_112 Depth=1
	s_or_b64 exec, exec, s[34:35]
.LBB193_156:                            ;   in Loop: Header=BB193_112 Depth=1
	s_or_b64 exec, exec, s[26:27]
.LBB193_157:                            ;   in Loop: Header=BB193_112 Depth=1
	s_or_b64 exec, exec, s[24:25]
	v_cmp_lt_u32_e64 s[2:3], s43, v26
	s_and_saveexec_b64 s[24:25], s[2:3]
	s_cbranch_execz .LBB193_163
; %bb.158:                              ;   in Loop: Header=BB193_112 Depth=1
	v_cmp_ne_u32_sdwa s[2:3], v26, s38 src0_sel:BYTE_3 src1_sel:DWORD
	v_pk_mov_b32 v[34:35], s[4:5], s[4:5] op_sel:[0,1]
	s_and_saveexec_b64 s[26:27], s[2:3]
	s_cbranch_execz .LBB193_162
; %bb.159:                              ;   in Loop: Header=BB193_112 Depth=1
	v_bfe_u32 v27, v26, 24, 7
	s_mov_b32 s6, s4
	v_cmp_ne_u32_e64 s[2:3], s39, v27
	v_pk_mov_b32 v[34:35], s[6:7], s[6:7] op_sel:[0,1]
	s_and_saveexec_b64 s[34:35], s[2:3]
	s_cbranch_execz .LBB193_161
; %bb.160:                              ;   in Loop: Header=BB193_112 Depth=1
	v_and_b32_sdwa v14, v26, v40 dst_sel:DWORD dst_unused:UNUSED_PAD src0_sel:BYTE_3 src1_sel:DWORD
	v_ffbh_u32_e32 v34, v14
	v_min_u32_e32 v44, 32, v34
	v_subrev_u32_e32 v34, 28, v44
	v_lshlrev_b64 v[34:35], v34, v[14:15]
	v_lshrrev_b32_e32 v43, 3, v27
	v_sub_u32_e32 v35, 29, v44
	v_cmp_gt_u32_e64 s[2:3], 8, v27
	v_and_b32_e32 v34, 7, v34
	v_cndmask_b32_e64 v27, v43, v35, s[2:3]
	v_cndmask_b32_e64 v14, v14, v34, s[2:3]
	v_lshlrev_b32_sdwa v26, v41, v26 dst_sel:DWORD dst_unused:UNUSED_PAD src0_sel:DWORD src1_sel:BYTE_3
	v_lshl_add_u32 v27, v27, 23, v39
	v_and_or_b32 v26, v26, s5, v27
	v_lshlrev_b32_e32 v14, 20, v14
	v_or_b32_e32 v35, v26, v14
	v_mov_b32_e32 v34, v15
.LBB193_161:                            ;   in Loop: Header=BB193_112 Depth=1
	s_or_b64 exec, exec, s[34:35]
.LBB193_162:                            ;   in Loop: Header=BB193_112 Depth=1
	s_or_b64 exec, exec, s[26:27]
.LBB193_163:                            ;   in Loop: Header=BB193_112 Depth=1
	s_or_b64 exec, exec, s[24:25]
	s_mov_b32 s23, s22
	v_or_b32_e32 v27, v31, v29
	v_or_b32_e32 v26, v30, v28
	;; [unrolled: 1-line block ×4, first 2 shown]
	v_pk_mul_f32 v[26:27], s[22:23], v[26:27]
	v_pk_mul_f32 v[28:29], s[22:23], v[28:29]
	s_and_saveexec_b64 s[24:25], s[0:1]
; %bb.164:                              ;   in Loop: Header=BB193_112 Depth=1
	v_cmp_gt_i32_e64 s[2:3], s33, v42
	v_add_u32_e32 v14, 1, v42
	v_cndmask_b32_e64 v26, 0, v26, s[2:3]
	v_cmp_gt_i32_e64 s[2:3], s33, v14
	v_add_u32_e32 v14, 2, v42
	v_cndmask_b32_e64 v27, 0, v27, s[2:3]
	;; [unrolled: 3-line block ×3, first 2 shown]
	v_cmp_gt_i32_e64 s[2:3], s33, v14
	v_cndmask_b32_e64 v29, 0, v29, s[2:3]
; %bb.165:                              ;   in Loop: Header=BB193_112 Depth=1
	s_or_b64 exec, exec, s[24:25]
	v_mul_f32_e32 v14, v3, v23
	v_fmac_f32_e32 v14, v2, v22
	v_fmac_f32_e32 v14, v4, v24
	;; [unrolled: 1-line block ×3, first 2 shown]
	v_add_f32_e32 v6, v6, v14
	v_mul_f32_e32 v14, v3, v27
	v_fmac_f32_e32 v14, v2, v26
	v_fmac_f32_e32 v14, v4, v28
	;; [unrolled: 1-line block ×3, first 2 shown]
	v_add_f32_e32 v7, v7, v14
	s_and_saveexec_b64 s[24:25], vcc
	s_cbranch_execz .LBB193_110
; %bb.166:                              ;   in Loop: Header=BB193_112 Depth=1
	v_add_co_u32_e64 v20, s[2:3], v20, v16
	v_addc_co_u32_e64 v21, s[2:3], 0, v21, s[2:3]
	global_load_dword v20, v[20:21], off
	v_pk_mov_b32 v[24:25], 0, 0
	v_pk_mov_b32 v[22:23], v[24:25], v[24:25] op_sel:[0,1]
	s_waitcnt vmcnt(0)
	v_cmp_ne_u16_sdwa s[2:3], v20, v15 src0_sel:BYTE_0 src1_sel:DWORD
	s_and_saveexec_b64 s[26:27], s[2:3]
	s_cbranch_execz .LBB193_172
; %bb.167:                              ;   in Loop: Header=BB193_112 Depth=1
	v_bfrev_b32_e32 v22, 1
	v_cmp_ne_u16_sdwa s[2:3], v20, s38 src0_sel:BYTE_0 src1_sel:DWORD
	v_mov_b32_e32 v23, 0
	s_and_saveexec_b64 s[34:35], s[2:3]
	s_cbranch_execz .LBB193_171
; %bb.168:                              ;   in Loop: Header=BB193_112 Depth=1
	v_and_b32_e32 v14, 0x7f, v20
	v_mov_b32_e32 v22, 0x7f800001
	v_cmp_ne_u32_e64 s[2:3], s39, v14
	v_mov_b32_e32 v23, 0
	s_and_saveexec_b64 s[36:37], s[2:3]
	s_cbranch_execz .LBB193_170
; %bb.169:                              ;   in Loop: Header=BB193_112 Depth=1
	v_and_b32_e32 v21, 7, v20
	v_ffbh_u32_e32 v22, v21
	v_min_u32_e32 v27, 32, v22
	v_subrev_u32_e32 v22, 28, v27
	v_lshlrev_b64 v[22:23], v22, v[20:21]
	v_lshrrev_b32_e32 v26, 3, v14
	v_sub_u32_e32 v23, 29, v27
	v_and_b32_e32 v22, 7, v22
	v_cmp_gt_u32_e64 s[2:3], 8, v14
	v_cndmask_b32_e64 v14, v26, v23, s[2:3]
	v_cndmask_b32_e64 v21, v21, v22, s[2:3]
	v_lshlrev_b32_e32 v21, 20, v21
	v_and_b32_sdwa v22, sext(v20), s5 dst_sel:DWORD dst_unused:UNUSED_PAD src0_sel:BYTE_0 src1_sel:DWORD
	v_lshl_add_u32 v14, v14, 23, v39
	v_or3_b32 v14, v22, v14, v21
	v_pk_mov_b32 v[22:23], v[14:15], v[14:15] op_sel:[0,1]
.LBB193_170:                            ;   in Loop: Header=BB193_112 Depth=1
	s_or_b64 exec, exec, s[36:37]
.LBB193_171:                            ;   in Loop: Header=BB193_112 Depth=1
	s_or_b64 exec, exec, s[34:35]
.LBB193_172:                            ;   in Loop: Header=BB193_112 Depth=1
	s_or_b64 exec, exec, s[26:27]
	v_cmp_ne_u16_sdwa s[2:3], v20, v15 src0_sel:BYTE_1 src1_sel:DWORD
	s_and_saveexec_b64 s[26:27], s[2:3]
	s_cbranch_execz .LBB193_178
; %bb.173:                              ;   in Loop: Header=BB193_112 Depth=1
	v_cmp_ne_u16_sdwa s[2:3], v20, s38 src0_sel:BYTE_1 src1_sel:DWORD
	v_pk_mov_b32 v[24:25], s[4:5], s[4:5] op_sel:[0,1]
	s_and_saveexec_b64 s[34:35], s[2:3]
	s_cbranch_execz .LBB193_177
; %bb.174:                              ;   in Loop: Header=BB193_112 Depth=1
	v_and_b32_sdwa v21, v20, s39 dst_sel:DWORD dst_unused:UNUSED_PAD src0_sel:BYTE_1 src1_sel:DWORD
	s_mov_b32 s6, s4
	v_cmp_ne_u32_e64 s[2:3], s39, v21
	v_pk_mov_b32 v[24:25], s[6:7], s[6:7] op_sel:[0,1]
	s_and_saveexec_b64 s[36:37], s[2:3]
	s_cbranch_execz .LBB193_176
; %bb.175:                              ;   in Loop: Header=BB193_112 Depth=1
	v_and_b32_sdwa v14, v20, v40 dst_sel:DWORD dst_unused:UNUSED_PAD src0_sel:BYTE_1 src1_sel:DWORD
	v_ffbh_u32_e32 v24, v14
	v_min_u32_e32 v27, 32, v24
	v_subrev_u32_e32 v24, 28, v27
	v_lshlrev_b64 v[24:25], v24, v[14:15]
	v_lshrrev_b32_e32 v26, 3, v21
	v_sub_u32_e32 v25, 29, v27
	v_cmp_gt_u32_e64 s[2:3], 8, v21
	v_and_b32_e32 v24, 7, v24
	v_cndmask_b32_e64 v21, v26, v25, s[2:3]
	v_cndmask_b32_e64 v14, v14, v24, s[2:3]
	v_lshlrev_b32_e32 v24, 16, v20
	v_lshl_add_u32 v21, v21, 23, v39
	v_and_or_b32 v21, v24, s5, v21
	v_lshlrev_b32_e32 v14, 20, v14
	v_or_b32_e32 v25, v21, v14
	v_mov_b32_e32 v24, v15
.LBB193_176:                            ;   in Loop: Header=BB193_112 Depth=1
	s_or_b64 exec, exec, s[36:37]
.LBB193_177:                            ;   in Loop: Header=BB193_112 Depth=1
	s_or_b64 exec, exec, s[34:35]
.LBB193_178:                            ;   in Loop: Header=BB193_112 Depth=1
	s_or_b64 exec, exec, s[26:27]
	v_lshrrev_b32_e32 v14, 16, v20
	v_pk_mov_b32 v[28:29], 0, 0
	v_cmp_ne_u16_sdwa s[2:3], v14, v15 src0_sel:BYTE_0 src1_sel:DWORD
	v_pk_mov_b32 v[26:27], v[28:29], v[28:29] op_sel:[0,1]
	s_and_saveexec_b64 s[26:27], s[2:3]
	s_cbranch_execz .LBB193_184
; %bb.179:                              ;   in Loop: Header=BB193_112 Depth=1
	v_bfrev_b32_e32 v26, 1
	v_cmp_ne_u16_sdwa s[2:3], v14, s38 src0_sel:BYTE_0 src1_sel:DWORD
	v_mov_b32_e32 v27, 0
	s_and_saveexec_b64 s[34:35], s[2:3]
	s_cbranch_execz .LBB193_183
; %bb.180:                              ;   in Loop: Header=BB193_112 Depth=1
	v_bfe_u32 v21, v20, 16, 7
	v_mov_b32_e32 v26, 0x7f800001
	v_cmp_ne_u32_e64 s[2:3], s39, v21
	v_mov_b32_e32 v27, 0
	s_and_saveexec_b64 s[36:37], s[2:3]
	s_cbranch_execz .LBB193_182
; %bb.181:                              ;   in Loop: Header=BB193_112 Depth=1
	v_and_b32_e32 v30, 7, v14
	v_ffbh_u32_e32 v26, v30
	v_min_u32_e32 v32, 32, v26
	v_subrev_u32_e32 v26, 28, v32
	v_lshlrev_b64 v[26:27], v26, v[14:15]
	v_lshrrev_b32_e32 v31, 3, v21
	v_sub_u32_e32 v27, 29, v32
	v_and_b32_e32 v26, 7, v26
	v_cmp_gt_u32_e64 s[2:3], 8, v21
	v_cndmask_b32_e64 v21, v31, v27, s[2:3]
	v_cndmask_b32_e64 v26, v30, v26, s[2:3]
	v_lshlrev_b32_e32 v26, 20, v26
	v_and_b32_sdwa v14, sext(v14), s5 dst_sel:DWORD dst_unused:UNUSED_PAD src0_sel:BYTE_0 src1_sel:DWORD
	v_lshl_add_u32 v21, v21, 23, v39
	v_or3_b32 v14, v14, v21, v26
	v_pk_mov_b32 v[26:27], v[14:15], v[14:15] op_sel:[0,1]
.LBB193_182:                            ;   in Loop: Header=BB193_112 Depth=1
	s_or_b64 exec, exec, s[36:37]
.LBB193_183:                            ;   in Loop: Header=BB193_112 Depth=1
	s_or_b64 exec, exec, s[34:35]
.LBB193_184:                            ;   in Loop: Header=BB193_112 Depth=1
	s_or_b64 exec, exec, s[26:27]
	v_cmp_lt_u32_e64 s[2:3], s43, v20
	s_and_saveexec_b64 s[26:27], s[2:3]
	s_cbranch_execz .LBB193_190
; %bb.185:                              ;   in Loop: Header=BB193_112 Depth=1
	v_cmp_ne_u32_sdwa s[2:3], v20, s38 src0_sel:BYTE_3 src1_sel:DWORD
	v_pk_mov_b32 v[28:29], s[4:5], s[4:5] op_sel:[0,1]
	s_and_saveexec_b64 s[34:35], s[2:3]
	s_cbranch_execz .LBB193_189
; %bb.186:                              ;   in Loop: Header=BB193_112 Depth=1
	v_bfe_u32 v21, v20, 24, 7
	s_mov_b32 s6, s4
	v_cmp_ne_u32_e64 s[2:3], s39, v21
	v_pk_mov_b32 v[28:29], s[6:7], s[6:7] op_sel:[0,1]
	s_and_saveexec_b64 s[36:37], s[2:3]
	s_cbranch_execz .LBB193_188
; %bb.187:                              ;   in Loop: Header=BB193_112 Depth=1
	v_and_b32_sdwa v14, v20, v40 dst_sel:DWORD dst_unused:UNUSED_PAD src0_sel:BYTE_3 src1_sel:DWORD
	v_ffbh_u32_e32 v28, v14
	v_min_u32_e32 v31, 32, v28
	v_subrev_u32_e32 v28, 28, v31
	v_lshlrev_b64 v[28:29], v28, v[14:15]
	v_lshrrev_b32_e32 v30, 3, v21
	v_sub_u32_e32 v29, 29, v31
	v_cmp_gt_u32_e64 s[2:3], 8, v21
	v_and_b32_e32 v28, 7, v28
	v_cndmask_b32_e64 v21, v30, v29, s[2:3]
	v_cndmask_b32_e64 v14, v14, v28, s[2:3]
	v_lshlrev_b32_sdwa v20, v41, v20 dst_sel:DWORD dst_unused:UNUSED_PAD src0_sel:DWORD src1_sel:BYTE_3
	v_lshl_add_u32 v21, v21, 23, v39
	v_and_or_b32 v20, v20, s5, v21
	v_lshlrev_b32_e32 v14, 20, v14
	v_or_b32_e32 v29, v20, v14
	v_mov_b32_e32 v28, v15
.LBB193_188:                            ;   in Loop: Header=BB193_112 Depth=1
	s_or_b64 exec, exec, s[36:37]
.LBB193_189:                            ;   in Loop: Header=BB193_112 Depth=1
	s_or_b64 exec, exec, s[34:35]
.LBB193_190:                            ;   in Loop: Header=BB193_112 Depth=1
	s_or_b64 exec, exec, s[26:27]
	v_or_b32_e32 v21, v25, v23
	v_or_b32_e32 v20, v24, v22
	;; [unrolled: 1-line block ×4, first 2 shown]
	v_pk_mul_f32 v[20:21], s[22:23], v[20:21]
	v_pk_mul_f32 v[22:23], s[22:23], v[22:23]
	s_and_saveexec_b64 s[2:3], s[0:1]
	s_cbranch_execz .LBB193_109
; %bb.191:                              ;   in Loop: Header=BB193_112 Depth=1
	v_cmp_gt_i32_e64 s[0:1], s33, v42
	v_add_u32_e32 v14, 1, v42
	v_cndmask_b32_e64 v20, 0, v20, s[0:1]
	v_cmp_gt_i32_e64 s[0:1], s33, v14
	v_add_u32_e32 v14, 2, v42
	v_cndmask_b32_e64 v21, 0, v21, s[0:1]
	;; [unrolled: 3-line block ×3, first 2 shown]
	v_cmp_gt_i32_e64 s[0:1], s33, v14
	v_cndmask_b32_e64 v23, 0, v23, s[0:1]
	s_branch .LBB193_109
.LBB193_192:
	s_or_b64 exec, exec, s[16:17]
.LBB193_193:
	s_or_b64 exec, exec, s[12:13]
	ds_bpermute_b32 v2, v9, v6
	ds_bpermute_b32 v3, v9, v7
	;; [unrolled: 1-line block ×3, first 2 shown]
	v_and_b32_e32 v5, 0x3c0, v0
	v_cmp_eq_u32_e32 vcc, 64, v5
	s_waitcnt lgkmcnt(0)
	v_pk_add_f32 v[2:3], v[6:7], v[2:3]
	v_add_f32_e32 v4, v8, v4
	s_barrier
	s_and_saveexec_b64 s[2:3], vcc
	s_cbranch_execz .LBB193_198
; %bb.194:
	v_cmp_eq_u32_e32 vcc, 0, v17
	s_and_saveexec_b64 s[0:1], vcc
	s_cbranch_execz .LBB193_196
; %bb.195:
	v_mov_b32_e32 v5, 0x150
	v_lshl_add_u32 v5, v36, 2, v5
	ds_write2_b32 v5, v2, v3 offset1:32
.LBB193_196:
	s_or_b64 exec, exec, s[0:1]
	v_or_b32_e32 v5, 64, v36
	s_movk_i32 s0, 0x50
	v_cmp_gt_u32_e64 s[0:1], s0, v5
	s_and_b64 s[0:1], vcc, s[0:1]
	s_and_b64 exec, exec, s[0:1]
	s_cbranch_execz .LBB193_198
; %bb.197:
	v_mov_b32_e32 v5, 0x150
	v_lshl_add_u32 v5, v36, 2, v5
	ds_write_b32 v5, v4 offset:256
.LBB193_198:
	s_or_b64 exec, exec, s[2:3]
	v_cmp_gt_u32_e32 vcc, 64, v0
	s_waitcnt lgkmcnt(0)
	s_barrier
	s_and_saveexec_b64 s[4:5], vcc
	s_cbranch_execz .LBB193_206
; %bb.199:
	v_cmp_eq_u32_e64 s[0:1], 0, v17
	s_and_saveexec_b64 s[2:3], s[0:1]
	s_cbranch_execz .LBB193_201
; %bb.200:
	v_mov_b32_e32 v0, 0x150
	v_lshl_add_u32 v0, v1, 2, v0
	ds_read_b32 v0, v0
	s_waitcnt lgkmcnt(0)
	v_add_f32_e32 v2, v2, v0
.LBB193_201:
	s_or_b64 exec, exec, s[2:3]
	s_and_saveexec_b64 s[2:3], s[0:1]
	s_cbranch_execz .LBB193_203
; %bb.202:
	v_mov_b32_e32 v0, 0x150
	v_lshl_add_u32 v0, v1, 2, v0
	ds_read_b32 v0, v0 offset:128
	s_waitcnt lgkmcnt(0)
	v_add_f32_e32 v3, v3, v0
.LBB193_203:
	s_or_b64 exec, exec, s[2:3]
	v_or_b32_e32 v0, 64, v1
	s_movk_i32 s2, 0x50
	v_cmp_gt_u32_e64 s[2:3], s2, v0
	s_and_b64 s[2:3], s[0:1], s[2:3]
	s_and_saveexec_b64 s[0:1], s[2:3]
	s_cbranch_execz .LBB193_205
; %bb.204:
	v_mov_b32_e32 v0, 0x150
	v_lshl_add_u32 v0, v1, 2, v0
	ds_read_b32 v0, v0 offset:256
	s_waitcnt lgkmcnt(0)
	v_add_f32_e32 v4, v4, v0
.LBB193_205:
	s_or_b64 exec, exec, s[0:1]
.LBB193_206:
	s_or_b64 exec, exec, s[4:5]
	s_barrier
	s_and_saveexec_b64 s[0:1], vcc
	s_cbranch_execz .LBB193_211
; %bb.207:
	s_mul_i32 s0, s10, 0x50
	s_ashr_i32 s1, s0, 31
	s_lshl_b64 s[0:1], s[0:1], 2
	s_add_u32 s2, s30, s0
	s_mul_i32 s0, s29, s28
	s_addc_u32 s3, s31, s1
	s_ashr_i32 s1, s0, 31
	s_lshl_b64 s[0:1], s[0:1], 2
	s_add_u32 s2, s2, s0
	s_mul_i32 s0, s8, 0x50
	s_addc_u32 s3, s3, s1
	s_ashr_i32 s1, s0, 31
	s_lshl_b64 s[0:1], s[0:1], 2
	s_add_u32 s2, s2, s0
	s_movk_i32 s4, 0x50
	s_addc_u32 s3, s3, s1
	v_cmp_eq_u32_e32 vcc, 0, v17
	v_lshlrev_b32_e32 v0, 2, v1
	s_and_saveexec_b64 s[0:1], vcc
	s_cbranch_execz .LBB193_209
; %bb.208:
	global_store_dword v0, v2, s[2:3]
	global_store_dword v0, v3, s[2:3] offset:128
.LBB193_209:
	s_or_b64 exec, exec, s[0:1]
	v_or_b32_e32 v1, 64, v1
	v_cmp_gt_u32_e64 s[0:1], s4, v1
	s_and_b64 s[0:1], vcc, s[0:1]
	s_and_b64 exec, exec, s[0:1]
	s_cbranch_execz .LBB193_211
; %bb.210:
	global_store_dword v0, v4, s[2:3] offset:256
.LBB193_211:
	s_endpgm
	.section	.rodata,"a",@progbits
	.p2align	6, 0x0
	.amdhsa_kernel _ZN4vllm25paged_attention_v2_kernelIfhLi80ELi8ELi128ELNS_18Fp8KVCacheDataTypeE1ELb1ELi512EEEvPfS2_PT_PKS3_PKT0_S9_ifPKiSB_iPKfiiiSD_SD_iiiii
		.amdhsa_group_segment_fixed_size 336
		.amdhsa_private_segment_fixed_size 0
		.amdhsa_kernarg_size 400
		.amdhsa_user_sgpr_count 6
		.amdhsa_user_sgpr_private_segment_buffer 1
		.amdhsa_user_sgpr_dispatch_ptr 0
		.amdhsa_user_sgpr_queue_ptr 0
		.amdhsa_user_sgpr_kernarg_segment_ptr 1
		.amdhsa_user_sgpr_dispatch_id 0
		.amdhsa_user_sgpr_flat_scratch_init 0
		.amdhsa_user_sgpr_kernarg_preload_length 0
		.amdhsa_user_sgpr_kernarg_preload_offset 0
		.amdhsa_user_sgpr_private_segment_size 0
		.amdhsa_uses_dynamic_stack 0
		.amdhsa_system_sgpr_private_segment_wavefront_offset 0
		.amdhsa_system_sgpr_workgroup_id_x 1
		.amdhsa_system_sgpr_workgroup_id_y 1
		.amdhsa_system_sgpr_workgroup_id_z 1
		.amdhsa_system_sgpr_workgroup_info 0
		.amdhsa_system_vgpr_workitem_id 0
		.amdhsa_next_free_vgpr 53
		.amdhsa_next_free_sgpr 63
		.amdhsa_accum_offset 56
		.amdhsa_reserve_vcc 1
		.amdhsa_reserve_flat_scratch 0
		.amdhsa_float_round_mode_32 0
		.amdhsa_float_round_mode_16_64 0
		.amdhsa_float_denorm_mode_32 3
		.amdhsa_float_denorm_mode_16_64 3
		.amdhsa_dx10_clamp 1
		.amdhsa_ieee_mode 1
		.amdhsa_fp16_overflow 0
		.amdhsa_tg_split 0
		.amdhsa_exception_fp_ieee_invalid_op 0
		.amdhsa_exception_fp_denorm_src 0
		.amdhsa_exception_fp_ieee_div_zero 0
		.amdhsa_exception_fp_ieee_overflow 0
		.amdhsa_exception_fp_ieee_underflow 0
		.amdhsa_exception_fp_ieee_inexact 0
		.amdhsa_exception_int_div_zero 0
	.end_amdhsa_kernel
	.section	.text._ZN4vllm25paged_attention_v2_kernelIfhLi80ELi8ELi128ELNS_18Fp8KVCacheDataTypeE1ELb1ELi512EEEvPfS2_PT_PKS3_PKT0_S9_ifPKiSB_iPKfiiiSD_SD_iiiii,"axG",@progbits,_ZN4vllm25paged_attention_v2_kernelIfhLi80ELi8ELi128ELNS_18Fp8KVCacheDataTypeE1ELb1ELi512EEEvPfS2_PT_PKS3_PKT0_S9_ifPKiSB_iPKfiiiSD_SD_iiiii,comdat
.Lfunc_end193:
	.size	_ZN4vllm25paged_attention_v2_kernelIfhLi80ELi8ELi128ELNS_18Fp8KVCacheDataTypeE1ELb1ELi512EEEvPfS2_PT_PKS3_PKT0_S9_ifPKiSB_iPKfiiiSD_SD_iiiii, .Lfunc_end193-_ZN4vllm25paged_attention_v2_kernelIfhLi80ELi8ELi128ELNS_18Fp8KVCacheDataTypeE1ELb1ELi512EEEvPfS2_PT_PKS3_PKT0_S9_ifPKiSB_iPKfiiiSD_SD_iiiii
                                        ; -- End function
	.section	.AMDGPU.csdata,"",@progbits
; Kernel info:
; codeLenInByte = 9096
; NumSgprs: 67
; NumVgprs: 53
; NumAgprs: 0
; TotalNumVgprs: 53
; ScratchSize: 0
; MemoryBound: 0
; FloatMode: 240
; IeeeMode: 1
; LDSByteSize: 336 bytes/workgroup (compile time only)
; SGPRBlocks: 8
; VGPRBlocks: 6
; NumSGPRsForWavesPerEU: 67
; NumVGPRsForWavesPerEU: 53
; AccumOffset: 56
; Occupancy: 8
; WaveLimiterHint : 1
; COMPUTE_PGM_RSRC2:SCRATCH_EN: 0
; COMPUTE_PGM_RSRC2:USER_SGPR: 6
; COMPUTE_PGM_RSRC2:TRAP_HANDLER: 0
; COMPUTE_PGM_RSRC2:TGID_X_EN: 1
; COMPUTE_PGM_RSRC2:TGID_Y_EN: 1
; COMPUTE_PGM_RSRC2:TGID_Z_EN: 1
; COMPUTE_PGM_RSRC2:TIDIG_COMP_CNT: 0
; COMPUTE_PGM_RSRC3_GFX90A:ACCUM_OFFSET: 13
; COMPUTE_PGM_RSRC3_GFX90A:TG_SPLIT: 0
	.section	.text._ZN4vllm25paged_attention_v2_kernelIfhLi96ELi8ELi128ELNS_18Fp8KVCacheDataTypeE1ELb1ELi512EEEvPfS2_PT_PKS3_PKT0_S9_ifPKiSB_iPKfiiiSD_SD_iiiii,"axG",@progbits,_ZN4vllm25paged_attention_v2_kernelIfhLi96ELi8ELi128ELNS_18Fp8KVCacheDataTypeE1ELb1ELi512EEEvPfS2_PT_PKS3_PKT0_S9_ifPKiSB_iPKfiiiSD_SD_iiiii,comdat
	.protected	_ZN4vllm25paged_attention_v2_kernelIfhLi96ELi8ELi128ELNS_18Fp8KVCacheDataTypeE1ELb1ELi512EEEvPfS2_PT_PKS3_PKT0_S9_ifPKiSB_iPKfiiiSD_SD_iiiii ; -- Begin function _ZN4vllm25paged_attention_v2_kernelIfhLi96ELi8ELi128ELNS_18Fp8KVCacheDataTypeE1ELb1ELi512EEEvPfS2_PT_PKS3_PKT0_S9_ifPKiSB_iPKfiiiSD_SD_iiiii
	.globl	_ZN4vllm25paged_attention_v2_kernelIfhLi96ELi8ELi128ELNS_18Fp8KVCacheDataTypeE1ELb1ELi512EEEvPfS2_PT_PKS3_PKT0_S9_ifPKiSB_iPKfiiiSD_SD_iiiii
	.p2align	8
	.type	_ZN4vllm25paged_attention_v2_kernelIfhLi96ELi8ELi128ELNS_18Fp8KVCacheDataTypeE1ELb1ELi512EEEvPfS2_PT_PKS3_PKT0_S9_ifPKiSB_iPKfiiiSD_SD_iiiii,@function
_ZN4vllm25paged_attention_v2_kernelIfhLi96ELi8ELi128ELNS_18Fp8KVCacheDataTypeE1ELb1ELi512EEEvPfS2_PT_PKS3_PKT0_S9_ifPKiSB_iPKfiiiSD_SD_iiiii: ; @_ZN4vllm25paged_attention_v2_kernelIfhLi96ELi8ELi128ELNS_18Fp8KVCacheDataTypeE1ELb1ELi512EEEvPfS2_PT_PKS3_PKT0_S9_ifPKiSB_iPKfiiiSD_SD_iiiii
; %bb.0:
	s_load_dwordx2 s[0:1], s[4:5], 0x40
	s_mov_b32 s34, s7
	s_ashr_i32 s35, s7, 31
	s_lshl_b64 s[2:3], s[34:35], 2
	s_waitcnt lgkmcnt(0)
	s_add_u32 s0, s0, s2
	s_addc_u32 s1, s1, s3
	s_load_dword s33, s[0:1], 0x0
	s_lshl_b32 s55, s8, 9
	s_waitcnt lgkmcnt(0)
	s_cmp_ge_i32 s55, s33
	s_cbranch_scc1 .LBB194_213
; %bb.1:
	s_load_dword s9, s[4:5], 0x90
	s_load_dwordx2 s[42:43], s[4:5], 0x30
	s_mov_b32 s56, 0
	s_waitcnt lgkmcnt(0)
	s_abs_i32 s2, s9
	s_abs_i32 s0, s42
	v_cvt_f32_u32_e32 v1, s0
	s_sub_i32 s3, 0, s0
	s_xor_b32 s1, s9, s42
	s_ashr_i32 s1, s1, 31
	v_rcp_iflag_f32_e32 v1, v1
	v_mul_f32_e32 v1, 0x4f7ffffe, v1
	v_cvt_u32_f32_e32 v1, v1
	v_readfirstlane_b32 s7, v1
	s_mul_i32 s3, s3, s7
	s_mul_hi_u32 s3, s7, s3
	s_add_i32 s7, s7, s3
	s_mul_hi_u32 s3, s2, s7
	s_mul_i32 s7, s3, s0
	s_sub_i32 s2, s2, s7
	s_add_i32 s10, s3, 1
	s_sub_i32 s7, s2, s0
	s_cmp_ge_u32 s2, s0
	s_cselect_b32 s3, s10, s3
	s_cselect_b32 s2, s7, s2
	s_add_i32 s7, s3, 1
	s_cmp_ge_u32 s2, s0
	s_cselect_b32 s0, s7, s3
	s_xor_b32 s0, s0, s1
	s_sub_i32 s11, s0, s1
	s_abs_i32 s2, s11
	v_cvt_f32_u32_e32 v1, s2
	s_load_dwordx2 s[0:1], s[4:5], 0x50
	s_sub_i32 s7, 0, s2
	s_abs_i32 s3, s6
	v_rcp_iflag_f32_e32 v1, v1
	v_mul_f32_e32 v1, 0x4f7ffffe, v1
	v_cvt_u32_f32_e32 v1, v1
	v_readfirstlane_b32 s10, v1
	s_mul_i32 s7, s7, s10
	s_mul_hi_u32 s7, s10, s7
	s_add_i32 s10, s10, s7
	s_waitcnt lgkmcnt(0)
	s_cmp_eq_u64 s[0:1], 0
	s_mul_hi_u32 s10, s3, s10
	s_cbranch_scc1 .LBB194_3
; %bb.2:
	s_ashr_i32 s7, s6, 31
	s_lshl_b64 s[12:13], s[6:7], 2
	s_add_u32 s0, s0, s12
	s_addc_u32 s1, s1, s13
	s_load_dword s56, s[0:1], 0x0
.LBB194_3:
	s_load_dwordx4 s[16:19], s[4:5], 0x58
	s_movk_i32 s0, 0x60
	s_ashr_i32 s7, s6, 31
	s_ashr_i32 s11, s11, 31
	v_and_b32_e32 v16, 7, v0
	s_mul_i32 s28, s6, 0x60
	v_cmp_gt_u32_e32 vcc, s0, v0
	v_lshlrev_b32_e32 v17, 2, v0
	v_lshrrev_b32_e32 v1, 1, v0
	s_and_saveexec_b64 s[0:1], vcc
	s_cbranch_execz .LBB194_5
; %bb.4:
	s_load_dwordx2 s[12:13], s[4:5], 0x18
	s_waitcnt lgkmcnt(0)
	s_mul_i32 s14, s34, s16
	s_ashr_i32 s15, s14, 31
	s_lshl_b64 s[14:15], s[14:15], 2
	v_and_b32_e32 v3, 0x1fc, v1
	s_add_u32 s14, s12, s14
	s_addc_u32 s15, s13, s15
	s_ashr_i32 s29, s28, 31
	s_lshl_b64 s[12:13], s[28:29], 2
	s_add_u32 s12, s14, s12
	s_addc_u32 s13, s15, s13
	global_load_dword v2, v17, s[12:13]
	v_mad_u32_u24 v3, v16, 48, v3
	s_waitcnt vmcnt(0)
	ds_write_b32 v3, v2
.LBB194_5:
	s_or_b64 exec, exec, s[0:1]
	s_mul_i32 s1, s10, s2
	s_sub_i32 s1, s3, s1
	s_xor_b32 s0, s7, s11
	s_add_i32 s3, s10, 1
	s_sub_i32 s7, s1, s2
	s_load_dwordx4 s[20:23], s[4:5], 0x78
	s_cmp_ge_u32 s1, s2
	s_cselect_b32 s3, s3, s10
	s_load_dword s10, s[4:5], 0x88
	s_cselect_b32 s1, s7, s1
	s_add_i32 s7, s3, 1
	s_cmp_ge_u32 s1, s2
	s_cselect_b32 s1, s7, s3
	s_waitcnt lgkmcnt(0)
	s_abs_i32 s35, s23
	v_cvt_f32_u32_e32 v2, s35
	s_xor_b32 s1, s1, s0
	s_sub_i32 s2, s1, s0
	s_sub_i32 s0, 0, s35
	v_rcp_iflag_f32_e32 v2, v2
	s_add_i32 s11, s33, -1
	s_abs_i32 s3, s11
	v_mul_f32_e32 v2, 0x4f7ffffe, v2
	v_cvt_u32_f32_e32 v2, v2
	s_barrier
	v_readfirstlane_b32 s52, v2
	s_mul_i32 s0, s0, s52
	s_mul_hi_u32 s0, s52, s0
	s_add_i32 s52, s52, s0
	s_cmp_lt_i32 s10, 0
	s_mul_hi_u32 s7, s3, s52
	s_cbranch_scc0 .LBB194_7
; %bb.6:
	s_mul_i32 s0, s20, s42
	s_add_i32 s0, s2, s0
	s_mul_i32 s0, s0, s10
	s_sub_i32 s42, 1, s0
	s_mov_b64 s[0:1], 0
	s_branch .LBB194_8
.LBB194_7:
	s_mov_b64 s[0:1], -1
                                        ; implicit-def: $sgpr42
.LBB194_8:
	s_load_dwordx2 s[36:37], s[4:5], 0x38
	s_ashr_i32 s11, s11, 31
	s_andn2_b64 vcc, exec, s[0:1]
	s_ashr_i32 s53, s23, 31
	s_cbranch_vccnz .LBB194_10
; %bb.9:
	s_mul_i32 s0, s9, s20
	s_add_i32 s0, s0, s6
	s_mul_i32 s0, s0, s10
	s_add_i32 s42, s0, 1
.LBB194_10:
	s_load_dwordx2 s[40:41], s[4:5], 0x28
	s_load_dword s0, s[4:5], 0x48
	s_load_dwordx4 s[24:27], s[4:5], 0x0
	s_load_dwordx2 s[30:31], s[4:5], 0x10
	s_load_dword s29, s[4:5], 0x98
	s_load_dwordx4 s[12:15], s[4:5], 0x68
	s_mul_i32 s1, s7, s35
	s_waitcnt lgkmcnt(0)
	s_mul_i32 s38, s34, s0
	s_sub_i32 s1, s3, s1
	s_ashr_i32 s39, s38, 31
	s_xor_b32 s0, s11, s53
	s_add_i32 s3, s7, 1
	s_sub_i32 s10, s1, s35
	s_cmp_ge_u32 s1, s35
	s_cselect_b32 s3, s3, s7
	s_cselect_b32 s1, s10, s1
	s_add_i32 s7, s3, 1
	s_cmp_ge_u32 s1, s35
	s_cselect_b32 s1, s7, s3
	s_xor_b32 s1, s1, s0
	s_sub_i32 s16, s1, s0
	s_add_i32 s0, s33, 7
	s_ashr_i32 s1, s0, 31
	s_lshr_b32 s1, s1, 29
	s_add_i32 s0, s0, s1
	s_lshl_b32 s23, s8, 6
	s_ashr_i32 s7, s0, 3
	s_add_i32 s0, s23, 64
	v_lshrrev_b32_e32 v25, 6, v0
	s_min_i32 s54, s0, s7
	v_or_b32_e32 v14, s23, v25
	v_cmp_gt_i32_e64 s[0:1], s54, v14
	v_mov_b32_e32 v29, 0xff7fffff
	s_mul_i32 s20, s2, s18
	v_ashrrev_i32_e32 v15, 31, v14
	v_lshl_add_u32 v36, v25, 3, s55
	v_mbcnt_lo_u32_b32 v26, -1, 0
	s_and_saveexec_b64 s[18:19], s[0:1]
	s_cbranch_execz .LBB194_92
; %bb.11:
	s_load_dwordx2 s[2:3], s[4:5], 0x20
	s_sub_i32 s57, s16, s21
	s_ashr_i32 s4, s20, 31
	v_bfe_u32 v27, v0, 3, 3
	v_lshlrev_b32_e32 v3, 4, v27
	s_waitcnt lgkmcnt(0)
	s_add_u32 s2, s2, s20
	s_addc_u32 s3, s3, s4
	s_abs_i32 s58, s22
	v_cvt_f32_u32_e32 v2, s58
	s_sub_i32 s4, 0, s58
	v_mov_b32_e32 v4, s3
	v_add_co_u32_e64 v18, s[2:3], s2, v3
	v_rcp_iflag_f32_e32 v2, v2
	v_addc_co_u32_e64 v19, s[2:3], 0, v4, s[2:3]
	v_cmp_eq_u32_e32 vcc, 0, v16
	v_mul_f32_e32 v2, 0x4f7ffffe, v2
	v_cvt_u32_f32_e32 v2, v2
	s_mov_b32 s59, s17
	v_mul_u32_u24_e32 v28, 48, v16
	v_cmp_neq_f32_e64 s[2:3], s56, 0
	v_mul_lo_u32 v3, s4, v2
	s_lshl_b64 s[4:5], s[38:39], 2
	v_mul_hi_u32 v3, v2, v3
	s_add_u32 s4, s36, s4
	v_add_u32_e32 v30, v2, v3
	v_lshlrev_b64 v[2:3], 2, v[14:15]
	s_addc_u32 s5, s37, s5
	v_mov_b32_e32 v4, s5
	v_add_co_u32_e64 v20, s[4:5], s4, v2
	v_lshlrev_b32_e32 v2, 2, v27
	v_lshl_or_b32 v2, v25, 5, v2
	v_add_u32_e32 v32, 0x190, v2
	v_subrev_u32_e32 v2, s33, v27
	v_addc_co_u32_e64 v21, s[4:5], v4, v3, s[4:5]
	v_lshl_add_u32 v31, v25, 3, s55
	v_add_u32_e32 v33, 1, v2
	s_mov_b64 s[44:45], 0
	v_mov_b32_e32 v34, 0xff7fffff
	s_movk_i32 s60, 0x80
	s_movk_i32 s61, 0x7f
	v_bfrev_b32_e32 v35, 60
	v_mbcnt_hi_u32_b32 v37, -1, v26
	v_mov_b32_e32 v29, 0xff7fffff
	v_mov_b32_e32 v38, v14
	s_branch .LBB194_14
.LBB194_12:                             ;   in Loop: Header=BB194_14 Depth=1
	s_or_b64 exec, exec, s[46:47]
.LBB194_13:                             ;   in Loop: Header=BB194_14 Depth=1
	s_or_b64 exec, exec, s[10:11]
	v_add_co_u32_e64 v20, s[4:5], 8, v20
	v_add_u32_e32 v38, 2, v38
	v_addc_co_u32_e64 v21, s[4:5], 0, v21, s[4:5]
	v_cmp_le_i32_e64 s[4:5], s54, v38
	v_add_u32_e32 v31, 16, v31
	s_or_b64 s[44:45], s[4:5], s[44:45]
	v_add_u32_e32 v32, 64, v32
	s_andn2_b64 exec, exec, s[44:45]
	s_cbranch_execz .LBB194_91
.LBB194_14:                             ; =>This Inner Loop Header: Depth=1
	s_waitcnt lgkmcnt(0)
	v_sub_u32_e32 v3, 0, v31
	v_max_i32_e32 v3, v31, v3
	v_mul_hi_u32 v4, v3, s52
	v_mul_lo_u32 v5, v4, s35
	v_sub_u32_e32 v3, v3, v5
	v_add_u32_e32 v5, 1, v4
	v_cmp_le_u32_e64 s[4:5], s35, v3
	v_cndmask_b32_e64 v4, v4, v5, s[4:5]
	v_subrev_u32_e32 v5, s35, v3
	v_cndmask_b32_e64 v3, v3, v5, s[4:5]
	v_ashrrev_i32_e32 v2, 31, v31
	v_add_u32_e32 v5, 1, v4
	v_cmp_le_u32_e64 s[4:5], s35, v3
	v_xor_b32_e32 v2, s53, v2
	v_cndmask_b32_e64 v3, v4, v5, s[4:5]
	v_xor_b32_e32 v3, v3, v2
	v_sub_u32_e32 v2, v3, v2
	v_add_u32_e32 v3, s42, v2
	v_sub_u32_e32 v5, 0, v3
	v_ashrrev_i32_e32 v4, 31, v3
	v_max_i32_e32 v3, v3, v5
	v_mul_hi_u32 v5, v3, v30
	v_mul_lo_u32 v5, v5, s58
	v_sub_u32_e32 v3, v3, v5
	v_subrev_u32_e32 v5, s58, v3
	v_cmp_le_u32_e64 s[4:5], s58, v3
	v_cndmask_b32_e64 v3, v3, v5, s[4:5]
	v_subrev_u32_e32 v5, s58, v3
	v_cmp_le_u32_e64 s[4:5], s58, v3
	v_cndmask_b32_e64 v3, v3, v5, s[4:5]
	v_xor_b32_e32 v3, v3, v4
	v_sub_u32_e32 v3, v3, v4
	v_cmp_ne_u32_e64 s[4:5], 0, v3
	v_cmp_ge_i32_e64 s[10:11], s57, v2
	s_and_b64 s[4:5], s[4:5], s[10:11]
	s_and_b64 s[46:47], vcc, s[4:5]
	s_and_saveexec_b64 s[10:11], s[46:47]
	s_cbranch_execz .LBB194_16
; %bb.15:                               ;   in Loop: Header=BB194_14 Depth=1
	ds_write_b32 v32, v34
.LBB194_16:                             ;   in Loop: Header=BB194_14 Depth=1
	s_or_b64 exec, exec, s[10:11]
	s_xor_b64 s[4:5], s[4:5], -1
	s_and_saveexec_b64 s[10:11], s[4:5]
	s_cbranch_execz .LBB194_13
; %bb.17:                               ;   in Loop: Header=BB194_14 Depth=1
	global_load_dword v2, v[20:21], off
	v_mov_b32_e32 v39, 0
	v_mov_b32_e32 v40, 0
	s_waitcnt vmcnt(0)
	v_mad_i64_i32 v[2:3], s[4:5], v2, s59, v[18:19]
	v_add_co_u32_e64 v22, s[4:5], v2, v16
	v_addc_co_u32_e64 v23, s[4:5], 0, v3, s[4:5]
	global_load_ubyte v41, v[22:23], off
	ds_read_b128 v[10:13], v28
	ds_read_b128 v[6:9], v28 offset:16
	ds_read_b128 v[2:5], v28 offset:32
	s_load_dword s62, s[12:13], 0x0
	s_waitcnt vmcnt(0)
	v_cmp_ne_u16_e64 s[4:5], 0, v41
	s_and_saveexec_b64 s[46:47], s[4:5]
	s_cbranch_execz .LBB194_23
; %bb.18:                               ;   in Loop: Header=BB194_14 Depth=1
	v_cmp_ne_u16_e64 s[4:5], s60, v41
	v_bfrev_b32_e32 v40, 1
	s_and_saveexec_b64 s[48:49], s[4:5]
	s_cbranch_execz .LBB194_22
; %bb.19:                               ;   in Loop: Header=BB194_14 Depth=1
	v_and_b32_e32 v24, 0xffff, v41
	v_and_b32_e32 v42, 0x7f, v24
	v_cmp_ne_u32_e64 s[4:5], s61, v42
	v_mov_b32_e32 v40, 0x7f800001
	s_and_saveexec_b64 s[50:51], s[4:5]
	s_cbranch_execz .LBB194_21
; %bb.20:                               ;   in Loop: Header=BB194_14 Depth=1
	v_and_b32_e32 v40, 7, v24
	v_ffbh_u32_e32 v44, v40
	v_min_u32_e32 v46, 32, v44
	v_subrev_u32_e32 v44, 28, v46
	v_lshlrev_b64 v[44:45], v44, v[24:25]
	v_lshrrev_b32_e32 v43, 3, v42
	v_sub_u32_e32 v24, 29, v46
	v_and_b32_e32 v44, 7, v44
	v_cmp_gt_u32_e64 s[4:5], 8, v42
	v_cndmask_b32_e64 v24, v43, v24, s[4:5]
	v_cndmask_b32_e64 v40, v40, v44, s[4:5]
	v_lshlrev_b32_e32 v41, 24, v41
	v_lshlrev_b32_e32 v40, 20, v40
	v_and_b32_e32 v41, 0x80000000, v41
	v_lshl_add_u32 v24, v24, 23, v35
	v_or3_b32 v40, v41, v24, v40
.LBB194_21:                             ;   in Loop: Header=BB194_14 Depth=1
	s_or_b64 exec, exec, s[50:51]
.LBB194_22:                             ;   in Loop: Header=BB194_14 Depth=1
	s_or_b64 exec, exec, s[48:49]
.LBB194_23:                             ;   in Loop: Header=BB194_14 Depth=1
	s_or_b64 exec, exec, s[46:47]
	global_load_ubyte v41, v[22:23], off offset:8
	s_waitcnt vmcnt(0)
	v_cmp_ne_u16_e64 s[4:5], 0, v41
	s_and_saveexec_b64 s[46:47], s[4:5]
	s_cbranch_execz .LBB194_29
; %bb.24:                               ;   in Loop: Header=BB194_14 Depth=1
	v_cmp_ne_u16_e64 s[4:5], s60, v41
	v_bfrev_b32_e32 v39, 1
	s_and_saveexec_b64 s[48:49], s[4:5]
	s_cbranch_execz .LBB194_28
; %bb.25:                               ;   in Loop: Header=BB194_14 Depth=1
	v_and_b32_e32 v24, 0xffff, v41
	v_and_b32_e32 v42, 0x7f, v24
	v_cmp_ne_u32_e64 s[4:5], s61, v42
	v_mov_b32_e32 v39, 0x7f800001
	s_and_saveexec_b64 s[50:51], s[4:5]
	s_cbranch_execz .LBB194_27
; %bb.26:                               ;   in Loop: Header=BB194_14 Depth=1
	v_and_b32_e32 v39, 7, v24
	v_ffbh_u32_e32 v44, v39
	v_min_u32_e32 v46, 32, v44
	v_subrev_u32_e32 v44, 28, v46
	v_lshlrev_b64 v[44:45], v44, v[24:25]
	v_lshrrev_b32_e32 v43, 3, v42
	v_sub_u32_e32 v24, 29, v46
	v_and_b32_e32 v44, 7, v44
	v_cmp_gt_u32_e64 s[4:5], 8, v42
	v_cndmask_b32_e64 v24, v43, v24, s[4:5]
	v_cndmask_b32_e64 v39, v39, v44, s[4:5]
	v_lshlrev_b32_e32 v41, 24, v41
	v_lshlrev_b32_e32 v39, 20, v39
	v_and_b32_e32 v41, 0x80000000, v41
	v_lshl_add_u32 v24, v24, 23, v35
	v_or3_b32 v39, v41, v24, v39
.LBB194_27:                             ;   in Loop: Header=BB194_14 Depth=1
	s_or_b64 exec, exec, s[50:51]
.LBB194_28:                             ;   in Loop: Header=BB194_14 Depth=1
	s_or_b64 exec, exec, s[48:49]
.LBB194_29:                             ;   in Loop: Header=BB194_14 Depth=1
	s_or_b64 exec, exec, s[46:47]
	global_load_ubyte v43, v[22:23], off offset:128
	v_mov_b32_e32 v41, 0
	v_mov_b32_e32 v42, 0
	s_waitcnt vmcnt(0)
	v_cmp_ne_u16_e64 s[4:5], 0, v43
	s_and_saveexec_b64 s[46:47], s[4:5]
	s_cbranch_execz .LBB194_35
; %bb.30:                               ;   in Loop: Header=BB194_14 Depth=1
	v_cmp_ne_u16_e64 s[4:5], s60, v43
	v_bfrev_b32_e32 v42, 1
	s_and_saveexec_b64 s[48:49], s[4:5]
	s_cbranch_execz .LBB194_34
; %bb.31:                               ;   in Loop: Header=BB194_14 Depth=1
	v_and_b32_e32 v24, 0xffff, v43
	v_and_b32_e32 v44, 0x7f, v24
	v_cmp_ne_u32_e64 s[4:5], s61, v44
	v_mov_b32_e32 v42, 0x7f800001
	s_and_saveexec_b64 s[50:51], s[4:5]
	s_cbranch_execz .LBB194_33
; %bb.32:                               ;   in Loop: Header=BB194_14 Depth=1
	v_and_b32_e32 v42, 7, v24
	v_ffbh_u32_e32 v46, v42
	v_min_u32_e32 v48, 32, v46
	v_subrev_u32_e32 v46, 28, v48
	v_lshlrev_b64 v[46:47], v46, v[24:25]
	v_lshrrev_b32_e32 v45, 3, v44
	v_sub_u32_e32 v24, 29, v48
	v_and_b32_e32 v46, 7, v46
	v_cmp_gt_u32_e64 s[4:5], 8, v44
	v_cndmask_b32_e64 v24, v45, v24, s[4:5]
	v_cndmask_b32_e64 v42, v42, v46, s[4:5]
	v_lshlrev_b32_e32 v43, 24, v43
	v_lshlrev_b32_e32 v42, 20, v42
	v_and_b32_e32 v43, 0x80000000, v43
	v_lshl_add_u32 v24, v24, 23, v35
	v_or3_b32 v42, v43, v24, v42
.LBB194_33:                             ;   in Loop: Header=BB194_14 Depth=1
	s_or_b64 exec, exec, s[50:51]
.LBB194_34:                             ;   in Loop: Header=BB194_14 Depth=1
	s_or_b64 exec, exec, s[48:49]
.LBB194_35:                             ;   in Loop: Header=BB194_14 Depth=1
	s_or_b64 exec, exec, s[46:47]
	global_load_ubyte v43, v[22:23], off offset:136
	s_waitcnt vmcnt(0)
	v_cmp_ne_u16_e64 s[4:5], 0, v43
	s_and_saveexec_b64 s[46:47], s[4:5]
	s_cbranch_execz .LBB194_41
; %bb.36:                               ;   in Loop: Header=BB194_14 Depth=1
	v_cmp_ne_u16_e64 s[4:5], s60, v43
	v_bfrev_b32_e32 v41, 1
	s_and_saveexec_b64 s[48:49], s[4:5]
	s_cbranch_execz .LBB194_40
; %bb.37:                               ;   in Loop: Header=BB194_14 Depth=1
	v_and_b32_e32 v24, 0xffff, v43
	v_and_b32_e32 v44, 0x7f, v24
	v_cmp_ne_u32_e64 s[4:5], s61, v44
	v_mov_b32_e32 v41, 0x7f800001
	s_and_saveexec_b64 s[50:51], s[4:5]
	s_cbranch_execz .LBB194_39
; %bb.38:                               ;   in Loop: Header=BB194_14 Depth=1
	v_and_b32_e32 v41, 7, v24
	v_ffbh_u32_e32 v46, v41
	v_min_u32_e32 v48, 32, v46
	v_subrev_u32_e32 v46, 28, v48
	v_lshlrev_b64 v[46:47], v46, v[24:25]
	v_lshrrev_b32_e32 v45, 3, v44
	v_sub_u32_e32 v24, 29, v48
	v_and_b32_e32 v46, 7, v46
	v_cmp_gt_u32_e64 s[4:5], 8, v44
	v_cndmask_b32_e64 v24, v45, v24, s[4:5]
	v_cndmask_b32_e64 v41, v41, v46, s[4:5]
	v_lshlrev_b32_e32 v43, 24, v43
	v_lshlrev_b32_e32 v41, 20, v41
	v_and_b32_e32 v43, 0x80000000, v43
	v_lshl_add_u32 v24, v24, 23, v35
	v_or3_b32 v41, v43, v24, v41
.LBB194_39:                             ;   in Loop: Header=BB194_14 Depth=1
	s_or_b64 exec, exec, s[50:51]
.LBB194_40:                             ;   in Loop: Header=BB194_14 Depth=1
	s_or_b64 exec, exec, s[48:49]
.LBB194_41:                             ;   in Loop: Header=BB194_14 Depth=1
	s_or_b64 exec, exec, s[46:47]
	global_load_ubyte v45, v[22:23], off offset:256
	v_mov_b32_e32 v43, 0
	v_mov_b32_e32 v44, 0
	s_waitcnt vmcnt(0)
	v_cmp_ne_u16_e64 s[4:5], 0, v45
	s_and_saveexec_b64 s[46:47], s[4:5]
	s_cbranch_execz .LBB194_47
; %bb.42:                               ;   in Loop: Header=BB194_14 Depth=1
	v_cmp_ne_u16_e64 s[4:5], s60, v45
	v_bfrev_b32_e32 v44, 1
	s_and_saveexec_b64 s[48:49], s[4:5]
	s_cbranch_execz .LBB194_46
; %bb.43:                               ;   in Loop: Header=BB194_14 Depth=1
	v_and_b32_e32 v24, 0xffff, v45
	v_and_b32_e32 v46, 0x7f, v24
	v_cmp_ne_u32_e64 s[4:5], s61, v46
	v_mov_b32_e32 v44, 0x7f800001
	s_and_saveexec_b64 s[50:51], s[4:5]
	s_cbranch_execz .LBB194_45
; %bb.44:                               ;   in Loop: Header=BB194_14 Depth=1
	v_and_b32_e32 v44, 7, v24
	v_ffbh_u32_e32 v48, v44
	v_min_u32_e32 v50, 32, v48
	v_subrev_u32_e32 v48, 28, v50
	v_lshlrev_b64 v[48:49], v48, v[24:25]
	v_lshrrev_b32_e32 v47, 3, v46
	v_sub_u32_e32 v24, 29, v50
	v_and_b32_e32 v48, 7, v48
	v_cmp_gt_u32_e64 s[4:5], 8, v46
	v_cndmask_b32_e64 v24, v47, v24, s[4:5]
	v_cndmask_b32_e64 v44, v44, v48, s[4:5]
	v_lshlrev_b32_e32 v45, 24, v45
	v_lshlrev_b32_e32 v44, 20, v44
	v_and_b32_e32 v45, 0x80000000, v45
	v_lshl_add_u32 v24, v24, 23, v35
	v_or3_b32 v44, v45, v24, v44
.LBB194_45:                             ;   in Loop: Header=BB194_14 Depth=1
	s_or_b64 exec, exec, s[50:51]
.LBB194_46:                             ;   in Loop: Header=BB194_14 Depth=1
	s_or_b64 exec, exec, s[48:49]
.LBB194_47:                             ;   in Loop: Header=BB194_14 Depth=1
	s_or_b64 exec, exec, s[46:47]
	global_load_ubyte v45, v[22:23], off offset:264
	s_waitcnt vmcnt(0)
	v_cmp_ne_u16_e64 s[4:5], 0, v45
	s_and_saveexec_b64 s[46:47], s[4:5]
	s_cbranch_execz .LBB194_53
; %bb.48:                               ;   in Loop: Header=BB194_14 Depth=1
	v_cmp_ne_u16_e64 s[4:5], s60, v45
	v_bfrev_b32_e32 v43, 1
	s_and_saveexec_b64 s[48:49], s[4:5]
	s_cbranch_execz .LBB194_52
; %bb.49:                               ;   in Loop: Header=BB194_14 Depth=1
	v_and_b32_e32 v24, 0xffff, v45
	v_and_b32_e32 v46, 0x7f, v24
	v_cmp_ne_u32_e64 s[4:5], s61, v46
	v_mov_b32_e32 v43, 0x7f800001
	s_and_saveexec_b64 s[50:51], s[4:5]
	s_cbranch_execz .LBB194_51
; %bb.50:                               ;   in Loop: Header=BB194_14 Depth=1
	v_and_b32_e32 v43, 7, v24
	v_ffbh_u32_e32 v48, v43
	v_min_u32_e32 v50, 32, v48
	v_subrev_u32_e32 v48, 28, v50
	v_lshlrev_b64 v[48:49], v48, v[24:25]
	v_lshrrev_b32_e32 v47, 3, v46
	v_sub_u32_e32 v24, 29, v50
	v_and_b32_e32 v48, 7, v48
	v_cmp_gt_u32_e64 s[4:5], 8, v46
	v_cndmask_b32_e64 v24, v47, v24, s[4:5]
	v_cndmask_b32_e64 v43, v43, v48, s[4:5]
	v_lshlrev_b32_e32 v45, 24, v45
	v_lshlrev_b32_e32 v43, 20, v43
	v_and_b32_e32 v45, 0x80000000, v45
	v_lshl_add_u32 v24, v24, 23, v35
	v_or3_b32 v43, v45, v24, v43
.LBB194_51:                             ;   in Loop: Header=BB194_14 Depth=1
	s_or_b64 exec, exec, s[50:51]
.LBB194_52:                             ;   in Loop: Header=BB194_14 Depth=1
	s_or_b64 exec, exec, s[48:49]
.LBB194_53:                             ;   in Loop: Header=BB194_14 Depth=1
	s_or_b64 exec, exec, s[46:47]
	global_load_ubyte v47, v[22:23], off offset:384
	v_mov_b32_e32 v45, 0
	v_mov_b32_e32 v46, 0
	s_waitcnt vmcnt(0)
	v_cmp_ne_u16_e64 s[4:5], 0, v47
	s_and_saveexec_b64 s[46:47], s[4:5]
	s_cbranch_execz .LBB194_59
; %bb.54:                               ;   in Loop: Header=BB194_14 Depth=1
	v_cmp_ne_u16_e64 s[4:5], s60, v47
	v_bfrev_b32_e32 v46, 1
	s_and_saveexec_b64 s[48:49], s[4:5]
	s_cbranch_execz .LBB194_58
; %bb.55:                               ;   in Loop: Header=BB194_14 Depth=1
	v_and_b32_e32 v24, 0xffff, v47
	v_and_b32_e32 v48, 0x7f, v24
	v_cmp_ne_u32_e64 s[4:5], s61, v48
	v_mov_b32_e32 v46, 0x7f800001
	s_and_saveexec_b64 s[50:51], s[4:5]
	s_cbranch_execz .LBB194_57
; %bb.56:                               ;   in Loop: Header=BB194_14 Depth=1
	v_and_b32_e32 v46, 7, v24
	v_ffbh_u32_e32 v50, v46
	v_min_u32_e32 v52, 32, v50
	v_subrev_u32_e32 v50, 28, v52
	v_lshlrev_b64 v[50:51], v50, v[24:25]
	v_lshrrev_b32_e32 v49, 3, v48
	v_sub_u32_e32 v24, 29, v52
	v_and_b32_e32 v50, 7, v50
	v_cmp_gt_u32_e64 s[4:5], 8, v48
	v_cndmask_b32_e64 v24, v49, v24, s[4:5]
	v_cndmask_b32_e64 v46, v46, v50, s[4:5]
	v_lshlrev_b32_e32 v47, 24, v47
	v_lshlrev_b32_e32 v46, 20, v46
	v_and_b32_e32 v47, 0x80000000, v47
	v_lshl_add_u32 v24, v24, 23, v35
	v_or3_b32 v46, v47, v24, v46
.LBB194_57:                             ;   in Loop: Header=BB194_14 Depth=1
	s_or_b64 exec, exec, s[50:51]
.LBB194_58:                             ;   in Loop: Header=BB194_14 Depth=1
	s_or_b64 exec, exec, s[48:49]
.LBB194_59:                             ;   in Loop: Header=BB194_14 Depth=1
	s_or_b64 exec, exec, s[46:47]
	global_load_ubyte v47, v[22:23], off offset:392
	s_waitcnt vmcnt(0)
	v_cmp_ne_u16_e64 s[4:5], 0, v47
	s_and_saveexec_b64 s[46:47], s[4:5]
	s_cbranch_execz .LBB194_65
; %bb.60:                               ;   in Loop: Header=BB194_14 Depth=1
	v_cmp_ne_u16_e64 s[4:5], s60, v47
	v_bfrev_b32_e32 v45, 1
	s_and_saveexec_b64 s[48:49], s[4:5]
	s_cbranch_execz .LBB194_64
; %bb.61:                               ;   in Loop: Header=BB194_14 Depth=1
	v_and_b32_e32 v24, 0xffff, v47
	v_and_b32_e32 v48, 0x7f, v24
	v_cmp_ne_u32_e64 s[4:5], s61, v48
	v_mov_b32_e32 v45, 0x7f800001
	s_and_saveexec_b64 s[50:51], s[4:5]
	s_cbranch_execz .LBB194_63
; %bb.62:                               ;   in Loop: Header=BB194_14 Depth=1
	v_and_b32_e32 v45, 7, v24
	v_ffbh_u32_e32 v50, v45
	v_min_u32_e32 v52, 32, v50
	v_subrev_u32_e32 v50, 28, v52
	v_lshlrev_b64 v[50:51], v50, v[24:25]
	v_lshrrev_b32_e32 v49, 3, v48
	v_sub_u32_e32 v24, 29, v52
	v_and_b32_e32 v50, 7, v50
	v_cmp_gt_u32_e64 s[4:5], 8, v48
	v_cndmask_b32_e64 v24, v49, v24, s[4:5]
	v_cndmask_b32_e64 v45, v45, v50, s[4:5]
	v_lshlrev_b32_e32 v47, 24, v47
	v_lshlrev_b32_e32 v45, 20, v45
	v_and_b32_e32 v47, 0x80000000, v47
	v_lshl_add_u32 v24, v24, 23, v35
	v_or3_b32 v45, v47, v24, v45
.LBB194_63:                             ;   in Loop: Header=BB194_14 Depth=1
	s_or_b64 exec, exec, s[50:51]
.LBB194_64:                             ;   in Loop: Header=BB194_14 Depth=1
	s_or_b64 exec, exec, s[48:49]
.LBB194_65:                             ;   in Loop: Header=BB194_14 Depth=1
	s_or_b64 exec, exec, s[46:47]
	global_load_ubyte v49, v[22:23], off offset:512
	v_mov_b32_e32 v47, 0
	v_mov_b32_e32 v48, 0
	s_waitcnt vmcnt(0)
	v_cmp_ne_u16_e64 s[4:5], 0, v49
	s_and_saveexec_b64 s[46:47], s[4:5]
	s_cbranch_execz .LBB194_71
; %bb.66:                               ;   in Loop: Header=BB194_14 Depth=1
	v_cmp_ne_u16_e64 s[4:5], s60, v49
	v_bfrev_b32_e32 v48, 1
	s_and_saveexec_b64 s[48:49], s[4:5]
	s_cbranch_execz .LBB194_70
; %bb.67:                               ;   in Loop: Header=BB194_14 Depth=1
	v_and_b32_e32 v24, 0xffff, v49
	v_and_b32_e32 v50, 0x7f, v24
	v_cmp_ne_u32_e64 s[4:5], s61, v50
	v_mov_b32_e32 v48, 0x7f800001
	s_and_saveexec_b64 s[50:51], s[4:5]
	s_cbranch_execz .LBB194_69
; %bb.68:                               ;   in Loop: Header=BB194_14 Depth=1
	v_and_b32_e32 v48, 7, v24
	v_ffbh_u32_e32 v52, v48
	v_min_u32_e32 v54, 32, v52
	v_subrev_u32_e32 v52, 28, v54
	v_lshlrev_b64 v[52:53], v52, v[24:25]
	v_lshrrev_b32_e32 v51, 3, v50
	v_sub_u32_e32 v24, 29, v54
	v_and_b32_e32 v52, 7, v52
	v_cmp_gt_u32_e64 s[4:5], 8, v50
	v_cndmask_b32_e64 v24, v51, v24, s[4:5]
	v_cndmask_b32_e64 v48, v48, v52, s[4:5]
	v_lshlrev_b32_e32 v49, 24, v49
	v_lshlrev_b32_e32 v48, 20, v48
	v_and_b32_e32 v49, 0x80000000, v49
	v_lshl_add_u32 v24, v24, 23, v35
	v_or3_b32 v48, v49, v24, v48
.LBB194_69:                             ;   in Loop: Header=BB194_14 Depth=1
	s_or_b64 exec, exec, s[50:51]
.LBB194_70:                             ;   in Loop: Header=BB194_14 Depth=1
	s_or_b64 exec, exec, s[48:49]
.LBB194_71:                             ;   in Loop: Header=BB194_14 Depth=1
	s_or_b64 exec, exec, s[46:47]
	global_load_ubyte v49, v[22:23], off offset:520
	s_waitcnt vmcnt(0)
	v_cmp_ne_u16_e64 s[4:5], 0, v49
	s_and_saveexec_b64 s[46:47], s[4:5]
	s_cbranch_execz .LBB194_77
; %bb.72:                               ;   in Loop: Header=BB194_14 Depth=1
	v_cmp_ne_u16_e64 s[4:5], s60, v49
	v_bfrev_b32_e32 v47, 1
	s_and_saveexec_b64 s[48:49], s[4:5]
	s_cbranch_execz .LBB194_76
; %bb.73:                               ;   in Loop: Header=BB194_14 Depth=1
	v_and_b32_e32 v24, 0xffff, v49
	v_and_b32_e32 v50, 0x7f, v24
	v_cmp_ne_u32_e64 s[4:5], s61, v50
	v_mov_b32_e32 v47, 0x7f800001
	s_and_saveexec_b64 s[50:51], s[4:5]
	s_cbranch_execz .LBB194_75
; %bb.74:                               ;   in Loop: Header=BB194_14 Depth=1
	v_and_b32_e32 v47, 7, v24
	v_ffbh_u32_e32 v52, v47
	v_min_u32_e32 v54, 32, v52
	v_subrev_u32_e32 v52, 28, v54
	v_lshlrev_b64 v[52:53], v52, v[24:25]
	v_lshrrev_b32_e32 v51, 3, v50
	v_sub_u32_e32 v24, 29, v54
	v_and_b32_e32 v52, 7, v52
	v_cmp_gt_u32_e64 s[4:5], 8, v50
	v_cndmask_b32_e64 v24, v51, v24, s[4:5]
	v_cndmask_b32_e64 v47, v47, v52, s[4:5]
	v_lshlrev_b32_e32 v49, 24, v49
	v_lshlrev_b32_e32 v47, 20, v47
	v_and_b32_e32 v49, 0x80000000, v49
	v_lshl_add_u32 v24, v24, 23, v35
	v_or3_b32 v47, v49, v24, v47
.LBB194_75:                             ;   in Loop: Header=BB194_14 Depth=1
	s_or_b64 exec, exec, s[50:51]
.LBB194_76:                             ;   in Loop: Header=BB194_14 Depth=1
	s_or_b64 exec, exec, s[48:49]
.LBB194_77:                             ;   in Loop: Header=BB194_14 Depth=1
	s_or_b64 exec, exec, s[46:47]
	global_load_ubyte v51, v[22:23], off offset:640
	v_mov_b32_e32 v49, 0
	v_mov_b32_e32 v50, 0
	s_waitcnt vmcnt(0)
	v_cmp_ne_u16_e64 s[4:5], 0, v51
	s_and_saveexec_b64 s[46:47], s[4:5]
	s_cbranch_execz .LBB194_83
; %bb.78:                               ;   in Loop: Header=BB194_14 Depth=1
	v_cmp_ne_u16_e64 s[4:5], s60, v51
	v_bfrev_b32_e32 v50, 1
	s_and_saveexec_b64 s[48:49], s[4:5]
	s_cbranch_execz .LBB194_82
; %bb.79:                               ;   in Loop: Header=BB194_14 Depth=1
	v_and_b32_e32 v24, 0xffff, v51
	v_and_b32_e32 v52, 0x7f, v24
	v_cmp_ne_u32_e64 s[4:5], s61, v52
	v_mov_b32_e32 v50, 0x7f800001
	s_and_saveexec_b64 s[50:51], s[4:5]
	s_cbranch_execz .LBB194_81
; %bb.80:                               ;   in Loop: Header=BB194_14 Depth=1
	v_and_b32_e32 v50, 7, v24
	v_ffbh_u32_e32 v54, v50
	v_min_u32_e32 v56, 32, v54
	v_subrev_u32_e32 v54, 28, v56
	v_lshlrev_b64 v[54:55], v54, v[24:25]
	v_lshrrev_b32_e32 v53, 3, v52
	v_sub_u32_e32 v24, 29, v56
	v_and_b32_e32 v54, 7, v54
	v_cmp_gt_u32_e64 s[4:5], 8, v52
	v_cndmask_b32_e64 v24, v53, v24, s[4:5]
	v_cndmask_b32_e64 v50, v50, v54, s[4:5]
	v_lshlrev_b32_e32 v51, 24, v51
	v_lshlrev_b32_e32 v50, 20, v50
	v_and_b32_e32 v51, 0x80000000, v51
	v_lshl_add_u32 v24, v24, 23, v35
	v_or3_b32 v50, v51, v24, v50
.LBB194_81:                             ;   in Loop: Header=BB194_14 Depth=1
	s_or_b64 exec, exec, s[50:51]
.LBB194_82:                             ;   in Loop: Header=BB194_14 Depth=1
	s_or_b64 exec, exec, s[48:49]
.LBB194_83:                             ;   in Loop: Header=BB194_14 Depth=1
	s_or_b64 exec, exec, s[46:47]
	global_load_ubyte v23, v[22:23], off offset:648
	s_waitcnt vmcnt(0)
	v_cmp_ne_u16_e64 s[4:5], 0, v23
	s_and_saveexec_b64 s[46:47], s[4:5]
	s_cbranch_execz .LBB194_89
; %bb.84:                               ;   in Loop: Header=BB194_14 Depth=1
	v_cmp_ne_u16_e64 s[4:5], s60, v23
	v_bfrev_b32_e32 v49, 1
	s_and_saveexec_b64 s[48:49], s[4:5]
	s_cbranch_execz .LBB194_88
; %bb.85:                               ;   in Loop: Header=BB194_14 Depth=1
	v_and_b32_e32 v22, 0xffff, v23
	v_and_b32_e32 v24, 0x7f, v22
	v_cmp_ne_u32_e64 s[4:5], s61, v24
	v_mov_b32_e32 v49, 0x7f800001
	s_and_saveexec_b64 s[50:51], s[4:5]
	s_cbranch_execz .LBB194_87
; %bb.86:                               ;   in Loop: Header=BB194_14 Depth=1
	v_and_b32_e32 v49, 7, v22
	v_ffbh_u32_e32 v52, v49
	v_min_u32_e32 v54, 32, v52
	v_subrev_u32_e32 v52, 28, v54
	v_lshlrev_b64 v[52:53], v52, v[22:23]
	v_lshrrev_b32_e32 v51, 3, v24
	v_sub_u32_e32 v22, 29, v54
	v_and_b32_e32 v52, 7, v52
	v_cmp_gt_u32_e64 s[4:5], 8, v24
	v_cndmask_b32_e64 v22, v51, v22, s[4:5]
	v_cndmask_b32_e64 v24, v49, v52, s[4:5]
	v_lshlrev_b32_e32 v23, 24, v23
	v_lshlrev_b32_e32 v24, 20, v24
	v_and_b32_e32 v23, 0x80000000, v23
	v_lshl_add_u32 v22, v22, 23, v35
	v_or3_b32 v49, v23, v22, v24
.LBB194_87:                             ;   in Loop: Header=BB194_14 Depth=1
	s_or_b64 exec, exec, s[50:51]
.LBB194_88:                             ;   in Loop: Header=BB194_14 Depth=1
	s_or_b64 exec, exec, s[48:49]
.LBB194_89:                             ;   in Loop: Header=BB194_14 Depth=1
	s_or_b64 exec, exec, s[46:47]
	s_waitcnt lgkmcnt(0)
	v_mul_f32_e32 v39, s62, v39
	v_mul_f32_e32 v40, s62, v40
	;; [unrolled: 1-line block ×4, first 2 shown]
	v_fmac_f32_e32 v11, v10, v40
	v_mul_f32_e32 v41, s62, v41
	v_fmac_f32_e32 v11, v12, v42
	v_mul_f32_e32 v44, s62, v44
	;; [unrolled: 2-line block ×6, first 2 shown]
	v_mul_f32_e32 v24, s62, v48
	v_and_b32_e32 v47, 64, v37
	v_fmac_f32_e32 v11, v9, v45
	v_add_u32_e32 v47, 64, v47
	v_xor_b32_e32 v48, 4, v37
	v_fmac_f32_e32 v11, v2, v24
	v_mul_f32_e32 v22, s62, v50
	v_cmp_lt_i32_e64 s[4:5], v48, v47
	v_fmac_f32_e32 v11, v3, v23
	v_cndmask_b32_e64 v48, v37, v48, s[4:5]
	v_mul_f32_e32 v49, s62, v49
	v_fmac_f32_e32 v11, v4, v22
	v_lshlrev_b32_e32 v48, 2, v48
	v_fmac_f32_e32 v11, v5, v49
	ds_bpermute_b32 v2, v48, v11
	v_xor_b32_e32 v3, 2, v37
	v_cmp_lt_i32_e64 s[4:5], v3, v47
	v_cndmask_b32_e64 v3, v37, v3, s[4:5]
	v_lshlrev_b32_e32 v3, 2, v3
	s_waitcnt lgkmcnt(0)
	v_add_f32_e32 v2, v11, v2
	ds_bpermute_b32 v3, v3, v2
	v_xor_b32_e32 v4, 1, v37
	v_cmp_lt_i32_e64 s[4:5], v4, v47
	v_cndmask_b32_e64 v4, v37, v4, s[4:5]
	v_lshlrev_b32_e32 v4, 2, v4
	s_waitcnt lgkmcnt(0)
	v_add_f32_e32 v2, v2, v3
	ds_bpermute_b32 v3, v4, v2
	s_and_saveexec_b64 s[46:47], vcc
	s_cbranch_execz .LBB194_12
; %bb.90:                               ;   in Loop: Header=BB194_14 Depth=1
	v_add_u32_e32 v4, v33, v31
	v_cvt_f32_i32_e32 v4, v4
	s_waitcnt lgkmcnt(0)
	v_add_f32_e32 v2, v2, v3
	v_add_u32_e32 v5, v27, v31
	v_cmp_gt_i32_e64 s[4:5], s33, v5
	v_mul_f32_e32 v3, s56, v4
	v_cndmask_b32_e64 v3, 0, v3, s[2:3]
	v_fmac_f32_e32 v3, s43, v2
	v_cndmask_b32_e64 v2, 0, v3, s[4:5]
	ds_write_b32 v32, v2
	v_max_f32_e32 v2, v29, v29
	v_max_f32_e32 v2, v2, v3
	v_cndmask_b32_e64 v29, v29, v2, s[4:5]
	s_branch .LBB194_12
.LBB194_91:
	s_or_b64 exec, exec, s[44:45]
.LBB194_92:
	s_or_b64 exec, exec, s[18:19]
	v_mbcnt_hi_u32_b32 v2, -1, v26
	s_waitcnt lgkmcnt(0)
	v_and_b32_e32 v3, 64, v2
	v_add_u32_e32 v3, 64, v3
	v_xor_b32_e32 v4, 32, v2
	v_cmp_lt_i32_e32 vcc, v4, v3
	v_cndmask_b32_e32 v4, v2, v4, vcc
	v_lshlrev_b32_e32 v6, 2, v4
	ds_bpermute_b32 v4, v6, v29
	v_xor_b32_e32 v7, 16, v2
	v_max_f32_e32 v5, v29, v29
	v_cmp_lt_i32_e32 vcc, v7, v3
	v_and_b32_e32 v9, 63, v0
	s_waitcnt lgkmcnt(0)
	v_max_f32_e32 v4, v4, v4
	v_max_f32_e32 v4, v5, v4
	v_cndmask_b32_e32 v5, v2, v7, vcc
	v_lshlrev_b32_e32 v8, 2, v5
	ds_bpermute_b32 v5, v8, v4
	v_xor_b32_e32 v7, 8, v2
	v_cmp_lt_i32_e32 vcc, v7, v3
	s_waitcnt lgkmcnt(0)
	v_max_f32_e32 v5, v5, v5
	v_max_f32_e32 v4, v4, v5
	v_cndmask_b32_e32 v5, v2, v7, vcc
	v_lshlrev_b32_e32 v10, 2, v5
	ds_bpermute_b32 v7, v10, v4
	v_cmp_eq_u32_e32 vcc, 0, v9
	v_lshlrev_b32_e32 v5, 2, v25
	s_and_saveexec_b64 s[2:3], vcc
	s_cbranch_execz .LBB194_94
; %bb.93:
	s_waitcnt lgkmcnt(0)
	v_max_f32_e32 v7, v7, v7
	v_max_f32_e32 v4, v4, v4
	;; [unrolled: 1-line block ×3, first 2 shown]
	ds_write_b32 v5, v4 offset:384
.LBB194_94:
	s_or_b64 exec, exec, s[2:3]
	v_cmp_gt_u32_e64 s[2:3], 2, v9
	v_mov_b32_e32 v4, 0xff7fffff
	s_waitcnt lgkmcnt(0)
	v_lshlrev_b32_e32 v7, 2, v9
	s_barrier
	s_and_saveexec_b64 s[4:5], s[2:3]
	s_cbranch_execz .LBB194_96
; %bb.95:
	ds_read_b32 v4, v7 offset:384
.LBB194_96:
	s_or_b64 exec, exec, s[4:5]
	v_xor_b32_e32 v11, 1, v2
	v_cmp_lt_i32_e64 s[4:5], v11, v3
	v_cndmask_b32_e64 v11, v2, v11, s[4:5]
	v_lshlrev_b32_e32 v37, 2, v11
	s_waitcnt lgkmcnt(0)
	ds_bpermute_b32 v11, v37, v4
	v_max_f32_e32 v4, v4, v4
	s_sub_i32 s4, s54, s23
	s_lshl_b32 s4, s4, 3
	s_add_i32 s4, s4, s55
	s_waitcnt lgkmcnt(0)
	v_max_f32_e32 v11, v11, v11
	v_max_f32_e32 v4, v4, v11
	v_lshlrev_b32_e32 v11, 2, v2
	v_and_b32_e32 v11, 0x100, v11
	ds_bpermute_b32 v4, v11, v4
	s_min_i32 s43, s4, s33
	s_sub_i32 s23, s43, s55
	v_cmp_gt_i32_e64 s[4:5], s23, v0
	v_mov_b32_e32 v12, 0
	s_and_saveexec_b64 s[12:13], s[4:5]
	s_cbranch_execz .LBB194_100
; %bb.97:
	v_mov_b32_e32 v12, 0x190
	v_lshl_add_u32 v13, v0, 2, v12
	s_mov_b64 s[18:19], 0
	v_mov_b32_e32 v12, 0
	v_mov_b32_e32 v16, v0
.LBB194_98:                             ; =>This Inner Loop Header: Depth=1
	ds_read_b32 v18, v13
	v_add_u32_e32 v16, 0x80, v16
	v_cmp_le_i32_e64 s[10:11], s23, v16
	s_or_b64 s[18:19], s[10:11], s[18:19]
	s_waitcnt lgkmcnt(0)
	v_sub_f32_e32 v18, v18, v4
	v_mul_f32_e32 v18, 0x3fb8aa3b, v18
	v_exp_f32_e32 v18, v18
	ds_write_b32 v13, v18
	v_add_f32_e32 v12, v12, v18
	v_add_u32_e32 v13, 0x200, v13
	s_andn2_b64 exec, exec, s[18:19]
	s_cbranch_execnz .LBB194_98
; %bb.99:
	s_or_b64 exec, exec, s[18:19]
.LBB194_100:
	s_or_b64 exec, exec, s[12:13]
	ds_bpermute_b32 v6, v6, v12
	s_waitcnt lgkmcnt(0)
	v_add_f32_e32 v6, v12, v6
	ds_bpermute_b32 v8, v8, v6
	s_waitcnt lgkmcnt(0)
	v_add_f32_e32 v6, v6, v8
	ds_bpermute_b32 v8, v10, v6
	v_xor_b32_e32 v10, 4, v2
	v_cmp_lt_i32_e64 s[10:11], v10, v3
	v_cndmask_b32_e64 v10, v2, v10, s[10:11]
	v_lshlrev_b32_e32 v10, 2, v10
	s_waitcnt lgkmcnt(0)
	v_add_f32_e32 v6, v6, v8
	ds_bpermute_b32 v8, v10, v6
	v_xor_b32_e32 v10, 2, v2
	v_cmp_lt_i32_e64 s[10:11], v10, v3
	v_cndmask_b32_e64 v2, v2, v10, s[10:11]
	v_lshlrev_b32_e32 v2, 2, v2
	s_waitcnt lgkmcnt(0)
	v_add_f32_e32 v3, v6, v8
	ds_bpermute_b32 v2, v2, v3
	s_waitcnt lgkmcnt(0)
	v_add_f32_e32 v2, v3, v2
	ds_bpermute_b32 v3, v37, v2
	s_waitcnt lgkmcnt(0)
	v_add_f32_e32 v2, v2, v3
	s_and_saveexec_b64 s[10:11], vcc
	s_cbranch_execz .LBB194_102
; %bb.101:
	ds_write_b32 v5, v2 offset:392
.LBB194_102:
	s_or_b64 exec, exec, s[10:11]
	s_waitcnt lgkmcnt(0)
	s_barrier
	s_and_saveexec_b64 s[10:11], s[2:3]
	s_cbranch_execz .LBB194_104
; %bb.103:
	ds_read_b32 v2, v7 offset:392
.LBB194_104:
	s_or_b64 exec, exec, s[10:11]
	s_waitcnt lgkmcnt(0)
	ds_bpermute_b32 v3, v37, v2
	s_waitcnt lgkmcnt(0)
	v_add_f32_e32 v2, v2, v3
	ds_bpermute_b32 v5, v11, v2
	s_and_saveexec_b64 s[2:3], s[4:5]
	s_cbranch_execz .LBB194_117
; %bb.105:
	s_waitcnt lgkmcnt(0)
	v_add_f32_e32 v2, 0x358637bd, v5
	v_div_scale_f32 v3, s[4:5], v2, v2, 1.0
	v_rcp_f32_e32 v6, v3
	v_div_scale_f32 v7, vcc, 1.0, v2, 1.0
	s_movk_i32 s4, 0x7f
	v_fma_f32 v8, -v3, v6, 1.0
	v_fmac_f32_e32 v6, v8, v6
	v_mul_f32_e32 v8, v7, v6
	v_fma_f32 v10, -v3, v8, v7
	v_fmac_f32_e32 v8, v10, v6
	v_fma_f32 v3, -v3, v8, v7
	v_div_fmas_f32 v3, v3, v6, v8
	v_div_fixup_f32 v2, v3, v2, 1.0
	v_xad_u32 v3, v0, -1, s43
	v_subrev_u32_e32 v6, s55, v3
	v_cmp_lt_u32_e32 vcc, s4, v6
	s_mov_b64 s[10:11], -1
	v_mov_b32_e32 v3, v0
	s_and_saveexec_b64 s[4:5], vcc
	s_cbranch_execz .LBB194_114
; %bb.106:
	v_lshrrev_b32_e32 v6, 7, v6
	v_add_u32_e32 v8, -1, v6
	v_lshrrev_b32_e32 v7, 1, v8
	v_mov_b32_e32 v3, v2
	v_add_u32_e32 v7, 1, v7
	v_cmp_lt_u32_e32 vcc, 13, v8
	v_mov_b32_e32 v11, 0
	s_and_saveexec_b64 s[10:11], vcc
	s_cbranch_execz .LBB194_110
; %bb.107:
	v_mov_b32_e32 v10, 0x190
	v_and_b32_e32 v8, -8, v7
	v_lshl_add_u32 v10, v0, 2, v10
	s_mov_b32 s18, 0
	s_mov_b64 s[12:13], 0
.LBB194_108:                            ; =>This Inner Loop Header: Depth=1
	ds_read2st64_b32 v[12:13], v10 offset1:2
	ds_read2st64_b32 v[18:19], v10 offset0:4 offset1:6
	ds_read2st64_b32 v[20:21], v10 offset0:8 offset1:10
	;; [unrolled: 1-line block ×3, first 2 shown]
	v_add_u32_e32 v8, -8, v8
	s_waitcnt lgkmcnt(3)
	v_pk_mul_f32 v[12:13], v[2:3], v[12:13]
	s_waitcnt lgkmcnt(2)
	v_pk_mul_f32 v[18:19], v[2:3], v[18:19]
	ds_write2st64_b32 v10, v12, v13 offset1:2
	ds_write2st64_b32 v10, v18, v19 offset0:4 offset1:6
	ds_read2st64_b32 v[18:19], v10 offset0:16 offset1:18
	s_waitcnt lgkmcnt(4)
	v_pk_mul_f32 v[12:13], v[2:3], v[20:21]
	ds_write2st64_b32 v10, v12, v13 offset0:8 offset1:10
	s_waitcnt lgkmcnt(4)
	v_pk_mul_f32 v[12:13], v[2:3], v[22:23]
	ds_write2st64_b32 v10, v12, v13 offset0:12 offset1:14
	ds_read2st64_b32 v[12:13], v10 offset0:20 offset1:22
	s_waitcnt lgkmcnt(3)
	v_pk_mul_f32 v[18:19], v[2:3], v[18:19]
	ds_read2st64_b32 v[20:21], v10 offset0:24 offset1:26
	ds_write2st64_b32 v10, v18, v19 offset0:16 offset1:18
	ds_read2st64_b32 v[18:19], v10 offset0:28 offset1:30
	s_waitcnt lgkmcnt(3)
	v_pk_mul_f32 v[12:13], v[2:3], v[12:13]
	ds_write2st64_b32 v10, v12, v13 offset0:20 offset1:22
	s_waitcnt lgkmcnt(3)
	v_pk_mul_f32 v[12:13], v[2:3], v[20:21]
	ds_write2st64_b32 v10, v12, v13 offset0:24 offset1:26
	s_waitcnt lgkmcnt(2)
	v_pk_mul_f32 v[12:13], v[2:3], v[18:19]
	s_add_i32 s18, s18, 16
	v_cmp_eq_u32_e32 vcc, 0, v8
	ds_write2st64_b32 v10, v12, v13 offset0:28 offset1:30
	v_add_u32_e32 v10, 0x2000, v10
	s_or_b64 s[12:13], vcc, s[12:13]
	v_mov_b32_e32 v11, s18
	s_andn2_b64 exec, exec, s[12:13]
	s_cbranch_execnz .LBB194_108
; %bb.109:
	s_or_b64 exec, exec, s[12:13]
.LBB194_110:
	s_or_b64 exec, exec, s[10:11]
	v_and_b32_e32 v7, 7, v7
	v_cmp_ne_u32_e32 vcc, 0, v7
	s_and_saveexec_b64 s[10:11], vcc
	s_cbranch_execz .LBB194_113
; %bb.111:
	v_lshlrev_b32_e32 v8, 9, v11
	s_movk_i32 s12, 0x190
	v_add3_u32 v8, v8, v17, s12
	s_mov_b64 s[12:13], 0
.LBB194_112:                            ; =>This Inner Loop Header: Depth=1
	ds_read2st64_b32 v[10:11], v8 offset1:2
	v_add_u32_e32 v7, -1, v7
	v_cmp_eq_u32_e32 vcc, 0, v7
	s_or_b64 s[12:13], vcc, s[12:13]
	s_waitcnt lgkmcnt(0)
	v_pk_mul_f32 v[10:11], v[2:3], v[10:11]
	ds_write2st64_b32 v8, v10, v11 offset1:2
	v_add_u32_e32 v8, 0x400, v8
	s_andn2_b64 exec, exec, s[12:13]
	s_cbranch_execnz .LBB194_112
.LBB194_113:
	s_or_b64 exec, exec, s[10:11]
	v_add_u32_e32 v6, 1, v6
	v_and_b32_e32 v7, 0x3fffffe, v6
	v_cmp_ne_u32_e32 vcc, v6, v7
	v_lshl_add_u32 v3, v7, 7, v0
	s_orn2_b64 s[10:11], vcc, exec
.LBB194_114:
	s_or_b64 exec, exec, s[4:5]
	s_and_b64 exec, exec, s[10:11]
	s_cbranch_execz .LBB194_117
; %bb.115:
	v_mov_b32_e32 v6, 0x190
	v_lshl_add_u32 v6, v3, 2, v6
	s_mov_b64 s[4:5], 0
.LBB194_116:                            ; =>This Inner Loop Header: Depth=1
	ds_read_b32 v7, v6
	v_add_u32_e32 v3, 0x80, v3
	v_cmp_le_i32_e32 vcc, s23, v3
	s_or_b64 s[4:5], vcc, s[4:5]
	s_waitcnt lgkmcnt(0)
	v_mul_f32_e32 v7, v2, v7
	ds_write_b32 v6, v7
	v_add_u32_e32 v6, 0x200, v6
	s_andn2_b64 exec, exec, s[4:5]
	s_cbranch_execnz .LBB194_116
.LBB194_117:
	s_or_b64 exec, exec, s[2:3]
	s_mul_i32 s2, s29, s34
	v_cmp_eq_u32_e32 vcc, 0, v0
	s_mul_i32 s2, s2, s9
	s_waitcnt lgkmcnt(0)
	s_barrier
	s_and_saveexec_b64 s[4:5], vcc
	s_cbranch_execz .LBB194_119
; %bb.118:
	s_ashr_i32 s3, s2, 31
	s_lshl_b64 s[10:11], s[2:3], 2
	s_add_u32 s3, s26, s10
	s_mul_i32 s12, s29, s6
	s_addc_u32 s9, s27, s11
	s_ashr_i32 s13, s12, 31
	s_lshl_b64 s[12:13], s[12:13], 2
	s_add_u32 s3, s3, s12
	s_addc_u32 s6, s9, s13
	s_ashr_i32 s9, s8, 31
	s_lshl_b64 s[18:19], s[8:9], 2
	s_add_u32 s26, s3, s18
	s_addc_u32 s27, s6, s19
	s_add_u32 s3, s24, s10
	s_addc_u32 s6, s25, s11
	;; [unrolled: 2-line block ×3, first 2 shown]
	s_add_u32 s10, s3, s18
	v_mov_b32_e32 v2, 0
	s_addc_u32 s11, s6, s19
	global_store_dword v2, v4, s[26:27]
	global_store_dword v2, v5, s[10:11]
.LBB194_119:
	s_or_b64 exec, exec, s[4:5]
	s_mov_b32 s4, 0
	v_mov_b32_e32 v8, 0
	v_and_b32_e32 v38, 1, v0
	v_mov_b32_e32 v7, 0
	v_mov_b32_e32 v6, 0
	s_and_saveexec_b64 s[10:11], s[0:1]
	s_cbranch_execz .LBB194_203
; %bb.120:
	s_sub_i32 s3, s16, s21
	s_ashr_i32 s0, s20, 31
	s_add_u32 s1, s40, s20
	s_addc_u32 s0, s41, s0
	s_abs_i32 s9, s22
	v_cvt_f32_u32_e32 v2, s9
	s_sub_i32 s5, 0, s9
	v_and_b32_e32 v3, 0xfc, v17
	s_add_i32 s27, s7, -1
	v_rcp_iflag_f32_e32 v2, v2
	v_mov_b32_e32 v4, s0
	v_add_co_u32_e32 v10, vcc, s1, v3
	v_mul_f32_e32 v2, 0x4f7ffffe, v2
	v_cvt_u32_f32_e32 v2, v2
	s_lshl_b64 s[0:1], s[38:39], 2
	v_addc_co_u32_e32 v11, vcc, 0, v4, vcc
	v_mul_lo_u32 v5, s5, v2
	v_mul_hi_u32 v5, v2, v5
	v_add_u32_e32 v40, v2, v5
	v_lshlrev_b64 v[2:3], 2, v[14:15]
	s_add_u32 s0, s36, s0
	s_addc_u32 s1, s37, s1
	v_add_co_u32_e32 v12, vcc, s0, v2
	v_lshlrev_b32_e32 v2, 4, v38
	s_mov_b32 s6, s4
	v_mov_b32_e32 v4, s1
	v_lshl_or_b32 v2, v25, 5, v2
	s_mov_b32 s5, s4
	v_mov_b32_e32 v8, s6
	v_and_b32_e32 v39, 4, v17
	s_mov_b32 s26, s17
	v_addc_co_u32_e32 v13, vcc, v4, v3, vcc
	v_add_u32_e32 v15, 0x190, v2
	s_mov_b64 s[12:13], 0
	v_mov_b32_e32 v7, s5
	v_mov_b32_e32 v6, s4
	s_movk_i32 s34, 0x80
	s_movk_i32 s36, 0x7f
	v_mov_b32_e32 v17, 0
	s_brev_b32 s5, 1
	s_mov_b32 s7, 0x7f800001
	s_mov_b32 s37, 0xffffff
	v_bfrev_b32_e32 v41, 60
	v_mov_b32_e32 v42, 7
	v_mov_b32_e32 v43, 24
	s_branch .LBB194_123
.LBB194_121:                            ;   in Loop: Header=BB194_123 Depth=1
	s_or_b64 exec, exec, s[0:1]
	v_mul_f32_e32 v16, v3, v19
	v_fmac_f32_e32 v16, v2, v18
	v_fmac_f32_e32 v16, v4, v20
	;; [unrolled: 1-line block ×3, first 2 shown]
	v_add_f32_e32 v6, v6, v16
	v_mul_f32_e32 v16, v3, v25
	v_mul_f32_e32 v3, v3, v23
	v_fmac_f32_e32 v16, v2, v24
	v_fmac_f32_e32 v3, v2, v22
	;; [unrolled: 1-line block ×6, first 2 shown]
	v_add_f32_e32 v7, v7, v16
	v_add_f32_e32 v8, v8, v3
.LBB194_122:                            ;   in Loop: Header=BB194_123 Depth=1
	s_or_b64 exec, exec, s[16:17]
	v_add_co_u32_e32 v12, vcc, 8, v12
	v_add_u32_e32 v14, 2, v14
	v_addc_co_u32_e32 v13, vcc, 0, v13, vcc
	v_cmp_le_i32_e32 vcc, s54, v14
	v_add_u32_e32 v36, 16, v36
	s_or_b64 s[12:13], vcc, s[12:13]
	v_add_u32_e32 v15, 64, v15
	s_andn2_b64 exec, exec, s[12:13]
	s_cbranch_execz .LBB194_202
.LBB194_123:                            ; =>This Inner Loop Header: Depth=1
	v_sub_u32_e32 v3, 0, v36
	v_max_i32_e32 v3, v36, v3
	v_mul_hi_u32 v4, v3, s52
	v_mul_lo_u32 v5, v4, s35
	v_sub_u32_e32 v3, v3, v5
	v_add_u32_e32 v5, 1, v4
	v_cmp_le_u32_e32 vcc, s35, v3
	v_cndmask_b32_e32 v4, v4, v5, vcc
	v_subrev_u32_e32 v5, s35, v3
	v_cndmask_b32_e32 v3, v3, v5, vcc
	v_ashrrev_i32_e32 v2, 31, v36
	v_add_u32_e32 v5, 1, v4
	v_cmp_le_u32_e32 vcc, s35, v3
	v_xor_b32_e32 v2, s53, v2
	v_cndmask_b32_e32 v3, v4, v5, vcc
	v_xor_b32_e32 v3, v3, v2
	v_sub_u32_e32 v2, v3, v2
	v_add_u32_e32 v3, s42, v2
	v_sub_u32_e32 v5, 0, v3
	v_ashrrev_i32_e32 v4, 31, v3
	v_max_i32_e32 v3, v3, v5
	v_mul_hi_u32 v5, v3, v40
	v_mul_lo_u32 v5, v5, s9
	v_sub_u32_e32 v3, v3, v5
	v_subrev_u32_e32 v5, s9, v3
	v_cmp_le_u32_e32 vcc, s9, v3
	v_cndmask_b32_e32 v3, v3, v5, vcc
	v_subrev_u32_e32 v5, s9, v3
	v_cmp_le_u32_e32 vcc, s9, v3
	v_cndmask_b32_e32 v3, v3, v5, vcc
	v_xor_b32_e32 v3, v3, v4
	v_sub_u32_e32 v3, v3, v4
	v_cmp_eq_u32_e32 vcc, 0, v3
	v_cmp_lt_i32_e64 s[0:1], s3, v2
	s_or_b64 s[0:1], vcc, s[0:1]
	s_and_saveexec_b64 s[16:17], s[0:1]
	s_cbranch_execz .LBB194_122
; %bb.124:                              ;   in Loop: Header=BB194_123 Depth=1
	global_load_dword v2, v[12:13], off
	s_load_dword s18, s[14:15], 0x0
	v_pk_mov_b32 v[24:25], 0, 0
	v_pk_mov_b32 v[20:21], v[24:25], v[24:25] op_sel:[0,1]
	s_waitcnt vmcnt(0)
	v_mad_i64_i32 v[22:23], s[0:1], v2, s26, v[10:11]
	global_load_dword v18, v[22:23], off
	ds_read_b128 v[2:5], v15
	s_waitcnt vmcnt(0)
	v_cmp_ne_u16_sdwa s[20:21], v18, v17 src0_sel:BYTE_0 src1_sel:DWORD
	s_and_saveexec_b64 s[0:1], s[20:21]
	s_cbranch_execz .LBB194_130
; %bb.125:                              ;   in Loop: Header=BB194_123 Depth=1
	v_bfrev_b32_e32 v20, 1
	v_cmp_ne_u16_sdwa s[22:23], v18, s34 src0_sel:BYTE_0 src1_sel:DWORD
	v_mov_b32_e32 v21, 0
	s_and_saveexec_b64 s[20:21], s[22:23]
	s_cbranch_execz .LBB194_129
; %bb.126:                              ;   in Loop: Header=BB194_123 Depth=1
	v_and_b32_e32 v16, 0x7f, v18
	v_mov_b32_e32 v20, 0x7f800001
	v_cmp_ne_u32_e32 vcc, s36, v16
	v_mov_b32_e32 v21, 0
	s_and_saveexec_b64 s[22:23], vcc
	s_cbranch_execz .LBB194_128
; %bb.127:                              ;   in Loop: Header=BB194_123 Depth=1
	v_and_b32_e32 v19, 7, v18
	v_ffbh_u32_e32 v20, v19
	v_min_u32_e32 v27, 32, v20
	v_subrev_u32_e32 v20, 28, v27
	v_lshlrev_b64 v[20:21], v20, v[18:19]
	v_lshrrev_b32_e32 v26, 3, v16
	v_sub_u32_e32 v21, 29, v27
	v_and_b32_e32 v20, 7, v20
	v_cmp_gt_u32_e32 vcc, 8, v16
	v_cndmask_b32_e32 v16, v26, v21, vcc
	v_cndmask_b32_e32 v19, v19, v20, vcc
	v_lshlrev_b32_e32 v19, 20, v19
	v_and_b32_sdwa v20, sext(v18), s5 dst_sel:DWORD dst_unused:UNUSED_PAD src0_sel:BYTE_0 src1_sel:DWORD
	v_lshl_add_u32 v16, v16, 23, v41
	v_or3_b32 v16, v20, v16, v19
	v_pk_mov_b32 v[20:21], v[16:17], v[16:17] op_sel:[0,1]
.LBB194_128:                            ;   in Loop: Header=BB194_123 Depth=1
	s_or_b64 exec, exec, s[22:23]
.LBB194_129:                            ;   in Loop: Header=BB194_123 Depth=1
	s_or_b64 exec, exec, s[20:21]
.LBB194_130:                            ;   in Loop: Header=BB194_123 Depth=1
	s_or_b64 exec, exec, s[0:1]
	v_cmp_ne_u16_sdwa s[20:21], v18, v17 src0_sel:BYTE_1 src1_sel:DWORD
	s_and_saveexec_b64 s[0:1], s[20:21]
	s_cbranch_execz .LBB194_136
; %bb.131:                              ;   in Loop: Header=BB194_123 Depth=1
	v_cmp_ne_u16_sdwa s[22:23], v18, s34 src0_sel:BYTE_1 src1_sel:DWORD
	v_pk_mov_b32 v[24:25], s[4:5], s[4:5] op_sel:[0,1]
	s_and_saveexec_b64 s[20:21], s[22:23]
	s_cbranch_execz .LBB194_135
; %bb.132:                              ;   in Loop: Header=BB194_123 Depth=1
	v_and_b32_sdwa v19, v18, s36 dst_sel:DWORD dst_unused:UNUSED_PAD src0_sel:BYTE_1 src1_sel:DWORD
	s_mov_b32 s6, s4
	v_cmp_ne_u32_e32 vcc, s36, v19
	v_pk_mov_b32 v[24:25], s[6:7], s[6:7] op_sel:[0,1]
	s_and_saveexec_b64 s[22:23], vcc
	s_cbranch_execz .LBB194_134
; %bb.133:                              ;   in Loop: Header=BB194_123 Depth=1
	v_and_b32_sdwa v16, v18, v42 dst_sel:DWORD dst_unused:UNUSED_PAD src0_sel:BYTE_1 src1_sel:DWORD
	v_ffbh_u32_e32 v24, v16
	v_min_u32_e32 v27, 32, v24
	v_subrev_u32_e32 v24, 28, v27
	v_lshlrev_b64 v[24:25], v24, v[16:17]
	v_lshrrev_b32_e32 v26, 3, v19
	v_sub_u32_e32 v25, 29, v27
	v_cmp_gt_u32_e32 vcc, 8, v19
	v_and_b32_e32 v24, 7, v24
	v_cndmask_b32_e32 v19, v26, v25, vcc
	v_cndmask_b32_e32 v16, v16, v24, vcc
	v_lshlrev_b32_e32 v24, 16, v18
	v_lshl_add_u32 v19, v19, 23, v41
	v_and_or_b32 v19, v24, s5, v19
	v_lshlrev_b32_e32 v16, 20, v16
	v_or_b32_e32 v25, v19, v16
	v_mov_b32_e32 v24, v17
.LBB194_134:                            ;   in Loop: Header=BB194_123 Depth=1
	s_or_b64 exec, exec, s[22:23]
.LBB194_135:                            ;   in Loop: Header=BB194_123 Depth=1
	s_or_b64 exec, exec, s[20:21]
.LBB194_136:                            ;   in Loop: Header=BB194_123 Depth=1
	s_or_b64 exec, exec, s[0:1]
	v_lshrrev_b32_e32 v16, 16, v18
	v_pk_mov_b32 v[28:29], 0, 0
	v_cmp_ne_u16_sdwa s[20:21], v16, v17 src0_sel:BYTE_0 src1_sel:DWORD
	v_pk_mov_b32 v[26:27], v[28:29], v[28:29] op_sel:[0,1]
	s_and_saveexec_b64 s[0:1], s[20:21]
	s_cbranch_execz .LBB194_142
; %bb.137:                              ;   in Loop: Header=BB194_123 Depth=1
	v_bfrev_b32_e32 v26, 1
	v_cmp_ne_u16_sdwa s[22:23], v16, s34 src0_sel:BYTE_0 src1_sel:DWORD
	v_mov_b32_e32 v27, 0
	s_and_saveexec_b64 s[20:21], s[22:23]
	s_cbranch_execz .LBB194_141
; %bb.138:                              ;   in Loop: Header=BB194_123 Depth=1
	v_bfe_u32 v19, v18, 16, 7
	v_mov_b32_e32 v26, 0x7f800001
	v_cmp_ne_u32_e32 vcc, s36, v19
	v_mov_b32_e32 v27, 0
	s_and_saveexec_b64 s[22:23], vcc
	s_cbranch_execz .LBB194_140
; %bb.139:                              ;   in Loop: Header=BB194_123 Depth=1
	v_and_b32_e32 v30, 7, v16
	v_ffbh_u32_e32 v26, v30
	v_min_u32_e32 v32, 32, v26
	v_subrev_u32_e32 v26, 28, v32
	v_lshlrev_b64 v[26:27], v26, v[16:17]
	v_lshrrev_b32_e32 v31, 3, v19
	v_sub_u32_e32 v27, 29, v32
	v_and_b32_e32 v26, 7, v26
	v_cmp_gt_u32_e32 vcc, 8, v19
	v_cndmask_b32_e32 v19, v31, v27, vcc
	v_cndmask_b32_e32 v26, v30, v26, vcc
	v_lshlrev_b32_e32 v26, 20, v26
	v_and_b32_sdwa v16, sext(v16), s5 dst_sel:DWORD dst_unused:UNUSED_PAD src0_sel:BYTE_0 src1_sel:DWORD
	v_lshl_add_u32 v19, v19, 23, v41
	v_or3_b32 v16, v16, v19, v26
	v_pk_mov_b32 v[26:27], v[16:17], v[16:17] op_sel:[0,1]
.LBB194_140:                            ;   in Loop: Header=BB194_123 Depth=1
	s_or_b64 exec, exec, s[22:23]
.LBB194_141:                            ;   in Loop: Header=BB194_123 Depth=1
	s_or_b64 exec, exec, s[20:21]
.LBB194_142:                            ;   in Loop: Header=BB194_123 Depth=1
	s_or_b64 exec, exec, s[0:1]
	v_cmp_lt_u32_e32 vcc, s37, v18
	s_and_saveexec_b64 s[0:1], vcc
	s_cbranch_execz .LBB194_148
; %bb.143:                              ;   in Loop: Header=BB194_123 Depth=1
	v_cmp_ne_u32_sdwa s[22:23], v18, s34 src0_sel:BYTE_3 src1_sel:DWORD
	v_pk_mov_b32 v[28:29], s[4:5], s[4:5] op_sel:[0,1]
	s_and_saveexec_b64 s[20:21], s[22:23]
	s_cbranch_execz .LBB194_147
; %bb.144:                              ;   in Loop: Header=BB194_123 Depth=1
	v_bfe_u32 v19, v18, 24, 7
	s_mov_b32 s6, s4
	v_cmp_ne_u32_e32 vcc, s36, v19
	v_pk_mov_b32 v[28:29], s[6:7], s[6:7] op_sel:[0,1]
	s_and_saveexec_b64 s[22:23], vcc
	s_cbranch_execz .LBB194_146
; %bb.145:                              ;   in Loop: Header=BB194_123 Depth=1
	v_and_b32_sdwa v16, v18, v42 dst_sel:DWORD dst_unused:UNUSED_PAD src0_sel:BYTE_3 src1_sel:DWORD
	v_ffbh_u32_e32 v28, v16
	v_min_u32_e32 v31, 32, v28
	v_subrev_u32_e32 v28, 28, v31
	v_lshlrev_b64 v[28:29], v28, v[16:17]
	v_lshrrev_b32_e32 v30, 3, v19
	v_sub_u32_e32 v29, 29, v31
	v_cmp_gt_u32_e32 vcc, 8, v19
	v_and_b32_e32 v28, 7, v28
	v_cndmask_b32_e32 v19, v30, v29, vcc
	v_cndmask_b32_e32 v16, v16, v28, vcc
	v_lshlrev_b32_sdwa v18, v43, v18 dst_sel:DWORD dst_unused:UNUSED_PAD src0_sel:DWORD src1_sel:BYTE_3
	v_lshl_add_u32 v19, v19, 23, v41
	v_and_or_b32 v18, v18, s5, v19
	v_lshlrev_b32_e32 v16, 20, v16
	v_or_b32_e32 v29, v18, v16
	v_mov_b32_e32 v28, v17
.LBB194_146:                            ;   in Loop: Header=BB194_123 Depth=1
	s_or_b64 exec, exec, s[22:23]
.LBB194_147:                            ;   in Loop: Header=BB194_123 Depth=1
	s_or_b64 exec, exec, s[20:21]
.LBB194_148:                            ;   in Loop: Header=BB194_123 Depth=1
	s_or_b64 exec, exec, s[0:1]
	v_add_u32_e32 v44, v39, v36
	v_or_b32_e32 v19, v25, v21
	v_or_b32_e32 v18, v24, v20
	;; [unrolled: 1-line block ×4, first 2 shown]
	v_cmp_eq_u32_e32 vcc, s27, v14
	s_waitcnt lgkmcnt(0)
	v_pk_mul_f32 v[18:19], s[18:19], v[18:19] op_sel_hi:[0,1]
	v_pk_mul_f32 v[20:21], s[18:19], v[20:21] op_sel_hi:[0,1]
	v_add_u32_e32 v47, 1, v44
	v_add_u32_e32 v46, 2, v44
	;; [unrolled: 1-line block ×3, first 2 shown]
	s_and_saveexec_b64 s[20:21], vcc
; %bb.149:                              ;   in Loop: Header=BB194_123 Depth=1
	v_cmp_gt_i32_e64 s[0:1], s33, v44
	v_cndmask_b32_e64 v18, 0, v18, s[0:1]
	v_cmp_gt_i32_e64 s[0:1], s33, v47
	v_cndmask_b32_e64 v19, 0, v19, s[0:1]
	;; [unrolled: 2-line block ×4, first 2 shown]
; %bb.150:                              ;   in Loop: Header=BB194_123 Depth=1
	s_or_b64 exec, exec, s[20:21]
	global_load_dword v24, v[22:23], off offset:256
	v_pk_mov_b32 v[28:29], 0, 0
	v_pk_mov_b32 v[26:27], v[28:29], v[28:29] op_sel:[0,1]
	s_waitcnt vmcnt(0)
	v_cmp_ne_u16_sdwa s[0:1], v24, v17 src0_sel:BYTE_0 src1_sel:DWORD
	s_and_saveexec_b64 s[20:21], s[0:1]
	s_cbranch_execz .LBB194_156
; %bb.151:                              ;   in Loop: Header=BB194_123 Depth=1
	v_bfrev_b32_e32 v26, 1
	v_cmp_ne_u16_sdwa s[0:1], v24, s34 src0_sel:BYTE_0 src1_sel:DWORD
	v_mov_b32_e32 v27, 0
	s_and_saveexec_b64 s[22:23], s[0:1]
	s_cbranch_execz .LBB194_155
; %bb.152:                              ;   in Loop: Header=BB194_123 Depth=1
	v_and_b32_e32 v16, 0x7f, v24
	v_mov_b32_e32 v26, 0x7f800001
	v_cmp_ne_u32_e64 s[0:1], s36, v16
	v_mov_b32_e32 v27, 0
	s_and_saveexec_b64 s[24:25], s[0:1]
	s_cbranch_execz .LBB194_154
; %bb.153:                              ;   in Loop: Header=BB194_123 Depth=1
	v_and_b32_e32 v25, 7, v24
	v_ffbh_u32_e32 v26, v25
	v_min_u32_e32 v31, 32, v26
	v_subrev_u32_e32 v26, 28, v31
	v_lshlrev_b64 v[26:27], v26, v[24:25]
	v_lshrrev_b32_e32 v30, 3, v16
	v_sub_u32_e32 v27, 29, v31
	v_and_b32_e32 v26, 7, v26
	v_cmp_gt_u32_e64 s[0:1], 8, v16
	v_cndmask_b32_e64 v16, v30, v27, s[0:1]
	v_cndmask_b32_e64 v25, v25, v26, s[0:1]
	v_lshlrev_b32_e32 v25, 20, v25
	v_and_b32_sdwa v26, sext(v24), s5 dst_sel:DWORD dst_unused:UNUSED_PAD src0_sel:BYTE_0 src1_sel:DWORD
	v_lshl_add_u32 v16, v16, 23, v41
	v_or3_b32 v16, v26, v16, v25
	v_pk_mov_b32 v[26:27], v[16:17], v[16:17] op_sel:[0,1]
.LBB194_154:                            ;   in Loop: Header=BB194_123 Depth=1
	s_or_b64 exec, exec, s[24:25]
.LBB194_155:                            ;   in Loop: Header=BB194_123 Depth=1
	s_or_b64 exec, exec, s[22:23]
.LBB194_156:                            ;   in Loop: Header=BB194_123 Depth=1
	s_or_b64 exec, exec, s[20:21]
	v_cmp_ne_u16_sdwa s[0:1], v24, v17 src0_sel:BYTE_1 src1_sel:DWORD
	s_and_saveexec_b64 s[20:21], s[0:1]
	s_cbranch_execz .LBB194_162
; %bb.157:                              ;   in Loop: Header=BB194_123 Depth=1
	v_cmp_ne_u16_sdwa s[0:1], v24, s34 src0_sel:BYTE_1 src1_sel:DWORD
	v_pk_mov_b32 v[28:29], s[4:5], s[4:5] op_sel:[0,1]
	s_and_saveexec_b64 s[22:23], s[0:1]
	s_cbranch_execz .LBB194_161
; %bb.158:                              ;   in Loop: Header=BB194_123 Depth=1
	v_and_b32_sdwa v25, v24, s36 dst_sel:DWORD dst_unused:UNUSED_PAD src0_sel:BYTE_1 src1_sel:DWORD
	s_mov_b32 s6, s4
	v_cmp_ne_u32_e64 s[0:1], s36, v25
	v_pk_mov_b32 v[28:29], s[6:7], s[6:7] op_sel:[0,1]
	s_and_saveexec_b64 s[24:25], s[0:1]
	s_cbranch_execz .LBB194_160
; %bb.159:                              ;   in Loop: Header=BB194_123 Depth=1
	v_and_b32_sdwa v16, v24, v42 dst_sel:DWORD dst_unused:UNUSED_PAD src0_sel:BYTE_1 src1_sel:DWORD
	v_ffbh_u32_e32 v28, v16
	v_min_u32_e32 v31, 32, v28
	v_subrev_u32_e32 v28, 28, v31
	v_lshlrev_b64 v[28:29], v28, v[16:17]
	v_lshrrev_b32_e32 v30, 3, v25
	v_sub_u32_e32 v29, 29, v31
	v_cmp_gt_u32_e64 s[0:1], 8, v25
	v_and_b32_e32 v28, 7, v28
	v_cndmask_b32_e64 v25, v30, v29, s[0:1]
	v_cndmask_b32_e64 v16, v16, v28, s[0:1]
	v_lshlrev_b32_e32 v28, 16, v24
	v_lshl_add_u32 v25, v25, 23, v41
	v_and_or_b32 v25, v28, s5, v25
	v_lshlrev_b32_e32 v16, 20, v16
	v_or_b32_e32 v29, v25, v16
	v_mov_b32_e32 v28, v17
.LBB194_160:                            ;   in Loop: Header=BB194_123 Depth=1
	s_or_b64 exec, exec, s[24:25]
.LBB194_161:                            ;   in Loop: Header=BB194_123 Depth=1
	s_or_b64 exec, exec, s[22:23]
.LBB194_162:                            ;   in Loop: Header=BB194_123 Depth=1
	s_or_b64 exec, exec, s[20:21]
	v_lshrrev_b32_e32 v16, 16, v24
	v_pk_mov_b32 v[32:33], 0, 0
	v_cmp_ne_u16_sdwa s[0:1], v16, v17 src0_sel:BYTE_0 src1_sel:DWORD
	v_pk_mov_b32 v[30:31], v[32:33], v[32:33] op_sel:[0,1]
	s_and_saveexec_b64 s[20:21], s[0:1]
	s_cbranch_execz .LBB194_168
; %bb.163:                              ;   in Loop: Header=BB194_123 Depth=1
	v_bfrev_b32_e32 v30, 1
	v_cmp_ne_u16_sdwa s[0:1], v16, s34 src0_sel:BYTE_0 src1_sel:DWORD
	v_mov_b32_e32 v31, 0
	s_and_saveexec_b64 s[22:23], s[0:1]
	s_cbranch_execz .LBB194_167
; %bb.164:                              ;   in Loop: Header=BB194_123 Depth=1
	v_bfe_u32 v25, v24, 16, 7
	v_mov_b32_e32 v30, 0x7f800001
	v_cmp_ne_u32_e64 s[0:1], s36, v25
	v_mov_b32_e32 v31, 0
	s_and_saveexec_b64 s[24:25], s[0:1]
	s_cbranch_execz .LBB194_166
; %bb.165:                              ;   in Loop: Header=BB194_123 Depth=1
	v_and_b32_e32 v34, 7, v16
	v_ffbh_u32_e32 v30, v34
	v_min_u32_e32 v48, 32, v30
	v_subrev_u32_e32 v30, 28, v48
	v_lshlrev_b64 v[30:31], v30, v[16:17]
	v_lshrrev_b32_e32 v35, 3, v25
	v_sub_u32_e32 v31, 29, v48
	v_and_b32_e32 v30, 7, v30
	v_cmp_gt_u32_e64 s[0:1], 8, v25
	v_cndmask_b32_e64 v25, v35, v31, s[0:1]
	v_cndmask_b32_e64 v30, v34, v30, s[0:1]
	v_lshlrev_b32_e32 v30, 20, v30
	v_and_b32_sdwa v16, sext(v16), s5 dst_sel:DWORD dst_unused:UNUSED_PAD src0_sel:BYTE_0 src1_sel:DWORD
	v_lshl_add_u32 v25, v25, 23, v41
	v_or3_b32 v16, v16, v25, v30
	v_pk_mov_b32 v[30:31], v[16:17], v[16:17] op_sel:[0,1]
.LBB194_166:                            ;   in Loop: Header=BB194_123 Depth=1
	s_or_b64 exec, exec, s[24:25]
.LBB194_167:                            ;   in Loop: Header=BB194_123 Depth=1
	s_or_b64 exec, exec, s[22:23]
.LBB194_168:                            ;   in Loop: Header=BB194_123 Depth=1
	s_or_b64 exec, exec, s[20:21]
	v_cmp_lt_u32_e64 s[0:1], s37, v24
	s_and_saveexec_b64 s[20:21], s[0:1]
	s_cbranch_execz .LBB194_174
; %bb.169:                              ;   in Loop: Header=BB194_123 Depth=1
	v_cmp_ne_u32_sdwa s[0:1], v24, s34 src0_sel:BYTE_3 src1_sel:DWORD
	v_pk_mov_b32 v[32:33], s[4:5], s[4:5] op_sel:[0,1]
	s_and_saveexec_b64 s[22:23], s[0:1]
	s_cbranch_execz .LBB194_173
; %bb.170:                              ;   in Loop: Header=BB194_123 Depth=1
	v_bfe_u32 v25, v24, 24, 7
	s_mov_b32 s6, s4
	v_cmp_ne_u32_e64 s[0:1], s36, v25
	v_pk_mov_b32 v[32:33], s[6:7], s[6:7] op_sel:[0,1]
	s_and_saveexec_b64 s[24:25], s[0:1]
	s_cbranch_execz .LBB194_172
; %bb.171:                              ;   in Loop: Header=BB194_123 Depth=1
	v_and_b32_sdwa v16, v24, v42 dst_sel:DWORD dst_unused:UNUSED_PAD src0_sel:BYTE_3 src1_sel:DWORD
	v_ffbh_u32_e32 v32, v16
	v_min_u32_e32 v35, 32, v32
	v_subrev_u32_e32 v32, 28, v35
	v_lshlrev_b64 v[32:33], v32, v[16:17]
	v_lshrrev_b32_e32 v34, 3, v25
	v_sub_u32_e32 v33, 29, v35
	v_cmp_gt_u32_e64 s[0:1], 8, v25
	v_and_b32_e32 v32, 7, v32
	v_cndmask_b32_e64 v25, v34, v33, s[0:1]
	v_cndmask_b32_e64 v16, v16, v32, s[0:1]
	v_lshlrev_b32_sdwa v24, v43, v24 dst_sel:DWORD dst_unused:UNUSED_PAD src0_sel:DWORD src1_sel:BYTE_3
	v_lshl_add_u32 v25, v25, 23, v41
	v_and_or_b32 v24, v24, s5, v25
	v_lshlrev_b32_e32 v16, 20, v16
	v_or_b32_e32 v33, v24, v16
	v_mov_b32_e32 v32, v17
.LBB194_172:                            ;   in Loop: Header=BB194_123 Depth=1
	s_or_b64 exec, exec, s[24:25]
.LBB194_173:                            ;   in Loop: Header=BB194_123 Depth=1
	s_or_b64 exec, exec, s[22:23]
.LBB194_174:                            ;   in Loop: Header=BB194_123 Depth=1
	s_or_b64 exec, exec, s[20:21]
	s_mov_b32 s19, s18
	v_or_b32_e32 v25, v29, v27
	v_or_b32_e32 v24, v28, v26
	v_or_b32_e32 v27, v33, v31
	v_or_b32_e32 v26, v32, v30
	v_pk_mul_f32 v[24:25], s[18:19], v[24:25]
	v_pk_mul_f32 v[26:27], s[18:19], v[26:27]
	s_and_saveexec_b64 s[20:21], vcc
; %bb.175:                              ;   in Loop: Header=BB194_123 Depth=1
	v_cmp_gt_i32_e64 s[0:1], s33, v44
	v_cndmask_b32_e64 v24, 0, v24, s[0:1]
	v_cmp_gt_i32_e64 s[0:1], s33, v47
	v_cndmask_b32_e64 v25, 0, v25, s[0:1]
	;; [unrolled: 2-line block ×4, first 2 shown]
; %bb.176:                              ;   in Loop: Header=BB194_123 Depth=1
	s_or_b64 exec, exec, s[20:21]
	global_load_dword v22, v[22:23], off offset:512
	v_pk_mov_b32 v[30:31], 0, 0
	v_pk_mov_b32 v[28:29], v[30:31], v[30:31] op_sel:[0,1]
	s_waitcnt vmcnt(0)
	v_cmp_ne_u16_sdwa s[0:1], v22, v17 src0_sel:BYTE_0 src1_sel:DWORD
	s_and_saveexec_b64 s[20:21], s[0:1]
	s_cbranch_execz .LBB194_182
; %bb.177:                              ;   in Loop: Header=BB194_123 Depth=1
	v_bfrev_b32_e32 v28, 1
	v_cmp_ne_u16_sdwa s[0:1], v22, s34 src0_sel:BYTE_0 src1_sel:DWORD
	v_mov_b32_e32 v29, 0
	s_and_saveexec_b64 s[22:23], s[0:1]
	s_cbranch_execz .LBB194_181
; %bb.178:                              ;   in Loop: Header=BB194_123 Depth=1
	v_and_b32_e32 v16, 0x7f, v22
	v_mov_b32_e32 v28, 0x7f800001
	v_cmp_ne_u32_e64 s[0:1], s36, v16
	v_mov_b32_e32 v29, 0
	s_and_saveexec_b64 s[24:25], s[0:1]
	s_cbranch_execz .LBB194_180
; %bb.179:                              ;   in Loop: Header=BB194_123 Depth=1
	v_and_b32_e32 v23, 7, v22
	v_ffbh_u32_e32 v28, v23
	v_min_u32_e32 v33, 32, v28
	v_subrev_u32_e32 v28, 28, v33
	v_lshlrev_b64 v[28:29], v28, v[22:23]
	v_lshrrev_b32_e32 v32, 3, v16
	v_sub_u32_e32 v29, 29, v33
	v_and_b32_e32 v28, 7, v28
	v_cmp_gt_u32_e64 s[0:1], 8, v16
	v_cndmask_b32_e64 v16, v32, v29, s[0:1]
	v_cndmask_b32_e64 v23, v23, v28, s[0:1]
	v_lshlrev_b32_e32 v23, 20, v23
	v_and_b32_sdwa v28, sext(v22), s5 dst_sel:DWORD dst_unused:UNUSED_PAD src0_sel:BYTE_0 src1_sel:DWORD
	v_lshl_add_u32 v16, v16, 23, v41
	v_or3_b32 v16, v28, v16, v23
	v_pk_mov_b32 v[28:29], v[16:17], v[16:17] op_sel:[0,1]
.LBB194_180:                            ;   in Loop: Header=BB194_123 Depth=1
	s_or_b64 exec, exec, s[24:25]
.LBB194_181:                            ;   in Loop: Header=BB194_123 Depth=1
	s_or_b64 exec, exec, s[22:23]
.LBB194_182:                            ;   in Loop: Header=BB194_123 Depth=1
	s_or_b64 exec, exec, s[20:21]
	v_cmp_ne_u16_sdwa s[0:1], v22, v17 src0_sel:BYTE_1 src1_sel:DWORD
	s_and_saveexec_b64 s[20:21], s[0:1]
	s_cbranch_execz .LBB194_188
; %bb.183:                              ;   in Loop: Header=BB194_123 Depth=1
	v_cmp_ne_u16_sdwa s[0:1], v22, s34 src0_sel:BYTE_1 src1_sel:DWORD
	v_pk_mov_b32 v[30:31], s[4:5], s[4:5] op_sel:[0,1]
	s_and_saveexec_b64 s[22:23], s[0:1]
	s_cbranch_execz .LBB194_187
; %bb.184:                              ;   in Loop: Header=BB194_123 Depth=1
	v_and_b32_sdwa v23, v22, s36 dst_sel:DWORD dst_unused:UNUSED_PAD src0_sel:BYTE_1 src1_sel:DWORD
	s_mov_b32 s6, s4
	v_cmp_ne_u32_e64 s[0:1], s36, v23
	v_pk_mov_b32 v[30:31], s[6:7], s[6:7] op_sel:[0,1]
	s_and_saveexec_b64 s[24:25], s[0:1]
	s_cbranch_execz .LBB194_186
; %bb.185:                              ;   in Loop: Header=BB194_123 Depth=1
	v_and_b32_sdwa v16, v22, v42 dst_sel:DWORD dst_unused:UNUSED_PAD src0_sel:BYTE_1 src1_sel:DWORD
	v_ffbh_u32_e32 v30, v16
	v_min_u32_e32 v33, 32, v30
	v_subrev_u32_e32 v30, 28, v33
	v_lshlrev_b64 v[30:31], v30, v[16:17]
	v_lshrrev_b32_e32 v32, 3, v23
	v_sub_u32_e32 v31, 29, v33
	v_cmp_gt_u32_e64 s[0:1], 8, v23
	v_and_b32_e32 v30, 7, v30
	v_cndmask_b32_e64 v23, v32, v31, s[0:1]
	v_cndmask_b32_e64 v16, v16, v30, s[0:1]
	v_lshlrev_b32_e32 v30, 16, v22
	v_lshl_add_u32 v23, v23, 23, v41
	v_and_or_b32 v23, v30, s5, v23
	v_lshlrev_b32_e32 v16, 20, v16
	v_or_b32_e32 v31, v23, v16
	v_mov_b32_e32 v30, v17
.LBB194_186:                            ;   in Loop: Header=BB194_123 Depth=1
	s_or_b64 exec, exec, s[24:25]
.LBB194_187:                            ;   in Loop: Header=BB194_123 Depth=1
	s_or_b64 exec, exec, s[22:23]
.LBB194_188:                            ;   in Loop: Header=BB194_123 Depth=1
	s_or_b64 exec, exec, s[20:21]
	v_lshrrev_b32_e32 v16, 16, v22
	v_pk_mov_b32 v[34:35], 0, 0
	v_cmp_ne_u16_sdwa s[0:1], v16, v17 src0_sel:BYTE_0 src1_sel:DWORD
	v_pk_mov_b32 v[32:33], v[34:35], v[34:35] op_sel:[0,1]
	s_and_saveexec_b64 s[20:21], s[0:1]
	s_cbranch_execz .LBB194_194
; %bb.189:                              ;   in Loop: Header=BB194_123 Depth=1
	v_bfrev_b32_e32 v32, 1
	v_cmp_ne_u16_sdwa s[0:1], v16, s34 src0_sel:BYTE_0 src1_sel:DWORD
	v_mov_b32_e32 v33, 0
	s_and_saveexec_b64 s[22:23], s[0:1]
	s_cbranch_execz .LBB194_193
; %bb.190:                              ;   in Loop: Header=BB194_123 Depth=1
	v_bfe_u32 v23, v22, 16, 7
	v_mov_b32_e32 v32, 0x7f800001
	v_cmp_ne_u32_e64 s[0:1], s36, v23
	v_mov_b32_e32 v33, 0
	s_and_saveexec_b64 s[24:25], s[0:1]
	s_cbranch_execz .LBB194_192
; %bb.191:                              ;   in Loop: Header=BB194_123 Depth=1
	v_and_b32_e32 v48, 7, v16
	v_ffbh_u32_e32 v32, v48
	v_min_u32_e32 v50, 32, v32
	v_subrev_u32_e32 v32, 28, v50
	v_lshlrev_b64 v[32:33], v32, v[16:17]
	v_lshrrev_b32_e32 v49, 3, v23
	v_sub_u32_e32 v33, 29, v50
	v_and_b32_e32 v32, 7, v32
	v_cmp_gt_u32_e64 s[0:1], 8, v23
	v_cndmask_b32_e64 v23, v49, v33, s[0:1]
	v_cndmask_b32_e64 v32, v48, v32, s[0:1]
	v_lshlrev_b32_e32 v32, 20, v32
	v_and_b32_sdwa v16, sext(v16), s5 dst_sel:DWORD dst_unused:UNUSED_PAD src0_sel:BYTE_0 src1_sel:DWORD
	v_lshl_add_u32 v23, v23, 23, v41
	v_or3_b32 v16, v16, v23, v32
	v_pk_mov_b32 v[32:33], v[16:17], v[16:17] op_sel:[0,1]
.LBB194_192:                            ;   in Loop: Header=BB194_123 Depth=1
	s_or_b64 exec, exec, s[24:25]
.LBB194_193:                            ;   in Loop: Header=BB194_123 Depth=1
	s_or_b64 exec, exec, s[22:23]
.LBB194_194:                            ;   in Loop: Header=BB194_123 Depth=1
	s_or_b64 exec, exec, s[20:21]
	v_cmp_lt_u32_e64 s[0:1], s37, v22
	s_and_saveexec_b64 s[20:21], s[0:1]
	s_cbranch_execz .LBB194_200
; %bb.195:                              ;   in Loop: Header=BB194_123 Depth=1
	v_cmp_ne_u32_sdwa s[0:1], v22, s34 src0_sel:BYTE_3 src1_sel:DWORD
	v_pk_mov_b32 v[34:35], s[4:5], s[4:5] op_sel:[0,1]
	s_and_saveexec_b64 s[22:23], s[0:1]
	s_cbranch_execz .LBB194_199
; %bb.196:                              ;   in Loop: Header=BB194_123 Depth=1
	v_bfe_u32 v23, v22, 24, 7
	s_mov_b32 s6, s4
	v_cmp_ne_u32_e64 s[0:1], s36, v23
	v_pk_mov_b32 v[34:35], s[6:7], s[6:7] op_sel:[0,1]
	s_and_saveexec_b64 s[24:25], s[0:1]
	s_cbranch_execz .LBB194_198
; %bb.197:                              ;   in Loop: Header=BB194_123 Depth=1
	v_and_b32_sdwa v16, v22, v42 dst_sel:DWORD dst_unused:UNUSED_PAD src0_sel:BYTE_3 src1_sel:DWORD
	v_ffbh_u32_e32 v34, v16
	v_min_u32_e32 v49, 32, v34
	v_subrev_u32_e32 v34, 28, v49
	v_lshlrev_b64 v[34:35], v34, v[16:17]
	v_lshrrev_b32_e32 v48, 3, v23
	v_sub_u32_e32 v35, 29, v49
	v_cmp_gt_u32_e64 s[0:1], 8, v23
	v_and_b32_e32 v34, 7, v34
	v_cndmask_b32_e64 v23, v48, v35, s[0:1]
	v_cndmask_b32_e64 v16, v16, v34, s[0:1]
	v_lshlrev_b32_sdwa v22, v43, v22 dst_sel:DWORD dst_unused:UNUSED_PAD src0_sel:DWORD src1_sel:BYTE_3
	v_lshl_add_u32 v23, v23, 23, v41
	v_and_or_b32 v22, v22, s5, v23
	v_lshlrev_b32_e32 v16, 20, v16
	v_or_b32_e32 v35, v22, v16
	v_mov_b32_e32 v34, v17
.LBB194_198:                            ;   in Loop: Header=BB194_123 Depth=1
	s_or_b64 exec, exec, s[24:25]
.LBB194_199:                            ;   in Loop: Header=BB194_123 Depth=1
	s_or_b64 exec, exec, s[22:23]
.LBB194_200:                            ;   in Loop: Header=BB194_123 Depth=1
	s_or_b64 exec, exec, s[20:21]
	v_or_b32_e32 v23, v31, v29
	v_or_b32_e32 v22, v30, v28
	;; [unrolled: 1-line block ×4, first 2 shown]
	v_pk_mul_f32 v[22:23], s[18:19], v[22:23]
	v_pk_mul_f32 v[28:29], s[18:19], v[28:29]
	s_and_saveexec_b64 s[0:1], vcc
	s_cbranch_execz .LBB194_121
; %bb.201:                              ;   in Loop: Header=BB194_123 Depth=1
	v_cmp_gt_i32_e32 vcc, s33, v44
	v_cndmask_b32_e32 v22, 0, v22, vcc
	v_cmp_gt_i32_e32 vcc, s33, v47
	v_cndmask_b32_e32 v23, 0, v23, vcc
	;; [unrolled: 2-line block ×4, first 2 shown]
	s_branch .LBB194_121
.LBB194_202:
	s_or_b64 exec, exec, s[12:13]
.LBB194_203:
	s_or_b64 exec, exec, s[10:11]
	ds_bpermute_b32 v2, v37, v6
	ds_bpermute_b32 v3, v37, v7
	;; [unrolled: 1-line block ×3, first 2 shown]
	v_and_b32_e32 v5, 0x3c1, v0
	v_cmp_eq_u32_e32 vcc, 64, v5
	s_waitcnt lgkmcnt(0)
	v_pk_add_f32 v[2:3], v[6:7], v[2:3]
	v_add_f32_e32 v4, v8, v4
	s_barrier
	s_and_saveexec_b64 s[0:1], vcc
	s_cbranch_execz .LBB194_205
; %bb.204:
	v_mov_b32_e32 v6, 0x190
	v_lshl_add_u32 v6, v9, 1, v6
	ds_write2_b32 v6, v2, v3 offset1:32
	ds_write_b32 v6, v4 offset:256
.LBB194_205:
	s_or_b64 exec, exec, s[0:1]
	v_cmp_gt_u32_e32 vcc, 64, v0
	s_waitcnt lgkmcnt(0)
	s_barrier
	s_and_saveexec_b64 s[0:1], vcc
	s_cbranch_execz .LBB194_211
; %bb.206:
	v_cmp_eq_u32_e32 vcc, 0, v38
	s_and_saveexec_b64 s[4:5], vcc
	s_cbranch_execnz .LBB194_214
; %bb.207:
	s_or_b64 exec, exec, s[4:5]
	s_and_saveexec_b64 s[4:5], vcc
	s_cbranch_execnz .LBB194_215
.LBB194_208:
	s_or_b64 exec, exec, s[4:5]
	s_and_saveexec_b64 s[4:5], vcc
	s_cbranch_execz .LBB194_210
.LBB194_209:
	v_mov_b32_e32 v6, 0x190
	v_lshl_add_u32 v1, v1, 2, v6
	ds_read_b32 v1, v1 offset:256
	s_waitcnt lgkmcnt(0)
	v_add_f32_e32 v4, v4, v1
.LBB194_210:
	s_or_b64 exec, exec, s[4:5]
.LBB194_211:
	s_or_b64 exec, exec, s[0:1]
	v_cmp_eq_u32_e32 vcc, 0, v5
	s_barrier
	s_and_saveexec_b64 s[0:1], vcc
	s_cbranch_execz .LBB194_213
; %bb.212:
	s_mul_i32 s0, s2, 0x60
	s_ashr_i32 s1, s0, 31
	s_lshl_b64 s[0:1], s[0:1], 2
	s_add_u32 s2, s30, s0
	s_mul_i32 s0, s29, s28
	s_addc_u32 s3, s31, s1
	s_ashr_i32 s1, s0, 31
	s_lshl_b64 s[0:1], s[0:1], 2
	s_add_u32 s2, s2, s0
	s_mul_i32 s0, s8, 0x60
	s_addc_u32 s3, s3, s1
	s_ashr_i32 s1, s0, 31
	s_lshl_b64 s[0:1], s[0:1], 2
	s_add_u32 s0, s2, s0
	s_addc_u32 s1, s3, s1
	v_lshlrev_b32_e32 v0, 1, v0
	global_store_dword v0, v2, s[0:1]
	global_store_dword v0, v3, s[0:1] offset:128
	global_store_dword v0, v4, s[0:1] offset:256
.LBB194_213:
	s_endpgm
.LBB194_214:
	v_mov_b32_e32 v6, 0x190
	v_lshl_add_u32 v6, v1, 2, v6
	ds_read_b32 v6, v6
	s_waitcnt lgkmcnt(0)
	v_add_f32_e32 v2, v2, v6
	s_or_b64 exec, exec, s[4:5]
	s_and_saveexec_b64 s[4:5], vcc
	s_cbranch_execz .LBB194_208
.LBB194_215:
	v_mov_b32_e32 v6, 0x190
	v_lshl_add_u32 v6, v1, 2, v6
	ds_read_b32 v6, v6 offset:128
	s_waitcnt lgkmcnt(0)
	v_add_f32_e32 v3, v3, v6
	s_or_b64 exec, exec, s[4:5]
	s_and_saveexec_b64 s[4:5], vcc
	s_cbranch_execnz .LBB194_209
	s_branch .LBB194_210
	.section	.rodata,"a",@progbits
	.p2align	6, 0x0
	.amdhsa_kernel _ZN4vllm25paged_attention_v2_kernelIfhLi96ELi8ELi128ELNS_18Fp8KVCacheDataTypeE1ELb1ELi512EEEvPfS2_PT_PKS3_PKT0_S9_ifPKiSB_iPKfiiiSD_SD_iiiii
		.amdhsa_group_segment_fixed_size 400
		.amdhsa_private_segment_fixed_size 0
		.amdhsa_kernarg_size 400
		.amdhsa_user_sgpr_count 6
		.amdhsa_user_sgpr_private_segment_buffer 1
		.amdhsa_user_sgpr_dispatch_ptr 0
		.amdhsa_user_sgpr_queue_ptr 0
		.amdhsa_user_sgpr_kernarg_segment_ptr 1
		.amdhsa_user_sgpr_dispatch_id 0
		.amdhsa_user_sgpr_flat_scratch_init 0
		.amdhsa_user_sgpr_kernarg_preload_length 0
		.amdhsa_user_sgpr_kernarg_preload_offset 0
		.amdhsa_user_sgpr_private_segment_size 0
		.amdhsa_uses_dynamic_stack 0
		.amdhsa_system_sgpr_private_segment_wavefront_offset 0
		.amdhsa_system_sgpr_workgroup_id_x 1
		.amdhsa_system_sgpr_workgroup_id_y 1
		.amdhsa_system_sgpr_workgroup_id_z 1
		.amdhsa_system_sgpr_workgroup_info 0
		.amdhsa_system_vgpr_workitem_id 0
		.amdhsa_next_free_vgpr 57
		.amdhsa_next_free_sgpr 63
		.amdhsa_accum_offset 60
		.amdhsa_reserve_vcc 1
		.amdhsa_reserve_flat_scratch 0
		.amdhsa_float_round_mode_32 0
		.amdhsa_float_round_mode_16_64 0
		.amdhsa_float_denorm_mode_32 3
		.amdhsa_float_denorm_mode_16_64 3
		.amdhsa_dx10_clamp 1
		.amdhsa_ieee_mode 1
		.amdhsa_fp16_overflow 0
		.amdhsa_tg_split 0
		.amdhsa_exception_fp_ieee_invalid_op 0
		.amdhsa_exception_fp_denorm_src 0
		.amdhsa_exception_fp_ieee_div_zero 0
		.amdhsa_exception_fp_ieee_overflow 0
		.amdhsa_exception_fp_ieee_underflow 0
		.amdhsa_exception_fp_ieee_inexact 0
		.amdhsa_exception_int_div_zero 0
	.end_amdhsa_kernel
	.section	.text._ZN4vllm25paged_attention_v2_kernelIfhLi96ELi8ELi128ELNS_18Fp8KVCacheDataTypeE1ELb1ELi512EEEvPfS2_PT_PKS3_PKT0_S9_ifPKiSB_iPKfiiiSD_SD_iiiii,"axG",@progbits,_ZN4vllm25paged_attention_v2_kernelIfhLi96ELi8ELi128ELNS_18Fp8KVCacheDataTypeE1ELb1ELi512EEEvPfS2_PT_PKS3_PKT0_S9_ifPKiSB_iPKfiiiSD_SD_iiiii,comdat
.Lfunc_end194:
	.size	_ZN4vllm25paged_attention_v2_kernelIfhLi96ELi8ELi128ELNS_18Fp8KVCacheDataTypeE1ELb1ELi512EEEvPfS2_PT_PKS3_PKT0_S9_ifPKiSB_iPKfiiiSD_SD_iiiii, .Lfunc_end194-_ZN4vllm25paged_attention_v2_kernelIfhLi96ELi8ELi128ELNS_18Fp8KVCacheDataTypeE1ELb1ELi512EEEvPfS2_PT_PKS3_PKT0_S9_ifPKiSB_iPKfiiiSD_SD_iiiii
                                        ; -- End function
	.section	.AMDGPU.csdata,"",@progbits
; Kernel info:
; codeLenInByte = 9156
; NumSgprs: 67
; NumVgprs: 57
; NumAgprs: 0
; TotalNumVgprs: 57
; ScratchSize: 0
; MemoryBound: 0
; FloatMode: 240
; IeeeMode: 1
; LDSByteSize: 400 bytes/workgroup (compile time only)
; SGPRBlocks: 8
; VGPRBlocks: 7
; NumSGPRsForWavesPerEU: 67
; NumVGPRsForWavesPerEU: 57
; AccumOffset: 60
; Occupancy: 8
; WaveLimiterHint : 1
; COMPUTE_PGM_RSRC2:SCRATCH_EN: 0
; COMPUTE_PGM_RSRC2:USER_SGPR: 6
; COMPUTE_PGM_RSRC2:TRAP_HANDLER: 0
; COMPUTE_PGM_RSRC2:TGID_X_EN: 1
; COMPUTE_PGM_RSRC2:TGID_Y_EN: 1
; COMPUTE_PGM_RSRC2:TGID_Z_EN: 1
; COMPUTE_PGM_RSRC2:TIDIG_COMP_CNT: 0
; COMPUTE_PGM_RSRC3_GFX90A:ACCUM_OFFSET: 14
; COMPUTE_PGM_RSRC3_GFX90A:TG_SPLIT: 0
	.section	.text._ZN4vllm25paged_attention_v2_kernelIfhLi112ELi8ELi128ELNS_18Fp8KVCacheDataTypeE1ELb1ELi512EEEvPfS2_PT_PKS3_PKT0_S9_ifPKiSB_iPKfiiiSD_SD_iiiii,"axG",@progbits,_ZN4vllm25paged_attention_v2_kernelIfhLi112ELi8ELi128ELNS_18Fp8KVCacheDataTypeE1ELb1ELi512EEEvPfS2_PT_PKS3_PKT0_S9_ifPKiSB_iPKfiiiSD_SD_iiiii,comdat
	.protected	_ZN4vllm25paged_attention_v2_kernelIfhLi112ELi8ELi128ELNS_18Fp8KVCacheDataTypeE1ELb1ELi512EEEvPfS2_PT_PKS3_PKT0_S9_ifPKiSB_iPKfiiiSD_SD_iiiii ; -- Begin function _ZN4vllm25paged_attention_v2_kernelIfhLi112ELi8ELi128ELNS_18Fp8KVCacheDataTypeE1ELb1ELi512EEEvPfS2_PT_PKS3_PKT0_S9_ifPKiSB_iPKfiiiSD_SD_iiiii
	.globl	_ZN4vllm25paged_attention_v2_kernelIfhLi112ELi8ELi128ELNS_18Fp8KVCacheDataTypeE1ELb1ELi512EEEvPfS2_PT_PKS3_PKT0_S9_ifPKiSB_iPKfiiiSD_SD_iiiii
	.p2align	8
	.type	_ZN4vllm25paged_attention_v2_kernelIfhLi112ELi8ELi128ELNS_18Fp8KVCacheDataTypeE1ELb1ELi512EEEvPfS2_PT_PKS3_PKT0_S9_ifPKiSB_iPKfiiiSD_SD_iiiii,@function
_ZN4vllm25paged_attention_v2_kernelIfhLi112ELi8ELi128ELNS_18Fp8KVCacheDataTypeE1ELb1ELi512EEEvPfS2_PT_PKS3_PKT0_S9_ifPKiSB_iPKfiiiSD_SD_iiiii: ; @_ZN4vllm25paged_attention_v2_kernelIfhLi112ELi8ELi128ELNS_18Fp8KVCacheDataTypeE1ELb1ELi512EEEvPfS2_PT_PKS3_PKT0_S9_ifPKiSB_iPKfiiiSD_SD_iiiii
; %bb.0:
	s_load_dwordx2 s[0:1], s[4:5], 0x40
	s_mov_b32 s34, s7
	s_ashr_i32 s35, s7, 31
	s_lshl_b64 s[2:3], s[34:35], 2
	s_waitcnt lgkmcnt(0)
	s_add_u32 s0, s0, s2
	s_addc_u32 s1, s1, s3
	s_load_dword s33, s[0:1], 0x0
	s_lshl_b32 s35, s8, 9
	s_waitcnt lgkmcnt(0)
	s_cmp_ge_i32 s35, s33
	s_cbranch_scc1 .LBB195_261
; %bb.1:
	s_load_dword s9, s[4:5], 0x90
	s_load_dwordx2 s[42:43], s[4:5], 0x30
	s_mov_b32 s56, 0
	s_waitcnt lgkmcnt(0)
	s_abs_i32 s2, s9
	s_abs_i32 s0, s42
	v_cvt_f32_u32_e32 v1, s0
	s_sub_i32 s3, 0, s0
	s_xor_b32 s1, s9, s42
	s_ashr_i32 s1, s1, 31
	v_rcp_iflag_f32_e32 v1, v1
	v_mul_f32_e32 v1, 0x4f7ffffe, v1
	v_cvt_u32_f32_e32 v1, v1
	v_readfirstlane_b32 s7, v1
	s_mul_i32 s3, s3, s7
	s_mul_hi_u32 s3, s7, s3
	s_add_i32 s7, s7, s3
	s_mul_hi_u32 s3, s2, s7
	s_mul_i32 s7, s3, s0
	s_sub_i32 s2, s2, s7
	s_add_i32 s10, s3, 1
	s_sub_i32 s7, s2, s0
	s_cmp_ge_u32 s2, s0
	s_cselect_b32 s3, s10, s3
	s_cselect_b32 s2, s7, s2
	s_add_i32 s7, s3, 1
	s_cmp_ge_u32 s2, s0
	s_cselect_b32 s0, s7, s3
	s_xor_b32 s0, s0, s1
	s_sub_i32 s11, s0, s1
	s_abs_i32 s2, s11
	v_cvt_f32_u32_e32 v1, s2
	s_load_dwordx2 s[0:1], s[4:5], 0x50
	s_sub_i32 s7, 0, s2
	s_abs_i32 s3, s6
	v_rcp_iflag_f32_e32 v1, v1
	v_mul_f32_e32 v1, 0x4f7ffffe, v1
	v_cvt_u32_f32_e32 v1, v1
	v_readfirstlane_b32 s10, v1
	s_mul_i32 s7, s7, s10
	s_mul_hi_u32 s7, s10, s7
	s_add_i32 s10, s10, s7
	s_waitcnt lgkmcnt(0)
	s_cmp_eq_u64 s[0:1], 0
	s_mul_hi_u32 s10, s3, s10
	s_cbranch_scc1 .LBB195_3
; %bb.2:
	s_ashr_i32 s7, s6, 31
	s_lshl_b64 s[12:13], s[6:7], 2
	s_add_u32 s0, s0, s12
	s_addc_u32 s1, s1, s13
	s_load_dword s56, s[0:1], 0x0
.LBB195_3:
	s_load_dwordx4 s[16:19], s[4:5], 0x58
	s_movk_i32 s0, 0x70
	s_ashr_i32 s7, s6, 31
	s_ashr_i32 s11, s11, 31
	v_and_b32_e32 v16, 7, v0
	s_mul_i32 s28, s6, 0x70
	v_cmp_gt_u32_e32 vcc, s0, v0
	v_lshlrev_b32_e32 v27, 2, v0
	v_lshrrev_b32_e32 v1, 1, v0
	s_and_saveexec_b64 s[0:1], vcc
	s_cbranch_execz .LBB195_5
; %bb.4:
	s_load_dwordx2 s[12:13], s[4:5], 0x18
	s_waitcnt lgkmcnt(0)
	s_mul_i32 s14, s34, s16
	s_ashr_i32 s15, s14, 31
	s_lshl_b64 s[14:15], s[14:15], 2
	v_and_b32_e32 v3, 0x1fc, v1
	s_add_u32 s14, s12, s14
	s_addc_u32 s15, s13, s15
	s_ashr_i32 s29, s28, 31
	s_lshl_b64 s[12:13], s[28:29], 2
	s_add_u32 s12, s14, s12
	s_addc_u32 s13, s15, s13
	global_load_dword v2, v27, s[12:13]
	v_mad_u32_u24 v3, v16, 56, v3
	s_waitcnt vmcnt(0)
	ds_write_b32 v3, v2
.LBB195_5:
	s_or_b64 exec, exec, s[0:1]
	s_mul_i32 s1, s10, s2
	s_sub_i32 s1, s3, s1
	s_xor_b32 s0, s7, s11
	s_add_i32 s3, s10, 1
	s_sub_i32 s7, s1, s2
	s_load_dwordx4 s[20:23], s[4:5], 0x78
	s_cmp_ge_u32 s1, s2
	s_cselect_b32 s3, s3, s10
	s_load_dword s10, s[4:5], 0x88
	s_cselect_b32 s1, s7, s1
	s_add_i32 s7, s3, 1
	s_cmp_ge_u32 s1, s2
	s_cselect_b32 s1, s7, s3
	s_waitcnt lgkmcnt(0)
	s_abs_i32 s52, s23
	v_cvt_f32_u32_e32 v2, s52
	s_xor_b32 s1, s1, s0
	s_sub_i32 s2, s1, s0
	s_sub_i32 s0, 0, s52
	v_rcp_iflag_f32_e32 v2, v2
	s_add_i32 s11, s33, -1
	s_abs_i32 s3, s11
	v_mul_f32_e32 v2, 0x4f7ffffe, v2
	v_cvt_u32_f32_e32 v2, v2
	s_barrier
	v_readfirstlane_b32 s53, v2
	s_mul_i32 s0, s0, s53
	s_mul_hi_u32 s0, s53, s0
	s_add_i32 s53, s53, s0
	s_cmp_lt_i32 s10, 0
	s_mul_hi_u32 s7, s3, s53
	s_cbranch_scc0 .LBB195_7
; %bb.6:
	s_mul_i32 s0, s20, s42
	s_add_i32 s0, s2, s0
	s_mul_i32 s0, s0, s10
	s_sub_i32 s42, 1, s0
	s_mov_b64 s[0:1], 0
	s_branch .LBB195_8
.LBB195_7:
	s_mov_b64 s[0:1], -1
                                        ; implicit-def: $sgpr42
.LBB195_8:
	s_load_dwordx2 s[36:37], s[4:5], 0x38
	s_ashr_i32 s11, s11, 31
	s_andn2_b64 vcc, exec, s[0:1]
	s_ashr_i32 s54, s23, 31
	s_cbranch_vccnz .LBB195_10
; %bb.9:
	s_mul_i32 s0, s9, s20
	s_add_i32 s0, s0, s6
	s_mul_i32 s0, s0, s10
	s_add_i32 s42, s0, 1
.LBB195_10:
	s_load_dwordx2 s[40:41], s[4:5], 0x28
	s_load_dword s0, s[4:5], 0x48
	s_load_dwordx4 s[24:27], s[4:5], 0x0
	s_load_dwordx2 s[30:31], s[4:5], 0x10
	s_load_dword s29, s[4:5], 0x98
	s_load_dwordx4 s[12:15], s[4:5], 0x68
	s_mul_i32 s1, s7, s52
	s_waitcnt lgkmcnt(0)
	s_mul_i32 s38, s34, s0
	s_sub_i32 s1, s3, s1
	s_ashr_i32 s39, s38, 31
	s_xor_b32 s0, s11, s54
	s_add_i32 s3, s7, 1
	s_sub_i32 s10, s1, s52
	s_cmp_ge_u32 s1, s52
	s_cselect_b32 s3, s3, s7
	s_cselect_b32 s1, s10, s1
	s_add_i32 s7, s3, 1
	s_cmp_ge_u32 s1, s52
	s_cselect_b32 s1, s7, s3
	s_xor_b32 s1, s1, s0
	s_sub_i32 s16, s1, s0
	s_add_i32 s0, s33, 7
	s_ashr_i32 s1, s0, 31
	s_lshr_b32 s1, s1, 29
	s_add_i32 s0, s0, s1
	s_lshl_b32 s23, s8, 6
	s_ashr_i32 s7, s0, 3
	s_add_i32 s0, s23, 64
	v_lshrrev_b32_e32 v28, 6, v0
	s_min_i32 s55, s0, s7
	v_or_b32_e32 v14, s23, v28
	v_cmp_gt_i32_e64 s[0:1], s55, v14
	v_mov_b32_e32 v32, 0xff7fffff
	s_mul_i32 s20, s2, s18
	v_ashrrev_i32_e32 v15, 31, v14
	v_lshl_add_u32 v17, v28, 3, s35
	v_mbcnt_lo_u32_b32 v29, -1, 0
	s_and_saveexec_b64 s[18:19], s[0:1]
	s_cbranch_execz .LBB195_104
; %bb.11:
	s_load_dwordx2 s[2:3], s[4:5], 0x20
	s_sub_i32 s57, s16, s21
	s_ashr_i32 s4, s20, 31
	v_bfe_u32 v30, v0, 3, 3
	v_lshlrev_b32_e32 v3, 4, v30
	s_waitcnt lgkmcnt(0)
	s_add_u32 s2, s2, s20
	s_addc_u32 s3, s3, s4
	s_abs_i32 s58, s22
	v_cvt_f32_u32_e32 v2, s58
	s_sub_i32 s4, 0, s58
	v_mov_b32_e32 v4, s3
	v_add_co_u32_e64 v18, s[2:3], s2, v3
	v_rcp_iflag_f32_e32 v2, v2
	v_addc_co_u32_e64 v19, s[2:3], 0, v4, s[2:3]
	v_cmp_eq_u32_e32 vcc, 0, v16
	v_mul_f32_e32 v2, 0x4f7ffffe, v2
	v_cvt_u32_f32_e32 v2, v2
	s_mov_b32 s59, s17
	v_mul_u32_u24_e32 v31, 56, v16
	v_cmp_neq_f32_e64 s[2:3], s56, 0
	v_mul_lo_u32 v3, s4, v2
	s_lshl_b64 s[4:5], s[38:39], 2
	v_mul_hi_u32 v3, v2, v3
	s_add_u32 s4, s36, s4
	v_add_u32_e32 v33, v2, v3
	v_lshlrev_b64 v[2:3], 2, v[14:15]
	s_addc_u32 s5, s37, s5
	v_mov_b32_e32 v4, s5
	v_add_co_u32_e64 v20, s[4:5], s4, v2
	v_lshlrev_b32_e32 v2, 2, v30
	v_lshl_or_b32 v2, v28, 5, v2
	v_add_u32_e32 v35, 0x1d0, v2
	v_subrev_u32_e32 v2, s33, v30
	v_addc_co_u32_e64 v21, s[4:5], v4, v3, s[4:5]
	v_lshl_add_u32 v34, v28, 3, s35
	v_add_u32_e32 v36, 1, v2
	s_mov_b64 s[44:45], 0
	v_mov_b32_e32 v37, 0xff7fffff
	s_movk_i32 s60, 0x80
	s_movk_i32 s61, 0x7f
	v_bfrev_b32_e32 v38, 60
	v_mbcnt_hi_u32_b32 v39, -1, v29
	v_mov_b32_e32 v32, 0xff7fffff
	v_mov_b32_e32 v40, v14
	s_branch .LBB195_14
.LBB195_12:                             ;   in Loop: Header=BB195_14 Depth=1
	s_or_b64 exec, exec, s[46:47]
.LBB195_13:                             ;   in Loop: Header=BB195_14 Depth=1
	s_or_b64 exec, exec, s[10:11]
	v_add_co_u32_e64 v20, s[4:5], 8, v20
	v_add_u32_e32 v40, 2, v40
	v_addc_co_u32_e64 v21, s[4:5], 0, v21, s[4:5]
	v_cmp_le_i32_e64 s[4:5], s55, v40
	v_add_u32_e32 v34, 16, v34
	s_or_b64 s[44:45], s[4:5], s[44:45]
	v_add_u32_e32 v35, 64, v35
	s_andn2_b64 exec, exec, s[44:45]
	s_cbranch_execz .LBB195_103
.LBB195_14:                             ; =>This Inner Loop Header: Depth=1
	s_waitcnt lgkmcnt(0)
	v_sub_u32_e32 v3, 0, v34
	v_max_i32_e32 v3, v34, v3
	v_mul_hi_u32 v4, v3, s53
	v_mul_lo_u32 v5, v4, s52
	v_sub_u32_e32 v3, v3, v5
	v_add_u32_e32 v5, 1, v4
	v_cmp_le_u32_e64 s[4:5], s52, v3
	v_cndmask_b32_e64 v4, v4, v5, s[4:5]
	v_subrev_u32_e32 v5, s52, v3
	v_cndmask_b32_e64 v3, v3, v5, s[4:5]
	v_ashrrev_i32_e32 v2, 31, v34
	v_add_u32_e32 v5, 1, v4
	v_cmp_le_u32_e64 s[4:5], s52, v3
	v_xor_b32_e32 v2, s54, v2
	v_cndmask_b32_e64 v3, v4, v5, s[4:5]
	v_xor_b32_e32 v3, v3, v2
	v_sub_u32_e32 v2, v3, v2
	v_add_u32_e32 v3, s42, v2
	v_sub_u32_e32 v5, 0, v3
	v_ashrrev_i32_e32 v4, 31, v3
	v_max_i32_e32 v3, v3, v5
	v_mul_hi_u32 v5, v3, v33
	v_mul_lo_u32 v5, v5, s58
	v_sub_u32_e32 v3, v3, v5
	v_subrev_u32_e32 v5, s58, v3
	v_cmp_le_u32_e64 s[4:5], s58, v3
	v_cndmask_b32_e64 v3, v3, v5, s[4:5]
	v_subrev_u32_e32 v5, s58, v3
	v_cmp_le_u32_e64 s[4:5], s58, v3
	v_cndmask_b32_e64 v3, v3, v5, s[4:5]
	v_xor_b32_e32 v3, v3, v4
	v_sub_u32_e32 v3, v3, v4
	v_cmp_ne_u32_e64 s[4:5], 0, v3
	v_cmp_ge_i32_e64 s[10:11], s57, v2
	s_and_b64 s[4:5], s[4:5], s[10:11]
	s_and_b64 s[46:47], vcc, s[4:5]
	s_and_saveexec_b64 s[10:11], s[46:47]
	s_cbranch_execz .LBB195_16
; %bb.15:                               ;   in Loop: Header=BB195_14 Depth=1
	ds_write_b32 v35, v37
.LBB195_16:                             ;   in Loop: Header=BB195_14 Depth=1
	s_or_b64 exec, exec, s[10:11]
	s_xor_b64 s[4:5], s[4:5], -1
	s_and_saveexec_b64 s[10:11], s[4:5]
	s_cbranch_execz .LBB195_13
; %bb.17:                               ;   in Loop: Header=BB195_14 Depth=1
	global_load_dword v2, v[20:21], off
	v_mov_b32_e32 v41, 0
	v_mov_b32_e32 v42, 0
	s_waitcnt vmcnt(0)
	v_mad_i64_i32 v[2:3], s[4:5], v2, s59, v[18:19]
	v_add_co_u32_e64 v24, s[4:5], v2, v16
	v_addc_co_u32_e64 v25, s[4:5], 0, v3, s[4:5]
	global_load_ubyte v43, v[24:25], off
	ds_read2_b64 v[10:13], v31 offset1:1
	ds_read2_b64 v[6:9], v31 offset0:2 offset1:3
	ds_read2_b64 v[2:5], v31 offset0:4 offset1:5
	ds_read_b64 v[22:23], v31 offset:48
	s_load_dword s62, s[12:13], 0x0
	s_waitcnt vmcnt(0)
	v_cmp_ne_u16_e64 s[4:5], 0, v43
	s_and_saveexec_b64 s[46:47], s[4:5]
	s_cbranch_execz .LBB195_23
; %bb.18:                               ;   in Loop: Header=BB195_14 Depth=1
	v_cmp_ne_u16_e64 s[4:5], s60, v43
	v_bfrev_b32_e32 v42, 1
	s_and_saveexec_b64 s[48:49], s[4:5]
	s_cbranch_execz .LBB195_22
; %bb.19:                               ;   in Loop: Header=BB195_14 Depth=1
	v_and_b32_e32 v26, 0xffff, v43
	v_and_b32_e32 v44, 0x7f, v26
	v_cmp_ne_u32_e64 s[4:5], s61, v44
	v_mov_b32_e32 v42, 0x7f800001
	s_and_saveexec_b64 s[50:51], s[4:5]
	s_cbranch_execz .LBB195_21
; %bb.20:                               ;   in Loop: Header=BB195_14 Depth=1
	v_and_b32_e32 v42, 7, v26
	v_ffbh_u32_e32 v46, v42
	v_min_u32_e32 v48, 32, v46
	v_subrev_u32_e32 v46, 28, v48
	v_lshlrev_b64 v[46:47], v46, v[26:27]
	v_lshrrev_b32_e32 v45, 3, v44
	v_sub_u32_e32 v26, 29, v48
	v_and_b32_e32 v46, 7, v46
	v_cmp_gt_u32_e64 s[4:5], 8, v44
	v_cndmask_b32_e64 v26, v45, v26, s[4:5]
	v_cndmask_b32_e64 v42, v42, v46, s[4:5]
	v_lshlrev_b32_e32 v43, 24, v43
	v_lshlrev_b32_e32 v42, 20, v42
	v_and_b32_e32 v43, 0x80000000, v43
	v_lshl_add_u32 v26, v26, 23, v38
	v_or3_b32 v42, v43, v26, v42
.LBB195_21:                             ;   in Loop: Header=BB195_14 Depth=1
	s_or_b64 exec, exec, s[50:51]
.LBB195_22:                             ;   in Loop: Header=BB195_14 Depth=1
	s_or_b64 exec, exec, s[48:49]
.LBB195_23:                             ;   in Loop: Header=BB195_14 Depth=1
	s_or_b64 exec, exec, s[46:47]
	global_load_ubyte v43, v[24:25], off offset:8
	s_waitcnt vmcnt(0)
	v_cmp_ne_u16_e64 s[4:5], 0, v43
	s_and_saveexec_b64 s[46:47], s[4:5]
	s_cbranch_execz .LBB195_29
; %bb.24:                               ;   in Loop: Header=BB195_14 Depth=1
	v_cmp_ne_u16_e64 s[4:5], s60, v43
	v_bfrev_b32_e32 v41, 1
	s_and_saveexec_b64 s[48:49], s[4:5]
	s_cbranch_execz .LBB195_28
; %bb.25:                               ;   in Loop: Header=BB195_14 Depth=1
	v_and_b32_e32 v26, 0xffff, v43
	v_and_b32_e32 v44, 0x7f, v26
	v_cmp_ne_u32_e64 s[4:5], s61, v44
	v_mov_b32_e32 v41, 0x7f800001
	s_and_saveexec_b64 s[50:51], s[4:5]
	s_cbranch_execz .LBB195_27
; %bb.26:                               ;   in Loop: Header=BB195_14 Depth=1
	v_and_b32_e32 v41, 7, v26
	v_ffbh_u32_e32 v46, v41
	v_min_u32_e32 v48, 32, v46
	v_subrev_u32_e32 v46, 28, v48
	v_lshlrev_b64 v[46:47], v46, v[26:27]
	v_lshrrev_b32_e32 v45, 3, v44
	v_sub_u32_e32 v26, 29, v48
	v_and_b32_e32 v46, 7, v46
	v_cmp_gt_u32_e64 s[4:5], 8, v44
	v_cndmask_b32_e64 v26, v45, v26, s[4:5]
	v_cndmask_b32_e64 v41, v41, v46, s[4:5]
	v_lshlrev_b32_e32 v43, 24, v43
	v_lshlrev_b32_e32 v41, 20, v41
	v_and_b32_e32 v43, 0x80000000, v43
	v_lshl_add_u32 v26, v26, 23, v38
	v_or3_b32 v41, v43, v26, v41
.LBB195_27:                             ;   in Loop: Header=BB195_14 Depth=1
	s_or_b64 exec, exec, s[50:51]
.LBB195_28:                             ;   in Loop: Header=BB195_14 Depth=1
	s_or_b64 exec, exec, s[48:49]
.LBB195_29:                             ;   in Loop: Header=BB195_14 Depth=1
	s_or_b64 exec, exec, s[46:47]
	global_load_ubyte v45, v[24:25], off offset:128
	v_mov_b32_e32 v43, 0
	v_mov_b32_e32 v44, 0
	s_waitcnt vmcnt(0)
	v_cmp_ne_u16_e64 s[4:5], 0, v45
	s_and_saveexec_b64 s[46:47], s[4:5]
	s_cbranch_execz .LBB195_35
; %bb.30:                               ;   in Loop: Header=BB195_14 Depth=1
	v_cmp_ne_u16_e64 s[4:5], s60, v45
	v_bfrev_b32_e32 v44, 1
	s_and_saveexec_b64 s[48:49], s[4:5]
	s_cbranch_execz .LBB195_34
; %bb.31:                               ;   in Loop: Header=BB195_14 Depth=1
	v_and_b32_e32 v26, 0xffff, v45
	v_and_b32_e32 v46, 0x7f, v26
	v_cmp_ne_u32_e64 s[4:5], s61, v46
	v_mov_b32_e32 v44, 0x7f800001
	s_and_saveexec_b64 s[50:51], s[4:5]
	s_cbranch_execz .LBB195_33
; %bb.32:                               ;   in Loop: Header=BB195_14 Depth=1
	v_and_b32_e32 v44, 7, v26
	v_ffbh_u32_e32 v48, v44
	v_min_u32_e32 v50, 32, v48
	v_subrev_u32_e32 v48, 28, v50
	v_lshlrev_b64 v[48:49], v48, v[26:27]
	v_lshrrev_b32_e32 v47, 3, v46
	v_sub_u32_e32 v26, 29, v50
	v_and_b32_e32 v48, 7, v48
	v_cmp_gt_u32_e64 s[4:5], 8, v46
	v_cndmask_b32_e64 v26, v47, v26, s[4:5]
	v_cndmask_b32_e64 v44, v44, v48, s[4:5]
	v_lshlrev_b32_e32 v45, 24, v45
	v_lshlrev_b32_e32 v44, 20, v44
	v_and_b32_e32 v45, 0x80000000, v45
	v_lshl_add_u32 v26, v26, 23, v38
	v_or3_b32 v44, v45, v26, v44
.LBB195_33:                             ;   in Loop: Header=BB195_14 Depth=1
	s_or_b64 exec, exec, s[50:51]
.LBB195_34:                             ;   in Loop: Header=BB195_14 Depth=1
	s_or_b64 exec, exec, s[48:49]
.LBB195_35:                             ;   in Loop: Header=BB195_14 Depth=1
	s_or_b64 exec, exec, s[46:47]
	global_load_ubyte v45, v[24:25], off offset:136
	s_waitcnt vmcnt(0)
	v_cmp_ne_u16_e64 s[4:5], 0, v45
	s_and_saveexec_b64 s[46:47], s[4:5]
	s_cbranch_execz .LBB195_41
; %bb.36:                               ;   in Loop: Header=BB195_14 Depth=1
	v_cmp_ne_u16_e64 s[4:5], s60, v45
	v_bfrev_b32_e32 v43, 1
	s_and_saveexec_b64 s[48:49], s[4:5]
	s_cbranch_execz .LBB195_40
; %bb.37:                               ;   in Loop: Header=BB195_14 Depth=1
	v_and_b32_e32 v26, 0xffff, v45
	v_and_b32_e32 v46, 0x7f, v26
	v_cmp_ne_u32_e64 s[4:5], s61, v46
	v_mov_b32_e32 v43, 0x7f800001
	s_and_saveexec_b64 s[50:51], s[4:5]
	s_cbranch_execz .LBB195_39
; %bb.38:                               ;   in Loop: Header=BB195_14 Depth=1
	v_and_b32_e32 v43, 7, v26
	v_ffbh_u32_e32 v48, v43
	v_min_u32_e32 v50, 32, v48
	v_subrev_u32_e32 v48, 28, v50
	v_lshlrev_b64 v[48:49], v48, v[26:27]
	v_lshrrev_b32_e32 v47, 3, v46
	v_sub_u32_e32 v26, 29, v50
	v_and_b32_e32 v48, 7, v48
	v_cmp_gt_u32_e64 s[4:5], 8, v46
	v_cndmask_b32_e64 v26, v47, v26, s[4:5]
	v_cndmask_b32_e64 v43, v43, v48, s[4:5]
	v_lshlrev_b32_e32 v45, 24, v45
	v_lshlrev_b32_e32 v43, 20, v43
	v_and_b32_e32 v45, 0x80000000, v45
	v_lshl_add_u32 v26, v26, 23, v38
	v_or3_b32 v43, v45, v26, v43
.LBB195_39:                             ;   in Loop: Header=BB195_14 Depth=1
	s_or_b64 exec, exec, s[50:51]
.LBB195_40:                             ;   in Loop: Header=BB195_14 Depth=1
	s_or_b64 exec, exec, s[48:49]
.LBB195_41:                             ;   in Loop: Header=BB195_14 Depth=1
	s_or_b64 exec, exec, s[46:47]
	global_load_ubyte v47, v[24:25], off offset:256
	v_mov_b32_e32 v45, 0
	v_mov_b32_e32 v46, 0
	s_waitcnt vmcnt(0)
	v_cmp_ne_u16_e64 s[4:5], 0, v47
	s_and_saveexec_b64 s[46:47], s[4:5]
	s_cbranch_execz .LBB195_47
; %bb.42:                               ;   in Loop: Header=BB195_14 Depth=1
	v_cmp_ne_u16_e64 s[4:5], s60, v47
	v_bfrev_b32_e32 v46, 1
	s_and_saveexec_b64 s[48:49], s[4:5]
	s_cbranch_execz .LBB195_46
; %bb.43:                               ;   in Loop: Header=BB195_14 Depth=1
	v_and_b32_e32 v26, 0xffff, v47
	v_and_b32_e32 v48, 0x7f, v26
	v_cmp_ne_u32_e64 s[4:5], s61, v48
	v_mov_b32_e32 v46, 0x7f800001
	s_and_saveexec_b64 s[50:51], s[4:5]
	s_cbranch_execz .LBB195_45
; %bb.44:                               ;   in Loop: Header=BB195_14 Depth=1
	v_and_b32_e32 v46, 7, v26
	v_ffbh_u32_e32 v50, v46
	v_min_u32_e32 v52, 32, v50
	v_subrev_u32_e32 v50, 28, v52
	v_lshlrev_b64 v[50:51], v50, v[26:27]
	v_lshrrev_b32_e32 v49, 3, v48
	v_sub_u32_e32 v26, 29, v52
	v_and_b32_e32 v50, 7, v50
	v_cmp_gt_u32_e64 s[4:5], 8, v48
	v_cndmask_b32_e64 v26, v49, v26, s[4:5]
	v_cndmask_b32_e64 v46, v46, v50, s[4:5]
	v_lshlrev_b32_e32 v47, 24, v47
	v_lshlrev_b32_e32 v46, 20, v46
	v_and_b32_e32 v47, 0x80000000, v47
	v_lshl_add_u32 v26, v26, 23, v38
	v_or3_b32 v46, v47, v26, v46
.LBB195_45:                             ;   in Loop: Header=BB195_14 Depth=1
	s_or_b64 exec, exec, s[50:51]
.LBB195_46:                             ;   in Loop: Header=BB195_14 Depth=1
	s_or_b64 exec, exec, s[48:49]
.LBB195_47:                             ;   in Loop: Header=BB195_14 Depth=1
	s_or_b64 exec, exec, s[46:47]
	global_load_ubyte v47, v[24:25], off offset:264
	s_waitcnt vmcnt(0)
	v_cmp_ne_u16_e64 s[4:5], 0, v47
	s_and_saveexec_b64 s[46:47], s[4:5]
	s_cbranch_execz .LBB195_53
; %bb.48:                               ;   in Loop: Header=BB195_14 Depth=1
	v_cmp_ne_u16_e64 s[4:5], s60, v47
	v_bfrev_b32_e32 v45, 1
	s_and_saveexec_b64 s[48:49], s[4:5]
	s_cbranch_execz .LBB195_52
; %bb.49:                               ;   in Loop: Header=BB195_14 Depth=1
	v_and_b32_e32 v26, 0xffff, v47
	v_and_b32_e32 v48, 0x7f, v26
	v_cmp_ne_u32_e64 s[4:5], s61, v48
	v_mov_b32_e32 v45, 0x7f800001
	s_and_saveexec_b64 s[50:51], s[4:5]
	s_cbranch_execz .LBB195_51
; %bb.50:                               ;   in Loop: Header=BB195_14 Depth=1
	v_and_b32_e32 v45, 7, v26
	v_ffbh_u32_e32 v50, v45
	v_min_u32_e32 v52, 32, v50
	v_subrev_u32_e32 v50, 28, v52
	v_lshlrev_b64 v[50:51], v50, v[26:27]
	v_lshrrev_b32_e32 v49, 3, v48
	v_sub_u32_e32 v26, 29, v52
	v_and_b32_e32 v50, 7, v50
	v_cmp_gt_u32_e64 s[4:5], 8, v48
	v_cndmask_b32_e64 v26, v49, v26, s[4:5]
	v_cndmask_b32_e64 v45, v45, v50, s[4:5]
	v_lshlrev_b32_e32 v47, 24, v47
	v_lshlrev_b32_e32 v45, 20, v45
	v_and_b32_e32 v47, 0x80000000, v47
	v_lshl_add_u32 v26, v26, 23, v38
	v_or3_b32 v45, v47, v26, v45
.LBB195_51:                             ;   in Loop: Header=BB195_14 Depth=1
	s_or_b64 exec, exec, s[50:51]
.LBB195_52:                             ;   in Loop: Header=BB195_14 Depth=1
	s_or_b64 exec, exec, s[48:49]
.LBB195_53:                             ;   in Loop: Header=BB195_14 Depth=1
	s_or_b64 exec, exec, s[46:47]
	global_load_ubyte v49, v[24:25], off offset:384
	v_mov_b32_e32 v47, 0
	v_mov_b32_e32 v48, 0
	s_waitcnt vmcnt(0)
	v_cmp_ne_u16_e64 s[4:5], 0, v49
	s_and_saveexec_b64 s[46:47], s[4:5]
	s_cbranch_execz .LBB195_59
; %bb.54:                               ;   in Loop: Header=BB195_14 Depth=1
	v_cmp_ne_u16_e64 s[4:5], s60, v49
	v_bfrev_b32_e32 v48, 1
	s_and_saveexec_b64 s[48:49], s[4:5]
	s_cbranch_execz .LBB195_58
; %bb.55:                               ;   in Loop: Header=BB195_14 Depth=1
	v_and_b32_e32 v26, 0xffff, v49
	v_and_b32_e32 v50, 0x7f, v26
	v_cmp_ne_u32_e64 s[4:5], s61, v50
	v_mov_b32_e32 v48, 0x7f800001
	s_and_saveexec_b64 s[50:51], s[4:5]
	s_cbranch_execz .LBB195_57
; %bb.56:                               ;   in Loop: Header=BB195_14 Depth=1
	v_and_b32_e32 v48, 7, v26
	v_ffbh_u32_e32 v52, v48
	v_min_u32_e32 v54, 32, v52
	v_subrev_u32_e32 v52, 28, v54
	v_lshlrev_b64 v[52:53], v52, v[26:27]
	v_lshrrev_b32_e32 v51, 3, v50
	v_sub_u32_e32 v26, 29, v54
	v_and_b32_e32 v52, 7, v52
	v_cmp_gt_u32_e64 s[4:5], 8, v50
	v_cndmask_b32_e64 v26, v51, v26, s[4:5]
	v_cndmask_b32_e64 v48, v48, v52, s[4:5]
	v_lshlrev_b32_e32 v49, 24, v49
	v_lshlrev_b32_e32 v48, 20, v48
	v_and_b32_e32 v49, 0x80000000, v49
	v_lshl_add_u32 v26, v26, 23, v38
	v_or3_b32 v48, v49, v26, v48
.LBB195_57:                             ;   in Loop: Header=BB195_14 Depth=1
	s_or_b64 exec, exec, s[50:51]
.LBB195_58:                             ;   in Loop: Header=BB195_14 Depth=1
	s_or_b64 exec, exec, s[48:49]
.LBB195_59:                             ;   in Loop: Header=BB195_14 Depth=1
	s_or_b64 exec, exec, s[46:47]
	global_load_ubyte v49, v[24:25], off offset:392
	s_waitcnt vmcnt(0)
	v_cmp_ne_u16_e64 s[4:5], 0, v49
	s_and_saveexec_b64 s[46:47], s[4:5]
	s_cbranch_execz .LBB195_65
; %bb.60:                               ;   in Loop: Header=BB195_14 Depth=1
	v_cmp_ne_u16_e64 s[4:5], s60, v49
	v_bfrev_b32_e32 v47, 1
	s_and_saveexec_b64 s[48:49], s[4:5]
	s_cbranch_execz .LBB195_64
; %bb.61:                               ;   in Loop: Header=BB195_14 Depth=1
	v_and_b32_e32 v26, 0xffff, v49
	v_and_b32_e32 v50, 0x7f, v26
	v_cmp_ne_u32_e64 s[4:5], s61, v50
	v_mov_b32_e32 v47, 0x7f800001
	s_and_saveexec_b64 s[50:51], s[4:5]
	s_cbranch_execz .LBB195_63
; %bb.62:                               ;   in Loop: Header=BB195_14 Depth=1
	v_and_b32_e32 v47, 7, v26
	v_ffbh_u32_e32 v52, v47
	v_min_u32_e32 v54, 32, v52
	v_subrev_u32_e32 v52, 28, v54
	v_lshlrev_b64 v[52:53], v52, v[26:27]
	v_lshrrev_b32_e32 v51, 3, v50
	v_sub_u32_e32 v26, 29, v54
	v_and_b32_e32 v52, 7, v52
	v_cmp_gt_u32_e64 s[4:5], 8, v50
	v_cndmask_b32_e64 v26, v51, v26, s[4:5]
	v_cndmask_b32_e64 v47, v47, v52, s[4:5]
	v_lshlrev_b32_e32 v49, 24, v49
	v_lshlrev_b32_e32 v47, 20, v47
	v_and_b32_e32 v49, 0x80000000, v49
	v_lshl_add_u32 v26, v26, 23, v38
	v_or3_b32 v47, v49, v26, v47
.LBB195_63:                             ;   in Loop: Header=BB195_14 Depth=1
	s_or_b64 exec, exec, s[50:51]
.LBB195_64:                             ;   in Loop: Header=BB195_14 Depth=1
	s_or_b64 exec, exec, s[48:49]
.LBB195_65:                             ;   in Loop: Header=BB195_14 Depth=1
	s_or_b64 exec, exec, s[46:47]
	global_load_ubyte v51, v[24:25], off offset:512
	v_mov_b32_e32 v49, 0
	v_mov_b32_e32 v50, 0
	s_waitcnt vmcnt(0)
	v_cmp_ne_u16_e64 s[4:5], 0, v51
	s_and_saveexec_b64 s[46:47], s[4:5]
	s_cbranch_execz .LBB195_71
; %bb.66:                               ;   in Loop: Header=BB195_14 Depth=1
	v_cmp_ne_u16_e64 s[4:5], s60, v51
	v_bfrev_b32_e32 v50, 1
	s_and_saveexec_b64 s[48:49], s[4:5]
	s_cbranch_execz .LBB195_70
; %bb.67:                               ;   in Loop: Header=BB195_14 Depth=1
	v_and_b32_e32 v26, 0xffff, v51
	v_and_b32_e32 v52, 0x7f, v26
	v_cmp_ne_u32_e64 s[4:5], s61, v52
	v_mov_b32_e32 v50, 0x7f800001
	s_and_saveexec_b64 s[50:51], s[4:5]
	s_cbranch_execz .LBB195_69
; %bb.68:                               ;   in Loop: Header=BB195_14 Depth=1
	v_and_b32_e32 v50, 7, v26
	v_ffbh_u32_e32 v54, v50
	v_min_u32_e32 v56, 32, v54
	v_subrev_u32_e32 v54, 28, v56
	v_lshlrev_b64 v[54:55], v54, v[26:27]
	v_lshrrev_b32_e32 v53, 3, v52
	v_sub_u32_e32 v26, 29, v56
	v_and_b32_e32 v54, 7, v54
	v_cmp_gt_u32_e64 s[4:5], 8, v52
	v_cndmask_b32_e64 v26, v53, v26, s[4:5]
	v_cndmask_b32_e64 v50, v50, v54, s[4:5]
	v_lshlrev_b32_e32 v51, 24, v51
	v_lshlrev_b32_e32 v50, 20, v50
	v_and_b32_e32 v51, 0x80000000, v51
	v_lshl_add_u32 v26, v26, 23, v38
	v_or3_b32 v50, v51, v26, v50
.LBB195_69:                             ;   in Loop: Header=BB195_14 Depth=1
	s_or_b64 exec, exec, s[50:51]
.LBB195_70:                             ;   in Loop: Header=BB195_14 Depth=1
	s_or_b64 exec, exec, s[48:49]
.LBB195_71:                             ;   in Loop: Header=BB195_14 Depth=1
	s_or_b64 exec, exec, s[46:47]
	global_load_ubyte v51, v[24:25], off offset:520
	s_waitcnt vmcnt(0)
	v_cmp_ne_u16_e64 s[4:5], 0, v51
	s_and_saveexec_b64 s[46:47], s[4:5]
	s_cbranch_execz .LBB195_77
; %bb.72:                               ;   in Loop: Header=BB195_14 Depth=1
	v_cmp_ne_u16_e64 s[4:5], s60, v51
	v_bfrev_b32_e32 v49, 1
	s_and_saveexec_b64 s[48:49], s[4:5]
	s_cbranch_execz .LBB195_76
; %bb.73:                               ;   in Loop: Header=BB195_14 Depth=1
	v_and_b32_e32 v26, 0xffff, v51
	v_and_b32_e32 v52, 0x7f, v26
	v_cmp_ne_u32_e64 s[4:5], s61, v52
	v_mov_b32_e32 v49, 0x7f800001
	s_and_saveexec_b64 s[50:51], s[4:5]
	s_cbranch_execz .LBB195_75
; %bb.74:                               ;   in Loop: Header=BB195_14 Depth=1
	v_and_b32_e32 v49, 7, v26
	v_ffbh_u32_e32 v54, v49
	v_min_u32_e32 v56, 32, v54
	v_subrev_u32_e32 v54, 28, v56
	v_lshlrev_b64 v[54:55], v54, v[26:27]
	v_lshrrev_b32_e32 v53, 3, v52
	v_sub_u32_e32 v26, 29, v56
	v_and_b32_e32 v54, 7, v54
	v_cmp_gt_u32_e64 s[4:5], 8, v52
	v_cndmask_b32_e64 v26, v53, v26, s[4:5]
	v_cndmask_b32_e64 v49, v49, v54, s[4:5]
	v_lshlrev_b32_e32 v51, 24, v51
	v_lshlrev_b32_e32 v49, 20, v49
	v_and_b32_e32 v51, 0x80000000, v51
	v_lshl_add_u32 v26, v26, 23, v38
	v_or3_b32 v49, v51, v26, v49
.LBB195_75:                             ;   in Loop: Header=BB195_14 Depth=1
	s_or_b64 exec, exec, s[50:51]
.LBB195_76:                             ;   in Loop: Header=BB195_14 Depth=1
	s_or_b64 exec, exec, s[48:49]
.LBB195_77:                             ;   in Loop: Header=BB195_14 Depth=1
	s_or_b64 exec, exec, s[46:47]
	global_load_ubyte v53, v[24:25], off offset:640
	v_mov_b32_e32 v51, 0
	v_mov_b32_e32 v52, 0
	s_waitcnt vmcnt(0)
	v_cmp_ne_u16_e64 s[4:5], 0, v53
	s_and_saveexec_b64 s[46:47], s[4:5]
	s_cbranch_execz .LBB195_83
; %bb.78:                               ;   in Loop: Header=BB195_14 Depth=1
	v_cmp_ne_u16_e64 s[4:5], s60, v53
	v_bfrev_b32_e32 v52, 1
	s_and_saveexec_b64 s[48:49], s[4:5]
	s_cbranch_execz .LBB195_82
; %bb.79:                               ;   in Loop: Header=BB195_14 Depth=1
	v_and_b32_e32 v26, 0xffff, v53
	v_and_b32_e32 v54, 0x7f, v26
	v_cmp_ne_u32_e64 s[4:5], s61, v54
	v_mov_b32_e32 v52, 0x7f800001
	s_and_saveexec_b64 s[50:51], s[4:5]
	s_cbranch_execz .LBB195_81
; %bb.80:                               ;   in Loop: Header=BB195_14 Depth=1
	v_and_b32_e32 v52, 7, v26
	v_ffbh_u32_e32 v56, v52
	v_min_u32_e32 v58, 32, v56
	v_subrev_u32_e32 v56, 28, v58
	v_lshlrev_b64 v[56:57], v56, v[26:27]
	v_lshrrev_b32_e32 v55, 3, v54
	v_sub_u32_e32 v26, 29, v58
	v_and_b32_e32 v56, 7, v56
	v_cmp_gt_u32_e64 s[4:5], 8, v54
	v_cndmask_b32_e64 v26, v55, v26, s[4:5]
	v_cndmask_b32_e64 v52, v52, v56, s[4:5]
	v_lshlrev_b32_e32 v53, 24, v53
	v_lshlrev_b32_e32 v52, 20, v52
	v_and_b32_e32 v53, 0x80000000, v53
	v_lshl_add_u32 v26, v26, 23, v38
	v_or3_b32 v52, v53, v26, v52
.LBB195_81:                             ;   in Loop: Header=BB195_14 Depth=1
	s_or_b64 exec, exec, s[50:51]
.LBB195_82:                             ;   in Loop: Header=BB195_14 Depth=1
	s_or_b64 exec, exec, s[48:49]
.LBB195_83:                             ;   in Loop: Header=BB195_14 Depth=1
	s_or_b64 exec, exec, s[46:47]
	global_load_ubyte v53, v[24:25], off offset:648
	s_waitcnt vmcnt(0)
	v_cmp_ne_u16_e64 s[4:5], 0, v53
	s_and_saveexec_b64 s[46:47], s[4:5]
	s_cbranch_execz .LBB195_89
; %bb.84:                               ;   in Loop: Header=BB195_14 Depth=1
	v_cmp_ne_u16_e64 s[4:5], s60, v53
	v_bfrev_b32_e32 v51, 1
	s_and_saveexec_b64 s[48:49], s[4:5]
	s_cbranch_execz .LBB195_88
; %bb.85:                               ;   in Loop: Header=BB195_14 Depth=1
	v_and_b32_e32 v26, 0xffff, v53
	v_and_b32_e32 v54, 0x7f, v26
	v_cmp_ne_u32_e64 s[4:5], s61, v54
	v_mov_b32_e32 v51, 0x7f800001
	s_and_saveexec_b64 s[50:51], s[4:5]
	s_cbranch_execz .LBB195_87
; %bb.86:                               ;   in Loop: Header=BB195_14 Depth=1
	v_and_b32_e32 v51, 7, v26
	v_ffbh_u32_e32 v56, v51
	v_min_u32_e32 v58, 32, v56
	v_subrev_u32_e32 v56, 28, v58
	v_lshlrev_b64 v[56:57], v56, v[26:27]
	v_lshrrev_b32_e32 v55, 3, v54
	v_sub_u32_e32 v26, 29, v58
	v_and_b32_e32 v56, 7, v56
	v_cmp_gt_u32_e64 s[4:5], 8, v54
	v_cndmask_b32_e64 v26, v55, v26, s[4:5]
	v_cndmask_b32_e64 v51, v51, v56, s[4:5]
	v_lshlrev_b32_e32 v53, 24, v53
	v_lshlrev_b32_e32 v51, 20, v51
	v_and_b32_e32 v53, 0x80000000, v53
	v_lshl_add_u32 v26, v26, 23, v38
	v_or3_b32 v51, v53, v26, v51
.LBB195_87:                             ;   in Loop: Header=BB195_14 Depth=1
	s_or_b64 exec, exec, s[50:51]
.LBB195_88:                             ;   in Loop: Header=BB195_14 Depth=1
	s_or_b64 exec, exec, s[48:49]
.LBB195_89:                             ;   in Loop: Header=BB195_14 Depth=1
	s_or_b64 exec, exec, s[46:47]
	global_load_ubyte v55, v[24:25], off offset:768
	v_mov_b32_e32 v53, 0
	v_mov_b32_e32 v54, 0
	s_waitcnt vmcnt(0)
	v_cmp_ne_u16_e64 s[4:5], 0, v55
	s_and_saveexec_b64 s[46:47], s[4:5]
	s_cbranch_execz .LBB195_95
; %bb.90:                               ;   in Loop: Header=BB195_14 Depth=1
	v_cmp_ne_u16_e64 s[4:5], s60, v55
	v_bfrev_b32_e32 v54, 1
	s_and_saveexec_b64 s[48:49], s[4:5]
	s_cbranch_execz .LBB195_94
; %bb.91:                               ;   in Loop: Header=BB195_14 Depth=1
	v_and_b32_e32 v26, 0xffff, v55
	v_and_b32_e32 v56, 0x7f, v26
	v_cmp_ne_u32_e64 s[4:5], s61, v56
	v_mov_b32_e32 v54, 0x7f800001
	s_and_saveexec_b64 s[50:51], s[4:5]
	s_cbranch_execz .LBB195_93
; %bb.92:                               ;   in Loop: Header=BB195_14 Depth=1
	v_and_b32_e32 v54, 7, v26
	v_ffbh_u32_e32 v58, v54
	v_min_u32_e32 v60, 32, v58
	v_subrev_u32_e32 v58, 28, v60
	v_lshlrev_b64 v[58:59], v58, v[26:27]
	v_lshrrev_b32_e32 v57, 3, v56
	v_sub_u32_e32 v26, 29, v60
	v_and_b32_e32 v58, 7, v58
	v_cmp_gt_u32_e64 s[4:5], 8, v56
	v_cndmask_b32_e64 v26, v57, v26, s[4:5]
	v_cndmask_b32_e64 v54, v54, v58, s[4:5]
	v_lshlrev_b32_e32 v55, 24, v55
	v_lshlrev_b32_e32 v54, 20, v54
	v_and_b32_e32 v55, 0x80000000, v55
	v_lshl_add_u32 v26, v26, 23, v38
	v_or3_b32 v54, v55, v26, v54
.LBB195_93:                             ;   in Loop: Header=BB195_14 Depth=1
	s_or_b64 exec, exec, s[50:51]
.LBB195_94:                             ;   in Loop: Header=BB195_14 Depth=1
	s_or_b64 exec, exec, s[48:49]
.LBB195_95:                             ;   in Loop: Header=BB195_14 Depth=1
	s_or_b64 exec, exec, s[46:47]
	global_load_ubyte v25, v[24:25], off offset:776
	s_waitcnt vmcnt(0)
	v_cmp_ne_u16_e64 s[4:5], 0, v25
	s_and_saveexec_b64 s[46:47], s[4:5]
	s_cbranch_execz .LBB195_101
; %bb.96:                               ;   in Loop: Header=BB195_14 Depth=1
	v_cmp_ne_u16_e64 s[4:5], s60, v25
	v_bfrev_b32_e32 v53, 1
	s_and_saveexec_b64 s[48:49], s[4:5]
	s_cbranch_execz .LBB195_100
; %bb.97:                               ;   in Loop: Header=BB195_14 Depth=1
	v_and_b32_e32 v24, 0xffff, v25
	v_and_b32_e32 v26, 0x7f, v24
	v_cmp_ne_u32_e64 s[4:5], s61, v26
	v_mov_b32_e32 v53, 0x7f800001
	s_and_saveexec_b64 s[50:51], s[4:5]
	s_cbranch_execz .LBB195_99
; %bb.98:                               ;   in Loop: Header=BB195_14 Depth=1
	v_and_b32_e32 v53, 7, v24
	v_ffbh_u32_e32 v56, v53
	v_min_u32_e32 v58, 32, v56
	v_subrev_u32_e32 v56, 28, v58
	v_lshlrev_b64 v[56:57], v56, v[24:25]
	v_lshrrev_b32_e32 v55, 3, v26
	v_sub_u32_e32 v24, 29, v58
	v_and_b32_e32 v56, 7, v56
	v_cmp_gt_u32_e64 s[4:5], 8, v26
	v_cndmask_b32_e64 v24, v55, v24, s[4:5]
	v_cndmask_b32_e64 v26, v53, v56, s[4:5]
	v_lshlrev_b32_e32 v25, 24, v25
	v_lshlrev_b32_e32 v26, 20, v26
	v_and_b32_e32 v25, 0x80000000, v25
	v_lshl_add_u32 v24, v24, 23, v38
	v_or3_b32 v53, v25, v24, v26
.LBB195_99:                             ;   in Loop: Header=BB195_14 Depth=1
	s_or_b64 exec, exec, s[50:51]
.LBB195_100:                            ;   in Loop: Header=BB195_14 Depth=1
	s_or_b64 exec, exec, s[48:49]
.LBB195_101:                            ;   in Loop: Header=BB195_14 Depth=1
	s_or_b64 exec, exec, s[46:47]
	s_waitcnt lgkmcnt(0)
	v_mul_f32_e32 v41, s62, v41
	v_mul_f32_e32 v42, s62, v42
	;; [unrolled: 1-line block ×4, first 2 shown]
	v_fmac_f32_e32 v11, v10, v42
	v_mul_f32_e32 v43, s62, v43
	v_fmac_f32_e32 v11, v12, v44
	v_mul_f32_e32 v46, s62, v46
	;; [unrolled: 2-line block ×8, first 2 shown]
	v_mul_f32_e32 v26, s62, v52
	v_and_b32_e32 v51, 64, v39
	v_fmac_f32_e32 v11, v3, v49
	v_add_u32_e32 v51, 64, v51
	v_xor_b32_e32 v52, 4, v39
	v_fmac_f32_e32 v11, v4, v26
	v_mul_f32_e32 v24, s62, v54
	v_cmp_lt_i32_e64 s[4:5], v52, v51
	v_fmac_f32_e32 v11, v5, v25
	v_cndmask_b32_e64 v52, v39, v52, s[4:5]
	v_mul_f32_e32 v53, s62, v53
	v_fmac_f32_e32 v11, v22, v24
	v_lshlrev_b32_e32 v52, 2, v52
	v_fmac_f32_e32 v11, v23, v53
	ds_bpermute_b32 v2, v52, v11
	v_xor_b32_e32 v3, 2, v39
	v_cmp_lt_i32_e64 s[4:5], v3, v51
	v_cndmask_b32_e64 v3, v39, v3, s[4:5]
	v_lshlrev_b32_e32 v3, 2, v3
	s_waitcnt lgkmcnt(0)
	v_add_f32_e32 v2, v11, v2
	ds_bpermute_b32 v3, v3, v2
	v_xor_b32_e32 v4, 1, v39
	v_cmp_lt_i32_e64 s[4:5], v4, v51
	v_cndmask_b32_e64 v4, v39, v4, s[4:5]
	v_lshlrev_b32_e32 v4, 2, v4
	s_waitcnt lgkmcnt(0)
	v_add_f32_e32 v2, v2, v3
	ds_bpermute_b32 v3, v4, v2
	s_and_saveexec_b64 s[46:47], vcc
	s_cbranch_execz .LBB195_12
; %bb.102:                              ;   in Loop: Header=BB195_14 Depth=1
	v_add_u32_e32 v4, v36, v34
	v_cvt_f32_i32_e32 v4, v4
	s_waitcnt lgkmcnt(0)
	v_add_f32_e32 v2, v2, v3
	v_add_u32_e32 v5, v30, v34
	v_cmp_gt_i32_e64 s[4:5], s33, v5
	v_mul_f32_e32 v3, s56, v4
	v_cndmask_b32_e64 v3, 0, v3, s[2:3]
	v_fmac_f32_e32 v3, s43, v2
	v_cndmask_b32_e64 v2, 0, v3, s[4:5]
	ds_write_b32 v35, v2
	v_max_f32_e32 v2, v32, v32
	v_max_f32_e32 v2, v2, v3
	v_cndmask_b32_e64 v32, v32, v2, s[4:5]
	s_branch .LBB195_12
.LBB195_103:
	s_or_b64 exec, exec, s[44:45]
.LBB195_104:
	s_or_b64 exec, exec, s[18:19]
	v_mbcnt_hi_u32_b32 v2, -1, v29
	s_waitcnt lgkmcnt(0)
	v_and_b32_e32 v3, 64, v2
	v_add_u32_e32 v3, 64, v3
	v_xor_b32_e32 v4, 32, v2
	v_cmp_lt_i32_e32 vcc, v4, v3
	v_cndmask_b32_e32 v4, v2, v4, vcc
	v_lshlrev_b32_e32 v7, 2, v4
	ds_bpermute_b32 v4, v7, v32
	v_xor_b32_e32 v6, 16, v2
	v_max_f32_e32 v5, v32, v32
	v_cmp_lt_i32_e32 vcc, v6, v3
	s_waitcnt lgkmcnt(0)
	v_max_f32_e32 v4, v4, v4
	v_max_f32_e32 v4, v5, v4
	v_cndmask_b32_e32 v5, v2, v6, vcc
	v_lshlrev_b32_e32 v9, 2, v5
	ds_bpermute_b32 v5, v9, v4
	v_xor_b32_e32 v6, 8, v2
	v_cmp_lt_i32_e32 vcc, v6, v3
	s_waitcnt lgkmcnt(0)
	v_max_f32_e32 v5, v5, v5
	v_max_f32_e32 v5, v4, v5
	v_cndmask_b32_e32 v4, v2, v6, vcc
	v_lshlrev_b32_e32 v10, 2, v4
	ds_bpermute_b32 v8, v10, v5
	v_and_b32_e32 v4, 63, v0
	v_cmp_eq_u32_e32 vcc, 0, v4
	v_lshlrev_b32_e32 v6, 2, v28
	s_and_saveexec_b64 s[2:3], vcc
	s_cbranch_execz .LBB195_106
; %bb.105:
	s_waitcnt lgkmcnt(0)
	v_max_f32_e32 v8, v8, v8
	v_max_f32_e32 v5, v5, v5
	;; [unrolled: 1-line block ×3, first 2 shown]
	ds_write_b32 v6, v5 offset:448
.LBB195_106:
	s_or_b64 exec, exec, s[2:3]
	v_cmp_gt_u32_e64 s[2:3], 2, v4
	v_mov_b32_e32 v5, 0xff7fffff
	s_waitcnt lgkmcnt(0)
	v_lshlrev_b32_e32 v8, 2, v4
	s_barrier
	s_and_saveexec_b64 s[4:5], s[2:3]
	s_cbranch_execz .LBB195_108
; %bb.107:
	ds_read_b32 v5, v8 offset:448
.LBB195_108:
	s_or_b64 exec, exec, s[4:5]
	v_xor_b32_e32 v11, 1, v2
	v_cmp_lt_i32_e64 s[4:5], v11, v3
	v_cndmask_b32_e64 v11, v2, v11, s[4:5]
	v_lshlrev_b32_e32 v11, 2, v11
	s_waitcnt lgkmcnt(0)
	ds_bpermute_b32 v12, v11, v5
	v_max_f32_e32 v5, v5, v5
	s_sub_i32 s4, s55, s23
	s_lshl_b32 s4, s4, 3
	s_add_i32 s4, s4, s35
	s_waitcnt lgkmcnt(0)
	v_max_f32_e32 v12, v12, v12
	v_max_f32_e32 v5, v5, v12
	v_lshlrev_b32_e32 v12, 2, v2
	v_and_b32_e32 v12, 0x100, v12
	ds_bpermute_b32 v5, v12, v5
	s_min_i32 s43, s4, s33
	s_sub_i32 s23, s43, s35
	v_cmp_gt_i32_e64 s[4:5], s23, v0
	v_mov_b32_e32 v13, 0
	s_and_saveexec_b64 s[12:13], s[4:5]
	s_cbranch_execz .LBB195_112
; %bb.109:
	v_mov_b32_e32 v13, 0x1d0
	v_lshl_add_u32 v16, v0, 2, v13
	s_mov_b64 s[18:19], 0
	v_mov_b32_e32 v13, 0
	v_mov_b32_e32 v18, v0
.LBB195_110:                            ; =>This Inner Loop Header: Depth=1
	ds_read_b32 v19, v16
	v_add_u32_e32 v18, 0x80, v18
	v_cmp_le_i32_e64 s[10:11], s23, v18
	s_or_b64 s[18:19], s[10:11], s[18:19]
	s_waitcnt lgkmcnt(0)
	v_sub_f32_e32 v19, v19, v5
	v_mul_f32_e32 v19, 0x3fb8aa3b, v19
	v_exp_f32_e32 v19, v19
	ds_write_b32 v16, v19
	v_add_f32_e32 v13, v13, v19
	v_add_u32_e32 v16, 0x200, v16
	s_andn2_b64 exec, exec, s[18:19]
	s_cbranch_execnz .LBB195_110
; %bb.111:
	s_or_b64 exec, exec, s[18:19]
.LBB195_112:
	s_or_b64 exec, exec, s[12:13]
	ds_bpermute_b32 v7, v7, v13
	s_waitcnt lgkmcnt(0)
	v_add_f32_e32 v7, v13, v7
	ds_bpermute_b32 v9, v9, v7
	s_waitcnt lgkmcnt(0)
	v_add_f32_e32 v7, v7, v9
	ds_bpermute_b32 v9, v10, v7
	v_xor_b32_e32 v10, 4, v2
	v_cmp_lt_i32_e64 s[10:11], v10, v3
	v_cndmask_b32_e64 v10, v2, v10, s[10:11]
	v_lshlrev_b32_e32 v10, 2, v10
	s_waitcnt lgkmcnt(0)
	v_add_f32_e32 v7, v7, v9
	ds_bpermute_b32 v9, v10, v7
	v_xor_b32_e32 v10, 2, v2
	v_cmp_lt_i32_e64 s[10:11], v10, v3
	v_cndmask_b32_e64 v2, v2, v10, s[10:11]
	v_lshlrev_b32_e32 v2, 2, v2
	s_waitcnt lgkmcnt(0)
	v_add_f32_e32 v3, v7, v9
	ds_bpermute_b32 v2, v2, v3
	s_waitcnt lgkmcnt(0)
	v_add_f32_e32 v2, v3, v2
	ds_bpermute_b32 v3, v11, v2
	s_waitcnt lgkmcnt(0)
	v_add_f32_e32 v2, v2, v3
	s_and_saveexec_b64 s[10:11], vcc
	s_cbranch_execz .LBB195_114
; %bb.113:
	ds_write_b32 v6, v2 offset:456
.LBB195_114:
	s_or_b64 exec, exec, s[10:11]
	s_waitcnt lgkmcnt(0)
	s_barrier
	s_and_saveexec_b64 s[10:11], s[2:3]
	s_cbranch_execz .LBB195_116
; %bb.115:
	ds_read_b32 v2, v8 offset:456
.LBB195_116:
	s_or_b64 exec, exec, s[10:11]
	s_waitcnt lgkmcnt(0)
	ds_bpermute_b32 v3, v11, v2
	s_waitcnt lgkmcnt(0)
	v_add_f32_e32 v2, v2, v3
	ds_bpermute_b32 v6, v12, v2
	s_and_saveexec_b64 s[2:3], s[4:5]
	s_cbranch_execz .LBB195_129
; %bb.117:
	s_waitcnt lgkmcnt(0)
	v_add_f32_e32 v2, 0x358637bd, v6
	v_div_scale_f32 v3, s[4:5], v2, v2, 1.0
	v_rcp_f32_e32 v7, v3
	v_div_scale_f32 v8, vcc, 1.0, v2, 1.0
	s_movk_i32 s4, 0x7f
	v_fma_f32 v9, -v3, v7, 1.0
	v_fmac_f32_e32 v7, v9, v7
	v_mul_f32_e32 v9, v8, v7
	v_fma_f32 v10, -v3, v9, v8
	v_fmac_f32_e32 v9, v10, v7
	v_fma_f32 v3, -v3, v9, v8
	v_div_fmas_f32 v3, v3, v7, v9
	v_div_fixup_f32 v2, v3, v2, 1.0
	v_xad_u32 v3, v0, -1, s43
	v_subrev_u32_e32 v7, s35, v3
	v_cmp_lt_u32_e32 vcc, s4, v7
	s_mov_b64 s[10:11], -1
	v_mov_b32_e32 v3, v0
	s_and_saveexec_b64 s[4:5], vcc
	s_cbranch_execz .LBB195_126
; %bb.118:
	v_lshrrev_b32_e32 v7, 7, v7
	v_add_u32_e32 v9, -1, v7
	v_lshrrev_b32_e32 v8, 1, v9
	v_mov_b32_e32 v3, v2
	v_add_u32_e32 v8, 1, v8
	v_cmp_lt_u32_e32 vcc, 13, v9
	v_mov_b32_e32 v12, 0
	s_and_saveexec_b64 s[10:11], vcc
	s_cbranch_execz .LBB195_122
; %bb.119:
	v_mov_b32_e32 v10, 0x1d0
	v_and_b32_e32 v9, -8, v8
	v_lshl_add_u32 v10, v0, 2, v10
	s_mov_b32 s18, 0
	s_mov_b64 s[12:13], 0
.LBB195_120:                            ; =>This Inner Loop Header: Depth=1
	ds_read2st64_b32 v[12:13], v10 offset1:2
	ds_read2st64_b32 v[18:19], v10 offset0:4 offset1:6
	ds_read2st64_b32 v[20:21], v10 offset0:8 offset1:10
	;; [unrolled: 1-line block ×3, first 2 shown]
	v_add_u32_e32 v9, -8, v9
	s_waitcnt lgkmcnt(3)
	v_pk_mul_f32 v[12:13], v[2:3], v[12:13]
	s_waitcnt lgkmcnt(2)
	v_pk_mul_f32 v[18:19], v[2:3], v[18:19]
	ds_write2st64_b32 v10, v12, v13 offset1:2
	ds_write2st64_b32 v10, v18, v19 offset0:4 offset1:6
	ds_read2st64_b32 v[18:19], v10 offset0:16 offset1:18
	s_waitcnt lgkmcnt(4)
	v_pk_mul_f32 v[12:13], v[2:3], v[20:21]
	ds_write2st64_b32 v10, v12, v13 offset0:8 offset1:10
	s_waitcnt lgkmcnt(4)
	v_pk_mul_f32 v[12:13], v[2:3], v[22:23]
	ds_write2st64_b32 v10, v12, v13 offset0:12 offset1:14
	ds_read2st64_b32 v[12:13], v10 offset0:20 offset1:22
	s_waitcnt lgkmcnt(3)
	v_pk_mul_f32 v[18:19], v[2:3], v[18:19]
	ds_read2st64_b32 v[20:21], v10 offset0:24 offset1:26
	ds_write2st64_b32 v10, v18, v19 offset0:16 offset1:18
	ds_read2st64_b32 v[18:19], v10 offset0:28 offset1:30
	s_waitcnt lgkmcnt(3)
	v_pk_mul_f32 v[12:13], v[2:3], v[12:13]
	ds_write2st64_b32 v10, v12, v13 offset0:20 offset1:22
	s_waitcnt lgkmcnt(3)
	v_pk_mul_f32 v[12:13], v[2:3], v[20:21]
	ds_write2st64_b32 v10, v12, v13 offset0:24 offset1:26
	s_waitcnt lgkmcnt(2)
	v_pk_mul_f32 v[12:13], v[2:3], v[18:19]
	s_add_i32 s18, s18, 16
	v_cmp_eq_u32_e32 vcc, 0, v9
	ds_write2st64_b32 v10, v12, v13 offset0:28 offset1:30
	v_add_u32_e32 v10, 0x2000, v10
	s_or_b64 s[12:13], vcc, s[12:13]
	v_mov_b32_e32 v12, s18
	s_andn2_b64 exec, exec, s[12:13]
	s_cbranch_execnz .LBB195_120
; %bb.121:
	s_or_b64 exec, exec, s[12:13]
.LBB195_122:
	s_or_b64 exec, exec, s[10:11]
	v_and_b32_e32 v8, 7, v8
	v_cmp_ne_u32_e32 vcc, 0, v8
	s_and_saveexec_b64 s[10:11], vcc
	s_cbranch_execz .LBB195_125
; %bb.123:
	v_lshlrev_b32_e32 v9, 9, v12
	s_movk_i32 s12, 0x1d0
	v_add3_u32 v9, v9, v27, s12
	s_mov_b64 s[12:13], 0
.LBB195_124:                            ; =>This Inner Loop Header: Depth=1
	ds_read2st64_b32 v[12:13], v9 offset1:2
	v_add_u32_e32 v8, -1, v8
	v_cmp_eq_u32_e32 vcc, 0, v8
	s_or_b64 s[12:13], vcc, s[12:13]
	s_waitcnt lgkmcnt(0)
	v_pk_mul_f32 v[12:13], v[2:3], v[12:13]
	ds_write2st64_b32 v9, v12, v13 offset1:2
	v_add_u32_e32 v9, 0x400, v9
	s_andn2_b64 exec, exec, s[12:13]
	s_cbranch_execnz .LBB195_124
.LBB195_125:
	s_or_b64 exec, exec, s[10:11]
	v_add_u32_e32 v7, 1, v7
	v_and_b32_e32 v8, 0x3fffffe, v7
	v_cmp_ne_u32_e32 vcc, v7, v8
	v_lshl_add_u32 v3, v8, 7, v0
	s_orn2_b64 s[10:11], vcc, exec
.LBB195_126:
	s_or_b64 exec, exec, s[4:5]
	s_and_b64 exec, exec, s[10:11]
	s_cbranch_execz .LBB195_129
; %bb.127:
	v_mov_b32_e32 v7, 0x1d0
	v_lshl_add_u32 v7, v3, 2, v7
	s_mov_b64 s[4:5], 0
.LBB195_128:                            ; =>This Inner Loop Header: Depth=1
	ds_read_b32 v8, v7
	v_add_u32_e32 v3, 0x80, v3
	v_cmp_le_i32_e32 vcc, s23, v3
	s_or_b64 s[4:5], vcc, s[4:5]
	s_waitcnt lgkmcnt(0)
	v_mul_f32_e32 v8, v2, v8
	ds_write_b32 v7, v8
	v_add_u32_e32 v7, 0x200, v7
	s_andn2_b64 exec, exec, s[4:5]
	s_cbranch_execnz .LBB195_128
.LBB195_129:
	s_or_b64 exec, exec, s[2:3]
	s_mul_i32 s2, s29, s34
	v_cmp_eq_u32_e32 vcc, 0, v0
	s_mul_i32 s10, s2, s9
	s_waitcnt lgkmcnt(0)
	s_barrier
	s_and_saveexec_b64 s[2:3], vcc
	s_cbranch_execz .LBB195_131
; %bb.130:
	s_ashr_i32 s11, s10, 31
	s_lshl_b64 s[4:5], s[10:11], 2
	s_add_u32 s9, s26, s4
	s_mul_i32 s12, s29, s6
	s_addc_u32 s11, s27, s5
	s_ashr_i32 s13, s12, 31
	s_lshl_b64 s[12:13], s[12:13], 2
	s_add_u32 s6, s9, s12
	s_addc_u32 s11, s11, s13
	s_ashr_i32 s9, s8, 31
	s_lshl_b64 s[18:19], s[8:9], 2
	s_add_u32 s26, s6, s18
	s_addc_u32 s27, s11, s19
	s_add_u32 s4, s24, s4
	s_addc_u32 s5, s25, s5
	;; [unrolled: 2-line block ×3, first 2 shown]
	s_add_u32 s4, s4, s18
	v_mov_b32_e32 v2, 0
	s_addc_u32 s5, s5, s19
	global_store_dword v2, v5, s[26:27]
	global_store_dword v2, v6, s[4:5]
.LBB195_131:
	s_or_b64 exec, exec, s[2:3]
	s_mov_b32 s4, 0
	v_mov_b32_e32 v5, 0
	v_lshrrev_b32_e32 v41, 1, v4
	v_and_b32_e32 v40, 1, v0
	v_mov_b32_e32 v4, 0
	v_mov_b32_e32 v3, 0
	;; [unrolled: 1-line block ×3, first 2 shown]
	s_and_saveexec_b64 s[12:13], s[0:1]
	s_cbranch_execz .LBB195_243
; %bb.132:
	s_sub_i32 s9, s16, s21
	s_ashr_i32 s0, s20, 31
	s_add_u32 s18, s40, s20
	s_addc_u32 s19, s41, s0
	s_abs_i32 s11, s22
	v_cvt_f32_u32_e32 v2, s11
	v_or_b32_e32 v3, 0x60, v41
	s_movk_i32 s0, 0x70
	v_and_b32_e32 v42, 4, v27
	v_rcp_iflag_f32_e32 v2, v2
	v_cmp_gt_u32_e32 vcc, s0, v3
	s_sub_i32 s0, 0, s11
	s_add_i32 s41, s7, -1
	v_mul_f32_e32 v2, 0x4f7ffffe, v2
	v_cvt_u32_f32_e32 v2, v2
	v_lshl_or_b32 v16, v3, 3, v42
	s_mov_b32 s5, s4
	s_mov_b32 s6, s4
	v_mul_lo_u32 v3, s0, v2
	s_lshl_b64 s[0:1], s[38:39], 2
	v_mul_hi_u32 v3, v2, v3
	s_add_u32 s0, s36, s0
	v_add_u32_e32 v43, v2, v3
	v_lshlrev_b64 v[2:3], 2, v[14:15]
	s_addc_u32 s1, s37, s1
	v_mov_b32_e32 v4, s1
	v_add_co_u32_e64 v18, s[0:1], s0, v2
	v_lshlrev_b32_e32 v2, 4, v40
	v_lshl_or_b32 v2, v28, 5, v2
	v_addc_co_u32_e64 v19, s[0:1], v4, v3, s[0:1]
	v_add_u32_e32 v15, 0x1d0, v2
	s_mov_b32 s7, s4
	v_pk_mov_b32 v[2:3], s[4:5], s[4:5] op_sel:[0,1]
	s_mov_b32 s40, s17
	v_lshl_or_b32 v10, v41, 3, v42
	v_mov_b32_e32 v13, 0
	s_mov_b64 s[16:17], 0
	v_pk_mov_b32 v[4:5], s[6:7], s[6:7] op_sel:[0,1]
	s_movk_i32 s38, 0x80
	s_movk_i32 s39, 0x7f
	s_brev_b32 s5, 1
	s_mov_b32 s7, 0x7f800001
	s_mov_b32 s43, 0xffffff
	v_bfrev_b32_e32 v44, 60
	v_mov_b32_e32 v45, 7
	v_mov_b32_e32 v46, 24
	s_branch .LBB195_136
.LBB195_133:                            ;   in Loop: Header=BB195_136 Depth=1
	s_or_b64 exec, exec, s[2:3]
	v_mul_f32_e32 v7, v7, v21
	v_fmac_f32_e32 v7, v6, v20
	v_fmac_f32_e32 v7, v8, v22
	;; [unrolled: 1-line block ×3, first 2 shown]
	v_add_f32_e32 v5, v5, v7
.LBB195_134:                            ;   in Loop: Header=BB195_136 Depth=1
	s_or_b64 exec, exec, s[24:25]
.LBB195_135:                            ;   in Loop: Header=BB195_136 Depth=1
	s_or_b64 exec, exec, s[20:21]
	v_add_co_u32_e64 v18, s[0:1], 8, v18
	v_add_u32_e32 v14, 2, v14
	v_addc_co_u32_e64 v19, s[0:1], 0, v19, s[0:1]
	v_cmp_le_i32_e64 s[0:1], s55, v14
	v_add_u32_e32 v17, 16, v17
	s_or_b64 s[16:17], s[0:1], s[16:17]
	v_add_u32_e32 v15, 64, v15
	s_andn2_b64 exec, exec, s[16:17]
	s_cbranch_execz .LBB195_242
.LBB195_136:                            ; =>This Inner Loop Header: Depth=1
	v_sub_u32_e32 v7, 0, v17
	v_max_i32_e32 v7, v17, v7
	v_mul_hi_u32 v8, v7, s53
	v_mul_lo_u32 v9, v8, s52
	v_sub_u32_e32 v7, v7, v9
	v_add_u32_e32 v9, 1, v8
	v_cmp_le_u32_e64 s[0:1], s52, v7
	v_cndmask_b32_e64 v8, v8, v9, s[0:1]
	v_subrev_u32_e32 v9, s52, v7
	v_cndmask_b32_e64 v7, v7, v9, s[0:1]
	v_ashrrev_i32_e32 v6, 31, v17
	v_add_u32_e32 v9, 1, v8
	v_cmp_le_u32_e64 s[0:1], s52, v7
	v_xor_b32_e32 v6, s54, v6
	v_cndmask_b32_e64 v7, v8, v9, s[0:1]
	v_xor_b32_e32 v7, v7, v6
	v_sub_u32_e32 v6, v7, v6
	v_add_u32_e32 v7, s42, v6
	v_sub_u32_e32 v9, 0, v7
	v_ashrrev_i32_e32 v8, 31, v7
	v_max_i32_e32 v7, v7, v9
	v_mul_hi_u32 v9, v7, v43
	v_mul_lo_u32 v9, v9, s11
	v_sub_u32_e32 v7, v7, v9
	v_subrev_u32_e32 v9, s11, v7
	v_cmp_le_u32_e64 s[0:1], s11, v7
	v_cndmask_b32_e64 v7, v7, v9, s[0:1]
	v_subrev_u32_e32 v9, s11, v7
	v_cmp_le_u32_e64 s[0:1], s11, v7
	v_cndmask_b32_e64 v7, v7, v9, s[0:1]
	v_xor_b32_e32 v7, v7, v8
	v_sub_u32_e32 v7, v7, v8
	v_cmp_eq_u32_e64 s[0:1], 0, v7
	v_cmp_lt_i32_e64 s[2:3], s9, v6
	s_or_b64 s[0:1], s[0:1], s[2:3]
	s_and_saveexec_b64 s[20:21], s[0:1]
	s_cbranch_execz .LBB195_135
; %bb.137:                              ;   in Loop: Header=BB195_136 Depth=1
	global_load_dword v8, v[18:19], off
	v_pk_mov_b32 v[6:7], s[18:19], s[18:19] op_sel:[0,1]
	s_load_dword s22, s[14:15], 0x0
	v_pk_mov_b32 v[28:29], 0, 0
	v_pk_mov_b32 v[24:25], v[28:29], v[28:29] op_sel:[0,1]
	s_waitcnt vmcnt(0)
	v_mad_i64_i32 v[20:21], s[0:1], v8, s40, v[6:7]
	v_add_co_u32_e64 v26, s[0:1], v20, v10
	v_addc_co_u32_e64 v27, s[0:1], 0, v21, s[0:1]
	global_load_dword v22, v[26:27], off
	ds_read_b128 v[6:9], v15
	s_waitcnt vmcnt(0)
	v_cmp_ne_u16_sdwa s[0:1], v22, v13 src0_sel:BYTE_0 src1_sel:DWORD
	s_and_saveexec_b64 s[2:3], s[0:1]
	s_cbranch_execz .LBB195_143
; %bb.138:                              ;   in Loop: Header=BB195_136 Depth=1
	v_bfrev_b32_e32 v24, 1
	v_cmp_ne_u16_sdwa s[0:1], v22, s38 src0_sel:BYTE_0 src1_sel:DWORD
	v_mov_b32_e32 v25, 0
	s_and_saveexec_b64 s[24:25], s[0:1]
	s_cbranch_execz .LBB195_142
; %bb.139:                              ;   in Loop: Header=BB195_136 Depth=1
	v_and_b32_e32 v12, 0x7f, v22
	v_mov_b32_e32 v24, 0x7f800001
	v_cmp_ne_u32_e64 s[0:1], s39, v12
	v_mov_b32_e32 v25, 0
	s_and_saveexec_b64 s[26:27], s[0:1]
	s_cbranch_execz .LBB195_141
; %bb.140:                              ;   in Loop: Header=BB195_136 Depth=1
	v_and_b32_e32 v23, 7, v22
	v_ffbh_u32_e32 v24, v23
	v_min_u32_e32 v31, 32, v24
	v_subrev_u32_e32 v24, 28, v31
	v_lshlrev_b64 v[24:25], v24, v[22:23]
	v_lshrrev_b32_e32 v30, 3, v12
	v_sub_u32_e32 v25, 29, v31
	v_and_b32_e32 v24, 7, v24
	v_cmp_gt_u32_e64 s[0:1], 8, v12
	v_cndmask_b32_e64 v12, v30, v25, s[0:1]
	v_cndmask_b32_e64 v23, v23, v24, s[0:1]
	v_lshlrev_b32_e32 v23, 20, v23
	v_and_b32_sdwa v24, sext(v22), s5 dst_sel:DWORD dst_unused:UNUSED_PAD src0_sel:BYTE_0 src1_sel:DWORD
	v_lshl_add_u32 v12, v12, 23, v44
	v_or3_b32 v12, v24, v12, v23
	v_pk_mov_b32 v[24:25], v[12:13], v[12:13] op_sel:[0,1]
.LBB195_141:                            ;   in Loop: Header=BB195_136 Depth=1
	s_or_b64 exec, exec, s[26:27]
.LBB195_142:                            ;   in Loop: Header=BB195_136 Depth=1
	s_or_b64 exec, exec, s[24:25]
.LBB195_143:                            ;   in Loop: Header=BB195_136 Depth=1
	s_or_b64 exec, exec, s[2:3]
	v_cmp_ne_u16_sdwa s[0:1], v22, v13 src0_sel:BYTE_1 src1_sel:DWORD
	s_and_saveexec_b64 s[2:3], s[0:1]
	s_cbranch_execz .LBB195_149
; %bb.144:                              ;   in Loop: Header=BB195_136 Depth=1
	v_cmp_ne_u16_sdwa s[0:1], v22, s38 src0_sel:BYTE_1 src1_sel:DWORD
	v_pk_mov_b32 v[28:29], s[4:5], s[4:5] op_sel:[0,1]
	s_and_saveexec_b64 s[24:25], s[0:1]
	s_cbranch_execz .LBB195_148
; %bb.145:                              ;   in Loop: Header=BB195_136 Depth=1
	v_and_b32_sdwa v23, v22, s39 dst_sel:DWORD dst_unused:UNUSED_PAD src0_sel:BYTE_1 src1_sel:DWORD
	s_mov_b32 s6, s4
	v_cmp_ne_u32_e64 s[0:1], s39, v23
	v_pk_mov_b32 v[28:29], s[6:7], s[6:7] op_sel:[0,1]
	s_and_saveexec_b64 s[26:27], s[0:1]
	s_cbranch_execz .LBB195_147
; %bb.146:                              ;   in Loop: Header=BB195_136 Depth=1
	v_and_b32_sdwa v12, v22, v45 dst_sel:DWORD dst_unused:UNUSED_PAD src0_sel:BYTE_1 src1_sel:DWORD
	v_ffbh_u32_e32 v28, v12
	v_min_u32_e32 v31, 32, v28
	v_subrev_u32_e32 v28, 28, v31
	v_lshlrev_b64 v[28:29], v28, v[12:13]
	v_lshrrev_b32_e32 v30, 3, v23
	v_sub_u32_e32 v29, 29, v31
	v_cmp_gt_u32_e64 s[0:1], 8, v23
	v_and_b32_e32 v28, 7, v28
	v_cndmask_b32_e64 v23, v30, v29, s[0:1]
	v_cndmask_b32_e64 v12, v12, v28, s[0:1]
	v_lshlrev_b32_e32 v28, 16, v22
	v_lshl_add_u32 v23, v23, 23, v44
	v_and_or_b32 v23, v28, s5, v23
	v_lshlrev_b32_e32 v12, 20, v12
	v_or_b32_e32 v29, v23, v12
	v_mov_b32_e32 v28, v13
.LBB195_147:                            ;   in Loop: Header=BB195_136 Depth=1
	s_or_b64 exec, exec, s[26:27]
.LBB195_148:                            ;   in Loop: Header=BB195_136 Depth=1
	s_or_b64 exec, exec, s[24:25]
.LBB195_149:                            ;   in Loop: Header=BB195_136 Depth=1
	s_or_b64 exec, exec, s[2:3]
	v_lshrrev_b32_e32 v12, 16, v22
	v_pk_mov_b32 v[32:33], 0, 0
	v_cmp_ne_u16_sdwa s[0:1], v12, v13 src0_sel:BYTE_0 src1_sel:DWORD
	v_pk_mov_b32 v[30:31], v[32:33], v[32:33] op_sel:[0,1]
	s_and_saveexec_b64 s[2:3], s[0:1]
	s_cbranch_execz .LBB195_155
; %bb.150:                              ;   in Loop: Header=BB195_136 Depth=1
	v_bfrev_b32_e32 v30, 1
	v_cmp_ne_u16_sdwa s[0:1], v12, s38 src0_sel:BYTE_0 src1_sel:DWORD
	v_mov_b32_e32 v31, 0
	s_and_saveexec_b64 s[24:25], s[0:1]
	s_cbranch_execz .LBB195_154
; %bb.151:                              ;   in Loop: Header=BB195_136 Depth=1
	v_bfe_u32 v23, v22, 16, 7
	v_mov_b32_e32 v30, 0x7f800001
	v_cmp_ne_u32_e64 s[0:1], s39, v23
	v_mov_b32_e32 v31, 0
	s_and_saveexec_b64 s[26:27], s[0:1]
	s_cbranch_execz .LBB195_153
; %bb.152:                              ;   in Loop: Header=BB195_136 Depth=1
	v_and_b32_e32 v34, 7, v12
	v_ffbh_u32_e32 v30, v34
	v_min_u32_e32 v36, 32, v30
	v_subrev_u32_e32 v30, 28, v36
	v_lshlrev_b64 v[30:31], v30, v[12:13]
	v_lshrrev_b32_e32 v35, 3, v23
	v_sub_u32_e32 v31, 29, v36
	v_and_b32_e32 v30, 7, v30
	v_cmp_gt_u32_e64 s[0:1], 8, v23
	v_cndmask_b32_e64 v23, v35, v31, s[0:1]
	v_cndmask_b32_e64 v30, v34, v30, s[0:1]
	v_lshlrev_b32_e32 v30, 20, v30
	v_and_b32_sdwa v12, sext(v12), s5 dst_sel:DWORD dst_unused:UNUSED_PAD src0_sel:BYTE_0 src1_sel:DWORD
	v_lshl_add_u32 v23, v23, 23, v44
	v_or3_b32 v12, v12, v23, v30
	v_pk_mov_b32 v[30:31], v[12:13], v[12:13] op_sel:[0,1]
.LBB195_153:                            ;   in Loop: Header=BB195_136 Depth=1
	s_or_b64 exec, exec, s[26:27]
.LBB195_154:                            ;   in Loop: Header=BB195_136 Depth=1
	s_or_b64 exec, exec, s[24:25]
.LBB195_155:                            ;   in Loop: Header=BB195_136 Depth=1
	s_or_b64 exec, exec, s[2:3]
	v_cmp_lt_u32_e64 s[0:1], s43, v22
	s_and_saveexec_b64 s[2:3], s[0:1]
	s_cbranch_execz .LBB195_161
; %bb.156:                              ;   in Loop: Header=BB195_136 Depth=1
	v_cmp_ne_u32_sdwa s[0:1], v22, s38 src0_sel:BYTE_3 src1_sel:DWORD
	v_pk_mov_b32 v[32:33], s[4:5], s[4:5] op_sel:[0,1]
	s_and_saveexec_b64 s[24:25], s[0:1]
	s_cbranch_execz .LBB195_160
; %bb.157:                              ;   in Loop: Header=BB195_136 Depth=1
	v_bfe_u32 v23, v22, 24, 7
	s_mov_b32 s6, s4
	v_cmp_ne_u32_e64 s[0:1], s39, v23
	v_pk_mov_b32 v[32:33], s[6:7], s[6:7] op_sel:[0,1]
	s_and_saveexec_b64 s[26:27], s[0:1]
	s_cbranch_execz .LBB195_159
; %bb.158:                              ;   in Loop: Header=BB195_136 Depth=1
	v_and_b32_sdwa v12, v22, v45 dst_sel:DWORD dst_unused:UNUSED_PAD src0_sel:BYTE_3 src1_sel:DWORD
	v_ffbh_u32_e32 v32, v12
	v_min_u32_e32 v35, 32, v32
	v_subrev_u32_e32 v32, 28, v35
	v_lshlrev_b64 v[32:33], v32, v[12:13]
	v_lshrrev_b32_e32 v34, 3, v23
	v_sub_u32_e32 v33, 29, v35
	v_cmp_gt_u32_e64 s[0:1], 8, v23
	v_and_b32_e32 v32, 7, v32
	v_cndmask_b32_e64 v23, v34, v33, s[0:1]
	v_cndmask_b32_e64 v12, v12, v32, s[0:1]
	v_lshlrev_b32_sdwa v22, v46, v22 dst_sel:DWORD dst_unused:UNUSED_PAD src0_sel:DWORD src1_sel:BYTE_3
	v_lshl_add_u32 v23, v23, 23, v44
	v_and_or_b32 v22, v22, s5, v23
	v_lshlrev_b32_e32 v12, 20, v12
	v_or_b32_e32 v33, v22, v12
	v_mov_b32_e32 v32, v13
.LBB195_159:                            ;   in Loop: Header=BB195_136 Depth=1
	s_or_b64 exec, exec, s[26:27]
.LBB195_160:                            ;   in Loop: Header=BB195_136 Depth=1
	s_or_b64 exec, exec, s[24:25]
.LBB195_161:                            ;   in Loop: Header=BB195_136 Depth=1
	s_or_b64 exec, exec, s[2:3]
	v_or_b32_e32 v23, v29, v25
	v_or_b32_e32 v22, v28, v24
	;; [unrolled: 1-line block ×4, first 2 shown]
	v_add_u32_e32 v47, v42, v17
	v_cmp_eq_u32_e64 s[0:1], s41, v14
	s_waitcnt lgkmcnt(0)
	v_pk_mul_f32 v[22:23], s[22:23], v[22:23] op_sel_hi:[0,1]
	v_pk_mul_f32 v[24:25], s[22:23], v[24:25] op_sel_hi:[0,1]
	s_and_saveexec_b64 s[24:25], s[0:1]
; %bb.162:                              ;   in Loop: Header=BB195_136 Depth=1
	v_cmp_gt_i32_e64 s[2:3], s33, v47
	v_add_u32_e32 v12, 1, v47
	v_cndmask_b32_e64 v22, 0, v22, s[2:3]
	v_cmp_gt_i32_e64 s[2:3], s33, v12
	v_add_u32_e32 v12, 2, v47
	v_cndmask_b32_e64 v23, 0, v23, s[2:3]
	;; [unrolled: 3-line block ×3, first 2 shown]
	v_cmp_gt_i32_e64 s[2:3], s33, v12
	v_cndmask_b32_e64 v25, 0, v25, s[2:3]
; %bb.163:                              ;   in Loop: Header=BB195_136 Depth=1
	s_or_b64 exec, exec, s[24:25]
	global_load_dword v28, v[26:27], off offset:256
	v_pk_mov_b32 v[32:33], 0, 0
	v_pk_mov_b32 v[30:31], v[32:33], v[32:33] op_sel:[0,1]
	s_waitcnt vmcnt(0)
	v_cmp_ne_u16_sdwa s[2:3], v28, v13 src0_sel:BYTE_0 src1_sel:DWORD
	s_and_saveexec_b64 s[24:25], s[2:3]
	s_cbranch_execz .LBB195_169
; %bb.164:                              ;   in Loop: Header=BB195_136 Depth=1
	v_bfrev_b32_e32 v30, 1
	v_cmp_ne_u16_sdwa s[2:3], v28, s38 src0_sel:BYTE_0 src1_sel:DWORD
	v_mov_b32_e32 v31, 0
	s_and_saveexec_b64 s[26:27], s[2:3]
	s_cbranch_execz .LBB195_168
; %bb.165:                              ;   in Loop: Header=BB195_136 Depth=1
	v_and_b32_e32 v12, 0x7f, v28
	v_mov_b32_e32 v30, 0x7f800001
	v_cmp_ne_u32_e64 s[2:3], s39, v12
	v_mov_b32_e32 v31, 0
	s_and_saveexec_b64 s[34:35], s[2:3]
	s_cbranch_execz .LBB195_167
; %bb.166:                              ;   in Loop: Header=BB195_136 Depth=1
	v_and_b32_e32 v29, 7, v28
	v_ffbh_u32_e32 v30, v29
	v_min_u32_e32 v35, 32, v30
	v_subrev_u32_e32 v30, 28, v35
	v_lshlrev_b64 v[30:31], v30, v[28:29]
	v_lshrrev_b32_e32 v34, 3, v12
	v_sub_u32_e32 v31, 29, v35
	v_and_b32_e32 v30, 7, v30
	v_cmp_gt_u32_e64 s[2:3], 8, v12
	v_cndmask_b32_e64 v12, v34, v31, s[2:3]
	v_cndmask_b32_e64 v29, v29, v30, s[2:3]
	v_lshlrev_b32_e32 v29, 20, v29
	v_and_b32_sdwa v30, sext(v28), s5 dst_sel:DWORD dst_unused:UNUSED_PAD src0_sel:BYTE_0 src1_sel:DWORD
	v_lshl_add_u32 v12, v12, 23, v44
	v_or3_b32 v12, v30, v12, v29
	v_pk_mov_b32 v[30:31], v[12:13], v[12:13] op_sel:[0,1]
.LBB195_167:                            ;   in Loop: Header=BB195_136 Depth=1
	s_or_b64 exec, exec, s[34:35]
.LBB195_168:                            ;   in Loop: Header=BB195_136 Depth=1
	s_or_b64 exec, exec, s[26:27]
.LBB195_169:                            ;   in Loop: Header=BB195_136 Depth=1
	s_or_b64 exec, exec, s[24:25]
	v_cmp_ne_u16_sdwa s[2:3], v28, v13 src0_sel:BYTE_1 src1_sel:DWORD
	s_and_saveexec_b64 s[24:25], s[2:3]
	s_cbranch_execz .LBB195_175
; %bb.170:                              ;   in Loop: Header=BB195_136 Depth=1
	v_cmp_ne_u16_sdwa s[2:3], v28, s38 src0_sel:BYTE_1 src1_sel:DWORD
	v_pk_mov_b32 v[32:33], s[4:5], s[4:5] op_sel:[0,1]
	s_and_saveexec_b64 s[26:27], s[2:3]
	s_cbranch_execz .LBB195_174
; %bb.171:                              ;   in Loop: Header=BB195_136 Depth=1
	v_and_b32_sdwa v29, v28, s39 dst_sel:DWORD dst_unused:UNUSED_PAD src0_sel:BYTE_1 src1_sel:DWORD
	s_mov_b32 s6, s4
	v_cmp_ne_u32_e64 s[2:3], s39, v29
	v_pk_mov_b32 v[32:33], s[6:7], s[6:7] op_sel:[0,1]
	s_and_saveexec_b64 s[34:35], s[2:3]
	s_cbranch_execz .LBB195_173
; %bb.172:                              ;   in Loop: Header=BB195_136 Depth=1
	v_and_b32_sdwa v12, v28, v45 dst_sel:DWORD dst_unused:UNUSED_PAD src0_sel:BYTE_1 src1_sel:DWORD
	v_ffbh_u32_e32 v32, v12
	v_min_u32_e32 v35, 32, v32
	v_subrev_u32_e32 v32, 28, v35
	v_lshlrev_b64 v[32:33], v32, v[12:13]
	v_lshrrev_b32_e32 v34, 3, v29
	v_sub_u32_e32 v33, 29, v35
	v_cmp_gt_u32_e64 s[2:3], 8, v29
	v_and_b32_e32 v32, 7, v32
	v_cndmask_b32_e64 v29, v34, v33, s[2:3]
	v_cndmask_b32_e64 v12, v12, v32, s[2:3]
	v_lshlrev_b32_e32 v32, 16, v28
	v_lshl_add_u32 v29, v29, 23, v44
	v_and_or_b32 v29, v32, s5, v29
	v_lshlrev_b32_e32 v12, 20, v12
	v_or_b32_e32 v33, v29, v12
	v_mov_b32_e32 v32, v13
.LBB195_173:                            ;   in Loop: Header=BB195_136 Depth=1
	s_or_b64 exec, exec, s[34:35]
.LBB195_174:                            ;   in Loop: Header=BB195_136 Depth=1
	s_or_b64 exec, exec, s[26:27]
.LBB195_175:                            ;   in Loop: Header=BB195_136 Depth=1
	s_or_b64 exec, exec, s[24:25]
	v_lshrrev_b32_e32 v12, 16, v28
	v_pk_mov_b32 v[36:37], 0, 0
	v_cmp_ne_u16_sdwa s[2:3], v12, v13 src0_sel:BYTE_0 src1_sel:DWORD
	v_pk_mov_b32 v[34:35], v[36:37], v[36:37] op_sel:[0,1]
	s_and_saveexec_b64 s[24:25], s[2:3]
	s_cbranch_execz .LBB195_181
; %bb.176:                              ;   in Loop: Header=BB195_136 Depth=1
	v_bfrev_b32_e32 v34, 1
	v_cmp_ne_u16_sdwa s[2:3], v12, s38 src0_sel:BYTE_0 src1_sel:DWORD
	v_mov_b32_e32 v35, 0
	s_and_saveexec_b64 s[26:27], s[2:3]
	s_cbranch_execz .LBB195_180
; %bb.177:                              ;   in Loop: Header=BB195_136 Depth=1
	v_bfe_u32 v29, v28, 16, 7
	v_mov_b32_e32 v34, 0x7f800001
	v_cmp_ne_u32_e64 s[2:3], s39, v29
	v_mov_b32_e32 v35, 0
	s_and_saveexec_b64 s[34:35], s[2:3]
	s_cbranch_execz .LBB195_179
; %bb.178:                              ;   in Loop: Header=BB195_136 Depth=1
	v_and_b32_e32 v38, 7, v12
	v_ffbh_u32_e32 v34, v38
	v_min_u32_e32 v48, 32, v34
	v_subrev_u32_e32 v34, 28, v48
	v_lshlrev_b64 v[34:35], v34, v[12:13]
	v_lshrrev_b32_e32 v39, 3, v29
	v_sub_u32_e32 v35, 29, v48
	v_and_b32_e32 v34, 7, v34
	v_cmp_gt_u32_e64 s[2:3], 8, v29
	v_cndmask_b32_e64 v29, v39, v35, s[2:3]
	v_cndmask_b32_e64 v34, v38, v34, s[2:3]
	v_lshlrev_b32_e32 v34, 20, v34
	v_and_b32_sdwa v12, sext(v12), s5 dst_sel:DWORD dst_unused:UNUSED_PAD src0_sel:BYTE_0 src1_sel:DWORD
	v_lshl_add_u32 v29, v29, 23, v44
	v_or3_b32 v12, v12, v29, v34
	v_pk_mov_b32 v[34:35], v[12:13], v[12:13] op_sel:[0,1]
.LBB195_179:                            ;   in Loop: Header=BB195_136 Depth=1
	s_or_b64 exec, exec, s[34:35]
.LBB195_180:                            ;   in Loop: Header=BB195_136 Depth=1
	s_or_b64 exec, exec, s[26:27]
.LBB195_181:                            ;   in Loop: Header=BB195_136 Depth=1
	s_or_b64 exec, exec, s[24:25]
	v_cmp_lt_u32_e64 s[2:3], s43, v28
	s_and_saveexec_b64 s[24:25], s[2:3]
	s_cbranch_execz .LBB195_187
; %bb.182:                              ;   in Loop: Header=BB195_136 Depth=1
	v_cmp_ne_u32_sdwa s[2:3], v28, s38 src0_sel:BYTE_3 src1_sel:DWORD
	v_pk_mov_b32 v[36:37], s[4:5], s[4:5] op_sel:[0,1]
	s_and_saveexec_b64 s[26:27], s[2:3]
	s_cbranch_execz .LBB195_186
; %bb.183:                              ;   in Loop: Header=BB195_136 Depth=1
	v_bfe_u32 v29, v28, 24, 7
	s_mov_b32 s6, s4
	v_cmp_ne_u32_e64 s[2:3], s39, v29
	v_pk_mov_b32 v[36:37], s[6:7], s[6:7] op_sel:[0,1]
	s_and_saveexec_b64 s[34:35], s[2:3]
	s_cbranch_execz .LBB195_185
; %bb.184:                              ;   in Loop: Header=BB195_136 Depth=1
	v_and_b32_sdwa v12, v28, v45 dst_sel:DWORD dst_unused:UNUSED_PAD src0_sel:BYTE_3 src1_sel:DWORD
	v_ffbh_u32_e32 v36, v12
	v_min_u32_e32 v39, 32, v36
	v_subrev_u32_e32 v36, 28, v39
	v_lshlrev_b64 v[36:37], v36, v[12:13]
	v_lshrrev_b32_e32 v38, 3, v29
	v_sub_u32_e32 v37, 29, v39
	v_cmp_gt_u32_e64 s[2:3], 8, v29
	v_and_b32_e32 v36, 7, v36
	v_cndmask_b32_e64 v29, v38, v37, s[2:3]
	v_cndmask_b32_e64 v12, v12, v36, s[2:3]
	v_lshlrev_b32_sdwa v28, v46, v28 dst_sel:DWORD dst_unused:UNUSED_PAD src0_sel:DWORD src1_sel:BYTE_3
	v_lshl_add_u32 v29, v29, 23, v44
	v_and_or_b32 v28, v28, s5, v29
	v_lshlrev_b32_e32 v12, 20, v12
	v_or_b32_e32 v37, v28, v12
	v_mov_b32_e32 v36, v13
.LBB195_185:                            ;   in Loop: Header=BB195_136 Depth=1
	s_or_b64 exec, exec, s[34:35]
.LBB195_186:                            ;   in Loop: Header=BB195_136 Depth=1
	s_or_b64 exec, exec, s[26:27]
.LBB195_187:                            ;   in Loop: Header=BB195_136 Depth=1
	s_or_b64 exec, exec, s[24:25]
	s_mov_b32 s23, s22
	v_or_b32_e32 v29, v33, v31
	v_or_b32_e32 v28, v32, v30
	;; [unrolled: 1-line block ×4, first 2 shown]
	v_pk_mul_f32 v[28:29], s[22:23], v[28:29]
	v_pk_mul_f32 v[30:31], s[22:23], v[30:31]
	s_and_saveexec_b64 s[24:25], s[0:1]
; %bb.188:                              ;   in Loop: Header=BB195_136 Depth=1
	v_cmp_gt_i32_e64 s[2:3], s33, v47
	v_add_u32_e32 v12, 1, v47
	v_cndmask_b32_e64 v28, 0, v28, s[2:3]
	v_cmp_gt_i32_e64 s[2:3], s33, v12
	v_add_u32_e32 v12, 2, v47
	v_cndmask_b32_e64 v29, 0, v29, s[2:3]
	;; [unrolled: 3-line block ×3, first 2 shown]
	v_cmp_gt_i32_e64 s[2:3], s33, v12
	v_cndmask_b32_e64 v31, 0, v31, s[2:3]
; %bb.189:                              ;   in Loop: Header=BB195_136 Depth=1
	s_or_b64 exec, exec, s[24:25]
	global_load_dword v26, v[26:27], off offset:512
	v_pk_mov_b32 v[34:35], 0, 0
	v_pk_mov_b32 v[32:33], v[34:35], v[34:35] op_sel:[0,1]
	s_waitcnt vmcnt(0)
	v_cmp_ne_u16_sdwa s[2:3], v26, v13 src0_sel:BYTE_0 src1_sel:DWORD
	s_and_saveexec_b64 s[24:25], s[2:3]
	s_cbranch_execz .LBB195_195
; %bb.190:                              ;   in Loop: Header=BB195_136 Depth=1
	v_bfrev_b32_e32 v32, 1
	v_cmp_ne_u16_sdwa s[2:3], v26, s38 src0_sel:BYTE_0 src1_sel:DWORD
	v_mov_b32_e32 v33, 0
	s_and_saveexec_b64 s[26:27], s[2:3]
	s_cbranch_execz .LBB195_194
; %bb.191:                              ;   in Loop: Header=BB195_136 Depth=1
	v_and_b32_e32 v12, 0x7f, v26
	v_mov_b32_e32 v32, 0x7f800001
	v_cmp_ne_u32_e64 s[2:3], s39, v12
	v_mov_b32_e32 v33, 0
	s_and_saveexec_b64 s[34:35], s[2:3]
	s_cbranch_execz .LBB195_193
; %bb.192:                              ;   in Loop: Header=BB195_136 Depth=1
	v_and_b32_e32 v27, 7, v26
	v_ffbh_u32_e32 v32, v27
	v_min_u32_e32 v37, 32, v32
	v_subrev_u32_e32 v32, 28, v37
	v_lshlrev_b64 v[32:33], v32, v[26:27]
	v_lshrrev_b32_e32 v36, 3, v12
	v_sub_u32_e32 v33, 29, v37
	v_and_b32_e32 v32, 7, v32
	v_cmp_gt_u32_e64 s[2:3], 8, v12
	v_cndmask_b32_e64 v12, v36, v33, s[2:3]
	v_cndmask_b32_e64 v27, v27, v32, s[2:3]
	v_lshlrev_b32_e32 v27, 20, v27
	v_and_b32_sdwa v32, sext(v26), s5 dst_sel:DWORD dst_unused:UNUSED_PAD src0_sel:BYTE_0 src1_sel:DWORD
	v_lshl_add_u32 v12, v12, 23, v44
	v_or3_b32 v12, v32, v12, v27
	v_pk_mov_b32 v[32:33], v[12:13], v[12:13] op_sel:[0,1]
.LBB195_193:                            ;   in Loop: Header=BB195_136 Depth=1
	s_or_b64 exec, exec, s[34:35]
.LBB195_194:                            ;   in Loop: Header=BB195_136 Depth=1
	s_or_b64 exec, exec, s[26:27]
.LBB195_195:                            ;   in Loop: Header=BB195_136 Depth=1
	s_or_b64 exec, exec, s[24:25]
	v_cmp_ne_u16_sdwa s[2:3], v26, v13 src0_sel:BYTE_1 src1_sel:DWORD
	s_and_saveexec_b64 s[24:25], s[2:3]
	s_cbranch_execz .LBB195_201
; %bb.196:                              ;   in Loop: Header=BB195_136 Depth=1
	v_cmp_ne_u16_sdwa s[2:3], v26, s38 src0_sel:BYTE_1 src1_sel:DWORD
	v_pk_mov_b32 v[34:35], s[4:5], s[4:5] op_sel:[0,1]
	s_and_saveexec_b64 s[26:27], s[2:3]
	s_cbranch_execz .LBB195_200
; %bb.197:                              ;   in Loop: Header=BB195_136 Depth=1
	v_and_b32_sdwa v27, v26, s39 dst_sel:DWORD dst_unused:UNUSED_PAD src0_sel:BYTE_1 src1_sel:DWORD
	s_mov_b32 s6, s4
	v_cmp_ne_u32_e64 s[2:3], s39, v27
	v_pk_mov_b32 v[34:35], s[6:7], s[6:7] op_sel:[0,1]
	s_and_saveexec_b64 s[34:35], s[2:3]
	s_cbranch_execz .LBB195_199
; %bb.198:                              ;   in Loop: Header=BB195_136 Depth=1
	v_and_b32_sdwa v12, v26, v45 dst_sel:DWORD dst_unused:UNUSED_PAD src0_sel:BYTE_1 src1_sel:DWORD
	v_ffbh_u32_e32 v34, v12
	v_min_u32_e32 v37, 32, v34
	v_subrev_u32_e32 v34, 28, v37
	v_lshlrev_b64 v[34:35], v34, v[12:13]
	v_lshrrev_b32_e32 v36, 3, v27
	v_sub_u32_e32 v35, 29, v37
	v_cmp_gt_u32_e64 s[2:3], 8, v27
	v_and_b32_e32 v34, 7, v34
	v_cndmask_b32_e64 v27, v36, v35, s[2:3]
	v_cndmask_b32_e64 v12, v12, v34, s[2:3]
	v_lshlrev_b32_e32 v34, 16, v26
	v_lshl_add_u32 v27, v27, 23, v44
	v_and_or_b32 v27, v34, s5, v27
	v_lshlrev_b32_e32 v12, 20, v12
	v_or_b32_e32 v35, v27, v12
	v_mov_b32_e32 v34, v13
.LBB195_199:                            ;   in Loop: Header=BB195_136 Depth=1
	s_or_b64 exec, exec, s[34:35]
.LBB195_200:                            ;   in Loop: Header=BB195_136 Depth=1
	s_or_b64 exec, exec, s[26:27]
.LBB195_201:                            ;   in Loop: Header=BB195_136 Depth=1
	s_or_b64 exec, exec, s[24:25]
	v_lshrrev_b32_e32 v12, 16, v26
	v_pk_mov_b32 v[38:39], 0, 0
	v_cmp_ne_u16_sdwa s[2:3], v12, v13 src0_sel:BYTE_0 src1_sel:DWORD
	v_pk_mov_b32 v[36:37], v[38:39], v[38:39] op_sel:[0,1]
	s_and_saveexec_b64 s[24:25], s[2:3]
	s_cbranch_execz .LBB195_207
; %bb.202:                              ;   in Loop: Header=BB195_136 Depth=1
	v_bfrev_b32_e32 v36, 1
	v_cmp_ne_u16_sdwa s[2:3], v12, s38 src0_sel:BYTE_0 src1_sel:DWORD
	v_mov_b32_e32 v37, 0
	s_and_saveexec_b64 s[26:27], s[2:3]
	s_cbranch_execz .LBB195_206
; %bb.203:                              ;   in Loop: Header=BB195_136 Depth=1
	v_bfe_u32 v27, v26, 16, 7
	v_mov_b32_e32 v36, 0x7f800001
	v_cmp_ne_u32_e64 s[2:3], s39, v27
	v_mov_b32_e32 v37, 0
	s_and_saveexec_b64 s[34:35], s[2:3]
	s_cbranch_execz .LBB195_205
; %bb.204:                              ;   in Loop: Header=BB195_136 Depth=1
	v_and_b32_e32 v48, 7, v12
	v_ffbh_u32_e32 v36, v48
	v_min_u32_e32 v50, 32, v36
	v_subrev_u32_e32 v36, 28, v50
	v_lshlrev_b64 v[36:37], v36, v[12:13]
	v_lshrrev_b32_e32 v49, 3, v27
	v_sub_u32_e32 v37, 29, v50
	v_and_b32_e32 v36, 7, v36
	v_cmp_gt_u32_e64 s[2:3], 8, v27
	v_cndmask_b32_e64 v27, v49, v37, s[2:3]
	v_cndmask_b32_e64 v36, v48, v36, s[2:3]
	v_lshlrev_b32_e32 v36, 20, v36
	v_and_b32_sdwa v12, sext(v12), s5 dst_sel:DWORD dst_unused:UNUSED_PAD src0_sel:BYTE_0 src1_sel:DWORD
	v_lshl_add_u32 v27, v27, 23, v44
	v_or3_b32 v12, v12, v27, v36
	v_pk_mov_b32 v[36:37], v[12:13], v[12:13] op_sel:[0,1]
.LBB195_205:                            ;   in Loop: Header=BB195_136 Depth=1
	s_or_b64 exec, exec, s[34:35]
.LBB195_206:                            ;   in Loop: Header=BB195_136 Depth=1
	s_or_b64 exec, exec, s[26:27]
.LBB195_207:                            ;   in Loop: Header=BB195_136 Depth=1
	s_or_b64 exec, exec, s[24:25]
	v_cmp_lt_u32_e64 s[2:3], s43, v26
	s_and_saveexec_b64 s[24:25], s[2:3]
	s_cbranch_execz .LBB195_213
; %bb.208:                              ;   in Loop: Header=BB195_136 Depth=1
	v_cmp_ne_u32_sdwa s[2:3], v26, s38 src0_sel:BYTE_3 src1_sel:DWORD
	v_pk_mov_b32 v[38:39], s[4:5], s[4:5] op_sel:[0,1]
	s_and_saveexec_b64 s[26:27], s[2:3]
	s_cbranch_execz .LBB195_212
; %bb.209:                              ;   in Loop: Header=BB195_136 Depth=1
	v_bfe_u32 v27, v26, 24, 7
	s_mov_b32 s6, s4
	v_cmp_ne_u32_e64 s[2:3], s39, v27
	v_pk_mov_b32 v[38:39], s[6:7], s[6:7] op_sel:[0,1]
	s_and_saveexec_b64 s[34:35], s[2:3]
	s_cbranch_execz .LBB195_211
; %bb.210:                              ;   in Loop: Header=BB195_136 Depth=1
	v_and_b32_sdwa v12, v26, v45 dst_sel:DWORD dst_unused:UNUSED_PAD src0_sel:BYTE_3 src1_sel:DWORD
	v_ffbh_u32_e32 v38, v12
	v_min_u32_e32 v49, 32, v38
	v_subrev_u32_e32 v38, 28, v49
	v_lshlrev_b64 v[38:39], v38, v[12:13]
	v_lshrrev_b32_e32 v48, 3, v27
	v_sub_u32_e32 v39, 29, v49
	v_cmp_gt_u32_e64 s[2:3], 8, v27
	v_and_b32_e32 v38, 7, v38
	v_cndmask_b32_e64 v27, v48, v39, s[2:3]
	v_cndmask_b32_e64 v12, v12, v38, s[2:3]
	v_lshlrev_b32_sdwa v26, v46, v26 dst_sel:DWORD dst_unused:UNUSED_PAD src0_sel:DWORD src1_sel:BYTE_3
	v_lshl_add_u32 v27, v27, 23, v44
	v_and_or_b32 v26, v26, s5, v27
	v_lshlrev_b32_e32 v12, 20, v12
	v_or_b32_e32 v39, v26, v12
	v_mov_b32_e32 v38, v13
.LBB195_211:                            ;   in Loop: Header=BB195_136 Depth=1
	s_or_b64 exec, exec, s[34:35]
.LBB195_212:                            ;   in Loop: Header=BB195_136 Depth=1
	s_or_b64 exec, exec, s[26:27]
.LBB195_213:                            ;   in Loop: Header=BB195_136 Depth=1
	s_or_b64 exec, exec, s[24:25]
	v_or_b32_e32 v27, v35, v33
	v_or_b32_e32 v26, v34, v32
	;; [unrolled: 1-line block ×4, first 2 shown]
	v_pk_mul_f32 v[26:27], s[22:23], v[26:27]
	v_pk_mul_f32 v[32:33], s[22:23], v[32:33]
	s_and_saveexec_b64 s[24:25], s[0:1]
; %bb.214:                              ;   in Loop: Header=BB195_136 Depth=1
	v_cmp_gt_i32_e64 s[2:3], s33, v47
	v_add_u32_e32 v12, 1, v47
	v_cndmask_b32_e64 v26, 0, v26, s[2:3]
	v_cmp_gt_i32_e64 s[2:3], s33, v12
	v_add_u32_e32 v12, 2, v47
	v_cndmask_b32_e64 v27, 0, v27, s[2:3]
	v_cmp_gt_i32_e64 s[2:3], s33, v12
	v_add_u32_e32 v12, 3, v47
	v_cndmask_b32_e64 v32, 0, v32, s[2:3]
	v_cmp_gt_i32_e64 s[2:3], s33, v12
	v_cndmask_b32_e64 v33, 0, v33, s[2:3]
; %bb.215:                              ;   in Loop: Header=BB195_136 Depth=1
	s_or_b64 exec, exec, s[24:25]
	v_mul_f32_e32 v12, v7, v23
	v_fmac_f32_e32 v12, v6, v22
	v_fmac_f32_e32 v12, v8, v24
	v_fmac_f32_e32 v12, v9, v25
	v_add_f32_e32 v2, v2, v12
	v_mul_f32_e32 v12, v7, v29
	v_fmac_f32_e32 v12, v6, v28
	v_fmac_f32_e32 v12, v8, v30
	v_fmac_f32_e32 v12, v9, v31
	v_add_f32_e32 v3, v3, v12
	;; [unrolled: 5-line block ×3, first 2 shown]
	s_and_saveexec_b64 s[24:25], vcc
	s_cbranch_execz .LBB195_134
; %bb.216:                              ;   in Loop: Header=BB195_136 Depth=1
	v_add_co_u32_e64 v20, s[2:3], v20, v16
	v_addc_co_u32_e64 v21, s[2:3], 0, v21, s[2:3]
	global_load_dword v20, v[20:21], off
	v_pk_mov_b32 v[24:25], 0, 0
	v_pk_mov_b32 v[22:23], v[24:25], v[24:25] op_sel:[0,1]
	s_waitcnt vmcnt(0)
	v_cmp_ne_u16_sdwa s[2:3], v20, v13 src0_sel:BYTE_0 src1_sel:DWORD
	s_and_saveexec_b64 s[26:27], s[2:3]
	s_cbranch_execz .LBB195_222
; %bb.217:                              ;   in Loop: Header=BB195_136 Depth=1
	v_bfrev_b32_e32 v22, 1
	v_cmp_ne_u16_sdwa s[2:3], v20, s38 src0_sel:BYTE_0 src1_sel:DWORD
	v_mov_b32_e32 v23, 0
	s_and_saveexec_b64 s[34:35], s[2:3]
	s_cbranch_execz .LBB195_221
; %bb.218:                              ;   in Loop: Header=BB195_136 Depth=1
	v_and_b32_e32 v12, 0x7f, v20
	v_mov_b32_e32 v22, 0x7f800001
	v_cmp_ne_u32_e64 s[2:3], s39, v12
	v_mov_b32_e32 v23, 0
	s_and_saveexec_b64 s[36:37], s[2:3]
	s_cbranch_execz .LBB195_220
; %bb.219:                              ;   in Loop: Header=BB195_136 Depth=1
	v_and_b32_e32 v21, 7, v20
	v_ffbh_u32_e32 v22, v21
	v_min_u32_e32 v27, 32, v22
	v_subrev_u32_e32 v22, 28, v27
	v_lshlrev_b64 v[22:23], v22, v[20:21]
	v_lshrrev_b32_e32 v26, 3, v12
	v_sub_u32_e32 v23, 29, v27
	v_and_b32_e32 v22, 7, v22
	v_cmp_gt_u32_e64 s[2:3], 8, v12
	v_cndmask_b32_e64 v12, v26, v23, s[2:3]
	v_cndmask_b32_e64 v21, v21, v22, s[2:3]
	v_lshlrev_b32_e32 v21, 20, v21
	v_and_b32_sdwa v22, sext(v20), s5 dst_sel:DWORD dst_unused:UNUSED_PAD src0_sel:BYTE_0 src1_sel:DWORD
	v_lshl_add_u32 v12, v12, 23, v44
	v_or3_b32 v12, v22, v12, v21
	v_pk_mov_b32 v[22:23], v[12:13], v[12:13] op_sel:[0,1]
.LBB195_220:                            ;   in Loop: Header=BB195_136 Depth=1
	s_or_b64 exec, exec, s[36:37]
.LBB195_221:                            ;   in Loop: Header=BB195_136 Depth=1
	s_or_b64 exec, exec, s[34:35]
.LBB195_222:                            ;   in Loop: Header=BB195_136 Depth=1
	s_or_b64 exec, exec, s[26:27]
	v_cmp_ne_u16_sdwa s[2:3], v20, v13 src0_sel:BYTE_1 src1_sel:DWORD
	s_and_saveexec_b64 s[26:27], s[2:3]
	s_cbranch_execz .LBB195_228
; %bb.223:                              ;   in Loop: Header=BB195_136 Depth=1
	v_cmp_ne_u16_sdwa s[2:3], v20, s38 src0_sel:BYTE_1 src1_sel:DWORD
	v_pk_mov_b32 v[24:25], s[4:5], s[4:5] op_sel:[0,1]
	s_and_saveexec_b64 s[34:35], s[2:3]
	s_cbranch_execz .LBB195_227
; %bb.224:                              ;   in Loop: Header=BB195_136 Depth=1
	v_and_b32_sdwa v21, v20, s39 dst_sel:DWORD dst_unused:UNUSED_PAD src0_sel:BYTE_1 src1_sel:DWORD
	s_mov_b32 s6, s4
	v_cmp_ne_u32_e64 s[2:3], s39, v21
	v_pk_mov_b32 v[24:25], s[6:7], s[6:7] op_sel:[0,1]
	s_and_saveexec_b64 s[36:37], s[2:3]
	s_cbranch_execz .LBB195_226
; %bb.225:                              ;   in Loop: Header=BB195_136 Depth=1
	v_and_b32_sdwa v12, v20, v45 dst_sel:DWORD dst_unused:UNUSED_PAD src0_sel:BYTE_1 src1_sel:DWORD
	v_ffbh_u32_e32 v24, v12
	v_min_u32_e32 v27, 32, v24
	v_subrev_u32_e32 v24, 28, v27
	v_lshlrev_b64 v[24:25], v24, v[12:13]
	v_lshrrev_b32_e32 v26, 3, v21
	v_sub_u32_e32 v25, 29, v27
	v_cmp_gt_u32_e64 s[2:3], 8, v21
	v_and_b32_e32 v24, 7, v24
	v_cndmask_b32_e64 v21, v26, v25, s[2:3]
	v_cndmask_b32_e64 v12, v12, v24, s[2:3]
	v_lshlrev_b32_e32 v24, 16, v20
	v_lshl_add_u32 v21, v21, 23, v44
	v_and_or_b32 v21, v24, s5, v21
	v_lshlrev_b32_e32 v12, 20, v12
	v_or_b32_e32 v25, v21, v12
	v_mov_b32_e32 v24, v13
.LBB195_226:                            ;   in Loop: Header=BB195_136 Depth=1
	s_or_b64 exec, exec, s[36:37]
.LBB195_227:                            ;   in Loop: Header=BB195_136 Depth=1
	s_or_b64 exec, exec, s[34:35]
.LBB195_228:                            ;   in Loop: Header=BB195_136 Depth=1
	s_or_b64 exec, exec, s[26:27]
	v_lshrrev_b32_e32 v12, 16, v20
	v_pk_mov_b32 v[28:29], 0, 0
	v_cmp_ne_u16_sdwa s[2:3], v12, v13 src0_sel:BYTE_0 src1_sel:DWORD
	v_pk_mov_b32 v[26:27], v[28:29], v[28:29] op_sel:[0,1]
	s_and_saveexec_b64 s[26:27], s[2:3]
	s_cbranch_execz .LBB195_234
; %bb.229:                              ;   in Loop: Header=BB195_136 Depth=1
	v_bfrev_b32_e32 v26, 1
	v_cmp_ne_u16_sdwa s[2:3], v12, s38 src0_sel:BYTE_0 src1_sel:DWORD
	v_mov_b32_e32 v27, 0
	s_and_saveexec_b64 s[34:35], s[2:3]
	s_cbranch_execz .LBB195_233
; %bb.230:                              ;   in Loop: Header=BB195_136 Depth=1
	v_bfe_u32 v21, v20, 16, 7
	v_mov_b32_e32 v26, 0x7f800001
	v_cmp_ne_u32_e64 s[2:3], s39, v21
	v_mov_b32_e32 v27, 0
	s_and_saveexec_b64 s[36:37], s[2:3]
	s_cbranch_execz .LBB195_232
; %bb.231:                              ;   in Loop: Header=BB195_136 Depth=1
	v_and_b32_e32 v30, 7, v12
	v_ffbh_u32_e32 v26, v30
	v_min_u32_e32 v32, 32, v26
	v_subrev_u32_e32 v26, 28, v32
	v_lshlrev_b64 v[26:27], v26, v[12:13]
	v_lshrrev_b32_e32 v31, 3, v21
	v_sub_u32_e32 v27, 29, v32
	v_and_b32_e32 v26, 7, v26
	v_cmp_gt_u32_e64 s[2:3], 8, v21
	v_cndmask_b32_e64 v21, v31, v27, s[2:3]
	v_cndmask_b32_e64 v26, v30, v26, s[2:3]
	v_lshlrev_b32_e32 v26, 20, v26
	v_and_b32_sdwa v12, sext(v12), s5 dst_sel:DWORD dst_unused:UNUSED_PAD src0_sel:BYTE_0 src1_sel:DWORD
	v_lshl_add_u32 v21, v21, 23, v44
	v_or3_b32 v12, v12, v21, v26
	v_pk_mov_b32 v[26:27], v[12:13], v[12:13] op_sel:[0,1]
.LBB195_232:                            ;   in Loop: Header=BB195_136 Depth=1
	s_or_b64 exec, exec, s[36:37]
.LBB195_233:                            ;   in Loop: Header=BB195_136 Depth=1
	s_or_b64 exec, exec, s[34:35]
.LBB195_234:                            ;   in Loop: Header=BB195_136 Depth=1
	s_or_b64 exec, exec, s[26:27]
	v_cmp_lt_u32_e64 s[2:3], s43, v20
	s_and_saveexec_b64 s[26:27], s[2:3]
	s_cbranch_execz .LBB195_240
; %bb.235:                              ;   in Loop: Header=BB195_136 Depth=1
	v_cmp_ne_u32_sdwa s[2:3], v20, s38 src0_sel:BYTE_3 src1_sel:DWORD
	v_pk_mov_b32 v[28:29], s[4:5], s[4:5] op_sel:[0,1]
	s_and_saveexec_b64 s[34:35], s[2:3]
	s_cbranch_execz .LBB195_239
; %bb.236:                              ;   in Loop: Header=BB195_136 Depth=1
	v_bfe_u32 v21, v20, 24, 7
	s_mov_b32 s6, s4
	v_cmp_ne_u32_e64 s[2:3], s39, v21
	v_pk_mov_b32 v[28:29], s[6:7], s[6:7] op_sel:[0,1]
	s_and_saveexec_b64 s[36:37], s[2:3]
	s_cbranch_execz .LBB195_238
; %bb.237:                              ;   in Loop: Header=BB195_136 Depth=1
	v_and_b32_sdwa v12, v20, v45 dst_sel:DWORD dst_unused:UNUSED_PAD src0_sel:BYTE_3 src1_sel:DWORD
	v_ffbh_u32_e32 v28, v12
	v_min_u32_e32 v31, 32, v28
	v_subrev_u32_e32 v28, 28, v31
	v_lshlrev_b64 v[28:29], v28, v[12:13]
	v_lshrrev_b32_e32 v30, 3, v21
	v_sub_u32_e32 v29, 29, v31
	v_cmp_gt_u32_e64 s[2:3], 8, v21
	v_and_b32_e32 v28, 7, v28
	v_cndmask_b32_e64 v21, v30, v29, s[2:3]
	v_cndmask_b32_e64 v12, v12, v28, s[2:3]
	v_lshlrev_b32_sdwa v20, v46, v20 dst_sel:DWORD dst_unused:UNUSED_PAD src0_sel:DWORD src1_sel:BYTE_3
	v_lshl_add_u32 v21, v21, 23, v44
	v_and_or_b32 v20, v20, s5, v21
	v_lshlrev_b32_e32 v12, 20, v12
	v_or_b32_e32 v29, v20, v12
	v_mov_b32_e32 v28, v13
.LBB195_238:                            ;   in Loop: Header=BB195_136 Depth=1
	s_or_b64 exec, exec, s[36:37]
.LBB195_239:                            ;   in Loop: Header=BB195_136 Depth=1
	s_or_b64 exec, exec, s[34:35]
.LBB195_240:                            ;   in Loop: Header=BB195_136 Depth=1
	s_or_b64 exec, exec, s[26:27]
	v_or_b32_e32 v21, v25, v23
	v_or_b32_e32 v20, v24, v22
	;; [unrolled: 1-line block ×4, first 2 shown]
	v_pk_mul_f32 v[20:21], s[22:23], v[20:21]
	v_pk_mul_f32 v[22:23], s[22:23], v[22:23]
	s_and_saveexec_b64 s[2:3], s[0:1]
	s_cbranch_execz .LBB195_133
; %bb.241:                              ;   in Loop: Header=BB195_136 Depth=1
	v_cmp_gt_i32_e64 s[0:1], s33, v47
	v_add_u32_e32 v12, 1, v47
	v_cndmask_b32_e64 v20, 0, v20, s[0:1]
	v_cmp_gt_i32_e64 s[0:1], s33, v12
	v_add_u32_e32 v12, 2, v47
	v_cndmask_b32_e64 v21, 0, v21, s[0:1]
	;; [unrolled: 3-line block ×3, first 2 shown]
	v_cmp_gt_i32_e64 s[0:1], s33, v12
	v_cndmask_b32_e64 v23, 0, v23, s[0:1]
	s_branch .LBB195_133
.LBB195_242:
	s_or_b64 exec, exec, s[16:17]
.LBB195_243:
	s_or_b64 exec, exec, s[12:13]
	ds_bpermute_b32 v6, v11, v2
	ds_bpermute_b32 v7, v11, v3
	ds_bpermute_b32 v8, v11, v4
	ds_bpermute_b32 v9, v11, v5
	s_waitcnt lgkmcnt(0)
	s_barrier
	v_pk_add_f32 v[6:7], v[2:3], v[6:7]
	v_pk_add_f32 v[2:3], v[4:5], v[8:9]
	v_and_b32_e32 v4, 0x3c0, v0
	v_cmp_eq_u32_e32 vcc, 64, v4
	s_and_saveexec_b64 s[2:3], vcc
	s_cbranch_execz .LBB195_248
; %bb.244:
	v_cmp_eq_u32_e32 vcc, 0, v40
	s_and_saveexec_b64 s[0:1], vcc
	s_cbranch_execz .LBB195_246
; %bb.245:
	v_mov_b32_e32 v4, 0x1d0
	v_lshl_add_u32 v4, v41, 2, v4
	ds_write2_b32 v4, v6, v7 offset1:32
	ds_write_b32 v4, v2 offset:256
.LBB195_246:
	s_or_b64 exec, exec, s[0:1]
	v_or_b32_e32 v4, 0x60, v41
	s_movk_i32 s0, 0x70
	v_cmp_gt_u32_e64 s[0:1], s0, v4
	s_and_b64 s[0:1], vcc, s[0:1]
	s_and_b64 exec, exec, s[0:1]
	s_cbranch_execz .LBB195_248
; %bb.247:
	v_mov_b32_e32 v4, 0x1d0
	v_lshl_add_u32 v4, v41, 2, v4
	ds_write_b32 v4, v3 offset:384
.LBB195_248:
	s_or_b64 exec, exec, s[2:3]
	v_cmp_gt_u32_e32 vcc, 64, v0
	s_waitcnt lgkmcnt(0)
	s_barrier
	s_and_saveexec_b64 s[4:5], vcc
	s_cbranch_execz .LBB195_256
; %bb.249:
	v_cmp_eq_u32_e64 s[0:1], 0, v40
	s_and_saveexec_b64 s[2:3], s[0:1]
	s_cbranch_execnz .LBB195_262
; %bb.250:
	s_or_b64 exec, exec, s[2:3]
	s_and_saveexec_b64 s[2:3], s[0:1]
	s_cbranch_execnz .LBB195_263
.LBB195_251:
	s_or_b64 exec, exec, s[2:3]
	s_and_saveexec_b64 s[2:3], s[0:1]
	s_cbranch_execz .LBB195_253
.LBB195_252:
	v_mov_b32_e32 v0, 0x1d0
	v_lshl_add_u32 v0, v1, 2, v0
	ds_read_b32 v0, v0 offset:256
	s_waitcnt lgkmcnt(0)
	v_add_f32_e32 v2, v2, v0
.LBB195_253:
	s_or_b64 exec, exec, s[2:3]
	v_or_b32_e32 v0, 0x60, v1
	s_movk_i32 s2, 0x70
	v_cmp_gt_u32_e64 s[2:3], s2, v0
	s_and_b64 s[2:3], s[0:1], s[2:3]
	s_and_saveexec_b64 s[0:1], s[2:3]
	s_cbranch_execz .LBB195_255
; %bb.254:
	v_mov_b32_e32 v0, 0x1d0
	v_lshl_add_u32 v0, v1, 2, v0
	ds_read_b32 v0, v0 offset:384
	s_waitcnt lgkmcnt(0)
	v_add_f32_e32 v3, v3, v0
.LBB195_255:
	s_or_b64 exec, exec, s[0:1]
.LBB195_256:
	s_or_b64 exec, exec, s[4:5]
	s_barrier
	s_and_saveexec_b64 s[0:1], vcc
	s_cbranch_execz .LBB195_261
; %bb.257:
	s_mul_i32 s0, s10, 0x70
	s_ashr_i32 s1, s0, 31
	s_lshl_b64 s[0:1], s[0:1], 2
	s_add_u32 s2, s30, s0
	s_mul_i32 s0, s29, s28
	s_addc_u32 s3, s31, s1
	s_ashr_i32 s1, s0, 31
	s_lshl_b64 s[0:1], s[0:1], 2
	s_add_u32 s2, s2, s0
	s_mul_i32 s0, s8, 0x70
	s_addc_u32 s3, s3, s1
	s_ashr_i32 s1, s0, 31
	s_lshl_b64 s[0:1], s[0:1], 2
	s_add_u32 s2, s2, s0
	s_movk_i32 s4, 0x70
	s_addc_u32 s3, s3, s1
	v_cmp_eq_u32_e32 vcc, 0, v40
	v_lshlrev_b32_e32 v0, 2, v1
	s_and_saveexec_b64 s[0:1], vcc
	s_cbranch_execz .LBB195_259
; %bb.258:
	global_store_dword v0, v6, s[2:3]
	global_store_dword v0, v7, s[2:3] offset:128
	global_store_dword v0, v2, s[2:3] offset:256
.LBB195_259:
	s_or_b64 exec, exec, s[0:1]
	v_or_b32_e32 v1, 0x60, v1
	v_cmp_gt_u32_e64 s[0:1], s4, v1
	s_and_b64 s[0:1], vcc, s[0:1]
	s_and_b64 exec, exec, s[0:1]
	s_cbranch_execz .LBB195_261
; %bb.260:
	global_store_dword v0, v3, s[2:3] offset:384
.LBB195_261:
	s_endpgm
.LBB195_262:
	v_mov_b32_e32 v0, 0x1d0
	v_lshl_add_u32 v0, v1, 2, v0
	ds_read_b32 v0, v0
	s_waitcnt lgkmcnt(0)
	v_add_f32_e32 v6, v6, v0
	s_or_b64 exec, exec, s[2:3]
	s_and_saveexec_b64 s[2:3], s[0:1]
	s_cbranch_execz .LBB195_251
.LBB195_263:
	v_mov_b32_e32 v0, 0x1d0
	v_lshl_add_u32 v0, v1, 2, v0
	ds_read_b32 v0, v0 offset:128
	s_waitcnt lgkmcnt(0)
	v_add_f32_e32 v7, v7, v0
	s_or_b64 exec, exec, s[2:3]
	s_and_saveexec_b64 s[2:3], s[0:1]
	s_cbranch_execnz .LBB195_252
	s_branch .LBB195_253
	.section	.rodata,"a",@progbits
	.p2align	6, 0x0
	.amdhsa_kernel _ZN4vllm25paged_attention_v2_kernelIfhLi112ELi8ELi128ELNS_18Fp8KVCacheDataTypeE1ELb1ELi512EEEvPfS2_PT_PKS3_PKT0_S9_ifPKiSB_iPKfiiiSD_SD_iiiii
		.amdhsa_group_segment_fixed_size 464
		.amdhsa_private_segment_fixed_size 0
		.amdhsa_kernarg_size 400
		.amdhsa_user_sgpr_count 6
		.amdhsa_user_sgpr_private_segment_buffer 1
		.amdhsa_user_sgpr_dispatch_ptr 0
		.amdhsa_user_sgpr_queue_ptr 0
		.amdhsa_user_sgpr_kernarg_segment_ptr 1
		.amdhsa_user_sgpr_dispatch_id 0
		.amdhsa_user_sgpr_flat_scratch_init 0
		.amdhsa_user_sgpr_kernarg_preload_length 0
		.amdhsa_user_sgpr_kernarg_preload_offset 0
		.amdhsa_user_sgpr_private_segment_size 0
		.amdhsa_uses_dynamic_stack 0
		.amdhsa_system_sgpr_private_segment_wavefront_offset 0
		.amdhsa_system_sgpr_workgroup_id_x 1
		.amdhsa_system_sgpr_workgroup_id_y 1
		.amdhsa_system_sgpr_workgroup_id_z 1
		.amdhsa_system_sgpr_workgroup_info 0
		.amdhsa_system_vgpr_workitem_id 0
		.amdhsa_next_free_vgpr 61
		.amdhsa_next_free_sgpr 63
		.amdhsa_accum_offset 64
		.amdhsa_reserve_vcc 1
		.amdhsa_reserve_flat_scratch 0
		.amdhsa_float_round_mode_32 0
		.amdhsa_float_round_mode_16_64 0
		.amdhsa_float_denorm_mode_32 3
		.amdhsa_float_denorm_mode_16_64 3
		.amdhsa_dx10_clamp 1
		.amdhsa_ieee_mode 1
		.amdhsa_fp16_overflow 0
		.amdhsa_tg_split 0
		.amdhsa_exception_fp_ieee_invalid_op 0
		.amdhsa_exception_fp_denorm_src 0
		.amdhsa_exception_fp_ieee_div_zero 0
		.amdhsa_exception_fp_ieee_overflow 0
		.amdhsa_exception_fp_ieee_underflow 0
		.amdhsa_exception_fp_ieee_inexact 0
		.amdhsa_exception_int_div_zero 0
	.end_amdhsa_kernel
	.section	.text._ZN4vllm25paged_attention_v2_kernelIfhLi112ELi8ELi128ELNS_18Fp8KVCacheDataTypeE1ELb1ELi512EEEvPfS2_PT_PKS3_PKT0_S9_ifPKiSB_iPKfiiiSD_SD_iiiii,"axG",@progbits,_ZN4vllm25paged_attention_v2_kernelIfhLi112ELi8ELi128ELNS_18Fp8KVCacheDataTypeE1ELb1ELi512EEEvPfS2_PT_PKS3_PKT0_S9_ifPKiSB_iPKfiiiSD_SD_iiiii,comdat
.Lfunc_end195:
	.size	_ZN4vllm25paged_attention_v2_kernelIfhLi112ELi8ELi128ELNS_18Fp8KVCacheDataTypeE1ELb1ELi512EEEvPfS2_PT_PKS3_PKT0_S9_ifPKiSB_iPKfiiiSD_SD_iiiii, .Lfunc_end195-_ZN4vllm25paged_attention_v2_kernelIfhLi112ELi8ELi128ELNS_18Fp8KVCacheDataTypeE1ELb1ELi512EEEvPfS2_PT_PKS3_PKT0_S9_ifPKiSB_iPKfiiiSD_SD_iiiii
                                        ; -- End function
	.section	.AMDGPU.csdata,"",@progbits
; Kernel info:
; codeLenInByte = 10972
; NumSgprs: 67
; NumVgprs: 61
; NumAgprs: 0
; TotalNumVgprs: 61
; ScratchSize: 0
; MemoryBound: 0
; FloatMode: 240
; IeeeMode: 1
; LDSByteSize: 464 bytes/workgroup (compile time only)
; SGPRBlocks: 8
; VGPRBlocks: 7
; NumSGPRsForWavesPerEU: 67
; NumVGPRsForWavesPerEU: 61
; AccumOffset: 64
; Occupancy: 8
; WaveLimiterHint : 1
; COMPUTE_PGM_RSRC2:SCRATCH_EN: 0
; COMPUTE_PGM_RSRC2:USER_SGPR: 6
; COMPUTE_PGM_RSRC2:TRAP_HANDLER: 0
; COMPUTE_PGM_RSRC2:TGID_X_EN: 1
; COMPUTE_PGM_RSRC2:TGID_Y_EN: 1
; COMPUTE_PGM_RSRC2:TGID_Z_EN: 1
; COMPUTE_PGM_RSRC2:TIDIG_COMP_CNT: 0
; COMPUTE_PGM_RSRC3_GFX90A:ACCUM_OFFSET: 15
; COMPUTE_PGM_RSRC3_GFX90A:TG_SPLIT: 0
	.section	.text._ZN4vllm25paged_attention_v2_kernelIfhLi120ELi8ELi128ELNS_18Fp8KVCacheDataTypeE1ELb1ELi512EEEvPfS2_PT_PKS3_PKT0_S9_ifPKiSB_iPKfiiiSD_SD_iiiii,"axG",@progbits,_ZN4vllm25paged_attention_v2_kernelIfhLi120ELi8ELi128ELNS_18Fp8KVCacheDataTypeE1ELb1ELi512EEEvPfS2_PT_PKS3_PKT0_S9_ifPKiSB_iPKfiiiSD_SD_iiiii,comdat
	.protected	_ZN4vllm25paged_attention_v2_kernelIfhLi120ELi8ELi128ELNS_18Fp8KVCacheDataTypeE1ELb1ELi512EEEvPfS2_PT_PKS3_PKT0_S9_ifPKiSB_iPKfiiiSD_SD_iiiii ; -- Begin function _ZN4vllm25paged_attention_v2_kernelIfhLi120ELi8ELi128ELNS_18Fp8KVCacheDataTypeE1ELb1ELi512EEEvPfS2_PT_PKS3_PKT0_S9_ifPKiSB_iPKfiiiSD_SD_iiiii
	.globl	_ZN4vllm25paged_attention_v2_kernelIfhLi120ELi8ELi128ELNS_18Fp8KVCacheDataTypeE1ELb1ELi512EEEvPfS2_PT_PKS3_PKT0_S9_ifPKiSB_iPKfiiiSD_SD_iiiii
	.p2align	8
	.type	_ZN4vllm25paged_attention_v2_kernelIfhLi120ELi8ELi128ELNS_18Fp8KVCacheDataTypeE1ELb1ELi512EEEvPfS2_PT_PKS3_PKT0_S9_ifPKiSB_iPKfiiiSD_SD_iiiii,@function
_ZN4vllm25paged_attention_v2_kernelIfhLi120ELi8ELi128ELNS_18Fp8KVCacheDataTypeE1ELb1ELi512EEEvPfS2_PT_PKS3_PKT0_S9_ifPKiSB_iPKfiiiSD_SD_iiiii: ; @_ZN4vllm25paged_attention_v2_kernelIfhLi120ELi8ELi128ELNS_18Fp8KVCacheDataTypeE1ELb1ELi512EEEvPfS2_PT_PKS3_PKT0_S9_ifPKiSB_iPKfiiiSD_SD_iiiii
; %bb.0:
	s_load_dwordx2 s[0:1], s[4:5], 0x40
	s_mov_b32 s34, s7
	s_ashr_i32 s35, s7, 31
	s_lshl_b64 s[2:3], s[34:35], 2
	s_waitcnt lgkmcnt(0)
	s_add_u32 s0, s0, s2
	s_addc_u32 s1, s1, s3
	s_load_dword s33, s[0:1], 0x0
	s_lshl_b32 s35, s8, 9
	s_waitcnt lgkmcnt(0)
	s_cmp_ge_i32 s35, s33
	s_cbranch_scc1 .LBB196_267
; %bb.1:
	s_load_dword s9, s[4:5], 0x90
	s_load_dwordx2 s[42:43], s[4:5], 0x30
	s_mov_b32 s56, 0
	s_waitcnt lgkmcnt(0)
	s_abs_i32 s2, s9
	s_abs_i32 s0, s42
	v_cvt_f32_u32_e32 v1, s0
	s_sub_i32 s3, 0, s0
	s_xor_b32 s1, s9, s42
	s_ashr_i32 s1, s1, 31
	v_rcp_iflag_f32_e32 v1, v1
	v_mul_f32_e32 v1, 0x4f7ffffe, v1
	v_cvt_u32_f32_e32 v1, v1
	v_readfirstlane_b32 s7, v1
	s_mul_i32 s3, s3, s7
	s_mul_hi_u32 s3, s7, s3
	s_add_i32 s7, s7, s3
	s_mul_hi_u32 s3, s2, s7
	s_mul_i32 s7, s3, s0
	s_sub_i32 s2, s2, s7
	s_add_i32 s10, s3, 1
	s_sub_i32 s7, s2, s0
	s_cmp_ge_u32 s2, s0
	s_cselect_b32 s3, s10, s3
	s_cselect_b32 s2, s7, s2
	s_add_i32 s7, s3, 1
	s_cmp_ge_u32 s2, s0
	s_cselect_b32 s0, s7, s3
	s_xor_b32 s0, s0, s1
	s_sub_i32 s11, s0, s1
	s_abs_i32 s2, s11
	v_cvt_f32_u32_e32 v1, s2
	s_load_dwordx2 s[0:1], s[4:5], 0x50
	s_sub_i32 s7, 0, s2
	s_abs_i32 s3, s6
	v_rcp_iflag_f32_e32 v1, v1
	v_mul_f32_e32 v1, 0x4f7ffffe, v1
	v_cvt_u32_f32_e32 v1, v1
	v_readfirstlane_b32 s10, v1
	s_mul_i32 s7, s7, s10
	s_mul_hi_u32 s7, s10, s7
	s_add_i32 s10, s10, s7
	s_waitcnt lgkmcnt(0)
	s_cmp_eq_u64 s[0:1], 0
	s_mul_hi_u32 s10, s3, s10
	s_cbranch_scc1 .LBB196_3
; %bb.2:
	s_ashr_i32 s7, s6, 31
	s_lshl_b64 s[12:13], s[6:7], 2
	s_add_u32 s0, s0, s12
	s_addc_u32 s1, s1, s13
	s_load_dword s56, s[0:1], 0x0
.LBB196_3:
	s_load_dwordx4 s[16:19], s[4:5], 0x58
	s_movk_i32 s0, 0x78
	s_ashr_i32 s7, s6, 31
	s_ashr_i32 s11, s11, 31
	v_and_b32_e32 v2, 7, v0
	s_mul_i32 s28, s6, 0x78
	v_cmp_gt_u32_e32 vcc, s0, v0
	v_lshlrev_b32_e32 v27, 2, v0
	v_lshrrev_b32_e32 v1, 1, v0
	s_and_saveexec_b64 s[0:1], vcc
	s_cbranch_execz .LBB196_5
; %bb.4:
	s_load_dwordx2 s[12:13], s[4:5], 0x18
	s_waitcnt lgkmcnt(0)
	s_mul_i32 s14, s34, s16
	s_ashr_i32 s15, s14, 31
	s_lshl_b64 s[14:15], s[14:15], 2
	v_and_b32_e32 v4, 0x1fc, v1
	s_add_u32 s14, s12, s14
	s_addc_u32 s15, s13, s15
	s_ashr_i32 s29, s28, 31
	s_lshl_b64 s[12:13], s[28:29], 2
	s_add_u32 s12, s14, s12
	s_addc_u32 s13, s15, s13
	global_load_dword v3, v27, s[12:13]
	v_mad_u32_u24 v4, v2, 60, v4
	s_waitcnt vmcnt(0)
	ds_write_b32 v4, v3
.LBB196_5:
	s_or_b64 exec, exec, s[0:1]
	s_mul_i32 s1, s10, s2
	s_sub_i32 s1, s3, s1
	s_xor_b32 s0, s7, s11
	s_add_i32 s3, s10, 1
	s_sub_i32 s7, s1, s2
	s_load_dwordx4 s[20:23], s[4:5], 0x78
	s_cmp_ge_u32 s1, s2
	s_cselect_b32 s3, s3, s10
	s_load_dword s10, s[4:5], 0x88
	s_cselect_b32 s1, s7, s1
	s_add_i32 s7, s3, 1
	s_cmp_ge_u32 s1, s2
	s_cselect_b32 s1, s7, s3
	s_waitcnt lgkmcnt(0)
	s_abs_i32 s52, s23
	v_cvt_f32_u32_e32 v3, s52
	s_xor_b32 s1, s1, s0
	s_sub_i32 s2, s1, s0
	s_sub_i32 s0, 0, s52
	v_rcp_iflag_f32_e32 v3, v3
	s_add_i32 s11, s33, -1
	s_abs_i32 s3, s11
	v_mul_f32_e32 v3, 0x4f7ffffe, v3
	v_cvt_u32_f32_e32 v3, v3
	s_barrier
	v_readfirstlane_b32 s53, v3
	s_mul_i32 s0, s0, s53
	s_mul_hi_u32 s0, s53, s0
	s_add_i32 s53, s53, s0
	s_cmp_lt_i32 s10, 0
	s_mul_hi_u32 s7, s3, s53
	s_cbranch_scc0 .LBB196_7
; %bb.6:
	s_mul_i32 s0, s20, s42
	s_add_i32 s0, s2, s0
	s_mul_i32 s0, s0, s10
	s_sub_i32 s42, 1, s0
	s_mov_b64 s[0:1], 0
	s_branch .LBB196_8
.LBB196_7:
	s_mov_b64 s[0:1], -1
                                        ; implicit-def: $sgpr42
.LBB196_8:
	s_load_dwordx2 s[36:37], s[4:5], 0x38
	s_ashr_i32 s11, s11, 31
	s_andn2_b64 vcc, exec, s[0:1]
	s_ashr_i32 s54, s23, 31
	s_cbranch_vccnz .LBB196_10
; %bb.9:
	s_mul_i32 s0, s9, s20
	s_add_i32 s0, s0, s6
	s_mul_i32 s0, s0, s10
	s_add_i32 s42, s0, 1
.LBB196_10:
	s_load_dwordx2 s[40:41], s[4:5], 0x28
	s_load_dword s0, s[4:5], 0x48
	s_load_dwordx4 s[24:27], s[4:5], 0x0
	s_load_dwordx2 s[30:31], s[4:5], 0x10
	s_load_dword s29, s[4:5], 0x98
	s_load_dwordx4 s[12:15], s[4:5], 0x68
	s_mul_i32 s1, s7, s52
	s_waitcnt lgkmcnt(0)
	s_mul_i32 s38, s34, s0
	s_sub_i32 s1, s3, s1
	s_ashr_i32 s39, s38, 31
	s_xor_b32 s0, s11, s54
	s_add_i32 s3, s7, 1
	s_sub_i32 s10, s1, s52
	s_cmp_ge_u32 s1, s52
	s_cselect_b32 s3, s3, s7
	s_cselect_b32 s1, s10, s1
	s_add_i32 s7, s3, 1
	s_cmp_ge_u32 s1, s52
	s_cselect_b32 s1, s7, s3
	s_xor_b32 s1, s1, s0
	s_sub_i32 s16, s1, s0
	s_add_i32 s0, s33, 7
	s_ashr_i32 s1, s0, 31
	s_lshr_b32 s1, s1, 29
	s_add_i32 s0, s0, s1
	s_lshl_b32 s23, s8, 6
	s_ashr_i32 s7, s0, 3
	s_add_i32 s0, s23, 64
	v_lshrrev_b32_e32 v28, 6, v0
	s_min_i32 s55, s0, s7
	v_or_b32_e32 v10, s23, v28
	v_cmp_gt_i32_e64 s[0:1], s55, v10
	v_mov_b32_e32 v31, 0xff7fffff
	s_mul_i32 s20, s2, s18
	v_ashrrev_i32_e32 v11, 31, v10
	v_lshl_add_u32 v40, v28, 3, s35
	v_mbcnt_lo_u32_b32 v3, -1, 0
	s_and_saveexec_b64 s[18:19], s[0:1]
	s_cbranch_execz .LBB196_110
; %bb.11:
	s_load_dwordx2 s[2:3], s[4:5], 0x20
	s_sub_i32 s57, s16, s21
	s_ashr_i32 s4, s20, 31
	v_bfe_u32 v29, v0, 3, 3
	v_lshlrev_b32_e32 v5, 4, v29
	s_waitcnt lgkmcnt(0)
	s_add_u32 s2, s2, s20
	s_addc_u32 s3, s3, s4
	s_abs_i32 s58, s22
	v_cvt_f32_u32_e32 v4, s58
	v_mov_b32_e32 v6, s3
	s_sub_i32 s4, 0, s58
	v_cmp_eq_u32_e32 vcc, 0, v2
	v_rcp_iflag_f32_e32 v7, v4
	v_add_co_u32_e64 v4, s[2:3], s2, v5
	v_addc_co_u32_e64 v5, s[2:3], 0, v6, s[2:3]
	v_mul_f32_e32 v6, 0x4f7ffffe, v7
	v_cvt_u32_f32_e32 v6, v6
	s_mov_b32 s59, s17
	v_mul_u32_u24_e32 v30, 60, v2
	v_cmp_neq_f32_e64 s[2:3], s56, 0
	v_mul_lo_u32 v7, s4, v6
	s_lshl_b64 s[4:5], s[38:39], 2
	v_mul_hi_u32 v7, v6, v7
	s_add_u32 s4, s36, s4
	v_add_u32_e32 v32, v6, v7
	v_lshlrev_b64 v[6:7], 2, v[10:11]
	s_addc_u32 s5, s37, s5
	v_mov_b32_e32 v8, s5
	v_add_co_u32_e64 v6, s[4:5], s4, v6
	v_addc_co_u32_e64 v7, s[4:5], v8, v7, s[4:5]
	v_lshlrev_b32_e32 v8, 2, v29
	v_lshl_or_b32 v8, v28, 5, v8
	v_add_u32_e32 v34, 0x1f0, v8
	v_subrev_u32_e32 v8, s33, v29
	v_lshl_add_u32 v33, v28, 3, s35
	v_add_u32_e32 v35, 1, v8
	s_mov_b64 s[44:45], 0
	v_mov_b32_e32 v36, 0xff7fffff
	s_movk_i32 s60, 0x80
	s_movk_i32 s61, 0x7f
	v_bfrev_b32_e32 v37, 60
	v_mbcnt_hi_u32_b32 v38, -1, v3
	v_mov_b32_e32 v31, 0xff7fffff
	v_mov_b32_e32 v39, v10
	s_branch .LBB196_14
.LBB196_12:                             ;   in Loop: Header=BB196_14 Depth=1
	s_or_b64 exec, exec, s[46:47]
.LBB196_13:                             ;   in Loop: Header=BB196_14 Depth=1
	s_or_b64 exec, exec, s[10:11]
	v_add_co_u32_e64 v6, s[4:5], 8, v6
	v_add_u32_e32 v39, 2, v39
	v_addc_co_u32_e64 v7, s[4:5], 0, v7, s[4:5]
	v_cmp_le_i32_e64 s[4:5], s55, v39
	v_add_u32_e32 v33, 16, v33
	s_or_b64 s[44:45], s[4:5], s[44:45]
	v_add_u32_e32 v34, 64, v34
	s_andn2_b64 exec, exec, s[44:45]
	s_cbranch_execz .LBB196_109
.LBB196_14:                             ; =>This Inner Loop Header: Depth=1
	s_waitcnt lgkmcnt(0)
	v_sub_u32_e32 v9, 0, v33
	v_max_i32_e32 v9, v33, v9
	v_mul_hi_u32 v12, v9, s53
	v_mul_lo_u32 v13, v12, s52
	v_sub_u32_e32 v9, v9, v13
	v_add_u32_e32 v13, 1, v12
	v_cmp_le_u32_e64 s[4:5], s52, v9
	v_cndmask_b32_e64 v12, v12, v13, s[4:5]
	v_subrev_u32_e32 v13, s52, v9
	v_cndmask_b32_e64 v9, v9, v13, s[4:5]
	v_ashrrev_i32_e32 v8, 31, v33
	v_add_u32_e32 v13, 1, v12
	v_cmp_le_u32_e64 s[4:5], s52, v9
	v_xor_b32_e32 v8, s54, v8
	v_cndmask_b32_e64 v9, v12, v13, s[4:5]
	v_xor_b32_e32 v9, v9, v8
	v_sub_u32_e32 v8, v9, v8
	v_add_u32_e32 v9, s42, v8
	v_sub_u32_e32 v13, 0, v9
	v_ashrrev_i32_e32 v12, 31, v9
	v_max_i32_e32 v9, v9, v13
	v_mul_hi_u32 v13, v9, v32
	v_mul_lo_u32 v13, v13, s58
	v_sub_u32_e32 v9, v9, v13
	v_subrev_u32_e32 v13, s58, v9
	v_cmp_le_u32_e64 s[4:5], s58, v9
	v_cndmask_b32_e64 v9, v9, v13, s[4:5]
	v_subrev_u32_e32 v13, s58, v9
	v_cmp_le_u32_e64 s[4:5], s58, v9
	v_cndmask_b32_e64 v9, v9, v13, s[4:5]
	v_xor_b32_e32 v9, v9, v12
	v_sub_u32_e32 v9, v9, v12
	v_cmp_ne_u32_e64 s[4:5], 0, v9
	v_cmp_ge_i32_e64 s[10:11], s57, v8
	s_and_b64 s[4:5], s[4:5], s[10:11]
	s_and_b64 s[46:47], vcc, s[4:5]
	s_and_saveexec_b64 s[10:11], s[46:47]
	s_cbranch_execz .LBB196_16
; %bb.15:                               ;   in Loop: Header=BB196_14 Depth=1
	ds_write_b32 v34, v36
.LBB196_16:                             ;   in Loop: Header=BB196_14 Depth=1
	s_or_b64 exec, exec, s[10:11]
	s_xor_b64 s[4:5], s[4:5], -1
	s_and_saveexec_b64 s[10:11], s[4:5]
	s_cbranch_execz .LBB196_13
; %bb.17:                               ;   in Loop: Header=BB196_14 Depth=1
	global_load_dword v8, v[6:7], off
	v_mov_b32_e32 v42, 0
	v_mov_b32_e32 v43, 0
	s_waitcnt vmcnt(0)
	v_mad_i64_i32 v[8:9], s[4:5], v8, s59, v[4:5]
	v_add_co_u32_e64 v24, s[4:5], v8, v2
	v_addc_co_u32_e64 v25, s[4:5], 0, v9, s[4:5]
	global_load_ubyte v44, v[24:25], off
	ds_read2_b32 v[22:23], v30 offset1:1
	ds_read2_b32 v[20:21], v30 offset0:2 offset1:3
	ds_read2_b32 v[18:19], v30 offset0:4 offset1:5
	;; [unrolled: 1-line block ×6, first 2 shown]
	ds_read_b32 v41, v30 offset:56
	s_load_dword s62, s[12:13], 0x0
	s_waitcnt vmcnt(0)
	v_cmp_ne_u16_e64 s[4:5], 0, v44
	s_and_saveexec_b64 s[46:47], s[4:5]
	s_cbranch_execz .LBB196_23
; %bb.18:                               ;   in Loop: Header=BB196_14 Depth=1
	v_cmp_ne_u16_e64 s[4:5], s60, v44
	v_bfrev_b32_e32 v43, 1
	s_and_saveexec_b64 s[48:49], s[4:5]
	s_cbranch_execz .LBB196_22
; %bb.19:                               ;   in Loop: Header=BB196_14 Depth=1
	v_and_b32_e32 v26, 0xffff, v44
	v_and_b32_e32 v45, 0x7f, v26
	v_cmp_ne_u32_e64 s[4:5], s61, v45
	v_mov_b32_e32 v43, 0x7f800001
	s_and_saveexec_b64 s[50:51], s[4:5]
	s_cbranch_execz .LBB196_21
; %bb.20:                               ;   in Loop: Header=BB196_14 Depth=1
	v_and_b32_e32 v43, 7, v26
	v_ffbh_u32_e32 v46, v43
	v_min_u32_e32 v49, 32, v46
	v_subrev_u32_e32 v46, 28, v49
	v_lshlrev_b64 v[46:47], v46, v[26:27]
	v_lshrrev_b32_e32 v48, 3, v45
	v_sub_u32_e32 v26, 29, v49
	v_and_b32_e32 v46, 7, v46
	v_cmp_gt_u32_e64 s[4:5], 8, v45
	v_cndmask_b32_e64 v26, v48, v26, s[4:5]
	v_cndmask_b32_e64 v43, v43, v46, s[4:5]
	v_lshlrev_b32_e32 v44, 24, v44
	v_lshlrev_b32_e32 v43, 20, v43
	v_and_b32_e32 v44, 0x80000000, v44
	v_lshl_add_u32 v26, v26, 23, v37
	v_or3_b32 v43, v44, v26, v43
.LBB196_21:                             ;   in Loop: Header=BB196_14 Depth=1
	s_or_b64 exec, exec, s[50:51]
.LBB196_22:                             ;   in Loop: Header=BB196_14 Depth=1
	s_or_b64 exec, exec, s[48:49]
.LBB196_23:                             ;   in Loop: Header=BB196_14 Depth=1
	s_or_b64 exec, exec, s[46:47]
	global_load_ubyte v44, v[24:25], off offset:8
	s_waitcnt vmcnt(0)
	v_cmp_ne_u16_e64 s[4:5], 0, v44
	s_and_saveexec_b64 s[46:47], s[4:5]
	s_cbranch_execz .LBB196_29
; %bb.24:                               ;   in Loop: Header=BB196_14 Depth=1
	v_cmp_ne_u16_e64 s[4:5], s60, v44
	v_bfrev_b32_e32 v42, 1
	s_and_saveexec_b64 s[48:49], s[4:5]
	s_cbranch_execz .LBB196_28
; %bb.25:                               ;   in Loop: Header=BB196_14 Depth=1
	v_and_b32_e32 v26, 0xffff, v44
	v_and_b32_e32 v45, 0x7f, v26
	v_cmp_ne_u32_e64 s[4:5], s61, v45
	v_mov_b32_e32 v42, 0x7f800001
	s_and_saveexec_b64 s[50:51], s[4:5]
	s_cbranch_execz .LBB196_27
; %bb.26:                               ;   in Loop: Header=BB196_14 Depth=1
	v_and_b32_e32 v42, 7, v26
	v_ffbh_u32_e32 v46, v42
	v_min_u32_e32 v49, 32, v46
	v_subrev_u32_e32 v46, 28, v49
	v_lshlrev_b64 v[46:47], v46, v[26:27]
	v_lshrrev_b32_e32 v48, 3, v45
	v_sub_u32_e32 v26, 29, v49
	v_and_b32_e32 v46, 7, v46
	v_cmp_gt_u32_e64 s[4:5], 8, v45
	v_cndmask_b32_e64 v26, v48, v26, s[4:5]
	v_cndmask_b32_e64 v42, v42, v46, s[4:5]
	v_lshlrev_b32_e32 v44, 24, v44
	v_lshlrev_b32_e32 v42, 20, v42
	v_and_b32_e32 v44, 0x80000000, v44
	v_lshl_add_u32 v26, v26, 23, v37
	v_or3_b32 v42, v44, v26, v42
.LBB196_27:                             ;   in Loop: Header=BB196_14 Depth=1
	s_or_b64 exec, exec, s[50:51]
.LBB196_28:                             ;   in Loop: Header=BB196_14 Depth=1
	s_or_b64 exec, exec, s[48:49]
.LBB196_29:                             ;   in Loop: Header=BB196_14 Depth=1
	s_or_b64 exec, exec, s[46:47]
	global_load_ubyte v46, v[24:25], off offset:128
	v_mov_b32_e32 v44, 0
	v_mov_b32_e32 v45, 0
	s_waitcnt vmcnt(0)
	v_cmp_ne_u16_e64 s[4:5], 0, v46
	s_and_saveexec_b64 s[46:47], s[4:5]
	s_cbranch_execz .LBB196_35
; %bb.30:                               ;   in Loop: Header=BB196_14 Depth=1
	v_cmp_ne_u16_e64 s[4:5], s60, v46
	v_bfrev_b32_e32 v45, 1
	s_and_saveexec_b64 s[48:49], s[4:5]
	s_cbranch_execz .LBB196_34
; %bb.31:                               ;   in Loop: Header=BB196_14 Depth=1
	v_and_b32_e32 v26, 0xffff, v46
	v_and_b32_e32 v47, 0x7f, v26
	v_cmp_ne_u32_e64 s[4:5], s61, v47
	v_mov_b32_e32 v45, 0x7f800001
	s_and_saveexec_b64 s[50:51], s[4:5]
	s_cbranch_execz .LBB196_33
; %bb.32:                               ;   in Loop: Header=BB196_14 Depth=1
	v_and_b32_e32 v45, 7, v26
	v_ffbh_u32_e32 v48, v45
	v_min_u32_e32 v51, 32, v48
	v_subrev_u32_e32 v48, 28, v51
	v_lshlrev_b64 v[48:49], v48, v[26:27]
	v_lshrrev_b32_e32 v50, 3, v47
	v_sub_u32_e32 v26, 29, v51
	v_and_b32_e32 v48, 7, v48
	v_cmp_gt_u32_e64 s[4:5], 8, v47
	v_cndmask_b32_e64 v26, v50, v26, s[4:5]
	v_cndmask_b32_e64 v45, v45, v48, s[4:5]
	v_lshlrev_b32_e32 v46, 24, v46
	v_lshlrev_b32_e32 v45, 20, v45
	v_and_b32_e32 v46, 0x80000000, v46
	v_lshl_add_u32 v26, v26, 23, v37
	v_or3_b32 v45, v46, v26, v45
.LBB196_33:                             ;   in Loop: Header=BB196_14 Depth=1
	s_or_b64 exec, exec, s[50:51]
.LBB196_34:                             ;   in Loop: Header=BB196_14 Depth=1
	s_or_b64 exec, exec, s[48:49]
.LBB196_35:                             ;   in Loop: Header=BB196_14 Depth=1
	s_or_b64 exec, exec, s[46:47]
	global_load_ubyte v46, v[24:25], off offset:136
	s_waitcnt vmcnt(0)
	v_cmp_ne_u16_e64 s[4:5], 0, v46
	s_and_saveexec_b64 s[46:47], s[4:5]
	s_cbranch_execz .LBB196_41
; %bb.36:                               ;   in Loop: Header=BB196_14 Depth=1
	v_cmp_ne_u16_e64 s[4:5], s60, v46
	v_bfrev_b32_e32 v44, 1
	s_and_saveexec_b64 s[48:49], s[4:5]
	s_cbranch_execz .LBB196_40
; %bb.37:                               ;   in Loop: Header=BB196_14 Depth=1
	v_and_b32_e32 v26, 0xffff, v46
	v_and_b32_e32 v47, 0x7f, v26
	v_cmp_ne_u32_e64 s[4:5], s61, v47
	v_mov_b32_e32 v44, 0x7f800001
	s_and_saveexec_b64 s[50:51], s[4:5]
	s_cbranch_execz .LBB196_39
; %bb.38:                               ;   in Loop: Header=BB196_14 Depth=1
	v_and_b32_e32 v44, 7, v26
	v_ffbh_u32_e32 v48, v44
	v_min_u32_e32 v51, 32, v48
	v_subrev_u32_e32 v48, 28, v51
	v_lshlrev_b64 v[48:49], v48, v[26:27]
	v_lshrrev_b32_e32 v50, 3, v47
	v_sub_u32_e32 v26, 29, v51
	v_and_b32_e32 v48, 7, v48
	v_cmp_gt_u32_e64 s[4:5], 8, v47
	v_cndmask_b32_e64 v26, v50, v26, s[4:5]
	v_cndmask_b32_e64 v44, v44, v48, s[4:5]
	v_lshlrev_b32_e32 v46, 24, v46
	v_lshlrev_b32_e32 v44, 20, v44
	v_and_b32_e32 v46, 0x80000000, v46
	v_lshl_add_u32 v26, v26, 23, v37
	v_or3_b32 v44, v46, v26, v44
.LBB196_39:                             ;   in Loop: Header=BB196_14 Depth=1
	s_or_b64 exec, exec, s[50:51]
.LBB196_40:                             ;   in Loop: Header=BB196_14 Depth=1
	s_or_b64 exec, exec, s[48:49]
.LBB196_41:                             ;   in Loop: Header=BB196_14 Depth=1
	s_or_b64 exec, exec, s[46:47]
	global_load_ubyte v48, v[24:25], off offset:256
	v_mov_b32_e32 v46, 0
	v_mov_b32_e32 v47, 0
	s_waitcnt vmcnt(0)
	v_cmp_ne_u16_e64 s[4:5], 0, v48
	s_and_saveexec_b64 s[46:47], s[4:5]
	s_cbranch_execz .LBB196_47
; %bb.42:                               ;   in Loop: Header=BB196_14 Depth=1
	v_cmp_ne_u16_e64 s[4:5], s60, v48
	v_bfrev_b32_e32 v47, 1
	s_and_saveexec_b64 s[48:49], s[4:5]
	s_cbranch_execz .LBB196_46
; %bb.43:                               ;   in Loop: Header=BB196_14 Depth=1
	v_and_b32_e32 v26, 0xffff, v48
	v_and_b32_e32 v49, 0x7f, v26
	v_cmp_ne_u32_e64 s[4:5], s61, v49
	v_mov_b32_e32 v47, 0x7f800001
	s_and_saveexec_b64 s[50:51], s[4:5]
	s_cbranch_execz .LBB196_45
; %bb.44:                               ;   in Loop: Header=BB196_14 Depth=1
	v_and_b32_e32 v47, 7, v26
	v_ffbh_u32_e32 v50, v47
	v_min_u32_e32 v53, 32, v50
	v_subrev_u32_e32 v50, 28, v53
	v_lshlrev_b64 v[50:51], v50, v[26:27]
	v_lshrrev_b32_e32 v52, 3, v49
	v_sub_u32_e32 v26, 29, v53
	v_and_b32_e32 v50, 7, v50
	v_cmp_gt_u32_e64 s[4:5], 8, v49
	v_cndmask_b32_e64 v26, v52, v26, s[4:5]
	v_cndmask_b32_e64 v47, v47, v50, s[4:5]
	v_lshlrev_b32_e32 v48, 24, v48
	v_lshlrev_b32_e32 v47, 20, v47
	v_and_b32_e32 v48, 0x80000000, v48
	v_lshl_add_u32 v26, v26, 23, v37
	v_or3_b32 v47, v48, v26, v47
.LBB196_45:                             ;   in Loop: Header=BB196_14 Depth=1
	s_or_b64 exec, exec, s[50:51]
.LBB196_46:                             ;   in Loop: Header=BB196_14 Depth=1
	s_or_b64 exec, exec, s[48:49]
.LBB196_47:                             ;   in Loop: Header=BB196_14 Depth=1
	s_or_b64 exec, exec, s[46:47]
	global_load_ubyte v48, v[24:25], off offset:264
	s_waitcnt vmcnt(0)
	v_cmp_ne_u16_e64 s[4:5], 0, v48
	s_and_saveexec_b64 s[46:47], s[4:5]
	s_cbranch_execz .LBB196_53
; %bb.48:                               ;   in Loop: Header=BB196_14 Depth=1
	v_cmp_ne_u16_e64 s[4:5], s60, v48
	v_bfrev_b32_e32 v46, 1
	s_and_saveexec_b64 s[48:49], s[4:5]
	s_cbranch_execz .LBB196_52
; %bb.49:                               ;   in Loop: Header=BB196_14 Depth=1
	v_and_b32_e32 v26, 0xffff, v48
	v_and_b32_e32 v49, 0x7f, v26
	v_cmp_ne_u32_e64 s[4:5], s61, v49
	v_mov_b32_e32 v46, 0x7f800001
	s_and_saveexec_b64 s[50:51], s[4:5]
	s_cbranch_execz .LBB196_51
; %bb.50:                               ;   in Loop: Header=BB196_14 Depth=1
	v_and_b32_e32 v46, 7, v26
	v_ffbh_u32_e32 v50, v46
	v_min_u32_e32 v53, 32, v50
	v_subrev_u32_e32 v50, 28, v53
	v_lshlrev_b64 v[50:51], v50, v[26:27]
	v_lshrrev_b32_e32 v52, 3, v49
	v_sub_u32_e32 v26, 29, v53
	v_and_b32_e32 v50, 7, v50
	v_cmp_gt_u32_e64 s[4:5], 8, v49
	v_cndmask_b32_e64 v26, v52, v26, s[4:5]
	v_cndmask_b32_e64 v46, v46, v50, s[4:5]
	v_lshlrev_b32_e32 v48, 24, v48
	v_lshlrev_b32_e32 v46, 20, v46
	v_and_b32_e32 v48, 0x80000000, v48
	v_lshl_add_u32 v26, v26, 23, v37
	v_or3_b32 v46, v48, v26, v46
.LBB196_51:                             ;   in Loop: Header=BB196_14 Depth=1
	s_or_b64 exec, exec, s[50:51]
.LBB196_52:                             ;   in Loop: Header=BB196_14 Depth=1
	s_or_b64 exec, exec, s[48:49]
.LBB196_53:                             ;   in Loop: Header=BB196_14 Depth=1
	s_or_b64 exec, exec, s[46:47]
	global_load_ubyte v50, v[24:25], off offset:384
	v_mov_b32_e32 v48, 0
	v_mov_b32_e32 v49, 0
	s_waitcnt vmcnt(0)
	v_cmp_ne_u16_e64 s[4:5], 0, v50
	s_and_saveexec_b64 s[46:47], s[4:5]
	s_cbranch_execz .LBB196_59
; %bb.54:                               ;   in Loop: Header=BB196_14 Depth=1
	v_cmp_ne_u16_e64 s[4:5], s60, v50
	v_bfrev_b32_e32 v49, 1
	s_and_saveexec_b64 s[48:49], s[4:5]
	s_cbranch_execz .LBB196_58
; %bb.55:                               ;   in Loop: Header=BB196_14 Depth=1
	v_and_b32_e32 v26, 0xffff, v50
	v_and_b32_e32 v51, 0x7f, v26
	v_cmp_ne_u32_e64 s[4:5], s61, v51
	v_mov_b32_e32 v49, 0x7f800001
	s_and_saveexec_b64 s[50:51], s[4:5]
	s_cbranch_execz .LBB196_57
; %bb.56:                               ;   in Loop: Header=BB196_14 Depth=1
	v_and_b32_e32 v49, 7, v26
	v_ffbh_u32_e32 v52, v49
	v_min_u32_e32 v55, 32, v52
	v_subrev_u32_e32 v52, 28, v55
	v_lshlrev_b64 v[52:53], v52, v[26:27]
	v_lshrrev_b32_e32 v54, 3, v51
	v_sub_u32_e32 v26, 29, v55
	v_and_b32_e32 v52, 7, v52
	v_cmp_gt_u32_e64 s[4:5], 8, v51
	v_cndmask_b32_e64 v26, v54, v26, s[4:5]
	v_cndmask_b32_e64 v49, v49, v52, s[4:5]
	v_lshlrev_b32_e32 v50, 24, v50
	v_lshlrev_b32_e32 v49, 20, v49
	v_and_b32_e32 v50, 0x80000000, v50
	v_lshl_add_u32 v26, v26, 23, v37
	v_or3_b32 v49, v50, v26, v49
.LBB196_57:                             ;   in Loop: Header=BB196_14 Depth=1
	s_or_b64 exec, exec, s[50:51]
.LBB196_58:                             ;   in Loop: Header=BB196_14 Depth=1
	s_or_b64 exec, exec, s[48:49]
.LBB196_59:                             ;   in Loop: Header=BB196_14 Depth=1
	s_or_b64 exec, exec, s[46:47]
	global_load_ubyte v50, v[24:25], off offset:392
	s_waitcnt vmcnt(0)
	v_cmp_ne_u16_e64 s[4:5], 0, v50
	s_and_saveexec_b64 s[46:47], s[4:5]
	s_cbranch_execz .LBB196_65
; %bb.60:                               ;   in Loop: Header=BB196_14 Depth=1
	v_cmp_ne_u16_e64 s[4:5], s60, v50
	v_bfrev_b32_e32 v48, 1
	s_and_saveexec_b64 s[48:49], s[4:5]
	s_cbranch_execz .LBB196_64
; %bb.61:                               ;   in Loop: Header=BB196_14 Depth=1
	v_and_b32_e32 v26, 0xffff, v50
	v_and_b32_e32 v51, 0x7f, v26
	v_cmp_ne_u32_e64 s[4:5], s61, v51
	v_mov_b32_e32 v48, 0x7f800001
	s_and_saveexec_b64 s[50:51], s[4:5]
	s_cbranch_execz .LBB196_63
; %bb.62:                               ;   in Loop: Header=BB196_14 Depth=1
	v_and_b32_e32 v48, 7, v26
	v_ffbh_u32_e32 v52, v48
	v_min_u32_e32 v55, 32, v52
	v_subrev_u32_e32 v52, 28, v55
	v_lshlrev_b64 v[52:53], v52, v[26:27]
	v_lshrrev_b32_e32 v54, 3, v51
	v_sub_u32_e32 v26, 29, v55
	v_and_b32_e32 v52, 7, v52
	v_cmp_gt_u32_e64 s[4:5], 8, v51
	v_cndmask_b32_e64 v26, v54, v26, s[4:5]
	v_cndmask_b32_e64 v48, v48, v52, s[4:5]
	v_lshlrev_b32_e32 v50, 24, v50
	v_lshlrev_b32_e32 v48, 20, v48
	v_and_b32_e32 v50, 0x80000000, v50
	v_lshl_add_u32 v26, v26, 23, v37
	v_or3_b32 v48, v50, v26, v48
.LBB196_63:                             ;   in Loop: Header=BB196_14 Depth=1
	s_or_b64 exec, exec, s[50:51]
.LBB196_64:                             ;   in Loop: Header=BB196_14 Depth=1
	s_or_b64 exec, exec, s[48:49]
.LBB196_65:                             ;   in Loop: Header=BB196_14 Depth=1
	s_or_b64 exec, exec, s[46:47]
	global_load_ubyte v52, v[24:25], off offset:512
	v_mov_b32_e32 v50, 0
	v_mov_b32_e32 v51, 0
	s_waitcnt vmcnt(0)
	v_cmp_ne_u16_e64 s[4:5], 0, v52
	s_and_saveexec_b64 s[46:47], s[4:5]
	s_cbranch_execz .LBB196_71
; %bb.66:                               ;   in Loop: Header=BB196_14 Depth=1
	v_cmp_ne_u16_e64 s[4:5], s60, v52
	v_bfrev_b32_e32 v51, 1
	s_and_saveexec_b64 s[48:49], s[4:5]
	s_cbranch_execz .LBB196_70
; %bb.67:                               ;   in Loop: Header=BB196_14 Depth=1
	v_and_b32_e32 v26, 0xffff, v52
	v_and_b32_e32 v53, 0x7f, v26
	v_cmp_ne_u32_e64 s[4:5], s61, v53
	v_mov_b32_e32 v51, 0x7f800001
	s_and_saveexec_b64 s[50:51], s[4:5]
	s_cbranch_execz .LBB196_69
; %bb.68:                               ;   in Loop: Header=BB196_14 Depth=1
	v_and_b32_e32 v51, 7, v26
	v_ffbh_u32_e32 v54, v51
	v_min_u32_e32 v57, 32, v54
	v_subrev_u32_e32 v54, 28, v57
	v_lshlrev_b64 v[54:55], v54, v[26:27]
	v_lshrrev_b32_e32 v56, 3, v53
	v_sub_u32_e32 v26, 29, v57
	v_and_b32_e32 v54, 7, v54
	v_cmp_gt_u32_e64 s[4:5], 8, v53
	v_cndmask_b32_e64 v26, v56, v26, s[4:5]
	v_cndmask_b32_e64 v51, v51, v54, s[4:5]
	v_lshlrev_b32_e32 v52, 24, v52
	v_lshlrev_b32_e32 v51, 20, v51
	v_and_b32_e32 v52, 0x80000000, v52
	v_lshl_add_u32 v26, v26, 23, v37
	v_or3_b32 v51, v52, v26, v51
.LBB196_69:                             ;   in Loop: Header=BB196_14 Depth=1
	s_or_b64 exec, exec, s[50:51]
.LBB196_70:                             ;   in Loop: Header=BB196_14 Depth=1
	s_or_b64 exec, exec, s[48:49]
.LBB196_71:                             ;   in Loop: Header=BB196_14 Depth=1
	s_or_b64 exec, exec, s[46:47]
	global_load_ubyte v52, v[24:25], off offset:520
	s_waitcnt vmcnt(0)
	v_cmp_ne_u16_e64 s[4:5], 0, v52
	s_and_saveexec_b64 s[46:47], s[4:5]
	s_cbranch_execz .LBB196_77
; %bb.72:                               ;   in Loop: Header=BB196_14 Depth=1
	v_cmp_ne_u16_e64 s[4:5], s60, v52
	v_bfrev_b32_e32 v50, 1
	s_and_saveexec_b64 s[48:49], s[4:5]
	s_cbranch_execz .LBB196_76
; %bb.73:                               ;   in Loop: Header=BB196_14 Depth=1
	v_and_b32_e32 v26, 0xffff, v52
	v_and_b32_e32 v53, 0x7f, v26
	v_cmp_ne_u32_e64 s[4:5], s61, v53
	v_mov_b32_e32 v50, 0x7f800001
	s_and_saveexec_b64 s[50:51], s[4:5]
	s_cbranch_execz .LBB196_75
; %bb.74:                               ;   in Loop: Header=BB196_14 Depth=1
	v_and_b32_e32 v50, 7, v26
	v_ffbh_u32_e32 v54, v50
	v_min_u32_e32 v57, 32, v54
	v_subrev_u32_e32 v54, 28, v57
	v_lshlrev_b64 v[54:55], v54, v[26:27]
	v_lshrrev_b32_e32 v56, 3, v53
	v_sub_u32_e32 v26, 29, v57
	v_and_b32_e32 v54, 7, v54
	v_cmp_gt_u32_e64 s[4:5], 8, v53
	v_cndmask_b32_e64 v26, v56, v26, s[4:5]
	v_cndmask_b32_e64 v50, v50, v54, s[4:5]
	v_lshlrev_b32_e32 v52, 24, v52
	v_lshlrev_b32_e32 v50, 20, v50
	v_and_b32_e32 v52, 0x80000000, v52
	v_lshl_add_u32 v26, v26, 23, v37
	v_or3_b32 v50, v52, v26, v50
.LBB196_75:                             ;   in Loop: Header=BB196_14 Depth=1
	s_or_b64 exec, exec, s[50:51]
.LBB196_76:                             ;   in Loop: Header=BB196_14 Depth=1
	s_or_b64 exec, exec, s[48:49]
.LBB196_77:                             ;   in Loop: Header=BB196_14 Depth=1
	s_or_b64 exec, exec, s[46:47]
	global_load_ubyte v54, v[24:25], off offset:640
	v_mov_b32_e32 v52, 0
	v_mov_b32_e32 v53, 0
	s_waitcnt vmcnt(0)
	v_cmp_ne_u16_e64 s[4:5], 0, v54
	s_and_saveexec_b64 s[46:47], s[4:5]
	s_cbranch_execz .LBB196_83
; %bb.78:                               ;   in Loop: Header=BB196_14 Depth=1
	v_cmp_ne_u16_e64 s[4:5], s60, v54
	v_bfrev_b32_e32 v53, 1
	s_and_saveexec_b64 s[48:49], s[4:5]
	s_cbranch_execz .LBB196_82
; %bb.79:                               ;   in Loop: Header=BB196_14 Depth=1
	v_and_b32_e32 v26, 0xffff, v54
	v_and_b32_e32 v55, 0x7f, v26
	v_cmp_ne_u32_e64 s[4:5], s61, v55
	v_mov_b32_e32 v53, 0x7f800001
	s_and_saveexec_b64 s[50:51], s[4:5]
	s_cbranch_execz .LBB196_81
; %bb.80:                               ;   in Loop: Header=BB196_14 Depth=1
	v_and_b32_e32 v53, 7, v26
	v_ffbh_u32_e32 v56, v53
	v_min_u32_e32 v59, 32, v56
	v_subrev_u32_e32 v56, 28, v59
	v_lshlrev_b64 v[56:57], v56, v[26:27]
	v_lshrrev_b32_e32 v58, 3, v55
	v_sub_u32_e32 v26, 29, v59
	v_and_b32_e32 v56, 7, v56
	v_cmp_gt_u32_e64 s[4:5], 8, v55
	v_cndmask_b32_e64 v26, v58, v26, s[4:5]
	v_cndmask_b32_e64 v53, v53, v56, s[4:5]
	v_lshlrev_b32_e32 v54, 24, v54
	v_lshlrev_b32_e32 v53, 20, v53
	v_and_b32_e32 v54, 0x80000000, v54
	v_lshl_add_u32 v26, v26, 23, v37
	v_or3_b32 v53, v54, v26, v53
.LBB196_81:                             ;   in Loop: Header=BB196_14 Depth=1
	s_or_b64 exec, exec, s[50:51]
.LBB196_82:                             ;   in Loop: Header=BB196_14 Depth=1
	s_or_b64 exec, exec, s[48:49]
.LBB196_83:                             ;   in Loop: Header=BB196_14 Depth=1
	s_or_b64 exec, exec, s[46:47]
	global_load_ubyte v54, v[24:25], off offset:648
	s_waitcnt vmcnt(0)
	v_cmp_ne_u16_e64 s[4:5], 0, v54
	s_and_saveexec_b64 s[46:47], s[4:5]
	s_cbranch_execz .LBB196_89
; %bb.84:                               ;   in Loop: Header=BB196_14 Depth=1
	v_cmp_ne_u16_e64 s[4:5], s60, v54
	v_bfrev_b32_e32 v52, 1
	s_and_saveexec_b64 s[48:49], s[4:5]
	s_cbranch_execz .LBB196_88
; %bb.85:                               ;   in Loop: Header=BB196_14 Depth=1
	v_and_b32_e32 v26, 0xffff, v54
	v_and_b32_e32 v55, 0x7f, v26
	v_cmp_ne_u32_e64 s[4:5], s61, v55
	v_mov_b32_e32 v52, 0x7f800001
	s_and_saveexec_b64 s[50:51], s[4:5]
	s_cbranch_execz .LBB196_87
; %bb.86:                               ;   in Loop: Header=BB196_14 Depth=1
	v_and_b32_e32 v52, 7, v26
	v_ffbh_u32_e32 v56, v52
	v_min_u32_e32 v59, 32, v56
	v_subrev_u32_e32 v56, 28, v59
	v_lshlrev_b64 v[56:57], v56, v[26:27]
	v_lshrrev_b32_e32 v58, 3, v55
	v_sub_u32_e32 v26, 29, v59
	v_and_b32_e32 v56, 7, v56
	v_cmp_gt_u32_e64 s[4:5], 8, v55
	v_cndmask_b32_e64 v26, v58, v26, s[4:5]
	v_cndmask_b32_e64 v52, v52, v56, s[4:5]
	v_lshlrev_b32_e32 v54, 24, v54
	v_lshlrev_b32_e32 v52, 20, v52
	v_and_b32_e32 v54, 0x80000000, v54
	v_lshl_add_u32 v26, v26, 23, v37
	v_or3_b32 v52, v54, v26, v52
.LBB196_87:                             ;   in Loop: Header=BB196_14 Depth=1
	s_or_b64 exec, exec, s[50:51]
.LBB196_88:                             ;   in Loop: Header=BB196_14 Depth=1
	s_or_b64 exec, exec, s[48:49]
.LBB196_89:                             ;   in Loop: Header=BB196_14 Depth=1
	s_or_b64 exec, exec, s[46:47]
	global_load_ubyte v56, v[24:25], off offset:768
	v_mov_b32_e32 v54, 0
	v_mov_b32_e32 v55, 0
	s_waitcnt vmcnt(0)
	v_cmp_ne_u16_e64 s[4:5], 0, v56
	s_and_saveexec_b64 s[46:47], s[4:5]
	s_cbranch_execz .LBB196_95
; %bb.90:                               ;   in Loop: Header=BB196_14 Depth=1
	v_cmp_ne_u16_e64 s[4:5], s60, v56
	v_bfrev_b32_e32 v55, 1
	s_and_saveexec_b64 s[48:49], s[4:5]
	s_cbranch_execz .LBB196_94
; %bb.91:                               ;   in Loop: Header=BB196_14 Depth=1
	v_and_b32_e32 v26, 0xffff, v56
	v_and_b32_e32 v57, 0x7f, v26
	v_cmp_ne_u32_e64 s[4:5], s61, v57
	v_mov_b32_e32 v55, 0x7f800001
	s_and_saveexec_b64 s[50:51], s[4:5]
	s_cbranch_execz .LBB196_93
; %bb.92:                               ;   in Loop: Header=BB196_14 Depth=1
	v_and_b32_e32 v55, 7, v26
	v_ffbh_u32_e32 v58, v55
	v_min_u32_e32 v61, 32, v58
	v_subrev_u32_e32 v58, 28, v61
	v_lshlrev_b64 v[58:59], v58, v[26:27]
	v_lshrrev_b32_e32 v60, 3, v57
	v_sub_u32_e32 v26, 29, v61
	v_and_b32_e32 v58, 7, v58
	v_cmp_gt_u32_e64 s[4:5], 8, v57
	v_cndmask_b32_e64 v26, v60, v26, s[4:5]
	v_cndmask_b32_e64 v55, v55, v58, s[4:5]
	v_lshlrev_b32_e32 v56, 24, v56
	v_lshlrev_b32_e32 v55, 20, v55
	v_and_b32_e32 v56, 0x80000000, v56
	v_lshl_add_u32 v26, v26, 23, v37
	v_or3_b32 v55, v56, v26, v55
.LBB196_93:                             ;   in Loop: Header=BB196_14 Depth=1
	s_or_b64 exec, exec, s[50:51]
.LBB196_94:                             ;   in Loop: Header=BB196_14 Depth=1
	s_or_b64 exec, exec, s[48:49]
.LBB196_95:                             ;   in Loop: Header=BB196_14 Depth=1
	s_or_b64 exec, exec, s[46:47]
	global_load_ubyte v56, v[24:25], off offset:776
	s_waitcnt vmcnt(0)
	v_cmp_ne_u16_e64 s[4:5], 0, v56
	s_and_saveexec_b64 s[46:47], s[4:5]
	s_cbranch_execz .LBB196_101
; %bb.96:                               ;   in Loop: Header=BB196_14 Depth=1
	v_cmp_ne_u16_e64 s[4:5], s60, v56
	v_bfrev_b32_e32 v54, 1
	s_and_saveexec_b64 s[48:49], s[4:5]
	s_cbranch_execz .LBB196_100
; %bb.97:                               ;   in Loop: Header=BB196_14 Depth=1
	v_and_b32_e32 v26, 0xffff, v56
	v_and_b32_e32 v57, 0x7f, v26
	v_cmp_ne_u32_e64 s[4:5], s61, v57
	v_mov_b32_e32 v54, 0x7f800001
	s_and_saveexec_b64 s[50:51], s[4:5]
	s_cbranch_execz .LBB196_99
; %bb.98:                               ;   in Loop: Header=BB196_14 Depth=1
	v_and_b32_e32 v54, 7, v26
	v_ffbh_u32_e32 v58, v54
	v_min_u32_e32 v61, 32, v58
	v_subrev_u32_e32 v58, 28, v61
	v_lshlrev_b64 v[58:59], v58, v[26:27]
	v_lshrrev_b32_e32 v60, 3, v57
	v_sub_u32_e32 v26, 29, v61
	v_and_b32_e32 v58, 7, v58
	v_cmp_gt_u32_e64 s[4:5], 8, v57
	v_cndmask_b32_e64 v26, v60, v26, s[4:5]
	v_cndmask_b32_e64 v54, v54, v58, s[4:5]
	v_lshlrev_b32_e32 v56, 24, v56
	v_lshlrev_b32_e32 v54, 20, v54
	v_and_b32_e32 v56, 0x80000000, v56
	v_lshl_add_u32 v26, v26, 23, v37
	v_or3_b32 v54, v56, v26, v54
.LBB196_99:                             ;   in Loop: Header=BB196_14 Depth=1
	s_or_b64 exec, exec, s[50:51]
.LBB196_100:                            ;   in Loop: Header=BB196_14 Depth=1
	s_or_b64 exec, exec, s[48:49]
.LBB196_101:                            ;   in Loop: Header=BB196_14 Depth=1
	s_or_b64 exec, exec, s[46:47]
	global_load_ubyte v26, v[24:25], off offset:896
	v_mov_b32_e32 v25, 0
	s_waitcnt vmcnt(0)
	v_cmp_ne_u16_e64 s[4:5], 0, v26
	s_and_saveexec_b64 s[46:47], s[4:5]
	s_cbranch_execz .LBB196_107
; %bb.102:                              ;   in Loop: Header=BB196_14 Depth=1
	v_cmp_ne_u16_e64 s[4:5], s60, v26
	v_bfrev_b32_e32 v25, 1
	s_and_saveexec_b64 s[48:49], s[4:5]
	s_cbranch_execz .LBB196_106
; %bb.103:                              ;   in Loop: Header=BB196_14 Depth=1
	v_and_b32_e32 v24, 0xffff, v26
	v_and_b32_e32 v56, 0x7f, v24
	v_cmp_ne_u32_e64 s[4:5], s61, v56
	v_mov_b32_e32 v25, 0x7f800001
	s_and_saveexec_b64 s[50:51], s[4:5]
	s_cbranch_execz .LBB196_105
; %bb.104:                              ;   in Loop: Header=BB196_14 Depth=1
	v_and_b32_e32 v57, 7, v24
	v_ffbh_u32_e32 v25, v57
	v_min_u32_e32 v59, 32, v25
	v_subrev_u32_e32 v25, 28, v59
	v_lshlrev_b64 v[24:25], v25, v[24:25]
	v_lshrrev_b32_e32 v58, 3, v56
	v_sub_u32_e32 v25, 29, v59
	v_and_b32_e32 v24, 7, v24
	v_cmp_gt_u32_e64 s[4:5], 8, v56
	v_cndmask_b32_e64 v25, v58, v25, s[4:5]
	v_cndmask_b32_e64 v24, v57, v24, s[4:5]
	v_lshlrev_b32_e32 v26, 24, v26
	v_lshlrev_b32_e32 v24, 20, v24
	v_and_b32_e32 v26, 0x80000000, v26
	v_lshl_add_u32 v25, v25, 23, v37
	v_or3_b32 v25, v26, v25, v24
.LBB196_105:                            ;   in Loop: Header=BB196_14 Depth=1
	s_or_b64 exec, exec, s[50:51]
.LBB196_106:                            ;   in Loop: Header=BB196_14 Depth=1
	s_or_b64 exec, exec, s[48:49]
.LBB196_107:                            ;   in Loop: Header=BB196_14 Depth=1
	s_or_b64 exec, exec, s[46:47]
	s_waitcnt lgkmcnt(0)
	v_mul_f32_e32 v42, s62, v42
	v_mul_f32_e32 v43, s62, v43
	;; [unrolled: 1-line block ×4, first 2 shown]
	v_fmac_f32_e32 v23, v22, v43
	v_mul_f32_e32 v44, s62, v44
	v_fmac_f32_e32 v23, v20, v45
	v_mul_f32_e32 v47, s62, v47
	;; [unrolled: 2-line block ×9, first 2 shown]
	v_mul_f32_e32 v52, s62, v52
	v_and_b32_e32 v54, 64, v38
	v_fmac_f32_e32 v23, v12, v53
	v_mul_f32_e32 v26, s62, v55
	v_add_u32_e32 v54, 64, v54
	v_xor_b32_e32 v55, 4, v38
	v_fmac_f32_e32 v23, v13, v52
	v_cmp_lt_i32_e64 s[4:5], v55, v54
	v_fmac_f32_e32 v23, v8, v26
	v_cndmask_b32_e64 v55, v38, v55, s[4:5]
	v_mul_f32_e32 v25, s62, v25
	v_fmac_f32_e32 v23, v9, v24
	v_lshlrev_b32_e32 v55, 2, v55
	v_fmac_f32_e32 v23, v41, v25
	ds_bpermute_b32 v8, v55, v23
	v_xor_b32_e32 v9, 2, v38
	v_cmp_lt_i32_e64 s[4:5], v9, v54
	v_cndmask_b32_e64 v9, v38, v9, s[4:5]
	v_lshlrev_b32_e32 v9, 2, v9
	s_waitcnt lgkmcnt(0)
	v_add_f32_e32 v8, v23, v8
	ds_bpermute_b32 v9, v9, v8
	v_xor_b32_e32 v12, 1, v38
	v_cmp_lt_i32_e64 s[4:5], v12, v54
	v_cndmask_b32_e64 v12, v38, v12, s[4:5]
	v_lshlrev_b32_e32 v12, 2, v12
	s_waitcnt lgkmcnt(0)
	v_add_f32_e32 v8, v8, v9
	ds_bpermute_b32 v9, v12, v8
	s_and_saveexec_b64 s[46:47], vcc
	s_cbranch_execz .LBB196_12
; %bb.108:                              ;   in Loop: Header=BB196_14 Depth=1
	v_add_u32_e32 v12, v35, v33
	v_cvt_f32_i32_e32 v12, v12
	s_waitcnt lgkmcnt(0)
	v_add_f32_e32 v8, v8, v9
	v_add_u32_e32 v13, v29, v33
	v_cmp_gt_i32_e64 s[4:5], s33, v13
	v_mul_f32_e32 v9, s56, v12
	v_cndmask_b32_e64 v9, 0, v9, s[2:3]
	v_fmac_f32_e32 v9, s43, v8
	v_cndmask_b32_e64 v8, 0, v9, s[4:5]
	ds_write_b32 v34, v8
	v_max_f32_e32 v8, v31, v31
	v_max_f32_e32 v8, v8, v9
	v_cndmask_b32_e64 v31, v31, v8, s[4:5]
	s_branch .LBB196_12
.LBB196_109:
	s_or_b64 exec, exec, s[44:45]
.LBB196_110:
	s_or_b64 exec, exec, s[18:19]
	v_mbcnt_hi_u32_b32 v2, -1, v3
	v_and_b32_e32 v3, 64, v2
	v_add_u32_e32 v3, 64, v3
	v_xor_b32_e32 v4, 32, v2
	v_cmp_lt_i32_e32 vcc, v4, v3
	v_cndmask_b32_e32 v4, v2, v4, vcc
	v_lshlrev_b32_e32 v7, 2, v4
	ds_bpermute_b32 v4, v7, v31
	v_xor_b32_e32 v6, 16, v2
	v_max_f32_e32 v5, v31, v31
	v_cmp_lt_i32_e32 vcc, v6, v3
	s_waitcnt lgkmcnt(0)
	v_max_f32_e32 v4, v4, v4
	v_max_f32_e32 v4, v5, v4
	v_cndmask_b32_e32 v5, v2, v6, vcc
	v_lshlrev_b32_e32 v9, 2, v5
	ds_bpermute_b32 v5, v9, v4
	v_xor_b32_e32 v6, 8, v2
	v_cmp_lt_i32_e32 vcc, v6, v3
	s_waitcnt lgkmcnt(0)
	v_max_f32_e32 v5, v5, v5
	v_max_f32_e32 v5, v4, v5
	v_cndmask_b32_e32 v4, v2, v6, vcc
	v_lshlrev_b32_e32 v12, 2, v4
	ds_bpermute_b32 v8, v12, v5
	v_and_b32_e32 v4, 63, v0
	v_cmp_eq_u32_e32 vcc, 0, v4
	v_lshlrev_b32_e32 v6, 2, v28
	s_and_saveexec_b64 s[2:3], vcc
	s_cbranch_execz .LBB196_112
; %bb.111:
	s_waitcnt lgkmcnt(0)
	v_max_f32_e32 v8, v8, v8
	v_max_f32_e32 v5, v5, v5
	;; [unrolled: 1-line block ×3, first 2 shown]
	ds_write_b32 v6, v5 offset:480
.LBB196_112:
	s_or_b64 exec, exec, s[2:3]
	v_cmp_gt_u32_e64 s[2:3], 2, v4
	v_mov_b32_e32 v5, 0xff7fffff
	s_waitcnt lgkmcnt(0)
	v_lshlrev_b32_e32 v8, 2, v4
	s_barrier
	s_and_saveexec_b64 s[4:5], s[2:3]
	s_cbranch_execz .LBB196_114
; %bb.113:
	ds_read_b32 v5, v8 offset:480
.LBB196_114:
	s_or_b64 exec, exec, s[4:5]
	v_xor_b32_e32 v13, 1, v2
	v_cmp_lt_i32_e64 s[4:5], v13, v3
	v_cndmask_b32_e64 v13, v2, v13, s[4:5]
	v_lshlrev_b32_e32 v13, 2, v13
	s_waitcnt lgkmcnt(0)
	ds_bpermute_b32 v14, v13, v5
	v_max_f32_e32 v5, v5, v5
	s_sub_i32 s4, s55, s23
	s_lshl_b32 s4, s4, 3
	s_add_i32 s4, s4, s35
	s_waitcnt lgkmcnt(0)
	v_max_f32_e32 v14, v14, v14
	v_max_f32_e32 v5, v5, v14
	v_lshlrev_b32_e32 v14, 2, v2
	v_and_b32_e32 v14, 0x100, v14
	ds_bpermute_b32 v5, v14, v5
	s_min_i32 s43, s4, s33
	s_sub_i32 s23, s43, s35
	v_cmp_gt_i32_e64 s[4:5], s23, v0
	v_mov_b32_e32 v15, 0
	s_and_saveexec_b64 s[12:13], s[4:5]
	s_cbranch_execz .LBB196_118
; %bb.115:
	v_mov_b32_e32 v15, 0x1f0
	v_lshl_add_u32 v16, v0, 2, v15
	s_mov_b64 s[18:19], 0
	v_mov_b32_e32 v15, 0
	v_mov_b32_e32 v17, v0
.LBB196_116:                            ; =>This Inner Loop Header: Depth=1
	ds_read_b32 v18, v16
	v_add_u32_e32 v17, 0x80, v17
	v_cmp_le_i32_e64 s[10:11], s23, v17
	s_or_b64 s[18:19], s[10:11], s[18:19]
	s_waitcnt lgkmcnt(0)
	v_sub_f32_e32 v18, v18, v5
	v_mul_f32_e32 v18, 0x3fb8aa3b, v18
	v_exp_f32_e32 v18, v18
	ds_write_b32 v16, v18
	v_add_f32_e32 v15, v15, v18
	v_add_u32_e32 v16, 0x200, v16
	s_andn2_b64 exec, exec, s[18:19]
	s_cbranch_execnz .LBB196_116
; %bb.117:
	s_or_b64 exec, exec, s[18:19]
.LBB196_118:
	s_or_b64 exec, exec, s[12:13]
	ds_bpermute_b32 v7, v7, v15
	s_waitcnt lgkmcnt(0)
	v_add_f32_e32 v7, v15, v7
	ds_bpermute_b32 v9, v9, v7
	s_waitcnt lgkmcnt(0)
	v_add_f32_e32 v7, v7, v9
	ds_bpermute_b32 v9, v12, v7
	v_xor_b32_e32 v12, 4, v2
	v_cmp_lt_i32_e64 s[10:11], v12, v3
	v_cndmask_b32_e64 v12, v2, v12, s[10:11]
	v_lshlrev_b32_e32 v12, 2, v12
	s_waitcnt lgkmcnt(0)
	v_add_f32_e32 v7, v7, v9
	ds_bpermute_b32 v9, v12, v7
	v_xor_b32_e32 v12, 2, v2
	v_cmp_lt_i32_e64 s[10:11], v12, v3
	v_cndmask_b32_e64 v2, v2, v12, s[10:11]
	v_lshlrev_b32_e32 v2, 2, v2
	s_waitcnt lgkmcnt(0)
	v_add_f32_e32 v3, v7, v9
	ds_bpermute_b32 v2, v2, v3
	s_waitcnt lgkmcnt(0)
	v_add_f32_e32 v2, v3, v2
	ds_bpermute_b32 v3, v13, v2
	s_waitcnt lgkmcnt(0)
	v_add_f32_e32 v2, v2, v3
	s_and_saveexec_b64 s[10:11], vcc
	s_cbranch_execz .LBB196_120
; %bb.119:
	ds_write_b32 v6, v2 offset:488
.LBB196_120:
	s_or_b64 exec, exec, s[10:11]
	s_waitcnt lgkmcnt(0)
	s_barrier
	s_and_saveexec_b64 s[10:11], s[2:3]
	s_cbranch_execz .LBB196_122
; %bb.121:
	ds_read_b32 v2, v8 offset:488
.LBB196_122:
	s_or_b64 exec, exec, s[10:11]
	s_waitcnt lgkmcnt(0)
	ds_bpermute_b32 v3, v13, v2
	s_waitcnt lgkmcnt(0)
	v_add_f32_e32 v2, v2, v3
	ds_bpermute_b32 v6, v14, v2
	s_and_saveexec_b64 s[2:3], s[4:5]
	s_cbranch_execz .LBB196_135
; %bb.123:
	s_waitcnt lgkmcnt(0)
	v_add_f32_e32 v2, 0x358637bd, v6
	v_div_scale_f32 v3, s[4:5], v2, v2, 1.0
	v_rcp_f32_e32 v7, v3
	v_div_scale_f32 v8, vcc, 1.0, v2, 1.0
	s_movk_i32 s4, 0x7f
	v_fma_f32 v9, -v3, v7, 1.0
	v_fmac_f32_e32 v7, v9, v7
	v_mul_f32_e32 v9, v8, v7
	v_fma_f32 v12, -v3, v9, v8
	v_fmac_f32_e32 v9, v12, v7
	v_fma_f32 v3, -v3, v9, v8
	v_div_fmas_f32 v3, v3, v7, v9
	v_div_fixup_f32 v2, v3, v2, 1.0
	v_xad_u32 v3, v0, -1, s43
	v_subrev_u32_e32 v7, s35, v3
	v_cmp_lt_u32_e32 vcc, s4, v7
	s_mov_b64 s[10:11], -1
	v_mov_b32_e32 v3, v0
	s_and_saveexec_b64 s[4:5], vcc
	s_cbranch_execz .LBB196_132
; %bb.124:
	v_lshrrev_b32_e32 v7, 7, v7
	v_add_u32_e32 v9, -1, v7
	v_lshrrev_b32_e32 v8, 1, v9
	v_mov_b32_e32 v3, v2
	v_add_u32_e32 v8, 1, v8
	v_cmp_lt_u32_e32 vcc, 13, v9
	v_mov_b32_e32 v14, 0
	s_and_saveexec_b64 s[10:11], vcc
	s_cbranch_execz .LBB196_128
; %bb.125:
	v_mov_b32_e32 v12, 0x1f0
	v_and_b32_e32 v9, -8, v8
	v_lshl_add_u32 v12, v0, 2, v12
	s_mov_b32 s18, 0
	s_mov_b64 s[12:13], 0
.LBB196_126:                            ; =>This Inner Loop Header: Depth=1
	ds_read2st64_b32 v[14:15], v12 offset1:2
	ds_read2st64_b32 v[16:17], v12 offset0:4 offset1:6
	ds_read2st64_b32 v[18:19], v12 offset0:8 offset1:10
	;; [unrolled: 1-line block ×3, first 2 shown]
	v_add_u32_e32 v9, -8, v9
	s_waitcnt lgkmcnt(3)
	v_pk_mul_f32 v[14:15], v[2:3], v[14:15]
	s_waitcnt lgkmcnt(2)
	v_pk_mul_f32 v[16:17], v[2:3], v[16:17]
	ds_write2st64_b32 v12, v14, v15 offset1:2
	ds_write2st64_b32 v12, v16, v17 offset0:4 offset1:6
	ds_read2st64_b32 v[16:17], v12 offset0:16 offset1:18
	s_waitcnt lgkmcnt(4)
	v_pk_mul_f32 v[14:15], v[2:3], v[18:19]
	ds_write2st64_b32 v12, v14, v15 offset0:8 offset1:10
	s_waitcnt lgkmcnt(4)
	v_pk_mul_f32 v[14:15], v[2:3], v[20:21]
	ds_write2st64_b32 v12, v14, v15 offset0:12 offset1:14
	ds_read2st64_b32 v[14:15], v12 offset0:20 offset1:22
	s_waitcnt lgkmcnt(3)
	v_pk_mul_f32 v[16:17], v[2:3], v[16:17]
	ds_read2st64_b32 v[18:19], v12 offset0:24 offset1:26
	ds_write2st64_b32 v12, v16, v17 offset0:16 offset1:18
	ds_read2st64_b32 v[16:17], v12 offset0:28 offset1:30
	s_waitcnt lgkmcnt(3)
	v_pk_mul_f32 v[14:15], v[2:3], v[14:15]
	ds_write2st64_b32 v12, v14, v15 offset0:20 offset1:22
	s_waitcnt lgkmcnt(3)
	v_pk_mul_f32 v[14:15], v[2:3], v[18:19]
	ds_write2st64_b32 v12, v14, v15 offset0:24 offset1:26
	s_waitcnt lgkmcnt(2)
	v_pk_mul_f32 v[14:15], v[2:3], v[16:17]
	s_add_i32 s18, s18, 16
	v_cmp_eq_u32_e32 vcc, 0, v9
	ds_write2st64_b32 v12, v14, v15 offset0:28 offset1:30
	v_add_u32_e32 v12, 0x2000, v12
	s_or_b64 s[12:13], vcc, s[12:13]
	v_mov_b32_e32 v14, s18
	s_andn2_b64 exec, exec, s[12:13]
	s_cbranch_execnz .LBB196_126
; %bb.127:
	s_or_b64 exec, exec, s[12:13]
.LBB196_128:
	s_or_b64 exec, exec, s[10:11]
	v_and_b32_e32 v8, 7, v8
	v_cmp_ne_u32_e32 vcc, 0, v8
	s_and_saveexec_b64 s[10:11], vcc
	s_cbranch_execz .LBB196_131
; %bb.129:
	v_lshlrev_b32_e32 v9, 9, v14
	s_movk_i32 s12, 0x1f0
	v_add3_u32 v9, v9, v27, s12
	s_mov_b64 s[12:13], 0
.LBB196_130:                            ; =>This Inner Loop Header: Depth=1
	ds_read2st64_b32 v[14:15], v9 offset1:2
	v_add_u32_e32 v8, -1, v8
	v_cmp_eq_u32_e32 vcc, 0, v8
	s_or_b64 s[12:13], vcc, s[12:13]
	s_waitcnt lgkmcnt(0)
	v_pk_mul_f32 v[14:15], v[2:3], v[14:15]
	ds_write2st64_b32 v9, v14, v15 offset1:2
	v_add_u32_e32 v9, 0x400, v9
	s_andn2_b64 exec, exec, s[12:13]
	s_cbranch_execnz .LBB196_130
.LBB196_131:
	s_or_b64 exec, exec, s[10:11]
	v_add_u32_e32 v7, 1, v7
	v_and_b32_e32 v8, 0x3fffffe, v7
	v_cmp_ne_u32_e32 vcc, v7, v8
	v_lshl_add_u32 v3, v8, 7, v0
	s_orn2_b64 s[10:11], vcc, exec
.LBB196_132:
	s_or_b64 exec, exec, s[4:5]
	s_and_b64 exec, exec, s[10:11]
	s_cbranch_execz .LBB196_135
; %bb.133:
	v_mov_b32_e32 v7, 0x1f0
	v_lshl_add_u32 v7, v3, 2, v7
	s_mov_b64 s[4:5], 0
.LBB196_134:                            ; =>This Inner Loop Header: Depth=1
	ds_read_b32 v8, v7
	v_add_u32_e32 v3, 0x80, v3
	v_cmp_le_i32_e32 vcc, s23, v3
	s_or_b64 s[4:5], vcc, s[4:5]
	s_waitcnt lgkmcnt(0)
	v_mul_f32_e32 v8, v2, v8
	ds_write_b32 v7, v8
	v_add_u32_e32 v7, 0x200, v7
	s_andn2_b64 exec, exec, s[4:5]
	s_cbranch_execnz .LBB196_134
.LBB196_135:
	s_or_b64 exec, exec, s[2:3]
	s_mul_i32 s2, s29, s34
	v_cmp_eq_u32_e32 vcc, 0, v0
	s_mul_i32 s10, s2, s9
	s_waitcnt lgkmcnt(0)
	s_barrier
	s_and_saveexec_b64 s[2:3], vcc
	s_cbranch_execz .LBB196_137
; %bb.136:
	s_ashr_i32 s11, s10, 31
	s_lshl_b64 s[4:5], s[10:11], 2
	s_add_u32 s9, s26, s4
	s_mul_i32 s12, s29, s6
	s_addc_u32 s11, s27, s5
	s_ashr_i32 s13, s12, 31
	s_lshl_b64 s[12:13], s[12:13], 2
	s_add_u32 s6, s9, s12
	s_addc_u32 s11, s11, s13
	s_ashr_i32 s9, s8, 31
	s_lshl_b64 s[18:19], s[8:9], 2
	s_add_u32 s26, s6, s18
	s_addc_u32 s27, s11, s19
	s_add_u32 s4, s24, s4
	s_addc_u32 s5, s25, s5
	;; [unrolled: 2-line block ×3, first 2 shown]
	s_add_u32 s4, s4, s18
	v_mov_b32_e32 v2, 0
	s_addc_u32 s5, s5, s19
	global_store_dword v2, v5, s[26:27]
	global_store_dword v2, v6, s[4:5]
.LBB196_137:
	s_or_b64 exec, exec, s[2:3]
	s_mov_b32 s4, 0
	v_mov_b32_e32 v5, 0
	v_lshrrev_b32_e32 v41, 1, v4
	v_and_b32_e32 v17, 1, v0
	v_mov_b32_e32 v4, 0
	v_mov_b32_e32 v3, 0
	;; [unrolled: 1-line block ×3, first 2 shown]
	s_and_saveexec_b64 s[12:13], s[0:1]
	s_cbranch_execz .LBB196_249
; %bb.138:
	s_sub_i32 s9, s16, s21
	s_ashr_i32 s0, s20, 31
	s_add_u32 s18, s40, s20
	s_addc_u32 s19, s41, s0
	s_abs_i32 s11, s22
	v_cvt_f32_u32_e32 v2, s11
	v_or_b32_e32 v3, 0x60, v41
	s_movk_i32 s0, 0x78
	v_and_b32_e32 v42, 4, v27
	v_rcp_iflag_f32_e32 v2, v2
	v_cmp_gt_u32_e32 vcc, s0, v3
	s_sub_i32 s0, 0, s11
	s_add_i32 s41, s7, -1
	v_mul_f32_e32 v2, 0x4f7ffffe, v2
	v_cvt_u32_f32_e32 v2, v2
	v_lshl_or_b32 v16, v3, 3, v42
	s_mov_b32 s5, s4
	s_mov_b32 s6, s4
	v_mul_lo_u32 v3, s0, v2
	s_lshl_b64 s[0:1], s[38:39], 2
	v_mul_hi_u32 v3, v2, v3
	s_add_u32 s0, s36, s0
	v_add_u32_e32 v43, v2, v3
	v_lshlrev_b64 v[2:3], 2, v[10:11]
	s_addc_u32 s1, s37, s1
	v_mov_b32_e32 v4, s1
	v_add_co_u32_e64 v18, s[0:1], s0, v2
	v_lshlrev_b32_e32 v2, 4, v17
	v_lshl_or_b32 v2, v28, 5, v2
	v_addc_co_u32_e64 v19, s[0:1], v4, v3, s[0:1]
	v_add_u32_e32 v11, 0x1f0, v2
	s_mov_b32 s7, s4
	v_pk_mov_b32 v[2:3], s[4:5], s[4:5] op_sel:[0,1]
	s_mov_b32 s40, s17
	v_lshl_or_b32 v12, v41, 3, v42
	v_mov_b32_e32 v15, 0
	s_mov_b64 s[16:17], 0
	v_pk_mov_b32 v[4:5], s[6:7], s[6:7] op_sel:[0,1]
	s_movk_i32 s38, 0x80
	s_movk_i32 s39, 0x7f
	s_brev_b32 s5, 1
	s_mov_b32 s7, 0x7f800001
	s_mov_b32 s43, 0xffffff
	v_bfrev_b32_e32 v44, 60
	v_mov_b32_e32 v45, 7
	v_mov_b32_e32 v46, 24
	s_branch .LBB196_142
.LBB196_139:                            ;   in Loop: Header=BB196_142 Depth=1
	s_or_b64 exec, exec, s[2:3]
	v_mul_f32_e32 v7, v7, v21
	v_fmac_f32_e32 v7, v6, v20
	v_fmac_f32_e32 v7, v8, v22
	;; [unrolled: 1-line block ×3, first 2 shown]
	v_add_f32_e32 v5, v5, v7
.LBB196_140:                            ;   in Loop: Header=BB196_142 Depth=1
	s_or_b64 exec, exec, s[24:25]
.LBB196_141:                            ;   in Loop: Header=BB196_142 Depth=1
	s_or_b64 exec, exec, s[20:21]
	v_add_co_u32_e64 v18, s[0:1], 8, v18
	v_add_u32_e32 v10, 2, v10
	v_addc_co_u32_e64 v19, s[0:1], 0, v19, s[0:1]
	v_cmp_le_i32_e64 s[0:1], s55, v10
	v_add_u32_e32 v40, 16, v40
	s_or_b64 s[16:17], s[0:1], s[16:17]
	v_add_u32_e32 v11, 64, v11
	s_andn2_b64 exec, exec, s[16:17]
	s_cbranch_execz .LBB196_248
.LBB196_142:                            ; =>This Inner Loop Header: Depth=1
	v_sub_u32_e32 v7, 0, v40
	v_max_i32_e32 v7, v40, v7
	v_mul_hi_u32 v8, v7, s53
	v_mul_lo_u32 v9, v8, s52
	v_sub_u32_e32 v7, v7, v9
	v_add_u32_e32 v9, 1, v8
	v_cmp_le_u32_e64 s[0:1], s52, v7
	v_cndmask_b32_e64 v8, v8, v9, s[0:1]
	v_subrev_u32_e32 v9, s52, v7
	v_cndmask_b32_e64 v7, v7, v9, s[0:1]
	v_ashrrev_i32_e32 v6, 31, v40
	v_add_u32_e32 v9, 1, v8
	v_cmp_le_u32_e64 s[0:1], s52, v7
	v_xor_b32_e32 v6, s54, v6
	v_cndmask_b32_e64 v7, v8, v9, s[0:1]
	v_xor_b32_e32 v7, v7, v6
	v_sub_u32_e32 v6, v7, v6
	v_add_u32_e32 v7, s42, v6
	v_sub_u32_e32 v9, 0, v7
	v_ashrrev_i32_e32 v8, 31, v7
	v_max_i32_e32 v7, v7, v9
	v_mul_hi_u32 v9, v7, v43
	v_mul_lo_u32 v9, v9, s11
	v_sub_u32_e32 v7, v7, v9
	v_subrev_u32_e32 v9, s11, v7
	v_cmp_le_u32_e64 s[0:1], s11, v7
	v_cndmask_b32_e64 v7, v7, v9, s[0:1]
	v_subrev_u32_e32 v9, s11, v7
	v_cmp_le_u32_e64 s[0:1], s11, v7
	v_cndmask_b32_e64 v7, v7, v9, s[0:1]
	v_xor_b32_e32 v7, v7, v8
	v_sub_u32_e32 v7, v7, v8
	v_cmp_eq_u32_e64 s[0:1], 0, v7
	v_cmp_lt_i32_e64 s[2:3], s9, v6
	s_or_b64 s[0:1], s[0:1], s[2:3]
	s_and_saveexec_b64 s[20:21], s[0:1]
	s_cbranch_execz .LBB196_141
; %bb.143:                              ;   in Loop: Header=BB196_142 Depth=1
	global_load_dword v8, v[18:19], off
	v_pk_mov_b32 v[6:7], s[18:19], s[18:19] op_sel:[0,1]
	s_load_dword s22, s[14:15], 0x0
	v_pk_mov_b32 v[28:29], 0, 0
	v_pk_mov_b32 v[24:25], v[28:29], v[28:29] op_sel:[0,1]
	s_waitcnt vmcnt(0)
	v_mad_i64_i32 v[20:21], s[0:1], v8, s40, v[6:7]
	v_add_co_u32_e64 v26, s[0:1], v20, v12
	v_addc_co_u32_e64 v27, s[0:1], 0, v21, s[0:1]
	global_load_dword v22, v[26:27], off
	ds_read_b128 v[6:9], v11
	s_waitcnt vmcnt(0)
	v_cmp_ne_u16_sdwa s[0:1], v22, v15 src0_sel:BYTE_0 src1_sel:DWORD
	s_and_saveexec_b64 s[2:3], s[0:1]
	s_cbranch_execz .LBB196_149
; %bb.144:                              ;   in Loop: Header=BB196_142 Depth=1
	v_bfrev_b32_e32 v24, 1
	v_cmp_ne_u16_sdwa s[0:1], v22, s38 src0_sel:BYTE_0 src1_sel:DWORD
	v_mov_b32_e32 v25, 0
	s_and_saveexec_b64 s[24:25], s[0:1]
	s_cbranch_execz .LBB196_148
; %bb.145:                              ;   in Loop: Header=BB196_142 Depth=1
	v_and_b32_e32 v14, 0x7f, v22
	v_mov_b32_e32 v24, 0x7f800001
	v_cmp_ne_u32_e64 s[0:1], s39, v14
	v_mov_b32_e32 v25, 0
	s_and_saveexec_b64 s[26:27], s[0:1]
	s_cbranch_execz .LBB196_147
; %bb.146:                              ;   in Loop: Header=BB196_142 Depth=1
	v_and_b32_e32 v23, 7, v22
	v_ffbh_u32_e32 v24, v23
	v_min_u32_e32 v31, 32, v24
	v_subrev_u32_e32 v24, 28, v31
	v_lshlrev_b64 v[24:25], v24, v[22:23]
	v_lshrrev_b32_e32 v30, 3, v14
	v_sub_u32_e32 v25, 29, v31
	v_and_b32_e32 v24, 7, v24
	v_cmp_gt_u32_e64 s[0:1], 8, v14
	v_cndmask_b32_e64 v14, v30, v25, s[0:1]
	v_cndmask_b32_e64 v23, v23, v24, s[0:1]
	v_lshlrev_b32_e32 v23, 20, v23
	v_and_b32_sdwa v24, sext(v22), s5 dst_sel:DWORD dst_unused:UNUSED_PAD src0_sel:BYTE_0 src1_sel:DWORD
	v_lshl_add_u32 v14, v14, 23, v44
	v_or3_b32 v14, v24, v14, v23
	v_pk_mov_b32 v[24:25], v[14:15], v[14:15] op_sel:[0,1]
.LBB196_147:                            ;   in Loop: Header=BB196_142 Depth=1
	s_or_b64 exec, exec, s[26:27]
.LBB196_148:                            ;   in Loop: Header=BB196_142 Depth=1
	s_or_b64 exec, exec, s[24:25]
.LBB196_149:                            ;   in Loop: Header=BB196_142 Depth=1
	s_or_b64 exec, exec, s[2:3]
	v_cmp_ne_u16_sdwa s[0:1], v22, v15 src0_sel:BYTE_1 src1_sel:DWORD
	s_and_saveexec_b64 s[2:3], s[0:1]
	s_cbranch_execz .LBB196_155
; %bb.150:                              ;   in Loop: Header=BB196_142 Depth=1
	v_cmp_ne_u16_sdwa s[0:1], v22, s38 src0_sel:BYTE_1 src1_sel:DWORD
	v_pk_mov_b32 v[28:29], s[4:5], s[4:5] op_sel:[0,1]
	s_and_saveexec_b64 s[24:25], s[0:1]
	s_cbranch_execz .LBB196_154
; %bb.151:                              ;   in Loop: Header=BB196_142 Depth=1
	v_and_b32_sdwa v23, v22, s39 dst_sel:DWORD dst_unused:UNUSED_PAD src0_sel:BYTE_1 src1_sel:DWORD
	s_mov_b32 s6, s4
	v_cmp_ne_u32_e64 s[0:1], s39, v23
	v_pk_mov_b32 v[28:29], s[6:7], s[6:7] op_sel:[0,1]
	s_and_saveexec_b64 s[26:27], s[0:1]
	s_cbranch_execz .LBB196_153
; %bb.152:                              ;   in Loop: Header=BB196_142 Depth=1
	v_and_b32_sdwa v14, v22, v45 dst_sel:DWORD dst_unused:UNUSED_PAD src0_sel:BYTE_1 src1_sel:DWORD
	v_ffbh_u32_e32 v28, v14
	v_min_u32_e32 v31, 32, v28
	v_subrev_u32_e32 v28, 28, v31
	v_lshlrev_b64 v[28:29], v28, v[14:15]
	v_lshrrev_b32_e32 v30, 3, v23
	v_sub_u32_e32 v29, 29, v31
	v_cmp_gt_u32_e64 s[0:1], 8, v23
	v_and_b32_e32 v28, 7, v28
	v_cndmask_b32_e64 v23, v30, v29, s[0:1]
	v_cndmask_b32_e64 v14, v14, v28, s[0:1]
	v_lshlrev_b32_e32 v28, 16, v22
	v_lshl_add_u32 v23, v23, 23, v44
	v_and_or_b32 v23, v28, s5, v23
	v_lshlrev_b32_e32 v14, 20, v14
	v_or_b32_e32 v29, v23, v14
	v_mov_b32_e32 v28, v15
.LBB196_153:                            ;   in Loop: Header=BB196_142 Depth=1
	s_or_b64 exec, exec, s[26:27]
.LBB196_154:                            ;   in Loop: Header=BB196_142 Depth=1
	s_or_b64 exec, exec, s[24:25]
.LBB196_155:                            ;   in Loop: Header=BB196_142 Depth=1
	s_or_b64 exec, exec, s[2:3]
	v_lshrrev_b32_e32 v14, 16, v22
	v_pk_mov_b32 v[32:33], 0, 0
	v_cmp_ne_u16_sdwa s[0:1], v14, v15 src0_sel:BYTE_0 src1_sel:DWORD
	v_pk_mov_b32 v[30:31], v[32:33], v[32:33] op_sel:[0,1]
	s_and_saveexec_b64 s[2:3], s[0:1]
	s_cbranch_execz .LBB196_161
; %bb.156:                              ;   in Loop: Header=BB196_142 Depth=1
	v_bfrev_b32_e32 v30, 1
	v_cmp_ne_u16_sdwa s[0:1], v14, s38 src0_sel:BYTE_0 src1_sel:DWORD
	v_mov_b32_e32 v31, 0
	s_and_saveexec_b64 s[24:25], s[0:1]
	s_cbranch_execz .LBB196_160
; %bb.157:                              ;   in Loop: Header=BB196_142 Depth=1
	v_bfe_u32 v23, v22, 16, 7
	v_mov_b32_e32 v30, 0x7f800001
	v_cmp_ne_u32_e64 s[0:1], s39, v23
	v_mov_b32_e32 v31, 0
	s_and_saveexec_b64 s[26:27], s[0:1]
	s_cbranch_execz .LBB196_159
; %bb.158:                              ;   in Loop: Header=BB196_142 Depth=1
	v_and_b32_e32 v34, 7, v14
	v_ffbh_u32_e32 v30, v34
	v_min_u32_e32 v36, 32, v30
	v_subrev_u32_e32 v30, 28, v36
	v_lshlrev_b64 v[30:31], v30, v[14:15]
	v_lshrrev_b32_e32 v35, 3, v23
	v_sub_u32_e32 v31, 29, v36
	v_and_b32_e32 v30, 7, v30
	v_cmp_gt_u32_e64 s[0:1], 8, v23
	v_cndmask_b32_e64 v23, v35, v31, s[0:1]
	v_cndmask_b32_e64 v30, v34, v30, s[0:1]
	v_lshlrev_b32_e32 v30, 20, v30
	v_and_b32_sdwa v14, sext(v14), s5 dst_sel:DWORD dst_unused:UNUSED_PAD src0_sel:BYTE_0 src1_sel:DWORD
	v_lshl_add_u32 v23, v23, 23, v44
	v_or3_b32 v14, v14, v23, v30
	v_pk_mov_b32 v[30:31], v[14:15], v[14:15] op_sel:[0,1]
.LBB196_159:                            ;   in Loop: Header=BB196_142 Depth=1
	s_or_b64 exec, exec, s[26:27]
.LBB196_160:                            ;   in Loop: Header=BB196_142 Depth=1
	s_or_b64 exec, exec, s[24:25]
.LBB196_161:                            ;   in Loop: Header=BB196_142 Depth=1
	s_or_b64 exec, exec, s[2:3]
	v_cmp_lt_u32_e64 s[0:1], s43, v22
	s_and_saveexec_b64 s[2:3], s[0:1]
	s_cbranch_execz .LBB196_167
; %bb.162:                              ;   in Loop: Header=BB196_142 Depth=1
	v_cmp_ne_u32_sdwa s[0:1], v22, s38 src0_sel:BYTE_3 src1_sel:DWORD
	v_pk_mov_b32 v[32:33], s[4:5], s[4:5] op_sel:[0,1]
	s_and_saveexec_b64 s[24:25], s[0:1]
	s_cbranch_execz .LBB196_166
; %bb.163:                              ;   in Loop: Header=BB196_142 Depth=1
	v_bfe_u32 v23, v22, 24, 7
	s_mov_b32 s6, s4
	v_cmp_ne_u32_e64 s[0:1], s39, v23
	v_pk_mov_b32 v[32:33], s[6:7], s[6:7] op_sel:[0,1]
	s_and_saveexec_b64 s[26:27], s[0:1]
	s_cbranch_execz .LBB196_165
; %bb.164:                              ;   in Loop: Header=BB196_142 Depth=1
	v_and_b32_sdwa v14, v22, v45 dst_sel:DWORD dst_unused:UNUSED_PAD src0_sel:BYTE_3 src1_sel:DWORD
	v_ffbh_u32_e32 v32, v14
	v_min_u32_e32 v35, 32, v32
	v_subrev_u32_e32 v32, 28, v35
	v_lshlrev_b64 v[32:33], v32, v[14:15]
	v_lshrrev_b32_e32 v34, 3, v23
	v_sub_u32_e32 v33, 29, v35
	v_cmp_gt_u32_e64 s[0:1], 8, v23
	v_and_b32_e32 v32, 7, v32
	v_cndmask_b32_e64 v23, v34, v33, s[0:1]
	v_cndmask_b32_e64 v14, v14, v32, s[0:1]
	v_lshlrev_b32_sdwa v22, v46, v22 dst_sel:DWORD dst_unused:UNUSED_PAD src0_sel:DWORD src1_sel:BYTE_3
	v_lshl_add_u32 v23, v23, 23, v44
	v_and_or_b32 v22, v22, s5, v23
	v_lshlrev_b32_e32 v14, 20, v14
	v_or_b32_e32 v33, v22, v14
	v_mov_b32_e32 v32, v15
.LBB196_165:                            ;   in Loop: Header=BB196_142 Depth=1
	s_or_b64 exec, exec, s[26:27]
.LBB196_166:                            ;   in Loop: Header=BB196_142 Depth=1
	s_or_b64 exec, exec, s[24:25]
.LBB196_167:                            ;   in Loop: Header=BB196_142 Depth=1
	s_or_b64 exec, exec, s[2:3]
	v_or_b32_e32 v23, v29, v25
	v_or_b32_e32 v22, v28, v24
	;; [unrolled: 1-line block ×4, first 2 shown]
	v_add_u32_e32 v47, v42, v40
	v_cmp_eq_u32_e64 s[0:1], s41, v10
	s_waitcnt lgkmcnt(0)
	v_pk_mul_f32 v[22:23], s[22:23], v[22:23] op_sel_hi:[0,1]
	v_pk_mul_f32 v[24:25], s[22:23], v[24:25] op_sel_hi:[0,1]
	s_and_saveexec_b64 s[24:25], s[0:1]
; %bb.168:                              ;   in Loop: Header=BB196_142 Depth=1
	v_cmp_gt_i32_e64 s[2:3], s33, v47
	v_add_u32_e32 v14, 1, v47
	v_cndmask_b32_e64 v22, 0, v22, s[2:3]
	v_cmp_gt_i32_e64 s[2:3], s33, v14
	v_add_u32_e32 v14, 2, v47
	v_cndmask_b32_e64 v23, 0, v23, s[2:3]
	;; [unrolled: 3-line block ×3, first 2 shown]
	v_cmp_gt_i32_e64 s[2:3], s33, v14
	v_cndmask_b32_e64 v25, 0, v25, s[2:3]
; %bb.169:                              ;   in Loop: Header=BB196_142 Depth=1
	s_or_b64 exec, exec, s[24:25]
	global_load_dword v28, v[26:27], off offset:256
	v_pk_mov_b32 v[32:33], 0, 0
	v_pk_mov_b32 v[30:31], v[32:33], v[32:33] op_sel:[0,1]
	s_waitcnt vmcnt(0)
	v_cmp_ne_u16_sdwa s[2:3], v28, v15 src0_sel:BYTE_0 src1_sel:DWORD
	s_and_saveexec_b64 s[24:25], s[2:3]
	s_cbranch_execz .LBB196_175
; %bb.170:                              ;   in Loop: Header=BB196_142 Depth=1
	v_bfrev_b32_e32 v30, 1
	v_cmp_ne_u16_sdwa s[2:3], v28, s38 src0_sel:BYTE_0 src1_sel:DWORD
	v_mov_b32_e32 v31, 0
	s_and_saveexec_b64 s[26:27], s[2:3]
	s_cbranch_execz .LBB196_174
; %bb.171:                              ;   in Loop: Header=BB196_142 Depth=1
	v_and_b32_e32 v14, 0x7f, v28
	v_mov_b32_e32 v30, 0x7f800001
	v_cmp_ne_u32_e64 s[2:3], s39, v14
	v_mov_b32_e32 v31, 0
	s_and_saveexec_b64 s[34:35], s[2:3]
	s_cbranch_execz .LBB196_173
; %bb.172:                              ;   in Loop: Header=BB196_142 Depth=1
	v_and_b32_e32 v29, 7, v28
	v_ffbh_u32_e32 v30, v29
	v_min_u32_e32 v35, 32, v30
	v_subrev_u32_e32 v30, 28, v35
	v_lshlrev_b64 v[30:31], v30, v[28:29]
	v_lshrrev_b32_e32 v34, 3, v14
	v_sub_u32_e32 v31, 29, v35
	v_and_b32_e32 v30, 7, v30
	v_cmp_gt_u32_e64 s[2:3], 8, v14
	v_cndmask_b32_e64 v14, v34, v31, s[2:3]
	v_cndmask_b32_e64 v29, v29, v30, s[2:3]
	v_lshlrev_b32_e32 v29, 20, v29
	v_and_b32_sdwa v30, sext(v28), s5 dst_sel:DWORD dst_unused:UNUSED_PAD src0_sel:BYTE_0 src1_sel:DWORD
	v_lshl_add_u32 v14, v14, 23, v44
	v_or3_b32 v14, v30, v14, v29
	v_pk_mov_b32 v[30:31], v[14:15], v[14:15] op_sel:[0,1]
.LBB196_173:                            ;   in Loop: Header=BB196_142 Depth=1
	s_or_b64 exec, exec, s[34:35]
.LBB196_174:                            ;   in Loop: Header=BB196_142 Depth=1
	s_or_b64 exec, exec, s[26:27]
.LBB196_175:                            ;   in Loop: Header=BB196_142 Depth=1
	s_or_b64 exec, exec, s[24:25]
	v_cmp_ne_u16_sdwa s[2:3], v28, v15 src0_sel:BYTE_1 src1_sel:DWORD
	s_and_saveexec_b64 s[24:25], s[2:3]
	s_cbranch_execz .LBB196_181
; %bb.176:                              ;   in Loop: Header=BB196_142 Depth=1
	v_cmp_ne_u16_sdwa s[2:3], v28, s38 src0_sel:BYTE_1 src1_sel:DWORD
	v_pk_mov_b32 v[32:33], s[4:5], s[4:5] op_sel:[0,1]
	s_and_saveexec_b64 s[26:27], s[2:3]
	s_cbranch_execz .LBB196_180
; %bb.177:                              ;   in Loop: Header=BB196_142 Depth=1
	v_and_b32_sdwa v29, v28, s39 dst_sel:DWORD dst_unused:UNUSED_PAD src0_sel:BYTE_1 src1_sel:DWORD
	s_mov_b32 s6, s4
	v_cmp_ne_u32_e64 s[2:3], s39, v29
	v_pk_mov_b32 v[32:33], s[6:7], s[6:7] op_sel:[0,1]
	s_and_saveexec_b64 s[34:35], s[2:3]
	s_cbranch_execz .LBB196_179
; %bb.178:                              ;   in Loop: Header=BB196_142 Depth=1
	v_and_b32_sdwa v14, v28, v45 dst_sel:DWORD dst_unused:UNUSED_PAD src0_sel:BYTE_1 src1_sel:DWORD
	v_ffbh_u32_e32 v32, v14
	v_min_u32_e32 v35, 32, v32
	v_subrev_u32_e32 v32, 28, v35
	v_lshlrev_b64 v[32:33], v32, v[14:15]
	v_lshrrev_b32_e32 v34, 3, v29
	v_sub_u32_e32 v33, 29, v35
	v_cmp_gt_u32_e64 s[2:3], 8, v29
	v_and_b32_e32 v32, 7, v32
	v_cndmask_b32_e64 v29, v34, v33, s[2:3]
	v_cndmask_b32_e64 v14, v14, v32, s[2:3]
	v_lshlrev_b32_e32 v32, 16, v28
	v_lshl_add_u32 v29, v29, 23, v44
	v_and_or_b32 v29, v32, s5, v29
	v_lshlrev_b32_e32 v14, 20, v14
	v_or_b32_e32 v33, v29, v14
	v_mov_b32_e32 v32, v15
.LBB196_179:                            ;   in Loop: Header=BB196_142 Depth=1
	s_or_b64 exec, exec, s[34:35]
.LBB196_180:                            ;   in Loop: Header=BB196_142 Depth=1
	s_or_b64 exec, exec, s[26:27]
.LBB196_181:                            ;   in Loop: Header=BB196_142 Depth=1
	s_or_b64 exec, exec, s[24:25]
	v_lshrrev_b32_e32 v14, 16, v28
	v_pk_mov_b32 v[36:37], 0, 0
	v_cmp_ne_u16_sdwa s[2:3], v14, v15 src0_sel:BYTE_0 src1_sel:DWORD
	v_pk_mov_b32 v[34:35], v[36:37], v[36:37] op_sel:[0,1]
	s_and_saveexec_b64 s[24:25], s[2:3]
	s_cbranch_execz .LBB196_187
; %bb.182:                              ;   in Loop: Header=BB196_142 Depth=1
	v_bfrev_b32_e32 v34, 1
	v_cmp_ne_u16_sdwa s[2:3], v14, s38 src0_sel:BYTE_0 src1_sel:DWORD
	v_mov_b32_e32 v35, 0
	s_and_saveexec_b64 s[26:27], s[2:3]
	s_cbranch_execz .LBB196_186
; %bb.183:                              ;   in Loop: Header=BB196_142 Depth=1
	v_bfe_u32 v29, v28, 16, 7
	v_mov_b32_e32 v34, 0x7f800001
	v_cmp_ne_u32_e64 s[2:3], s39, v29
	v_mov_b32_e32 v35, 0
	s_and_saveexec_b64 s[34:35], s[2:3]
	s_cbranch_execz .LBB196_185
; %bb.184:                              ;   in Loop: Header=BB196_142 Depth=1
	v_and_b32_e32 v38, 7, v14
	v_ffbh_u32_e32 v34, v38
	v_min_u32_e32 v48, 32, v34
	v_subrev_u32_e32 v34, 28, v48
	v_lshlrev_b64 v[34:35], v34, v[14:15]
	v_lshrrev_b32_e32 v39, 3, v29
	v_sub_u32_e32 v35, 29, v48
	v_and_b32_e32 v34, 7, v34
	v_cmp_gt_u32_e64 s[2:3], 8, v29
	v_cndmask_b32_e64 v29, v39, v35, s[2:3]
	v_cndmask_b32_e64 v34, v38, v34, s[2:3]
	v_lshlrev_b32_e32 v34, 20, v34
	v_and_b32_sdwa v14, sext(v14), s5 dst_sel:DWORD dst_unused:UNUSED_PAD src0_sel:BYTE_0 src1_sel:DWORD
	v_lshl_add_u32 v29, v29, 23, v44
	v_or3_b32 v14, v14, v29, v34
	v_pk_mov_b32 v[34:35], v[14:15], v[14:15] op_sel:[0,1]
.LBB196_185:                            ;   in Loop: Header=BB196_142 Depth=1
	s_or_b64 exec, exec, s[34:35]
.LBB196_186:                            ;   in Loop: Header=BB196_142 Depth=1
	s_or_b64 exec, exec, s[26:27]
.LBB196_187:                            ;   in Loop: Header=BB196_142 Depth=1
	s_or_b64 exec, exec, s[24:25]
	v_cmp_lt_u32_e64 s[2:3], s43, v28
	s_and_saveexec_b64 s[24:25], s[2:3]
	s_cbranch_execz .LBB196_193
; %bb.188:                              ;   in Loop: Header=BB196_142 Depth=1
	v_cmp_ne_u32_sdwa s[2:3], v28, s38 src0_sel:BYTE_3 src1_sel:DWORD
	v_pk_mov_b32 v[36:37], s[4:5], s[4:5] op_sel:[0,1]
	s_and_saveexec_b64 s[26:27], s[2:3]
	s_cbranch_execz .LBB196_192
; %bb.189:                              ;   in Loop: Header=BB196_142 Depth=1
	v_bfe_u32 v29, v28, 24, 7
	s_mov_b32 s6, s4
	v_cmp_ne_u32_e64 s[2:3], s39, v29
	v_pk_mov_b32 v[36:37], s[6:7], s[6:7] op_sel:[0,1]
	s_and_saveexec_b64 s[34:35], s[2:3]
	s_cbranch_execz .LBB196_191
; %bb.190:                              ;   in Loop: Header=BB196_142 Depth=1
	v_and_b32_sdwa v14, v28, v45 dst_sel:DWORD dst_unused:UNUSED_PAD src0_sel:BYTE_3 src1_sel:DWORD
	v_ffbh_u32_e32 v36, v14
	v_min_u32_e32 v39, 32, v36
	v_subrev_u32_e32 v36, 28, v39
	v_lshlrev_b64 v[36:37], v36, v[14:15]
	v_lshrrev_b32_e32 v38, 3, v29
	v_sub_u32_e32 v37, 29, v39
	v_cmp_gt_u32_e64 s[2:3], 8, v29
	v_and_b32_e32 v36, 7, v36
	v_cndmask_b32_e64 v29, v38, v37, s[2:3]
	v_cndmask_b32_e64 v14, v14, v36, s[2:3]
	v_lshlrev_b32_sdwa v28, v46, v28 dst_sel:DWORD dst_unused:UNUSED_PAD src0_sel:DWORD src1_sel:BYTE_3
	v_lshl_add_u32 v29, v29, 23, v44
	v_and_or_b32 v28, v28, s5, v29
	v_lshlrev_b32_e32 v14, 20, v14
	v_or_b32_e32 v37, v28, v14
	v_mov_b32_e32 v36, v15
.LBB196_191:                            ;   in Loop: Header=BB196_142 Depth=1
	s_or_b64 exec, exec, s[34:35]
.LBB196_192:                            ;   in Loop: Header=BB196_142 Depth=1
	s_or_b64 exec, exec, s[26:27]
.LBB196_193:                            ;   in Loop: Header=BB196_142 Depth=1
	s_or_b64 exec, exec, s[24:25]
	s_mov_b32 s23, s22
	v_or_b32_e32 v29, v33, v31
	v_or_b32_e32 v28, v32, v30
	;; [unrolled: 1-line block ×4, first 2 shown]
	v_pk_mul_f32 v[28:29], s[22:23], v[28:29]
	v_pk_mul_f32 v[30:31], s[22:23], v[30:31]
	s_and_saveexec_b64 s[24:25], s[0:1]
; %bb.194:                              ;   in Loop: Header=BB196_142 Depth=1
	v_cmp_gt_i32_e64 s[2:3], s33, v47
	v_add_u32_e32 v14, 1, v47
	v_cndmask_b32_e64 v28, 0, v28, s[2:3]
	v_cmp_gt_i32_e64 s[2:3], s33, v14
	v_add_u32_e32 v14, 2, v47
	v_cndmask_b32_e64 v29, 0, v29, s[2:3]
	;; [unrolled: 3-line block ×3, first 2 shown]
	v_cmp_gt_i32_e64 s[2:3], s33, v14
	v_cndmask_b32_e64 v31, 0, v31, s[2:3]
; %bb.195:                              ;   in Loop: Header=BB196_142 Depth=1
	s_or_b64 exec, exec, s[24:25]
	global_load_dword v26, v[26:27], off offset:512
	v_pk_mov_b32 v[34:35], 0, 0
	v_pk_mov_b32 v[32:33], v[34:35], v[34:35] op_sel:[0,1]
	s_waitcnt vmcnt(0)
	v_cmp_ne_u16_sdwa s[2:3], v26, v15 src0_sel:BYTE_0 src1_sel:DWORD
	s_and_saveexec_b64 s[24:25], s[2:3]
	s_cbranch_execz .LBB196_201
; %bb.196:                              ;   in Loop: Header=BB196_142 Depth=1
	v_bfrev_b32_e32 v32, 1
	v_cmp_ne_u16_sdwa s[2:3], v26, s38 src0_sel:BYTE_0 src1_sel:DWORD
	v_mov_b32_e32 v33, 0
	s_and_saveexec_b64 s[26:27], s[2:3]
	s_cbranch_execz .LBB196_200
; %bb.197:                              ;   in Loop: Header=BB196_142 Depth=1
	v_and_b32_e32 v14, 0x7f, v26
	v_mov_b32_e32 v32, 0x7f800001
	v_cmp_ne_u32_e64 s[2:3], s39, v14
	v_mov_b32_e32 v33, 0
	s_and_saveexec_b64 s[34:35], s[2:3]
	s_cbranch_execz .LBB196_199
; %bb.198:                              ;   in Loop: Header=BB196_142 Depth=1
	v_and_b32_e32 v27, 7, v26
	v_ffbh_u32_e32 v32, v27
	v_min_u32_e32 v37, 32, v32
	v_subrev_u32_e32 v32, 28, v37
	v_lshlrev_b64 v[32:33], v32, v[26:27]
	v_lshrrev_b32_e32 v36, 3, v14
	v_sub_u32_e32 v33, 29, v37
	v_and_b32_e32 v32, 7, v32
	v_cmp_gt_u32_e64 s[2:3], 8, v14
	v_cndmask_b32_e64 v14, v36, v33, s[2:3]
	v_cndmask_b32_e64 v27, v27, v32, s[2:3]
	v_lshlrev_b32_e32 v27, 20, v27
	v_and_b32_sdwa v32, sext(v26), s5 dst_sel:DWORD dst_unused:UNUSED_PAD src0_sel:BYTE_0 src1_sel:DWORD
	v_lshl_add_u32 v14, v14, 23, v44
	v_or3_b32 v14, v32, v14, v27
	v_pk_mov_b32 v[32:33], v[14:15], v[14:15] op_sel:[0,1]
.LBB196_199:                            ;   in Loop: Header=BB196_142 Depth=1
	s_or_b64 exec, exec, s[34:35]
.LBB196_200:                            ;   in Loop: Header=BB196_142 Depth=1
	s_or_b64 exec, exec, s[26:27]
.LBB196_201:                            ;   in Loop: Header=BB196_142 Depth=1
	s_or_b64 exec, exec, s[24:25]
	v_cmp_ne_u16_sdwa s[2:3], v26, v15 src0_sel:BYTE_1 src1_sel:DWORD
	s_and_saveexec_b64 s[24:25], s[2:3]
	s_cbranch_execz .LBB196_207
; %bb.202:                              ;   in Loop: Header=BB196_142 Depth=1
	v_cmp_ne_u16_sdwa s[2:3], v26, s38 src0_sel:BYTE_1 src1_sel:DWORD
	v_pk_mov_b32 v[34:35], s[4:5], s[4:5] op_sel:[0,1]
	s_and_saveexec_b64 s[26:27], s[2:3]
	s_cbranch_execz .LBB196_206
; %bb.203:                              ;   in Loop: Header=BB196_142 Depth=1
	v_and_b32_sdwa v27, v26, s39 dst_sel:DWORD dst_unused:UNUSED_PAD src0_sel:BYTE_1 src1_sel:DWORD
	s_mov_b32 s6, s4
	v_cmp_ne_u32_e64 s[2:3], s39, v27
	v_pk_mov_b32 v[34:35], s[6:7], s[6:7] op_sel:[0,1]
	s_and_saveexec_b64 s[34:35], s[2:3]
	s_cbranch_execz .LBB196_205
; %bb.204:                              ;   in Loop: Header=BB196_142 Depth=1
	v_and_b32_sdwa v14, v26, v45 dst_sel:DWORD dst_unused:UNUSED_PAD src0_sel:BYTE_1 src1_sel:DWORD
	v_ffbh_u32_e32 v34, v14
	v_min_u32_e32 v37, 32, v34
	v_subrev_u32_e32 v34, 28, v37
	v_lshlrev_b64 v[34:35], v34, v[14:15]
	v_lshrrev_b32_e32 v36, 3, v27
	v_sub_u32_e32 v35, 29, v37
	v_cmp_gt_u32_e64 s[2:3], 8, v27
	v_and_b32_e32 v34, 7, v34
	v_cndmask_b32_e64 v27, v36, v35, s[2:3]
	v_cndmask_b32_e64 v14, v14, v34, s[2:3]
	v_lshlrev_b32_e32 v34, 16, v26
	v_lshl_add_u32 v27, v27, 23, v44
	v_and_or_b32 v27, v34, s5, v27
	v_lshlrev_b32_e32 v14, 20, v14
	v_or_b32_e32 v35, v27, v14
	v_mov_b32_e32 v34, v15
.LBB196_205:                            ;   in Loop: Header=BB196_142 Depth=1
	s_or_b64 exec, exec, s[34:35]
.LBB196_206:                            ;   in Loop: Header=BB196_142 Depth=1
	s_or_b64 exec, exec, s[26:27]
.LBB196_207:                            ;   in Loop: Header=BB196_142 Depth=1
	s_or_b64 exec, exec, s[24:25]
	v_lshrrev_b32_e32 v14, 16, v26
	v_pk_mov_b32 v[38:39], 0, 0
	v_cmp_ne_u16_sdwa s[2:3], v14, v15 src0_sel:BYTE_0 src1_sel:DWORD
	v_pk_mov_b32 v[36:37], v[38:39], v[38:39] op_sel:[0,1]
	s_and_saveexec_b64 s[24:25], s[2:3]
	s_cbranch_execz .LBB196_213
; %bb.208:                              ;   in Loop: Header=BB196_142 Depth=1
	v_bfrev_b32_e32 v36, 1
	v_cmp_ne_u16_sdwa s[2:3], v14, s38 src0_sel:BYTE_0 src1_sel:DWORD
	v_mov_b32_e32 v37, 0
	s_and_saveexec_b64 s[26:27], s[2:3]
	s_cbranch_execz .LBB196_212
; %bb.209:                              ;   in Loop: Header=BB196_142 Depth=1
	v_bfe_u32 v27, v26, 16, 7
	v_mov_b32_e32 v36, 0x7f800001
	v_cmp_ne_u32_e64 s[2:3], s39, v27
	v_mov_b32_e32 v37, 0
	s_and_saveexec_b64 s[34:35], s[2:3]
	s_cbranch_execz .LBB196_211
; %bb.210:                              ;   in Loop: Header=BB196_142 Depth=1
	v_and_b32_e32 v48, 7, v14
	v_ffbh_u32_e32 v36, v48
	v_min_u32_e32 v50, 32, v36
	v_subrev_u32_e32 v36, 28, v50
	v_lshlrev_b64 v[36:37], v36, v[14:15]
	v_lshrrev_b32_e32 v49, 3, v27
	v_sub_u32_e32 v37, 29, v50
	v_and_b32_e32 v36, 7, v36
	v_cmp_gt_u32_e64 s[2:3], 8, v27
	v_cndmask_b32_e64 v27, v49, v37, s[2:3]
	v_cndmask_b32_e64 v36, v48, v36, s[2:3]
	v_lshlrev_b32_e32 v36, 20, v36
	v_and_b32_sdwa v14, sext(v14), s5 dst_sel:DWORD dst_unused:UNUSED_PAD src0_sel:BYTE_0 src1_sel:DWORD
	v_lshl_add_u32 v27, v27, 23, v44
	v_or3_b32 v14, v14, v27, v36
	v_pk_mov_b32 v[36:37], v[14:15], v[14:15] op_sel:[0,1]
.LBB196_211:                            ;   in Loop: Header=BB196_142 Depth=1
	s_or_b64 exec, exec, s[34:35]
.LBB196_212:                            ;   in Loop: Header=BB196_142 Depth=1
	s_or_b64 exec, exec, s[26:27]
.LBB196_213:                            ;   in Loop: Header=BB196_142 Depth=1
	s_or_b64 exec, exec, s[24:25]
	v_cmp_lt_u32_e64 s[2:3], s43, v26
	s_and_saveexec_b64 s[24:25], s[2:3]
	s_cbranch_execz .LBB196_219
; %bb.214:                              ;   in Loop: Header=BB196_142 Depth=1
	v_cmp_ne_u32_sdwa s[2:3], v26, s38 src0_sel:BYTE_3 src1_sel:DWORD
	v_pk_mov_b32 v[38:39], s[4:5], s[4:5] op_sel:[0,1]
	s_and_saveexec_b64 s[26:27], s[2:3]
	s_cbranch_execz .LBB196_218
; %bb.215:                              ;   in Loop: Header=BB196_142 Depth=1
	v_bfe_u32 v27, v26, 24, 7
	s_mov_b32 s6, s4
	v_cmp_ne_u32_e64 s[2:3], s39, v27
	v_pk_mov_b32 v[38:39], s[6:7], s[6:7] op_sel:[0,1]
	s_and_saveexec_b64 s[34:35], s[2:3]
	s_cbranch_execz .LBB196_217
; %bb.216:                              ;   in Loop: Header=BB196_142 Depth=1
	v_and_b32_sdwa v14, v26, v45 dst_sel:DWORD dst_unused:UNUSED_PAD src0_sel:BYTE_3 src1_sel:DWORD
	v_ffbh_u32_e32 v38, v14
	v_min_u32_e32 v49, 32, v38
	v_subrev_u32_e32 v38, 28, v49
	v_lshlrev_b64 v[38:39], v38, v[14:15]
	v_lshrrev_b32_e32 v48, 3, v27
	v_sub_u32_e32 v39, 29, v49
	v_cmp_gt_u32_e64 s[2:3], 8, v27
	v_and_b32_e32 v38, 7, v38
	v_cndmask_b32_e64 v27, v48, v39, s[2:3]
	v_cndmask_b32_e64 v14, v14, v38, s[2:3]
	v_lshlrev_b32_sdwa v26, v46, v26 dst_sel:DWORD dst_unused:UNUSED_PAD src0_sel:DWORD src1_sel:BYTE_3
	v_lshl_add_u32 v27, v27, 23, v44
	v_and_or_b32 v26, v26, s5, v27
	v_lshlrev_b32_e32 v14, 20, v14
	v_or_b32_e32 v39, v26, v14
	v_mov_b32_e32 v38, v15
.LBB196_217:                            ;   in Loop: Header=BB196_142 Depth=1
	s_or_b64 exec, exec, s[34:35]
.LBB196_218:                            ;   in Loop: Header=BB196_142 Depth=1
	s_or_b64 exec, exec, s[26:27]
.LBB196_219:                            ;   in Loop: Header=BB196_142 Depth=1
	s_or_b64 exec, exec, s[24:25]
	v_or_b32_e32 v27, v35, v33
	v_or_b32_e32 v26, v34, v32
	;; [unrolled: 1-line block ×4, first 2 shown]
	v_pk_mul_f32 v[26:27], s[22:23], v[26:27]
	v_pk_mul_f32 v[32:33], s[22:23], v[32:33]
	s_and_saveexec_b64 s[24:25], s[0:1]
; %bb.220:                              ;   in Loop: Header=BB196_142 Depth=1
	v_cmp_gt_i32_e64 s[2:3], s33, v47
	v_add_u32_e32 v14, 1, v47
	v_cndmask_b32_e64 v26, 0, v26, s[2:3]
	v_cmp_gt_i32_e64 s[2:3], s33, v14
	v_add_u32_e32 v14, 2, v47
	v_cndmask_b32_e64 v27, 0, v27, s[2:3]
	;; [unrolled: 3-line block ×3, first 2 shown]
	v_cmp_gt_i32_e64 s[2:3], s33, v14
	v_cndmask_b32_e64 v33, 0, v33, s[2:3]
; %bb.221:                              ;   in Loop: Header=BB196_142 Depth=1
	s_or_b64 exec, exec, s[24:25]
	v_mul_f32_e32 v14, v7, v23
	v_fmac_f32_e32 v14, v6, v22
	v_fmac_f32_e32 v14, v8, v24
	v_fmac_f32_e32 v14, v9, v25
	v_add_f32_e32 v2, v2, v14
	v_mul_f32_e32 v14, v7, v29
	v_fmac_f32_e32 v14, v6, v28
	v_fmac_f32_e32 v14, v8, v30
	v_fmac_f32_e32 v14, v9, v31
	v_add_f32_e32 v3, v3, v14
	;; [unrolled: 5-line block ×3, first 2 shown]
	s_and_saveexec_b64 s[24:25], vcc
	s_cbranch_execz .LBB196_140
; %bb.222:                              ;   in Loop: Header=BB196_142 Depth=1
	v_add_co_u32_e64 v20, s[2:3], v20, v16
	v_addc_co_u32_e64 v21, s[2:3], 0, v21, s[2:3]
	global_load_dword v20, v[20:21], off
	v_pk_mov_b32 v[24:25], 0, 0
	v_pk_mov_b32 v[22:23], v[24:25], v[24:25] op_sel:[0,1]
	s_waitcnt vmcnt(0)
	v_cmp_ne_u16_sdwa s[2:3], v20, v15 src0_sel:BYTE_0 src1_sel:DWORD
	s_and_saveexec_b64 s[26:27], s[2:3]
	s_cbranch_execz .LBB196_228
; %bb.223:                              ;   in Loop: Header=BB196_142 Depth=1
	v_bfrev_b32_e32 v22, 1
	v_cmp_ne_u16_sdwa s[2:3], v20, s38 src0_sel:BYTE_0 src1_sel:DWORD
	v_mov_b32_e32 v23, 0
	s_and_saveexec_b64 s[34:35], s[2:3]
	s_cbranch_execz .LBB196_227
; %bb.224:                              ;   in Loop: Header=BB196_142 Depth=1
	v_and_b32_e32 v14, 0x7f, v20
	v_mov_b32_e32 v22, 0x7f800001
	v_cmp_ne_u32_e64 s[2:3], s39, v14
	v_mov_b32_e32 v23, 0
	s_and_saveexec_b64 s[36:37], s[2:3]
	s_cbranch_execz .LBB196_226
; %bb.225:                              ;   in Loop: Header=BB196_142 Depth=1
	v_and_b32_e32 v21, 7, v20
	v_ffbh_u32_e32 v22, v21
	v_min_u32_e32 v27, 32, v22
	v_subrev_u32_e32 v22, 28, v27
	v_lshlrev_b64 v[22:23], v22, v[20:21]
	v_lshrrev_b32_e32 v26, 3, v14
	v_sub_u32_e32 v23, 29, v27
	v_and_b32_e32 v22, 7, v22
	v_cmp_gt_u32_e64 s[2:3], 8, v14
	v_cndmask_b32_e64 v14, v26, v23, s[2:3]
	v_cndmask_b32_e64 v21, v21, v22, s[2:3]
	v_lshlrev_b32_e32 v21, 20, v21
	v_and_b32_sdwa v22, sext(v20), s5 dst_sel:DWORD dst_unused:UNUSED_PAD src0_sel:BYTE_0 src1_sel:DWORD
	v_lshl_add_u32 v14, v14, 23, v44
	v_or3_b32 v14, v22, v14, v21
	v_pk_mov_b32 v[22:23], v[14:15], v[14:15] op_sel:[0,1]
.LBB196_226:                            ;   in Loop: Header=BB196_142 Depth=1
	s_or_b64 exec, exec, s[36:37]
.LBB196_227:                            ;   in Loop: Header=BB196_142 Depth=1
	s_or_b64 exec, exec, s[34:35]
.LBB196_228:                            ;   in Loop: Header=BB196_142 Depth=1
	s_or_b64 exec, exec, s[26:27]
	v_cmp_ne_u16_sdwa s[2:3], v20, v15 src0_sel:BYTE_1 src1_sel:DWORD
	s_and_saveexec_b64 s[26:27], s[2:3]
	s_cbranch_execz .LBB196_234
; %bb.229:                              ;   in Loop: Header=BB196_142 Depth=1
	v_cmp_ne_u16_sdwa s[2:3], v20, s38 src0_sel:BYTE_1 src1_sel:DWORD
	v_pk_mov_b32 v[24:25], s[4:5], s[4:5] op_sel:[0,1]
	s_and_saveexec_b64 s[34:35], s[2:3]
	s_cbranch_execz .LBB196_233
; %bb.230:                              ;   in Loop: Header=BB196_142 Depth=1
	v_and_b32_sdwa v21, v20, s39 dst_sel:DWORD dst_unused:UNUSED_PAD src0_sel:BYTE_1 src1_sel:DWORD
	s_mov_b32 s6, s4
	v_cmp_ne_u32_e64 s[2:3], s39, v21
	v_pk_mov_b32 v[24:25], s[6:7], s[6:7] op_sel:[0,1]
	s_and_saveexec_b64 s[36:37], s[2:3]
	s_cbranch_execz .LBB196_232
; %bb.231:                              ;   in Loop: Header=BB196_142 Depth=1
	v_and_b32_sdwa v14, v20, v45 dst_sel:DWORD dst_unused:UNUSED_PAD src0_sel:BYTE_1 src1_sel:DWORD
	v_ffbh_u32_e32 v24, v14
	v_min_u32_e32 v27, 32, v24
	v_subrev_u32_e32 v24, 28, v27
	v_lshlrev_b64 v[24:25], v24, v[14:15]
	v_lshrrev_b32_e32 v26, 3, v21
	v_sub_u32_e32 v25, 29, v27
	v_cmp_gt_u32_e64 s[2:3], 8, v21
	v_and_b32_e32 v24, 7, v24
	v_cndmask_b32_e64 v21, v26, v25, s[2:3]
	v_cndmask_b32_e64 v14, v14, v24, s[2:3]
	v_lshlrev_b32_e32 v24, 16, v20
	v_lshl_add_u32 v21, v21, 23, v44
	v_and_or_b32 v21, v24, s5, v21
	v_lshlrev_b32_e32 v14, 20, v14
	v_or_b32_e32 v25, v21, v14
	v_mov_b32_e32 v24, v15
.LBB196_232:                            ;   in Loop: Header=BB196_142 Depth=1
	s_or_b64 exec, exec, s[36:37]
.LBB196_233:                            ;   in Loop: Header=BB196_142 Depth=1
	s_or_b64 exec, exec, s[34:35]
.LBB196_234:                            ;   in Loop: Header=BB196_142 Depth=1
	s_or_b64 exec, exec, s[26:27]
	v_lshrrev_b32_e32 v14, 16, v20
	v_pk_mov_b32 v[28:29], 0, 0
	v_cmp_ne_u16_sdwa s[2:3], v14, v15 src0_sel:BYTE_0 src1_sel:DWORD
	v_pk_mov_b32 v[26:27], v[28:29], v[28:29] op_sel:[0,1]
	s_and_saveexec_b64 s[26:27], s[2:3]
	s_cbranch_execz .LBB196_240
; %bb.235:                              ;   in Loop: Header=BB196_142 Depth=1
	v_bfrev_b32_e32 v26, 1
	v_cmp_ne_u16_sdwa s[2:3], v14, s38 src0_sel:BYTE_0 src1_sel:DWORD
	v_mov_b32_e32 v27, 0
	s_and_saveexec_b64 s[34:35], s[2:3]
	s_cbranch_execz .LBB196_239
; %bb.236:                              ;   in Loop: Header=BB196_142 Depth=1
	v_bfe_u32 v21, v20, 16, 7
	v_mov_b32_e32 v26, 0x7f800001
	v_cmp_ne_u32_e64 s[2:3], s39, v21
	v_mov_b32_e32 v27, 0
	s_and_saveexec_b64 s[36:37], s[2:3]
	s_cbranch_execz .LBB196_238
; %bb.237:                              ;   in Loop: Header=BB196_142 Depth=1
	v_and_b32_e32 v30, 7, v14
	v_ffbh_u32_e32 v26, v30
	v_min_u32_e32 v32, 32, v26
	v_subrev_u32_e32 v26, 28, v32
	v_lshlrev_b64 v[26:27], v26, v[14:15]
	v_lshrrev_b32_e32 v31, 3, v21
	v_sub_u32_e32 v27, 29, v32
	v_and_b32_e32 v26, 7, v26
	v_cmp_gt_u32_e64 s[2:3], 8, v21
	v_cndmask_b32_e64 v21, v31, v27, s[2:3]
	v_cndmask_b32_e64 v26, v30, v26, s[2:3]
	v_lshlrev_b32_e32 v26, 20, v26
	v_and_b32_sdwa v14, sext(v14), s5 dst_sel:DWORD dst_unused:UNUSED_PAD src0_sel:BYTE_0 src1_sel:DWORD
	v_lshl_add_u32 v21, v21, 23, v44
	v_or3_b32 v14, v14, v21, v26
	v_pk_mov_b32 v[26:27], v[14:15], v[14:15] op_sel:[0,1]
.LBB196_238:                            ;   in Loop: Header=BB196_142 Depth=1
	s_or_b64 exec, exec, s[36:37]
.LBB196_239:                            ;   in Loop: Header=BB196_142 Depth=1
	s_or_b64 exec, exec, s[34:35]
.LBB196_240:                            ;   in Loop: Header=BB196_142 Depth=1
	s_or_b64 exec, exec, s[26:27]
	v_cmp_lt_u32_e64 s[2:3], s43, v20
	s_and_saveexec_b64 s[26:27], s[2:3]
	s_cbranch_execz .LBB196_246
; %bb.241:                              ;   in Loop: Header=BB196_142 Depth=1
	v_cmp_ne_u32_sdwa s[2:3], v20, s38 src0_sel:BYTE_3 src1_sel:DWORD
	v_pk_mov_b32 v[28:29], s[4:5], s[4:5] op_sel:[0,1]
	s_and_saveexec_b64 s[34:35], s[2:3]
	s_cbranch_execz .LBB196_245
; %bb.242:                              ;   in Loop: Header=BB196_142 Depth=1
	v_bfe_u32 v21, v20, 24, 7
	s_mov_b32 s6, s4
	v_cmp_ne_u32_e64 s[2:3], s39, v21
	v_pk_mov_b32 v[28:29], s[6:7], s[6:7] op_sel:[0,1]
	s_and_saveexec_b64 s[36:37], s[2:3]
	s_cbranch_execz .LBB196_244
; %bb.243:                              ;   in Loop: Header=BB196_142 Depth=1
	v_and_b32_sdwa v14, v20, v45 dst_sel:DWORD dst_unused:UNUSED_PAD src0_sel:BYTE_3 src1_sel:DWORD
	v_ffbh_u32_e32 v28, v14
	v_min_u32_e32 v31, 32, v28
	v_subrev_u32_e32 v28, 28, v31
	v_lshlrev_b64 v[28:29], v28, v[14:15]
	v_lshrrev_b32_e32 v30, 3, v21
	v_sub_u32_e32 v29, 29, v31
	v_cmp_gt_u32_e64 s[2:3], 8, v21
	v_and_b32_e32 v28, 7, v28
	v_cndmask_b32_e64 v21, v30, v29, s[2:3]
	v_cndmask_b32_e64 v14, v14, v28, s[2:3]
	v_lshlrev_b32_sdwa v20, v46, v20 dst_sel:DWORD dst_unused:UNUSED_PAD src0_sel:DWORD src1_sel:BYTE_3
	v_lshl_add_u32 v21, v21, 23, v44
	v_and_or_b32 v20, v20, s5, v21
	v_lshlrev_b32_e32 v14, 20, v14
	v_or_b32_e32 v29, v20, v14
	v_mov_b32_e32 v28, v15
.LBB196_244:                            ;   in Loop: Header=BB196_142 Depth=1
	s_or_b64 exec, exec, s[36:37]
.LBB196_245:                            ;   in Loop: Header=BB196_142 Depth=1
	s_or_b64 exec, exec, s[34:35]
.LBB196_246:                            ;   in Loop: Header=BB196_142 Depth=1
	s_or_b64 exec, exec, s[26:27]
	v_or_b32_e32 v21, v25, v23
	v_or_b32_e32 v20, v24, v22
	;; [unrolled: 1-line block ×4, first 2 shown]
	v_pk_mul_f32 v[20:21], s[22:23], v[20:21]
	v_pk_mul_f32 v[22:23], s[22:23], v[22:23]
	s_and_saveexec_b64 s[2:3], s[0:1]
	s_cbranch_execz .LBB196_139
; %bb.247:                              ;   in Loop: Header=BB196_142 Depth=1
	v_cmp_gt_i32_e64 s[0:1], s33, v47
	v_add_u32_e32 v14, 1, v47
	v_cndmask_b32_e64 v20, 0, v20, s[0:1]
	v_cmp_gt_i32_e64 s[0:1], s33, v14
	v_add_u32_e32 v14, 2, v47
	v_cndmask_b32_e64 v21, 0, v21, s[0:1]
	;; [unrolled: 3-line block ×3, first 2 shown]
	v_cmp_gt_i32_e64 s[0:1], s33, v14
	v_cndmask_b32_e64 v23, 0, v23, s[0:1]
	s_branch .LBB196_139
.LBB196_248:
	s_or_b64 exec, exec, s[16:17]
.LBB196_249:
	s_or_b64 exec, exec, s[12:13]
	ds_bpermute_b32 v6, v13, v2
	ds_bpermute_b32 v7, v13, v3
	;; [unrolled: 1-line block ×4, first 2 shown]
	s_waitcnt lgkmcnt(0)
	s_barrier
	v_pk_add_f32 v[6:7], v[2:3], v[6:7]
	v_pk_add_f32 v[2:3], v[4:5], v[8:9]
	v_and_b32_e32 v4, 0x3c0, v0
	v_cmp_eq_u32_e32 vcc, 64, v4
	s_and_saveexec_b64 s[2:3], vcc
	s_cbranch_execz .LBB196_254
; %bb.250:
	v_cmp_eq_u32_e32 vcc, 0, v17
	s_and_saveexec_b64 s[0:1], vcc
	s_cbranch_execz .LBB196_252
; %bb.251:
	v_mov_b32_e32 v4, 0x1f0
	v_lshl_add_u32 v4, v41, 2, v4
	ds_write2_b32 v4, v6, v7 offset1:32
	ds_write_b32 v4, v2 offset:256
.LBB196_252:
	s_or_b64 exec, exec, s[0:1]
	v_or_b32_e32 v4, 0x60, v41
	s_movk_i32 s0, 0x78
	v_cmp_gt_u32_e64 s[0:1], s0, v4
	s_and_b64 s[0:1], vcc, s[0:1]
	s_and_b64 exec, exec, s[0:1]
	s_cbranch_execz .LBB196_254
; %bb.253:
	v_mov_b32_e32 v4, 0x1f0
	v_lshl_add_u32 v4, v41, 2, v4
	ds_write_b32 v4, v3 offset:384
.LBB196_254:
	s_or_b64 exec, exec, s[2:3]
	v_cmp_gt_u32_e32 vcc, 64, v0
	s_waitcnt lgkmcnt(0)
	s_barrier
	s_and_saveexec_b64 s[4:5], vcc
	s_cbranch_execz .LBB196_262
; %bb.255:
	v_cmp_eq_u32_e64 s[0:1], 0, v17
	s_and_saveexec_b64 s[2:3], s[0:1]
	s_cbranch_execnz .LBB196_268
; %bb.256:
	s_or_b64 exec, exec, s[2:3]
	s_and_saveexec_b64 s[2:3], s[0:1]
	s_cbranch_execnz .LBB196_269
.LBB196_257:
	s_or_b64 exec, exec, s[2:3]
	s_and_saveexec_b64 s[2:3], s[0:1]
	s_cbranch_execz .LBB196_259
.LBB196_258:
	v_mov_b32_e32 v0, 0x1f0
	v_lshl_add_u32 v0, v1, 2, v0
	ds_read_b32 v0, v0 offset:256
	s_waitcnt lgkmcnt(0)
	v_add_f32_e32 v2, v2, v0
.LBB196_259:
	s_or_b64 exec, exec, s[2:3]
	v_or_b32_e32 v0, 0x60, v1
	s_movk_i32 s2, 0x78
	v_cmp_gt_u32_e64 s[2:3], s2, v0
	s_and_b64 s[2:3], s[0:1], s[2:3]
	s_and_saveexec_b64 s[0:1], s[2:3]
	s_cbranch_execz .LBB196_261
; %bb.260:
	v_mov_b32_e32 v0, 0x1f0
	v_lshl_add_u32 v0, v1, 2, v0
	ds_read_b32 v0, v0 offset:384
	s_waitcnt lgkmcnt(0)
	v_add_f32_e32 v3, v3, v0
.LBB196_261:
	s_or_b64 exec, exec, s[0:1]
.LBB196_262:
	s_or_b64 exec, exec, s[4:5]
	s_barrier
	s_and_saveexec_b64 s[0:1], vcc
	s_cbranch_execz .LBB196_267
; %bb.263:
	s_mul_i32 s0, s10, 0x78
	s_ashr_i32 s1, s0, 31
	s_lshl_b64 s[0:1], s[0:1], 2
	s_add_u32 s2, s30, s0
	s_mul_i32 s0, s29, s28
	s_addc_u32 s3, s31, s1
	s_ashr_i32 s1, s0, 31
	s_lshl_b64 s[0:1], s[0:1], 2
	s_add_u32 s2, s2, s0
	s_mul_i32 s0, s8, 0x78
	s_addc_u32 s3, s3, s1
	s_ashr_i32 s1, s0, 31
	s_lshl_b64 s[0:1], s[0:1], 2
	s_add_u32 s2, s2, s0
	s_movk_i32 s4, 0x78
	s_addc_u32 s3, s3, s1
	v_cmp_eq_u32_e32 vcc, 0, v17
	v_lshlrev_b32_e32 v0, 2, v1
	s_and_saveexec_b64 s[0:1], vcc
	s_cbranch_execz .LBB196_265
; %bb.264:
	global_store_dword v0, v6, s[2:3]
	global_store_dword v0, v7, s[2:3] offset:128
	global_store_dword v0, v2, s[2:3] offset:256
.LBB196_265:
	s_or_b64 exec, exec, s[0:1]
	v_or_b32_e32 v1, 0x60, v1
	v_cmp_gt_u32_e64 s[0:1], s4, v1
	s_and_b64 s[0:1], vcc, s[0:1]
	s_and_b64 exec, exec, s[0:1]
	s_cbranch_execz .LBB196_267
; %bb.266:
	global_store_dword v0, v3, s[2:3] offset:384
.LBB196_267:
	s_endpgm
.LBB196_268:
	v_mov_b32_e32 v0, 0x1f0
	v_lshl_add_u32 v0, v1, 2, v0
	ds_read_b32 v0, v0
	s_waitcnt lgkmcnt(0)
	v_add_f32_e32 v6, v6, v0
	s_or_b64 exec, exec, s[2:3]
	s_and_saveexec_b64 s[2:3], s[0:1]
	s_cbranch_execz .LBB196_257
.LBB196_269:
	v_mov_b32_e32 v0, 0x1f0
	v_lshl_add_u32 v0, v1, 2, v0
	ds_read_b32 v0, v0 offset:128
	s_waitcnt lgkmcnt(0)
	v_add_f32_e32 v7, v7, v0
	s_or_b64 exec, exec, s[2:3]
	s_and_saveexec_b64 s[2:3], s[0:1]
	s_cbranch_execnz .LBB196_258
	s_branch .LBB196_259
	.section	.rodata,"a",@progbits
	.p2align	6, 0x0
	.amdhsa_kernel _ZN4vllm25paged_attention_v2_kernelIfhLi120ELi8ELi128ELNS_18Fp8KVCacheDataTypeE1ELb1ELi512EEEvPfS2_PT_PKS3_PKT0_S9_ifPKiSB_iPKfiiiSD_SD_iiiii
		.amdhsa_group_segment_fixed_size 496
		.amdhsa_private_segment_fixed_size 0
		.amdhsa_kernarg_size 400
		.amdhsa_user_sgpr_count 6
		.amdhsa_user_sgpr_private_segment_buffer 1
		.amdhsa_user_sgpr_dispatch_ptr 0
		.amdhsa_user_sgpr_queue_ptr 0
		.amdhsa_user_sgpr_kernarg_segment_ptr 1
		.amdhsa_user_sgpr_dispatch_id 0
		.amdhsa_user_sgpr_flat_scratch_init 0
		.amdhsa_user_sgpr_kernarg_preload_length 0
		.amdhsa_user_sgpr_kernarg_preload_offset 0
		.amdhsa_user_sgpr_private_segment_size 0
		.amdhsa_uses_dynamic_stack 0
		.amdhsa_system_sgpr_private_segment_wavefront_offset 0
		.amdhsa_system_sgpr_workgroup_id_x 1
		.amdhsa_system_sgpr_workgroup_id_y 1
		.amdhsa_system_sgpr_workgroup_id_z 1
		.amdhsa_system_sgpr_workgroup_info 0
		.amdhsa_system_vgpr_workitem_id 0
		.amdhsa_next_free_vgpr 62
		.amdhsa_next_free_sgpr 63
		.amdhsa_accum_offset 64
		.amdhsa_reserve_vcc 1
		.amdhsa_reserve_flat_scratch 0
		.amdhsa_float_round_mode_32 0
		.amdhsa_float_round_mode_16_64 0
		.amdhsa_float_denorm_mode_32 3
		.amdhsa_float_denorm_mode_16_64 3
		.amdhsa_dx10_clamp 1
		.amdhsa_ieee_mode 1
		.amdhsa_fp16_overflow 0
		.amdhsa_tg_split 0
		.amdhsa_exception_fp_ieee_invalid_op 0
		.amdhsa_exception_fp_denorm_src 0
		.amdhsa_exception_fp_ieee_div_zero 0
		.amdhsa_exception_fp_ieee_overflow 0
		.amdhsa_exception_fp_ieee_underflow 0
		.amdhsa_exception_fp_ieee_inexact 0
		.amdhsa_exception_int_div_zero 0
	.end_amdhsa_kernel
	.section	.text._ZN4vllm25paged_attention_v2_kernelIfhLi120ELi8ELi128ELNS_18Fp8KVCacheDataTypeE1ELb1ELi512EEEvPfS2_PT_PKS3_PKT0_S9_ifPKiSB_iPKfiiiSD_SD_iiiii,"axG",@progbits,_ZN4vllm25paged_attention_v2_kernelIfhLi120ELi8ELi128ELNS_18Fp8KVCacheDataTypeE1ELb1ELi512EEEvPfS2_PT_PKS3_PKT0_S9_ifPKiSB_iPKfiiiSD_SD_iiiii,comdat
.Lfunc_end196:
	.size	_ZN4vllm25paged_attention_v2_kernelIfhLi120ELi8ELi128ELNS_18Fp8KVCacheDataTypeE1ELb1ELi512EEEvPfS2_PT_PKS3_PKT0_S9_ifPKiSB_iPKfiiiSD_SD_iiiii, .Lfunc_end196-_ZN4vllm25paged_attention_v2_kernelIfhLi120ELi8ELi128ELNS_18Fp8KVCacheDataTypeE1ELb1ELi512EEEvPfS2_PT_PKS3_PKT0_S9_ifPKiSB_iPKfiiiSD_SD_iiiii
                                        ; -- End function
	.section	.AMDGPU.csdata,"",@progbits
; Kernel info:
; codeLenInByte = 11204
; NumSgprs: 67
; NumVgprs: 62
; NumAgprs: 0
; TotalNumVgprs: 62
; ScratchSize: 0
; MemoryBound: 0
; FloatMode: 240
; IeeeMode: 1
; LDSByteSize: 496 bytes/workgroup (compile time only)
; SGPRBlocks: 8
; VGPRBlocks: 7
; NumSGPRsForWavesPerEU: 67
; NumVGPRsForWavesPerEU: 62
; AccumOffset: 64
; Occupancy: 8
; WaveLimiterHint : 1
; COMPUTE_PGM_RSRC2:SCRATCH_EN: 0
; COMPUTE_PGM_RSRC2:USER_SGPR: 6
; COMPUTE_PGM_RSRC2:TRAP_HANDLER: 0
; COMPUTE_PGM_RSRC2:TGID_X_EN: 1
; COMPUTE_PGM_RSRC2:TGID_Y_EN: 1
; COMPUTE_PGM_RSRC2:TGID_Z_EN: 1
; COMPUTE_PGM_RSRC2:TIDIG_COMP_CNT: 0
; COMPUTE_PGM_RSRC3_GFX90A:ACCUM_OFFSET: 15
; COMPUTE_PGM_RSRC3_GFX90A:TG_SPLIT: 0
	.section	.text._ZN4vllm25paged_attention_v2_kernelIfhLi128ELi8ELi128ELNS_18Fp8KVCacheDataTypeE1ELb1ELi512EEEvPfS2_PT_PKS3_PKT0_S9_ifPKiSB_iPKfiiiSD_SD_iiiii,"axG",@progbits,_ZN4vllm25paged_attention_v2_kernelIfhLi128ELi8ELi128ELNS_18Fp8KVCacheDataTypeE1ELb1ELi512EEEvPfS2_PT_PKS3_PKT0_S9_ifPKiSB_iPKfiiiSD_SD_iiiii,comdat
	.protected	_ZN4vllm25paged_attention_v2_kernelIfhLi128ELi8ELi128ELNS_18Fp8KVCacheDataTypeE1ELb1ELi512EEEvPfS2_PT_PKS3_PKT0_S9_ifPKiSB_iPKfiiiSD_SD_iiiii ; -- Begin function _ZN4vllm25paged_attention_v2_kernelIfhLi128ELi8ELi128ELNS_18Fp8KVCacheDataTypeE1ELb1ELi512EEEvPfS2_PT_PKS3_PKT0_S9_ifPKiSB_iPKfiiiSD_SD_iiiii
	.globl	_ZN4vllm25paged_attention_v2_kernelIfhLi128ELi8ELi128ELNS_18Fp8KVCacheDataTypeE1ELb1ELi512EEEvPfS2_PT_PKS3_PKT0_S9_ifPKiSB_iPKfiiiSD_SD_iiiii
	.p2align	8
	.type	_ZN4vllm25paged_attention_v2_kernelIfhLi128ELi8ELi128ELNS_18Fp8KVCacheDataTypeE1ELb1ELi512EEEvPfS2_PT_PKS3_PKT0_S9_ifPKiSB_iPKfiiiSD_SD_iiiii,@function
_ZN4vllm25paged_attention_v2_kernelIfhLi128ELi8ELi128ELNS_18Fp8KVCacheDataTypeE1ELb1ELi512EEEvPfS2_PT_PKS3_PKT0_S9_ifPKiSB_iPKfiiiSD_SD_iiiii: ; @_ZN4vllm25paged_attention_v2_kernelIfhLi128ELi8ELi128ELNS_18Fp8KVCacheDataTypeE1ELb1ELi512EEEvPfS2_PT_PKS3_PKT0_S9_ifPKiSB_iPKfiiiSD_SD_iiiii
; %bb.0:
	s_load_dwordx2 s[0:1], s[4:5], 0x40
	s_mov_b32 s34, s7
	s_ashr_i32 s35, s7, 31
	s_lshl_b64 s[2:3], s[34:35], 2
	s_waitcnt lgkmcnt(0)
	s_add_u32 s0, s0, s2
	s_addc_u32 s1, s1, s3
	s_load_dword s33, s[0:1], 0x0
	s_lshl_b32 s55, s8, 9
	s_waitcnt lgkmcnt(0)
	s_cmp_ge_i32 s55, s33
	s_cbranch_scc1 .LBB197_264
; %bb.1:
	s_load_dword s9, s[4:5], 0x90
	s_load_dwordx2 s[42:43], s[4:5], 0x30
	s_mov_b32 s56, 0
	s_waitcnt lgkmcnt(0)
	s_abs_i32 s2, s9
	s_abs_i32 s0, s42
	v_cvt_f32_u32_e32 v1, s0
	s_sub_i32 s3, 0, s0
	s_xor_b32 s1, s9, s42
	s_ashr_i32 s1, s1, 31
	v_rcp_iflag_f32_e32 v1, v1
	v_mul_f32_e32 v1, 0x4f7ffffe, v1
	v_cvt_u32_f32_e32 v1, v1
	v_readfirstlane_b32 s7, v1
	s_mul_i32 s3, s3, s7
	s_mul_hi_u32 s3, s7, s3
	s_add_i32 s7, s7, s3
	s_mul_hi_u32 s3, s2, s7
	s_mul_i32 s7, s3, s0
	s_sub_i32 s2, s2, s7
	s_add_i32 s10, s3, 1
	s_sub_i32 s7, s2, s0
	s_cmp_ge_u32 s2, s0
	s_cselect_b32 s3, s10, s3
	s_cselect_b32 s2, s7, s2
	s_add_i32 s7, s3, 1
	s_cmp_ge_u32 s2, s0
	s_cselect_b32 s0, s7, s3
	s_xor_b32 s0, s0, s1
	s_sub_i32 s11, s0, s1
	s_abs_i32 s2, s11
	v_cvt_f32_u32_e32 v1, s2
	s_load_dwordx2 s[0:1], s[4:5], 0x50
	s_sub_i32 s7, 0, s2
	s_abs_i32 s3, s6
	v_rcp_iflag_f32_e32 v1, v1
	v_mul_f32_e32 v1, 0x4f7ffffe, v1
	v_cvt_u32_f32_e32 v1, v1
	v_readfirstlane_b32 s10, v1
	s_mul_i32 s7, s7, s10
	s_mul_hi_u32 s7, s10, s7
	s_add_i32 s10, s10, s7
	s_waitcnt lgkmcnt(0)
	s_cmp_eq_u64 s[0:1], 0
	s_mul_hi_u32 s10, s3, s10
	s_cbranch_scc1 .LBB197_3
; %bb.2:
	s_ashr_i32 s7, s6, 31
	s_lshl_b64 s[12:13], s[6:7], 2
	s_add_u32 s0, s0, s12
	s_addc_u32 s1, s1, s13
	s_load_dword s56, s[0:1], 0x0
.LBB197_3:
	s_load_dwordx4 s[16:19], s[4:5], 0x58
	s_movk_i32 s0, 0x80
	s_ashr_i32 s7, s6, 31
	s_ashr_i32 s11, s11, 31
	v_and_b32_e32 v20, 7, v0
	s_lshl_b32 s28, s6, 7
	v_cmp_gt_u32_e32 vcc, s0, v0
	v_lshlrev_b32_e32 v21, 2, v0
	v_lshrrev_b32_e32 v1, 1, v0
	s_and_saveexec_b64 s[0:1], vcc
	s_cbranch_execz .LBB197_5
; %bb.4:
	s_load_dwordx2 s[12:13], s[4:5], 0x18
	s_waitcnt lgkmcnt(0)
	s_mul_i32 s14, s34, s16
	s_ashr_i32 s15, s14, 31
	s_lshl_b64 s[14:15], s[14:15], 2
	v_and_b32_e32 v3, 0x1fc, v1
	s_add_u32 s14, s12, s14
	s_addc_u32 s15, s13, s15
	s_ashr_i32 s29, s28, 31
	s_lshl_b64 s[12:13], s[28:29], 2
	s_add_u32 s12, s14, s12
	s_addc_u32 s13, s15, s13
	global_load_dword v2, v21, s[12:13]
	v_lshl_add_u32 v3, v20, 6, v3
	s_waitcnt vmcnt(0)
	ds_write_b32 v3, v2
.LBB197_5:
	s_or_b64 exec, exec, s[0:1]
	s_mul_i32 s1, s10, s2
	s_sub_i32 s1, s3, s1
	s_xor_b32 s0, s7, s11
	s_add_i32 s3, s10, 1
	s_sub_i32 s7, s1, s2
	s_load_dwordx4 s[20:23], s[4:5], 0x78
	s_cmp_ge_u32 s1, s2
	s_cselect_b32 s3, s3, s10
	s_load_dword s10, s[4:5], 0x88
	s_cselect_b32 s1, s7, s1
	s_add_i32 s7, s3, 1
	s_cmp_ge_u32 s1, s2
	s_cselect_b32 s1, s7, s3
	s_waitcnt lgkmcnt(0)
	s_abs_i32 s35, s23
	v_cvt_f32_u32_e32 v2, s35
	s_xor_b32 s1, s1, s0
	s_sub_i32 s2, s1, s0
	s_sub_i32 s0, 0, s35
	v_rcp_iflag_f32_e32 v2, v2
	s_add_i32 s11, s33, -1
	s_abs_i32 s3, s11
	v_mul_f32_e32 v2, 0x4f7ffffe, v2
	v_cvt_u32_f32_e32 v2, v2
	s_barrier
	v_readfirstlane_b32 s52, v2
	s_mul_i32 s0, s0, s52
	s_mul_hi_u32 s0, s52, s0
	s_add_i32 s52, s52, s0
	s_cmp_lt_i32 s10, 0
	s_mul_hi_u32 s7, s3, s52
	s_cbranch_scc0 .LBB197_7
; %bb.6:
	s_mul_i32 s0, s20, s42
	s_add_i32 s0, s2, s0
	s_mul_i32 s0, s0, s10
	s_sub_i32 s42, 1, s0
	s_mov_b64 s[0:1], 0
	s_branch .LBB197_8
.LBB197_7:
	s_mov_b64 s[0:1], -1
                                        ; implicit-def: $sgpr42
.LBB197_8:
	s_load_dwordx2 s[36:37], s[4:5], 0x38
	s_ashr_i32 s11, s11, 31
	s_andn2_b64 vcc, exec, s[0:1]
	s_ashr_i32 s53, s23, 31
	s_cbranch_vccnz .LBB197_10
; %bb.9:
	s_mul_i32 s0, s9, s20
	s_add_i32 s0, s0, s6
	s_mul_i32 s0, s0, s10
	s_add_i32 s42, s0, 1
.LBB197_10:
	s_load_dwordx2 s[40:41], s[4:5], 0x28
	s_load_dword s0, s[4:5], 0x48
	s_load_dwordx4 s[24:27], s[4:5], 0x0
	s_load_dwordx2 s[30:31], s[4:5], 0x10
	s_load_dword s29, s[4:5], 0x98
	s_load_dwordx4 s[12:15], s[4:5], 0x68
	s_mul_i32 s1, s7, s35
	s_waitcnt lgkmcnt(0)
	s_mul_i32 s38, s34, s0
	s_sub_i32 s1, s3, s1
	s_ashr_i32 s39, s38, 31
	s_xor_b32 s0, s11, s53
	s_add_i32 s3, s7, 1
	s_sub_i32 s10, s1, s35
	s_cmp_ge_u32 s1, s35
	s_cselect_b32 s3, s3, s7
	s_cselect_b32 s1, s10, s1
	s_add_i32 s7, s3, 1
	s_cmp_ge_u32 s1, s35
	s_cselect_b32 s1, s7, s3
	s_xor_b32 s1, s1, s0
	s_sub_i32 s16, s1, s0
	s_add_i32 s0, s33, 7
	s_ashr_i32 s1, s0, 31
	s_lshr_b32 s1, s1, 29
	s_add_i32 s0, s0, s1
	s_lshl_b32 s23, s8, 6
	s_ashr_i32 s7, s0, 3
	s_add_i32 s0, s23, 64
	v_lshrrev_b32_e32 v29, 6, v0
	s_min_i32 s54, s0, s7
	v_or_b32_e32 v18, s23, v29
	v_cmp_gt_i32_e64 s[0:1], s54, v18
	v_mov_b32_e32 v33, 0xff7fffff
	s_mul_i32 s20, s2, s18
	v_ashrrev_i32_e32 v19, 31, v18
	v_lshl_add_u32 v40, v29, 3, s55
	v_mbcnt_lo_u32_b32 v30, -1, 0
	s_and_saveexec_b64 s[18:19], s[0:1]
	s_cbranch_execz .LBB197_116
; %bb.11:
	s_load_dwordx2 s[2:3], s[4:5], 0x20
	s_sub_i32 s57, s16, s21
	s_ashr_i32 s4, s20, 31
	v_bfe_u32 v31, v0, 3, 3
	v_lshlrev_b32_e32 v3, 4, v31
	s_waitcnt lgkmcnt(0)
	s_add_u32 s2, s2, s20
	s_addc_u32 s3, s3, s4
	s_abs_i32 s58, s22
	v_cvt_f32_u32_e32 v2, s58
	s_sub_i32 s4, 0, s58
	v_mov_b32_e32 v4, s3
	v_add_co_u32_e64 v22, s[2:3], s2, v3
	v_rcp_iflag_f32_e32 v2, v2
	v_addc_co_u32_e64 v23, s[2:3], 0, v4, s[2:3]
	v_cmp_eq_u32_e32 vcc, 0, v20
	v_mul_f32_e32 v2, 0x4f7ffffe, v2
	v_cvt_u32_f32_e32 v2, v2
	s_mov_b32 s59, s17
	v_lshlrev_b32_e32 v32, 6, v20
	v_cmp_neq_f32_e64 s[2:3], s56, 0
	v_mul_lo_u32 v3, s4, v2
	s_lshl_b64 s[4:5], s[38:39], 2
	v_mul_hi_u32 v3, v2, v3
	s_add_u32 s4, s36, s4
	v_add_u32_e32 v34, v2, v3
	v_lshlrev_b64 v[2:3], 2, v[18:19]
	s_addc_u32 s5, s37, s5
	v_mov_b32_e32 v4, s5
	v_add_co_u32_e64 v24, s[4:5], s4, v2
	v_lshlrev_b32_e32 v2, 2, v31
	v_lshl_or_b32 v2, v29, 5, v2
	v_add_u32_e32 v36, 0x210, v2
	v_subrev_u32_e32 v2, s33, v31
	v_addc_co_u32_e64 v25, s[4:5], v4, v3, s[4:5]
	v_lshl_add_u32 v35, v29, 3, s55
	v_add_u32_e32 v37, 1, v2
	s_mov_b64 s[44:45], 0
	v_mov_b32_e32 v38, 0xff7fffff
	s_movk_i32 s60, 0x80
	s_movk_i32 s61, 0x7f
	v_bfrev_b32_e32 v39, 60
	v_mbcnt_hi_u32_b32 v41, -1, v30
	v_mov_b32_e32 v33, 0xff7fffff
	v_mov_b32_e32 v42, v18
	s_branch .LBB197_14
.LBB197_12:                             ;   in Loop: Header=BB197_14 Depth=1
	s_or_b64 exec, exec, s[46:47]
.LBB197_13:                             ;   in Loop: Header=BB197_14 Depth=1
	s_or_b64 exec, exec, s[10:11]
	v_add_co_u32_e64 v24, s[4:5], 8, v24
	v_add_u32_e32 v42, 2, v42
	v_addc_co_u32_e64 v25, s[4:5], 0, v25, s[4:5]
	v_cmp_le_i32_e64 s[4:5], s54, v42
	v_add_u32_e32 v35, 16, v35
	s_or_b64 s[44:45], s[4:5], s[44:45]
	v_add_u32_e32 v36, 64, v36
	s_andn2_b64 exec, exec, s[44:45]
	s_cbranch_execz .LBB197_115
.LBB197_14:                             ; =>This Inner Loop Header: Depth=1
	s_waitcnt lgkmcnt(0)
	v_sub_u32_e32 v3, 0, v35
	v_max_i32_e32 v3, v35, v3
	v_mul_hi_u32 v4, v3, s52
	v_mul_lo_u32 v5, v4, s35
	v_sub_u32_e32 v3, v3, v5
	v_add_u32_e32 v5, 1, v4
	v_cmp_le_u32_e64 s[4:5], s35, v3
	v_cndmask_b32_e64 v4, v4, v5, s[4:5]
	v_subrev_u32_e32 v5, s35, v3
	v_cndmask_b32_e64 v3, v3, v5, s[4:5]
	v_ashrrev_i32_e32 v2, 31, v35
	v_add_u32_e32 v5, 1, v4
	v_cmp_le_u32_e64 s[4:5], s35, v3
	v_xor_b32_e32 v2, s53, v2
	v_cndmask_b32_e64 v3, v4, v5, s[4:5]
	v_xor_b32_e32 v3, v3, v2
	v_sub_u32_e32 v2, v3, v2
	v_add_u32_e32 v3, s42, v2
	v_sub_u32_e32 v5, 0, v3
	v_ashrrev_i32_e32 v4, 31, v3
	v_max_i32_e32 v3, v3, v5
	v_mul_hi_u32 v5, v3, v34
	v_mul_lo_u32 v5, v5, s58
	v_sub_u32_e32 v3, v3, v5
	v_subrev_u32_e32 v5, s58, v3
	v_cmp_le_u32_e64 s[4:5], s58, v3
	v_cndmask_b32_e64 v3, v3, v5, s[4:5]
	v_subrev_u32_e32 v5, s58, v3
	v_cmp_le_u32_e64 s[4:5], s58, v3
	v_cndmask_b32_e64 v3, v3, v5, s[4:5]
	v_xor_b32_e32 v3, v3, v4
	v_sub_u32_e32 v3, v3, v4
	v_cmp_ne_u32_e64 s[4:5], 0, v3
	v_cmp_ge_i32_e64 s[10:11], s57, v2
	s_and_b64 s[4:5], s[4:5], s[10:11]
	s_and_b64 s[46:47], vcc, s[4:5]
	s_and_saveexec_b64 s[10:11], s[46:47]
	s_cbranch_execz .LBB197_16
; %bb.15:                               ;   in Loop: Header=BB197_14 Depth=1
	ds_write_b32 v36, v38
.LBB197_16:                             ;   in Loop: Header=BB197_14 Depth=1
	s_or_b64 exec, exec, s[10:11]
	s_xor_b64 s[4:5], s[4:5], -1
	s_and_saveexec_b64 s[10:11], s[4:5]
	s_cbranch_execz .LBB197_13
; %bb.17:                               ;   in Loop: Header=BB197_14 Depth=1
	global_load_dword v2, v[24:25], off
	v_mov_b32_e32 v43, 0
	v_mov_b32_e32 v44, 0
	s_waitcnt vmcnt(0)
	v_mad_i64_i32 v[2:3], s[4:5], v2, s59, v[22:23]
	v_add_co_u32_e64 v26, s[4:5], v2, v20
	v_addc_co_u32_e64 v27, s[4:5], 0, v3, s[4:5]
	global_load_ubyte v45, v[26:27], off
	ds_read_b128 v[14:17], v32
	ds_read_b128 v[10:13], v32 offset:16
	ds_read_b128 v[6:9], v32 offset:32
	;; [unrolled: 1-line block ×3, first 2 shown]
	s_load_dword s62, s[12:13], 0x0
	s_waitcnt vmcnt(0)
	v_cmp_ne_u16_e64 s[4:5], 0, v45
	s_and_saveexec_b64 s[46:47], s[4:5]
	s_cbranch_execz .LBB197_23
; %bb.18:                               ;   in Loop: Header=BB197_14 Depth=1
	v_cmp_ne_u16_e64 s[4:5], s60, v45
	v_bfrev_b32_e32 v44, 1
	s_and_saveexec_b64 s[48:49], s[4:5]
	s_cbranch_execz .LBB197_22
; %bb.19:                               ;   in Loop: Header=BB197_14 Depth=1
	v_and_b32_e32 v28, 0xffff, v45
	v_and_b32_e32 v46, 0x7f, v28
	v_cmp_ne_u32_e64 s[4:5], s61, v46
	v_mov_b32_e32 v44, 0x7f800001
	s_and_saveexec_b64 s[50:51], s[4:5]
	s_cbranch_execz .LBB197_21
; %bb.20:                               ;   in Loop: Header=BB197_14 Depth=1
	v_and_b32_e32 v44, 7, v28
	v_ffbh_u32_e32 v48, v44
	v_min_u32_e32 v50, 32, v48
	v_subrev_u32_e32 v48, 28, v50
	v_lshlrev_b64 v[48:49], v48, v[28:29]
	v_lshrrev_b32_e32 v47, 3, v46
	v_sub_u32_e32 v28, 29, v50
	v_and_b32_e32 v48, 7, v48
	v_cmp_gt_u32_e64 s[4:5], 8, v46
	v_cndmask_b32_e64 v28, v47, v28, s[4:5]
	v_cndmask_b32_e64 v44, v44, v48, s[4:5]
	v_lshlrev_b32_e32 v45, 24, v45
	v_lshlrev_b32_e32 v44, 20, v44
	v_and_b32_e32 v45, 0x80000000, v45
	v_lshl_add_u32 v28, v28, 23, v39
	v_or3_b32 v44, v45, v28, v44
.LBB197_21:                             ;   in Loop: Header=BB197_14 Depth=1
	s_or_b64 exec, exec, s[50:51]
.LBB197_22:                             ;   in Loop: Header=BB197_14 Depth=1
	s_or_b64 exec, exec, s[48:49]
.LBB197_23:                             ;   in Loop: Header=BB197_14 Depth=1
	s_or_b64 exec, exec, s[46:47]
	global_load_ubyte v45, v[26:27], off offset:8
	s_waitcnt vmcnt(0)
	v_cmp_ne_u16_e64 s[4:5], 0, v45
	s_and_saveexec_b64 s[46:47], s[4:5]
	s_cbranch_execz .LBB197_29
; %bb.24:                               ;   in Loop: Header=BB197_14 Depth=1
	v_cmp_ne_u16_e64 s[4:5], s60, v45
	v_bfrev_b32_e32 v43, 1
	s_and_saveexec_b64 s[48:49], s[4:5]
	s_cbranch_execz .LBB197_28
; %bb.25:                               ;   in Loop: Header=BB197_14 Depth=1
	v_and_b32_e32 v28, 0xffff, v45
	v_and_b32_e32 v46, 0x7f, v28
	v_cmp_ne_u32_e64 s[4:5], s61, v46
	v_mov_b32_e32 v43, 0x7f800001
	s_and_saveexec_b64 s[50:51], s[4:5]
	s_cbranch_execz .LBB197_27
; %bb.26:                               ;   in Loop: Header=BB197_14 Depth=1
	v_and_b32_e32 v43, 7, v28
	v_ffbh_u32_e32 v48, v43
	v_min_u32_e32 v50, 32, v48
	v_subrev_u32_e32 v48, 28, v50
	v_lshlrev_b64 v[48:49], v48, v[28:29]
	v_lshrrev_b32_e32 v47, 3, v46
	v_sub_u32_e32 v28, 29, v50
	v_and_b32_e32 v48, 7, v48
	v_cmp_gt_u32_e64 s[4:5], 8, v46
	v_cndmask_b32_e64 v28, v47, v28, s[4:5]
	v_cndmask_b32_e64 v43, v43, v48, s[4:5]
	v_lshlrev_b32_e32 v45, 24, v45
	v_lshlrev_b32_e32 v43, 20, v43
	v_and_b32_e32 v45, 0x80000000, v45
	v_lshl_add_u32 v28, v28, 23, v39
	v_or3_b32 v43, v45, v28, v43
.LBB197_27:                             ;   in Loop: Header=BB197_14 Depth=1
	s_or_b64 exec, exec, s[50:51]
.LBB197_28:                             ;   in Loop: Header=BB197_14 Depth=1
	s_or_b64 exec, exec, s[48:49]
.LBB197_29:                             ;   in Loop: Header=BB197_14 Depth=1
	s_or_b64 exec, exec, s[46:47]
	global_load_ubyte v47, v[26:27], off offset:128
	v_mov_b32_e32 v45, 0
	v_mov_b32_e32 v46, 0
	s_waitcnt vmcnt(0)
	v_cmp_ne_u16_e64 s[4:5], 0, v47
	s_and_saveexec_b64 s[46:47], s[4:5]
	s_cbranch_execz .LBB197_35
; %bb.30:                               ;   in Loop: Header=BB197_14 Depth=1
	v_cmp_ne_u16_e64 s[4:5], s60, v47
	v_bfrev_b32_e32 v46, 1
	s_and_saveexec_b64 s[48:49], s[4:5]
	s_cbranch_execz .LBB197_34
; %bb.31:                               ;   in Loop: Header=BB197_14 Depth=1
	v_and_b32_e32 v28, 0xffff, v47
	v_and_b32_e32 v48, 0x7f, v28
	v_cmp_ne_u32_e64 s[4:5], s61, v48
	v_mov_b32_e32 v46, 0x7f800001
	s_and_saveexec_b64 s[50:51], s[4:5]
	s_cbranch_execz .LBB197_33
; %bb.32:                               ;   in Loop: Header=BB197_14 Depth=1
	v_and_b32_e32 v46, 7, v28
	v_ffbh_u32_e32 v50, v46
	v_min_u32_e32 v52, 32, v50
	v_subrev_u32_e32 v50, 28, v52
	v_lshlrev_b64 v[50:51], v50, v[28:29]
	v_lshrrev_b32_e32 v49, 3, v48
	v_sub_u32_e32 v28, 29, v52
	v_and_b32_e32 v50, 7, v50
	v_cmp_gt_u32_e64 s[4:5], 8, v48
	v_cndmask_b32_e64 v28, v49, v28, s[4:5]
	v_cndmask_b32_e64 v46, v46, v50, s[4:5]
	v_lshlrev_b32_e32 v47, 24, v47
	v_lshlrev_b32_e32 v46, 20, v46
	v_and_b32_e32 v47, 0x80000000, v47
	v_lshl_add_u32 v28, v28, 23, v39
	v_or3_b32 v46, v47, v28, v46
.LBB197_33:                             ;   in Loop: Header=BB197_14 Depth=1
	s_or_b64 exec, exec, s[50:51]
.LBB197_34:                             ;   in Loop: Header=BB197_14 Depth=1
	s_or_b64 exec, exec, s[48:49]
.LBB197_35:                             ;   in Loop: Header=BB197_14 Depth=1
	s_or_b64 exec, exec, s[46:47]
	global_load_ubyte v47, v[26:27], off offset:136
	s_waitcnt vmcnt(0)
	v_cmp_ne_u16_e64 s[4:5], 0, v47
	s_and_saveexec_b64 s[46:47], s[4:5]
	s_cbranch_execz .LBB197_41
; %bb.36:                               ;   in Loop: Header=BB197_14 Depth=1
	v_cmp_ne_u16_e64 s[4:5], s60, v47
	v_bfrev_b32_e32 v45, 1
	s_and_saveexec_b64 s[48:49], s[4:5]
	s_cbranch_execz .LBB197_40
; %bb.37:                               ;   in Loop: Header=BB197_14 Depth=1
	v_and_b32_e32 v28, 0xffff, v47
	v_and_b32_e32 v48, 0x7f, v28
	v_cmp_ne_u32_e64 s[4:5], s61, v48
	v_mov_b32_e32 v45, 0x7f800001
	s_and_saveexec_b64 s[50:51], s[4:5]
	s_cbranch_execz .LBB197_39
; %bb.38:                               ;   in Loop: Header=BB197_14 Depth=1
	v_and_b32_e32 v45, 7, v28
	v_ffbh_u32_e32 v50, v45
	v_min_u32_e32 v52, 32, v50
	v_subrev_u32_e32 v50, 28, v52
	v_lshlrev_b64 v[50:51], v50, v[28:29]
	v_lshrrev_b32_e32 v49, 3, v48
	v_sub_u32_e32 v28, 29, v52
	v_and_b32_e32 v50, 7, v50
	v_cmp_gt_u32_e64 s[4:5], 8, v48
	v_cndmask_b32_e64 v28, v49, v28, s[4:5]
	v_cndmask_b32_e64 v45, v45, v50, s[4:5]
	v_lshlrev_b32_e32 v47, 24, v47
	v_lshlrev_b32_e32 v45, 20, v45
	v_and_b32_e32 v47, 0x80000000, v47
	v_lshl_add_u32 v28, v28, 23, v39
	v_or3_b32 v45, v47, v28, v45
.LBB197_39:                             ;   in Loop: Header=BB197_14 Depth=1
	s_or_b64 exec, exec, s[50:51]
.LBB197_40:                             ;   in Loop: Header=BB197_14 Depth=1
	s_or_b64 exec, exec, s[48:49]
.LBB197_41:                             ;   in Loop: Header=BB197_14 Depth=1
	s_or_b64 exec, exec, s[46:47]
	global_load_ubyte v49, v[26:27], off offset:256
	v_mov_b32_e32 v47, 0
	v_mov_b32_e32 v48, 0
	s_waitcnt vmcnt(0)
	v_cmp_ne_u16_e64 s[4:5], 0, v49
	s_and_saveexec_b64 s[46:47], s[4:5]
	s_cbranch_execz .LBB197_47
; %bb.42:                               ;   in Loop: Header=BB197_14 Depth=1
	v_cmp_ne_u16_e64 s[4:5], s60, v49
	v_bfrev_b32_e32 v48, 1
	s_and_saveexec_b64 s[48:49], s[4:5]
	s_cbranch_execz .LBB197_46
; %bb.43:                               ;   in Loop: Header=BB197_14 Depth=1
	v_and_b32_e32 v28, 0xffff, v49
	v_and_b32_e32 v50, 0x7f, v28
	v_cmp_ne_u32_e64 s[4:5], s61, v50
	v_mov_b32_e32 v48, 0x7f800001
	s_and_saveexec_b64 s[50:51], s[4:5]
	s_cbranch_execz .LBB197_45
; %bb.44:                               ;   in Loop: Header=BB197_14 Depth=1
	v_and_b32_e32 v48, 7, v28
	v_ffbh_u32_e32 v52, v48
	v_min_u32_e32 v54, 32, v52
	v_subrev_u32_e32 v52, 28, v54
	v_lshlrev_b64 v[52:53], v52, v[28:29]
	v_lshrrev_b32_e32 v51, 3, v50
	v_sub_u32_e32 v28, 29, v54
	v_and_b32_e32 v52, 7, v52
	v_cmp_gt_u32_e64 s[4:5], 8, v50
	v_cndmask_b32_e64 v28, v51, v28, s[4:5]
	v_cndmask_b32_e64 v48, v48, v52, s[4:5]
	v_lshlrev_b32_e32 v49, 24, v49
	v_lshlrev_b32_e32 v48, 20, v48
	v_and_b32_e32 v49, 0x80000000, v49
	v_lshl_add_u32 v28, v28, 23, v39
	v_or3_b32 v48, v49, v28, v48
.LBB197_45:                             ;   in Loop: Header=BB197_14 Depth=1
	s_or_b64 exec, exec, s[50:51]
.LBB197_46:                             ;   in Loop: Header=BB197_14 Depth=1
	s_or_b64 exec, exec, s[48:49]
.LBB197_47:                             ;   in Loop: Header=BB197_14 Depth=1
	s_or_b64 exec, exec, s[46:47]
	global_load_ubyte v49, v[26:27], off offset:264
	s_waitcnt vmcnt(0)
	v_cmp_ne_u16_e64 s[4:5], 0, v49
	s_and_saveexec_b64 s[46:47], s[4:5]
	s_cbranch_execz .LBB197_53
; %bb.48:                               ;   in Loop: Header=BB197_14 Depth=1
	v_cmp_ne_u16_e64 s[4:5], s60, v49
	v_bfrev_b32_e32 v47, 1
	s_and_saveexec_b64 s[48:49], s[4:5]
	s_cbranch_execz .LBB197_52
; %bb.49:                               ;   in Loop: Header=BB197_14 Depth=1
	v_and_b32_e32 v28, 0xffff, v49
	v_and_b32_e32 v50, 0x7f, v28
	v_cmp_ne_u32_e64 s[4:5], s61, v50
	v_mov_b32_e32 v47, 0x7f800001
	s_and_saveexec_b64 s[50:51], s[4:5]
	s_cbranch_execz .LBB197_51
; %bb.50:                               ;   in Loop: Header=BB197_14 Depth=1
	v_and_b32_e32 v47, 7, v28
	v_ffbh_u32_e32 v52, v47
	v_min_u32_e32 v54, 32, v52
	v_subrev_u32_e32 v52, 28, v54
	v_lshlrev_b64 v[52:53], v52, v[28:29]
	v_lshrrev_b32_e32 v51, 3, v50
	v_sub_u32_e32 v28, 29, v54
	v_and_b32_e32 v52, 7, v52
	v_cmp_gt_u32_e64 s[4:5], 8, v50
	v_cndmask_b32_e64 v28, v51, v28, s[4:5]
	v_cndmask_b32_e64 v47, v47, v52, s[4:5]
	v_lshlrev_b32_e32 v49, 24, v49
	v_lshlrev_b32_e32 v47, 20, v47
	v_and_b32_e32 v49, 0x80000000, v49
	v_lshl_add_u32 v28, v28, 23, v39
	v_or3_b32 v47, v49, v28, v47
.LBB197_51:                             ;   in Loop: Header=BB197_14 Depth=1
	s_or_b64 exec, exec, s[50:51]
.LBB197_52:                             ;   in Loop: Header=BB197_14 Depth=1
	s_or_b64 exec, exec, s[48:49]
.LBB197_53:                             ;   in Loop: Header=BB197_14 Depth=1
	s_or_b64 exec, exec, s[46:47]
	global_load_ubyte v51, v[26:27], off offset:384
	v_mov_b32_e32 v49, 0
	v_mov_b32_e32 v50, 0
	s_waitcnt vmcnt(0)
	v_cmp_ne_u16_e64 s[4:5], 0, v51
	s_and_saveexec_b64 s[46:47], s[4:5]
	s_cbranch_execz .LBB197_59
; %bb.54:                               ;   in Loop: Header=BB197_14 Depth=1
	v_cmp_ne_u16_e64 s[4:5], s60, v51
	v_bfrev_b32_e32 v50, 1
	s_and_saveexec_b64 s[48:49], s[4:5]
	s_cbranch_execz .LBB197_58
; %bb.55:                               ;   in Loop: Header=BB197_14 Depth=1
	v_and_b32_e32 v28, 0xffff, v51
	v_and_b32_e32 v52, 0x7f, v28
	v_cmp_ne_u32_e64 s[4:5], s61, v52
	v_mov_b32_e32 v50, 0x7f800001
	s_and_saveexec_b64 s[50:51], s[4:5]
	s_cbranch_execz .LBB197_57
; %bb.56:                               ;   in Loop: Header=BB197_14 Depth=1
	v_and_b32_e32 v50, 7, v28
	v_ffbh_u32_e32 v54, v50
	v_min_u32_e32 v56, 32, v54
	v_subrev_u32_e32 v54, 28, v56
	v_lshlrev_b64 v[54:55], v54, v[28:29]
	v_lshrrev_b32_e32 v53, 3, v52
	v_sub_u32_e32 v28, 29, v56
	v_and_b32_e32 v54, 7, v54
	v_cmp_gt_u32_e64 s[4:5], 8, v52
	v_cndmask_b32_e64 v28, v53, v28, s[4:5]
	v_cndmask_b32_e64 v50, v50, v54, s[4:5]
	v_lshlrev_b32_e32 v51, 24, v51
	v_lshlrev_b32_e32 v50, 20, v50
	v_and_b32_e32 v51, 0x80000000, v51
	v_lshl_add_u32 v28, v28, 23, v39
	v_or3_b32 v50, v51, v28, v50
.LBB197_57:                             ;   in Loop: Header=BB197_14 Depth=1
	s_or_b64 exec, exec, s[50:51]
.LBB197_58:                             ;   in Loop: Header=BB197_14 Depth=1
	s_or_b64 exec, exec, s[48:49]
.LBB197_59:                             ;   in Loop: Header=BB197_14 Depth=1
	s_or_b64 exec, exec, s[46:47]
	global_load_ubyte v51, v[26:27], off offset:392
	s_waitcnt vmcnt(0)
	v_cmp_ne_u16_e64 s[4:5], 0, v51
	s_and_saveexec_b64 s[46:47], s[4:5]
	s_cbranch_execz .LBB197_65
; %bb.60:                               ;   in Loop: Header=BB197_14 Depth=1
	v_cmp_ne_u16_e64 s[4:5], s60, v51
	v_bfrev_b32_e32 v49, 1
	s_and_saveexec_b64 s[48:49], s[4:5]
	s_cbranch_execz .LBB197_64
; %bb.61:                               ;   in Loop: Header=BB197_14 Depth=1
	v_and_b32_e32 v28, 0xffff, v51
	v_and_b32_e32 v52, 0x7f, v28
	v_cmp_ne_u32_e64 s[4:5], s61, v52
	v_mov_b32_e32 v49, 0x7f800001
	s_and_saveexec_b64 s[50:51], s[4:5]
	s_cbranch_execz .LBB197_63
; %bb.62:                               ;   in Loop: Header=BB197_14 Depth=1
	v_and_b32_e32 v49, 7, v28
	v_ffbh_u32_e32 v54, v49
	v_min_u32_e32 v56, 32, v54
	v_subrev_u32_e32 v54, 28, v56
	v_lshlrev_b64 v[54:55], v54, v[28:29]
	v_lshrrev_b32_e32 v53, 3, v52
	v_sub_u32_e32 v28, 29, v56
	v_and_b32_e32 v54, 7, v54
	v_cmp_gt_u32_e64 s[4:5], 8, v52
	v_cndmask_b32_e64 v28, v53, v28, s[4:5]
	v_cndmask_b32_e64 v49, v49, v54, s[4:5]
	v_lshlrev_b32_e32 v51, 24, v51
	v_lshlrev_b32_e32 v49, 20, v49
	v_and_b32_e32 v51, 0x80000000, v51
	v_lshl_add_u32 v28, v28, 23, v39
	v_or3_b32 v49, v51, v28, v49
.LBB197_63:                             ;   in Loop: Header=BB197_14 Depth=1
	s_or_b64 exec, exec, s[50:51]
.LBB197_64:                             ;   in Loop: Header=BB197_14 Depth=1
	s_or_b64 exec, exec, s[48:49]
.LBB197_65:                             ;   in Loop: Header=BB197_14 Depth=1
	s_or_b64 exec, exec, s[46:47]
	global_load_ubyte v53, v[26:27], off offset:512
	v_mov_b32_e32 v51, 0
	v_mov_b32_e32 v52, 0
	s_waitcnt vmcnt(0)
	v_cmp_ne_u16_e64 s[4:5], 0, v53
	s_and_saveexec_b64 s[46:47], s[4:5]
	s_cbranch_execz .LBB197_71
; %bb.66:                               ;   in Loop: Header=BB197_14 Depth=1
	v_cmp_ne_u16_e64 s[4:5], s60, v53
	v_bfrev_b32_e32 v52, 1
	s_and_saveexec_b64 s[48:49], s[4:5]
	s_cbranch_execz .LBB197_70
; %bb.67:                               ;   in Loop: Header=BB197_14 Depth=1
	v_and_b32_e32 v28, 0xffff, v53
	v_and_b32_e32 v54, 0x7f, v28
	v_cmp_ne_u32_e64 s[4:5], s61, v54
	v_mov_b32_e32 v52, 0x7f800001
	s_and_saveexec_b64 s[50:51], s[4:5]
	s_cbranch_execz .LBB197_69
; %bb.68:                               ;   in Loop: Header=BB197_14 Depth=1
	v_and_b32_e32 v52, 7, v28
	v_ffbh_u32_e32 v56, v52
	v_min_u32_e32 v58, 32, v56
	v_subrev_u32_e32 v56, 28, v58
	v_lshlrev_b64 v[56:57], v56, v[28:29]
	v_lshrrev_b32_e32 v55, 3, v54
	v_sub_u32_e32 v28, 29, v58
	v_and_b32_e32 v56, 7, v56
	v_cmp_gt_u32_e64 s[4:5], 8, v54
	v_cndmask_b32_e64 v28, v55, v28, s[4:5]
	v_cndmask_b32_e64 v52, v52, v56, s[4:5]
	v_lshlrev_b32_e32 v53, 24, v53
	v_lshlrev_b32_e32 v52, 20, v52
	v_and_b32_e32 v53, 0x80000000, v53
	v_lshl_add_u32 v28, v28, 23, v39
	v_or3_b32 v52, v53, v28, v52
.LBB197_69:                             ;   in Loop: Header=BB197_14 Depth=1
	s_or_b64 exec, exec, s[50:51]
.LBB197_70:                             ;   in Loop: Header=BB197_14 Depth=1
	s_or_b64 exec, exec, s[48:49]
.LBB197_71:                             ;   in Loop: Header=BB197_14 Depth=1
	s_or_b64 exec, exec, s[46:47]
	global_load_ubyte v53, v[26:27], off offset:520
	s_waitcnt vmcnt(0)
	v_cmp_ne_u16_e64 s[4:5], 0, v53
	s_and_saveexec_b64 s[46:47], s[4:5]
	s_cbranch_execz .LBB197_77
; %bb.72:                               ;   in Loop: Header=BB197_14 Depth=1
	v_cmp_ne_u16_e64 s[4:5], s60, v53
	v_bfrev_b32_e32 v51, 1
	s_and_saveexec_b64 s[48:49], s[4:5]
	s_cbranch_execz .LBB197_76
; %bb.73:                               ;   in Loop: Header=BB197_14 Depth=1
	v_and_b32_e32 v28, 0xffff, v53
	v_and_b32_e32 v54, 0x7f, v28
	v_cmp_ne_u32_e64 s[4:5], s61, v54
	v_mov_b32_e32 v51, 0x7f800001
	s_and_saveexec_b64 s[50:51], s[4:5]
	s_cbranch_execz .LBB197_75
; %bb.74:                               ;   in Loop: Header=BB197_14 Depth=1
	v_and_b32_e32 v51, 7, v28
	v_ffbh_u32_e32 v56, v51
	v_min_u32_e32 v58, 32, v56
	v_subrev_u32_e32 v56, 28, v58
	v_lshlrev_b64 v[56:57], v56, v[28:29]
	v_lshrrev_b32_e32 v55, 3, v54
	v_sub_u32_e32 v28, 29, v58
	v_and_b32_e32 v56, 7, v56
	v_cmp_gt_u32_e64 s[4:5], 8, v54
	v_cndmask_b32_e64 v28, v55, v28, s[4:5]
	v_cndmask_b32_e64 v51, v51, v56, s[4:5]
	v_lshlrev_b32_e32 v53, 24, v53
	v_lshlrev_b32_e32 v51, 20, v51
	v_and_b32_e32 v53, 0x80000000, v53
	v_lshl_add_u32 v28, v28, 23, v39
	v_or3_b32 v51, v53, v28, v51
.LBB197_75:                             ;   in Loop: Header=BB197_14 Depth=1
	s_or_b64 exec, exec, s[50:51]
.LBB197_76:                             ;   in Loop: Header=BB197_14 Depth=1
	s_or_b64 exec, exec, s[48:49]
.LBB197_77:                             ;   in Loop: Header=BB197_14 Depth=1
	s_or_b64 exec, exec, s[46:47]
	global_load_ubyte v55, v[26:27], off offset:640
	v_mov_b32_e32 v53, 0
	v_mov_b32_e32 v54, 0
	s_waitcnt vmcnt(0)
	v_cmp_ne_u16_e64 s[4:5], 0, v55
	s_and_saveexec_b64 s[46:47], s[4:5]
	s_cbranch_execz .LBB197_83
; %bb.78:                               ;   in Loop: Header=BB197_14 Depth=1
	v_cmp_ne_u16_e64 s[4:5], s60, v55
	v_bfrev_b32_e32 v54, 1
	s_and_saveexec_b64 s[48:49], s[4:5]
	s_cbranch_execz .LBB197_82
; %bb.79:                               ;   in Loop: Header=BB197_14 Depth=1
	v_and_b32_e32 v28, 0xffff, v55
	v_and_b32_e32 v56, 0x7f, v28
	v_cmp_ne_u32_e64 s[4:5], s61, v56
	v_mov_b32_e32 v54, 0x7f800001
	s_and_saveexec_b64 s[50:51], s[4:5]
	s_cbranch_execz .LBB197_81
; %bb.80:                               ;   in Loop: Header=BB197_14 Depth=1
	v_and_b32_e32 v54, 7, v28
	v_ffbh_u32_e32 v58, v54
	v_min_u32_e32 v60, 32, v58
	v_subrev_u32_e32 v58, 28, v60
	v_lshlrev_b64 v[58:59], v58, v[28:29]
	v_lshrrev_b32_e32 v57, 3, v56
	v_sub_u32_e32 v28, 29, v60
	v_and_b32_e32 v58, 7, v58
	v_cmp_gt_u32_e64 s[4:5], 8, v56
	v_cndmask_b32_e64 v28, v57, v28, s[4:5]
	v_cndmask_b32_e64 v54, v54, v58, s[4:5]
	v_lshlrev_b32_e32 v55, 24, v55
	v_lshlrev_b32_e32 v54, 20, v54
	v_and_b32_e32 v55, 0x80000000, v55
	v_lshl_add_u32 v28, v28, 23, v39
	v_or3_b32 v54, v55, v28, v54
.LBB197_81:                             ;   in Loop: Header=BB197_14 Depth=1
	s_or_b64 exec, exec, s[50:51]
.LBB197_82:                             ;   in Loop: Header=BB197_14 Depth=1
	s_or_b64 exec, exec, s[48:49]
.LBB197_83:                             ;   in Loop: Header=BB197_14 Depth=1
	s_or_b64 exec, exec, s[46:47]
	global_load_ubyte v55, v[26:27], off offset:648
	s_waitcnt vmcnt(0)
	v_cmp_ne_u16_e64 s[4:5], 0, v55
	s_and_saveexec_b64 s[46:47], s[4:5]
	s_cbranch_execz .LBB197_89
; %bb.84:                               ;   in Loop: Header=BB197_14 Depth=1
	v_cmp_ne_u16_e64 s[4:5], s60, v55
	v_bfrev_b32_e32 v53, 1
	s_and_saveexec_b64 s[48:49], s[4:5]
	s_cbranch_execz .LBB197_88
; %bb.85:                               ;   in Loop: Header=BB197_14 Depth=1
	v_and_b32_e32 v28, 0xffff, v55
	v_and_b32_e32 v56, 0x7f, v28
	v_cmp_ne_u32_e64 s[4:5], s61, v56
	v_mov_b32_e32 v53, 0x7f800001
	s_and_saveexec_b64 s[50:51], s[4:5]
	s_cbranch_execz .LBB197_87
; %bb.86:                               ;   in Loop: Header=BB197_14 Depth=1
	v_and_b32_e32 v53, 7, v28
	v_ffbh_u32_e32 v58, v53
	v_min_u32_e32 v60, 32, v58
	v_subrev_u32_e32 v58, 28, v60
	v_lshlrev_b64 v[58:59], v58, v[28:29]
	v_lshrrev_b32_e32 v57, 3, v56
	v_sub_u32_e32 v28, 29, v60
	v_and_b32_e32 v58, 7, v58
	v_cmp_gt_u32_e64 s[4:5], 8, v56
	v_cndmask_b32_e64 v28, v57, v28, s[4:5]
	v_cndmask_b32_e64 v53, v53, v58, s[4:5]
	v_lshlrev_b32_e32 v55, 24, v55
	v_lshlrev_b32_e32 v53, 20, v53
	v_and_b32_e32 v55, 0x80000000, v55
	v_lshl_add_u32 v28, v28, 23, v39
	v_or3_b32 v53, v55, v28, v53
.LBB197_87:                             ;   in Loop: Header=BB197_14 Depth=1
	s_or_b64 exec, exec, s[50:51]
.LBB197_88:                             ;   in Loop: Header=BB197_14 Depth=1
	s_or_b64 exec, exec, s[48:49]
.LBB197_89:                             ;   in Loop: Header=BB197_14 Depth=1
	s_or_b64 exec, exec, s[46:47]
	global_load_ubyte v57, v[26:27], off offset:768
	v_mov_b32_e32 v55, 0
	v_mov_b32_e32 v56, 0
	s_waitcnt vmcnt(0)
	v_cmp_ne_u16_e64 s[4:5], 0, v57
	s_and_saveexec_b64 s[46:47], s[4:5]
	s_cbranch_execz .LBB197_95
; %bb.90:                               ;   in Loop: Header=BB197_14 Depth=1
	v_cmp_ne_u16_e64 s[4:5], s60, v57
	v_bfrev_b32_e32 v56, 1
	s_and_saveexec_b64 s[48:49], s[4:5]
	s_cbranch_execz .LBB197_94
; %bb.91:                               ;   in Loop: Header=BB197_14 Depth=1
	v_and_b32_e32 v28, 0xffff, v57
	v_and_b32_e32 v58, 0x7f, v28
	v_cmp_ne_u32_e64 s[4:5], s61, v58
	v_mov_b32_e32 v56, 0x7f800001
	s_and_saveexec_b64 s[50:51], s[4:5]
	s_cbranch_execz .LBB197_93
; %bb.92:                               ;   in Loop: Header=BB197_14 Depth=1
	v_and_b32_e32 v56, 7, v28
	v_ffbh_u32_e32 v60, v56
	v_min_u32_e32 v62, 32, v60
	v_subrev_u32_e32 v60, 28, v62
	v_lshlrev_b64 v[60:61], v60, v[28:29]
	v_lshrrev_b32_e32 v59, 3, v58
	v_sub_u32_e32 v28, 29, v62
	v_and_b32_e32 v60, 7, v60
	v_cmp_gt_u32_e64 s[4:5], 8, v58
	v_cndmask_b32_e64 v28, v59, v28, s[4:5]
	v_cndmask_b32_e64 v56, v56, v60, s[4:5]
	v_lshlrev_b32_e32 v57, 24, v57
	v_lshlrev_b32_e32 v56, 20, v56
	v_and_b32_e32 v57, 0x80000000, v57
	v_lshl_add_u32 v28, v28, 23, v39
	v_or3_b32 v56, v57, v28, v56
.LBB197_93:                             ;   in Loop: Header=BB197_14 Depth=1
	s_or_b64 exec, exec, s[50:51]
.LBB197_94:                             ;   in Loop: Header=BB197_14 Depth=1
	s_or_b64 exec, exec, s[48:49]
.LBB197_95:                             ;   in Loop: Header=BB197_14 Depth=1
	s_or_b64 exec, exec, s[46:47]
	global_load_ubyte v57, v[26:27], off offset:776
	s_waitcnt vmcnt(0)
	v_cmp_ne_u16_e64 s[4:5], 0, v57
	s_and_saveexec_b64 s[46:47], s[4:5]
	s_cbranch_execz .LBB197_101
; %bb.96:                               ;   in Loop: Header=BB197_14 Depth=1
	v_cmp_ne_u16_e64 s[4:5], s60, v57
	v_bfrev_b32_e32 v55, 1
	s_and_saveexec_b64 s[48:49], s[4:5]
	s_cbranch_execz .LBB197_100
; %bb.97:                               ;   in Loop: Header=BB197_14 Depth=1
	v_and_b32_e32 v28, 0xffff, v57
	v_and_b32_e32 v58, 0x7f, v28
	v_cmp_ne_u32_e64 s[4:5], s61, v58
	v_mov_b32_e32 v55, 0x7f800001
	s_and_saveexec_b64 s[50:51], s[4:5]
	s_cbranch_execz .LBB197_99
; %bb.98:                               ;   in Loop: Header=BB197_14 Depth=1
	v_and_b32_e32 v55, 7, v28
	v_ffbh_u32_e32 v60, v55
	v_min_u32_e32 v62, 32, v60
	v_subrev_u32_e32 v60, 28, v62
	v_lshlrev_b64 v[60:61], v60, v[28:29]
	v_lshrrev_b32_e32 v59, 3, v58
	v_sub_u32_e32 v28, 29, v62
	v_and_b32_e32 v60, 7, v60
	v_cmp_gt_u32_e64 s[4:5], 8, v58
	v_cndmask_b32_e64 v28, v59, v28, s[4:5]
	v_cndmask_b32_e64 v55, v55, v60, s[4:5]
	v_lshlrev_b32_e32 v57, 24, v57
	v_lshlrev_b32_e32 v55, 20, v55
	v_and_b32_e32 v57, 0x80000000, v57
	v_lshl_add_u32 v28, v28, 23, v39
	v_or3_b32 v55, v57, v28, v55
.LBB197_99:                             ;   in Loop: Header=BB197_14 Depth=1
	s_or_b64 exec, exec, s[50:51]
.LBB197_100:                            ;   in Loop: Header=BB197_14 Depth=1
	s_or_b64 exec, exec, s[48:49]
.LBB197_101:                            ;   in Loop: Header=BB197_14 Depth=1
	s_or_b64 exec, exec, s[46:47]
	global_load_ubyte v59, v[26:27], off offset:896
	v_mov_b32_e32 v57, 0
	v_mov_b32_e32 v58, 0
	s_waitcnt vmcnt(0)
	v_cmp_ne_u16_e64 s[4:5], 0, v59
	s_and_saveexec_b64 s[46:47], s[4:5]
	s_cbranch_execz .LBB197_107
; %bb.102:                              ;   in Loop: Header=BB197_14 Depth=1
	v_cmp_ne_u16_e64 s[4:5], s60, v59
	v_bfrev_b32_e32 v58, 1
	s_and_saveexec_b64 s[48:49], s[4:5]
	s_cbranch_execz .LBB197_106
; %bb.103:                              ;   in Loop: Header=BB197_14 Depth=1
	v_and_b32_e32 v28, 0xffff, v59
	v_and_b32_e32 v60, 0x7f, v28
	v_cmp_ne_u32_e64 s[4:5], s61, v60
	v_mov_b32_e32 v58, 0x7f800001
	s_and_saveexec_b64 s[50:51], s[4:5]
	s_cbranch_execz .LBB197_105
; %bb.104:                              ;   in Loop: Header=BB197_14 Depth=1
	v_and_b32_e32 v58, 7, v28
	v_ffbh_u32_e32 v62, v58
	v_min_u32_e32 v64, 32, v62
	v_subrev_u32_e32 v62, 28, v64
	v_lshlrev_b64 v[62:63], v62, v[28:29]
	v_lshrrev_b32_e32 v61, 3, v60
	v_sub_u32_e32 v28, 29, v64
	v_and_b32_e32 v62, 7, v62
	v_cmp_gt_u32_e64 s[4:5], 8, v60
	v_cndmask_b32_e64 v28, v61, v28, s[4:5]
	v_cndmask_b32_e64 v58, v58, v62, s[4:5]
	v_lshlrev_b32_e32 v59, 24, v59
	v_lshlrev_b32_e32 v58, 20, v58
	v_and_b32_e32 v59, 0x80000000, v59
	v_lshl_add_u32 v28, v28, 23, v39
	v_or3_b32 v58, v59, v28, v58
.LBB197_105:                            ;   in Loop: Header=BB197_14 Depth=1
	s_or_b64 exec, exec, s[50:51]
.LBB197_106:                            ;   in Loop: Header=BB197_14 Depth=1
	s_or_b64 exec, exec, s[48:49]
.LBB197_107:                            ;   in Loop: Header=BB197_14 Depth=1
	s_or_b64 exec, exec, s[46:47]
	global_load_ubyte v27, v[26:27], off offset:904
	s_waitcnt vmcnt(0)
	v_cmp_ne_u16_e64 s[4:5], 0, v27
	s_and_saveexec_b64 s[46:47], s[4:5]
	s_cbranch_execz .LBB197_113
; %bb.108:                              ;   in Loop: Header=BB197_14 Depth=1
	v_cmp_ne_u16_e64 s[4:5], s60, v27
	v_bfrev_b32_e32 v57, 1
	s_and_saveexec_b64 s[48:49], s[4:5]
	s_cbranch_execz .LBB197_112
; %bb.109:                              ;   in Loop: Header=BB197_14 Depth=1
	v_and_b32_e32 v26, 0xffff, v27
	v_and_b32_e32 v28, 0x7f, v26
	v_cmp_ne_u32_e64 s[4:5], s61, v28
	v_mov_b32_e32 v57, 0x7f800001
	s_and_saveexec_b64 s[50:51], s[4:5]
	s_cbranch_execz .LBB197_111
; %bb.110:                              ;   in Loop: Header=BB197_14 Depth=1
	v_and_b32_e32 v57, 7, v26
	v_ffbh_u32_e32 v60, v57
	v_min_u32_e32 v62, 32, v60
	v_subrev_u32_e32 v60, 28, v62
	v_lshlrev_b64 v[60:61], v60, v[26:27]
	v_lshrrev_b32_e32 v59, 3, v28
	v_sub_u32_e32 v26, 29, v62
	v_and_b32_e32 v60, 7, v60
	v_cmp_gt_u32_e64 s[4:5], 8, v28
	v_cndmask_b32_e64 v26, v59, v26, s[4:5]
	v_cndmask_b32_e64 v28, v57, v60, s[4:5]
	v_lshlrev_b32_e32 v27, 24, v27
	v_lshlrev_b32_e32 v28, 20, v28
	v_and_b32_e32 v27, 0x80000000, v27
	v_lshl_add_u32 v26, v26, 23, v39
	v_or3_b32 v57, v27, v26, v28
.LBB197_111:                            ;   in Loop: Header=BB197_14 Depth=1
	s_or_b64 exec, exec, s[50:51]
.LBB197_112:                            ;   in Loop: Header=BB197_14 Depth=1
	s_or_b64 exec, exec, s[48:49]
.LBB197_113:                            ;   in Loop: Header=BB197_14 Depth=1
	s_or_b64 exec, exec, s[46:47]
	s_waitcnt lgkmcnt(0)
	v_mul_f32_e32 v43, s62, v43
	v_mul_f32_e32 v44, s62, v44
	;; [unrolled: 1-line block ×4, first 2 shown]
	v_fmac_f32_e32 v15, v14, v44
	v_mul_f32_e32 v45, s62, v45
	v_fmac_f32_e32 v15, v16, v46
	v_mul_f32_e32 v48, s62, v48
	;; [unrolled: 2-line block ×10, first 2 shown]
	v_mul_f32_e32 v28, s62, v56
	v_and_b32_e32 v55, 64, v41
	v_fmac_f32_e32 v15, v9, v53
	v_add_u32_e32 v55, 64, v55
	v_xor_b32_e32 v56, 4, v41
	v_fmac_f32_e32 v15, v2, v28
	v_mul_f32_e32 v26, s62, v58
	v_cmp_lt_i32_e64 s[4:5], v56, v55
	v_fmac_f32_e32 v15, v3, v27
	v_cndmask_b32_e64 v56, v41, v56, s[4:5]
	v_mul_f32_e32 v57, s62, v57
	v_fmac_f32_e32 v15, v4, v26
	v_lshlrev_b32_e32 v56, 2, v56
	v_fmac_f32_e32 v15, v5, v57
	ds_bpermute_b32 v2, v56, v15
	v_xor_b32_e32 v3, 2, v41
	v_cmp_lt_i32_e64 s[4:5], v3, v55
	v_cndmask_b32_e64 v3, v41, v3, s[4:5]
	v_lshlrev_b32_e32 v3, 2, v3
	s_waitcnt lgkmcnt(0)
	v_add_f32_e32 v2, v15, v2
	ds_bpermute_b32 v3, v3, v2
	v_xor_b32_e32 v4, 1, v41
	v_cmp_lt_i32_e64 s[4:5], v4, v55
	v_cndmask_b32_e64 v4, v41, v4, s[4:5]
	v_lshlrev_b32_e32 v4, 2, v4
	s_waitcnt lgkmcnt(0)
	v_add_f32_e32 v2, v2, v3
	ds_bpermute_b32 v3, v4, v2
	s_and_saveexec_b64 s[46:47], vcc
	s_cbranch_execz .LBB197_12
; %bb.114:                              ;   in Loop: Header=BB197_14 Depth=1
	v_add_u32_e32 v4, v37, v35
	v_cvt_f32_i32_e32 v4, v4
	s_waitcnt lgkmcnt(0)
	v_add_f32_e32 v2, v2, v3
	v_add_u32_e32 v5, v31, v35
	v_cmp_gt_i32_e64 s[4:5], s33, v5
	v_mul_f32_e32 v3, s56, v4
	v_cndmask_b32_e64 v3, 0, v3, s[2:3]
	v_fmac_f32_e32 v3, s43, v2
	v_cndmask_b32_e64 v2, 0, v3, s[4:5]
	ds_write_b32 v36, v2
	v_max_f32_e32 v2, v33, v33
	v_max_f32_e32 v2, v2, v3
	v_cndmask_b32_e64 v33, v33, v2, s[4:5]
	s_branch .LBB197_12
.LBB197_115:
	s_or_b64 exec, exec, s[44:45]
.LBB197_116:
	s_or_b64 exec, exec, s[18:19]
	v_mbcnt_hi_u32_b32 v2, -1, v30
	s_waitcnt lgkmcnt(0)
	v_and_b32_e32 v3, 64, v2
	v_add_u32_e32 v3, 64, v3
	v_xor_b32_e32 v4, 32, v2
	v_cmp_lt_i32_e32 vcc, v4, v3
	v_cndmask_b32_e32 v4, v2, v4, vcc
	v_lshlrev_b32_e32 v6, 2, v4
	ds_bpermute_b32 v4, v6, v33
	v_xor_b32_e32 v7, 16, v2
	v_max_f32_e32 v5, v33, v33
	v_cmp_lt_i32_e32 vcc, v7, v3
	v_and_b32_e32 v41, 63, v0
	s_waitcnt lgkmcnt(0)
	v_max_f32_e32 v4, v4, v4
	v_max_f32_e32 v4, v5, v4
	v_cndmask_b32_e32 v5, v2, v7, vcc
	v_lshlrev_b32_e32 v8, 2, v5
	ds_bpermute_b32 v5, v8, v4
	v_xor_b32_e32 v7, 8, v2
	v_cmp_lt_i32_e32 vcc, v7, v3
	s_waitcnt lgkmcnt(0)
	v_max_f32_e32 v5, v5, v5
	v_max_f32_e32 v4, v4, v5
	v_cndmask_b32_e32 v5, v2, v7, vcc
	v_lshlrev_b32_e32 v9, 2, v5
	ds_bpermute_b32 v7, v9, v4
	v_cmp_eq_u32_e32 vcc, 0, v41
	v_lshlrev_b32_e32 v5, 2, v29
	s_and_saveexec_b64 s[2:3], vcc
	s_cbranch_execz .LBB197_118
; %bb.117:
	s_waitcnt lgkmcnt(0)
	v_max_f32_e32 v7, v7, v7
	v_max_f32_e32 v4, v4, v4
	v_max_f32_e32 v4, v4, v7
	ds_write_b32 v5, v4 offset:512
.LBB197_118:
	s_or_b64 exec, exec, s[2:3]
	v_cmp_gt_u32_e64 s[2:3], 2, v41
	v_mov_b32_e32 v4, 0xff7fffff
	s_waitcnt lgkmcnt(0)
	v_lshlrev_b32_e32 v7, 2, v41
	s_barrier
	s_and_saveexec_b64 s[4:5], s[2:3]
	s_cbranch_execz .LBB197_120
; %bb.119:
	ds_read_b32 v4, v7 offset:512
.LBB197_120:
	s_or_b64 exec, exec, s[4:5]
	v_xor_b32_e32 v10, 1, v2
	v_cmp_lt_i32_e64 s[4:5], v10, v3
	v_cndmask_b32_e64 v10, v2, v10, s[4:5]
	v_lshlrev_b32_e32 v42, 2, v10
	s_waitcnt lgkmcnt(0)
	ds_bpermute_b32 v10, v42, v4
	v_max_f32_e32 v4, v4, v4
	s_sub_i32 s4, s54, s23
	s_lshl_b32 s4, s4, 3
	s_add_i32 s4, s4, s55
	s_waitcnt lgkmcnt(0)
	v_max_f32_e32 v10, v10, v10
	v_max_f32_e32 v4, v4, v10
	v_lshlrev_b32_e32 v10, 2, v2
	v_and_b32_e32 v10, 0x100, v10
	ds_bpermute_b32 v4, v10, v4
	s_min_i32 s43, s4, s33
	s_sub_i32 s23, s43, s55
	v_cmp_gt_i32_e64 s[4:5], s23, v0
	v_mov_b32_e32 v11, 0
	s_and_saveexec_b64 s[12:13], s[4:5]
	s_cbranch_execz .LBB197_124
; %bb.121:
	v_mov_b32_e32 v11, 0x210
	v_lshl_add_u32 v12, v0, 2, v11
	s_mov_b64 s[18:19], 0
	v_mov_b32_e32 v11, 0
	v_mov_b32_e32 v13, v0
.LBB197_122:                            ; =>This Inner Loop Header: Depth=1
	ds_read_b32 v14, v12
	v_add_u32_e32 v13, 0x80, v13
	v_cmp_le_i32_e64 s[10:11], s23, v13
	s_or_b64 s[18:19], s[10:11], s[18:19]
	s_waitcnt lgkmcnt(0)
	v_sub_f32_e32 v14, v14, v4
	v_mul_f32_e32 v14, 0x3fb8aa3b, v14
	v_exp_f32_e32 v14, v14
	ds_write_b32 v12, v14
	v_add_f32_e32 v11, v11, v14
	v_add_u32_e32 v12, 0x200, v12
	s_andn2_b64 exec, exec, s[18:19]
	s_cbranch_execnz .LBB197_122
; %bb.123:
	s_or_b64 exec, exec, s[18:19]
.LBB197_124:
	s_or_b64 exec, exec, s[12:13]
	ds_bpermute_b32 v6, v6, v11
	s_waitcnt lgkmcnt(0)
	v_add_f32_e32 v6, v11, v6
	ds_bpermute_b32 v8, v8, v6
	s_waitcnt lgkmcnt(0)
	v_add_f32_e32 v6, v6, v8
	ds_bpermute_b32 v8, v9, v6
	v_xor_b32_e32 v9, 4, v2
	v_cmp_lt_i32_e64 s[10:11], v9, v3
	v_cndmask_b32_e64 v9, v2, v9, s[10:11]
	v_lshlrev_b32_e32 v9, 2, v9
	s_waitcnt lgkmcnt(0)
	v_add_f32_e32 v6, v6, v8
	ds_bpermute_b32 v8, v9, v6
	v_xor_b32_e32 v9, 2, v2
	v_cmp_lt_i32_e64 s[10:11], v9, v3
	v_cndmask_b32_e64 v2, v2, v9, s[10:11]
	v_lshlrev_b32_e32 v2, 2, v2
	s_waitcnt lgkmcnt(0)
	v_add_f32_e32 v3, v6, v8
	ds_bpermute_b32 v2, v2, v3
	s_waitcnt lgkmcnt(0)
	v_add_f32_e32 v2, v3, v2
	ds_bpermute_b32 v3, v42, v2
	s_waitcnt lgkmcnt(0)
	v_add_f32_e32 v2, v2, v3
	s_and_saveexec_b64 s[10:11], vcc
	s_cbranch_execz .LBB197_126
; %bb.125:
	ds_write_b32 v5, v2 offset:520
.LBB197_126:
	s_or_b64 exec, exec, s[10:11]
	s_waitcnt lgkmcnt(0)
	s_barrier
	s_and_saveexec_b64 s[10:11], s[2:3]
	s_cbranch_execz .LBB197_128
; %bb.127:
	ds_read_b32 v2, v7 offset:520
.LBB197_128:
	s_or_b64 exec, exec, s[10:11]
	s_waitcnt lgkmcnt(0)
	ds_bpermute_b32 v3, v42, v2
	s_waitcnt lgkmcnt(0)
	v_add_f32_e32 v2, v2, v3
	ds_bpermute_b32 v5, v10, v2
	s_and_saveexec_b64 s[2:3], s[4:5]
	s_cbranch_execz .LBB197_141
; %bb.129:
	s_waitcnt lgkmcnt(0)
	v_add_f32_e32 v2, 0x358637bd, v5
	v_div_scale_f32 v3, s[4:5], v2, v2, 1.0
	v_rcp_f32_e32 v6, v3
	v_div_scale_f32 v7, vcc, 1.0, v2, 1.0
	s_movk_i32 s4, 0x7f
	v_fma_f32 v8, -v3, v6, 1.0
	v_fmac_f32_e32 v6, v8, v6
	v_mul_f32_e32 v8, v7, v6
	v_fma_f32 v9, -v3, v8, v7
	v_fmac_f32_e32 v8, v9, v6
	v_fma_f32 v3, -v3, v8, v7
	v_div_fmas_f32 v3, v3, v6, v8
	v_div_fixup_f32 v2, v3, v2, 1.0
	v_xad_u32 v3, v0, -1, s43
	v_subrev_u32_e32 v6, s55, v3
	v_cmp_lt_u32_e32 vcc, s4, v6
	s_mov_b64 s[10:11], -1
	v_mov_b32_e32 v3, v0
	s_and_saveexec_b64 s[4:5], vcc
	s_cbranch_execz .LBB197_138
; %bb.130:
	v_lshrrev_b32_e32 v6, 7, v6
	v_add_u32_e32 v8, -1, v6
	v_lshrrev_b32_e32 v7, 1, v8
	v_mov_b32_e32 v3, v2
	v_add_u32_e32 v7, 1, v7
	v_cmp_lt_u32_e32 vcc, 13, v8
	v_mov_b32_e32 v10, 0
	s_and_saveexec_b64 s[10:11], vcc
	s_cbranch_execz .LBB197_134
; %bb.131:
	v_mov_b32_e32 v9, 0x210
	v_and_b32_e32 v8, -8, v7
	v_lshl_add_u32 v9, v0, 2, v9
	s_mov_b32 s18, 0
	s_mov_b64 s[12:13], 0
.LBB197_132:                            ; =>This Inner Loop Header: Depth=1
	ds_read2st64_b32 v[10:11], v9 offset1:2
	ds_read2st64_b32 v[12:13], v9 offset0:4 offset1:6
	ds_read2st64_b32 v[14:15], v9 offset0:8 offset1:10
	ds_read2st64_b32 v[16:17], v9 offset0:12 offset1:14
	v_add_u32_e32 v8, -8, v8
	s_waitcnt lgkmcnt(3)
	v_pk_mul_f32 v[10:11], v[2:3], v[10:11]
	s_waitcnt lgkmcnt(2)
	v_pk_mul_f32 v[12:13], v[2:3], v[12:13]
	ds_write2st64_b32 v9, v10, v11 offset1:2
	ds_write2st64_b32 v9, v12, v13 offset0:4 offset1:6
	ds_read2st64_b32 v[12:13], v9 offset0:16 offset1:18
	s_waitcnt lgkmcnt(4)
	v_pk_mul_f32 v[10:11], v[2:3], v[14:15]
	ds_write2st64_b32 v9, v10, v11 offset0:8 offset1:10
	s_waitcnt lgkmcnt(4)
	v_pk_mul_f32 v[10:11], v[2:3], v[16:17]
	ds_write2st64_b32 v9, v10, v11 offset0:12 offset1:14
	ds_read2st64_b32 v[10:11], v9 offset0:20 offset1:22
	s_waitcnt lgkmcnt(3)
	v_pk_mul_f32 v[12:13], v[2:3], v[12:13]
	ds_read2st64_b32 v[14:15], v9 offset0:24 offset1:26
	ds_write2st64_b32 v9, v12, v13 offset0:16 offset1:18
	ds_read2st64_b32 v[12:13], v9 offset0:28 offset1:30
	s_waitcnt lgkmcnt(3)
	v_pk_mul_f32 v[10:11], v[2:3], v[10:11]
	ds_write2st64_b32 v9, v10, v11 offset0:20 offset1:22
	s_waitcnt lgkmcnt(3)
	v_pk_mul_f32 v[10:11], v[2:3], v[14:15]
	ds_write2st64_b32 v9, v10, v11 offset0:24 offset1:26
	s_waitcnt lgkmcnt(2)
	v_pk_mul_f32 v[10:11], v[2:3], v[12:13]
	s_add_i32 s18, s18, 16
	v_cmp_eq_u32_e32 vcc, 0, v8
	ds_write2st64_b32 v9, v10, v11 offset0:28 offset1:30
	v_add_u32_e32 v9, 0x2000, v9
	s_or_b64 s[12:13], vcc, s[12:13]
	v_mov_b32_e32 v10, s18
	s_andn2_b64 exec, exec, s[12:13]
	s_cbranch_execnz .LBB197_132
; %bb.133:
	s_or_b64 exec, exec, s[12:13]
.LBB197_134:
	s_or_b64 exec, exec, s[10:11]
	v_and_b32_e32 v7, 7, v7
	v_cmp_ne_u32_e32 vcc, 0, v7
	s_and_saveexec_b64 s[10:11], vcc
	s_cbranch_execz .LBB197_137
; %bb.135:
	v_lshlrev_b32_e32 v8, 9, v10
	s_movk_i32 s12, 0x210
	v_add3_u32 v8, v8, v21, s12
	s_mov_b64 s[12:13], 0
.LBB197_136:                            ; =>This Inner Loop Header: Depth=1
	ds_read2st64_b32 v[10:11], v8 offset1:2
	v_add_u32_e32 v7, -1, v7
	v_cmp_eq_u32_e32 vcc, 0, v7
	s_or_b64 s[12:13], vcc, s[12:13]
	s_waitcnt lgkmcnt(0)
	v_pk_mul_f32 v[10:11], v[2:3], v[10:11]
	ds_write2st64_b32 v8, v10, v11 offset1:2
	v_add_u32_e32 v8, 0x400, v8
	s_andn2_b64 exec, exec, s[12:13]
	s_cbranch_execnz .LBB197_136
.LBB197_137:
	s_or_b64 exec, exec, s[10:11]
	v_add_u32_e32 v6, 1, v6
	v_and_b32_e32 v7, 0x3fffffe, v6
	v_cmp_ne_u32_e32 vcc, v6, v7
	v_lshl_add_u32 v3, v7, 7, v0
	s_orn2_b64 s[10:11], vcc, exec
.LBB197_138:
	s_or_b64 exec, exec, s[4:5]
	s_and_b64 exec, exec, s[10:11]
	s_cbranch_execz .LBB197_141
; %bb.139:
	v_mov_b32_e32 v6, 0x210
	v_lshl_add_u32 v6, v3, 2, v6
	s_mov_b64 s[4:5], 0
.LBB197_140:                            ; =>This Inner Loop Header: Depth=1
	ds_read_b32 v7, v6
	v_add_u32_e32 v3, 0x80, v3
	v_cmp_le_i32_e32 vcc, s23, v3
	s_or_b64 s[4:5], vcc, s[4:5]
	s_waitcnt lgkmcnt(0)
	v_mul_f32_e32 v7, v2, v7
	ds_write_b32 v6, v7
	v_add_u32_e32 v6, 0x200, v6
	s_andn2_b64 exec, exec, s[4:5]
	s_cbranch_execnz .LBB197_140
.LBB197_141:
	s_or_b64 exec, exec, s[2:3]
	s_mul_i32 s2, s29, s34
	v_cmp_eq_u32_e32 vcc, 0, v0
	s_mul_i32 s2, s2, s9
	s_waitcnt lgkmcnt(0)
	s_barrier
	s_and_saveexec_b64 s[4:5], vcc
	s_cbranch_execz .LBB197_143
; %bb.142:
	s_ashr_i32 s3, s2, 31
	s_lshl_b64 s[10:11], s[2:3], 2
	s_add_u32 s3, s26, s10
	s_mul_i32 s12, s29, s6
	s_addc_u32 s9, s27, s11
	s_ashr_i32 s13, s12, 31
	s_lshl_b64 s[12:13], s[12:13], 2
	s_add_u32 s3, s3, s12
	s_addc_u32 s6, s9, s13
	s_ashr_i32 s9, s8, 31
	s_lshl_b64 s[18:19], s[8:9], 2
	s_add_u32 s26, s3, s18
	s_addc_u32 s27, s6, s19
	s_add_u32 s3, s24, s10
	s_addc_u32 s6, s25, s11
	;; [unrolled: 2-line block ×3, first 2 shown]
	s_add_u32 s10, s3, s18
	v_mov_b32_e32 v2, 0
	s_addc_u32 s11, s6, s19
	global_store_dword v2, v4, s[26:27]
	global_store_dword v2, v5, s[10:11]
.LBB197_143:
	s_or_b64 exec, exec, s[4:5]
	s_mov_b32 s4, 0
	v_mov_b32_e32 v5, 0
	v_and_b32_e32 v43, 1, v0
	v_mov_b32_e32 v4, 0
	v_mov_b32_e32 v3, 0
	;; [unrolled: 1-line block ×3, first 2 shown]
	s_and_saveexec_b64 s[10:11], s[0:1]
	s_cbranch_execz .LBB197_253
; %bb.144:
	s_sub_i32 s3, s16, s21
	s_ashr_i32 s0, s20, 31
	s_add_u32 s1, s40, s20
	s_addc_u32 s0, s41, s0
	s_abs_i32 s9, s22
	v_cvt_f32_u32_e32 v2, s9
	s_sub_i32 s5, 0, s9
	v_and_b32_e32 v3, 0xfc, v21
	s_add_i32 s27, s7, -1
	v_rcp_iflag_f32_e32 v2, v2
	v_mov_b32_e32 v4, s0
	v_add_co_u32_e32 v10, vcc, s1, v3
	v_mul_f32_e32 v2, 0x4f7ffffe, v2
	v_cvt_u32_f32_e32 v2, v2
	s_lshl_b64 s[0:1], s[38:39], 2
	v_addc_co_u32_e32 v11, vcc, 0, v4, vcc
	v_mul_lo_u32 v5, s5, v2
	v_mul_hi_u32 v5, v2, v5
	v_add_u32_e32 v45, v2, v5
	v_lshlrev_b64 v[2:3], 2, v[18:19]
	s_add_u32 s0, s36, s0
	s_addc_u32 s1, s37, s1
	v_add_co_u32_e32 v12, vcc, s0, v2
	v_lshlrev_b32_e32 v2, 4, v43
	v_mov_b32_e32 v4, s1
	v_lshl_or_b32 v2, v29, 5, v2
	s_mov_b32 s5, s4
	v_addc_co_u32_e32 v13, vcc, v4, v3, vcc
	v_add_u32_e32 v19, 0x210, v2
	s_mov_b32 s6, s4
	s_mov_b32 s7, s4
	v_pk_mov_b32 v[2:3], s[4:5], s[4:5] op_sel:[0,1]
	v_and_b32_e32 v44, 4, v21
	s_mov_b32 s26, s17
	s_mov_b64 s[12:13], 0
	v_pk_mov_b32 v[4:5], s[6:7], s[6:7] op_sel:[0,1]
	s_movk_i32 s34, 0x80
	s_movk_i32 s36, 0x7f
	v_mov_b32_e32 v15, 0
	s_brev_b32 s5, 1
	s_mov_b32 s7, 0x7f800001
	s_mov_b32 s37, 0xffffff
	v_bfrev_b32_e32 v46, 60
	v_mov_b32_e32 v47, 7
	v_mov_b32_e32 v48, 24
	s_branch .LBB197_147
.LBB197_145:                            ;   in Loop: Header=BB197_147 Depth=1
	s_or_b64 exec, exec, s[0:1]
	v_mul_f32_e32 v14, v7, v17
	v_fmac_f32_e32 v14, v6, v16
	v_fmac_f32_e32 v14, v8, v20
	;; [unrolled: 1-line block ×3, first 2 shown]
	v_add_f32_e32 v2, v2, v14
	v_mul_f32_e32 v14, v7, v25
	v_fmac_f32_e32 v14, v6, v24
	v_fmac_f32_e32 v14, v8, v26
	;; [unrolled: 1-line block ×3, first 2 shown]
	v_add_f32_e32 v3, v3, v14
	v_mul_f32_e32 v14, v7, v29
	v_mul_f32_e32 v7, v7, v23
	v_fmac_f32_e32 v14, v6, v28
	v_fmac_f32_e32 v7, v6, v22
	v_fmac_f32_e32 v14, v8, v30
	v_fmac_f32_e32 v7, v8, v32
	v_fmac_f32_e32 v14, v9, v31
	v_fmac_f32_e32 v7, v9, v33
	v_add_f32_e32 v4, v4, v14
	v_add_f32_e32 v5, v5, v7
.LBB197_146:                            ;   in Loop: Header=BB197_147 Depth=1
	s_or_b64 exec, exec, s[16:17]
	v_add_co_u32_e32 v12, vcc, 8, v12
	v_add_u32_e32 v18, 2, v18
	v_addc_co_u32_e32 v13, vcc, 0, v13, vcc
	v_cmp_le_i32_e32 vcc, s54, v18
	v_add_u32_e32 v40, 16, v40
	s_or_b64 s[12:13], vcc, s[12:13]
	v_add_u32_e32 v19, 64, v19
	s_andn2_b64 exec, exec, s[12:13]
	s_cbranch_execz .LBB197_252
.LBB197_147:                            ; =>This Inner Loop Header: Depth=1
	v_sub_u32_e32 v7, 0, v40
	v_max_i32_e32 v7, v40, v7
	v_mul_hi_u32 v8, v7, s52
	v_mul_lo_u32 v9, v8, s35
	v_sub_u32_e32 v7, v7, v9
	v_add_u32_e32 v9, 1, v8
	v_cmp_le_u32_e32 vcc, s35, v7
	v_cndmask_b32_e32 v8, v8, v9, vcc
	v_subrev_u32_e32 v9, s35, v7
	v_cndmask_b32_e32 v7, v7, v9, vcc
	v_ashrrev_i32_e32 v6, 31, v40
	v_add_u32_e32 v9, 1, v8
	v_cmp_le_u32_e32 vcc, s35, v7
	v_xor_b32_e32 v6, s53, v6
	v_cndmask_b32_e32 v7, v8, v9, vcc
	v_xor_b32_e32 v7, v7, v6
	v_sub_u32_e32 v6, v7, v6
	v_add_u32_e32 v7, s42, v6
	v_sub_u32_e32 v9, 0, v7
	v_ashrrev_i32_e32 v8, 31, v7
	v_max_i32_e32 v7, v7, v9
	v_mul_hi_u32 v9, v7, v45
	v_mul_lo_u32 v9, v9, s9
	v_sub_u32_e32 v7, v7, v9
	v_subrev_u32_e32 v9, s9, v7
	v_cmp_le_u32_e32 vcc, s9, v7
	v_cndmask_b32_e32 v7, v7, v9, vcc
	v_subrev_u32_e32 v9, s9, v7
	v_cmp_le_u32_e32 vcc, s9, v7
	v_cndmask_b32_e32 v7, v7, v9, vcc
	v_xor_b32_e32 v7, v7, v8
	v_sub_u32_e32 v7, v7, v8
	v_cmp_eq_u32_e32 vcc, 0, v7
	v_cmp_lt_i32_e64 s[0:1], s3, v6
	s_or_b64 s[0:1], vcc, s[0:1]
	s_and_saveexec_b64 s[16:17], s[0:1]
	s_cbranch_execz .LBB197_146
; %bb.148:                              ;   in Loop: Header=BB197_147 Depth=1
	global_load_dword v6, v[12:13], off
	s_load_dword s18, s[14:15], 0x0
	v_pk_mov_b32 v[24:25], 0, 0
	v_pk_mov_b32 v[20:21], v[24:25], v[24:25] op_sel:[0,1]
	s_waitcnt vmcnt(0)
	v_mad_i64_i32 v[22:23], s[0:1], v6, s26, v[10:11]
	global_load_dword v16, v[22:23], off
	ds_read_b128 v[6:9], v19
	s_waitcnt vmcnt(0)
	v_cmp_ne_u16_sdwa s[20:21], v16, v15 src0_sel:BYTE_0 src1_sel:DWORD
	s_and_saveexec_b64 s[0:1], s[20:21]
	s_cbranch_execz .LBB197_154
; %bb.149:                              ;   in Loop: Header=BB197_147 Depth=1
	v_bfrev_b32_e32 v20, 1
	v_cmp_ne_u16_sdwa s[22:23], v16, s34 src0_sel:BYTE_0 src1_sel:DWORD
	v_mov_b32_e32 v21, 0
	s_and_saveexec_b64 s[20:21], s[22:23]
	s_cbranch_execz .LBB197_153
; %bb.150:                              ;   in Loop: Header=BB197_147 Depth=1
	v_and_b32_e32 v14, 0x7f, v16
	v_mov_b32_e32 v20, 0x7f800001
	v_cmp_ne_u32_e32 vcc, s36, v14
	v_mov_b32_e32 v21, 0
	s_and_saveexec_b64 s[22:23], vcc
	s_cbranch_execz .LBB197_152
; %bb.151:                              ;   in Loop: Header=BB197_147 Depth=1
	v_and_b32_e32 v17, 7, v16
	v_ffbh_u32_e32 v20, v17
	v_min_u32_e32 v27, 32, v20
	v_subrev_u32_e32 v20, 28, v27
	v_lshlrev_b64 v[20:21], v20, v[16:17]
	v_lshrrev_b32_e32 v26, 3, v14
	v_sub_u32_e32 v21, 29, v27
	v_and_b32_e32 v20, 7, v20
	v_cmp_gt_u32_e32 vcc, 8, v14
	v_cndmask_b32_e32 v14, v26, v21, vcc
	v_cndmask_b32_e32 v17, v17, v20, vcc
	v_lshlrev_b32_e32 v17, 20, v17
	v_and_b32_sdwa v20, sext(v16), s5 dst_sel:DWORD dst_unused:UNUSED_PAD src0_sel:BYTE_0 src1_sel:DWORD
	v_lshl_add_u32 v14, v14, 23, v46
	v_or3_b32 v14, v20, v14, v17
	v_pk_mov_b32 v[20:21], v[14:15], v[14:15] op_sel:[0,1]
.LBB197_152:                            ;   in Loop: Header=BB197_147 Depth=1
	s_or_b64 exec, exec, s[22:23]
.LBB197_153:                            ;   in Loop: Header=BB197_147 Depth=1
	s_or_b64 exec, exec, s[20:21]
.LBB197_154:                            ;   in Loop: Header=BB197_147 Depth=1
	s_or_b64 exec, exec, s[0:1]
	v_cmp_ne_u16_sdwa s[20:21], v16, v15 src0_sel:BYTE_1 src1_sel:DWORD
	s_and_saveexec_b64 s[0:1], s[20:21]
	s_cbranch_execz .LBB197_160
; %bb.155:                              ;   in Loop: Header=BB197_147 Depth=1
	v_cmp_ne_u16_sdwa s[22:23], v16, s34 src0_sel:BYTE_1 src1_sel:DWORD
	v_pk_mov_b32 v[24:25], s[4:5], s[4:5] op_sel:[0,1]
	s_and_saveexec_b64 s[20:21], s[22:23]
	s_cbranch_execz .LBB197_159
; %bb.156:                              ;   in Loop: Header=BB197_147 Depth=1
	v_and_b32_sdwa v17, v16, s36 dst_sel:DWORD dst_unused:UNUSED_PAD src0_sel:BYTE_1 src1_sel:DWORD
	s_mov_b32 s6, s4
	v_cmp_ne_u32_e32 vcc, s36, v17
	v_pk_mov_b32 v[24:25], s[6:7], s[6:7] op_sel:[0,1]
	s_and_saveexec_b64 s[22:23], vcc
	s_cbranch_execz .LBB197_158
; %bb.157:                              ;   in Loop: Header=BB197_147 Depth=1
	v_and_b32_sdwa v14, v16, v47 dst_sel:DWORD dst_unused:UNUSED_PAD src0_sel:BYTE_1 src1_sel:DWORD
	v_ffbh_u32_e32 v24, v14
	v_min_u32_e32 v27, 32, v24
	v_subrev_u32_e32 v24, 28, v27
	v_lshlrev_b64 v[24:25], v24, v[14:15]
	v_lshrrev_b32_e32 v26, 3, v17
	v_sub_u32_e32 v25, 29, v27
	v_cmp_gt_u32_e32 vcc, 8, v17
	v_and_b32_e32 v24, 7, v24
	v_cndmask_b32_e32 v17, v26, v25, vcc
	v_cndmask_b32_e32 v14, v14, v24, vcc
	v_lshlrev_b32_e32 v24, 16, v16
	v_lshl_add_u32 v17, v17, 23, v46
	v_and_or_b32 v17, v24, s5, v17
	v_lshlrev_b32_e32 v14, 20, v14
	v_or_b32_e32 v25, v17, v14
	v_mov_b32_e32 v24, v15
.LBB197_158:                            ;   in Loop: Header=BB197_147 Depth=1
	s_or_b64 exec, exec, s[22:23]
.LBB197_159:                            ;   in Loop: Header=BB197_147 Depth=1
	s_or_b64 exec, exec, s[20:21]
.LBB197_160:                            ;   in Loop: Header=BB197_147 Depth=1
	s_or_b64 exec, exec, s[0:1]
	v_lshrrev_b32_e32 v14, 16, v16
	v_pk_mov_b32 v[28:29], 0, 0
	v_cmp_ne_u16_sdwa s[20:21], v14, v15 src0_sel:BYTE_0 src1_sel:DWORD
	v_pk_mov_b32 v[26:27], v[28:29], v[28:29] op_sel:[0,1]
	s_and_saveexec_b64 s[0:1], s[20:21]
	s_cbranch_execz .LBB197_166
; %bb.161:                              ;   in Loop: Header=BB197_147 Depth=1
	v_bfrev_b32_e32 v26, 1
	v_cmp_ne_u16_sdwa s[22:23], v14, s34 src0_sel:BYTE_0 src1_sel:DWORD
	v_mov_b32_e32 v27, 0
	s_and_saveexec_b64 s[20:21], s[22:23]
	s_cbranch_execz .LBB197_165
; %bb.162:                              ;   in Loop: Header=BB197_147 Depth=1
	v_bfe_u32 v17, v16, 16, 7
	v_mov_b32_e32 v26, 0x7f800001
	v_cmp_ne_u32_e32 vcc, s36, v17
	v_mov_b32_e32 v27, 0
	s_and_saveexec_b64 s[22:23], vcc
	s_cbranch_execz .LBB197_164
; %bb.163:                              ;   in Loop: Header=BB197_147 Depth=1
	v_and_b32_e32 v30, 7, v14
	v_ffbh_u32_e32 v26, v30
	v_min_u32_e32 v32, 32, v26
	v_subrev_u32_e32 v26, 28, v32
	v_lshlrev_b64 v[26:27], v26, v[14:15]
	v_lshrrev_b32_e32 v31, 3, v17
	v_sub_u32_e32 v27, 29, v32
	v_and_b32_e32 v26, 7, v26
	v_cmp_gt_u32_e32 vcc, 8, v17
	v_cndmask_b32_e32 v17, v31, v27, vcc
	v_cndmask_b32_e32 v26, v30, v26, vcc
	v_lshlrev_b32_e32 v26, 20, v26
	v_and_b32_sdwa v14, sext(v14), s5 dst_sel:DWORD dst_unused:UNUSED_PAD src0_sel:BYTE_0 src1_sel:DWORD
	v_lshl_add_u32 v17, v17, 23, v46
	v_or3_b32 v14, v14, v17, v26
	v_pk_mov_b32 v[26:27], v[14:15], v[14:15] op_sel:[0,1]
.LBB197_164:                            ;   in Loop: Header=BB197_147 Depth=1
	s_or_b64 exec, exec, s[22:23]
.LBB197_165:                            ;   in Loop: Header=BB197_147 Depth=1
	s_or_b64 exec, exec, s[20:21]
.LBB197_166:                            ;   in Loop: Header=BB197_147 Depth=1
	s_or_b64 exec, exec, s[0:1]
	v_cmp_lt_u32_e32 vcc, s37, v16
	s_and_saveexec_b64 s[0:1], vcc
	s_cbranch_execz .LBB197_172
; %bb.167:                              ;   in Loop: Header=BB197_147 Depth=1
	v_cmp_ne_u32_sdwa s[22:23], v16, s34 src0_sel:BYTE_3 src1_sel:DWORD
	v_pk_mov_b32 v[28:29], s[4:5], s[4:5] op_sel:[0,1]
	s_and_saveexec_b64 s[20:21], s[22:23]
	s_cbranch_execz .LBB197_171
; %bb.168:                              ;   in Loop: Header=BB197_147 Depth=1
	v_bfe_u32 v17, v16, 24, 7
	s_mov_b32 s6, s4
	v_cmp_ne_u32_e32 vcc, s36, v17
	v_pk_mov_b32 v[28:29], s[6:7], s[6:7] op_sel:[0,1]
	s_and_saveexec_b64 s[22:23], vcc
	s_cbranch_execz .LBB197_170
; %bb.169:                              ;   in Loop: Header=BB197_147 Depth=1
	v_and_b32_sdwa v14, v16, v47 dst_sel:DWORD dst_unused:UNUSED_PAD src0_sel:BYTE_3 src1_sel:DWORD
	v_ffbh_u32_e32 v28, v14
	v_min_u32_e32 v31, 32, v28
	v_subrev_u32_e32 v28, 28, v31
	v_lshlrev_b64 v[28:29], v28, v[14:15]
	v_lshrrev_b32_e32 v30, 3, v17
	v_sub_u32_e32 v29, 29, v31
	v_cmp_gt_u32_e32 vcc, 8, v17
	v_and_b32_e32 v28, 7, v28
	v_cndmask_b32_e32 v17, v30, v29, vcc
	v_cndmask_b32_e32 v14, v14, v28, vcc
	v_lshlrev_b32_sdwa v16, v48, v16 dst_sel:DWORD dst_unused:UNUSED_PAD src0_sel:DWORD src1_sel:BYTE_3
	v_lshl_add_u32 v17, v17, 23, v46
	v_and_or_b32 v16, v16, s5, v17
	v_lshlrev_b32_e32 v14, 20, v14
	v_or_b32_e32 v29, v16, v14
	v_mov_b32_e32 v28, v15
.LBB197_170:                            ;   in Loop: Header=BB197_147 Depth=1
	s_or_b64 exec, exec, s[22:23]
.LBB197_171:                            ;   in Loop: Header=BB197_147 Depth=1
	s_or_b64 exec, exec, s[20:21]
.LBB197_172:                            ;   in Loop: Header=BB197_147 Depth=1
	s_or_b64 exec, exec, s[0:1]
	v_add_u32_e32 v49, v44, v40
	v_or_b32_e32 v17, v25, v21
	v_or_b32_e32 v16, v24, v20
	v_or_b32_e32 v21, v29, v27
	v_or_b32_e32 v20, v28, v26
	v_cmp_eq_u32_e32 vcc, s27, v18
	s_waitcnt lgkmcnt(0)
	v_pk_mul_f32 v[16:17], s[18:19], v[16:17] op_sel_hi:[0,1]
	v_pk_mul_f32 v[20:21], s[18:19], v[20:21] op_sel_hi:[0,1]
	v_add_u32_e32 v52, 1, v49
	v_add_u32_e32 v51, 2, v49
	;; [unrolled: 1-line block ×3, first 2 shown]
	s_and_saveexec_b64 s[20:21], vcc
; %bb.173:                              ;   in Loop: Header=BB197_147 Depth=1
	v_cmp_gt_i32_e64 s[0:1], s33, v49
	v_cndmask_b32_e64 v16, 0, v16, s[0:1]
	v_cmp_gt_i32_e64 s[0:1], s33, v52
	v_cndmask_b32_e64 v17, 0, v17, s[0:1]
	v_cmp_gt_i32_e64 s[0:1], s33, v51
	v_cndmask_b32_e64 v20, 0, v20, s[0:1]
	v_cmp_gt_i32_e64 s[0:1], s33, v50
	v_cndmask_b32_e64 v21, 0, v21, s[0:1]
; %bb.174:                              ;   in Loop: Header=BB197_147 Depth=1
	s_or_b64 exec, exec, s[20:21]
	global_load_dword v24, v[22:23], off offset:256
	v_pk_mov_b32 v[28:29], 0, 0
	v_pk_mov_b32 v[26:27], v[28:29], v[28:29] op_sel:[0,1]
	s_waitcnt vmcnt(0)
	v_cmp_ne_u16_sdwa s[0:1], v24, v15 src0_sel:BYTE_0 src1_sel:DWORD
	s_and_saveexec_b64 s[20:21], s[0:1]
	s_cbranch_execz .LBB197_180
; %bb.175:                              ;   in Loop: Header=BB197_147 Depth=1
	v_bfrev_b32_e32 v26, 1
	v_cmp_ne_u16_sdwa s[0:1], v24, s34 src0_sel:BYTE_0 src1_sel:DWORD
	v_mov_b32_e32 v27, 0
	s_and_saveexec_b64 s[22:23], s[0:1]
	s_cbranch_execz .LBB197_179
; %bb.176:                              ;   in Loop: Header=BB197_147 Depth=1
	v_and_b32_e32 v14, 0x7f, v24
	v_mov_b32_e32 v26, 0x7f800001
	v_cmp_ne_u32_e64 s[0:1], s36, v14
	v_mov_b32_e32 v27, 0
	s_and_saveexec_b64 s[24:25], s[0:1]
	s_cbranch_execz .LBB197_178
; %bb.177:                              ;   in Loop: Header=BB197_147 Depth=1
	v_and_b32_e32 v25, 7, v24
	v_ffbh_u32_e32 v26, v25
	v_min_u32_e32 v31, 32, v26
	v_subrev_u32_e32 v26, 28, v31
	v_lshlrev_b64 v[26:27], v26, v[24:25]
	v_lshrrev_b32_e32 v30, 3, v14
	v_sub_u32_e32 v27, 29, v31
	v_and_b32_e32 v26, 7, v26
	v_cmp_gt_u32_e64 s[0:1], 8, v14
	v_cndmask_b32_e64 v14, v30, v27, s[0:1]
	v_cndmask_b32_e64 v25, v25, v26, s[0:1]
	v_lshlrev_b32_e32 v25, 20, v25
	v_and_b32_sdwa v26, sext(v24), s5 dst_sel:DWORD dst_unused:UNUSED_PAD src0_sel:BYTE_0 src1_sel:DWORD
	v_lshl_add_u32 v14, v14, 23, v46
	v_or3_b32 v14, v26, v14, v25
	v_pk_mov_b32 v[26:27], v[14:15], v[14:15] op_sel:[0,1]
.LBB197_178:                            ;   in Loop: Header=BB197_147 Depth=1
	s_or_b64 exec, exec, s[24:25]
.LBB197_179:                            ;   in Loop: Header=BB197_147 Depth=1
	s_or_b64 exec, exec, s[22:23]
.LBB197_180:                            ;   in Loop: Header=BB197_147 Depth=1
	s_or_b64 exec, exec, s[20:21]
	v_cmp_ne_u16_sdwa s[0:1], v24, v15 src0_sel:BYTE_1 src1_sel:DWORD
	s_and_saveexec_b64 s[20:21], s[0:1]
	s_cbranch_execz .LBB197_186
; %bb.181:                              ;   in Loop: Header=BB197_147 Depth=1
	v_cmp_ne_u16_sdwa s[0:1], v24, s34 src0_sel:BYTE_1 src1_sel:DWORD
	v_pk_mov_b32 v[28:29], s[4:5], s[4:5] op_sel:[0,1]
	s_and_saveexec_b64 s[22:23], s[0:1]
	s_cbranch_execz .LBB197_185
; %bb.182:                              ;   in Loop: Header=BB197_147 Depth=1
	v_and_b32_sdwa v25, v24, s36 dst_sel:DWORD dst_unused:UNUSED_PAD src0_sel:BYTE_1 src1_sel:DWORD
	s_mov_b32 s6, s4
	v_cmp_ne_u32_e64 s[0:1], s36, v25
	v_pk_mov_b32 v[28:29], s[6:7], s[6:7] op_sel:[0,1]
	s_and_saveexec_b64 s[24:25], s[0:1]
	s_cbranch_execz .LBB197_184
; %bb.183:                              ;   in Loop: Header=BB197_147 Depth=1
	v_and_b32_sdwa v14, v24, v47 dst_sel:DWORD dst_unused:UNUSED_PAD src0_sel:BYTE_1 src1_sel:DWORD
	v_ffbh_u32_e32 v28, v14
	v_min_u32_e32 v31, 32, v28
	v_subrev_u32_e32 v28, 28, v31
	v_lshlrev_b64 v[28:29], v28, v[14:15]
	v_lshrrev_b32_e32 v30, 3, v25
	v_sub_u32_e32 v29, 29, v31
	v_cmp_gt_u32_e64 s[0:1], 8, v25
	v_and_b32_e32 v28, 7, v28
	v_cndmask_b32_e64 v25, v30, v29, s[0:1]
	v_cndmask_b32_e64 v14, v14, v28, s[0:1]
	v_lshlrev_b32_e32 v28, 16, v24
	v_lshl_add_u32 v25, v25, 23, v46
	v_and_or_b32 v25, v28, s5, v25
	v_lshlrev_b32_e32 v14, 20, v14
	v_or_b32_e32 v29, v25, v14
	v_mov_b32_e32 v28, v15
.LBB197_184:                            ;   in Loop: Header=BB197_147 Depth=1
	s_or_b64 exec, exec, s[24:25]
.LBB197_185:                            ;   in Loop: Header=BB197_147 Depth=1
	s_or_b64 exec, exec, s[22:23]
.LBB197_186:                            ;   in Loop: Header=BB197_147 Depth=1
	s_or_b64 exec, exec, s[20:21]
	v_lshrrev_b32_e32 v14, 16, v24
	v_pk_mov_b32 v[32:33], 0, 0
	v_cmp_ne_u16_sdwa s[0:1], v14, v15 src0_sel:BYTE_0 src1_sel:DWORD
	v_pk_mov_b32 v[30:31], v[32:33], v[32:33] op_sel:[0,1]
	s_and_saveexec_b64 s[20:21], s[0:1]
	s_cbranch_execz .LBB197_192
; %bb.187:                              ;   in Loop: Header=BB197_147 Depth=1
	v_bfrev_b32_e32 v30, 1
	v_cmp_ne_u16_sdwa s[0:1], v14, s34 src0_sel:BYTE_0 src1_sel:DWORD
	v_mov_b32_e32 v31, 0
	s_and_saveexec_b64 s[22:23], s[0:1]
	s_cbranch_execz .LBB197_191
; %bb.188:                              ;   in Loop: Header=BB197_147 Depth=1
	v_bfe_u32 v25, v24, 16, 7
	v_mov_b32_e32 v30, 0x7f800001
	v_cmp_ne_u32_e64 s[0:1], s36, v25
	v_mov_b32_e32 v31, 0
	s_and_saveexec_b64 s[24:25], s[0:1]
	s_cbranch_execz .LBB197_190
; %bb.189:                              ;   in Loop: Header=BB197_147 Depth=1
	v_and_b32_e32 v34, 7, v14
	v_ffbh_u32_e32 v30, v34
	v_min_u32_e32 v36, 32, v30
	v_subrev_u32_e32 v30, 28, v36
	v_lshlrev_b64 v[30:31], v30, v[14:15]
	v_lshrrev_b32_e32 v35, 3, v25
	v_sub_u32_e32 v31, 29, v36
	v_and_b32_e32 v30, 7, v30
	v_cmp_gt_u32_e64 s[0:1], 8, v25
	v_cndmask_b32_e64 v25, v35, v31, s[0:1]
	v_cndmask_b32_e64 v30, v34, v30, s[0:1]
	v_lshlrev_b32_e32 v30, 20, v30
	v_and_b32_sdwa v14, sext(v14), s5 dst_sel:DWORD dst_unused:UNUSED_PAD src0_sel:BYTE_0 src1_sel:DWORD
	v_lshl_add_u32 v25, v25, 23, v46
	v_or3_b32 v14, v14, v25, v30
	v_pk_mov_b32 v[30:31], v[14:15], v[14:15] op_sel:[0,1]
.LBB197_190:                            ;   in Loop: Header=BB197_147 Depth=1
	s_or_b64 exec, exec, s[24:25]
.LBB197_191:                            ;   in Loop: Header=BB197_147 Depth=1
	s_or_b64 exec, exec, s[22:23]
.LBB197_192:                            ;   in Loop: Header=BB197_147 Depth=1
	s_or_b64 exec, exec, s[20:21]
	v_cmp_lt_u32_e64 s[0:1], s37, v24
	s_and_saveexec_b64 s[20:21], s[0:1]
	s_cbranch_execz .LBB197_198
; %bb.193:                              ;   in Loop: Header=BB197_147 Depth=1
	v_cmp_ne_u32_sdwa s[0:1], v24, s34 src0_sel:BYTE_3 src1_sel:DWORD
	v_pk_mov_b32 v[32:33], s[4:5], s[4:5] op_sel:[0,1]
	s_and_saveexec_b64 s[22:23], s[0:1]
	s_cbranch_execz .LBB197_197
; %bb.194:                              ;   in Loop: Header=BB197_147 Depth=1
	v_bfe_u32 v25, v24, 24, 7
	s_mov_b32 s6, s4
	v_cmp_ne_u32_e64 s[0:1], s36, v25
	v_pk_mov_b32 v[32:33], s[6:7], s[6:7] op_sel:[0,1]
	s_and_saveexec_b64 s[24:25], s[0:1]
	s_cbranch_execz .LBB197_196
; %bb.195:                              ;   in Loop: Header=BB197_147 Depth=1
	v_and_b32_sdwa v14, v24, v47 dst_sel:DWORD dst_unused:UNUSED_PAD src0_sel:BYTE_3 src1_sel:DWORD
	v_ffbh_u32_e32 v32, v14
	v_min_u32_e32 v35, 32, v32
	v_subrev_u32_e32 v32, 28, v35
	v_lshlrev_b64 v[32:33], v32, v[14:15]
	v_lshrrev_b32_e32 v34, 3, v25
	v_sub_u32_e32 v33, 29, v35
	v_cmp_gt_u32_e64 s[0:1], 8, v25
	v_and_b32_e32 v32, 7, v32
	v_cndmask_b32_e64 v25, v34, v33, s[0:1]
	v_cndmask_b32_e64 v14, v14, v32, s[0:1]
	v_lshlrev_b32_sdwa v24, v48, v24 dst_sel:DWORD dst_unused:UNUSED_PAD src0_sel:DWORD src1_sel:BYTE_3
	v_lshl_add_u32 v25, v25, 23, v46
	v_and_or_b32 v24, v24, s5, v25
	v_lshlrev_b32_e32 v14, 20, v14
	v_or_b32_e32 v33, v24, v14
	v_mov_b32_e32 v32, v15
.LBB197_196:                            ;   in Loop: Header=BB197_147 Depth=1
	s_or_b64 exec, exec, s[24:25]
.LBB197_197:                            ;   in Loop: Header=BB197_147 Depth=1
	s_or_b64 exec, exec, s[22:23]
.LBB197_198:                            ;   in Loop: Header=BB197_147 Depth=1
	s_or_b64 exec, exec, s[20:21]
	s_mov_b32 s19, s18
	v_or_b32_e32 v25, v29, v27
	v_or_b32_e32 v24, v28, v26
	;; [unrolled: 1-line block ×4, first 2 shown]
	v_pk_mul_f32 v[24:25], s[18:19], v[24:25]
	v_pk_mul_f32 v[26:27], s[18:19], v[26:27]
	s_and_saveexec_b64 s[20:21], vcc
; %bb.199:                              ;   in Loop: Header=BB197_147 Depth=1
	v_cmp_gt_i32_e64 s[0:1], s33, v49
	v_cndmask_b32_e64 v24, 0, v24, s[0:1]
	v_cmp_gt_i32_e64 s[0:1], s33, v52
	v_cndmask_b32_e64 v25, 0, v25, s[0:1]
	;; [unrolled: 2-line block ×4, first 2 shown]
; %bb.200:                              ;   in Loop: Header=BB197_147 Depth=1
	s_or_b64 exec, exec, s[20:21]
	global_load_dword v28, v[22:23], off offset:512
	v_pk_mov_b32 v[32:33], 0, 0
	v_pk_mov_b32 v[30:31], v[32:33], v[32:33] op_sel:[0,1]
	s_waitcnt vmcnt(0)
	v_cmp_ne_u16_sdwa s[0:1], v28, v15 src0_sel:BYTE_0 src1_sel:DWORD
	s_and_saveexec_b64 s[20:21], s[0:1]
	s_cbranch_execz .LBB197_206
; %bb.201:                              ;   in Loop: Header=BB197_147 Depth=1
	v_bfrev_b32_e32 v30, 1
	v_cmp_ne_u16_sdwa s[0:1], v28, s34 src0_sel:BYTE_0 src1_sel:DWORD
	v_mov_b32_e32 v31, 0
	s_and_saveexec_b64 s[22:23], s[0:1]
	s_cbranch_execz .LBB197_205
; %bb.202:                              ;   in Loop: Header=BB197_147 Depth=1
	v_and_b32_e32 v14, 0x7f, v28
	v_mov_b32_e32 v30, 0x7f800001
	v_cmp_ne_u32_e64 s[0:1], s36, v14
	v_mov_b32_e32 v31, 0
	s_and_saveexec_b64 s[24:25], s[0:1]
	s_cbranch_execz .LBB197_204
; %bb.203:                              ;   in Loop: Header=BB197_147 Depth=1
	v_and_b32_e32 v29, 7, v28
	v_ffbh_u32_e32 v30, v29
	v_min_u32_e32 v35, 32, v30
	v_subrev_u32_e32 v30, 28, v35
	v_lshlrev_b64 v[30:31], v30, v[28:29]
	v_lshrrev_b32_e32 v34, 3, v14
	v_sub_u32_e32 v31, 29, v35
	v_and_b32_e32 v30, 7, v30
	v_cmp_gt_u32_e64 s[0:1], 8, v14
	v_cndmask_b32_e64 v14, v34, v31, s[0:1]
	v_cndmask_b32_e64 v29, v29, v30, s[0:1]
	v_lshlrev_b32_e32 v29, 20, v29
	v_and_b32_sdwa v30, sext(v28), s5 dst_sel:DWORD dst_unused:UNUSED_PAD src0_sel:BYTE_0 src1_sel:DWORD
	v_lshl_add_u32 v14, v14, 23, v46
	v_or3_b32 v14, v30, v14, v29
	v_pk_mov_b32 v[30:31], v[14:15], v[14:15] op_sel:[0,1]
.LBB197_204:                            ;   in Loop: Header=BB197_147 Depth=1
	s_or_b64 exec, exec, s[24:25]
.LBB197_205:                            ;   in Loop: Header=BB197_147 Depth=1
	s_or_b64 exec, exec, s[22:23]
.LBB197_206:                            ;   in Loop: Header=BB197_147 Depth=1
	s_or_b64 exec, exec, s[20:21]
	v_cmp_ne_u16_sdwa s[0:1], v28, v15 src0_sel:BYTE_1 src1_sel:DWORD
	s_and_saveexec_b64 s[20:21], s[0:1]
	s_cbranch_execz .LBB197_212
; %bb.207:                              ;   in Loop: Header=BB197_147 Depth=1
	v_cmp_ne_u16_sdwa s[0:1], v28, s34 src0_sel:BYTE_1 src1_sel:DWORD
	v_pk_mov_b32 v[32:33], s[4:5], s[4:5] op_sel:[0,1]
	s_and_saveexec_b64 s[22:23], s[0:1]
	s_cbranch_execz .LBB197_211
; %bb.208:                              ;   in Loop: Header=BB197_147 Depth=1
	v_and_b32_sdwa v29, v28, s36 dst_sel:DWORD dst_unused:UNUSED_PAD src0_sel:BYTE_1 src1_sel:DWORD
	s_mov_b32 s6, s4
	v_cmp_ne_u32_e64 s[0:1], s36, v29
	v_pk_mov_b32 v[32:33], s[6:7], s[6:7] op_sel:[0,1]
	s_and_saveexec_b64 s[24:25], s[0:1]
	s_cbranch_execz .LBB197_210
; %bb.209:                              ;   in Loop: Header=BB197_147 Depth=1
	v_and_b32_sdwa v14, v28, v47 dst_sel:DWORD dst_unused:UNUSED_PAD src0_sel:BYTE_1 src1_sel:DWORD
	v_ffbh_u32_e32 v32, v14
	v_min_u32_e32 v35, 32, v32
	v_subrev_u32_e32 v32, 28, v35
	v_lshlrev_b64 v[32:33], v32, v[14:15]
	v_lshrrev_b32_e32 v34, 3, v29
	v_sub_u32_e32 v33, 29, v35
	v_cmp_gt_u32_e64 s[0:1], 8, v29
	v_and_b32_e32 v32, 7, v32
	v_cndmask_b32_e64 v29, v34, v33, s[0:1]
	v_cndmask_b32_e64 v14, v14, v32, s[0:1]
	v_lshlrev_b32_e32 v32, 16, v28
	v_lshl_add_u32 v29, v29, 23, v46
	v_and_or_b32 v29, v32, s5, v29
	v_lshlrev_b32_e32 v14, 20, v14
	v_or_b32_e32 v33, v29, v14
	v_mov_b32_e32 v32, v15
.LBB197_210:                            ;   in Loop: Header=BB197_147 Depth=1
	s_or_b64 exec, exec, s[24:25]
.LBB197_211:                            ;   in Loop: Header=BB197_147 Depth=1
	s_or_b64 exec, exec, s[22:23]
.LBB197_212:                            ;   in Loop: Header=BB197_147 Depth=1
	s_or_b64 exec, exec, s[20:21]
	v_lshrrev_b32_e32 v14, 16, v28
	v_pk_mov_b32 v[36:37], 0, 0
	v_cmp_ne_u16_sdwa s[0:1], v14, v15 src0_sel:BYTE_0 src1_sel:DWORD
	v_pk_mov_b32 v[34:35], v[36:37], v[36:37] op_sel:[0,1]
	s_and_saveexec_b64 s[20:21], s[0:1]
	s_cbranch_execz .LBB197_218
; %bb.213:                              ;   in Loop: Header=BB197_147 Depth=1
	v_bfrev_b32_e32 v34, 1
	v_cmp_ne_u16_sdwa s[0:1], v14, s34 src0_sel:BYTE_0 src1_sel:DWORD
	v_mov_b32_e32 v35, 0
	s_and_saveexec_b64 s[22:23], s[0:1]
	s_cbranch_execz .LBB197_217
; %bb.214:                              ;   in Loop: Header=BB197_147 Depth=1
	v_bfe_u32 v29, v28, 16, 7
	v_mov_b32_e32 v34, 0x7f800001
	v_cmp_ne_u32_e64 s[0:1], s36, v29
	v_mov_b32_e32 v35, 0
	s_and_saveexec_b64 s[24:25], s[0:1]
	s_cbranch_execz .LBB197_216
; %bb.215:                              ;   in Loop: Header=BB197_147 Depth=1
	v_and_b32_e32 v38, 7, v14
	v_ffbh_u32_e32 v34, v38
	v_min_u32_e32 v53, 32, v34
	v_subrev_u32_e32 v34, 28, v53
	v_lshlrev_b64 v[34:35], v34, v[14:15]
	v_lshrrev_b32_e32 v39, 3, v29
	v_sub_u32_e32 v35, 29, v53
	v_and_b32_e32 v34, 7, v34
	v_cmp_gt_u32_e64 s[0:1], 8, v29
	v_cndmask_b32_e64 v29, v39, v35, s[0:1]
	v_cndmask_b32_e64 v34, v38, v34, s[0:1]
	v_lshlrev_b32_e32 v34, 20, v34
	v_and_b32_sdwa v14, sext(v14), s5 dst_sel:DWORD dst_unused:UNUSED_PAD src0_sel:BYTE_0 src1_sel:DWORD
	v_lshl_add_u32 v29, v29, 23, v46
	v_or3_b32 v14, v14, v29, v34
	v_pk_mov_b32 v[34:35], v[14:15], v[14:15] op_sel:[0,1]
.LBB197_216:                            ;   in Loop: Header=BB197_147 Depth=1
	s_or_b64 exec, exec, s[24:25]
.LBB197_217:                            ;   in Loop: Header=BB197_147 Depth=1
	s_or_b64 exec, exec, s[22:23]
.LBB197_218:                            ;   in Loop: Header=BB197_147 Depth=1
	s_or_b64 exec, exec, s[20:21]
	v_cmp_lt_u32_e64 s[0:1], s37, v28
	s_and_saveexec_b64 s[20:21], s[0:1]
	s_cbranch_execz .LBB197_224
; %bb.219:                              ;   in Loop: Header=BB197_147 Depth=1
	v_cmp_ne_u32_sdwa s[0:1], v28, s34 src0_sel:BYTE_3 src1_sel:DWORD
	v_pk_mov_b32 v[36:37], s[4:5], s[4:5] op_sel:[0,1]
	s_and_saveexec_b64 s[22:23], s[0:1]
	s_cbranch_execz .LBB197_223
; %bb.220:                              ;   in Loop: Header=BB197_147 Depth=1
	v_bfe_u32 v29, v28, 24, 7
	s_mov_b32 s6, s4
	v_cmp_ne_u32_e64 s[0:1], s36, v29
	v_pk_mov_b32 v[36:37], s[6:7], s[6:7] op_sel:[0,1]
	s_and_saveexec_b64 s[24:25], s[0:1]
	s_cbranch_execz .LBB197_222
; %bb.221:                              ;   in Loop: Header=BB197_147 Depth=1
	v_and_b32_sdwa v14, v28, v47 dst_sel:DWORD dst_unused:UNUSED_PAD src0_sel:BYTE_3 src1_sel:DWORD
	v_ffbh_u32_e32 v36, v14
	v_min_u32_e32 v39, 32, v36
	v_subrev_u32_e32 v36, 28, v39
	v_lshlrev_b64 v[36:37], v36, v[14:15]
	v_lshrrev_b32_e32 v38, 3, v29
	v_sub_u32_e32 v37, 29, v39
	v_cmp_gt_u32_e64 s[0:1], 8, v29
	v_and_b32_e32 v36, 7, v36
	v_cndmask_b32_e64 v29, v38, v37, s[0:1]
	v_cndmask_b32_e64 v14, v14, v36, s[0:1]
	v_lshlrev_b32_sdwa v28, v48, v28 dst_sel:DWORD dst_unused:UNUSED_PAD src0_sel:DWORD src1_sel:BYTE_3
	v_lshl_add_u32 v29, v29, 23, v46
	v_and_or_b32 v28, v28, s5, v29
	v_lshlrev_b32_e32 v14, 20, v14
	v_or_b32_e32 v37, v28, v14
	v_mov_b32_e32 v36, v15
.LBB197_222:                            ;   in Loop: Header=BB197_147 Depth=1
	s_or_b64 exec, exec, s[24:25]
.LBB197_223:                            ;   in Loop: Header=BB197_147 Depth=1
	s_or_b64 exec, exec, s[22:23]
.LBB197_224:                            ;   in Loop: Header=BB197_147 Depth=1
	s_or_b64 exec, exec, s[20:21]
	v_or_b32_e32 v29, v33, v31
	v_or_b32_e32 v28, v32, v30
	;; [unrolled: 1-line block ×4, first 2 shown]
	v_pk_mul_f32 v[28:29], s[18:19], v[28:29]
	v_pk_mul_f32 v[30:31], s[18:19], v[30:31]
	s_and_saveexec_b64 s[20:21], vcc
; %bb.225:                              ;   in Loop: Header=BB197_147 Depth=1
	v_cmp_gt_i32_e64 s[0:1], s33, v49
	v_cndmask_b32_e64 v28, 0, v28, s[0:1]
	v_cmp_gt_i32_e64 s[0:1], s33, v52
	v_cndmask_b32_e64 v29, 0, v29, s[0:1]
	;; [unrolled: 2-line block ×4, first 2 shown]
; %bb.226:                              ;   in Loop: Header=BB197_147 Depth=1
	s_or_b64 exec, exec, s[20:21]
	global_load_dword v22, v[22:23], off offset:768
	v_pk_mov_b32 v[34:35], 0, 0
	v_pk_mov_b32 v[32:33], v[34:35], v[34:35] op_sel:[0,1]
	s_waitcnt vmcnt(0)
	v_cmp_ne_u16_sdwa s[0:1], v22, v15 src0_sel:BYTE_0 src1_sel:DWORD
	s_and_saveexec_b64 s[20:21], s[0:1]
	s_cbranch_execz .LBB197_232
; %bb.227:                              ;   in Loop: Header=BB197_147 Depth=1
	v_bfrev_b32_e32 v32, 1
	v_cmp_ne_u16_sdwa s[0:1], v22, s34 src0_sel:BYTE_0 src1_sel:DWORD
	v_mov_b32_e32 v33, 0
	s_and_saveexec_b64 s[22:23], s[0:1]
	s_cbranch_execz .LBB197_231
; %bb.228:                              ;   in Loop: Header=BB197_147 Depth=1
	v_and_b32_e32 v14, 0x7f, v22
	v_mov_b32_e32 v32, 0x7f800001
	v_cmp_ne_u32_e64 s[0:1], s36, v14
	v_mov_b32_e32 v33, 0
	s_and_saveexec_b64 s[24:25], s[0:1]
	s_cbranch_execz .LBB197_230
; %bb.229:                              ;   in Loop: Header=BB197_147 Depth=1
	v_and_b32_e32 v23, 7, v22
	v_ffbh_u32_e32 v32, v23
	v_min_u32_e32 v37, 32, v32
	v_subrev_u32_e32 v32, 28, v37
	v_lshlrev_b64 v[32:33], v32, v[22:23]
	v_lshrrev_b32_e32 v36, 3, v14
	v_sub_u32_e32 v33, 29, v37
	v_and_b32_e32 v32, 7, v32
	v_cmp_gt_u32_e64 s[0:1], 8, v14
	v_cndmask_b32_e64 v14, v36, v33, s[0:1]
	v_cndmask_b32_e64 v23, v23, v32, s[0:1]
	v_lshlrev_b32_e32 v23, 20, v23
	v_and_b32_sdwa v32, sext(v22), s5 dst_sel:DWORD dst_unused:UNUSED_PAD src0_sel:BYTE_0 src1_sel:DWORD
	v_lshl_add_u32 v14, v14, 23, v46
	v_or3_b32 v14, v32, v14, v23
	v_pk_mov_b32 v[32:33], v[14:15], v[14:15] op_sel:[0,1]
.LBB197_230:                            ;   in Loop: Header=BB197_147 Depth=1
	s_or_b64 exec, exec, s[24:25]
.LBB197_231:                            ;   in Loop: Header=BB197_147 Depth=1
	s_or_b64 exec, exec, s[22:23]
.LBB197_232:                            ;   in Loop: Header=BB197_147 Depth=1
	s_or_b64 exec, exec, s[20:21]
	v_cmp_ne_u16_sdwa s[0:1], v22, v15 src0_sel:BYTE_1 src1_sel:DWORD
	s_and_saveexec_b64 s[20:21], s[0:1]
	s_cbranch_execz .LBB197_238
; %bb.233:                              ;   in Loop: Header=BB197_147 Depth=1
	v_cmp_ne_u16_sdwa s[0:1], v22, s34 src0_sel:BYTE_1 src1_sel:DWORD
	v_pk_mov_b32 v[34:35], s[4:5], s[4:5] op_sel:[0,1]
	s_and_saveexec_b64 s[22:23], s[0:1]
	s_cbranch_execz .LBB197_237
; %bb.234:                              ;   in Loop: Header=BB197_147 Depth=1
	v_and_b32_sdwa v23, v22, s36 dst_sel:DWORD dst_unused:UNUSED_PAD src0_sel:BYTE_1 src1_sel:DWORD
	s_mov_b32 s6, s4
	v_cmp_ne_u32_e64 s[0:1], s36, v23
	v_pk_mov_b32 v[34:35], s[6:7], s[6:7] op_sel:[0,1]
	s_and_saveexec_b64 s[24:25], s[0:1]
	s_cbranch_execz .LBB197_236
; %bb.235:                              ;   in Loop: Header=BB197_147 Depth=1
	v_and_b32_sdwa v14, v22, v47 dst_sel:DWORD dst_unused:UNUSED_PAD src0_sel:BYTE_1 src1_sel:DWORD
	v_ffbh_u32_e32 v34, v14
	v_min_u32_e32 v37, 32, v34
	v_subrev_u32_e32 v34, 28, v37
	v_lshlrev_b64 v[34:35], v34, v[14:15]
	v_lshrrev_b32_e32 v36, 3, v23
	v_sub_u32_e32 v35, 29, v37
	v_cmp_gt_u32_e64 s[0:1], 8, v23
	v_and_b32_e32 v34, 7, v34
	v_cndmask_b32_e64 v23, v36, v35, s[0:1]
	v_cndmask_b32_e64 v14, v14, v34, s[0:1]
	v_lshlrev_b32_e32 v34, 16, v22
	v_lshl_add_u32 v23, v23, 23, v46
	v_and_or_b32 v23, v34, s5, v23
	v_lshlrev_b32_e32 v14, 20, v14
	v_or_b32_e32 v35, v23, v14
	v_mov_b32_e32 v34, v15
.LBB197_236:                            ;   in Loop: Header=BB197_147 Depth=1
	s_or_b64 exec, exec, s[24:25]
.LBB197_237:                            ;   in Loop: Header=BB197_147 Depth=1
	s_or_b64 exec, exec, s[22:23]
.LBB197_238:                            ;   in Loop: Header=BB197_147 Depth=1
	s_or_b64 exec, exec, s[20:21]
	v_lshrrev_b32_e32 v14, 16, v22
	v_pk_mov_b32 v[38:39], 0, 0
	v_cmp_ne_u16_sdwa s[0:1], v14, v15 src0_sel:BYTE_0 src1_sel:DWORD
	v_pk_mov_b32 v[36:37], v[38:39], v[38:39] op_sel:[0,1]
	s_and_saveexec_b64 s[20:21], s[0:1]
	s_cbranch_execz .LBB197_244
; %bb.239:                              ;   in Loop: Header=BB197_147 Depth=1
	v_bfrev_b32_e32 v36, 1
	v_cmp_ne_u16_sdwa s[0:1], v14, s34 src0_sel:BYTE_0 src1_sel:DWORD
	v_mov_b32_e32 v37, 0
	s_and_saveexec_b64 s[22:23], s[0:1]
	s_cbranch_execz .LBB197_243
; %bb.240:                              ;   in Loop: Header=BB197_147 Depth=1
	v_bfe_u32 v23, v22, 16, 7
	v_mov_b32_e32 v36, 0x7f800001
	v_cmp_ne_u32_e64 s[0:1], s36, v23
	v_mov_b32_e32 v37, 0
	s_and_saveexec_b64 s[24:25], s[0:1]
	s_cbranch_execz .LBB197_242
; %bb.241:                              ;   in Loop: Header=BB197_147 Depth=1
	v_and_b32_e32 v53, 7, v14
	v_ffbh_u32_e32 v36, v53
	v_min_u32_e32 v55, 32, v36
	v_subrev_u32_e32 v36, 28, v55
	v_lshlrev_b64 v[36:37], v36, v[14:15]
	v_lshrrev_b32_e32 v54, 3, v23
	v_sub_u32_e32 v37, 29, v55
	v_and_b32_e32 v36, 7, v36
	v_cmp_gt_u32_e64 s[0:1], 8, v23
	v_cndmask_b32_e64 v23, v54, v37, s[0:1]
	v_cndmask_b32_e64 v36, v53, v36, s[0:1]
	v_lshlrev_b32_e32 v36, 20, v36
	v_and_b32_sdwa v14, sext(v14), s5 dst_sel:DWORD dst_unused:UNUSED_PAD src0_sel:BYTE_0 src1_sel:DWORD
	v_lshl_add_u32 v23, v23, 23, v46
	v_or3_b32 v14, v14, v23, v36
	v_pk_mov_b32 v[36:37], v[14:15], v[14:15] op_sel:[0,1]
.LBB197_242:                            ;   in Loop: Header=BB197_147 Depth=1
	s_or_b64 exec, exec, s[24:25]
.LBB197_243:                            ;   in Loop: Header=BB197_147 Depth=1
	s_or_b64 exec, exec, s[22:23]
.LBB197_244:                            ;   in Loop: Header=BB197_147 Depth=1
	s_or_b64 exec, exec, s[20:21]
	v_cmp_lt_u32_e64 s[0:1], s37, v22
	s_and_saveexec_b64 s[20:21], s[0:1]
	s_cbranch_execz .LBB197_250
; %bb.245:                              ;   in Loop: Header=BB197_147 Depth=1
	v_cmp_ne_u32_sdwa s[0:1], v22, s34 src0_sel:BYTE_3 src1_sel:DWORD
	v_pk_mov_b32 v[38:39], s[4:5], s[4:5] op_sel:[0,1]
	s_and_saveexec_b64 s[22:23], s[0:1]
	s_cbranch_execz .LBB197_249
; %bb.246:                              ;   in Loop: Header=BB197_147 Depth=1
	v_bfe_u32 v23, v22, 24, 7
	s_mov_b32 s6, s4
	v_cmp_ne_u32_e64 s[0:1], s36, v23
	v_pk_mov_b32 v[38:39], s[6:7], s[6:7] op_sel:[0,1]
	s_and_saveexec_b64 s[24:25], s[0:1]
	s_cbranch_execz .LBB197_248
; %bb.247:                              ;   in Loop: Header=BB197_147 Depth=1
	v_and_b32_sdwa v14, v22, v47 dst_sel:DWORD dst_unused:UNUSED_PAD src0_sel:BYTE_3 src1_sel:DWORD
	v_ffbh_u32_e32 v38, v14
	v_min_u32_e32 v54, 32, v38
	v_subrev_u32_e32 v38, 28, v54
	v_lshlrev_b64 v[38:39], v38, v[14:15]
	v_lshrrev_b32_e32 v53, 3, v23
	v_sub_u32_e32 v39, 29, v54
	v_cmp_gt_u32_e64 s[0:1], 8, v23
	v_and_b32_e32 v38, 7, v38
	v_cndmask_b32_e64 v23, v53, v39, s[0:1]
	v_cndmask_b32_e64 v14, v14, v38, s[0:1]
	v_lshlrev_b32_sdwa v22, v48, v22 dst_sel:DWORD dst_unused:UNUSED_PAD src0_sel:DWORD src1_sel:BYTE_3
	v_lshl_add_u32 v23, v23, 23, v46
	v_and_or_b32 v22, v22, s5, v23
	v_lshlrev_b32_e32 v14, 20, v14
	v_or_b32_e32 v39, v22, v14
	v_mov_b32_e32 v38, v15
.LBB197_248:                            ;   in Loop: Header=BB197_147 Depth=1
	s_or_b64 exec, exec, s[24:25]
.LBB197_249:                            ;   in Loop: Header=BB197_147 Depth=1
	s_or_b64 exec, exec, s[22:23]
.LBB197_250:                            ;   in Loop: Header=BB197_147 Depth=1
	s_or_b64 exec, exec, s[20:21]
	v_or_b32_e32 v23, v35, v33
	v_or_b32_e32 v22, v34, v32
	;; [unrolled: 1-line block ×4, first 2 shown]
	v_pk_mul_f32 v[22:23], s[18:19], v[22:23]
	v_pk_mul_f32 v[32:33], s[18:19], v[32:33]
	s_and_saveexec_b64 s[0:1], vcc
	s_cbranch_execz .LBB197_145
; %bb.251:                              ;   in Loop: Header=BB197_147 Depth=1
	v_cmp_gt_i32_e32 vcc, s33, v49
	v_cndmask_b32_e32 v22, 0, v22, vcc
	v_cmp_gt_i32_e32 vcc, s33, v52
	v_cndmask_b32_e32 v23, 0, v23, vcc
	v_cmp_gt_i32_e32 vcc, s33, v51
	v_cndmask_b32_e32 v32, 0, v32, vcc
	v_cmp_gt_i32_e32 vcc, s33, v50
	v_cndmask_b32_e32 v33, 0, v33, vcc
	s_branch .LBB197_145
.LBB197_252:
	s_or_b64 exec, exec, s[12:13]
.LBB197_253:
	s_or_b64 exec, exec, s[10:11]
	ds_bpermute_b32 v6, v42, v2
	ds_bpermute_b32 v7, v42, v3
	;; [unrolled: 1-line block ×4, first 2 shown]
	s_waitcnt lgkmcnt(0)
	s_barrier
	v_pk_add_f32 v[2:3], v[2:3], v[6:7]
	v_and_b32_e32 v6, 0x3c1, v0
	v_pk_add_f32 v[4:5], v[4:5], v[8:9]
	v_cmp_eq_u32_e32 vcc, 64, v6
	s_and_saveexec_b64 s[0:1], vcc
	s_cbranch_execz .LBB197_255
; %bb.254:
	v_mov_b32_e32 v7, 0x210
	v_lshl_add_u32 v7, v41, 1, v7
	ds_write2_b32 v7, v2, v3 offset1:32
	ds_write2_b32 v7, v4, v5 offset0:64 offset1:96
.LBB197_255:
	s_or_b64 exec, exec, s[0:1]
	v_cmp_gt_u32_e32 vcc, 64, v0
	s_waitcnt lgkmcnt(0)
	s_barrier
	s_and_saveexec_b64 s[0:1], vcc
	s_cbranch_execz .LBB197_262
; %bb.256:
	v_cmp_eq_u32_e32 vcc, 0, v43
	s_and_saveexec_b64 s[4:5], vcc
	s_cbranch_execnz .LBB197_265
; %bb.257:
	s_or_b64 exec, exec, s[4:5]
	s_and_saveexec_b64 s[4:5], vcc
	s_cbranch_execnz .LBB197_266
.LBB197_258:
	s_or_b64 exec, exec, s[4:5]
	s_and_saveexec_b64 s[4:5], vcc
	s_cbranch_execnz .LBB197_267
.LBB197_259:
	s_or_b64 exec, exec, s[4:5]
	s_and_saveexec_b64 s[4:5], vcc
	s_cbranch_execz .LBB197_261
.LBB197_260:
	v_mov_b32_e32 v7, 0x210
	v_lshl_add_u32 v1, v1, 2, v7
	ds_read_b32 v1, v1 offset:384
	s_waitcnt lgkmcnt(0)
	v_add_f32_e32 v5, v5, v1
.LBB197_261:
	s_or_b64 exec, exec, s[4:5]
.LBB197_262:
	s_or_b64 exec, exec, s[0:1]
	v_cmp_eq_u32_e32 vcc, 0, v6
	s_barrier
	s_and_saveexec_b64 s[0:1], vcc
	s_cbranch_execz .LBB197_264
; %bb.263:
	s_lshl_b32 s0, s2, 7
	s_ashr_i32 s1, s0, 31
	s_lshl_b64 s[0:1], s[0:1], 2
	s_add_u32 s2, s30, s0
	s_mul_i32 s0, s29, s28
	s_addc_u32 s3, s31, s1
	s_ashr_i32 s1, s0, 31
	s_lshl_b64 s[0:1], s[0:1], 2
	s_add_u32 s2, s2, s0
	s_addc_u32 s3, s3, s1
	s_lshl_b32 s0, s8, 7
	s_ashr_i32 s1, s0, 31
	s_lshl_b64 s[0:1], s[0:1], 2
	s_add_u32 s0, s2, s0
	s_addc_u32 s1, s3, s1
	v_lshlrev_b32_e32 v0, 1, v0
	global_store_dword v0, v2, s[0:1]
	global_store_dword v0, v3, s[0:1] offset:128
	global_store_dword v0, v4, s[0:1] offset:256
	;; [unrolled: 1-line block ×3, first 2 shown]
.LBB197_264:
	s_endpgm
.LBB197_265:
	v_mov_b32_e32 v7, 0x210
	v_lshl_add_u32 v7, v1, 2, v7
	ds_read_b32 v7, v7
	s_waitcnt lgkmcnt(0)
	v_add_f32_e32 v2, v2, v7
	s_or_b64 exec, exec, s[4:5]
	s_and_saveexec_b64 s[4:5], vcc
	s_cbranch_execz .LBB197_258
.LBB197_266:
	v_mov_b32_e32 v7, 0x210
	v_lshl_add_u32 v7, v1, 2, v7
	ds_read_b32 v7, v7 offset:128
	s_waitcnt lgkmcnt(0)
	v_add_f32_e32 v3, v3, v7
	s_or_b64 exec, exec, s[4:5]
	s_and_saveexec_b64 s[4:5], vcc
	s_cbranch_execz .LBB197_259
.LBB197_267:
	v_mov_b32_e32 v7, 0x210
	v_lshl_add_u32 v7, v1, 2, v7
	ds_read_b32 v7, v7 offset:256
	s_waitcnt lgkmcnt(0)
	v_add_f32_e32 v4, v4, v7
	s_or_b64 exec, exec, s[4:5]
	s_and_saveexec_b64 s[4:5], vcc
	s_cbranch_execnz .LBB197_260
	s_branch .LBB197_261
	.section	.rodata,"a",@progbits
	.p2align	6, 0x0
	.amdhsa_kernel _ZN4vllm25paged_attention_v2_kernelIfhLi128ELi8ELi128ELNS_18Fp8KVCacheDataTypeE1ELb1ELi512EEEvPfS2_PT_PKS3_PKT0_S9_ifPKiSB_iPKfiiiSD_SD_iiiii
		.amdhsa_group_segment_fixed_size 528
		.amdhsa_private_segment_fixed_size 0
		.amdhsa_kernarg_size 400
		.amdhsa_user_sgpr_count 6
		.amdhsa_user_sgpr_private_segment_buffer 1
		.amdhsa_user_sgpr_dispatch_ptr 0
		.amdhsa_user_sgpr_queue_ptr 0
		.amdhsa_user_sgpr_kernarg_segment_ptr 1
		.amdhsa_user_sgpr_dispatch_id 0
		.amdhsa_user_sgpr_flat_scratch_init 0
		.amdhsa_user_sgpr_kernarg_preload_length 0
		.amdhsa_user_sgpr_kernarg_preload_offset 0
		.amdhsa_user_sgpr_private_segment_size 0
		.amdhsa_uses_dynamic_stack 0
		.amdhsa_system_sgpr_private_segment_wavefront_offset 0
		.amdhsa_system_sgpr_workgroup_id_x 1
		.amdhsa_system_sgpr_workgroup_id_y 1
		.amdhsa_system_sgpr_workgroup_id_z 1
		.amdhsa_system_sgpr_workgroup_info 0
		.amdhsa_system_vgpr_workitem_id 0
		.amdhsa_next_free_vgpr 65
		.amdhsa_next_free_sgpr 63
		.amdhsa_accum_offset 68
		.amdhsa_reserve_vcc 1
		.amdhsa_reserve_flat_scratch 0
		.amdhsa_float_round_mode_32 0
		.amdhsa_float_round_mode_16_64 0
		.amdhsa_float_denorm_mode_32 3
		.amdhsa_float_denorm_mode_16_64 3
		.amdhsa_dx10_clamp 1
		.amdhsa_ieee_mode 1
		.amdhsa_fp16_overflow 0
		.amdhsa_tg_split 0
		.amdhsa_exception_fp_ieee_invalid_op 0
		.amdhsa_exception_fp_denorm_src 0
		.amdhsa_exception_fp_ieee_div_zero 0
		.amdhsa_exception_fp_ieee_overflow 0
		.amdhsa_exception_fp_ieee_underflow 0
		.amdhsa_exception_fp_ieee_inexact 0
		.amdhsa_exception_int_div_zero 0
	.end_amdhsa_kernel
	.section	.text._ZN4vllm25paged_attention_v2_kernelIfhLi128ELi8ELi128ELNS_18Fp8KVCacheDataTypeE1ELb1ELi512EEEvPfS2_PT_PKS3_PKT0_S9_ifPKiSB_iPKfiiiSD_SD_iiiii,"axG",@progbits,_ZN4vllm25paged_attention_v2_kernelIfhLi128ELi8ELi128ELNS_18Fp8KVCacheDataTypeE1ELb1ELi512EEEvPfS2_PT_PKS3_PKT0_S9_ifPKiSB_iPKfiiiSD_SD_iiiii,comdat
.Lfunc_end197:
	.size	_ZN4vllm25paged_attention_v2_kernelIfhLi128ELi8ELi128ELNS_18Fp8KVCacheDataTypeE1ELb1ELi512EEEvPfS2_PT_PKS3_PKT0_S9_ifPKiSB_iPKfiiiSD_SD_iiiii, .Lfunc_end197-_ZN4vllm25paged_attention_v2_kernelIfhLi128ELi8ELi128ELNS_18Fp8KVCacheDataTypeE1ELb1ELi512EEEvPfS2_PT_PKS3_PKT0_S9_ifPKiSB_iPKfiiiSD_SD_iiiii
                                        ; -- End function
	.section	.AMDGPU.csdata,"",@progbits
; Kernel info:
; codeLenInByte = 10968
; NumSgprs: 67
; NumVgprs: 65
; NumAgprs: 0
; TotalNumVgprs: 65
; ScratchSize: 0
; MemoryBound: 0
; FloatMode: 240
; IeeeMode: 1
; LDSByteSize: 528 bytes/workgroup (compile time only)
; SGPRBlocks: 8
; VGPRBlocks: 8
; NumSGPRsForWavesPerEU: 67
; NumVGPRsForWavesPerEU: 65
; AccumOffset: 68
; Occupancy: 7
; WaveLimiterHint : 1
; COMPUTE_PGM_RSRC2:SCRATCH_EN: 0
; COMPUTE_PGM_RSRC2:USER_SGPR: 6
; COMPUTE_PGM_RSRC2:TRAP_HANDLER: 0
; COMPUTE_PGM_RSRC2:TGID_X_EN: 1
; COMPUTE_PGM_RSRC2:TGID_Y_EN: 1
; COMPUTE_PGM_RSRC2:TGID_Z_EN: 1
; COMPUTE_PGM_RSRC2:TIDIG_COMP_CNT: 0
; COMPUTE_PGM_RSRC3_GFX90A:ACCUM_OFFSET: 16
; COMPUTE_PGM_RSRC3_GFX90A:TG_SPLIT: 0
	.section	.text._ZN4vllm25paged_attention_v2_kernelIfhLi192ELi8ELi128ELNS_18Fp8KVCacheDataTypeE1ELb1ELi512EEEvPfS2_PT_PKS3_PKT0_S9_ifPKiSB_iPKfiiiSD_SD_iiiii,"axG",@progbits,_ZN4vllm25paged_attention_v2_kernelIfhLi192ELi8ELi128ELNS_18Fp8KVCacheDataTypeE1ELb1ELi512EEEvPfS2_PT_PKS3_PKT0_S9_ifPKiSB_iPKfiiiSD_SD_iiiii,comdat
	.protected	_ZN4vllm25paged_attention_v2_kernelIfhLi192ELi8ELi128ELNS_18Fp8KVCacheDataTypeE1ELb1ELi512EEEvPfS2_PT_PKS3_PKT0_S9_ifPKiSB_iPKfiiiSD_SD_iiiii ; -- Begin function _ZN4vllm25paged_attention_v2_kernelIfhLi192ELi8ELi128ELNS_18Fp8KVCacheDataTypeE1ELb1ELi512EEEvPfS2_PT_PKS3_PKT0_S9_ifPKiSB_iPKfiiiSD_SD_iiiii
	.globl	_ZN4vllm25paged_attention_v2_kernelIfhLi192ELi8ELi128ELNS_18Fp8KVCacheDataTypeE1ELb1ELi512EEEvPfS2_PT_PKS3_PKT0_S9_ifPKiSB_iPKfiiiSD_SD_iiiii
	.p2align	8
	.type	_ZN4vllm25paged_attention_v2_kernelIfhLi192ELi8ELi128ELNS_18Fp8KVCacheDataTypeE1ELb1ELi512EEEvPfS2_PT_PKS3_PKT0_S9_ifPKiSB_iPKfiiiSD_SD_iiiii,@function
_ZN4vllm25paged_attention_v2_kernelIfhLi192ELi8ELi128ELNS_18Fp8KVCacheDataTypeE1ELb1ELi512EEEvPfS2_PT_PKS3_PKT0_S9_ifPKiSB_iPKfiiiSD_SD_iiiii: ; @_ZN4vllm25paged_attention_v2_kernelIfhLi192ELi8ELi128ELNS_18Fp8KVCacheDataTypeE1ELb1ELi512EEEvPfS2_PT_PKS3_PKT0_S9_ifPKiSB_iPKfiiiSD_SD_iiiii
; %bb.0:
	s_load_dwordx2 s[0:1], s[4:5], 0x40
	s_mov_b32 s40, s7
	s_ashr_i32 s41, s7, 31
	s_lshl_b64 s[2:3], s[40:41], 2
	s_waitcnt lgkmcnt(0)
	s_add_u32 s0, s0, s2
	s_addc_u32 s1, s1, s3
	s_load_dword s41, s[0:1], 0x0
	s_lshl_b32 s55, s8, 9
	s_waitcnt lgkmcnt(0)
	s_cmp_ge_i32 s55, s41
	s_cbranch_scc1 .LBB198_366
; %bb.1:
	s_load_dword s9, s[4:5], 0x90
	s_load_dwordx2 s[44:45], s[4:5], 0x30
	s_mov_b32 s56, 0
	s_waitcnt lgkmcnt(0)
	s_abs_i32 s2, s9
	s_abs_i32 s0, s44
	v_cvt_f32_u32_e32 v1, s0
	s_sub_i32 s3, 0, s0
	s_xor_b32 s1, s9, s44
	s_ashr_i32 s1, s1, 31
	v_rcp_iflag_f32_e32 v1, v1
	v_mul_f32_e32 v1, 0x4f7ffffe, v1
	v_cvt_u32_f32_e32 v1, v1
	v_readfirstlane_b32 s7, v1
	s_mul_i32 s3, s3, s7
	s_mul_hi_u32 s3, s7, s3
	s_add_i32 s7, s7, s3
	s_mul_hi_u32 s3, s2, s7
	s_mul_i32 s7, s3, s0
	s_sub_i32 s2, s2, s7
	s_add_i32 s10, s3, 1
	s_sub_i32 s7, s2, s0
	s_cmp_ge_u32 s2, s0
	s_cselect_b32 s3, s10, s3
	s_cselect_b32 s2, s7, s2
	s_add_i32 s7, s3, 1
	s_cmp_ge_u32 s2, s0
	s_cselect_b32 s0, s7, s3
	s_xor_b32 s0, s0, s1
	s_sub_i32 s11, s0, s1
	s_abs_i32 s10, s11
	v_cvt_f32_u32_e32 v1, s10
	s_load_dwordx2 s[0:1], s[4:5], 0x50
	s_sub_i32 s2, 0, s10
	s_abs_i32 s16, s6
	v_rcp_iflag_f32_e32 v1, v1
	v_mul_f32_e32 v1, 0x4f7ffffe, v1
	v_cvt_u32_f32_e32 v1, v1
	v_readfirstlane_b32 s3, v1
	s_mul_i32 s2, s2, s3
	s_mul_hi_u32 s2, s3, s2
	s_add_i32 s2, s3, s2
	s_waitcnt lgkmcnt(0)
	s_cmp_eq_u64 s[0:1], 0
	s_cbranch_scc1 .LBB198_3
; %bb.2:
	s_ashr_i32 s7, s6, 31
	s_lshl_b64 s[12:13], s[6:7], 2
	s_add_u32 s0, s0, s12
	s_addc_u32 s1, s1, s13
	s_load_dword s56, s[0:1], 0x0
.LBB198_3:
	s_load_dwordx4 s[24:27], s[4:5], 0x0
	s_load_dwordx2 s[34:35], s[4:5], 0x10
	s_load_dwordx4 s[20:23], s[4:5], 0x20
	s_load_dwordx2 s[38:39], s[4:5], 0x38
	s_load_dword s33, s[4:5], 0x98
	s_load_dwordx4 s[12:15], s[4:5], 0x58
	s_movk_i32 s0, 0xc0
	s_mul_i32 s36, s6, 0xc0
	s_mul_hi_u32 s7, s16, s2
	v_and_b32_e32 v28, 7, v0
	s_ashr_i32 s37, s36, 31
	v_cmp_gt_u32_e32 vcc, s0, v0
	s_and_saveexec_b64 s[0:1], vcc
	s_cbranch_execz .LBB198_6
; %bb.4:
	s_load_dwordx2 s[2:3], s[4:5], 0x18
	s_waitcnt lgkmcnt(0)
	s_mul_i32 s18, s40, s12
	v_lshrrev_b32_e32 v2, 3, v0
	s_ashr_i32 s19, s18, 31
	v_lshlrev_b32_e32 v3, 2, v2
	s_movk_i32 s12, 0x60
	s_lshl_b64 s[18:19], s[18:19], 2
	s_lshl_b64 s[28:29], s[36:37], 2
	v_mad_u32_u24 v4, v28, s12, v3
	s_add_u32 s12, s18, s28
	s_addc_u32 s15, s19, s29
	v_lshlrev_b32_e32 v3, 2, v28
	s_add_u32 s2, s2, s12
	v_add_u32_e32 v1, -16, v2
	v_lshl_or_b32 v2, v2, 5, v3
	s_addc_u32 s3, s3, s15
	v_mov_b32_e32 v3, s3
	v_add_co_u32_e32 v2, vcc, s2, v2
	v_addc_co_u32_e32 v3, vcc, 0, v3, vcc
	s_mov_b64 s[2:3], 0
.LBB198_5:                              ; =>This Inner Loop Header: Depth=1
	global_load_dword v5, v[2:3], off
	v_add_co_u32_e32 v2, vcc, 0x200, v2
	v_add_u32_e32 v1, 16, v1
	v_addc_co_u32_e32 v3, vcc, 0, v3, vcc
	v_cmp_lt_u32_e32 vcc, 7, v1
	s_or_b64 s[2:3], vcc, s[2:3]
	s_waitcnt vmcnt(0)
	ds_write_b32 v4, v5
	v_add_u32_e32 v4, 64, v4
	s_andn2_b64 exec, exec, s[2:3]
	s_cbranch_execnz .LBB198_5
.LBB198_6:
	s_or_b64 exec, exec, s[0:1]
	s_ashr_i32 s0, s6, 31
	s_ashr_i32 s1, s11, 31
	s_xor_b32 s0, s0, s1
	s_mul_i32 s1, s7, s10
	s_sub_i32 s1, s16, s1
	s_add_i32 s2, s7, 1
	s_sub_i32 s3, s1, s10
	s_load_dwordx4 s[28:31], s[4:5], 0x78
	s_cmp_ge_u32 s1, s10
	s_cselect_b32 s2, s2, s7
	s_cselect_b32 s1, s3, s1
	s_add_i32 s3, s2, 1
	s_cmp_ge_u32 s1, s10
	s_cselect_b32 s1, s3, s2
	s_load_dword s2, s[4:5], 0x88
	s_waitcnt lgkmcnt(0)
	s_abs_i32 s37, s31
	v_cvt_f32_u32_e32 v1, s37
	s_xor_b32 s1, s1, s0
	s_sub_i32 s54, s1, s0
	s_sub_i32 s0, 0, s37
	v_rcp_iflag_f32_e32 v1, v1
	s_add_i32 s10, s41, -1
	s_abs_i32 s3, s10
	v_mul_f32_e32 v1, 0x4f7ffffe, v1
	v_cvt_u32_f32_e32 v1, v1
	s_barrier
	v_readfirstlane_b32 s52, v1
	s_mul_i32 s0, s0, s52
	s_mul_hi_u32 s0, s52, s0
	s_add_i32 s52, s52, s0
	s_cmp_lt_i32 s2, 0
	s_mul_hi_u32 s7, s3, s52
	s_cbranch_scc0 .LBB198_8
; %bb.7:
	s_mul_i32 s0, s28, s44
	s_add_i32 s0, s54, s0
	s_mul_i32 s0, s0, s2
	s_sub_i32 s44, 1, s0
	s_ashr_i32 s10, s10, 31
	s_ashr_i32 s31, s31, 31
	s_cbranch_execz .LBB198_9
	s_branch .LBB198_10
.LBB198_8:
                                        ; implicit-def: $sgpr44
	s_ashr_i32 s10, s10, 31
	s_ashr_i32 s31, s31, 31
.LBB198_9:
	s_mul_i32 s0, s9, s28
	s_add_i32 s0, s0, s6
	s_mul_i32 s0, s0, s2
	s_add_i32 s44, s0, 1
.LBB198_10:
	s_load_dword s0, s[4:5], 0x48
	s_load_dwordx4 s[16:19], s[4:5], 0x68
	s_mul_i32 s2, s7, s37
	s_sub_i32 s2, s3, s2
	s_xor_b32 s1, s10, s31
	s_waitcnt lgkmcnt(0)
	s_mul_i32 s42, s40, s0
	s_ashr_i32 s43, s42, 31
	s_add_i32 s0, s7, 1
	s_sub_i32 s3, s2, s37
	s_cmp_ge_u32 s2, s37
	s_cselect_b32 s0, s0, s7
	s_cselect_b32 s2, s3, s2
	s_add_i32 s3, s0, 1
	s_cmp_ge_u32 s2, s37
	s_cselect_b32 s0, s3, s0
	s_xor_b32 s0, s0, s1
	s_sub_i32 s53, s0, s1
	s_add_i32 s0, s41, 7
	s_ashr_i32 s1, s0, 31
	s_lshr_b32 s1, s1, 29
	s_add_i32 s0, s0, s1
	s_lshl_b32 s12, s8, 6
	s_ashr_i32 s7, s0, 3
	s_add_i32 s0, s12, 64
	v_lshrrev_b32_e32 v29, 6, v0
	s_min_i32 s28, s0, s7
	v_or_b32_e32 v26, s12, v29
	v_cmp_gt_i32_e64 s[0:1], s28, v26
	v_mov_b32_e32 v40, 0xff7fffff
	s_mul_i32 s54, s54, s14
	v_ashrrev_i32_e32 v27, 31, v26
	v_lshl_add_u32 v1, v29, 3, s55
	v_mbcnt_lo_u32_b32 v37, -1, 0
	s_and_saveexec_b64 s[14:15], s[0:1]
	s_cbranch_execz .LBB198_164
; %bb.11:
	s_sub_i32 s57, s53, s29
	s_ashr_i32 s2, s54, 31
	s_add_u32 s3, s20, s54
	s_addc_u32 s2, s21, s2
	s_abs_i32 s58, s30
	v_cvt_f32_u32_e32 v2, s58
	v_bfe_u32 v38, v0, 3, 3
	v_lshlrev_b32_e32 v3, 4, v38
	s_sub_i32 s4, 0, s58
	v_rcp_iflag_f32_e32 v2, v2
	v_mov_b32_e32 v4, s2
	v_add_co_u32_e64 v30, s[2:3], s3, v3
	v_mul_f32_e32 v2, 0x4f7ffffe, v2
	v_cvt_u32_f32_e32 v2, v2
	v_addc_co_u32_e64 v31, s[2:3], 0, v4, s[2:3]
	v_cmp_eq_u32_e32 vcc, 0, v28
	v_mul_lo_u32 v3, s4, v2
	s_lshl_b64 s[4:5], s[42:43], 2
	v_mul_hi_u32 v3, v2, v3
	s_add_u32 s4, s38, s4
	v_add_u32_e32 v41, v2, v3
	v_lshlrev_b64 v[2:3], 2, v[26:27]
	s_addc_u32 s5, s39, s5
	v_mov_b32_e32 v4, s5
	v_add_co_u32_e64 v32, s[4:5], s4, v2
	v_lshlrev_b32_e32 v2, 2, v38
	v_lshl_or_b32 v2, v29, 5, v2
	v_add_u32_e32 v43, 0x310, v2
	v_subrev_u32_e32 v2, s41, v38
	s_mov_b32 s59, s13
	v_mul_u32_u24_e32 v39, 0x60, v28
	v_cmp_neq_f32_e64 s[2:3], s56, 0
	v_addc_co_u32_e64 v33, s[4:5], v4, v3, s[4:5]
	v_lshl_add_u32 v42, v29, 3, s55
	v_add_u32_e32 v44, 1, v2
	s_mov_b64 s[20:21], 0
	v_mov_b32_e32 v45, 0xff7fffff
	s_movk_i32 s60, 0x80
	s_movk_i32 s61, 0x7f
	v_bfrev_b32_e32 v46, 60
	v_mbcnt_hi_u32_b32 v47, -1, v37
	v_mov_b32_e32 v40, 0xff7fffff
	v_mov_b32_e32 v48, v26
	s_branch .LBB198_14
.LBB198_12:                             ;   in Loop: Header=BB198_14 Depth=1
	s_or_b64 exec, exec, s[46:47]
.LBB198_13:                             ;   in Loop: Header=BB198_14 Depth=1
	s_or_b64 exec, exec, s[10:11]
	v_add_co_u32_e64 v32, s[4:5], 8, v32
	v_add_u32_e32 v48, 2, v48
	v_addc_co_u32_e64 v33, s[4:5], 0, v33, s[4:5]
	v_cmp_le_i32_e64 s[4:5], s28, v48
	v_add_u32_e32 v42, 16, v42
	s_or_b64 s[20:21], s[4:5], s[20:21]
	v_add_u32_e32 v43, 64, v43
	s_andn2_b64 exec, exec, s[20:21]
	s_cbranch_execz .LBB198_163
.LBB198_14:                             ; =>This Inner Loop Header: Depth=1
	s_waitcnt lgkmcnt(0)
	v_sub_u32_e32 v3, 0, v42
	v_max_i32_e32 v3, v42, v3
	v_mul_hi_u32 v4, v3, s52
	v_mul_lo_u32 v5, v4, s37
	v_sub_u32_e32 v3, v3, v5
	v_add_u32_e32 v5, 1, v4
	v_cmp_le_u32_e64 s[4:5], s37, v3
	v_cndmask_b32_e64 v4, v4, v5, s[4:5]
	v_subrev_u32_e32 v5, s37, v3
	v_cndmask_b32_e64 v3, v3, v5, s[4:5]
	v_ashrrev_i32_e32 v2, 31, v42
	v_add_u32_e32 v5, 1, v4
	v_cmp_le_u32_e64 s[4:5], s37, v3
	v_xor_b32_e32 v2, s31, v2
	v_cndmask_b32_e64 v3, v4, v5, s[4:5]
	v_xor_b32_e32 v3, v3, v2
	v_sub_u32_e32 v2, v3, v2
	v_add_u32_e32 v3, s44, v2
	v_sub_u32_e32 v5, 0, v3
	v_ashrrev_i32_e32 v4, 31, v3
	v_max_i32_e32 v3, v3, v5
	v_mul_hi_u32 v5, v3, v41
	v_mul_lo_u32 v5, v5, s58
	v_sub_u32_e32 v3, v3, v5
	v_subrev_u32_e32 v5, s58, v3
	v_cmp_le_u32_e64 s[4:5], s58, v3
	v_cndmask_b32_e64 v3, v3, v5, s[4:5]
	v_subrev_u32_e32 v5, s58, v3
	v_cmp_le_u32_e64 s[4:5], s58, v3
	v_cndmask_b32_e64 v3, v3, v5, s[4:5]
	v_xor_b32_e32 v3, v3, v4
	v_sub_u32_e32 v3, v3, v4
	v_cmp_ne_u32_e64 s[4:5], 0, v3
	v_cmp_ge_i32_e64 s[10:11], s57, v2
	s_and_b64 s[4:5], s[4:5], s[10:11]
	s_and_b64 s[46:47], vcc, s[4:5]
	s_and_saveexec_b64 s[10:11], s[46:47]
	s_cbranch_execz .LBB198_16
; %bb.15:                               ;   in Loop: Header=BB198_14 Depth=1
	ds_write_b32 v43, v45
.LBB198_16:                             ;   in Loop: Header=BB198_14 Depth=1
	s_or_b64 exec, exec, s[10:11]
	s_xor_b64 s[4:5], s[4:5], -1
	s_and_saveexec_b64 s[10:11], s[4:5]
	s_cbranch_execz .LBB198_13
; %bb.17:                               ;   in Loop: Header=BB198_14 Depth=1
	global_load_dword v2, v[32:33], off
	v_mov_b32_e32 v49, 0
	v_mov_b32_e32 v50, 0
	s_waitcnt vmcnt(0)
	v_mad_i64_i32 v[2:3], s[4:5], v2, s59, v[30:31]
	v_add_co_u32_e64 v34, s[4:5], v2, v28
	v_addc_co_u32_e64 v35, s[4:5], 0, v3, s[4:5]
	global_load_ubyte v51, v[34:35], off
	ds_read_b128 v[22:25], v39
	ds_read_b128 v[18:21], v39 offset:16
	ds_read_b128 v[14:17], v39 offset:32
	;; [unrolled: 1-line block ×5, first 2 shown]
	s_load_dword s62, s[16:17], 0x0
	s_waitcnt vmcnt(0)
	v_cmp_ne_u16_e64 s[4:5], 0, v51
	s_and_saveexec_b64 s[46:47], s[4:5]
	s_cbranch_execz .LBB198_23
; %bb.18:                               ;   in Loop: Header=BB198_14 Depth=1
	v_cmp_ne_u16_e64 s[4:5], s60, v51
	v_bfrev_b32_e32 v50, 1
	s_and_saveexec_b64 s[48:49], s[4:5]
	s_cbranch_execz .LBB198_22
; %bb.19:                               ;   in Loop: Header=BB198_14 Depth=1
	v_and_b32_e32 v36, 0xffff, v51
	v_and_b32_e32 v52, 0x7f, v36
	v_cmp_ne_u32_e64 s[4:5], s61, v52
	v_mov_b32_e32 v50, 0x7f800001
	s_and_saveexec_b64 s[50:51], s[4:5]
	s_cbranch_execz .LBB198_21
; %bb.20:                               ;   in Loop: Header=BB198_14 Depth=1
	v_and_b32_e32 v50, 7, v36
	v_ffbh_u32_e32 v54, v50
	v_min_u32_e32 v56, 32, v54
	v_subrev_u32_e32 v54, 28, v56
	v_lshlrev_b64 v[54:55], v54, v[36:37]
	v_lshrrev_b32_e32 v53, 3, v52
	v_sub_u32_e32 v36, 29, v56
	v_and_b32_e32 v54, 7, v54
	v_cmp_gt_u32_e64 s[4:5], 8, v52
	v_cndmask_b32_e64 v36, v53, v36, s[4:5]
	v_cndmask_b32_e64 v50, v50, v54, s[4:5]
	v_lshlrev_b32_e32 v51, 24, v51
	v_lshlrev_b32_e32 v50, 20, v50
	v_and_b32_e32 v51, 0x80000000, v51
	v_lshl_add_u32 v36, v36, 23, v46
	v_or3_b32 v50, v51, v36, v50
.LBB198_21:                             ;   in Loop: Header=BB198_14 Depth=1
	s_or_b64 exec, exec, s[50:51]
.LBB198_22:                             ;   in Loop: Header=BB198_14 Depth=1
	s_or_b64 exec, exec, s[48:49]
.LBB198_23:                             ;   in Loop: Header=BB198_14 Depth=1
	s_or_b64 exec, exec, s[46:47]
	global_load_ubyte v51, v[34:35], off offset:8
	s_waitcnt vmcnt(0)
	v_cmp_ne_u16_e64 s[4:5], 0, v51
	s_and_saveexec_b64 s[46:47], s[4:5]
	s_cbranch_execz .LBB198_29
; %bb.24:                               ;   in Loop: Header=BB198_14 Depth=1
	v_cmp_ne_u16_e64 s[4:5], s60, v51
	v_bfrev_b32_e32 v49, 1
	s_and_saveexec_b64 s[48:49], s[4:5]
	s_cbranch_execz .LBB198_28
; %bb.25:                               ;   in Loop: Header=BB198_14 Depth=1
	v_and_b32_e32 v36, 0xffff, v51
	v_and_b32_e32 v52, 0x7f, v36
	v_cmp_ne_u32_e64 s[4:5], s61, v52
	v_mov_b32_e32 v49, 0x7f800001
	s_and_saveexec_b64 s[50:51], s[4:5]
	s_cbranch_execz .LBB198_27
; %bb.26:                               ;   in Loop: Header=BB198_14 Depth=1
	v_and_b32_e32 v49, 7, v36
	v_ffbh_u32_e32 v54, v49
	v_min_u32_e32 v56, 32, v54
	v_subrev_u32_e32 v54, 28, v56
	v_lshlrev_b64 v[54:55], v54, v[36:37]
	v_lshrrev_b32_e32 v53, 3, v52
	v_sub_u32_e32 v36, 29, v56
	v_and_b32_e32 v54, 7, v54
	v_cmp_gt_u32_e64 s[4:5], 8, v52
	v_cndmask_b32_e64 v36, v53, v36, s[4:5]
	v_cndmask_b32_e64 v49, v49, v54, s[4:5]
	v_lshlrev_b32_e32 v51, 24, v51
	v_lshlrev_b32_e32 v49, 20, v49
	v_and_b32_e32 v51, 0x80000000, v51
	v_lshl_add_u32 v36, v36, 23, v46
	v_or3_b32 v49, v51, v36, v49
.LBB198_27:                             ;   in Loop: Header=BB198_14 Depth=1
	s_or_b64 exec, exec, s[50:51]
.LBB198_28:                             ;   in Loop: Header=BB198_14 Depth=1
	s_or_b64 exec, exec, s[48:49]
.LBB198_29:                             ;   in Loop: Header=BB198_14 Depth=1
	s_or_b64 exec, exec, s[46:47]
	global_load_ubyte v53, v[34:35], off offset:128
	v_mov_b32_e32 v51, 0
	v_mov_b32_e32 v52, 0
	s_waitcnt vmcnt(0)
	v_cmp_ne_u16_e64 s[4:5], 0, v53
	s_and_saveexec_b64 s[46:47], s[4:5]
	s_cbranch_execz .LBB198_35
; %bb.30:                               ;   in Loop: Header=BB198_14 Depth=1
	v_cmp_ne_u16_e64 s[4:5], s60, v53
	v_bfrev_b32_e32 v52, 1
	s_and_saveexec_b64 s[48:49], s[4:5]
	s_cbranch_execz .LBB198_34
; %bb.31:                               ;   in Loop: Header=BB198_14 Depth=1
	v_and_b32_e32 v36, 0xffff, v53
	v_and_b32_e32 v54, 0x7f, v36
	v_cmp_ne_u32_e64 s[4:5], s61, v54
	v_mov_b32_e32 v52, 0x7f800001
	s_and_saveexec_b64 s[50:51], s[4:5]
	s_cbranch_execz .LBB198_33
; %bb.32:                               ;   in Loop: Header=BB198_14 Depth=1
	v_and_b32_e32 v52, 7, v36
	v_ffbh_u32_e32 v56, v52
	v_min_u32_e32 v58, 32, v56
	v_subrev_u32_e32 v56, 28, v58
	v_lshlrev_b64 v[56:57], v56, v[36:37]
	v_lshrrev_b32_e32 v55, 3, v54
	v_sub_u32_e32 v36, 29, v58
	v_and_b32_e32 v56, 7, v56
	v_cmp_gt_u32_e64 s[4:5], 8, v54
	v_cndmask_b32_e64 v36, v55, v36, s[4:5]
	v_cndmask_b32_e64 v52, v52, v56, s[4:5]
	v_lshlrev_b32_e32 v53, 24, v53
	v_lshlrev_b32_e32 v52, 20, v52
	v_and_b32_e32 v53, 0x80000000, v53
	v_lshl_add_u32 v36, v36, 23, v46
	v_or3_b32 v52, v53, v36, v52
.LBB198_33:                             ;   in Loop: Header=BB198_14 Depth=1
	s_or_b64 exec, exec, s[50:51]
.LBB198_34:                             ;   in Loop: Header=BB198_14 Depth=1
	s_or_b64 exec, exec, s[48:49]
.LBB198_35:                             ;   in Loop: Header=BB198_14 Depth=1
	s_or_b64 exec, exec, s[46:47]
	global_load_ubyte v53, v[34:35], off offset:136
	s_waitcnt vmcnt(0)
	v_cmp_ne_u16_e64 s[4:5], 0, v53
	s_and_saveexec_b64 s[46:47], s[4:5]
	s_cbranch_execz .LBB198_41
; %bb.36:                               ;   in Loop: Header=BB198_14 Depth=1
	v_cmp_ne_u16_e64 s[4:5], s60, v53
	v_bfrev_b32_e32 v51, 1
	s_and_saveexec_b64 s[48:49], s[4:5]
	s_cbranch_execz .LBB198_40
; %bb.37:                               ;   in Loop: Header=BB198_14 Depth=1
	v_and_b32_e32 v36, 0xffff, v53
	v_and_b32_e32 v54, 0x7f, v36
	v_cmp_ne_u32_e64 s[4:5], s61, v54
	v_mov_b32_e32 v51, 0x7f800001
	s_and_saveexec_b64 s[50:51], s[4:5]
	s_cbranch_execz .LBB198_39
; %bb.38:                               ;   in Loop: Header=BB198_14 Depth=1
	v_and_b32_e32 v51, 7, v36
	v_ffbh_u32_e32 v56, v51
	v_min_u32_e32 v58, 32, v56
	v_subrev_u32_e32 v56, 28, v58
	v_lshlrev_b64 v[56:57], v56, v[36:37]
	v_lshrrev_b32_e32 v55, 3, v54
	v_sub_u32_e32 v36, 29, v58
	v_and_b32_e32 v56, 7, v56
	v_cmp_gt_u32_e64 s[4:5], 8, v54
	v_cndmask_b32_e64 v36, v55, v36, s[4:5]
	v_cndmask_b32_e64 v51, v51, v56, s[4:5]
	v_lshlrev_b32_e32 v53, 24, v53
	v_lshlrev_b32_e32 v51, 20, v51
	v_and_b32_e32 v53, 0x80000000, v53
	v_lshl_add_u32 v36, v36, 23, v46
	v_or3_b32 v51, v53, v36, v51
.LBB198_39:                             ;   in Loop: Header=BB198_14 Depth=1
	s_or_b64 exec, exec, s[50:51]
.LBB198_40:                             ;   in Loop: Header=BB198_14 Depth=1
	s_or_b64 exec, exec, s[48:49]
.LBB198_41:                             ;   in Loop: Header=BB198_14 Depth=1
	s_or_b64 exec, exec, s[46:47]
	global_load_ubyte v55, v[34:35], off offset:256
	v_mov_b32_e32 v53, 0
	v_mov_b32_e32 v54, 0
	s_waitcnt vmcnt(0)
	v_cmp_ne_u16_e64 s[4:5], 0, v55
	s_and_saveexec_b64 s[46:47], s[4:5]
	s_cbranch_execz .LBB198_47
; %bb.42:                               ;   in Loop: Header=BB198_14 Depth=1
	v_cmp_ne_u16_e64 s[4:5], s60, v55
	v_bfrev_b32_e32 v54, 1
	s_and_saveexec_b64 s[48:49], s[4:5]
	s_cbranch_execz .LBB198_46
; %bb.43:                               ;   in Loop: Header=BB198_14 Depth=1
	v_and_b32_e32 v36, 0xffff, v55
	v_and_b32_e32 v56, 0x7f, v36
	v_cmp_ne_u32_e64 s[4:5], s61, v56
	v_mov_b32_e32 v54, 0x7f800001
	s_and_saveexec_b64 s[50:51], s[4:5]
	s_cbranch_execz .LBB198_45
; %bb.44:                               ;   in Loop: Header=BB198_14 Depth=1
	v_and_b32_e32 v54, 7, v36
	v_ffbh_u32_e32 v58, v54
	v_min_u32_e32 v60, 32, v58
	v_subrev_u32_e32 v58, 28, v60
	v_lshlrev_b64 v[58:59], v58, v[36:37]
	v_lshrrev_b32_e32 v57, 3, v56
	v_sub_u32_e32 v36, 29, v60
	v_and_b32_e32 v58, 7, v58
	v_cmp_gt_u32_e64 s[4:5], 8, v56
	v_cndmask_b32_e64 v36, v57, v36, s[4:5]
	v_cndmask_b32_e64 v54, v54, v58, s[4:5]
	v_lshlrev_b32_e32 v55, 24, v55
	v_lshlrev_b32_e32 v54, 20, v54
	v_and_b32_e32 v55, 0x80000000, v55
	v_lshl_add_u32 v36, v36, 23, v46
	v_or3_b32 v54, v55, v36, v54
.LBB198_45:                             ;   in Loop: Header=BB198_14 Depth=1
	s_or_b64 exec, exec, s[50:51]
.LBB198_46:                             ;   in Loop: Header=BB198_14 Depth=1
	s_or_b64 exec, exec, s[48:49]
.LBB198_47:                             ;   in Loop: Header=BB198_14 Depth=1
	s_or_b64 exec, exec, s[46:47]
	global_load_ubyte v55, v[34:35], off offset:264
	s_waitcnt vmcnt(0)
	v_cmp_ne_u16_e64 s[4:5], 0, v55
	s_and_saveexec_b64 s[46:47], s[4:5]
	s_cbranch_execz .LBB198_53
; %bb.48:                               ;   in Loop: Header=BB198_14 Depth=1
	v_cmp_ne_u16_e64 s[4:5], s60, v55
	v_bfrev_b32_e32 v53, 1
	s_and_saveexec_b64 s[48:49], s[4:5]
	s_cbranch_execz .LBB198_52
; %bb.49:                               ;   in Loop: Header=BB198_14 Depth=1
	v_and_b32_e32 v36, 0xffff, v55
	v_and_b32_e32 v56, 0x7f, v36
	v_cmp_ne_u32_e64 s[4:5], s61, v56
	v_mov_b32_e32 v53, 0x7f800001
	s_and_saveexec_b64 s[50:51], s[4:5]
	s_cbranch_execz .LBB198_51
; %bb.50:                               ;   in Loop: Header=BB198_14 Depth=1
	v_and_b32_e32 v53, 7, v36
	v_ffbh_u32_e32 v58, v53
	v_min_u32_e32 v60, 32, v58
	v_subrev_u32_e32 v58, 28, v60
	v_lshlrev_b64 v[58:59], v58, v[36:37]
	v_lshrrev_b32_e32 v57, 3, v56
	v_sub_u32_e32 v36, 29, v60
	v_and_b32_e32 v58, 7, v58
	v_cmp_gt_u32_e64 s[4:5], 8, v56
	v_cndmask_b32_e64 v36, v57, v36, s[4:5]
	v_cndmask_b32_e64 v53, v53, v58, s[4:5]
	v_lshlrev_b32_e32 v55, 24, v55
	v_lshlrev_b32_e32 v53, 20, v53
	v_and_b32_e32 v55, 0x80000000, v55
	v_lshl_add_u32 v36, v36, 23, v46
	v_or3_b32 v53, v55, v36, v53
.LBB198_51:                             ;   in Loop: Header=BB198_14 Depth=1
	s_or_b64 exec, exec, s[50:51]
.LBB198_52:                             ;   in Loop: Header=BB198_14 Depth=1
	s_or_b64 exec, exec, s[48:49]
.LBB198_53:                             ;   in Loop: Header=BB198_14 Depth=1
	s_or_b64 exec, exec, s[46:47]
	global_load_ubyte v57, v[34:35], off offset:384
	v_mov_b32_e32 v55, 0
	v_mov_b32_e32 v56, 0
	s_waitcnt vmcnt(0)
	v_cmp_ne_u16_e64 s[4:5], 0, v57
	s_and_saveexec_b64 s[46:47], s[4:5]
	s_cbranch_execz .LBB198_59
; %bb.54:                               ;   in Loop: Header=BB198_14 Depth=1
	v_cmp_ne_u16_e64 s[4:5], s60, v57
	v_bfrev_b32_e32 v56, 1
	s_and_saveexec_b64 s[48:49], s[4:5]
	s_cbranch_execz .LBB198_58
; %bb.55:                               ;   in Loop: Header=BB198_14 Depth=1
	v_and_b32_e32 v36, 0xffff, v57
	v_and_b32_e32 v58, 0x7f, v36
	v_cmp_ne_u32_e64 s[4:5], s61, v58
	v_mov_b32_e32 v56, 0x7f800001
	s_and_saveexec_b64 s[50:51], s[4:5]
	s_cbranch_execz .LBB198_57
; %bb.56:                               ;   in Loop: Header=BB198_14 Depth=1
	v_and_b32_e32 v56, 7, v36
	v_ffbh_u32_e32 v60, v56
	v_min_u32_e32 v62, 32, v60
	v_subrev_u32_e32 v60, 28, v62
	v_lshlrev_b64 v[60:61], v60, v[36:37]
	v_lshrrev_b32_e32 v59, 3, v58
	v_sub_u32_e32 v36, 29, v62
	v_and_b32_e32 v60, 7, v60
	v_cmp_gt_u32_e64 s[4:5], 8, v58
	v_cndmask_b32_e64 v36, v59, v36, s[4:5]
	v_cndmask_b32_e64 v56, v56, v60, s[4:5]
	v_lshlrev_b32_e32 v57, 24, v57
	v_lshlrev_b32_e32 v56, 20, v56
	v_and_b32_e32 v57, 0x80000000, v57
	v_lshl_add_u32 v36, v36, 23, v46
	v_or3_b32 v56, v57, v36, v56
.LBB198_57:                             ;   in Loop: Header=BB198_14 Depth=1
	s_or_b64 exec, exec, s[50:51]
.LBB198_58:                             ;   in Loop: Header=BB198_14 Depth=1
	s_or_b64 exec, exec, s[48:49]
.LBB198_59:                             ;   in Loop: Header=BB198_14 Depth=1
	s_or_b64 exec, exec, s[46:47]
	global_load_ubyte v57, v[34:35], off offset:392
	s_waitcnt vmcnt(0)
	v_cmp_ne_u16_e64 s[4:5], 0, v57
	s_and_saveexec_b64 s[46:47], s[4:5]
	s_cbranch_execz .LBB198_65
; %bb.60:                               ;   in Loop: Header=BB198_14 Depth=1
	v_cmp_ne_u16_e64 s[4:5], s60, v57
	v_bfrev_b32_e32 v55, 1
	s_and_saveexec_b64 s[48:49], s[4:5]
	s_cbranch_execz .LBB198_64
; %bb.61:                               ;   in Loop: Header=BB198_14 Depth=1
	v_and_b32_e32 v36, 0xffff, v57
	v_and_b32_e32 v58, 0x7f, v36
	v_cmp_ne_u32_e64 s[4:5], s61, v58
	v_mov_b32_e32 v55, 0x7f800001
	s_and_saveexec_b64 s[50:51], s[4:5]
	s_cbranch_execz .LBB198_63
; %bb.62:                               ;   in Loop: Header=BB198_14 Depth=1
	v_and_b32_e32 v55, 7, v36
	v_ffbh_u32_e32 v60, v55
	v_min_u32_e32 v62, 32, v60
	v_subrev_u32_e32 v60, 28, v62
	v_lshlrev_b64 v[60:61], v60, v[36:37]
	v_lshrrev_b32_e32 v59, 3, v58
	v_sub_u32_e32 v36, 29, v62
	v_and_b32_e32 v60, 7, v60
	v_cmp_gt_u32_e64 s[4:5], 8, v58
	v_cndmask_b32_e64 v36, v59, v36, s[4:5]
	v_cndmask_b32_e64 v55, v55, v60, s[4:5]
	v_lshlrev_b32_e32 v57, 24, v57
	v_lshlrev_b32_e32 v55, 20, v55
	v_and_b32_e32 v57, 0x80000000, v57
	v_lshl_add_u32 v36, v36, 23, v46
	v_or3_b32 v55, v57, v36, v55
.LBB198_63:                             ;   in Loop: Header=BB198_14 Depth=1
	s_or_b64 exec, exec, s[50:51]
.LBB198_64:                             ;   in Loop: Header=BB198_14 Depth=1
	s_or_b64 exec, exec, s[48:49]
.LBB198_65:                             ;   in Loop: Header=BB198_14 Depth=1
	s_or_b64 exec, exec, s[46:47]
	global_load_ubyte v59, v[34:35], off offset:512
	v_mov_b32_e32 v57, 0
	v_mov_b32_e32 v58, 0
	s_waitcnt vmcnt(0)
	v_cmp_ne_u16_e64 s[4:5], 0, v59
	s_and_saveexec_b64 s[46:47], s[4:5]
	s_cbranch_execz .LBB198_71
; %bb.66:                               ;   in Loop: Header=BB198_14 Depth=1
	v_cmp_ne_u16_e64 s[4:5], s60, v59
	v_bfrev_b32_e32 v58, 1
	s_and_saveexec_b64 s[48:49], s[4:5]
	s_cbranch_execz .LBB198_70
; %bb.67:                               ;   in Loop: Header=BB198_14 Depth=1
	v_and_b32_e32 v36, 0xffff, v59
	v_and_b32_e32 v60, 0x7f, v36
	v_cmp_ne_u32_e64 s[4:5], s61, v60
	v_mov_b32_e32 v58, 0x7f800001
	s_and_saveexec_b64 s[50:51], s[4:5]
	s_cbranch_execz .LBB198_69
; %bb.68:                               ;   in Loop: Header=BB198_14 Depth=1
	v_and_b32_e32 v58, 7, v36
	v_ffbh_u32_e32 v62, v58
	v_min_u32_e32 v64, 32, v62
	v_subrev_u32_e32 v62, 28, v64
	v_lshlrev_b64 v[62:63], v62, v[36:37]
	v_lshrrev_b32_e32 v61, 3, v60
	v_sub_u32_e32 v36, 29, v64
	v_and_b32_e32 v62, 7, v62
	v_cmp_gt_u32_e64 s[4:5], 8, v60
	v_cndmask_b32_e64 v36, v61, v36, s[4:5]
	v_cndmask_b32_e64 v58, v58, v62, s[4:5]
	v_lshlrev_b32_e32 v59, 24, v59
	v_lshlrev_b32_e32 v58, 20, v58
	v_and_b32_e32 v59, 0x80000000, v59
	v_lshl_add_u32 v36, v36, 23, v46
	v_or3_b32 v58, v59, v36, v58
.LBB198_69:                             ;   in Loop: Header=BB198_14 Depth=1
	s_or_b64 exec, exec, s[50:51]
.LBB198_70:                             ;   in Loop: Header=BB198_14 Depth=1
	s_or_b64 exec, exec, s[48:49]
.LBB198_71:                             ;   in Loop: Header=BB198_14 Depth=1
	s_or_b64 exec, exec, s[46:47]
	global_load_ubyte v59, v[34:35], off offset:520
	s_waitcnt vmcnt(0)
	v_cmp_ne_u16_e64 s[4:5], 0, v59
	s_and_saveexec_b64 s[46:47], s[4:5]
	s_cbranch_execz .LBB198_77
; %bb.72:                               ;   in Loop: Header=BB198_14 Depth=1
	v_cmp_ne_u16_e64 s[4:5], s60, v59
	v_bfrev_b32_e32 v57, 1
	s_and_saveexec_b64 s[48:49], s[4:5]
	s_cbranch_execz .LBB198_76
; %bb.73:                               ;   in Loop: Header=BB198_14 Depth=1
	v_and_b32_e32 v36, 0xffff, v59
	v_and_b32_e32 v60, 0x7f, v36
	v_cmp_ne_u32_e64 s[4:5], s61, v60
	v_mov_b32_e32 v57, 0x7f800001
	s_and_saveexec_b64 s[50:51], s[4:5]
	s_cbranch_execz .LBB198_75
; %bb.74:                               ;   in Loop: Header=BB198_14 Depth=1
	v_and_b32_e32 v57, 7, v36
	v_ffbh_u32_e32 v62, v57
	v_min_u32_e32 v64, 32, v62
	v_subrev_u32_e32 v62, 28, v64
	v_lshlrev_b64 v[62:63], v62, v[36:37]
	v_lshrrev_b32_e32 v61, 3, v60
	v_sub_u32_e32 v36, 29, v64
	v_and_b32_e32 v62, 7, v62
	v_cmp_gt_u32_e64 s[4:5], 8, v60
	v_cndmask_b32_e64 v36, v61, v36, s[4:5]
	v_cndmask_b32_e64 v57, v57, v62, s[4:5]
	v_lshlrev_b32_e32 v59, 24, v59
	v_lshlrev_b32_e32 v57, 20, v57
	v_and_b32_e32 v59, 0x80000000, v59
	v_lshl_add_u32 v36, v36, 23, v46
	v_or3_b32 v57, v59, v36, v57
.LBB198_75:                             ;   in Loop: Header=BB198_14 Depth=1
	s_or_b64 exec, exec, s[50:51]
.LBB198_76:                             ;   in Loop: Header=BB198_14 Depth=1
	s_or_b64 exec, exec, s[48:49]
.LBB198_77:                             ;   in Loop: Header=BB198_14 Depth=1
	s_or_b64 exec, exec, s[46:47]
	global_load_ubyte v61, v[34:35], off offset:640
	v_mov_b32_e32 v59, 0
	v_mov_b32_e32 v60, 0
	s_waitcnt vmcnt(0)
	v_cmp_ne_u16_e64 s[4:5], 0, v61
	s_and_saveexec_b64 s[46:47], s[4:5]
	s_cbranch_execz .LBB198_83
; %bb.78:                               ;   in Loop: Header=BB198_14 Depth=1
	v_cmp_ne_u16_e64 s[4:5], s60, v61
	v_bfrev_b32_e32 v60, 1
	s_and_saveexec_b64 s[48:49], s[4:5]
	s_cbranch_execz .LBB198_82
; %bb.79:                               ;   in Loop: Header=BB198_14 Depth=1
	v_and_b32_e32 v36, 0xffff, v61
	v_and_b32_e32 v62, 0x7f, v36
	v_cmp_ne_u32_e64 s[4:5], s61, v62
	v_mov_b32_e32 v60, 0x7f800001
	s_and_saveexec_b64 s[50:51], s[4:5]
	s_cbranch_execz .LBB198_81
; %bb.80:                               ;   in Loop: Header=BB198_14 Depth=1
	v_and_b32_e32 v60, 7, v36
	v_ffbh_u32_e32 v64, v60
	v_min_u32_e32 v66, 32, v64
	v_subrev_u32_e32 v64, 28, v66
	v_lshlrev_b64 v[64:65], v64, v[36:37]
	v_lshrrev_b32_e32 v63, 3, v62
	v_sub_u32_e32 v36, 29, v66
	v_and_b32_e32 v64, 7, v64
	v_cmp_gt_u32_e64 s[4:5], 8, v62
	v_cndmask_b32_e64 v36, v63, v36, s[4:5]
	v_cndmask_b32_e64 v60, v60, v64, s[4:5]
	v_lshlrev_b32_e32 v61, 24, v61
	v_lshlrev_b32_e32 v60, 20, v60
	v_and_b32_e32 v61, 0x80000000, v61
	v_lshl_add_u32 v36, v36, 23, v46
	v_or3_b32 v60, v61, v36, v60
.LBB198_81:                             ;   in Loop: Header=BB198_14 Depth=1
	s_or_b64 exec, exec, s[50:51]
.LBB198_82:                             ;   in Loop: Header=BB198_14 Depth=1
	s_or_b64 exec, exec, s[48:49]
.LBB198_83:                             ;   in Loop: Header=BB198_14 Depth=1
	s_or_b64 exec, exec, s[46:47]
	global_load_ubyte v61, v[34:35], off offset:648
	s_waitcnt vmcnt(0)
	v_cmp_ne_u16_e64 s[4:5], 0, v61
	s_and_saveexec_b64 s[46:47], s[4:5]
	s_cbranch_execz .LBB198_89
; %bb.84:                               ;   in Loop: Header=BB198_14 Depth=1
	v_cmp_ne_u16_e64 s[4:5], s60, v61
	v_bfrev_b32_e32 v59, 1
	s_and_saveexec_b64 s[48:49], s[4:5]
	s_cbranch_execz .LBB198_88
; %bb.85:                               ;   in Loop: Header=BB198_14 Depth=1
	v_and_b32_e32 v36, 0xffff, v61
	v_and_b32_e32 v62, 0x7f, v36
	v_cmp_ne_u32_e64 s[4:5], s61, v62
	v_mov_b32_e32 v59, 0x7f800001
	s_and_saveexec_b64 s[50:51], s[4:5]
	s_cbranch_execz .LBB198_87
; %bb.86:                               ;   in Loop: Header=BB198_14 Depth=1
	v_and_b32_e32 v59, 7, v36
	v_ffbh_u32_e32 v64, v59
	v_min_u32_e32 v66, 32, v64
	v_subrev_u32_e32 v64, 28, v66
	v_lshlrev_b64 v[64:65], v64, v[36:37]
	v_lshrrev_b32_e32 v63, 3, v62
	v_sub_u32_e32 v36, 29, v66
	v_and_b32_e32 v64, 7, v64
	v_cmp_gt_u32_e64 s[4:5], 8, v62
	v_cndmask_b32_e64 v36, v63, v36, s[4:5]
	v_cndmask_b32_e64 v59, v59, v64, s[4:5]
	v_lshlrev_b32_e32 v61, 24, v61
	v_lshlrev_b32_e32 v59, 20, v59
	v_and_b32_e32 v61, 0x80000000, v61
	v_lshl_add_u32 v36, v36, 23, v46
	v_or3_b32 v59, v61, v36, v59
.LBB198_87:                             ;   in Loop: Header=BB198_14 Depth=1
	s_or_b64 exec, exec, s[50:51]
.LBB198_88:                             ;   in Loop: Header=BB198_14 Depth=1
	s_or_b64 exec, exec, s[48:49]
.LBB198_89:                             ;   in Loop: Header=BB198_14 Depth=1
	s_or_b64 exec, exec, s[46:47]
	global_load_ubyte v63, v[34:35], off offset:768
	v_mov_b32_e32 v61, 0
	v_mov_b32_e32 v62, 0
	s_waitcnt vmcnt(0)
	v_cmp_ne_u16_e64 s[4:5], 0, v63
	s_and_saveexec_b64 s[46:47], s[4:5]
	s_cbranch_execz .LBB198_95
; %bb.90:                               ;   in Loop: Header=BB198_14 Depth=1
	v_cmp_ne_u16_e64 s[4:5], s60, v63
	v_bfrev_b32_e32 v62, 1
	s_and_saveexec_b64 s[48:49], s[4:5]
	s_cbranch_execz .LBB198_94
; %bb.91:                               ;   in Loop: Header=BB198_14 Depth=1
	v_and_b32_e32 v36, 0xffff, v63
	v_and_b32_e32 v64, 0x7f, v36
	v_cmp_ne_u32_e64 s[4:5], s61, v64
	v_mov_b32_e32 v62, 0x7f800001
	s_and_saveexec_b64 s[50:51], s[4:5]
	s_cbranch_execz .LBB198_93
; %bb.92:                               ;   in Loop: Header=BB198_14 Depth=1
	v_and_b32_e32 v62, 7, v36
	v_ffbh_u32_e32 v66, v62
	v_min_u32_e32 v68, 32, v66
	v_subrev_u32_e32 v66, 28, v68
	v_lshlrev_b64 v[66:67], v66, v[36:37]
	v_lshrrev_b32_e32 v65, 3, v64
	v_sub_u32_e32 v36, 29, v68
	v_and_b32_e32 v66, 7, v66
	v_cmp_gt_u32_e64 s[4:5], 8, v64
	v_cndmask_b32_e64 v36, v65, v36, s[4:5]
	v_cndmask_b32_e64 v62, v62, v66, s[4:5]
	v_lshlrev_b32_e32 v63, 24, v63
	v_lshlrev_b32_e32 v62, 20, v62
	v_and_b32_e32 v63, 0x80000000, v63
	v_lshl_add_u32 v36, v36, 23, v46
	v_or3_b32 v62, v63, v36, v62
.LBB198_93:                             ;   in Loop: Header=BB198_14 Depth=1
	s_or_b64 exec, exec, s[50:51]
.LBB198_94:                             ;   in Loop: Header=BB198_14 Depth=1
	s_or_b64 exec, exec, s[48:49]
.LBB198_95:                             ;   in Loop: Header=BB198_14 Depth=1
	s_or_b64 exec, exec, s[46:47]
	global_load_ubyte v63, v[34:35], off offset:776
	s_waitcnt vmcnt(0)
	v_cmp_ne_u16_e64 s[4:5], 0, v63
	s_and_saveexec_b64 s[46:47], s[4:5]
	s_cbranch_execz .LBB198_101
; %bb.96:                               ;   in Loop: Header=BB198_14 Depth=1
	v_cmp_ne_u16_e64 s[4:5], s60, v63
	v_bfrev_b32_e32 v61, 1
	s_and_saveexec_b64 s[48:49], s[4:5]
	s_cbranch_execz .LBB198_100
; %bb.97:                               ;   in Loop: Header=BB198_14 Depth=1
	v_and_b32_e32 v36, 0xffff, v63
	v_and_b32_e32 v64, 0x7f, v36
	v_cmp_ne_u32_e64 s[4:5], s61, v64
	v_mov_b32_e32 v61, 0x7f800001
	s_and_saveexec_b64 s[50:51], s[4:5]
	s_cbranch_execz .LBB198_99
; %bb.98:                               ;   in Loop: Header=BB198_14 Depth=1
	v_and_b32_e32 v61, 7, v36
	v_ffbh_u32_e32 v66, v61
	v_min_u32_e32 v68, 32, v66
	v_subrev_u32_e32 v66, 28, v68
	v_lshlrev_b64 v[66:67], v66, v[36:37]
	v_lshrrev_b32_e32 v65, 3, v64
	v_sub_u32_e32 v36, 29, v68
	v_and_b32_e32 v66, 7, v66
	v_cmp_gt_u32_e64 s[4:5], 8, v64
	v_cndmask_b32_e64 v36, v65, v36, s[4:5]
	v_cndmask_b32_e64 v61, v61, v66, s[4:5]
	v_lshlrev_b32_e32 v63, 24, v63
	v_lshlrev_b32_e32 v61, 20, v61
	v_and_b32_e32 v63, 0x80000000, v63
	v_lshl_add_u32 v36, v36, 23, v46
	v_or3_b32 v61, v63, v36, v61
.LBB198_99:                             ;   in Loop: Header=BB198_14 Depth=1
	s_or_b64 exec, exec, s[50:51]
.LBB198_100:                            ;   in Loop: Header=BB198_14 Depth=1
	s_or_b64 exec, exec, s[48:49]
.LBB198_101:                            ;   in Loop: Header=BB198_14 Depth=1
	s_or_b64 exec, exec, s[46:47]
	global_load_ubyte v65, v[34:35], off offset:896
	v_mov_b32_e32 v63, 0
	v_mov_b32_e32 v64, 0
	s_waitcnt vmcnt(0)
	v_cmp_ne_u16_e64 s[4:5], 0, v65
	s_and_saveexec_b64 s[46:47], s[4:5]
	s_cbranch_execz .LBB198_107
; %bb.102:                              ;   in Loop: Header=BB198_14 Depth=1
	v_cmp_ne_u16_e64 s[4:5], s60, v65
	v_bfrev_b32_e32 v64, 1
	s_and_saveexec_b64 s[48:49], s[4:5]
	s_cbranch_execz .LBB198_106
; %bb.103:                              ;   in Loop: Header=BB198_14 Depth=1
	v_and_b32_e32 v36, 0xffff, v65
	v_and_b32_e32 v66, 0x7f, v36
	v_cmp_ne_u32_e64 s[4:5], s61, v66
	v_mov_b32_e32 v64, 0x7f800001
	s_and_saveexec_b64 s[50:51], s[4:5]
	s_cbranch_execz .LBB198_105
; %bb.104:                              ;   in Loop: Header=BB198_14 Depth=1
	v_and_b32_e32 v64, 7, v36
	v_ffbh_u32_e32 v68, v64
	v_min_u32_e32 v70, 32, v68
	v_subrev_u32_e32 v68, 28, v70
	v_lshlrev_b64 v[68:69], v68, v[36:37]
	v_lshrrev_b32_e32 v67, 3, v66
	v_sub_u32_e32 v36, 29, v70
	v_and_b32_e32 v68, 7, v68
	v_cmp_gt_u32_e64 s[4:5], 8, v66
	v_cndmask_b32_e64 v36, v67, v36, s[4:5]
	v_cndmask_b32_e64 v64, v64, v68, s[4:5]
	v_lshlrev_b32_e32 v65, 24, v65
	v_lshlrev_b32_e32 v64, 20, v64
	v_and_b32_e32 v65, 0x80000000, v65
	v_lshl_add_u32 v36, v36, 23, v46
	v_or3_b32 v64, v65, v36, v64
.LBB198_105:                            ;   in Loop: Header=BB198_14 Depth=1
	s_or_b64 exec, exec, s[50:51]
.LBB198_106:                            ;   in Loop: Header=BB198_14 Depth=1
	s_or_b64 exec, exec, s[48:49]
.LBB198_107:                            ;   in Loop: Header=BB198_14 Depth=1
	s_or_b64 exec, exec, s[46:47]
	global_load_ubyte v65, v[34:35], off offset:904
	s_waitcnt vmcnt(0)
	v_cmp_ne_u16_e64 s[4:5], 0, v65
	s_and_saveexec_b64 s[46:47], s[4:5]
	s_cbranch_execz .LBB198_113
; %bb.108:                              ;   in Loop: Header=BB198_14 Depth=1
	v_cmp_ne_u16_e64 s[4:5], s60, v65
	v_bfrev_b32_e32 v63, 1
	s_and_saveexec_b64 s[48:49], s[4:5]
	s_cbranch_execz .LBB198_112
; %bb.109:                              ;   in Loop: Header=BB198_14 Depth=1
	v_and_b32_e32 v36, 0xffff, v65
	v_and_b32_e32 v66, 0x7f, v36
	v_cmp_ne_u32_e64 s[4:5], s61, v66
	v_mov_b32_e32 v63, 0x7f800001
	s_and_saveexec_b64 s[50:51], s[4:5]
	s_cbranch_execz .LBB198_111
; %bb.110:                              ;   in Loop: Header=BB198_14 Depth=1
	v_and_b32_e32 v63, 7, v36
	v_ffbh_u32_e32 v68, v63
	v_min_u32_e32 v70, 32, v68
	v_subrev_u32_e32 v68, 28, v70
	v_lshlrev_b64 v[68:69], v68, v[36:37]
	v_lshrrev_b32_e32 v67, 3, v66
	v_sub_u32_e32 v36, 29, v70
	v_and_b32_e32 v68, 7, v68
	v_cmp_gt_u32_e64 s[4:5], 8, v66
	v_cndmask_b32_e64 v36, v67, v36, s[4:5]
	v_cndmask_b32_e64 v63, v63, v68, s[4:5]
	v_lshlrev_b32_e32 v65, 24, v65
	v_lshlrev_b32_e32 v63, 20, v63
	v_and_b32_e32 v65, 0x80000000, v65
	v_lshl_add_u32 v36, v36, 23, v46
	v_or3_b32 v63, v65, v36, v63
.LBB198_111:                            ;   in Loop: Header=BB198_14 Depth=1
	s_or_b64 exec, exec, s[50:51]
.LBB198_112:                            ;   in Loop: Header=BB198_14 Depth=1
	s_or_b64 exec, exec, s[48:49]
.LBB198_113:                            ;   in Loop: Header=BB198_14 Depth=1
	s_or_b64 exec, exec, s[46:47]
	global_load_ubyte v67, v[34:35], off offset:1024
	v_mov_b32_e32 v65, 0
	v_mov_b32_e32 v66, 0
	s_waitcnt vmcnt(0)
	v_cmp_ne_u16_e64 s[4:5], 0, v67
	s_and_saveexec_b64 s[46:47], s[4:5]
	s_cbranch_execz .LBB198_119
; %bb.114:                              ;   in Loop: Header=BB198_14 Depth=1
	v_cmp_ne_u16_e64 s[4:5], s60, v67
	v_bfrev_b32_e32 v66, 1
	s_and_saveexec_b64 s[48:49], s[4:5]
	s_cbranch_execz .LBB198_118
; %bb.115:                              ;   in Loop: Header=BB198_14 Depth=1
	v_and_b32_e32 v36, 0xffff, v67
	v_and_b32_e32 v68, 0x7f, v36
	v_cmp_ne_u32_e64 s[4:5], s61, v68
	v_mov_b32_e32 v66, 0x7f800001
	s_and_saveexec_b64 s[50:51], s[4:5]
	s_cbranch_execz .LBB198_117
; %bb.116:                              ;   in Loop: Header=BB198_14 Depth=1
	v_and_b32_e32 v66, 7, v36
	v_ffbh_u32_e32 v70, v66
	v_min_u32_e32 v72, 32, v70
	v_subrev_u32_e32 v70, 28, v72
	v_lshlrev_b64 v[70:71], v70, v[36:37]
	v_lshrrev_b32_e32 v69, 3, v68
	v_sub_u32_e32 v36, 29, v72
	v_and_b32_e32 v70, 7, v70
	v_cmp_gt_u32_e64 s[4:5], 8, v68
	v_cndmask_b32_e64 v36, v69, v36, s[4:5]
	v_cndmask_b32_e64 v66, v66, v70, s[4:5]
	v_lshlrev_b32_e32 v67, 24, v67
	v_lshlrev_b32_e32 v66, 20, v66
	v_and_b32_e32 v67, 0x80000000, v67
	v_lshl_add_u32 v36, v36, 23, v46
	v_or3_b32 v66, v67, v36, v66
.LBB198_117:                            ;   in Loop: Header=BB198_14 Depth=1
	s_or_b64 exec, exec, s[50:51]
.LBB198_118:                            ;   in Loop: Header=BB198_14 Depth=1
	s_or_b64 exec, exec, s[48:49]
.LBB198_119:                            ;   in Loop: Header=BB198_14 Depth=1
	s_or_b64 exec, exec, s[46:47]
	global_load_ubyte v67, v[34:35], off offset:1032
	s_waitcnt vmcnt(0)
	v_cmp_ne_u16_e64 s[4:5], 0, v67
	s_and_saveexec_b64 s[46:47], s[4:5]
	s_cbranch_execz .LBB198_125
; %bb.120:                              ;   in Loop: Header=BB198_14 Depth=1
	v_cmp_ne_u16_e64 s[4:5], s60, v67
	v_bfrev_b32_e32 v65, 1
	s_and_saveexec_b64 s[48:49], s[4:5]
	s_cbranch_execz .LBB198_124
; %bb.121:                              ;   in Loop: Header=BB198_14 Depth=1
	v_and_b32_e32 v36, 0xffff, v67
	v_and_b32_e32 v68, 0x7f, v36
	v_cmp_ne_u32_e64 s[4:5], s61, v68
	v_mov_b32_e32 v65, 0x7f800001
	s_and_saveexec_b64 s[50:51], s[4:5]
	s_cbranch_execz .LBB198_123
; %bb.122:                              ;   in Loop: Header=BB198_14 Depth=1
	v_and_b32_e32 v65, 7, v36
	v_ffbh_u32_e32 v70, v65
	v_min_u32_e32 v72, 32, v70
	v_subrev_u32_e32 v70, 28, v72
	v_lshlrev_b64 v[70:71], v70, v[36:37]
	v_lshrrev_b32_e32 v69, 3, v68
	v_sub_u32_e32 v36, 29, v72
	v_and_b32_e32 v70, 7, v70
	v_cmp_gt_u32_e64 s[4:5], 8, v68
	v_cndmask_b32_e64 v36, v69, v36, s[4:5]
	v_cndmask_b32_e64 v65, v65, v70, s[4:5]
	v_lshlrev_b32_e32 v67, 24, v67
	v_lshlrev_b32_e32 v65, 20, v65
	v_and_b32_e32 v67, 0x80000000, v67
	v_lshl_add_u32 v36, v36, 23, v46
	v_or3_b32 v65, v67, v36, v65
.LBB198_123:                            ;   in Loop: Header=BB198_14 Depth=1
	s_or_b64 exec, exec, s[50:51]
.LBB198_124:                            ;   in Loop: Header=BB198_14 Depth=1
	s_or_b64 exec, exec, s[48:49]
.LBB198_125:                            ;   in Loop: Header=BB198_14 Depth=1
	s_or_b64 exec, exec, s[46:47]
	global_load_ubyte v69, v[34:35], off offset:1152
	v_mov_b32_e32 v67, 0
	v_mov_b32_e32 v68, 0
	s_waitcnt vmcnt(0)
	v_cmp_ne_u16_e64 s[4:5], 0, v69
	s_and_saveexec_b64 s[46:47], s[4:5]
	s_cbranch_execz .LBB198_131
; %bb.126:                              ;   in Loop: Header=BB198_14 Depth=1
	v_cmp_ne_u16_e64 s[4:5], s60, v69
	v_bfrev_b32_e32 v68, 1
	s_and_saveexec_b64 s[48:49], s[4:5]
	s_cbranch_execz .LBB198_130
; %bb.127:                              ;   in Loop: Header=BB198_14 Depth=1
	v_and_b32_e32 v36, 0xffff, v69
	v_and_b32_e32 v70, 0x7f, v36
	v_cmp_ne_u32_e64 s[4:5], s61, v70
	v_mov_b32_e32 v68, 0x7f800001
	s_and_saveexec_b64 s[50:51], s[4:5]
	s_cbranch_execz .LBB198_129
; %bb.128:                              ;   in Loop: Header=BB198_14 Depth=1
	v_and_b32_e32 v68, 7, v36
	v_ffbh_u32_e32 v72, v68
	v_min_u32_e32 v74, 32, v72
	v_subrev_u32_e32 v72, 28, v74
	v_lshlrev_b64 v[72:73], v72, v[36:37]
	v_lshrrev_b32_e32 v71, 3, v70
	v_sub_u32_e32 v36, 29, v74
	v_and_b32_e32 v72, 7, v72
	v_cmp_gt_u32_e64 s[4:5], 8, v70
	v_cndmask_b32_e64 v36, v71, v36, s[4:5]
	v_cndmask_b32_e64 v68, v68, v72, s[4:5]
	v_lshlrev_b32_e32 v69, 24, v69
	v_lshlrev_b32_e32 v68, 20, v68
	v_and_b32_e32 v69, 0x80000000, v69
	v_lshl_add_u32 v36, v36, 23, v46
	v_or3_b32 v68, v69, v36, v68
.LBB198_129:                            ;   in Loop: Header=BB198_14 Depth=1
	s_or_b64 exec, exec, s[50:51]
.LBB198_130:                            ;   in Loop: Header=BB198_14 Depth=1
	s_or_b64 exec, exec, s[48:49]
.LBB198_131:                            ;   in Loop: Header=BB198_14 Depth=1
	s_or_b64 exec, exec, s[46:47]
	global_load_ubyte v69, v[34:35], off offset:1160
	s_waitcnt vmcnt(0)
	v_cmp_ne_u16_e64 s[4:5], 0, v69
	s_and_saveexec_b64 s[46:47], s[4:5]
	s_cbranch_execz .LBB198_137
; %bb.132:                              ;   in Loop: Header=BB198_14 Depth=1
	v_cmp_ne_u16_e64 s[4:5], s60, v69
	v_bfrev_b32_e32 v67, 1
	s_and_saveexec_b64 s[48:49], s[4:5]
	s_cbranch_execz .LBB198_136
; %bb.133:                              ;   in Loop: Header=BB198_14 Depth=1
	v_and_b32_e32 v36, 0xffff, v69
	v_and_b32_e32 v70, 0x7f, v36
	v_cmp_ne_u32_e64 s[4:5], s61, v70
	v_mov_b32_e32 v67, 0x7f800001
	s_and_saveexec_b64 s[50:51], s[4:5]
	s_cbranch_execz .LBB198_135
; %bb.134:                              ;   in Loop: Header=BB198_14 Depth=1
	v_and_b32_e32 v67, 7, v36
	v_ffbh_u32_e32 v72, v67
	v_min_u32_e32 v74, 32, v72
	v_subrev_u32_e32 v72, 28, v74
	v_lshlrev_b64 v[72:73], v72, v[36:37]
	v_lshrrev_b32_e32 v71, 3, v70
	v_sub_u32_e32 v36, 29, v74
	v_and_b32_e32 v72, 7, v72
	v_cmp_gt_u32_e64 s[4:5], 8, v70
	v_cndmask_b32_e64 v36, v71, v36, s[4:5]
	v_cndmask_b32_e64 v67, v67, v72, s[4:5]
	v_lshlrev_b32_e32 v69, 24, v69
	v_lshlrev_b32_e32 v67, 20, v67
	v_and_b32_e32 v69, 0x80000000, v69
	v_lshl_add_u32 v36, v36, 23, v46
	v_or3_b32 v67, v69, v36, v67
.LBB198_135:                            ;   in Loop: Header=BB198_14 Depth=1
	s_or_b64 exec, exec, s[50:51]
.LBB198_136:                            ;   in Loop: Header=BB198_14 Depth=1
	s_or_b64 exec, exec, s[48:49]
.LBB198_137:                            ;   in Loop: Header=BB198_14 Depth=1
	s_or_b64 exec, exec, s[46:47]
	global_load_ubyte v71, v[34:35], off offset:1280
	v_mov_b32_e32 v69, 0
	v_mov_b32_e32 v70, 0
	s_waitcnt vmcnt(0)
	v_cmp_ne_u16_e64 s[4:5], 0, v71
	s_and_saveexec_b64 s[46:47], s[4:5]
	s_cbranch_execz .LBB198_143
; %bb.138:                              ;   in Loop: Header=BB198_14 Depth=1
	v_cmp_ne_u16_e64 s[4:5], s60, v71
	v_bfrev_b32_e32 v70, 1
	s_and_saveexec_b64 s[48:49], s[4:5]
	s_cbranch_execz .LBB198_142
; %bb.139:                              ;   in Loop: Header=BB198_14 Depth=1
	v_and_b32_e32 v36, 0xffff, v71
	v_and_b32_e32 v72, 0x7f, v36
	v_cmp_ne_u32_e64 s[4:5], s61, v72
	v_mov_b32_e32 v70, 0x7f800001
	s_and_saveexec_b64 s[50:51], s[4:5]
	s_cbranch_execz .LBB198_141
; %bb.140:                              ;   in Loop: Header=BB198_14 Depth=1
	v_and_b32_e32 v70, 7, v36
	v_ffbh_u32_e32 v74, v70
	v_min_u32_e32 v76, 32, v74
	v_subrev_u32_e32 v74, 28, v76
	v_lshlrev_b64 v[74:75], v74, v[36:37]
	v_lshrrev_b32_e32 v73, 3, v72
	v_sub_u32_e32 v36, 29, v76
	v_and_b32_e32 v74, 7, v74
	v_cmp_gt_u32_e64 s[4:5], 8, v72
	v_cndmask_b32_e64 v36, v73, v36, s[4:5]
	v_cndmask_b32_e64 v70, v70, v74, s[4:5]
	v_lshlrev_b32_e32 v71, 24, v71
	v_lshlrev_b32_e32 v70, 20, v70
	v_and_b32_e32 v71, 0x80000000, v71
	v_lshl_add_u32 v36, v36, 23, v46
	v_or3_b32 v70, v71, v36, v70
.LBB198_141:                            ;   in Loop: Header=BB198_14 Depth=1
	s_or_b64 exec, exec, s[50:51]
.LBB198_142:                            ;   in Loop: Header=BB198_14 Depth=1
	s_or_b64 exec, exec, s[48:49]
.LBB198_143:                            ;   in Loop: Header=BB198_14 Depth=1
	s_or_b64 exec, exec, s[46:47]
	global_load_ubyte v71, v[34:35], off offset:1288
	s_waitcnt vmcnt(0)
	v_cmp_ne_u16_e64 s[4:5], 0, v71
	s_and_saveexec_b64 s[46:47], s[4:5]
	s_cbranch_execz .LBB198_149
; %bb.144:                              ;   in Loop: Header=BB198_14 Depth=1
	v_cmp_ne_u16_e64 s[4:5], s60, v71
	v_bfrev_b32_e32 v69, 1
	s_and_saveexec_b64 s[48:49], s[4:5]
	s_cbranch_execz .LBB198_148
; %bb.145:                              ;   in Loop: Header=BB198_14 Depth=1
	v_and_b32_e32 v36, 0xffff, v71
	v_and_b32_e32 v72, 0x7f, v36
	v_cmp_ne_u32_e64 s[4:5], s61, v72
	v_mov_b32_e32 v69, 0x7f800001
	s_and_saveexec_b64 s[50:51], s[4:5]
	s_cbranch_execz .LBB198_147
; %bb.146:                              ;   in Loop: Header=BB198_14 Depth=1
	v_and_b32_e32 v69, 7, v36
	v_ffbh_u32_e32 v74, v69
	v_min_u32_e32 v76, 32, v74
	v_subrev_u32_e32 v74, 28, v76
	v_lshlrev_b64 v[74:75], v74, v[36:37]
	v_lshrrev_b32_e32 v73, 3, v72
	v_sub_u32_e32 v36, 29, v76
	v_and_b32_e32 v74, 7, v74
	v_cmp_gt_u32_e64 s[4:5], 8, v72
	v_cndmask_b32_e64 v36, v73, v36, s[4:5]
	v_cndmask_b32_e64 v69, v69, v74, s[4:5]
	v_lshlrev_b32_e32 v71, 24, v71
	v_lshlrev_b32_e32 v69, 20, v69
	v_and_b32_e32 v71, 0x80000000, v71
	v_lshl_add_u32 v36, v36, 23, v46
	v_or3_b32 v69, v71, v36, v69
.LBB198_147:                            ;   in Loop: Header=BB198_14 Depth=1
	s_or_b64 exec, exec, s[50:51]
.LBB198_148:                            ;   in Loop: Header=BB198_14 Depth=1
	s_or_b64 exec, exec, s[48:49]
.LBB198_149:                            ;   in Loop: Header=BB198_14 Depth=1
	s_or_b64 exec, exec, s[46:47]
	global_load_ubyte v73, v[34:35], off offset:1408
	v_mov_b32_e32 v71, 0
	v_mov_b32_e32 v72, 0
	s_waitcnt vmcnt(0)
	v_cmp_ne_u16_e64 s[4:5], 0, v73
	s_and_saveexec_b64 s[46:47], s[4:5]
	s_cbranch_execz .LBB198_155
; %bb.150:                              ;   in Loop: Header=BB198_14 Depth=1
	v_cmp_ne_u16_e64 s[4:5], s60, v73
	v_bfrev_b32_e32 v72, 1
	s_and_saveexec_b64 s[48:49], s[4:5]
	s_cbranch_execz .LBB198_154
; %bb.151:                              ;   in Loop: Header=BB198_14 Depth=1
	v_and_b32_e32 v36, 0xffff, v73
	v_and_b32_e32 v74, 0x7f, v36
	v_cmp_ne_u32_e64 s[4:5], s61, v74
	v_mov_b32_e32 v72, 0x7f800001
	s_and_saveexec_b64 s[50:51], s[4:5]
	s_cbranch_execz .LBB198_153
; %bb.152:                              ;   in Loop: Header=BB198_14 Depth=1
	v_and_b32_e32 v72, 7, v36
	v_ffbh_u32_e32 v76, v72
	v_min_u32_e32 v78, 32, v76
	v_subrev_u32_e32 v76, 28, v78
	v_lshlrev_b64 v[76:77], v76, v[36:37]
	v_lshrrev_b32_e32 v75, 3, v74
	v_sub_u32_e32 v36, 29, v78
	v_and_b32_e32 v76, 7, v76
	v_cmp_gt_u32_e64 s[4:5], 8, v74
	v_cndmask_b32_e64 v36, v75, v36, s[4:5]
	v_cndmask_b32_e64 v72, v72, v76, s[4:5]
	v_lshlrev_b32_e32 v73, 24, v73
	v_lshlrev_b32_e32 v72, 20, v72
	v_and_b32_e32 v73, 0x80000000, v73
	v_lshl_add_u32 v36, v36, 23, v46
	v_or3_b32 v72, v73, v36, v72
.LBB198_153:                            ;   in Loop: Header=BB198_14 Depth=1
	s_or_b64 exec, exec, s[50:51]
.LBB198_154:                            ;   in Loop: Header=BB198_14 Depth=1
	s_or_b64 exec, exec, s[48:49]
.LBB198_155:                            ;   in Loop: Header=BB198_14 Depth=1
	s_or_b64 exec, exec, s[46:47]
	global_load_ubyte v35, v[34:35], off offset:1416
	s_waitcnt vmcnt(0)
	v_cmp_ne_u16_e64 s[4:5], 0, v35
	s_and_saveexec_b64 s[46:47], s[4:5]
	s_cbranch_execz .LBB198_161
; %bb.156:                              ;   in Loop: Header=BB198_14 Depth=1
	v_cmp_ne_u16_e64 s[4:5], s60, v35
	v_bfrev_b32_e32 v71, 1
	s_and_saveexec_b64 s[48:49], s[4:5]
	s_cbranch_execz .LBB198_160
; %bb.157:                              ;   in Loop: Header=BB198_14 Depth=1
	v_and_b32_e32 v34, 0xffff, v35
	v_and_b32_e32 v36, 0x7f, v34
	v_cmp_ne_u32_e64 s[4:5], s61, v36
	v_mov_b32_e32 v71, 0x7f800001
	s_and_saveexec_b64 s[50:51], s[4:5]
	s_cbranch_execz .LBB198_159
; %bb.158:                              ;   in Loop: Header=BB198_14 Depth=1
	v_and_b32_e32 v71, 7, v34
	v_ffbh_u32_e32 v74, v71
	v_min_u32_e32 v76, 32, v74
	v_subrev_u32_e32 v74, 28, v76
	v_lshlrev_b64 v[74:75], v74, v[34:35]
	v_lshrrev_b32_e32 v73, 3, v36
	v_sub_u32_e32 v34, 29, v76
	v_and_b32_e32 v74, 7, v74
	v_cmp_gt_u32_e64 s[4:5], 8, v36
	v_cndmask_b32_e64 v34, v73, v34, s[4:5]
	v_cndmask_b32_e64 v36, v71, v74, s[4:5]
	v_lshlrev_b32_e32 v35, 24, v35
	v_lshlrev_b32_e32 v36, 20, v36
	v_and_b32_e32 v35, 0x80000000, v35
	v_lshl_add_u32 v34, v34, 23, v46
	v_or3_b32 v71, v35, v34, v36
.LBB198_159:                            ;   in Loop: Header=BB198_14 Depth=1
	s_or_b64 exec, exec, s[50:51]
.LBB198_160:                            ;   in Loop: Header=BB198_14 Depth=1
	s_or_b64 exec, exec, s[48:49]
.LBB198_161:                            ;   in Loop: Header=BB198_14 Depth=1
	s_or_b64 exec, exec, s[46:47]
	s_waitcnt lgkmcnt(0)
	v_mul_f32_e32 v49, s62, v49
	v_mul_f32_e32 v50, s62, v50
	;; [unrolled: 1-line block ×4, first 2 shown]
	v_fmac_f32_e32 v23, v22, v50
	v_mul_f32_e32 v51, s62, v51
	v_fmac_f32_e32 v23, v24, v52
	v_mul_f32_e32 v54, s62, v54
	v_fmac_f32_e32 v23, v25, v51
	v_mul_f32_e32 v53, s62, v53
	v_fmac_f32_e32 v23, v18, v54
	v_mul_f32_e32 v56, s62, v56
	v_fmac_f32_e32 v23, v19, v53
	v_mul_f32_e32 v55, s62, v55
	v_fmac_f32_e32 v23, v20, v56
	v_mul_f32_e32 v58, s62, v58
	v_fmac_f32_e32 v23, v21, v55
	v_mul_f32_e32 v57, s62, v57
	v_fmac_f32_e32 v23, v14, v58
	v_mul_f32_e32 v60, s62, v60
	v_fmac_f32_e32 v23, v15, v57
	v_mul_f32_e32 v59, s62, v59
	v_fmac_f32_e32 v23, v16, v60
	v_mul_f32_e32 v62, s62, v62
	v_fmac_f32_e32 v23, v17, v59
	v_mul_f32_e32 v61, s62, v61
	v_fmac_f32_e32 v23, v10, v62
	v_mul_f32_e32 v64, s62, v64
	v_fmac_f32_e32 v23, v11, v61
	v_mul_f32_e32 v63, s62, v63
	v_fmac_f32_e32 v23, v12, v64
	v_mul_f32_e32 v66, s62, v66
	v_fmac_f32_e32 v23, v13, v63
	v_mul_f32_e32 v65, s62, v65
	v_fmac_f32_e32 v23, v6, v66
	v_mul_f32_e32 v68, s62, v68
	v_fmac_f32_e32 v23, v7, v65
	v_mul_f32_e32 v67, s62, v67
	v_fmac_f32_e32 v23, v8, v68
	v_mul_f32_e32 v35, s62, v69
	v_mul_f32_e32 v36, s62, v70
	v_and_b32_e32 v69, 64, v47
	v_fmac_f32_e32 v23, v9, v67
	v_add_u32_e32 v69, 64, v69
	v_xor_b32_e32 v70, 4, v47
	v_fmac_f32_e32 v23, v2, v36
	v_mul_f32_e32 v34, s62, v72
	v_cmp_lt_i32_e64 s[4:5], v70, v69
	v_fmac_f32_e32 v23, v3, v35
	v_cndmask_b32_e64 v70, v47, v70, s[4:5]
	v_mul_f32_e32 v71, s62, v71
	v_fmac_f32_e32 v23, v4, v34
	v_lshlrev_b32_e32 v70, 2, v70
	v_fmac_f32_e32 v23, v5, v71
	ds_bpermute_b32 v2, v70, v23
	v_xor_b32_e32 v3, 2, v47
	v_cmp_lt_i32_e64 s[4:5], v3, v69
	v_cndmask_b32_e64 v3, v47, v3, s[4:5]
	v_lshlrev_b32_e32 v3, 2, v3
	s_waitcnt lgkmcnt(0)
	v_add_f32_e32 v2, v23, v2
	ds_bpermute_b32 v3, v3, v2
	v_xor_b32_e32 v4, 1, v47
	v_cmp_lt_i32_e64 s[4:5], v4, v69
	v_cndmask_b32_e64 v4, v47, v4, s[4:5]
	v_lshlrev_b32_e32 v4, 2, v4
	s_waitcnt lgkmcnt(0)
	v_add_f32_e32 v2, v2, v3
	ds_bpermute_b32 v3, v4, v2
	s_and_saveexec_b64 s[46:47], vcc
	s_cbranch_execz .LBB198_12
; %bb.162:                              ;   in Loop: Header=BB198_14 Depth=1
	v_add_u32_e32 v4, v44, v42
	v_cvt_f32_i32_e32 v4, v4
	s_waitcnt lgkmcnt(0)
	v_add_f32_e32 v2, v2, v3
	v_add_u32_e32 v5, v38, v42
	v_cmp_gt_i32_e64 s[4:5], s41, v5
	v_mul_f32_e32 v3, s56, v4
	v_cndmask_b32_e64 v3, 0, v3, s[2:3]
	v_fmac_f32_e32 v3, s45, v2
	v_cndmask_b32_e64 v2, 0, v3, s[4:5]
	ds_write_b32 v43, v2
	v_max_f32_e32 v2, v40, v40
	v_max_f32_e32 v2, v2, v3
	v_cndmask_b32_e64 v40, v40, v2, s[4:5]
	s_branch .LBB198_12
.LBB198_163:
	s_or_b64 exec, exec, s[20:21]
.LBB198_164:
	s_or_b64 exec, exec, s[14:15]
	v_mbcnt_hi_u32_b32 v2, -1, v37
	s_waitcnt lgkmcnt(0)
	v_and_b32_e32 v3, 64, v2
	v_add_u32_e32 v3, 64, v3
	v_xor_b32_e32 v4, 32, v2
	v_cmp_lt_i32_e32 vcc, v4, v3
	v_cndmask_b32_e32 v4, v2, v4, vcc
	v_lshlrev_b32_e32 v6, 2, v4
	ds_bpermute_b32 v4, v6, v40
	v_xor_b32_e32 v7, 16, v2
	v_max_f32_e32 v5, v40, v40
	v_cmp_lt_i32_e32 vcc, v7, v3
	v_and_b32_e32 v50, 63, v0
	s_waitcnt lgkmcnt(0)
	v_max_f32_e32 v4, v4, v4
	v_max_f32_e32 v4, v5, v4
	v_cndmask_b32_e32 v5, v2, v7, vcc
	v_lshlrev_b32_e32 v8, 2, v5
	ds_bpermute_b32 v5, v8, v4
	v_xor_b32_e32 v7, 8, v2
	v_cmp_lt_i32_e32 vcc, v7, v3
	s_waitcnt lgkmcnt(0)
	v_max_f32_e32 v5, v5, v5
	v_max_f32_e32 v4, v4, v5
	v_cndmask_b32_e32 v5, v2, v7, vcc
	v_lshlrev_b32_e32 v9, 2, v5
	ds_bpermute_b32 v7, v9, v4
	v_cmp_eq_u32_e32 vcc, 0, v50
	v_lshlrev_b32_e32 v5, 2, v29
	s_and_saveexec_b64 s[2:3], vcc
	s_cbranch_execz .LBB198_166
; %bb.165:
	s_waitcnt lgkmcnt(0)
	v_max_f32_e32 v7, v7, v7
	v_max_f32_e32 v4, v4, v4
	;; [unrolled: 1-line block ×3, first 2 shown]
	ds_write_b32 v5, v4 offset:768
.LBB198_166:
	s_or_b64 exec, exec, s[2:3]
	v_cmp_gt_u32_e64 s[2:3], 2, v50
	v_mov_b32_e32 v4, 0xff7fffff
	s_waitcnt lgkmcnt(0)
	v_lshlrev_b32_e32 v7, 2, v50
	s_barrier
	s_and_saveexec_b64 s[4:5], s[2:3]
	s_cbranch_execz .LBB198_168
; %bb.167:
	ds_read_b32 v4, v7 offset:768
.LBB198_168:
	s_or_b64 exec, exec, s[4:5]
	v_xor_b32_e32 v10, 1, v2
	v_cmp_lt_i32_e64 s[4:5], v10, v3
	v_cndmask_b32_e64 v10, v2, v10, s[4:5]
	v_lshlrev_b32_e32 v51, 2, v10
	s_waitcnt lgkmcnt(0)
	ds_bpermute_b32 v10, v51, v4
	v_max_f32_e32 v4, v4, v4
	s_sub_i32 s4, s28, s12
	s_lshl_b32 s4, s4, 3
	s_add_i32 s4, s4, s55
	s_waitcnt lgkmcnt(0)
	v_max_f32_e32 v10, v10, v10
	v_max_f32_e32 v4, v4, v10
	v_lshlrev_b32_e32 v10, 2, v2
	v_and_b32_e32 v10, 0x100, v10
	ds_bpermute_b32 v4, v10, v4
	s_min_i32 s20, s4, s41
	s_sub_i32 s12, s20, s55
	v_cmp_gt_i32_e64 s[4:5], s12, v0
	v_mov_b32_e32 v11, 0
	s_and_saveexec_b64 s[14:15], s[4:5]
	s_cbranch_execz .LBB198_172
; %bb.169:
	v_mov_b32_e32 v11, 0x310
	v_lshl_add_u32 v12, v0, 2, v11
	s_mov_b64 s[16:17], 0
	v_mov_b32_e32 v11, 0
	v_mov_b32_e32 v13, v0
.LBB198_170:                            ; =>This Inner Loop Header: Depth=1
	ds_read_b32 v14, v12
	v_add_u32_e32 v13, 0x80, v13
	v_cmp_le_i32_e64 s[10:11], s12, v13
	s_or_b64 s[16:17], s[10:11], s[16:17]
	s_waitcnt lgkmcnt(0)
	v_sub_f32_e32 v14, v14, v4
	v_mul_f32_e32 v14, 0x3fb8aa3b, v14
	v_exp_f32_e32 v14, v14
	ds_write_b32 v12, v14
	v_add_f32_e32 v11, v11, v14
	v_add_u32_e32 v12, 0x200, v12
	s_andn2_b64 exec, exec, s[16:17]
	s_cbranch_execnz .LBB198_170
; %bb.171:
	s_or_b64 exec, exec, s[16:17]
.LBB198_172:
	s_or_b64 exec, exec, s[14:15]
	ds_bpermute_b32 v6, v6, v11
	s_waitcnt lgkmcnt(0)
	v_add_f32_e32 v6, v11, v6
	ds_bpermute_b32 v8, v8, v6
	s_waitcnt lgkmcnt(0)
	v_add_f32_e32 v6, v6, v8
	ds_bpermute_b32 v8, v9, v6
	v_xor_b32_e32 v9, 4, v2
	v_cmp_lt_i32_e64 s[10:11], v9, v3
	v_cndmask_b32_e64 v9, v2, v9, s[10:11]
	v_lshlrev_b32_e32 v9, 2, v9
	s_waitcnt lgkmcnt(0)
	v_add_f32_e32 v6, v6, v8
	ds_bpermute_b32 v8, v9, v6
	v_xor_b32_e32 v9, 2, v2
	v_cmp_lt_i32_e64 s[10:11], v9, v3
	v_cndmask_b32_e64 v2, v2, v9, s[10:11]
	v_lshlrev_b32_e32 v2, 2, v2
	s_waitcnt lgkmcnt(0)
	v_add_f32_e32 v3, v6, v8
	ds_bpermute_b32 v2, v2, v3
	s_waitcnt lgkmcnt(0)
	v_add_f32_e32 v2, v3, v2
	ds_bpermute_b32 v3, v51, v2
	s_waitcnt lgkmcnt(0)
	v_add_f32_e32 v2, v2, v3
	s_and_saveexec_b64 s[10:11], vcc
	s_cbranch_execz .LBB198_174
; %bb.173:
	ds_write_b32 v5, v2 offset:776
.LBB198_174:
	s_or_b64 exec, exec, s[10:11]
	s_waitcnt lgkmcnt(0)
	s_barrier
	s_and_saveexec_b64 s[10:11], s[2:3]
	s_cbranch_execz .LBB198_176
; %bb.175:
	ds_read_b32 v2, v7 offset:776
.LBB198_176:
	s_or_b64 exec, exec, s[10:11]
	s_waitcnt lgkmcnt(0)
	ds_bpermute_b32 v3, v51, v2
	s_waitcnt lgkmcnt(0)
	v_add_f32_e32 v2, v2, v3
	ds_bpermute_b32 v5, v10, v2
	s_and_saveexec_b64 s[2:3], s[4:5]
	s_cbranch_execz .LBB198_189
; %bb.177:
	s_waitcnt lgkmcnt(0)
	v_add_f32_e32 v2, 0x358637bd, v5
	v_div_scale_f32 v3, s[4:5], v2, v2, 1.0
	v_rcp_f32_e32 v6, v3
	v_div_scale_f32 v7, vcc, 1.0, v2, 1.0
	s_movk_i32 s4, 0x7f
	v_fma_f32 v8, -v3, v6, 1.0
	v_fmac_f32_e32 v6, v8, v6
	v_mul_f32_e32 v8, v7, v6
	v_fma_f32 v9, -v3, v8, v7
	v_fmac_f32_e32 v8, v9, v6
	v_fma_f32 v3, -v3, v8, v7
	v_div_fmas_f32 v3, v3, v6, v8
	v_div_fixup_f32 v2, v3, v2, 1.0
	v_xad_u32 v3, v0, -1, s20
	v_subrev_u32_e32 v6, s55, v3
	v_cmp_lt_u32_e32 vcc, s4, v6
	s_mov_b64 s[10:11], -1
	v_mov_b32_e32 v3, v0
	s_and_saveexec_b64 s[4:5], vcc
	s_cbranch_execz .LBB198_186
; %bb.178:
	v_lshrrev_b32_e32 v6, 7, v6
	v_add_u32_e32 v8, -1, v6
	v_lshrrev_b32_e32 v7, 1, v8
	v_mov_b32_e32 v3, v2
	v_add_u32_e32 v7, 1, v7
	v_cmp_lt_u32_e32 vcc, 13, v8
	v_mov_b32_e32 v10, 0
	s_and_saveexec_b64 s[10:11], vcc
	s_cbranch_execz .LBB198_182
; %bb.179:
	v_mov_b32_e32 v9, 0x310
	v_and_b32_e32 v8, -8, v7
	v_lshl_add_u32 v9, v0, 2, v9
	s_mov_b32 s16, 0
	s_mov_b64 s[14:15], 0
.LBB198_180:                            ; =>This Inner Loop Header: Depth=1
	ds_read2st64_b32 v[10:11], v9 offset1:2
	ds_read2st64_b32 v[12:13], v9 offset0:4 offset1:6
	ds_read2st64_b32 v[14:15], v9 offset0:8 offset1:10
	;; [unrolled: 1-line block ×3, first 2 shown]
	v_add_u32_e32 v8, -8, v8
	s_waitcnt lgkmcnt(3)
	v_pk_mul_f32 v[10:11], v[2:3], v[10:11]
	s_waitcnt lgkmcnt(2)
	v_pk_mul_f32 v[12:13], v[2:3], v[12:13]
	ds_write2st64_b32 v9, v10, v11 offset1:2
	ds_write2st64_b32 v9, v12, v13 offset0:4 offset1:6
	ds_read2st64_b32 v[12:13], v9 offset0:16 offset1:18
	s_waitcnt lgkmcnt(4)
	v_pk_mul_f32 v[10:11], v[2:3], v[14:15]
	ds_write2st64_b32 v9, v10, v11 offset0:8 offset1:10
	s_waitcnt lgkmcnt(4)
	v_pk_mul_f32 v[10:11], v[2:3], v[16:17]
	ds_write2st64_b32 v9, v10, v11 offset0:12 offset1:14
	ds_read2st64_b32 v[10:11], v9 offset0:20 offset1:22
	s_waitcnt lgkmcnt(3)
	v_pk_mul_f32 v[12:13], v[2:3], v[12:13]
	ds_read2st64_b32 v[14:15], v9 offset0:24 offset1:26
	ds_write2st64_b32 v9, v12, v13 offset0:16 offset1:18
	ds_read2st64_b32 v[12:13], v9 offset0:28 offset1:30
	s_waitcnt lgkmcnt(3)
	v_pk_mul_f32 v[10:11], v[2:3], v[10:11]
	ds_write2st64_b32 v9, v10, v11 offset0:20 offset1:22
	s_waitcnt lgkmcnt(3)
	v_pk_mul_f32 v[10:11], v[2:3], v[14:15]
	ds_write2st64_b32 v9, v10, v11 offset0:24 offset1:26
	s_waitcnt lgkmcnt(2)
	v_pk_mul_f32 v[10:11], v[2:3], v[12:13]
	s_add_i32 s16, s16, 16
	v_cmp_eq_u32_e32 vcc, 0, v8
	ds_write2st64_b32 v9, v10, v11 offset0:28 offset1:30
	v_add_u32_e32 v9, 0x2000, v9
	s_or_b64 s[14:15], vcc, s[14:15]
	v_mov_b32_e32 v10, s16
	s_andn2_b64 exec, exec, s[14:15]
	s_cbranch_execnz .LBB198_180
; %bb.181:
	s_or_b64 exec, exec, s[14:15]
.LBB198_182:
	s_or_b64 exec, exec, s[10:11]
	v_and_b32_e32 v7, 7, v7
	v_cmp_ne_u32_e32 vcc, 0, v7
	s_and_saveexec_b64 s[10:11], vcc
	s_cbranch_execz .LBB198_185
; %bb.183:
	v_lshlrev_b32_e32 v8, 9, v10
	v_lshlrev_b32_e32 v9, 2, v0
	s_movk_i32 s14, 0x310
	v_add3_u32 v8, v8, v9, s14
	s_mov_b64 s[14:15], 0
.LBB198_184:                            ; =>This Inner Loop Header: Depth=1
	ds_read2st64_b32 v[10:11], v8 offset1:2
	v_add_u32_e32 v7, -1, v7
	v_cmp_eq_u32_e32 vcc, 0, v7
	s_or_b64 s[14:15], vcc, s[14:15]
	s_waitcnt lgkmcnt(0)
	v_pk_mul_f32 v[10:11], v[2:3], v[10:11]
	ds_write2st64_b32 v8, v10, v11 offset1:2
	v_add_u32_e32 v8, 0x400, v8
	s_andn2_b64 exec, exec, s[14:15]
	s_cbranch_execnz .LBB198_184
.LBB198_185:
	s_or_b64 exec, exec, s[10:11]
	v_add_u32_e32 v6, 1, v6
	v_and_b32_e32 v7, 0x3fffffe, v6
	v_cmp_ne_u32_e32 vcc, v6, v7
	v_lshl_add_u32 v3, v7, 7, v0
	s_orn2_b64 s[10:11], vcc, exec
.LBB198_186:
	s_or_b64 exec, exec, s[4:5]
	s_and_b64 exec, exec, s[10:11]
	s_cbranch_execz .LBB198_189
; %bb.187:
	v_mov_b32_e32 v6, 0x310
	v_lshl_add_u32 v6, v3, 2, v6
	s_mov_b64 s[4:5], 0
.LBB198_188:                            ; =>This Inner Loop Header: Depth=1
	ds_read_b32 v7, v6
	v_add_u32_e32 v3, 0x80, v3
	v_cmp_le_i32_e32 vcc, s12, v3
	s_or_b64 s[4:5], vcc, s[4:5]
	s_waitcnt lgkmcnt(0)
	v_mul_f32_e32 v7, v2, v7
	ds_write_b32 v6, v7
	v_add_u32_e32 v6, 0x200, v6
	s_andn2_b64 exec, exec, s[4:5]
	s_cbranch_execnz .LBB198_188
.LBB198_189:
	s_or_b64 exec, exec, s[2:3]
	s_mul_i32 s2, s33, s40
	v_cmp_eq_u32_e32 vcc, 0, v0
	s_mul_i32 s2, s2, s9
	s_waitcnt lgkmcnt(0)
	s_barrier
	s_and_saveexec_b64 s[4:5], vcc
	s_cbranch_execz .LBB198_191
; %bb.190:
	s_ashr_i32 s3, s2, 31
	s_lshl_b64 s[10:11], s[2:3], 2
	s_add_u32 s3, s26, s10
	s_mul_i32 s14, s33, s6
	s_addc_u32 s9, s27, s11
	s_ashr_i32 s15, s14, 31
	s_lshl_b64 s[14:15], s[14:15], 2
	s_add_u32 s3, s3, s14
	s_addc_u32 s6, s9, s15
	s_ashr_i32 s9, s8, 31
	s_lshl_b64 s[16:17], s[8:9], 2
	s_add_u32 s20, s3, s16
	s_addc_u32 s21, s6, s17
	s_add_u32 s3, s24, s10
	s_addc_u32 s6, s25, s11
	;; [unrolled: 2-line block ×3, first 2 shown]
	s_add_u32 s10, s3, s16
	v_mov_b32_e32 v2, 0
	s_addc_u32 s11, s6, s17
	global_store_dword v2, v4, s[20:21]
	global_store_dword v2, v5, s[10:11]
.LBB198_191:
	s_or_b64 exec, exec, s[4:5]
	s_mov_b32 s12, 0
	v_mov_b32_e32 v7, 0
	v_and_b32_e32 v52, 1, v0
	v_mov_b32_e32 v6, 0
	v_mov_b32_e32 v5, 0
	v_mov_b32_e32 v4, 0
	v_mov_b32_e32 v3, 0
	v_mov_b32_e32 v2, 0
	s_and_saveexec_b64 s[4:5], s[0:1]
	s_cbranch_execz .LBB198_353
; %bb.192:
	s_sub_i32 s3, s53, s29
	s_ashr_i32 s0, s54, 31
	s_add_u32 s1, s22, s54
	s_addc_u32 s0, s23, s0
	s_abs_i32 s9, s30
	v_cvt_f32_u32_e32 v2, s9
	v_lshlrev_b32_e32 v3, 2, v0
	s_sub_i32 s6, 0, s9
	v_and_b32_e32 v53, 4, v3
	v_rcp_iflag_f32_e32 v2, v2
	v_and_b32_e32 v3, 0xfc, v3
	s_add_i32 s27, s7, -1
	v_mov_b32_e32 v4, s0
	v_mul_f32_e32 v2, 0x4f7ffffe, v2
	v_cvt_u32_f32_e32 v2, v2
	v_add_co_u32_e32 v12, vcc, s1, v3
	s_lshl_b64 s[0:1], s[42:43], 2
	v_mul_lo_u32 v5, s6, v2
	v_mul_hi_u32 v5, v2, v5
	v_add_u32_e32 v54, v2, v5
	v_addc_co_u32_e32 v13, vcc, 0, v4, vcc
	v_lshlrev_b64 v[2:3], 2, v[26:27]
	s_add_u32 s0, s38, s0
	s_addc_u32 s1, s39, s1
	v_add_co_u32_e32 v14, vcc, s0, v2
	v_lshlrev_b32_e32 v2, 4, v52
	s_mov_b32 s26, s13
	v_mov_b32_e32 v4, s1
	v_lshl_or_b32 v2, v29, 5, v2
	s_mov_b32 s13, s12
	v_addc_co_u32_e32 v15, vcc, v4, v3, vcc
	v_add_u32_e32 v27, 0x310, v2
	s_mov_b32 s14, s12
	s_mov_b32 s15, s12
	;; [unrolled: 1-line block ×4, first 2 shown]
	v_pk_mov_b32 v[2:3], s[12:13], s[12:13] op_sel:[0,1]
	s_mov_b64 s[6:7], 0
	v_pk_mov_b32 v[4:5], s[14:15], s[14:15] op_sel:[0,1]
	v_pk_mov_b32 v[6:7], s[16:17], s[16:17] op_sel:[0,1]
	s_movk_i32 s29, 0x80
	s_movk_i32 s30, 0x7f
	v_mov_b32_e32 v17, 0
	s_brev_b32 s13, 1
	s_mov_b32 s11, 0x7f800001
	s_mov_b32 s38, 0xffffff
	v_bfrev_b32_e32 v55, 60
	v_mov_b32_e32 v56, 7
	v_mov_b32_e32 v57, 24
	s_branch .LBB198_195
.LBB198_193:                            ;   in Loop: Header=BB198_195 Depth=1
	s_or_b64 exec, exec, s[0:1]
	v_mul_f32_e32 v16, v9, v19
	v_fmac_f32_e32 v16, v8, v18
	v_fmac_f32_e32 v16, v10, v20
	v_fmac_f32_e32 v16, v11, v21
	v_add_f32_e32 v2, v2, v16
	v_mul_f32_e32 v16, v9, v25
	v_fmac_f32_e32 v16, v8, v24
	v_fmac_f32_e32 v16, v10, v28
	v_fmac_f32_e32 v16, v11, v29
	v_add_f32_e32 v3, v3, v16
	;; [unrolled: 5-line block ×4, first 2 shown]
	v_mul_f32_e32 v16, v9, v39
	v_mul_f32_e32 v9, v9, v23
	v_fmac_f32_e32 v16, v8, v38
	v_fmac_f32_e32 v9, v8, v22
	v_fmac_f32_e32 v16, v10, v40
	v_fmac_f32_e32 v9, v10, v42
	v_fmac_f32_e32 v16, v11, v41
	v_fmac_f32_e32 v9, v11, v43
	v_add_f32_e32 v6, v6, v16
	v_add_f32_e32 v7, v7, v9
.LBB198_194:                            ;   in Loop: Header=BB198_195 Depth=1
	s_or_b64 exec, exec, s[14:15]
	v_add_co_u32_e32 v14, vcc, 8, v14
	v_add_u32_e32 v26, 2, v26
	v_addc_co_u32_e32 v15, vcc, 0, v15, vcc
	v_cmp_le_i32_e32 vcc, s28, v26
	v_add_u32_e32 v1, 16, v1
	s_or_b64 s[6:7], vcc, s[6:7]
	v_add_u32_e32 v27, 64, v27
	s_andn2_b64 exec, exec, s[6:7]
	s_cbranch_execz .LBB198_352
.LBB198_195:                            ; =>This Inner Loop Header: Depth=1
	v_sub_u32_e32 v9, 0, v1
	v_max_i32_e32 v9, v1, v9
	v_mul_hi_u32 v10, v9, s52
	v_mul_lo_u32 v11, v10, s37
	v_sub_u32_e32 v9, v9, v11
	v_add_u32_e32 v11, 1, v10
	v_cmp_le_u32_e32 vcc, s37, v9
	v_cndmask_b32_e32 v10, v10, v11, vcc
	v_subrev_u32_e32 v11, s37, v9
	v_cndmask_b32_e32 v9, v9, v11, vcc
	v_ashrrev_i32_e32 v8, 31, v1
	v_add_u32_e32 v11, 1, v10
	v_cmp_le_u32_e32 vcc, s37, v9
	v_xor_b32_e32 v8, s31, v8
	v_cndmask_b32_e32 v9, v10, v11, vcc
	v_xor_b32_e32 v9, v9, v8
	v_sub_u32_e32 v8, v9, v8
	v_add_u32_e32 v9, s44, v8
	v_sub_u32_e32 v11, 0, v9
	v_ashrrev_i32_e32 v10, 31, v9
	v_max_i32_e32 v9, v9, v11
	v_mul_hi_u32 v11, v9, v54
	v_mul_lo_u32 v11, v11, s9
	v_sub_u32_e32 v9, v9, v11
	v_subrev_u32_e32 v11, s9, v9
	v_cmp_le_u32_e32 vcc, s9, v9
	v_cndmask_b32_e32 v9, v9, v11, vcc
	v_subrev_u32_e32 v11, s9, v9
	v_cmp_le_u32_e32 vcc, s9, v9
	v_cndmask_b32_e32 v9, v9, v11, vcc
	v_xor_b32_e32 v9, v9, v10
	v_sub_u32_e32 v9, v9, v10
	v_cmp_eq_u32_e32 vcc, 0, v9
	v_cmp_lt_i32_e64 s[0:1], s3, v8
	s_or_b64 s[0:1], vcc, s[0:1]
	s_and_saveexec_b64 s[14:15], s[0:1]
	s_cbranch_execz .LBB198_194
; %bb.196:                              ;   in Loop: Header=BB198_195 Depth=1
	global_load_dword v8, v[14:15], off
	s_load_dword s16, s[18:19], 0x0
	v_pk_mov_b32 v[24:25], 0, 0
	v_pk_mov_b32 v[20:21], v[24:25], v[24:25] op_sel:[0,1]
	s_waitcnt vmcnt(0)
	v_mad_i64_i32 v[22:23], s[0:1], v8, s26, v[12:13]
	global_load_dword v18, v[22:23], off
	ds_read_b128 v[8:11], v27
	s_waitcnt vmcnt(0)
	v_cmp_ne_u16_sdwa s[20:21], v18, v17 src0_sel:BYTE_0 src1_sel:DWORD
	s_and_saveexec_b64 s[0:1], s[20:21]
	s_cbranch_execz .LBB198_202
; %bb.197:                              ;   in Loop: Header=BB198_195 Depth=1
	v_bfrev_b32_e32 v20, 1
	v_cmp_ne_u16_sdwa s[22:23], v18, s29 src0_sel:BYTE_0 src1_sel:DWORD
	v_mov_b32_e32 v21, 0
	s_and_saveexec_b64 s[20:21], s[22:23]
	s_cbranch_execz .LBB198_201
; %bb.198:                              ;   in Loop: Header=BB198_195 Depth=1
	v_and_b32_e32 v16, 0x7f, v18
	v_mov_b32_e32 v20, 0x7f800001
	v_cmp_ne_u32_e32 vcc, s30, v16
	v_mov_b32_e32 v21, 0
	s_and_saveexec_b64 s[22:23], vcc
	s_cbranch_execz .LBB198_200
; %bb.199:                              ;   in Loop: Header=BB198_195 Depth=1
	v_and_b32_e32 v19, 7, v18
	v_ffbh_u32_e32 v20, v19
	v_min_u32_e32 v29, 32, v20
	v_subrev_u32_e32 v20, 28, v29
	v_lshlrev_b64 v[20:21], v20, v[18:19]
	v_lshrrev_b32_e32 v28, 3, v16
	v_sub_u32_e32 v21, 29, v29
	v_and_b32_e32 v20, 7, v20
	v_cmp_gt_u32_e32 vcc, 8, v16
	v_cndmask_b32_e32 v16, v28, v21, vcc
	v_cndmask_b32_e32 v19, v19, v20, vcc
	v_lshlrev_b32_e32 v19, 20, v19
	v_and_b32_sdwa v20, sext(v18), s13 dst_sel:DWORD dst_unused:UNUSED_PAD src0_sel:BYTE_0 src1_sel:DWORD
	v_lshl_add_u32 v16, v16, 23, v55
	v_or3_b32 v16, v20, v16, v19
	v_pk_mov_b32 v[20:21], v[16:17], v[16:17] op_sel:[0,1]
.LBB198_200:                            ;   in Loop: Header=BB198_195 Depth=1
	s_or_b64 exec, exec, s[22:23]
.LBB198_201:                            ;   in Loop: Header=BB198_195 Depth=1
	s_or_b64 exec, exec, s[20:21]
.LBB198_202:                            ;   in Loop: Header=BB198_195 Depth=1
	s_or_b64 exec, exec, s[0:1]
	v_cmp_ne_u16_sdwa s[20:21], v18, v17 src0_sel:BYTE_1 src1_sel:DWORD
	s_and_saveexec_b64 s[0:1], s[20:21]
	s_cbranch_execz .LBB198_208
; %bb.203:                              ;   in Loop: Header=BB198_195 Depth=1
	v_cmp_ne_u16_sdwa s[22:23], v18, s29 src0_sel:BYTE_1 src1_sel:DWORD
	v_pk_mov_b32 v[24:25], s[12:13], s[12:13] op_sel:[0,1]
	s_and_saveexec_b64 s[20:21], s[22:23]
	s_cbranch_execz .LBB198_207
; %bb.204:                              ;   in Loop: Header=BB198_195 Depth=1
	v_and_b32_sdwa v19, v18, s30 dst_sel:DWORD dst_unused:UNUSED_PAD src0_sel:BYTE_1 src1_sel:DWORD
	s_mov_b32 s10, s12
	v_cmp_ne_u32_e32 vcc, s30, v19
	v_pk_mov_b32 v[24:25], s[10:11], s[10:11] op_sel:[0,1]
	s_and_saveexec_b64 s[22:23], vcc
	s_cbranch_execz .LBB198_206
; %bb.205:                              ;   in Loop: Header=BB198_195 Depth=1
	v_and_b32_sdwa v16, v18, v56 dst_sel:DWORD dst_unused:UNUSED_PAD src0_sel:BYTE_1 src1_sel:DWORD
	v_ffbh_u32_e32 v24, v16
	v_min_u32_e32 v29, 32, v24
	v_subrev_u32_e32 v24, 28, v29
	v_lshlrev_b64 v[24:25], v24, v[16:17]
	v_lshrrev_b32_e32 v28, 3, v19
	v_sub_u32_e32 v25, 29, v29
	v_cmp_gt_u32_e32 vcc, 8, v19
	v_and_b32_e32 v24, 7, v24
	v_cndmask_b32_e32 v19, v28, v25, vcc
	v_cndmask_b32_e32 v16, v16, v24, vcc
	v_lshlrev_b32_e32 v24, 16, v18
	v_lshl_add_u32 v19, v19, 23, v55
	v_and_or_b32 v19, v24, s13, v19
	v_lshlrev_b32_e32 v16, 20, v16
	v_or_b32_e32 v25, v19, v16
	v_mov_b32_e32 v24, v17
.LBB198_206:                            ;   in Loop: Header=BB198_195 Depth=1
	s_or_b64 exec, exec, s[22:23]
.LBB198_207:                            ;   in Loop: Header=BB198_195 Depth=1
	s_or_b64 exec, exec, s[20:21]
.LBB198_208:                            ;   in Loop: Header=BB198_195 Depth=1
	s_or_b64 exec, exec, s[0:1]
	v_lshrrev_b32_e32 v16, 16, v18
	v_pk_mov_b32 v[30:31], 0, 0
	v_cmp_ne_u16_sdwa s[20:21], v16, v17 src0_sel:BYTE_0 src1_sel:DWORD
	v_pk_mov_b32 v[28:29], v[30:31], v[30:31] op_sel:[0,1]
	s_and_saveexec_b64 s[0:1], s[20:21]
	s_cbranch_execz .LBB198_214
; %bb.209:                              ;   in Loop: Header=BB198_195 Depth=1
	v_bfrev_b32_e32 v28, 1
	v_cmp_ne_u16_sdwa s[22:23], v16, s29 src0_sel:BYTE_0 src1_sel:DWORD
	v_mov_b32_e32 v29, 0
	s_and_saveexec_b64 s[20:21], s[22:23]
	s_cbranch_execz .LBB198_213
; %bb.210:                              ;   in Loop: Header=BB198_195 Depth=1
	v_bfe_u32 v19, v18, 16, 7
	v_mov_b32_e32 v28, 0x7f800001
	v_cmp_ne_u32_e32 vcc, s30, v19
	v_mov_b32_e32 v29, 0
	s_and_saveexec_b64 s[22:23], vcc
	s_cbranch_execz .LBB198_212
; %bb.211:                              ;   in Loop: Header=BB198_195 Depth=1
	v_and_b32_e32 v32, 7, v16
	v_ffbh_u32_e32 v28, v32
	v_min_u32_e32 v34, 32, v28
	v_subrev_u32_e32 v28, 28, v34
	v_lshlrev_b64 v[28:29], v28, v[16:17]
	v_lshrrev_b32_e32 v33, 3, v19
	v_sub_u32_e32 v29, 29, v34
	v_and_b32_e32 v28, 7, v28
	v_cmp_gt_u32_e32 vcc, 8, v19
	v_cndmask_b32_e32 v19, v33, v29, vcc
	v_cndmask_b32_e32 v28, v32, v28, vcc
	v_lshlrev_b32_e32 v28, 20, v28
	v_and_b32_sdwa v16, sext(v16), s13 dst_sel:DWORD dst_unused:UNUSED_PAD src0_sel:BYTE_0 src1_sel:DWORD
	v_lshl_add_u32 v19, v19, 23, v55
	v_or3_b32 v16, v16, v19, v28
	v_pk_mov_b32 v[28:29], v[16:17], v[16:17] op_sel:[0,1]
.LBB198_212:                            ;   in Loop: Header=BB198_195 Depth=1
	s_or_b64 exec, exec, s[22:23]
.LBB198_213:                            ;   in Loop: Header=BB198_195 Depth=1
	s_or_b64 exec, exec, s[20:21]
.LBB198_214:                            ;   in Loop: Header=BB198_195 Depth=1
	s_or_b64 exec, exec, s[0:1]
	v_cmp_lt_u32_e32 vcc, s38, v18
	s_and_saveexec_b64 s[0:1], vcc
	s_cbranch_execz .LBB198_220
; %bb.215:                              ;   in Loop: Header=BB198_195 Depth=1
	v_cmp_ne_u32_sdwa s[22:23], v18, s29 src0_sel:BYTE_3 src1_sel:DWORD
	v_pk_mov_b32 v[30:31], s[12:13], s[12:13] op_sel:[0,1]
	s_and_saveexec_b64 s[20:21], s[22:23]
	s_cbranch_execz .LBB198_219
; %bb.216:                              ;   in Loop: Header=BB198_195 Depth=1
	v_bfe_u32 v19, v18, 24, 7
	s_mov_b32 s10, s12
	v_cmp_ne_u32_e32 vcc, s30, v19
	v_pk_mov_b32 v[30:31], s[10:11], s[10:11] op_sel:[0,1]
	s_and_saveexec_b64 s[22:23], vcc
	s_cbranch_execz .LBB198_218
; %bb.217:                              ;   in Loop: Header=BB198_195 Depth=1
	v_and_b32_sdwa v16, v18, v56 dst_sel:DWORD dst_unused:UNUSED_PAD src0_sel:BYTE_3 src1_sel:DWORD
	v_ffbh_u32_e32 v30, v16
	v_min_u32_e32 v33, 32, v30
	v_subrev_u32_e32 v30, 28, v33
	v_lshlrev_b64 v[30:31], v30, v[16:17]
	v_lshrrev_b32_e32 v32, 3, v19
	v_sub_u32_e32 v31, 29, v33
	v_cmp_gt_u32_e32 vcc, 8, v19
	v_and_b32_e32 v30, 7, v30
	v_cndmask_b32_e32 v19, v32, v31, vcc
	v_cndmask_b32_e32 v16, v16, v30, vcc
	v_lshlrev_b32_sdwa v18, v57, v18 dst_sel:DWORD dst_unused:UNUSED_PAD src0_sel:DWORD src1_sel:BYTE_3
	v_lshl_add_u32 v19, v19, 23, v55
	v_and_or_b32 v18, v18, s13, v19
	v_lshlrev_b32_e32 v16, 20, v16
	v_or_b32_e32 v31, v18, v16
	v_mov_b32_e32 v30, v17
.LBB198_218:                            ;   in Loop: Header=BB198_195 Depth=1
	s_or_b64 exec, exec, s[22:23]
.LBB198_219:                            ;   in Loop: Header=BB198_195 Depth=1
	s_or_b64 exec, exec, s[20:21]
.LBB198_220:                            ;   in Loop: Header=BB198_195 Depth=1
	s_or_b64 exec, exec, s[0:1]
	v_add_u32_e32 v58, v53, v1
	v_or_b32_e32 v19, v25, v21
	v_or_b32_e32 v18, v24, v20
	;; [unrolled: 1-line block ×4, first 2 shown]
	v_cmp_eq_u32_e32 vcc, s27, v26
	s_waitcnt lgkmcnt(0)
	v_pk_mul_f32 v[18:19], s[16:17], v[18:19] op_sel_hi:[0,1]
	v_pk_mul_f32 v[20:21], s[16:17], v[20:21] op_sel_hi:[0,1]
	v_add_u32_e32 v61, 1, v58
	v_add_u32_e32 v60, 2, v58
	;; [unrolled: 1-line block ×3, first 2 shown]
	s_and_saveexec_b64 s[20:21], vcc
; %bb.221:                              ;   in Loop: Header=BB198_195 Depth=1
	v_cmp_gt_i32_e64 s[0:1], s41, v58
	v_cndmask_b32_e64 v18, 0, v18, s[0:1]
	v_cmp_gt_i32_e64 s[0:1], s41, v61
	v_cndmask_b32_e64 v19, 0, v19, s[0:1]
	;; [unrolled: 2-line block ×4, first 2 shown]
; %bb.222:                              ;   in Loop: Header=BB198_195 Depth=1
	s_or_b64 exec, exec, s[20:21]
	global_load_dword v24, v[22:23], off offset:256
	v_pk_mov_b32 v[30:31], 0, 0
	v_pk_mov_b32 v[28:29], v[30:31], v[30:31] op_sel:[0,1]
	s_waitcnt vmcnt(0)
	v_cmp_ne_u16_sdwa s[0:1], v24, v17 src0_sel:BYTE_0 src1_sel:DWORD
	s_and_saveexec_b64 s[20:21], s[0:1]
	s_cbranch_execz .LBB198_228
; %bb.223:                              ;   in Loop: Header=BB198_195 Depth=1
	v_bfrev_b32_e32 v28, 1
	v_cmp_ne_u16_sdwa s[0:1], v24, s29 src0_sel:BYTE_0 src1_sel:DWORD
	v_mov_b32_e32 v29, 0
	s_and_saveexec_b64 s[22:23], s[0:1]
	s_cbranch_execz .LBB198_227
; %bb.224:                              ;   in Loop: Header=BB198_195 Depth=1
	v_and_b32_e32 v16, 0x7f, v24
	v_mov_b32_e32 v28, 0x7f800001
	v_cmp_ne_u32_e64 s[0:1], s30, v16
	v_mov_b32_e32 v29, 0
	s_and_saveexec_b64 s[24:25], s[0:1]
	s_cbranch_execz .LBB198_226
; %bb.225:                              ;   in Loop: Header=BB198_195 Depth=1
	v_and_b32_e32 v25, 7, v24
	v_ffbh_u32_e32 v28, v25
	v_min_u32_e32 v33, 32, v28
	v_subrev_u32_e32 v28, 28, v33
	v_lshlrev_b64 v[28:29], v28, v[24:25]
	v_lshrrev_b32_e32 v32, 3, v16
	v_sub_u32_e32 v29, 29, v33
	v_and_b32_e32 v28, 7, v28
	v_cmp_gt_u32_e64 s[0:1], 8, v16
	v_cndmask_b32_e64 v16, v32, v29, s[0:1]
	v_cndmask_b32_e64 v25, v25, v28, s[0:1]
	v_lshlrev_b32_e32 v25, 20, v25
	v_and_b32_sdwa v28, sext(v24), s13 dst_sel:DWORD dst_unused:UNUSED_PAD src0_sel:BYTE_0 src1_sel:DWORD
	v_lshl_add_u32 v16, v16, 23, v55
	v_or3_b32 v16, v28, v16, v25
	v_pk_mov_b32 v[28:29], v[16:17], v[16:17] op_sel:[0,1]
.LBB198_226:                            ;   in Loop: Header=BB198_195 Depth=1
	s_or_b64 exec, exec, s[24:25]
.LBB198_227:                            ;   in Loop: Header=BB198_195 Depth=1
	s_or_b64 exec, exec, s[22:23]
.LBB198_228:                            ;   in Loop: Header=BB198_195 Depth=1
	s_or_b64 exec, exec, s[20:21]
	v_cmp_ne_u16_sdwa s[0:1], v24, v17 src0_sel:BYTE_1 src1_sel:DWORD
	s_and_saveexec_b64 s[20:21], s[0:1]
	s_cbranch_execz .LBB198_234
; %bb.229:                              ;   in Loop: Header=BB198_195 Depth=1
	v_cmp_ne_u16_sdwa s[0:1], v24, s29 src0_sel:BYTE_1 src1_sel:DWORD
	v_pk_mov_b32 v[30:31], s[12:13], s[12:13] op_sel:[0,1]
	s_and_saveexec_b64 s[22:23], s[0:1]
	s_cbranch_execz .LBB198_233
; %bb.230:                              ;   in Loop: Header=BB198_195 Depth=1
	v_and_b32_sdwa v25, v24, s30 dst_sel:DWORD dst_unused:UNUSED_PAD src0_sel:BYTE_1 src1_sel:DWORD
	s_mov_b32 s10, s12
	v_cmp_ne_u32_e64 s[0:1], s30, v25
	v_pk_mov_b32 v[30:31], s[10:11], s[10:11] op_sel:[0,1]
	s_and_saveexec_b64 s[24:25], s[0:1]
	s_cbranch_execz .LBB198_232
; %bb.231:                              ;   in Loop: Header=BB198_195 Depth=1
	v_and_b32_sdwa v16, v24, v56 dst_sel:DWORD dst_unused:UNUSED_PAD src0_sel:BYTE_1 src1_sel:DWORD
	v_ffbh_u32_e32 v30, v16
	v_min_u32_e32 v33, 32, v30
	v_subrev_u32_e32 v30, 28, v33
	v_lshlrev_b64 v[30:31], v30, v[16:17]
	v_lshrrev_b32_e32 v32, 3, v25
	v_sub_u32_e32 v31, 29, v33
	v_cmp_gt_u32_e64 s[0:1], 8, v25
	v_and_b32_e32 v30, 7, v30
	v_cndmask_b32_e64 v25, v32, v31, s[0:1]
	v_cndmask_b32_e64 v16, v16, v30, s[0:1]
	v_lshlrev_b32_e32 v30, 16, v24
	v_lshl_add_u32 v25, v25, 23, v55
	v_and_or_b32 v25, v30, s13, v25
	v_lshlrev_b32_e32 v16, 20, v16
	v_or_b32_e32 v31, v25, v16
	v_mov_b32_e32 v30, v17
.LBB198_232:                            ;   in Loop: Header=BB198_195 Depth=1
	s_or_b64 exec, exec, s[24:25]
.LBB198_233:                            ;   in Loop: Header=BB198_195 Depth=1
	s_or_b64 exec, exec, s[22:23]
.LBB198_234:                            ;   in Loop: Header=BB198_195 Depth=1
	s_or_b64 exec, exec, s[20:21]
	v_lshrrev_b32_e32 v16, 16, v24
	v_pk_mov_b32 v[34:35], 0, 0
	v_cmp_ne_u16_sdwa s[0:1], v16, v17 src0_sel:BYTE_0 src1_sel:DWORD
	v_pk_mov_b32 v[32:33], v[34:35], v[34:35] op_sel:[0,1]
	s_and_saveexec_b64 s[20:21], s[0:1]
	s_cbranch_execz .LBB198_240
; %bb.235:                              ;   in Loop: Header=BB198_195 Depth=1
	v_bfrev_b32_e32 v32, 1
	v_cmp_ne_u16_sdwa s[0:1], v16, s29 src0_sel:BYTE_0 src1_sel:DWORD
	v_mov_b32_e32 v33, 0
	s_and_saveexec_b64 s[22:23], s[0:1]
	s_cbranch_execz .LBB198_239
; %bb.236:                              ;   in Loop: Header=BB198_195 Depth=1
	v_bfe_u32 v25, v24, 16, 7
	v_mov_b32_e32 v32, 0x7f800001
	v_cmp_ne_u32_e64 s[0:1], s30, v25
	v_mov_b32_e32 v33, 0
	s_and_saveexec_b64 s[24:25], s[0:1]
	s_cbranch_execz .LBB198_238
; %bb.237:                              ;   in Loop: Header=BB198_195 Depth=1
	v_and_b32_e32 v36, 7, v16
	v_ffbh_u32_e32 v32, v36
	v_min_u32_e32 v38, 32, v32
	v_subrev_u32_e32 v32, 28, v38
	v_lshlrev_b64 v[32:33], v32, v[16:17]
	v_lshrrev_b32_e32 v37, 3, v25
	v_sub_u32_e32 v33, 29, v38
	v_and_b32_e32 v32, 7, v32
	v_cmp_gt_u32_e64 s[0:1], 8, v25
	v_cndmask_b32_e64 v25, v37, v33, s[0:1]
	v_cndmask_b32_e64 v32, v36, v32, s[0:1]
	v_lshlrev_b32_e32 v32, 20, v32
	v_and_b32_sdwa v16, sext(v16), s13 dst_sel:DWORD dst_unused:UNUSED_PAD src0_sel:BYTE_0 src1_sel:DWORD
	v_lshl_add_u32 v25, v25, 23, v55
	v_or3_b32 v16, v16, v25, v32
	v_pk_mov_b32 v[32:33], v[16:17], v[16:17] op_sel:[0,1]
.LBB198_238:                            ;   in Loop: Header=BB198_195 Depth=1
	s_or_b64 exec, exec, s[24:25]
.LBB198_239:                            ;   in Loop: Header=BB198_195 Depth=1
	s_or_b64 exec, exec, s[22:23]
.LBB198_240:                            ;   in Loop: Header=BB198_195 Depth=1
	s_or_b64 exec, exec, s[20:21]
	v_cmp_lt_u32_e64 s[0:1], s38, v24
	s_and_saveexec_b64 s[20:21], s[0:1]
	s_cbranch_execz .LBB198_246
; %bb.241:                              ;   in Loop: Header=BB198_195 Depth=1
	v_cmp_ne_u32_sdwa s[0:1], v24, s29 src0_sel:BYTE_3 src1_sel:DWORD
	v_pk_mov_b32 v[34:35], s[12:13], s[12:13] op_sel:[0,1]
	s_and_saveexec_b64 s[22:23], s[0:1]
	s_cbranch_execz .LBB198_245
; %bb.242:                              ;   in Loop: Header=BB198_195 Depth=1
	v_bfe_u32 v25, v24, 24, 7
	s_mov_b32 s10, s12
	v_cmp_ne_u32_e64 s[0:1], s30, v25
	v_pk_mov_b32 v[34:35], s[10:11], s[10:11] op_sel:[0,1]
	s_and_saveexec_b64 s[24:25], s[0:1]
	s_cbranch_execz .LBB198_244
; %bb.243:                              ;   in Loop: Header=BB198_195 Depth=1
	v_and_b32_sdwa v16, v24, v56 dst_sel:DWORD dst_unused:UNUSED_PAD src0_sel:BYTE_3 src1_sel:DWORD
	v_ffbh_u32_e32 v34, v16
	v_min_u32_e32 v37, 32, v34
	v_subrev_u32_e32 v34, 28, v37
	v_lshlrev_b64 v[34:35], v34, v[16:17]
	v_lshrrev_b32_e32 v36, 3, v25
	v_sub_u32_e32 v35, 29, v37
	v_cmp_gt_u32_e64 s[0:1], 8, v25
	v_and_b32_e32 v34, 7, v34
	v_cndmask_b32_e64 v25, v36, v35, s[0:1]
	v_cndmask_b32_e64 v16, v16, v34, s[0:1]
	v_lshlrev_b32_sdwa v24, v57, v24 dst_sel:DWORD dst_unused:UNUSED_PAD src0_sel:DWORD src1_sel:BYTE_3
	v_lshl_add_u32 v25, v25, 23, v55
	v_and_or_b32 v24, v24, s13, v25
	v_lshlrev_b32_e32 v16, 20, v16
	v_or_b32_e32 v35, v24, v16
	v_mov_b32_e32 v34, v17
.LBB198_244:                            ;   in Loop: Header=BB198_195 Depth=1
	s_or_b64 exec, exec, s[24:25]
.LBB198_245:                            ;   in Loop: Header=BB198_195 Depth=1
	s_or_b64 exec, exec, s[22:23]
.LBB198_246:                            ;   in Loop: Header=BB198_195 Depth=1
	s_or_b64 exec, exec, s[20:21]
	s_mov_b32 s17, s16
	v_or_b32_e32 v25, v31, v29
	v_or_b32_e32 v24, v30, v28
	;; [unrolled: 1-line block ×4, first 2 shown]
	v_pk_mul_f32 v[24:25], s[16:17], v[24:25]
	v_pk_mul_f32 v[28:29], s[16:17], v[28:29]
	s_and_saveexec_b64 s[20:21], vcc
; %bb.247:                              ;   in Loop: Header=BB198_195 Depth=1
	v_cmp_gt_i32_e64 s[0:1], s41, v58
	v_cndmask_b32_e64 v24, 0, v24, s[0:1]
	v_cmp_gt_i32_e64 s[0:1], s41, v61
	v_cndmask_b32_e64 v25, 0, v25, s[0:1]
	;; [unrolled: 2-line block ×4, first 2 shown]
; %bb.248:                              ;   in Loop: Header=BB198_195 Depth=1
	s_or_b64 exec, exec, s[20:21]
	global_load_dword v30, v[22:23], off offset:512
	v_pk_mov_b32 v[34:35], 0, 0
	v_pk_mov_b32 v[32:33], v[34:35], v[34:35] op_sel:[0,1]
	s_waitcnt vmcnt(0)
	v_cmp_ne_u16_sdwa s[0:1], v30, v17 src0_sel:BYTE_0 src1_sel:DWORD
	s_and_saveexec_b64 s[20:21], s[0:1]
	s_cbranch_execz .LBB198_254
; %bb.249:                              ;   in Loop: Header=BB198_195 Depth=1
	v_bfrev_b32_e32 v32, 1
	v_cmp_ne_u16_sdwa s[0:1], v30, s29 src0_sel:BYTE_0 src1_sel:DWORD
	v_mov_b32_e32 v33, 0
	s_and_saveexec_b64 s[22:23], s[0:1]
	s_cbranch_execz .LBB198_253
; %bb.250:                              ;   in Loop: Header=BB198_195 Depth=1
	v_and_b32_e32 v16, 0x7f, v30
	v_mov_b32_e32 v32, 0x7f800001
	v_cmp_ne_u32_e64 s[0:1], s30, v16
	v_mov_b32_e32 v33, 0
	s_and_saveexec_b64 s[24:25], s[0:1]
	s_cbranch_execz .LBB198_252
; %bb.251:                              ;   in Loop: Header=BB198_195 Depth=1
	v_and_b32_e32 v31, 7, v30
	v_ffbh_u32_e32 v32, v31
	v_min_u32_e32 v37, 32, v32
	v_subrev_u32_e32 v32, 28, v37
	v_lshlrev_b64 v[32:33], v32, v[30:31]
	v_lshrrev_b32_e32 v36, 3, v16
	v_sub_u32_e32 v33, 29, v37
	v_and_b32_e32 v32, 7, v32
	v_cmp_gt_u32_e64 s[0:1], 8, v16
	v_cndmask_b32_e64 v16, v36, v33, s[0:1]
	v_cndmask_b32_e64 v31, v31, v32, s[0:1]
	v_lshlrev_b32_e32 v31, 20, v31
	v_and_b32_sdwa v32, sext(v30), s13 dst_sel:DWORD dst_unused:UNUSED_PAD src0_sel:BYTE_0 src1_sel:DWORD
	v_lshl_add_u32 v16, v16, 23, v55
	v_or3_b32 v16, v32, v16, v31
	v_pk_mov_b32 v[32:33], v[16:17], v[16:17] op_sel:[0,1]
.LBB198_252:                            ;   in Loop: Header=BB198_195 Depth=1
	s_or_b64 exec, exec, s[24:25]
.LBB198_253:                            ;   in Loop: Header=BB198_195 Depth=1
	s_or_b64 exec, exec, s[22:23]
.LBB198_254:                            ;   in Loop: Header=BB198_195 Depth=1
	s_or_b64 exec, exec, s[20:21]
	v_cmp_ne_u16_sdwa s[0:1], v30, v17 src0_sel:BYTE_1 src1_sel:DWORD
	s_and_saveexec_b64 s[20:21], s[0:1]
	s_cbranch_execz .LBB198_260
; %bb.255:                              ;   in Loop: Header=BB198_195 Depth=1
	v_cmp_ne_u16_sdwa s[0:1], v30, s29 src0_sel:BYTE_1 src1_sel:DWORD
	v_pk_mov_b32 v[34:35], s[12:13], s[12:13] op_sel:[0,1]
	s_and_saveexec_b64 s[22:23], s[0:1]
	s_cbranch_execz .LBB198_259
; %bb.256:                              ;   in Loop: Header=BB198_195 Depth=1
	v_and_b32_sdwa v31, v30, s30 dst_sel:DWORD dst_unused:UNUSED_PAD src0_sel:BYTE_1 src1_sel:DWORD
	s_mov_b32 s10, s12
	v_cmp_ne_u32_e64 s[0:1], s30, v31
	v_pk_mov_b32 v[34:35], s[10:11], s[10:11] op_sel:[0,1]
	s_and_saveexec_b64 s[24:25], s[0:1]
	s_cbranch_execz .LBB198_258
; %bb.257:                              ;   in Loop: Header=BB198_195 Depth=1
	v_and_b32_sdwa v16, v30, v56 dst_sel:DWORD dst_unused:UNUSED_PAD src0_sel:BYTE_1 src1_sel:DWORD
	v_ffbh_u32_e32 v34, v16
	v_min_u32_e32 v37, 32, v34
	v_subrev_u32_e32 v34, 28, v37
	v_lshlrev_b64 v[34:35], v34, v[16:17]
	v_lshrrev_b32_e32 v36, 3, v31
	v_sub_u32_e32 v35, 29, v37
	v_cmp_gt_u32_e64 s[0:1], 8, v31
	v_and_b32_e32 v34, 7, v34
	v_cndmask_b32_e64 v31, v36, v35, s[0:1]
	v_cndmask_b32_e64 v16, v16, v34, s[0:1]
	v_lshlrev_b32_e32 v34, 16, v30
	v_lshl_add_u32 v31, v31, 23, v55
	v_and_or_b32 v31, v34, s13, v31
	v_lshlrev_b32_e32 v16, 20, v16
	v_or_b32_e32 v35, v31, v16
	v_mov_b32_e32 v34, v17
.LBB198_258:                            ;   in Loop: Header=BB198_195 Depth=1
	s_or_b64 exec, exec, s[24:25]
.LBB198_259:                            ;   in Loop: Header=BB198_195 Depth=1
	s_or_b64 exec, exec, s[22:23]
.LBB198_260:                            ;   in Loop: Header=BB198_195 Depth=1
	s_or_b64 exec, exec, s[20:21]
	v_lshrrev_b32_e32 v16, 16, v30
	v_pk_mov_b32 v[38:39], 0, 0
	v_cmp_ne_u16_sdwa s[0:1], v16, v17 src0_sel:BYTE_0 src1_sel:DWORD
	v_pk_mov_b32 v[36:37], v[38:39], v[38:39] op_sel:[0,1]
	s_and_saveexec_b64 s[20:21], s[0:1]
	s_cbranch_execz .LBB198_266
; %bb.261:                              ;   in Loop: Header=BB198_195 Depth=1
	v_bfrev_b32_e32 v36, 1
	v_cmp_ne_u16_sdwa s[0:1], v16, s29 src0_sel:BYTE_0 src1_sel:DWORD
	v_mov_b32_e32 v37, 0
	s_and_saveexec_b64 s[22:23], s[0:1]
	s_cbranch_execz .LBB198_265
; %bb.262:                              ;   in Loop: Header=BB198_195 Depth=1
	v_bfe_u32 v31, v30, 16, 7
	v_mov_b32_e32 v36, 0x7f800001
	v_cmp_ne_u32_e64 s[0:1], s30, v31
	v_mov_b32_e32 v37, 0
	s_and_saveexec_b64 s[24:25], s[0:1]
	s_cbranch_execz .LBB198_264
; %bb.263:                              ;   in Loop: Header=BB198_195 Depth=1
	v_and_b32_e32 v40, 7, v16
	v_ffbh_u32_e32 v36, v40
	v_min_u32_e32 v42, 32, v36
	v_subrev_u32_e32 v36, 28, v42
	v_lshlrev_b64 v[36:37], v36, v[16:17]
	v_lshrrev_b32_e32 v41, 3, v31
	v_sub_u32_e32 v37, 29, v42
	v_and_b32_e32 v36, 7, v36
	v_cmp_gt_u32_e64 s[0:1], 8, v31
	v_cndmask_b32_e64 v31, v41, v37, s[0:1]
	v_cndmask_b32_e64 v36, v40, v36, s[0:1]
	v_lshlrev_b32_e32 v36, 20, v36
	v_and_b32_sdwa v16, sext(v16), s13 dst_sel:DWORD dst_unused:UNUSED_PAD src0_sel:BYTE_0 src1_sel:DWORD
	v_lshl_add_u32 v31, v31, 23, v55
	v_or3_b32 v16, v16, v31, v36
	v_pk_mov_b32 v[36:37], v[16:17], v[16:17] op_sel:[0,1]
.LBB198_264:                            ;   in Loop: Header=BB198_195 Depth=1
	s_or_b64 exec, exec, s[24:25]
.LBB198_265:                            ;   in Loop: Header=BB198_195 Depth=1
	s_or_b64 exec, exec, s[22:23]
.LBB198_266:                            ;   in Loop: Header=BB198_195 Depth=1
	s_or_b64 exec, exec, s[20:21]
	v_cmp_lt_u32_e64 s[0:1], s38, v30
	s_and_saveexec_b64 s[20:21], s[0:1]
	s_cbranch_execz .LBB198_272
; %bb.267:                              ;   in Loop: Header=BB198_195 Depth=1
	v_cmp_ne_u32_sdwa s[0:1], v30, s29 src0_sel:BYTE_3 src1_sel:DWORD
	v_pk_mov_b32 v[38:39], s[12:13], s[12:13] op_sel:[0,1]
	s_and_saveexec_b64 s[22:23], s[0:1]
	s_cbranch_execz .LBB198_271
; %bb.268:                              ;   in Loop: Header=BB198_195 Depth=1
	v_bfe_u32 v31, v30, 24, 7
	s_mov_b32 s10, s12
	v_cmp_ne_u32_e64 s[0:1], s30, v31
	v_pk_mov_b32 v[38:39], s[10:11], s[10:11] op_sel:[0,1]
	s_and_saveexec_b64 s[24:25], s[0:1]
	s_cbranch_execz .LBB198_270
; %bb.269:                              ;   in Loop: Header=BB198_195 Depth=1
	v_and_b32_sdwa v16, v30, v56 dst_sel:DWORD dst_unused:UNUSED_PAD src0_sel:BYTE_3 src1_sel:DWORD
	v_ffbh_u32_e32 v38, v16
	v_min_u32_e32 v41, 32, v38
	v_subrev_u32_e32 v38, 28, v41
	v_lshlrev_b64 v[38:39], v38, v[16:17]
	v_lshrrev_b32_e32 v40, 3, v31
	v_sub_u32_e32 v39, 29, v41
	v_cmp_gt_u32_e64 s[0:1], 8, v31
	v_and_b32_e32 v38, 7, v38
	v_cndmask_b32_e64 v31, v40, v39, s[0:1]
	v_cndmask_b32_e64 v16, v16, v38, s[0:1]
	v_lshlrev_b32_sdwa v30, v57, v30 dst_sel:DWORD dst_unused:UNUSED_PAD src0_sel:DWORD src1_sel:BYTE_3
	v_lshl_add_u32 v31, v31, 23, v55
	v_and_or_b32 v30, v30, s13, v31
	v_lshlrev_b32_e32 v16, 20, v16
	v_or_b32_e32 v39, v30, v16
	v_mov_b32_e32 v38, v17
.LBB198_270:                            ;   in Loop: Header=BB198_195 Depth=1
	s_or_b64 exec, exec, s[24:25]
.LBB198_271:                            ;   in Loop: Header=BB198_195 Depth=1
	s_or_b64 exec, exec, s[22:23]
.LBB198_272:                            ;   in Loop: Header=BB198_195 Depth=1
	s_or_b64 exec, exec, s[20:21]
	v_or_b32_e32 v31, v35, v33
	v_or_b32_e32 v30, v34, v32
	;; [unrolled: 1-line block ×4, first 2 shown]
	v_pk_mul_f32 v[30:31], s[16:17], v[30:31]
	v_pk_mul_f32 v[32:33], s[16:17], v[32:33]
	s_and_saveexec_b64 s[20:21], vcc
; %bb.273:                              ;   in Loop: Header=BB198_195 Depth=1
	v_cmp_gt_i32_e64 s[0:1], s41, v58
	v_cndmask_b32_e64 v30, 0, v30, s[0:1]
	v_cmp_gt_i32_e64 s[0:1], s41, v61
	v_cndmask_b32_e64 v31, 0, v31, s[0:1]
	;; [unrolled: 2-line block ×4, first 2 shown]
; %bb.274:                              ;   in Loop: Header=BB198_195 Depth=1
	s_or_b64 exec, exec, s[20:21]
	global_load_dword v34, v[22:23], off offset:768
	v_pk_mov_b32 v[38:39], 0, 0
	v_pk_mov_b32 v[36:37], v[38:39], v[38:39] op_sel:[0,1]
	s_waitcnt vmcnt(0)
	v_cmp_ne_u16_sdwa s[0:1], v34, v17 src0_sel:BYTE_0 src1_sel:DWORD
	s_and_saveexec_b64 s[20:21], s[0:1]
	s_cbranch_execz .LBB198_280
; %bb.275:                              ;   in Loop: Header=BB198_195 Depth=1
	v_bfrev_b32_e32 v36, 1
	v_cmp_ne_u16_sdwa s[0:1], v34, s29 src0_sel:BYTE_0 src1_sel:DWORD
	v_mov_b32_e32 v37, 0
	s_and_saveexec_b64 s[22:23], s[0:1]
	s_cbranch_execz .LBB198_279
; %bb.276:                              ;   in Loop: Header=BB198_195 Depth=1
	v_and_b32_e32 v16, 0x7f, v34
	v_mov_b32_e32 v36, 0x7f800001
	v_cmp_ne_u32_e64 s[0:1], s30, v16
	v_mov_b32_e32 v37, 0
	s_and_saveexec_b64 s[24:25], s[0:1]
	s_cbranch_execz .LBB198_278
; %bb.277:                              ;   in Loop: Header=BB198_195 Depth=1
	v_and_b32_e32 v35, 7, v34
	v_ffbh_u32_e32 v36, v35
	v_min_u32_e32 v41, 32, v36
	v_subrev_u32_e32 v36, 28, v41
	v_lshlrev_b64 v[36:37], v36, v[34:35]
	v_lshrrev_b32_e32 v40, 3, v16
	v_sub_u32_e32 v37, 29, v41
	v_and_b32_e32 v36, 7, v36
	v_cmp_gt_u32_e64 s[0:1], 8, v16
	v_cndmask_b32_e64 v16, v40, v37, s[0:1]
	v_cndmask_b32_e64 v35, v35, v36, s[0:1]
	v_lshlrev_b32_e32 v35, 20, v35
	v_and_b32_sdwa v36, sext(v34), s13 dst_sel:DWORD dst_unused:UNUSED_PAD src0_sel:BYTE_0 src1_sel:DWORD
	v_lshl_add_u32 v16, v16, 23, v55
	v_or3_b32 v16, v36, v16, v35
	v_pk_mov_b32 v[36:37], v[16:17], v[16:17] op_sel:[0,1]
.LBB198_278:                            ;   in Loop: Header=BB198_195 Depth=1
	s_or_b64 exec, exec, s[24:25]
.LBB198_279:                            ;   in Loop: Header=BB198_195 Depth=1
	s_or_b64 exec, exec, s[22:23]
.LBB198_280:                            ;   in Loop: Header=BB198_195 Depth=1
	s_or_b64 exec, exec, s[20:21]
	v_cmp_ne_u16_sdwa s[0:1], v34, v17 src0_sel:BYTE_1 src1_sel:DWORD
	s_and_saveexec_b64 s[20:21], s[0:1]
	s_cbranch_execz .LBB198_286
; %bb.281:                              ;   in Loop: Header=BB198_195 Depth=1
	v_cmp_ne_u16_sdwa s[0:1], v34, s29 src0_sel:BYTE_1 src1_sel:DWORD
	v_pk_mov_b32 v[38:39], s[12:13], s[12:13] op_sel:[0,1]
	s_and_saveexec_b64 s[22:23], s[0:1]
	s_cbranch_execz .LBB198_285
; %bb.282:                              ;   in Loop: Header=BB198_195 Depth=1
	v_and_b32_sdwa v35, v34, s30 dst_sel:DWORD dst_unused:UNUSED_PAD src0_sel:BYTE_1 src1_sel:DWORD
	s_mov_b32 s10, s12
	v_cmp_ne_u32_e64 s[0:1], s30, v35
	v_pk_mov_b32 v[38:39], s[10:11], s[10:11] op_sel:[0,1]
	s_and_saveexec_b64 s[24:25], s[0:1]
	s_cbranch_execz .LBB198_284
; %bb.283:                              ;   in Loop: Header=BB198_195 Depth=1
	v_and_b32_sdwa v16, v34, v56 dst_sel:DWORD dst_unused:UNUSED_PAD src0_sel:BYTE_1 src1_sel:DWORD
	v_ffbh_u32_e32 v38, v16
	v_min_u32_e32 v41, 32, v38
	v_subrev_u32_e32 v38, 28, v41
	v_lshlrev_b64 v[38:39], v38, v[16:17]
	v_lshrrev_b32_e32 v40, 3, v35
	v_sub_u32_e32 v39, 29, v41
	v_cmp_gt_u32_e64 s[0:1], 8, v35
	v_and_b32_e32 v38, 7, v38
	v_cndmask_b32_e64 v35, v40, v39, s[0:1]
	v_cndmask_b32_e64 v16, v16, v38, s[0:1]
	v_lshlrev_b32_e32 v38, 16, v34
	v_lshl_add_u32 v35, v35, 23, v55
	v_and_or_b32 v35, v38, s13, v35
	v_lshlrev_b32_e32 v16, 20, v16
	v_or_b32_e32 v39, v35, v16
	v_mov_b32_e32 v38, v17
.LBB198_284:                            ;   in Loop: Header=BB198_195 Depth=1
	s_or_b64 exec, exec, s[24:25]
.LBB198_285:                            ;   in Loop: Header=BB198_195 Depth=1
	s_or_b64 exec, exec, s[22:23]
.LBB198_286:                            ;   in Loop: Header=BB198_195 Depth=1
	s_or_b64 exec, exec, s[20:21]
	v_lshrrev_b32_e32 v16, 16, v34
	v_pk_mov_b32 v[42:43], 0, 0
	v_cmp_ne_u16_sdwa s[0:1], v16, v17 src0_sel:BYTE_0 src1_sel:DWORD
	v_pk_mov_b32 v[40:41], v[42:43], v[42:43] op_sel:[0,1]
	s_and_saveexec_b64 s[20:21], s[0:1]
	s_cbranch_execz .LBB198_292
; %bb.287:                              ;   in Loop: Header=BB198_195 Depth=1
	v_bfrev_b32_e32 v40, 1
	v_cmp_ne_u16_sdwa s[0:1], v16, s29 src0_sel:BYTE_0 src1_sel:DWORD
	v_mov_b32_e32 v41, 0
	s_and_saveexec_b64 s[22:23], s[0:1]
	s_cbranch_execz .LBB198_291
; %bb.288:                              ;   in Loop: Header=BB198_195 Depth=1
	v_bfe_u32 v35, v34, 16, 7
	v_mov_b32_e32 v40, 0x7f800001
	v_cmp_ne_u32_e64 s[0:1], s30, v35
	v_mov_b32_e32 v41, 0
	s_and_saveexec_b64 s[24:25], s[0:1]
	s_cbranch_execz .LBB198_290
; %bb.289:                              ;   in Loop: Header=BB198_195 Depth=1
	v_and_b32_e32 v44, 7, v16
	v_ffbh_u32_e32 v40, v44
	v_min_u32_e32 v46, 32, v40
	v_subrev_u32_e32 v40, 28, v46
	v_lshlrev_b64 v[40:41], v40, v[16:17]
	v_lshrrev_b32_e32 v45, 3, v35
	v_sub_u32_e32 v41, 29, v46
	v_and_b32_e32 v40, 7, v40
	v_cmp_gt_u32_e64 s[0:1], 8, v35
	v_cndmask_b32_e64 v35, v45, v41, s[0:1]
	v_cndmask_b32_e64 v40, v44, v40, s[0:1]
	v_lshlrev_b32_e32 v40, 20, v40
	v_and_b32_sdwa v16, sext(v16), s13 dst_sel:DWORD dst_unused:UNUSED_PAD src0_sel:BYTE_0 src1_sel:DWORD
	v_lshl_add_u32 v35, v35, 23, v55
	v_or3_b32 v16, v16, v35, v40
	v_pk_mov_b32 v[40:41], v[16:17], v[16:17] op_sel:[0,1]
.LBB198_290:                            ;   in Loop: Header=BB198_195 Depth=1
	s_or_b64 exec, exec, s[24:25]
.LBB198_291:                            ;   in Loop: Header=BB198_195 Depth=1
	s_or_b64 exec, exec, s[22:23]
.LBB198_292:                            ;   in Loop: Header=BB198_195 Depth=1
	s_or_b64 exec, exec, s[20:21]
	v_cmp_lt_u32_e64 s[0:1], s38, v34
	s_and_saveexec_b64 s[20:21], s[0:1]
	s_cbranch_execz .LBB198_298
; %bb.293:                              ;   in Loop: Header=BB198_195 Depth=1
	v_cmp_ne_u32_sdwa s[0:1], v34, s29 src0_sel:BYTE_3 src1_sel:DWORD
	v_pk_mov_b32 v[42:43], s[12:13], s[12:13] op_sel:[0,1]
	s_and_saveexec_b64 s[22:23], s[0:1]
	s_cbranch_execz .LBB198_297
; %bb.294:                              ;   in Loop: Header=BB198_195 Depth=1
	v_bfe_u32 v35, v34, 24, 7
	s_mov_b32 s10, s12
	v_cmp_ne_u32_e64 s[0:1], s30, v35
	v_pk_mov_b32 v[42:43], s[10:11], s[10:11] op_sel:[0,1]
	s_and_saveexec_b64 s[24:25], s[0:1]
	s_cbranch_execz .LBB198_296
; %bb.295:                              ;   in Loop: Header=BB198_195 Depth=1
	v_and_b32_sdwa v16, v34, v56 dst_sel:DWORD dst_unused:UNUSED_PAD src0_sel:BYTE_3 src1_sel:DWORD
	v_ffbh_u32_e32 v42, v16
	v_min_u32_e32 v45, 32, v42
	v_subrev_u32_e32 v42, 28, v45
	v_lshlrev_b64 v[42:43], v42, v[16:17]
	v_lshrrev_b32_e32 v44, 3, v35
	v_sub_u32_e32 v43, 29, v45
	v_cmp_gt_u32_e64 s[0:1], 8, v35
	v_and_b32_e32 v42, 7, v42
	v_cndmask_b32_e64 v35, v44, v43, s[0:1]
	v_cndmask_b32_e64 v16, v16, v42, s[0:1]
	v_lshlrev_b32_sdwa v34, v57, v34 dst_sel:DWORD dst_unused:UNUSED_PAD src0_sel:DWORD src1_sel:BYTE_3
	v_lshl_add_u32 v35, v35, 23, v55
	v_and_or_b32 v34, v34, s13, v35
	v_lshlrev_b32_e32 v16, 20, v16
	v_or_b32_e32 v43, v34, v16
	v_mov_b32_e32 v42, v17
.LBB198_296:                            ;   in Loop: Header=BB198_195 Depth=1
	s_or_b64 exec, exec, s[24:25]
.LBB198_297:                            ;   in Loop: Header=BB198_195 Depth=1
	s_or_b64 exec, exec, s[22:23]
.LBB198_298:                            ;   in Loop: Header=BB198_195 Depth=1
	s_or_b64 exec, exec, s[20:21]
	v_or_b32_e32 v35, v39, v37
	v_or_b32_e32 v34, v38, v36
	;; [unrolled: 1-line block ×4, first 2 shown]
	v_pk_mul_f32 v[34:35], s[16:17], v[34:35]
	v_pk_mul_f32 v[36:37], s[16:17], v[36:37]
	s_and_saveexec_b64 s[20:21], vcc
; %bb.299:                              ;   in Loop: Header=BB198_195 Depth=1
	v_cmp_gt_i32_e64 s[0:1], s41, v58
	v_cndmask_b32_e64 v34, 0, v34, s[0:1]
	v_cmp_gt_i32_e64 s[0:1], s41, v61
	v_cndmask_b32_e64 v35, 0, v35, s[0:1]
	;; [unrolled: 2-line block ×4, first 2 shown]
; %bb.300:                              ;   in Loop: Header=BB198_195 Depth=1
	s_or_b64 exec, exec, s[20:21]
	global_load_dword v38, v[22:23], off offset:1024
	v_pk_mov_b32 v[42:43], 0, 0
	v_pk_mov_b32 v[40:41], v[42:43], v[42:43] op_sel:[0,1]
	s_waitcnt vmcnt(0)
	v_cmp_ne_u16_sdwa s[0:1], v38, v17 src0_sel:BYTE_0 src1_sel:DWORD
	s_and_saveexec_b64 s[20:21], s[0:1]
	s_cbranch_execz .LBB198_306
; %bb.301:                              ;   in Loop: Header=BB198_195 Depth=1
	v_bfrev_b32_e32 v40, 1
	v_cmp_ne_u16_sdwa s[0:1], v38, s29 src0_sel:BYTE_0 src1_sel:DWORD
	v_mov_b32_e32 v41, 0
	s_and_saveexec_b64 s[22:23], s[0:1]
	s_cbranch_execz .LBB198_305
; %bb.302:                              ;   in Loop: Header=BB198_195 Depth=1
	v_and_b32_e32 v16, 0x7f, v38
	v_mov_b32_e32 v40, 0x7f800001
	v_cmp_ne_u32_e64 s[0:1], s30, v16
	v_mov_b32_e32 v41, 0
	s_and_saveexec_b64 s[24:25], s[0:1]
	s_cbranch_execz .LBB198_304
; %bb.303:                              ;   in Loop: Header=BB198_195 Depth=1
	v_and_b32_e32 v39, 7, v38
	v_ffbh_u32_e32 v40, v39
	v_min_u32_e32 v45, 32, v40
	v_subrev_u32_e32 v40, 28, v45
	v_lshlrev_b64 v[40:41], v40, v[38:39]
	v_lshrrev_b32_e32 v44, 3, v16
	v_sub_u32_e32 v41, 29, v45
	v_and_b32_e32 v40, 7, v40
	v_cmp_gt_u32_e64 s[0:1], 8, v16
	v_cndmask_b32_e64 v16, v44, v41, s[0:1]
	v_cndmask_b32_e64 v39, v39, v40, s[0:1]
	v_lshlrev_b32_e32 v39, 20, v39
	v_and_b32_sdwa v40, sext(v38), s13 dst_sel:DWORD dst_unused:UNUSED_PAD src0_sel:BYTE_0 src1_sel:DWORD
	v_lshl_add_u32 v16, v16, 23, v55
	v_or3_b32 v16, v40, v16, v39
	v_pk_mov_b32 v[40:41], v[16:17], v[16:17] op_sel:[0,1]
.LBB198_304:                            ;   in Loop: Header=BB198_195 Depth=1
	s_or_b64 exec, exec, s[24:25]
.LBB198_305:                            ;   in Loop: Header=BB198_195 Depth=1
	s_or_b64 exec, exec, s[22:23]
.LBB198_306:                            ;   in Loop: Header=BB198_195 Depth=1
	s_or_b64 exec, exec, s[20:21]
	v_cmp_ne_u16_sdwa s[0:1], v38, v17 src0_sel:BYTE_1 src1_sel:DWORD
	s_and_saveexec_b64 s[20:21], s[0:1]
	s_cbranch_execz .LBB198_312
; %bb.307:                              ;   in Loop: Header=BB198_195 Depth=1
	v_cmp_ne_u16_sdwa s[0:1], v38, s29 src0_sel:BYTE_1 src1_sel:DWORD
	v_pk_mov_b32 v[42:43], s[12:13], s[12:13] op_sel:[0,1]
	s_and_saveexec_b64 s[22:23], s[0:1]
	s_cbranch_execz .LBB198_311
; %bb.308:                              ;   in Loop: Header=BB198_195 Depth=1
	v_and_b32_sdwa v39, v38, s30 dst_sel:DWORD dst_unused:UNUSED_PAD src0_sel:BYTE_1 src1_sel:DWORD
	s_mov_b32 s10, s12
	v_cmp_ne_u32_e64 s[0:1], s30, v39
	v_pk_mov_b32 v[42:43], s[10:11], s[10:11] op_sel:[0,1]
	s_and_saveexec_b64 s[24:25], s[0:1]
	s_cbranch_execz .LBB198_310
; %bb.309:                              ;   in Loop: Header=BB198_195 Depth=1
	v_and_b32_sdwa v16, v38, v56 dst_sel:DWORD dst_unused:UNUSED_PAD src0_sel:BYTE_1 src1_sel:DWORD
	v_ffbh_u32_e32 v42, v16
	v_min_u32_e32 v45, 32, v42
	v_subrev_u32_e32 v42, 28, v45
	v_lshlrev_b64 v[42:43], v42, v[16:17]
	v_lshrrev_b32_e32 v44, 3, v39
	v_sub_u32_e32 v43, 29, v45
	v_cmp_gt_u32_e64 s[0:1], 8, v39
	v_and_b32_e32 v42, 7, v42
	v_cndmask_b32_e64 v39, v44, v43, s[0:1]
	v_cndmask_b32_e64 v16, v16, v42, s[0:1]
	v_lshlrev_b32_e32 v42, 16, v38
	v_lshl_add_u32 v39, v39, 23, v55
	v_and_or_b32 v39, v42, s13, v39
	v_lshlrev_b32_e32 v16, 20, v16
	v_or_b32_e32 v43, v39, v16
	v_mov_b32_e32 v42, v17
.LBB198_310:                            ;   in Loop: Header=BB198_195 Depth=1
	s_or_b64 exec, exec, s[24:25]
.LBB198_311:                            ;   in Loop: Header=BB198_195 Depth=1
	s_or_b64 exec, exec, s[22:23]
.LBB198_312:                            ;   in Loop: Header=BB198_195 Depth=1
	s_or_b64 exec, exec, s[20:21]
	v_lshrrev_b32_e32 v16, 16, v38
	v_pk_mov_b32 v[46:47], 0, 0
	v_cmp_ne_u16_sdwa s[0:1], v16, v17 src0_sel:BYTE_0 src1_sel:DWORD
	v_pk_mov_b32 v[44:45], v[46:47], v[46:47] op_sel:[0,1]
	s_and_saveexec_b64 s[20:21], s[0:1]
	s_cbranch_execz .LBB198_318
; %bb.313:                              ;   in Loop: Header=BB198_195 Depth=1
	v_bfrev_b32_e32 v44, 1
	v_cmp_ne_u16_sdwa s[0:1], v16, s29 src0_sel:BYTE_0 src1_sel:DWORD
	v_mov_b32_e32 v45, 0
	s_and_saveexec_b64 s[22:23], s[0:1]
	s_cbranch_execz .LBB198_317
; %bb.314:                              ;   in Loop: Header=BB198_195 Depth=1
	v_bfe_u32 v39, v38, 16, 7
	v_mov_b32_e32 v44, 0x7f800001
	v_cmp_ne_u32_e64 s[0:1], s30, v39
	v_mov_b32_e32 v45, 0
	s_and_saveexec_b64 s[24:25], s[0:1]
	s_cbranch_execz .LBB198_316
; %bb.315:                              ;   in Loop: Header=BB198_195 Depth=1
	v_and_b32_e32 v48, 7, v16
	v_ffbh_u32_e32 v44, v48
	v_min_u32_e32 v62, 32, v44
	v_subrev_u32_e32 v44, 28, v62
	v_lshlrev_b64 v[44:45], v44, v[16:17]
	v_lshrrev_b32_e32 v49, 3, v39
	v_sub_u32_e32 v45, 29, v62
	v_and_b32_e32 v44, 7, v44
	v_cmp_gt_u32_e64 s[0:1], 8, v39
	v_cndmask_b32_e64 v39, v49, v45, s[0:1]
	v_cndmask_b32_e64 v44, v48, v44, s[0:1]
	v_lshlrev_b32_e32 v44, 20, v44
	v_and_b32_sdwa v16, sext(v16), s13 dst_sel:DWORD dst_unused:UNUSED_PAD src0_sel:BYTE_0 src1_sel:DWORD
	v_lshl_add_u32 v39, v39, 23, v55
	v_or3_b32 v16, v16, v39, v44
	v_pk_mov_b32 v[44:45], v[16:17], v[16:17] op_sel:[0,1]
.LBB198_316:                            ;   in Loop: Header=BB198_195 Depth=1
	s_or_b64 exec, exec, s[24:25]
.LBB198_317:                            ;   in Loop: Header=BB198_195 Depth=1
	s_or_b64 exec, exec, s[22:23]
.LBB198_318:                            ;   in Loop: Header=BB198_195 Depth=1
	s_or_b64 exec, exec, s[20:21]
	v_cmp_lt_u32_e64 s[0:1], s38, v38
	s_and_saveexec_b64 s[20:21], s[0:1]
	s_cbranch_execz .LBB198_324
; %bb.319:                              ;   in Loop: Header=BB198_195 Depth=1
	v_cmp_ne_u32_sdwa s[0:1], v38, s29 src0_sel:BYTE_3 src1_sel:DWORD
	v_pk_mov_b32 v[46:47], s[12:13], s[12:13] op_sel:[0,1]
	s_and_saveexec_b64 s[22:23], s[0:1]
	s_cbranch_execz .LBB198_323
; %bb.320:                              ;   in Loop: Header=BB198_195 Depth=1
	v_bfe_u32 v39, v38, 24, 7
	s_mov_b32 s10, s12
	v_cmp_ne_u32_e64 s[0:1], s30, v39
	v_pk_mov_b32 v[46:47], s[10:11], s[10:11] op_sel:[0,1]
	s_and_saveexec_b64 s[24:25], s[0:1]
	s_cbranch_execz .LBB198_322
; %bb.321:                              ;   in Loop: Header=BB198_195 Depth=1
	v_and_b32_sdwa v16, v38, v56 dst_sel:DWORD dst_unused:UNUSED_PAD src0_sel:BYTE_3 src1_sel:DWORD
	v_ffbh_u32_e32 v46, v16
	v_min_u32_e32 v49, 32, v46
	v_subrev_u32_e32 v46, 28, v49
	v_lshlrev_b64 v[46:47], v46, v[16:17]
	v_lshrrev_b32_e32 v48, 3, v39
	v_sub_u32_e32 v47, 29, v49
	v_cmp_gt_u32_e64 s[0:1], 8, v39
	v_and_b32_e32 v46, 7, v46
	v_cndmask_b32_e64 v39, v48, v47, s[0:1]
	v_cndmask_b32_e64 v16, v16, v46, s[0:1]
	v_lshlrev_b32_sdwa v38, v57, v38 dst_sel:DWORD dst_unused:UNUSED_PAD src0_sel:DWORD src1_sel:BYTE_3
	v_lshl_add_u32 v39, v39, 23, v55
	v_and_or_b32 v38, v38, s13, v39
	v_lshlrev_b32_e32 v16, 20, v16
	v_or_b32_e32 v47, v38, v16
	v_mov_b32_e32 v46, v17
.LBB198_322:                            ;   in Loop: Header=BB198_195 Depth=1
	s_or_b64 exec, exec, s[24:25]
.LBB198_323:                            ;   in Loop: Header=BB198_195 Depth=1
	s_or_b64 exec, exec, s[22:23]
.LBB198_324:                            ;   in Loop: Header=BB198_195 Depth=1
	s_or_b64 exec, exec, s[20:21]
	v_or_b32_e32 v39, v43, v41
	v_or_b32_e32 v38, v42, v40
	;; [unrolled: 1-line block ×4, first 2 shown]
	v_pk_mul_f32 v[38:39], s[16:17], v[38:39]
	v_pk_mul_f32 v[40:41], s[16:17], v[40:41]
	s_and_saveexec_b64 s[20:21], vcc
; %bb.325:                              ;   in Loop: Header=BB198_195 Depth=1
	v_cmp_gt_i32_e64 s[0:1], s41, v58
	v_cndmask_b32_e64 v38, 0, v38, s[0:1]
	v_cmp_gt_i32_e64 s[0:1], s41, v61
	v_cndmask_b32_e64 v39, 0, v39, s[0:1]
	v_cmp_gt_i32_e64 s[0:1], s41, v60
	v_cndmask_b32_e64 v40, 0, v40, s[0:1]
	v_cmp_gt_i32_e64 s[0:1], s41, v59
	v_cndmask_b32_e64 v41, 0, v41, s[0:1]
; %bb.326:                              ;   in Loop: Header=BB198_195 Depth=1
	s_or_b64 exec, exec, s[20:21]
	global_load_dword v22, v[22:23], off offset:1280
	v_pk_mov_b32 v[44:45], 0, 0
	v_pk_mov_b32 v[42:43], v[44:45], v[44:45] op_sel:[0,1]
	s_waitcnt vmcnt(0)
	v_cmp_ne_u16_sdwa s[0:1], v22, v17 src0_sel:BYTE_0 src1_sel:DWORD
	s_and_saveexec_b64 s[20:21], s[0:1]
	s_cbranch_execz .LBB198_332
; %bb.327:                              ;   in Loop: Header=BB198_195 Depth=1
	v_bfrev_b32_e32 v42, 1
	v_cmp_ne_u16_sdwa s[0:1], v22, s29 src0_sel:BYTE_0 src1_sel:DWORD
	v_mov_b32_e32 v43, 0
	s_and_saveexec_b64 s[22:23], s[0:1]
	s_cbranch_execz .LBB198_331
; %bb.328:                              ;   in Loop: Header=BB198_195 Depth=1
	v_and_b32_e32 v16, 0x7f, v22
	v_mov_b32_e32 v42, 0x7f800001
	v_cmp_ne_u32_e64 s[0:1], s30, v16
	v_mov_b32_e32 v43, 0
	s_and_saveexec_b64 s[24:25], s[0:1]
	s_cbranch_execz .LBB198_330
; %bb.329:                              ;   in Loop: Header=BB198_195 Depth=1
	v_and_b32_e32 v23, 7, v22
	v_ffbh_u32_e32 v42, v23
	v_min_u32_e32 v47, 32, v42
	v_subrev_u32_e32 v42, 28, v47
	v_lshlrev_b64 v[42:43], v42, v[22:23]
	v_lshrrev_b32_e32 v46, 3, v16
	v_sub_u32_e32 v43, 29, v47
	v_and_b32_e32 v42, 7, v42
	v_cmp_gt_u32_e64 s[0:1], 8, v16
	v_cndmask_b32_e64 v16, v46, v43, s[0:1]
	v_cndmask_b32_e64 v23, v23, v42, s[0:1]
	v_lshlrev_b32_e32 v23, 20, v23
	v_and_b32_sdwa v42, sext(v22), s13 dst_sel:DWORD dst_unused:UNUSED_PAD src0_sel:BYTE_0 src1_sel:DWORD
	v_lshl_add_u32 v16, v16, 23, v55
	v_or3_b32 v16, v42, v16, v23
	v_pk_mov_b32 v[42:43], v[16:17], v[16:17] op_sel:[0,1]
.LBB198_330:                            ;   in Loop: Header=BB198_195 Depth=1
	s_or_b64 exec, exec, s[24:25]
.LBB198_331:                            ;   in Loop: Header=BB198_195 Depth=1
	s_or_b64 exec, exec, s[22:23]
.LBB198_332:                            ;   in Loop: Header=BB198_195 Depth=1
	s_or_b64 exec, exec, s[20:21]
	v_cmp_ne_u16_sdwa s[0:1], v22, v17 src0_sel:BYTE_1 src1_sel:DWORD
	s_and_saveexec_b64 s[20:21], s[0:1]
	s_cbranch_execz .LBB198_338
; %bb.333:                              ;   in Loop: Header=BB198_195 Depth=1
	v_cmp_ne_u16_sdwa s[0:1], v22, s29 src0_sel:BYTE_1 src1_sel:DWORD
	v_pk_mov_b32 v[44:45], s[12:13], s[12:13] op_sel:[0,1]
	s_and_saveexec_b64 s[22:23], s[0:1]
	s_cbranch_execz .LBB198_337
; %bb.334:                              ;   in Loop: Header=BB198_195 Depth=1
	v_and_b32_sdwa v23, v22, s30 dst_sel:DWORD dst_unused:UNUSED_PAD src0_sel:BYTE_1 src1_sel:DWORD
	s_mov_b32 s10, s12
	v_cmp_ne_u32_e64 s[0:1], s30, v23
	v_pk_mov_b32 v[44:45], s[10:11], s[10:11] op_sel:[0,1]
	s_and_saveexec_b64 s[24:25], s[0:1]
	s_cbranch_execz .LBB198_336
; %bb.335:                              ;   in Loop: Header=BB198_195 Depth=1
	v_and_b32_sdwa v16, v22, v56 dst_sel:DWORD dst_unused:UNUSED_PAD src0_sel:BYTE_1 src1_sel:DWORD
	v_ffbh_u32_e32 v44, v16
	v_min_u32_e32 v47, 32, v44
	v_subrev_u32_e32 v44, 28, v47
	v_lshlrev_b64 v[44:45], v44, v[16:17]
	v_lshrrev_b32_e32 v46, 3, v23
	v_sub_u32_e32 v45, 29, v47
	v_cmp_gt_u32_e64 s[0:1], 8, v23
	v_and_b32_e32 v44, 7, v44
	v_cndmask_b32_e64 v23, v46, v45, s[0:1]
	v_cndmask_b32_e64 v16, v16, v44, s[0:1]
	v_lshlrev_b32_e32 v44, 16, v22
	v_lshl_add_u32 v23, v23, 23, v55
	v_and_or_b32 v23, v44, s13, v23
	v_lshlrev_b32_e32 v16, 20, v16
	v_or_b32_e32 v45, v23, v16
	v_mov_b32_e32 v44, v17
.LBB198_336:                            ;   in Loop: Header=BB198_195 Depth=1
	s_or_b64 exec, exec, s[24:25]
.LBB198_337:                            ;   in Loop: Header=BB198_195 Depth=1
	s_or_b64 exec, exec, s[22:23]
.LBB198_338:                            ;   in Loop: Header=BB198_195 Depth=1
	s_or_b64 exec, exec, s[20:21]
	v_lshrrev_b32_e32 v16, 16, v22
	v_pk_mov_b32 v[48:49], 0, 0
	v_cmp_ne_u16_sdwa s[0:1], v16, v17 src0_sel:BYTE_0 src1_sel:DWORD
	v_pk_mov_b32 v[46:47], v[48:49], v[48:49] op_sel:[0,1]
	s_and_saveexec_b64 s[20:21], s[0:1]
	s_cbranch_execz .LBB198_344
; %bb.339:                              ;   in Loop: Header=BB198_195 Depth=1
	v_bfrev_b32_e32 v46, 1
	v_cmp_ne_u16_sdwa s[0:1], v16, s29 src0_sel:BYTE_0 src1_sel:DWORD
	v_mov_b32_e32 v47, 0
	s_and_saveexec_b64 s[22:23], s[0:1]
	s_cbranch_execz .LBB198_343
; %bb.340:                              ;   in Loop: Header=BB198_195 Depth=1
	v_bfe_u32 v23, v22, 16, 7
	v_mov_b32_e32 v46, 0x7f800001
	v_cmp_ne_u32_e64 s[0:1], s30, v23
	v_mov_b32_e32 v47, 0
	s_and_saveexec_b64 s[24:25], s[0:1]
	s_cbranch_execz .LBB198_342
; %bb.341:                              ;   in Loop: Header=BB198_195 Depth=1
	v_and_b32_e32 v62, 7, v16
	v_ffbh_u32_e32 v46, v62
	v_min_u32_e32 v64, 32, v46
	v_subrev_u32_e32 v46, 28, v64
	v_lshlrev_b64 v[46:47], v46, v[16:17]
	v_lshrrev_b32_e32 v63, 3, v23
	v_sub_u32_e32 v47, 29, v64
	v_and_b32_e32 v46, 7, v46
	v_cmp_gt_u32_e64 s[0:1], 8, v23
	v_cndmask_b32_e64 v23, v63, v47, s[0:1]
	v_cndmask_b32_e64 v46, v62, v46, s[0:1]
	v_lshlrev_b32_e32 v46, 20, v46
	v_and_b32_sdwa v16, sext(v16), s13 dst_sel:DWORD dst_unused:UNUSED_PAD src0_sel:BYTE_0 src1_sel:DWORD
	v_lshl_add_u32 v23, v23, 23, v55
	v_or3_b32 v16, v16, v23, v46
	v_pk_mov_b32 v[46:47], v[16:17], v[16:17] op_sel:[0,1]
.LBB198_342:                            ;   in Loop: Header=BB198_195 Depth=1
	s_or_b64 exec, exec, s[24:25]
.LBB198_343:                            ;   in Loop: Header=BB198_195 Depth=1
	s_or_b64 exec, exec, s[22:23]
.LBB198_344:                            ;   in Loop: Header=BB198_195 Depth=1
	s_or_b64 exec, exec, s[20:21]
	v_cmp_lt_u32_e64 s[0:1], s38, v22
	s_and_saveexec_b64 s[20:21], s[0:1]
	s_cbranch_execz .LBB198_350
; %bb.345:                              ;   in Loop: Header=BB198_195 Depth=1
	v_cmp_ne_u32_sdwa s[0:1], v22, s29 src0_sel:BYTE_3 src1_sel:DWORD
	v_pk_mov_b32 v[48:49], s[12:13], s[12:13] op_sel:[0,1]
	s_and_saveexec_b64 s[22:23], s[0:1]
	s_cbranch_execz .LBB198_349
; %bb.346:                              ;   in Loop: Header=BB198_195 Depth=1
	v_bfe_u32 v23, v22, 24, 7
	s_mov_b32 s10, s12
	v_cmp_ne_u32_e64 s[0:1], s30, v23
	v_pk_mov_b32 v[48:49], s[10:11], s[10:11] op_sel:[0,1]
	s_and_saveexec_b64 s[24:25], s[0:1]
	s_cbranch_execz .LBB198_348
; %bb.347:                              ;   in Loop: Header=BB198_195 Depth=1
	v_and_b32_sdwa v16, v22, v56 dst_sel:DWORD dst_unused:UNUSED_PAD src0_sel:BYTE_3 src1_sel:DWORD
	v_ffbh_u32_e32 v48, v16
	v_min_u32_e32 v63, 32, v48
	v_subrev_u32_e32 v48, 28, v63
	v_lshlrev_b64 v[48:49], v48, v[16:17]
	v_lshrrev_b32_e32 v62, 3, v23
	v_sub_u32_e32 v49, 29, v63
	v_cmp_gt_u32_e64 s[0:1], 8, v23
	v_and_b32_e32 v48, 7, v48
	v_cndmask_b32_e64 v23, v62, v49, s[0:1]
	v_cndmask_b32_e64 v16, v16, v48, s[0:1]
	v_lshlrev_b32_sdwa v22, v57, v22 dst_sel:DWORD dst_unused:UNUSED_PAD src0_sel:DWORD src1_sel:BYTE_3
	v_lshl_add_u32 v23, v23, 23, v55
	v_and_or_b32 v22, v22, s13, v23
	v_lshlrev_b32_e32 v16, 20, v16
	v_or_b32_e32 v49, v22, v16
	v_mov_b32_e32 v48, v17
.LBB198_348:                            ;   in Loop: Header=BB198_195 Depth=1
	s_or_b64 exec, exec, s[24:25]
.LBB198_349:                            ;   in Loop: Header=BB198_195 Depth=1
	s_or_b64 exec, exec, s[22:23]
.LBB198_350:                            ;   in Loop: Header=BB198_195 Depth=1
	s_or_b64 exec, exec, s[20:21]
	v_or_b32_e32 v23, v45, v43
	v_or_b32_e32 v22, v44, v42
	;; [unrolled: 1-line block ×4, first 2 shown]
	v_pk_mul_f32 v[22:23], s[16:17], v[22:23]
	v_pk_mul_f32 v[42:43], s[16:17], v[42:43]
	s_and_saveexec_b64 s[0:1], vcc
	s_cbranch_execz .LBB198_193
; %bb.351:                              ;   in Loop: Header=BB198_195 Depth=1
	v_cmp_gt_i32_e32 vcc, s41, v58
	v_cndmask_b32_e32 v22, 0, v22, vcc
	v_cmp_gt_i32_e32 vcc, s41, v61
	v_cndmask_b32_e32 v23, 0, v23, vcc
	;; [unrolled: 2-line block ×4, first 2 shown]
	s_branch .LBB198_193
.LBB198_352:
	s_or_b64 exec, exec, s[6:7]
.LBB198_353:
	s_or_b64 exec, exec, s[4:5]
	ds_bpermute_b32 v8, v51, v2
	ds_bpermute_b32 v9, v51, v3
	;; [unrolled: 1-line block ×6, first 2 shown]
	v_and_b32_e32 v1, 0x3c1, v0
	s_waitcnt lgkmcnt(4)
	v_pk_add_f32 v[8:9], v[2:3], v[8:9]
	s_waitcnt lgkmcnt(2)
	v_pk_add_f32 v[2:3], v[4:5], v[10:11]
	v_cmp_eq_u32_e32 vcc, 64, v1
	s_waitcnt lgkmcnt(0)
	v_pk_add_f32 v[4:5], v[6:7], v[12:13]
	s_barrier
	s_and_saveexec_b64 s[0:1], vcc
	s_cbranch_execz .LBB198_355
; %bb.354:
	v_mov_b32_e32 v6, 0x310
	v_lshl_add_u32 v6, v50, 1, v6
	ds_write2_b32 v6, v8, v9 offset1:32
	ds_write2_b32 v6, v2, v3 offset0:64 offset1:96
	ds_write2_b32 v6, v4, v5 offset0:128 offset1:160
.LBB198_355:
	s_or_b64 exec, exec, s[0:1]
	v_cmp_gt_u32_e32 vcc, 64, v0
	s_waitcnt lgkmcnt(0)
	s_barrier
	s_and_saveexec_b64 s[0:1], vcc
	s_cbranch_execz .LBB198_364
; %bb.356:
	v_cmp_eq_u32_e32 vcc, 0, v52
	v_lshrrev_b32_e32 v6, 1, v0
	s_and_saveexec_b64 s[4:5], vcc
	s_cbranch_execnz .LBB198_367
; %bb.357:
	s_or_b64 exec, exec, s[4:5]
	s_and_saveexec_b64 s[4:5], vcc
	s_cbranch_execnz .LBB198_368
.LBB198_358:
	s_or_b64 exec, exec, s[4:5]
	s_and_saveexec_b64 s[4:5], vcc
	s_cbranch_execnz .LBB198_369
.LBB198_359:
	s_or_b64 exec, exec, s[4:5]
	s_and_saveexec_b64 s[4:5], vcc
	s_cbranch_execnz .LBB198_370
.LBB198_360:
	s_or_b64 exec, exec, s[4:5]
	s_and_saveexec_b64 s[4:5], vcc
	s_cbranch_execnz .LBB198_371
.LBB198_361:
	s_or_b64 exec, exec, s[4:5]
	s_and_saveexec_b64 s[4:5], vcc
	s_cbranch_execz .LBB198_363
.LBB198_362:
	v_mov_b32_e32 v7, 0x310
	v_lshl_add_u32 v6, v6, 2, v7
	ds_read_b32 v6, v6 offset:640
	s_waitcnt lgkmcnt(0)
	v_add_f32_e32 v5, v5, v6
.LBB198_363:
	s_or_b64 exec, exec, s[4:5]
.LBB198_364:
	s_or_b64 exec, exec, s[0:1]
	v_cmp_eq_u32_e32 vcc, 0, v1
	s_barrier
	s_and_saveexec_b64 s[0:1], vcc
	s_cbranch_execz .LBB198_366
; %bb.365:
	s_mul_i32 s0, s2, 0xc0
	s_ashr_i32 s1, s0, 31
	s_lshl_b64 s[0:1], s[0:1], 2
	s_add_u32 s2, s34, s0
	s_mul_i32 s0, s33, s36
	s_addc_u32 s3, s35, s1
	s_ashr_i32 s1, s0, 31
	s_lshl_b64 s[0:1], s[0:1], 2
	s_add_u32 s2, s2, s0
	s_mul_i32 s0, s8, 0xc0
	s_addc_u32 s3, s3, s1
	s_ashr_i32 s1, s0, 31
	s_lshl_b64 s[0:1], s[0:1], 2
	s_add_u32 s0, s2, s0
	s_addc_u32 s1, s3, s1
	v_lshlrev_b32_e32 v0, 1, v0
	global_store_dword v0, v8, s[0:1]
	global_store_dword v0, v9, s[0:1] offset:128
	global_store_dword v0, v2, s[0:1] offset:256
	;; [unrolled: 1-line block ×5, first 2 shown]
.LBB198_366:
	s_endpgm
.LBB198_367:
	v_mov_b32_e32 v7, 0x310
	v_lshl_add_u32 v7, v6, 2, v7
	ds_read_b32 v7, v7
	s_waitcnt lgkmcnt(0)
	v_add_f32_e32 v8, v8, v7
	s_or_b64 exec, exec, s[4:5]
	s_and_saveexec_b64 s[4:5], vcc
	s_cbranch_execz .LBB198_358
.LBB198_368:
	v_mov_b32_e32 v7, 0x310
	v_lshl_add_u32 v7, v6, 2, v7
	ds_read_b32 v7, v7 offset:128
	s_waitcnt lgkmcnt(0)
	v_add_f32_e32 v9, v9, v7
	s_or_b64 exec, exec, s[4:5]
	s_and_saveexec_b64 s[4:5], vcc
	s_cbranch_execz .LBB198_359
.LBB198_369:
	v_mov_b32_e32 v7, 0x310
	v_lshl_add_u32 v7, v6, 2, v7
	ds_read_b32 v7, v7 offset:256
	s_waitcnt lgkmcnt(0)
	v_add_f32_e32 v2, v2, v7
	s_or_b64 exec, exec, s[4:5]
	s_and_saveexec_b64 s[4:5], vcc
	s_cbranch_execz .LBB198_360
.LBB198_370:
	v_mov_b32_e32 v7, 0x310
	v_lshl_add_u32 v7, v6, 2, v7
	ds_read_b32 v7, v7 offset:384
	s_waitcnt lgkmcnt(0)
	v_add_f32_e32 v3, v3, v7
	s_or_b64 exec, exec, s[4:5]
	s_and_saveexec_b64 s[4:5], vcc
	s_cbranch_execz .LBB198_361
.LBB198_371:
	v_mov_b32_e32 v7, 0x310
	v_lshl_add_u32 v7, v6, 2, v7
	ds_read_b32 v7, v7 offset:512
	s_waitcnt lgkmcnt(0)
	v_add_f32_e32 v4, v4, v7
	s_or_b64 exec, exec, s[4:5]
	s_and_saveexec_b64 s[4:5], vcc
	s_cbranch_execnz .LBB198_362
	s_branch .LBB198_363
	.section	.rodata,"a",@progbits
	.p2align	6, 0x0
	.amdhsa_kernel _ZN4vllm25paged_attention_v2_kernelIfhLi192ELi8ELi128ELNS_18Fp8KVCacheDataTypeE1ELb1ELi512EEEvPfS2_PT_PKS3_PKT0_S9_ifPKiSB_iPKfiiiSD_SD_iiiii
		.amdhsa_group_segment_fixed_size 784
		.amdhsa_private_segment_fixed_size 0
		.amdhsa_kernarg_size 400
		.amdhsa_user_sgpr_count 6
		.amdhsa_user_sgpr_private_segment_buffer 1
		.amdhsa_user_sgpr_dispatch_ptr 0
		.amdhsa_user_sgpr_queue_ptr 0
		.amdhsa_user_sgpr_kernarg_segment_ptr 1
		.amdhsa_user_sgpr_dispatch_id 0
		.amdhsa_user_sgpr_flat_scratch_init 0
		.amdhsa_user_sgpr_kernarg_preload_length 0
		.amdhsa_user_sgpr_kernarg_preload_offset 0
		.amdhsa_user_sgpr_private_segment_size 0
		.amdhsa_uses_dynamic_stack 0
		.amdhsa_system_sgpr_private_segment_wavefront_offset 0
		.amdhsa_system_sgpr_workgroup_id_x 1
		.amdhsa_system_sgpr_workgroup_id_y 1
		.amdhsa_system_sgpr_workgroup_id_z 1
		.amdhsa_system_sgpr_workgroup_info 0
		.amdhsa_system_vgpr_workitem_id 0
		.amdhsa_next_free_vgpr 79
		.amdhsa_next_free_sgpr 63
		.amdhsa_accum_offset 80
		.amdhsa_reserve_vcc 1
		.amdhsa_reserve_flat_scratch 0
		.amdhsa_float_round_mode_32 0
		.amdhsa_float_round_mode_16_64 0
		.amdhsa_float_denorm_mode_32 3
		.amdhsa_float_denorm_mode_16_64 3
		.amdhsa_dx10_clamp 1
		.amdhsa_ieee_mode 1
		.amdhsa_fp16_overflow 0
		.amdhsa_tg_split 0
		.amdhsa_exception_fp_ieee_invalid_op 0
		.amdhsa_exception_fp_denorm_src 0
		.amdhsa_exception_fp_ieee_div_zero 0
		.amdhsa_exception_fp_ieee_overflow 0
		.amdhsa_exception_fp_ieee_underflow 0
		.amdhsa_exception_fp_ieee_inexact 0
		.amdhsa_exception_int_div_zero 0
	.end_amdhsa_kernel
	.section	.text._ZN4vllm25paged_attention_v2_kernelIfhLi192ELi8ELi128ELNS_18Fp8KVCacheDataTypeE1ELb1ELi512EEEvPfS2_PT_PKS3_PKT0_S9_ifPKiSB_iPKfiiiSD_SD_iiiii,"axG",@progbits,_ZN4vllm25paged_attention_v2_kernelIfhLi192ELi8ELi128ELNS_18Fp8KVCacheDataTypeE1ELb1ELi512EEEvPfS2_PT_PKS3_PKT0_S9_ifPKiSB_iPKfiiiSD_SD_iiiii,comdat
.Lfunc_end198:
	.size	_ZN4vllm25paged_attention_v2_kernelIfhLi192ELi8ELi128ELNS_18Fp8KVCacheDataTypeE1ELb1ELi512EEEvPfS2_PT_PKS3_PKT0_S9_ifPKiSB_iPKfiiiSD_SD_iiiii, .Lfunc_end198-_ZN4vllm25paged_attention_v2_kernelIfhLi192ELi8ELi128ELNS_18Fp8KVCacheDataTypeE1ELb1ELi512EEEvPfS2_PT_PKS3_PKT0_S9_ifPKiSB_iPKfiiiSD_SD_iiiii
                                        ; -- End function
	.section	.AMDGPU.csdata,"",@progbits
; Kernel info:
; codeLenInByte = 14708
; NumSgprs: 67
; NumVgprs: 79
; NumAgprs: 0
; TotalNumVgprs: 79
; ScratchSize: 0
; MemoryBound: 0
; FloatMode: 240
; IeeeMode: 1
; LDSByteSize: 784 bytes/workgroup (compile time only)
; SGPRBlocks: 8
; VGPRBlocks: 9
; NumSGPRsForWavesPerEU: 67
; NumVGPRsForWavesPerEU: 79
; AccumOffset: 80
; Occupancy: 6
; WaveLimiterHint : 1
; COMPUTE_PGM_RSRC2:SCRATCH_EN: 0
; COMPUTE_PGM_RSRC2:USER_SGPR: 6
; COMPUTE_PGM_RSRC2:TRAP_HANDLER: 0
; COMPUTE_PGM_RSRC2:TGID_X_EN: 1
; COMPUTE_PGM_RSRC2:TGID_Y_EN: 1
; COMPUTE_PGM_RSRC2:TGID_Z_EN: 1
; COMPUTE_PGM_RSRC2:TIDIG_COMP_CNT: 0
; COMPUTE_PGM_RSRC3_GFX90A:ACCUM_OFFSET: 19
; COMPUTE_PGM_RSRC3_GFX90A:TG_SPLIT: 0
	.section	.text._ZN4vllm25paged_attention_v2_kernelIfhLi256ELi8ELi128ELNS_18Fp8KVCacheDataTypeE1ELb1ELi512EEEvPfS2_PT_PKS3_PKT0_S9_ifPKiSB_iPKfiiiSD_SD_iiiii,"axG",@progbits,_ZN4vllm25paged_attention_v2_kernelIfhLi256ELi8ELi128ELNS_18Fp8KVCacheDataTypeE1ELb1ELi512EEEvPfS2_PT_PKS3_PKT0_S9_ifPKiSB_iPKfiiiSD_SD_iiiii,comdat
	.protected	_ZN4vllm25paged_attention_v2_kernelIfhLi256ELi8ELi128ELNS_18Fp8KVCacheDataTypeE1ELb1ELi512EEEvPfS2_PT_PKS3_PKT0_S9_ifPKiSB_iPKfiiiSD_SD_iiiii ; -- Begin function _ZN4vllm25paged_attention_v2_kernelIfhLi256ELi8ELi128ELNS_18Fp8KVCacheDataTypeE1ELb1ELi512EEEvPfS2_PT_PKS3_PKT0_S9_ifPKiSB_iPKfiiiSD_SD_iiiii
	.globl	_ZN4vllm25paged_attention_v2_kernelIfhLi256ELi8ELi128ELNS_18Fp8KVCacheDataTypeE1ELb1ELi512EEEvPfS2_PT_PKS3_PKT0_S9_ifPKiSB_iPKfiiiSD_SD_iiiii
	.p2align	8
	.type	_ZN4vllm25paged_attention_v2_kernelIfhLi256ELi8ELi128ELNS_18Fp8KVCacheDataTypeE1ELb1ELi512EEEvPfS2_PT_PKS3_PKT0_S9_ifPKiSB_iPKfiiiSD_SD_iiiii,@function
_ZN4vllm25paged_attention_v2_kernelIfhLi256ELi8ELi128ELNS_18Fp8KVCacheDataTypeE1ELb1ELi512EEEvPfS2_PT_PKS3_PKT0_S9_ifPKiSB_iPKfiiiSD_SD_iiiii: ; @_ZN4vllm25paged_attention_v2_kernelIfhLi256ELi8ELi128ELNS_18Fp8KVCacheDataTypeE1ELb1ELi512EEEvPfS2_PT_PKS3_PKT0_S9_ifPKiSB_iPKfiiiSD_SD_iiiii
; %bb.0:
	s_load_dwordx2 s[0:1], s[4:5], 0x40
	s_mov_b32 s40, s7
	s_ashr_i32 s41, s7, 31
	s_lshl_b64 s[2:3], s[40:41], 2
	s_waitcnt lgkmcnt(0)
	s_add_u32 s0, s0, s2
	s_addc_u32 s1, s1, s3
	s_load_dword s41, s[0:1], 0x0
	s_lshl_b32 s55, s8, 9
	s_waitcnt lgkmcnt(0)
	s_cmp_ge_i32 s55, s41
	s_cbranch_scc1 .LBB199_468
; %bb.1:
	s_load_dword s9, s[4:5], 0x90
	s_load_dwordx2 s[44:45], s[4:5], 0x30
	s_mov_b32 s56, 0
	s_waitcnt lgkmcnt(0)
	s_abs_i32 s2, s9
	s_abs_i32 s0, s44
	v_cvt_f32_u32_e32 v1, s0
	s_sub_i32 s3, 0, s0
	s_xor_b32 s1, s9, s44
	s_ashr_i32 s1, s1, 31
	v_rcp_iflag_f32_e32 v1, v1
	v_mul_f32_e32 v1, 0x4f7ffffe, v1
	v_cvt_u32_f32_e32 v1, v1
	v_readfirstlane_b32 s7, v1
	s_mul_i32 s3, s3, s7
	s_mul_hi_u32 s3, s7, s3
	s_add_i32 s7, s7, s3
	s_mul_hi_u32 s3, s2, s7
	s_mul_i32 s7, s3, s0
	s_sub_i32 s2, s2, s7
	s_add_i32 s10, s3, 1
	s_sub_i32 s7, s2, s0
	s_cmp_ge_u32 s2, s0
	s_cselect_b32 s3, s10, s3
	s_cselect_b32 s2, s7, s2
	s_add_i32 s7, s3, 1
	s_cmp_ge_u32 s2, s0
	s_cselect_b32 s0, s7, s3
	s_xor_b32 s0, s0, s1
	s_sub_i32 s21, s0, s1
	s_abs_i32 s20, s21
	v_cvt_f32_u32_e32 v1, s20
	s_load_dwordx2 s[0:1], s[4:5], 0x50
	s_sub_i32 s2, 0, s20
	s_abs_i32 s22, s6
	v_rcp_iflag_f32_e32 v1, v1
	v_mul_f32_e32 v1, 0x4f7ffffe, v1
	v_cvt_u32_f32_e32 v1, v1
	v_readfirstlane_b32 s3, v1
	s_mul_i32 s2, s2, s3
	s_mul_hi_u32 s2, s3, s2
	s_add_i32 s2, s3, s2
	s_waitcnt lgkmcnt(0)
	s_cmp_eq_u64 s[0:1], 0
	s_cbranch_scc1 .LBB199_3
; %bb.2:
	s_ashr_i32 s7, s6, 31
	s_lshl_b64 s[10:11], s[6:7], 2
	s_add_u32 s0, s0, s10
	s_addc_u32 s1, s1, s11
	s_load_dword s56, s[0:1], 0x0
.LBB199_3:
	s_load_dwordx4 s[24:27], s[4:5], 0x0
	s_load_dwordx2 s[34:35], s[4:5], 0x10
	s_load_dwordx4 s[16:19], s[4:5], 0x20
	s_load_dwordx2 s[38:39], s[4:5], 0x38
	s_load_dword s33, s[4:5], 0x98
	s_load_dwordx4 s[12:15], s[4:5], 0x58
	s_lshl_b32 s36, s6, 8
	s_movk_i32 s0, 0x100
	s_mul_hi_u32 s7, s22, s2
	v_and_b32_e32 v36, 7, v0
	s_ashr_i32 s37, s36, 31
	v_cmp_gt_u32_e32 vcc, s0, v0
	s_and_saveexec_b64 s[2:3], vcc
	s_cbranch_execz .LBB199_6
; %bb.4:
	s_load_dwordx2 s[0:1], s[4:5], 0x18
	s_waitcnt lgkmcnt(0)
	s_mul_i32 s10, s40, s12
	s_ashr_i32 s11, s10, 31
	s_lshl_b64 s[10:11], s[10:11], 2
	s_lshl_b64 s[28:29], s[36:37], 2
	v_lshrrev_b32_e32 v2, 3, v0
	s_add_u32 s10, s10, s28
	v_lshlrev_b32_e32 v3, 2, v2
	s_addc_u32 s11, s11, s29
	v_lshl_add_u32 v4, v36, 7, v3
	v_lshlrev_b32_e32 v3, 2, v36
	s_add_u32 s0, s0, s10
	v_add_u32_e32 v1, -16, v2
	v_lshl_or_b32 v2, v2, 5, v3
	s_addc_u32 s1, s1, s11
	v_mov_b32_e32 v3, s1
	v_add_co_u32_e32 v2, vcc, s0, v2
	v_addc_co_u32_e32 v3, vcc, 0, v3, vcc
	s_mov_b64 s[10:11], 0
.LBB199_5:                              ; =>This Inner Loop Header: Depth=1
	global_load_dword v5, v[2:3], off
	v_add_co_u32_e64 v1, s[0:1], 16, v1
	s_xor_b64 s[0:1], s[0:1], -1
	v_add_co_u32_e32 v2, vcc, 0x200, v2
	s_and_b64 s[0:1], exec, s[0:1]
	v_addc_co_u32_e32 v3, vcc, 0, v3, vcc
	s_or_b64 s[10:11], s[0:1], s[10:11]
	s_waitcnt vmcnt(0)
	ds_write_b32 v4, v5
	v_add_u32_e32 v4, 64, v4
	s_andn2_b64 exec, exec, s[10:11]
	s_cbranch_execnz .LBB199_5
.LBB199_6:
	s_or_b64 exec, exec, s[2:3]
	s_ashr_i32 s0, s6, 31
	s_ashr_i32 s1, s21, 31
	s_xor_b32 s0, s0, s1
	s_mul_i32 s1, s7, s20
	s_sub_i32 s1, s22, s1
	s_add_i32 s2, s7, 1
	s_sub_i32 s3, s1, s20
	s_load_dwordx4 s[28:31], s[4:5], 0x78
	s_cmp_ge_u32 s1, s20
	s_cselect_b32 s2, s2, s7
	s_cselect_b32 s1, s3, s1
	s_add_i32 s3, s2, 1
	s_cmp_ge_u32 s1, s20
	s_cselect_b32 s1, s3, s2
	s_load_dword s2, s[4:5], 0x88
	s_waitcnt lgkmcnt(0)
	s_abs_i32 s37, s31
	v_cvt_f32_u32_e32 v1, s37
	s_xor_b32 s1, s1, s0
	s_sub_i32 s54, s1, s0
	s_sub_i32 s0, 0, s37
	v_rcp_iflag_f32_e32 v1, v1
	s_add_i32 s10, s41, -1
	s_abs_i32 s3, s10
	v_mul_f32_e32 v1, 0x4f7ffffe, v1
	v_cvt_u32_f32_e32 v1, v1
	s_barrier
	v_readfirstlane_b32 s52, v1
	s_mul_i32 s0, s0, s52
	s_mul_hi_u32 s0, s52, s0
	s_add_i32 s52, s52, s0
	s_cmp_lt_i32 s2, 0
	s_mul_hi_u32 s7, s3, s52
	s_cbranch_scc0 .LBB199_8
; %bb.7:
	s_mul_i32 s0, s28, s44
	s_add_i32 s0, s54, s0
	s_mul_i32 s0, s0, s2
	s_sub_i32 s44, 1, s0
	s_ashr_i32 s10, s10, 31
	s_ashr_i32 s31, s31, 31
	s_cbranch_execz .LBB199_9
	s_branch .LBB199_10
.LBB199_8:
                                        ; implicit-def: $sgpr44
	s_ashr_i32 s10, s10, 31
	s_ashr_i32 s31, s31, 31
.LBB199_9:
	s_mul_i32 s0, s9, s28
	s_add_i32 s0, s0, s6
	s_mul_i32 s0, s0, s2
	s_add_i32 s44, s0, 1
.LBB199_10:
	s_load_dword s0, s[4:5], 0x48
	s_load_dwordx4 s[20:23], s[4:5], 0x68
	s_mul_i32 s2, s7, s37
	s_sub_i32 s2, s3, s2
	s_xor_b32 s1, s10, s31
	s_waitcnt lgkmcnt(0)
	s_mul_i32 s42, s40, s0
	s_ashr_i32 s43, s42, 31
	s_add_i32 s0, s7, 1
	s_sub_i32 s3, s2, s37
	s_cmp_ge_u32 s2, s37
	s_cselect_b32 s0, s0, s7
	s_cselect_b32 s2, s3, s2
	s_add_i32 s3, s0, 1
	s_cmp_ge_u32 s2, s37
	s_cselect_b32 s0, s3, s0
	s_xor_b32 s0, s0, s1
	s_sub_i32 s53, s0, s1
	s_add_i32 s0, s41, 7
	s_ashr_i32 s1, s0, 31
	s_lshr_b32 s1, s1, 29
	s_add_i32 s0, s0, s1
	s_lshl_b32 s12, s8, 6
	s_ashr_i32 s7, s0, 3
	s_add_i32 s0, s12, 64
	v_lshrrev_b32_e32 v37, 6, v0
	s_min_i32 s28, s0, s7
	v_or_b32_e32 v34, s12, v37
	v_cmp_gt_i32_e64 s[0:1], s28, v34
	v_mov_b32_e32 v48, 0xff7fffff
	s_mul_i32 s54, s54, s14
	v_ashrrev_i32_e32 v35, 31, v34
	v_lshl_add_u32 v1, v37, 3, s55
	v_mbcnt_lo_u32_b32 v45, -1, 0
	s_and_saveexec_b64 s[14:15], s[0:1]
	s_cbranch_execz .LBB199_212
; %bb.11:
	s_sub_i32 s57, s53, s29
	s_ashr_i32 s2, s54, 31
	s_add_u32 s3, s16, s54
	s_addc_u32 s2, s17, s2
	s_abs_i32 s58, s30
	v_cvt_f32_u32_e32 v2, s58
	v_bfe_u32 v46, v0, 3, 3
	v_lshlrev_b32_e32 v3, 4, v46
	s_sub_i32 s4, 0, s58
	v_rcp_iflag_f32_e32 v2, v2
	v_mov_b32_e32 v4, s2
	v_add_co_u32_e64 v38, s[2:3], s3, v3
	v_mul_f32_e32 v2, 0x4f7ffffe, v2
	v_cvt_u32_f32_e32 v2, v2
	v_addc_co_u32_e64 v39, s[2:3], 0, v4, s[2:3]
	v_cmp_eq_u32_e32 vcc, 0, v36
	v_mul_lo_u32 v3, s4, v2
	s_lshl_b64 s[4:5], s[42:43], 2
	v_mul_hi_u32 v3, v2, v3
	s_add_u32 s4, s38, s4
	v_add_u32_e32 v49, v2, v3
	v_lshlrev_b64 v[2:3], 2, v[34:35]
	s_addc_u32 s5, s39, s5
	v_mov_b32_e32 v4, s5
	v_add_co_u32_e64 v40, s[4:5], s4, v2
	v_lshlrev_b32_e32 v2, 2, v46
	v_lshl_or_b32 v2, v37, 5, v2
	v_add_u32_e32 v51, 0x410, v2
	v_subrev_u32_e32 v2, s41, v46
	s_mov_b32 s59, s13
	v_lshlrev_b32_e32 v47, 7, v36
	v_cmp_neq_f32_e64 s[2:3], s56, 0
	v_addc_co_u32_e64 v41, s[4:5], v4, v3, s[4:5]
	v_lshl_add_u32 v50, v37, 3, s55
	v_add_u32_e32 v52, 1, v2
	s_mov_b64 s[16:17], 0
	v_mov_b32_e32 v53, 0xff7fffff
	s_movk_i32 s60, 0x80
	s_movk_i32 s61, 0x7f
	v_bfrev_b32_e32 v54, 60
	v_mbcnt_hi_u32_b32 v55, -1, v45
	v_mov_b32_e32 v48, 0xff7fffff
	v_mov_b32_e32 v56, v34
	s_branch .LBB199_14
.LBB199_12:                             ;   in Loop: Header=BB199_14 Depth=1
	s_or_b64 exec, exec, s[46:47]
.LBB199_13:                             ;   in Loop: Header=BB199_14 Depth=1
	s_or_b64 exec, exec, s[10:11]
	v_add_co_u32_e64 v40, s[4:5], 8, v40
	v_add_u32_e32 v56, 2, v56
	v_addc_co_u32_e64 v41, s[4:5], 0, v41, s[4:5]
	v_cmp_le_i32_e64 s[4:5], s28, v56
	v_add_u32_e32 v50, 16, v50
	s_or_b64 s[16:17], s[4:5], s[16:17]
	v_add_u32_e32 v51, 64, v51
	s_andn2_b64 exec, exec, s[16:17]
	s_cbranch_execz .LBB199_211
.LBB199_14:                             ; =>This Inner Loop Header: Depth=1
	s_waitcnt lgkmcnt(0)
	v_sub_u32_e32 v3, 0, v50
	v_max_i32_e32 v3, v50, v3
	v_mul_hi_u32 v4, v3, s52
	v_mul_lo_u32 v5, v4, s37
	v_sub_u32_e32 v3, v3, v5
	v_add_u32_e32 v5, 1, v4
	v_cmp_le_u32_e64 s[4:5], s37, v3
	v_cndmask_b32_e64 v4, v4, v5, s[4:5]
	v_subrev_u32_e32 v5, s37, v3
	v_cndmask_b32_e64 v3, v3, v5, s[4:5]
	v_ashrrev_i32_e32 v2, 31, v50
	v_add_u32_e32 v5, 1, v4
	v_cmp_le_u32_e64 s[4:5], s37, v3
	v_xor_b32_e32 v2, s31, v2
	v_cndmask_b32_e64 v3, v4, v5, s[4:5]
	v_xor_b32_e32 v3, v3, v2
	v_sub_u32_e32 v2, v3, v2
	v_add_u32_e32 v3, s44, v2
	v_sub_u32_e32 v5, 0, v3
	v_ashrrev_i32_e32 v4, 31, v3
	v_max_i32_e32 v3, v3, v5
	v_mul_hi_u32 v5, v3, v49
	v_mul_lo_u32 v5, v5, s58
	v_sub_u32_e32 v3, v3, v5
	v_subrev_u32_e32 v5, s58, v3
	v_cmp_le_u32_e64 s[4:5], s58, v3
	v_cndmask_b32_e64 v3, v3, v5, s[4:5]
	v_subrev_u32_e32 v5, s58, v3
	v_cmp_le_u32_e64 s[4:5], s58, v3
	v_cndmask_b32_e64 v3, v3, v5, s[4:5]
	v_xor_b32_e32 v3, v3, v4
	v_sub_u32_e32 v3, v3, v4
	v_cmp_ne_u32_e64 s[4:5], 0, v3
	v_cmp_ge_i32_e64 s[10:11], s57, v2
	s_and_b64 s[4:5], s[4:5], s[10:11]
	s_and_b64 s[46:47], vcc, s[4:5]
	s_and_saveexec_b64 s[10:11], s[46:47]
	s_cbranch_execz .LBB199_16
; %bb.15:                               ;   in Loop: Header=BB199_14 Depth=1
	ds_write_b32 v51, v53
.LBB199_16:                             ;   in Loop: Header=BB199_14 Depth=1
	s_or_b64 exec, exec, s[10:11]
	s_xor_b64 s[4:5], s[4:5], -1
	s_and_saveexec_b64 s[10:11], s[4:5]
	s_cbranch_execz .LBB199_13
; %bb.17:                               ;   in Loop: Header=BB199_14 Depth=1
	global_load_dword v2, v[40:41], off
	v_mov_b32_e32 v57, 0
	v_mov_b32_e32 v58, 0
	s_waitcnt vmcnt(0)
	v_mad_i64_i32 v[2:3], s[4:5], v2, s59, v[38:39]
	v_add_co_u32_e64 v42, s[4:5], v2, v36
	v_addc_co_u32_e64 v43, s[4:5], 0, v3, s[4:5]
	global_load_ubyte v59, v[42:43], off
	ds_read_b128 v[30:33], v47
	ds_read_b128 v[26:29], v47 offset:16
	ds_read_b128 v[22:25], v47 offset:32
	;; [unrolled: 1-line block ×7, first 2 shown]
	s_load_dword s62, s[20:21], 0x0
	s_waitcnt vmcnt(0)
	v_cmp_ne_u16_e64 s[4:5], 0, v59
	s_and_saveexec_b64 s[46:47], s[4:5]
	s_cbranch_execz .LBB199_23
; %bb.18:                               ;   in Loop: Header=BB199_14 Depth=1
	v_cmp_ne_u16_e64 s[4:5], s60, v59
	v_bfrev_b32_e32 v58, 1
	s_and_saveexec_b64 s[48:49], s[4:5]
	s_cbranch_execz .LBB199_22
; %bb.19:                               ;   in Loop: Header=BB199_14 Depth=1
	v_and_b32_e32 v44, 0xffff, v59
	v_and_b32_e32 v60, 0x7f, v44
	v_cmp_ne_u32_e64 s[4:5], s61, v60
	v_mov_b32_e32 v58, 0x7f800001
	s_and_saveexec_b64 s[50:51], s[4:5]
	s_cbranch_execz .LBB199_21
; %bb.20:                               ;   in Loop: Header=BB199_14 Depth=1
	v_and_b32_e32 v58, 7, v44
	v_ffbh_u32_e32 v62, v58
	v_min_u32_e32 v64, 32, v62
	v_subrev_u32_e32 v62, 28, v64
	v_lshlrev_b64 v[62:63], v62, v[44:45]
	v_lshrrev_b32_e32 v61, 3, v60
	v_sub_u32_e32 v44, 29, v64
	v_and_b32_e32 v62, 7, v62
	v_cmp_gt_u32_e64 s[4:5], 8, v60
	v_cndmask_b32_e64 v44, v61, v44, s[4:5]
	v_cndmask_b32_e64 v58, v58, v62, s[4:5]
	v_lshlrev_b32_e32 v59, 24, v59
	v_lshlrev_b32_e32 v58, 20, v58
	v_and_b32_e32 v59, 0x80000000, v59
	v_lshl_add_u32 v44, v44, 23, v54
	v_or3_b32 v58, v59, v44, v58
.LBB199_21:                             ;   in Loop: Header=BB199_14 Depth=1
	s_or_b64 exec, exec, s[50:51]
.LBB199_22:                             ;   in Loop: Header=BB199_14 Depth=1
	s_or_b64 exec, exec, s[48:49]
.LBB199_23:                             ;   in Loop: Header=BB199_14 Depth=1
	s_or_b64 exec, exec, s[46:47]
	global_load_ubyte v59, v[42:43], off offset:8
	s_waitcnt vmcnt(0)
	v_cmp_ne_u16_e64 s[4:5], 0, v59
	s_and_saveexec_b64 s[46:47], s[4:5]
	s_cbranch_execz .LBB199_29
; %bb.24:                               ;   in Loop: Header=BB199_14 Depth=1
	v_cmp_ne_u16_e64 s[4:5], s60, v59
	v_bfrev_b32_e32 v57, 1
	s_and_saveexec_b64 s[48:49], s[4:5]
	s_cbranch_execz .LBB199_28
; %bb.25:                               ;   in Loop: Header=BB199_14 Depth=1
	v_and_b32_e32 v44, 0xffff, v59
	v_and_b32_e32 v60, 0x7f, v44
	v_cmp_ne_u32_e64 s[4:5], s61, v60
	v_mov_b32_e32 v57, 0x7f800001
	s_and_saveexec_b64 s[50:51], s[4:5]
	s_cbranch_execz .LBB199_27
; %bb.26:                               ;   in Loop: Header=BB199_14 Depth=1
	v_and_b32_e32 v57, 7, v44
	v_ffbh_u32_e32 v62, v57
	v_min_u32_e32 v64, 32, v62
	v_subrev_u32_e32 v62, 28, v64
	v_lshlrev_b64 v[62:63], v62, v[44:45]
	v_lshrrev_b32_e32 v61, 3, v60
	v_sub_u32_e32 v44, 29, v64
	v_and_b32_e32 v62, 7, v62
	v_cmp_gt_u32_e64 s[4:5], 8, v60
	v_cndmask_b32_e64 v44, v61, v44, s[4:5]
	v_cndmask_b32_e64 v57, v57, v62, s[4:5]
	v_lshlrev_b32_e32 v59, 24, v59
	v_lshlrev_b32_e32 v57, 20, v57
	v_and_b32_e32 v59, 0x80000000, v59
	v_lshl_add_u32 v44, v44, 23, v54
	v_or3_b32 v57, v59, v44, v57
.LBB199_27:                             ;   in Loop: Header=BB199_14 Depth=1
	s_or_b64 exec, exec, s[50:51]
.LBB199_28:                             ;   in Loop: Header=BB199_14 Depth=1
	s_or_b64 exec, exec, s[48:49]
.LBB199_29:                             ;   in Loop: Header=BB199_14 Depth=1
	s_or_b64 exec, exec, s[46:47]
	global_load_ubyte v61, v[42:43], off offset:128
	v_mov_b32_e32 v59, 0
	v_mov_b32_e32 v60, 0
	s_waitcnt vmcnt(0)
	v_cmp_ne_u16_e64 s[4:5], 0, v61
	s_and_saveexec_b64 s[46:47], s[4:5]
	s_cbranch_execz .LBB199_35
; %bb.30:                               ;   in Loop: Header=BB199_14 Depth=1
	v_cmp_ne_u16_e64 s[4:5], s60, v61
	v_bfrev_b32_e32 v60, 1
	s_and_saveexec_b64 s[48:49], s[4:5]
	s_cbranch_execz .LBB199_34
; %bb.31:                               ;   in Loop: Header=BB199_14 Depth=1
	v_and_b32_e32 v44, 0xffff, v61
	v_and_b32_e32 v62, 0x7f, v44
	v_cmp_ne_u32_e64 s[4:5], s61, v62
	v_mov_b32_e32 v60, 0x7f800001
	s_and_saveexec_b64 s[50:51], s[4:5]
	s_cbranch_execz .LBB199_33
; %bb.32:                               ;   in Loop: Header=BB199_14 Depth=1
	v_and_b32_e32 v60, 7, v44
	v_ffbh_u32_e32 v64, v60
	v_min_u32_e32 v66, 32, v64
	v_subrev_u32_e32 v64, 28, v66
	v_lshlrev_b64 v[64:65], v64, v[44:45]
	v_lshrrev_b32_e32 v63, 3, v62
	v_sub_u32_e32 v44, 29, v66
	v_and_b32_e32 v64, 7, v64
	v_cmp_gt_u32_e64 s[4:5], 8, v62
	v_cndmask_b32_e64 v44, v63, v44, s[4:5]
	v_cndmask_b32_e64 v60, v60, v64, s[4:5]
	v_lshlrev_b32_e32 v61, 24, v61
	v_lshlrev_b32_e32 v60, 20, v60
	v_and_b32_e32 v61, 0x80000000, v61
	v_lshl_add_u32 v44, v44, 23, v54
	v_or3_b32 v60, v61, v44, v60
.LBB199_33:                             ;   in Loop: Header=BB199_14 Depth=1
	s_or_b64 exec, exec, s[50:51]
.LBB199_34:                             ;   in Loop: Header=BB199_14 Depth=1
	s_or_b64 exec, exec, s[48:49]
.LBB199_35:                             ;   in Loop: Header=BB199_14 Depth=1
	s_or_b64 exec, exec, s[46:47]
	global_load_ubyte v61, v[42:43], off offset:136
	s_waitcnt vmcnt(0)
	v_cmp_ne_u16_e64 s[4:5], 0, v61
	s_and_saveexec_b64 s[46:47], s[4:5]
	s_cbranch_execz .LBB199_41
; %bb.36:                               ;   in Loop: Header=BB199_14 Depth=1
	v_cmp_ne_u16_e64 s[4:5], s60, v61
	v_bfrev_b32_e32 v59, 1
	s_and_saveexec_b64 s[48:49], s[4:5]
	s_cbranch_execz .LBB199_40
; %bb.37:                               ;   in Loop: Header=BB199_14 Depth=1
	v_and_b32_e32 v44, 0xffff, v61
	v_and_b32_e32 v62, 0x7f, v44
	v_cmp_ne_u32_e64 s[4:5], s61, v62
	v_mov_b32_e32 v59, 0x7f800001
	s_and_saveexec_b64 s[50:51], s[4:5]
	s_cbranch_execz .LBB199_39
; %bb.38:                               ;   in Loop: Header=BB199_14 Depth=1
	v_and_b32_e32 v59, 7, v44
	v_ffbh_u32_e32 v64, v59
	v_min_u32_e32 v66, 32, v64
	v_subrev_u32_e32 v64, 28, v66
	v_lshlrev_b64 v[64:65], v64, v[44:45]
	v_lshrrev_b32_e32 v63, 3, v62
	v_sub_u32_e32 v44, 29, v66
	v_and_b32_e32 v64, 7, v64
	v_cmp_gt_u32_e64 s[4:5], 8, v62
	v_cndmask_b32_e64 v44, v63, v44, s[4:5]
	v_cndmask_b32_e64 v59, v59, v64, s[4:5]
	v_lshlrev_b32_e32 v61, 24, v61
	v_lshlrev_b32_e32 v59, 20, v59
	v_and_b32_e32 v61, 0x80000000, v61
	v_lshl_add_u32 v44, v44, 23, v54
	v_or3_b32 v59, v61, v44, v59
.LBB199_39:                             ;   in Loop: Header=BB199_14 Depth=1
	s_or_b64 exec, exec, s[50:51]
.LBB199_40:                             ;   in Loop: Header=BB199_14 Depth=1
	s_or_b64 exec, exec, s[48:49]
.LBB199_41:                             ;   in Loop: Header=BB199_14 Depth=1
	s_or_b64 exec, exec, s[46:47]
	global_load_ubyte v63, v[42:43], off offset:256
	v_mov_b32_e32 v61, 0
	v_mov_b32_e32 v62, 0
	s_waitcnt vmcnt(0)
	v_cmp_ne_u16_e64 s[4:5], 0, v63
	s_and_saveexec_b64 s[46:47], s[4:5]
	s_cbranch_execz .LBB199_47
; %bb.42:                               ;   in Loop: Header=BB199_14 Depth=1
	v_cmp_ne_u16_e64 s[4:5], s60, v63
	v_bfrev_b32_e32 v62, 1
	s_and_saveexec_b64 s[48:49], s[4:5]
	s_cbranch_execz .LBB199_46
; %bb.43:                               ;   in Loop: Header=BB199_14 Depth=1
	v_and_b32_e32 v44, 0xffff, v63
	v_and_b32_e32 v64, 0x7f, v44
	v_cmp_ne_u32_e64 s[4:5], s61, v64
	v_mov_b32_e32 v62, 0x7f800001
	s_and_saveexec_b64 s[50:51], s[4:5]
	s_cbranch_execz .LBB199_45
; %bb.44:                               ;   in Loop: Header=BB199_14 Depth=1
	v_and_b32_e32 v62, 7, v44
	v_ffbh_u32_e32 v66, v62
	v_min_u32_e32 v68, 32, v66
	v_subrev_u32_e32 v66, 28, v68
	v_lshlrev_b64 v[66:67], v66, v[44:45]
	v_lshrrev_b32_e32 v65, 3, v64
	v_sub_u32_e32 v44, 29, v68
	v_and_b32_e32 v66, 7, v66
	v_cmp_gt_u32_e64 s[4:5], 8, v64
	v_cndmask_b32_e64 v44, v65, v44, s[4:5]
	v_cndmask_b32_e64 v62, v62, v66, s[4:5]
	v_lshlrev_b32_e32 v63, 24, v63
	v_lshlrev_b32_e32 v62, 20, v62
	v_and_b32_e32 v63, 0x80000000, v63
	v_lshl_add_u32 v44, v44, 23, v54
	v_or3_b32 v62, v63, v44, v62
.LBB199_45:                             ;   in Loop: Header=BB199_14 Depth=1
	s_or_b64 exec, exec, s[50:51]
.LBB199_46:                             ;   in Loop: Header=BB199_14 Depth=1
	s_or_b64 exec, exec, s[48:49]
.LBB199_47:                             ;   in Loop: Header=BB199_14 Depth=1
	s_or_b64 exec, exec, s[46:47]
	global_load_ubyte v63, v[42:43], off offset:264
	s_waitcnt vmcnt(0)
	v_cmp_ne_u16_e64 s[4:5], 0, v63
	s_and_saveexec_b64 s[46:47], s[4:5]
	s_cbranch_execz .LBB199_53
; %bb.48:                               ;   in Loop: Header=BB199_14 Depth=1
	v_cmp_ne_u16_e64 s[4:5], s60, v63
	v_bfrev_b32_e32 v61, 1
	s_and_saveexec_b64 s[48:49], s[4:5]
	s_cbranch_execz .LBB199_52
; %bb.49:                               ;   in Loop: Header=BB199_14 Depth=1
	v_and_b32_e32 v44, 0xffff, v63
	v_and_b32_e32 v64, 0x7f, v44
	v_cmp_ne_u32_e64 s[4:5], s61, v64
	v_mov_b32_e32 v61, 0x7f800001
	s_and_saveexec_b64 s[50:51], s[4:5]
	s_cbranch_execz .LBB199_51
; %bb.50:                               ;   in Loop: Header=BB199_14 Depth=1
	v_and_b32_e32 v61, 7, v44
	v_ffbh_u32_e32 v66, v61
	v_min_u32_e32 v68, 32, v66
	v_subrev_u32_e32 v66, 28, v68
	v_lshlrev_b64 v[66:67], v66, v[44:45]
	v_lshrrev_b32_e32 v65, 3, v64
	v_sub_u32_e32 v44, 29, v68
	v_and_b32_e32 v66, 7, v66
	v_cmp_gt_u32_e64 s[4:5], 8, v64
	v_cndmask_b32_e64 v44, v65, v44, s[4:5]
	v_cndmask_b32_e64 v61, v61, v66, s[4:5]
	v_lshlrev_b32_e32 v63, 24, v63
	v_lshlrev_b32_e32 v61, 20, v61
	v_and_b32_e32 v63, 0x80000000, v63
	v_lshl_add_u32 v44, v44, 23, v54
	v_or3_b32 v61, v63, v44, v61
.LBB199_51:                             ;   in Loop: Header=BB199_14 Depth=1
	s_or_b64 exec, exec, s[50:51]
.LBB199_52:                             ;   in Loop: Header=BB199_14 Depth=1
	s_or_b64 exec, exec, s[48:49]
.LBB199_53:                             ;   in Loop: Header=BB199_14 Depth=1
	s_or_b64 exec, exec, s[46:47]
	global_load_ubyte v65, v[42:43], off offset:384
	v_mov_b32_e32 v63, 0
	v_mov_b32_e32 v64, 0
	s_waitcnt vmcnt(0)
	v_cmp_ne_u16_e64 s[4:5], 0, v65
	s_and_saveexec_b64 s[46:47], s[4:5]
	s_cbranch_execz .LBB199_59
; %bb.54:                               ;   in Loop: Header=BB199_14 Depth=1
	v_cmp_ne_u16_e64 s[4:5], s60, v65
	v_bfrev_b32_e32 v64, 1
	s_and_saveexec_b64 s[48:49], s[4:5]
	s_cbranch_execz .LBB199_58
; %bb.55:                               ;   in Loop: Header=BB199_14 Depth=1
	v_and_b32_e32 v44, 0xffff, v65
	v_and_b32_e32 v66, 0x7f, v44
	v_cmp_ne_u32_e64 s[4:5], s61, v66
	v_mov_b32_e32 v64, 0x7f800001
	s_and_saveexec_b64 s[50:51], s[4:5]
	s_cbranch_execz .LBB199_57
; %bb.56:                               ;   in Loop: Header=BB199_14 Depth=1
	v_and_b32_e32 v64, 7, v44
	v_ffbh_u32_e32 v68, v64
	v_min_u32_e32 v70, 32, v68
	v_subrev_u32_e32 v68, 28, v70
	v_lshlrev_b64 v[68:69], v68, v[44:45]
	v_lshrrev_b32_e32 v67, 3, v66
	v_sub_u32_e32 v44, 29, v70
	v_and_b32_e32 v68, 7, v68
	v_cmp_gt_u32_e64 s[4:5], 8, v66
	v_cndmask_b32_e64 v44, v67, v44, s[4:5]
	v_cndmask_b32_e64 v64, v64, v68, s[4:5]
	v_lshlrev_b32_e32 v65, 24, v65
	v_lshlrev_b32_e32 v64, 20, v64
	v_and_b32_e32 v65, 0x80000000, v65
	v_lshl_add_u32 v44, v44, 23, v54
	v_or3_b32 v64, v65, v44, v64
.LBB199_57:                             ;   in Loop: Header=BB199_14 Depth=1
	s_or_b64 exec, exec, s[50:51]
.LBB199_58:                             ;   in Loop: Header=BB199_14 Depth=1
	s_or_b64 exec, exec, s[48:49]
.LBB199_59:                             ;   in Loop: Header=BB199_14 Depth=1
	s_or_b64 exec, exec, s[46:47]
	global_load_ubyte v65, v[42:43], off offset:392
	s_waitcnt vmcnt(0)
	v_cmp_ne_u16_e64 s[4:5], 0, v65
	s_and_saveexec_b64 s[46:47], s[4:5]
	s_cbranch_execz .LBB199_65
; %bb.60:                               ;   in Loop: Header=BB199_14 Depth=1
	v_cmp_ne_u16_e64 s[4:5], s60, v65
	v_bfrev_b32_e32 v63, 1
	s_and_saveexec_b64 s[48:49], s[4:5]
	s_cbranch_execz .LBB199_64
; %bb.61:                               ;   in Loop: Header=BB199_14 Depth=1
	v_and_b32_e32 v44, 0xffff, v65
	v_and_b32_e32 v66, 0x7f, v44
	v_cmp_ne_u32_e64 s[4:5], s61, v66
	v_mov_b32_e32 v63, 0x7f800001
	s_and_saveexec_b64 s[50:51], s[4:5]
	s_cbranch_execz .LBB199_63
; %bb.62:                               ;   in Loop: Header=BB199_14 Depth=1
	v_and_b32_e32 v63, 7, v44
	v_ffbh_u32_e32 v68, v63
	v_min_u32_e32 v70, 32, v68
	v_subrev_u32_e32 v68, 28, v70
	v_lshlrev_b64 v[68:69], v68, v[44:45]
	v_lshrrev_b32_e32 v67, 3, v66
	v_sub_u32_e32 v44, 29, v70
	v_and_b32_e32 v68, 7, v68
	v_cmp_gt_u32_e64 s[4:5], 8, v66
	v_cndmask_b32_e64 v44, v67, v44, s[4:5]
	v_cndmask_b32_e64 v63, v63, v68, s[4:5]
	v_lshlrev_b32_e32 v65, 24, v65
	v_lshlrev_b32_e32 v63, 20, v63
	v_and_b32_e32 v65, 0x80000000, v65
	v_lshl_add_u32 v44, v44, 23, v54
	v_or3_b32 v63, v65, v44, v63
.LBB199_63:                             ;   in Loop: Header=BB199_14 Depth=1
	s_or_b64 exec, exec, s[50:51]
.LBB199_64:                             ;   in Loop: Header=BB199_14 Depth=1
	s_or_b64 exec, exec, s[48:49]
.LBB199_65:                             ;   in Loop: Header=BB199_14 Depth=1
	s_or_b64 exec, exec, s[46:47]
	global_load_ubyte v67, v[42:43], off offset:512
	v_mov_b32_e32 v65, 0
	v_mov_b32_e32 v66, 0
	s_waitcnt vmcnt(0)
	v_cmp_ne_u16_e64 s[4:5], 0, v67
	s_and_saveexec_b64 s[46:47], s[4:5]
	s_cbranch_execz .LBB199_71
; %bb.66:                               ;   in Loop: Header=BB199_14 Depth=1
	v_cmp_ne_u16_e64 s[4:5], s60, v67
	v_bfrev_b32_e32 v66, 1
	s_and_saveexec_b64 s[48:49], s[4:5]
	s_cbranch_execz .LBB199_70
; %bb.67:                               ;   in Loop: Header=BB199_14 Depth=1
	v_and_b32_e32 v44, 0xffff, v67
	v_and_b32_e32 v68, 0x7f, v44
	v_cmp_ne_u32_e64 s[4:5], s61, v68
	v_mov_b32_e32 v66, 0x7f800001
	s_and_saveexec_b64 s[50:51], s[4:5]
	s_cbranch_execz .LBB199_69
; %bb.68:                               ;   in Loop: Header=BB199_14 Depth=1
	v_and_b32_e32 v66, 7, v44
	v_ffbh_u32_e32 v70, v66
	v_min_u32_e32 v72, 32, v70
	v_subrev_u32_e32 v70, 28, v72
	v_lshlrev_b64 v[70:71], v70, v[44:45]
	v_lshrrev_b32_e32 v69, 3, v68
	v_sub_u32_e32 v44, 29, v72
	v_and_b32_e32 v70, 7, v70
	v_cmp_gt_u32_e64 s[4:5], 8, v68
	v_cndmask_b32_e64 v44, v69, v44, s[4:5]
	v_cndmask_b32_e64 v66, v66, v70, s[4:5]
	v_lshlrev_b32_e32 v67, 24, v67
	v_lshlrev_b32_e32 v66, 20, v66
	v_and_b32_e32 v67, 0x80000000, v67
	v_lshl_add_u32 v44, v44, 23, v54
	v_or3_b32 v66, v67, v44, v66
.LBB199_69:                             ;   in Loop: Header=BB199_14 Depth=1
	s_or_b64 exec, exec, s[50:51]
.LBB199_70:                             ;   in Loop: Header=BB199_14 Depth=1
	s_or_b64 exec, exec, s[48:49]
.LBB199_71:                             ;   in Loop: Header=BB199_14 Depth=1
	s_or_b64 exec, exec, s[46:47]
	global_load_ubyte v67, v[42:43], off offset:520
	s_waitcnt vmcnt(0)
	v_cmp_ne_u16_e64 s[4:5], 0, v67
	s_and_saveexec_b64 s[46:47], s[4:5]
	s_cbranch_execz .LBB199_77
; %bb.72:                               ;   in Loop: Header=BB199_14 Depth=1
	v_cmp_ne_u16_e64 s[4:5], s60, v67
	v_bfrev_b32_e32 v65, 1
	s_and_saveexec_b64 s[48:49], s[4:5]
	s_cbranch_execz .LBB199_76
; %bb.73:                               ;   in Loop: Header=BB199_14 Depth=1
	v_and_b32_e32 v44, 0xffff, v67
	v_and_b32_e32 v68, 0x7f, v44
	v_cmp_ne_u32_e64 s[4:5], s61, v68
	v_mov_b32_e32 v65, 0x7f800001
	s_and_saveexec_b64 s[50:51], s[4:5]
	s_cbranch_execz .LBB199_75
; %bb.74:                               ;   in Loop: Header=BB199_14 Depth=1
	v_and_b32_e32 v65, 7, v44
	v_ffbh_u32_e32 v70, v65
	v_min_u32_e32 v72, 32, v70
	v_subrev_u32_e32 v70, 28, v72
	v_lshlrev_b64 v[70:71], v70, v[44:45]
	v_lshrrev_b32_e32 v69, 3, v68
	v_sub_u32_e32 v44, 29, v72
	v_and_b32_e32 v70, 7, v70
	v_cmp_gt_u32_e64 s[4:5], 8, v68
	v_cndmask_b32_e64 v44, v69, v44, s[4:5]
	v_cndmask_b32_e64 v65, v65, v70, s[4:5]
	v_lshlrev_b32_e32 v67, 24, v67
	v_lshlrev_b32_e32 v65, 20, v65
	v_and_b32_e32 v67, 0x80000000, v67
	v_lshl_add_u32 v44, v44, 23, v54
	v_or3_b32 v65, v67, v44, v65
.LBB199_75:                             ;   in Loop: Header=BB199_14 Depth=1
	s_or_b64 exec, exec, s[50:51]
.LBB199_76:                             ;   in Loop: Header=BB199_14 Depth=1
	s_or_b64 exec, exec, s[48:49]
.LBB199_77:                             ;   in Loop: Header=BB199_14 Depth=1
	s_or_b64 exec, exec, s[46:47]
	global_load_ubyte v69, v[42:43], off offset:640
	v_mov_b32_e32 v67, 0
	v_mov_b32_e32 v68, 0
	s_waitcnt vmcnt(0)
	v_cmp_ne_u16_e64 s[4:5], 0, v69
	s_and_saveexec_b64 s[46:47], s[4:5]
	s_cbranch_execz .LBB199_83
; %bb.78:                               ;   in Loop: Header=BB199_14 Depth=1
	v_cmp_ne_u16_e64 s[4:5], s60, v69
	v_bfrev_b32_e32 v68, 1
	s_and_saveexec_b64 s[48:49], s[4:5]
	s_cbranch_execz .LBB199_82
; %bb.79:                               ;   in Loop: Header=BB199_14 Depth=1
	v_and_b32_e32 v44, 0xffff, v69
	v_and_b32_e32 v70, 0x7f, v44
	v_cmp_ne_u32_e64 s[4:5], s61, v70
	v_mov_b32_e32 v68, 0x7f800001
	s_and_saveexec_b64 s[50:51], s[4:5]
	s_cbranch_execz .LBB199_81
; %bb.80:                               ;   in Loop: Header=BB199_14 Depth=1
	v_and_b32_e32 v68, 7, v44
	v_ffbh_u32_e32 v72, v68
	v_min_u32_e32 v74, 32, v72
	v_subrev_u32_e32 v72, 28, v74
	v_lshlrev_b64 v[72:73], v72, v[44:45]
	v_lshrrev_b32_e32 v71, 3, v70
	v_sub_u32_e32 v44, 29, v74
	v_and_b32_e32 v72, 7, v72
	v_cmp_gt_u32_e64 s[4:5], 8, v70
	v_cndmask_b32_e64 v44, v71, v44, s[4:5]
	v_cndmask_b32_e64 v68, v68, v72, s[4:5]
	v_lshlrev_b32_e32 v69, 24, v69
	v_lshlrev_b32_e32 v68, 20, v68
	v_and_b32_e32 v69, 0x80000000, v69
	v_lshl_add_u32 v44, v44, 23, v54
	v_or3_b32 v68, v69, v44, v68
.LBB199_81:                             ;   in Loop: Header=BB199_14 Depth=1
	s_or_b64 exec, exec, s[50:51]
.LBB199_82:                             ;   in Loop: Header=BB199_14 Depth=1
	s_or_b64 exec, exec, s[48:49]
.LBB199_83:                             ;   in Loop: Header=BB199_14 Depth=1
	s_or_b64 exec, exec, s[46:47]
	global_load_ubyte v69, v[42:43], off offset:648
	s_waitcnt vmcnt(0)
	v_cmp_ne_u16_e64 s[4:5], 0, v69
	s_and_saveexec_b64 s[46:47], s[4:5]
	s_cbranch_execz .LBB199_89
; %bb.84:                               ;   in Loop: Header=BB199_14 Depth=1
	v_cmp_ne_u16_e64 s[4:5], s60, v69
	v_bfrev_b32_e32 v67, 1
	s_and_saveexec_b64 s[48:49], s[4:5]
	s_cbranch_execz .LBB199_88
; %bb.85:                               ;   in Loop: Header=BB199_14 Depth=1
	v_and_b32_e32 v44, 0xffff, v69
	v_and_b32_e32 v70, 0x7f, v44
	v_cmp_ne_u32_e64 s[4:5], s61, v70
	v_mov_b32_e32 v67, 0x7f800001
	s_and_saveexec_b64 s[50:51], s[4:5]
	s_cbranch_execz .LBB199_87
; %bb.86:                               ;   in Loop: Header=BB199_14 Depth=1
	v_and_b32_e32 v67, 7, v44
	v_ffbh_u32_e32 v72, v67
	v_min_u32_e32 v74, 32, v72
	v_subrev_u32_e32 v72, 28, v74
	v_lshlrev_b64 v[72:73], v72, v[44:45]
	v_lshrrev_b32_e32 v71, 3, v70
	v_sub_u32_e32 v44, 29, v74
	v_and_b32_e32 v72, 7, v72
	v_cmp_gt_u32_e64 s[4:5], 8, v70
	v_cndmask_b32_e64 v44, v71, v44, s[4:5]
	v_cndmask_b32_e64 v67, v67, v72, s[4:5]
	v_lshlrev_b32_e32 v69, 24, v69
	v_lshlrev_b32_e32 v67, 20, v67
	v_and_b32_e32 v69, 0x80000000, v69
	v_lshl_add_u32 v44, v44, 23, v54
	v_or3_b32 v67, v69, v44, v67
.LBB199_87:                             ;   in Loop: Header=BB199_14 Depth=1
	s_or_b64 exec, exec, s[50:51]
.LBB199_88:                             ;   in Loop: Header=BB199_14 Depth=1
	s_or_b64 exec, exec, s[48:49]
.LBB199_89:                             ;   in Loop: Header=BB199_14 Depth=1
	s_or_b64 exec, exec, s[46:47]
	global_load_ubyte v71, v[42:43], off offset:768
	v_mov_b32_e32 v69, 0
	v_mov_b32_e32 v70, 0
	s_waitcnt vmcnt(0)
	v_cmp_ne_u16_e64 s[4:5], 0, v71
	s_and_saveexec_b64 s[46:47], s[4:5]
	s_cbranch_execz .LBB199_95
; %bb.90:                               ;   in Loop: Header=BB199_14 Depth=1
	v_cmp_ne_u16_e64 s[4:5], s60, v71
	v_bfrev_b32_e32 v70, 1
	s_and_saveexec_b64 s[48:49], s[4:5]
	s_cbranch_execz .LBB199_94
; %bb.91:                               ;   in Loop: Header=BB199_14 Depth=1
	v_and_b32_e32 v44, 0xffff, v71
	v_and_b32_e32 v72, 0x7f, v44
	v_cmp_ne_u32_e64 s[4:5], s61, v72
	v_mov_b32_e32 v70, 0x7f800001
	s_and_saveexec_b64 s[50:51], s[4:5]
	s_cbranch_execz .LBB199_93
; %bb.92:                               ;   in Loop: Header=BB199_14 Depth=1
	v_and_b32_e32 v70, 7, v44
	v_ffbh_u32_e32 v74, v70
	v_min_u32_e32 v76, 32, v74
	v_subrev_u32_e32 v74, 28, v76
	v_lshlrev_b64 v[74:75], v74, v[44:45]
	v_lshrrev_b32_e32 v73, 3, v72
	v_sub_u32_e32 v44, 29, v76
	v_and_b32_e32 v74, 7, v74
	v_cmp_gt_u32_e64 s[4:5], 8, v72
	v_cndmask_b32_e64 v44, v73, v44, s[4:5]
	v_cndmask_b32_e64 v70, v70, v74, s[4:5]
	v_lshlrev_b32_e32 v71, 24, v71
	v_lshlrev_b32_e32 v70, 20, v70
	v_and_b32_e32 v71, 0x80000000, v71
	v_lshl_add_u32 v44, v44, 23, v54
	v_or3_b32 v70, v71, v44, v70
.LBB199_93:                             ;   in Loop: Header=BB199_14 Depth=1
	s_or_b64 exec, exec, s[50:51]
.LBB199_94:                             ;   in Loop: Header=BB199_14 Depth=1
	s_or_b64 exec, exec, s[48:49]
.LBB199_95:                             ;   in Loop: Header=BB199_14 Depth=1
	s_or_b64 exec, exec, s[46:47]
	global_load_ubyte v71, v[42:43], off offset:776
	s_waitcnt vmcnt(0)
	v_cmp_ne_u16_e64 s[4:5], 0, v71
	s_and_saveexec_b64 s[46:47], s[4:5]
	s_cbranch_execz .LBB199_101
; %bb.96:                               ;   in Loop: Header=BB199_14 Depth=1
	v_cmp_ne_u16_e64 s[4:5], s60, v71
	v_bfrev_b32_e32 v69, 1
	s_and_saveexec_b64 s[48:49], s[4:5]
	s_cbranch_execz .LBB199_100
; %bb.97:                               ;   in Loop: Header=BB199_14 Depth=1
	v_and_b32_e32 v44, 0xffff, v71
	v_and_b32_e32 v72, 0x7f, v44
	v_cmp_ne_u32_e64 s[4:5], s61, v72
	v_mov_b32_e32 v69, 0x7f800001
	s_and_saveexec_b64 s[50:51], s[4:5]
	s_cbranch_execz .LBB199_99
; %bb.98:                               ;   in Loop: Header=BB199_14 Depth=1
	v_and_b32_e32 v69, 7, v44
	v_ffbh_u32_e32 v74, v69
	v_min_u32_e32 v76, 32, v74
	v_subrev_u32_e32 v74, 28, v76
	v_lshlrev_b64 v[74:75], v74, v[44:45]
	v_lshrrev_b32_e32 v73, 3, v72
	v_sub_u32_e32 v44, 29, v76
	v_and_b32_e32 v74, 7, v74
	v_cmp_gt_u32_e64 s[4:5], 8, v72
	v_cndmask_b32_e64 v44, v73, v44, s[4:5]
	v_cndmask_b32_e64 v69, v69, v74, s[4:5]
	v_lshlrev_b32_e32 v71, 24, v71
	v_lshlrev_b32_e32 v69, 20, v69
	v_and_b32_e32 v71, 0x80000000, v71
	v_lshl_add_u32 v44, v44, 23, v54
	v_or3_b32 v69, v71, v44, v69
.LBB199_99:                             ;   in Loop: Header=BB199_14 Depth=1
	s_or_b64 exec, exec, s[50:51]
.LBB199_100:                            ;   in Loop: Header=BB199_14 Depth=1
	s_or_b64 exec, exec, s[48:49]
.LBB199_101:                            ;   in Loop: Header=BB199_14 Depth=1
	s_or_b64 exec, exec, s[46:47]
	global_load_ubyte v73, v[42:43], off offset:896
	v_mov_b32_e32 v71, 0
	v_mov_b32_e32 v72, 0
	s_waitcnt vmcnt(0)
	v_cmp_ne_u16_e64 s[4:5], 0, v73
	s_and_saveexec_b64 s[46:47], s[4:5]
	s_cbranch_execz .LBB199_107
; %bb.102:                              ;   in Loop: Header=BB199_14 Depth=1
	v_cmp_ne_u16_e64 s[4:5], s60, v73
	v_bfrev_b32_e32 v72, 1
	s_and_saveexec_b64 s[48:49], s[4:5]
	s_cbranch_execz .LBB199_106
; %bb.103:                              ;   in Loop: Header=BB199_14 Depth=1
	v_and_b32_e32 v44, 0xffff, v73
	v_and_b32_e32 v74, 0x7f, v44
	v_cmp_ne_u32_e64 s[4:5], s61, v74
	v_mov_b32_e32 v72, 0x7f800001
	s_and_saveexec_b64 s[50:51], s[4:5]
	s_cbranch_execz .LBB199_105
; %bb.104:                              ;   in Loop: Header=BB199_14 Depth=1
	v_and_b32_e32 v72, 7, v44
	v_ffbh_u32_e32 v76, v72
	v_min_u32_e32 v78, 32, v76
	v_subrev_u32_e32 v76, 28, v78
	v_lshlrev_b64 v[76:77], v76, v[44:45]
	v_lshrrev_b32_e32 v75, 3, v74
	v_sub_u32_e32 v44, 29, v78
	v_and_b32_e32 v76, 7, v76
	v_cmp_gt_u32_e64 s[4:5], 8, v74
	v_cndmask_b32_e64 v44, v75, v44, s[4:5]
	v_cndmask_b32_e64 v72, v72, v76, s[4:5]
	v_lshlrev_b32_e32 v73, 24, v73
	v_lshlrev_b32_e32 v72, 20, v72
	v_and_b32_e32 v73, 0x80000000, v73
	v_lshl_add_u32 v44, v44, 23, v54
	v_or3_b32 v72, v73, v44, v72
.LBB199_105:                            ;   in Loop: Header=BB199_14 Depth=1
	s_or_b64 exec, exec, s[50:51]
.LBB199_106:                            ;   in Loop: Header=BB199_14 Depth=1
	s_or_b64 exec, exec, s[48:49]
.LBB199_107:                            ;   in Loop: Header=BB199_14 Depth=1
	s_or_b64 exec, exec, s[46:47]
	global_load_ubyte v73, v[42:43], off offset:904
	s_waitcnt vmcnt(0)
	v_cmp_ne_u16_e64 s[4:5], 0, v73
	s_and_saveexec_b64 s[46:47], s[4:5]
	s_cbranch_execz .LBB199_113
; %bb.108:                              ;   in Loop: Header=BB199_14 Depth=1
	v_cmp_ne_u16_e64 s[4:5], s60, v73
	v_bfrev_b32_e32 v71, 1
	s_and_saveexec_b64 s[48:49], s[4:5]
	s_cbranch_execz .LBB199_112
; %bb.109:                              ;   in Loop: Header=BB199_14 Depth=1
	v_and_b32_e32 v44, 0xffff, v73
	v_and_b32_e32 v74, 0x7f, v44
	v_cmp_ne_u32_e64 s[4:5], s61, v74
	v_mov_b32_e32 v71, 0x7f800001
	s_and_saveexec_b64 s[50:51], s[4:5]
	s_cbranch_execz .LBB199_111
; %bb.110:                              ;   in Loop: Header=BB199_14 Depth=1
	v_and_b32_e32 v71, 7, v44
	v_ffbh_u32_e32 v76, v71
	v_min_u32_e32 v78, 32, v76
	v_subrev_u32_e32 v76, 28, v78
	v_lshlrev_b64 v[76:77], v76, v[44:45]
	v_lshrrev_b32_e32 v75, 3, v74
	v_sub_u32_e32 v44, 29, v78
	v_and_b32_e32 v76, 7, v76
	v_cmp_gt_u32_e64 s[4:5], 8, v74
	v_cndmask_b32_e64 v44, v75, v44, s[4:5]
	v_cndmask_b32_e64 v71, v71, v76, s[4:5]
	v_lshlrev_b32_e32 v73, 24, v73
	v_lshlrev_b32_e32 v71, 20, v71
	v_and_b32_e32 v73, 0x80000000, v73
	v_lshl_add_u32 v44, v44, 23, v54
	v_or3_b32 v71, v73, v44, v71
.LBB199_111:                            ;   in Loop: Header=BB199_14 Depth=1
	s_or_b64 exec, exec, s[50:51]
.LBB199_112:                            ;   in Loop: Header=BB199_14 Depth=1
	s_or_b64 exec, exec, s[48:49]
.LBB199_113:                            ;   in Loop: Header=BB199_14 Depth=1
	s_or_b64 exec, exec, s[46:47]
	global_load_ubyte v75, v[42:43], off offset:1024
	v_mov_b32_e32 v73, 0
	v_mov_b32_e32 v74, 0
	s_waitcnt vmcnt(0)
	v_cmp_ne_u16_e64 s[4:5], 0, v75
	s_and_saveexec_b64 s[46:47], s[4:5]
	s_cbranch_execz .LBB199_119
; %bb.114:                              ;   in Loop: Header=BB199_14 Depth=1
	v_cmp_ne_u16_e64 s[4:5], s60, v75
	v_bfrev_b32_e32 v74, 1
	s_and_saveexec_b64 s[48:49], s[4:5]
	s_cbranch_execz .LBB199_118
; %bb.115:                              ;   in Loop: Header=BB199_14 Depth=1
	v_and_b32_e32 v44, 0xffff, v75
	v_and_b32_e32 v76, 0x7f, v44
	v_cmp_ne_u32_e64 s[4:5], s61, v76
	v_mov_b32_e32 v74, 0x7f800001
	s_and_saveexec_b64 s[50:51], s[4:5]
	s_cbranch_execz .LBB199_117
; %bb.116:                              ;   in Loop: Header=BB199_14 Depth=1
	v_and_b32_e32 v74, 7, v44
	v_ffbh_u32_e32 v78, v74
	v_min_u32_e32 v80, 32, v78
	v_subrev_u32_e32 v78, 28, v80
	v_lshlrev_b64 v[78:79], v78, v[44:45]
	v_lshrrev_b32_e32 v77, 3, v76
	v_sub_u32_e32 v44, 29, v80
	v_and_b32_e32 v78, 7, v78
	v_cmp_gt_u32_e64 s[4:5], 8, v76
	v_cndmask_b32_e64 v44, v77, v44, s[4:5]
	v_cndmask_b32_e64 v74, v74, v78, s[4:5]
	v_lshlrev_b32_e32 v75, 24, v75
	v_lshlrev_b32_e32 v74, 20, v74
	v_and_b32_e32 v75, 0x80000000, v75
	v_lshl_add_u32 v44, v44, 23, v54
	v_or3_b32 v74, v75, v44, v74
.LBB199_117:                            ;   in Loop: Header=BB199_14 Depth=1
	s_or_b64 exec, exec, s[50:51]
.LBB199_118:                            ;   in Loop: Header=BB199_14 Depth=1
	s_or_b64 exec, exec, s[48:49]
.LBB199_119:                            ;   in Loop: Header=BB199_14 Depth=1
	s_or_b64 exec, exec, s[46:47]
	global_load_ubyte v75, v[42:43], off offset:1032
	s_waitcnt vmcnt(0)
	v_cmp_ne_u16_e64 s[4:5], 0, v75
	s_and_saveexec_b64 s[46:47], s[4:5]
	s_cbranch_execz .LBB199_125
; %bb.120:                              ;   in Loop: Header=BB199_14 Depth=1
	v_cmp_ne_u16_e64 s[4:5], s60, v75
	v_bfrev_b32_e32 v73, 1
	s_and_saveexec_b64 s[48:49], s[4:5]
	s_cbranch_execz .LBB199_124
; %bb.121:                              ;   in Loop: Header=BB199_14 Depth=1
	v_and_b32_e32 v44, 0xffff, v75
	v_and_b32_e32 v76, 0x7f, v44
	v_cmp_ne_u32_e64 s[4:5], s61, v76
	v_mov_b32_e32 v73, 0x7f800001
	s_and_saveexec_b64 s[50:51], s[4:5]
	s_cbranch_execz .LBB199_123
; %bb.122:                              ;   in Loop: Header=BB199_14 Depth=1
	v_and_b32_e32 v73, 7, v44
	v_ffbh_u32_e32 v78, v73
	v_min_u32_e32 v80, 32, v78
	v_subrev_u32_e32 v78, 28, v80
	v_lshlrev_b64 v[78:79], v78, v[44:45]
	v_lshrrev_b32_e32 v77, 3, v76
	v_sub_u32_e32 v44, 29, v80
	v_and_b32_e32 v78, 7, v78
	v_cmp_gt_u32_e64 s[4:5], 8, v76
	v_cndmask_b32_e64 v44, v77, v44, s[4:5]
	v_cndmask_b32_e64 v73, v73, v78, s[4:5]
	v_lshlrev_b32_e32 v75, 24, v75
	v_lshlrev_b32_e32 v73, 20, v73
	v_and_b32_e32 v75, 0x80000000, v75
	v_lshl_add_u32 v44, v44, 23, v54
	v_or3_b32 v73, v75, v44, v73
.LBB199_123:                            ;   in Loop: Header=BB199_14 Depth=1
	s_or_b64 exec, exec, s[50:51]
.LBB199_124:                            ;   in Loop: Header=BB199_14 Depth=1
	s_or_b64 exec, exec, s[48:49]
.LBB199_125:                            ;   in Loop: Header=BB199_14 Depth=1
	s_or_b64 exec, exec, s[46:47]
	global_load_ubyte v77, v[42:43], off offset:1152
	v_mov_b32_e32 v75, 0
	v_mov_b32_e32 v76, 0
	s_waitcnt vmcnt(0)
	v_cmp_ne_u16_e64 s[4:5], 0, v77
	s_and_saveexec_b64 s[46:47], s[4:5]
	s_cbranch_execz .LBB199_131
; %bb.126:                              ;   in Loop: Header=BB199_14 Depth=1
	v_cmp_ne_u16_e64 s[4:5], s60, v77
	v_bfrev_b32_e32 v76, 1
	s_and_saveexec_b64 s[48:49], s[4:5]
	s_cbranch_execz .LBB199_130
; %bb.127:                              ;   in Loop: Header=BB199_14 Depth=1
	v_and_b32_e32 v44, 0xffff, v77
	v_and_b32_e32 v78, 0x7f, v44
	v_cmp_ne_u32_e64 s[4:5], s61, v78
	v_mov_b32_e32 v76, 0x7f800001
	s_and_saveexec_b64 s[50:51], s[4:5]
	s_cbranch_execz .LBB199_129
; %bb.128:                              ;   in Loop: Header=BB199_14 Depth=1
	v_and_b32_e32 v76, 7, v44
	v_ffbh_u32_e32 v80, v76
	v_min_u32_e32 v82, 32, v80
	v_subrev_u32_e32 v80, 28, v82
	v_lshlrev_b64 v[80:81], v80, v[44:45]
	v_lshrrev_b32_e32 v79, 3, v78
	v_sub_u32_e32 v44, 29, v82
	v_and_b32_e32 v80, 7, v80
	v_cmp_gt_u32_e64 s[4:5], 8, v78
	v_cndmask_b32_e64 v44, v79, v44, s[4:5]
	v_cndmask_b32_e64 v76, v76, v80, s[4:5]
	v_lshlrev_b32_e32 v77, 24, v77
	v_lshlrev_b32_e32 v76, 20, v76
	v_and_b32_e32 v77, 0x80000000, v77
	v_lshl_add_u32 v44, v44, 23, v54
	v_or3_b32 v76, v77, v44, v76
.LBB199_129:                            ;   in Loop: Header=BB199_14 Depth=1
	s_or_b64 exec, exec, s[50:51]
.LBB199_130:                            ;   in Loop: Header=BB199_14 Depth=1
	s_or_b64 exec, exec, s[48:49]
.LBB199_131:                            ;   in Loop: Header=BB199_14 Depth=1
	s_or_b64 exec, exec, s[46:47]
	global_load_ubyte v77, v[42:43], off offset:1160
	s_waitcnt vmcnt(0)
	v_cmp_ne_u16_e64 s[4:5], 0, v77
	s_and_saveexec_b64 s[46:47], s[4:5]
	s_cbranch_execz .LBB199_137
; %bb.132:                              ;   in Loop: Header=BB199_14 Depth=1
	v_cmp_ne_u16_e64 s[4:5], s60, v77
	v_bfrev_b32_e32 v75, 1
	s_and_saveexec_b64 s[48:49], s[4:5]
	s_cbranch_execz .LBB199_136
; %bb.133:                              ;   in Loop: Header=BB199_14 Depth=1
	v_and_b32_e32 v44, 0xffff, v77
	v_and_b32_e32 v78, 0x7f, v44
	v_cmp_ne_u32_e64 s[4:5], s61, v78
	v_mov_b32_e32 v75, 0x7f800001
	s_and_saveexec_b64 s[50:51], s[4:5]
	s_cbranch_execz .LBB199_135
; %bb.134:                              ;   in Loop: Header=BB199_14 Depth=1
	v_and_b32_e32 v75, 7, v44
	v_ffbh_u32_e32 v80, v75
	v_min_u32_e32 v82, 32, v80
	v_subrev_u32_e32 v80, 28, v82
	v_lshlrev_b64 v[80:81], v80, v[44:45]
	v_lshrrev_b32_e32 v79, 3, v78
	v_sub_u32_e32 v44, 29, v82
	v_and_b32_e32 v80, 7, v80
	v_cmp_gt_u32_e64 s[4:5], 8, v78
	v_cndmask_b32_e64 v44, v79, v44, s[4:5]
	v_cndmask_b32_e64 v75, v75, v80, s[4:5]
	v_lshlrev_b32_e32 v77, 24, v77
	v_lshlrev_b32_e32 v75, 20, v75
	v_and_b32_e32 v77, 0x80000000, v77
	v_lshl_add_u32 v44, v44, 23, v54
	v_or3_b32 v75, v77, v44, v75
.LBB199_135:                            ;   in Loop: Header=BB199_14 Depth=1
	s_or_b64 exec, exec, s[50:51]
.LBB199_136:                            ;   in Loop: Header=BB199_14 Depth=1
	s_or_b64 exec, exec, s[48:49]
.LBB199_137:                            ;   in Loop: Header=BB199_14 Depth=1
	s_or_b64 exec, exec, s[46:47]
	global_load_ubyte v79, v[42:43], off offset:1280
	v_mov_b32_e32 v77, 0
	v_mov_b32_e32 v78, 0
	s_waitcnt vmcnt(0)
	v_cmp_ne_u16_e64 s[4:5], 0, v79
	s_and_saveexec_b64 s[46:47], s[4:5]
	s_cbranch_execz .LBB199_143
; %bb.138:                              ;   in Loop: Header=BB199_14 Depth=1
	v_cmp_ne_u16_e64 s[4:5], s60, v79
	v_bfrev_b32_e32 v78, 1
	s_and_saveexec_b64 s[48:49], s[4:5]
	s_cbranch_execz .LBB199_142
; %bb.139:                              ;   in Loop: Header=BB199_14 Depth=1
	v_and_b32_e32 v44, 0xffff, v79
	v_and_b32_e32 v80, 0x7f, v44
	v_cmp_ne_u32_e64 s[4:5], s61, v80
	v_mov_b32_e32 v78, 0x7f800001
	s_and_saveexec_b64 s[50:51], s[4:5]
	s_cbranch_execz .LBB199_141
; %bb.140:                              ;   in Loop: Header=BB199_14 Depth=1
	v_and_b32_e32 v78, 7, v44
	v_ffbh_u32_e32 v82, v78
	v_min_u32_e32 v84, 32, v82
	v_subrev_u32_e32 v82, 28, v84
	v_lshlrev_b64 v[82:83], v82, v[44:45]
	v_lshrrev_b32_e32 v81, 3, v80
	v_sub_u32_e32 v44, 29, v84
	v_and_b32_e32 v82, 7, v82
	v_cmp_gt_u32_e64 s[4:5], 8, v80
	v_cndmask_b32_e64 v44, v81, v44, s[4:5]
	v_cndmask_b32_e64 v78, v78, v82, s[4:5]
	v_lshlrev_b32_e32 v79, 24, v79
	v_lshlrev_b32_e32 v78, 20, v78
	v_and_b32_e32 v79, 0x80000000, v79
	v_lshl_add_u32 v44, v44, 23, v54
	v_or3_b32 v78, v79, v44, v78
.LBB199_141:                            ;   in Loop: Header=BB199_14 Depth=1
	s_or_b64 exec, exec, s[50:51]
.LBB199_142:                            ;   in Loop: Header=BB199_14 Depth=1
	s_or_b64 exec, exec, s[48:49]
.LBB199_143:                            ;   in Loop: Header=BB199_14 Depth=1
	s_or_b64 exec, exec, s[46:47]
	global_load_ubyte v79, v[42:43], off offset:1288
	s_waitcnt vmcnt(0)
	v_cmp_ne_u16_e64 s[4:5], 0, v79
	s_and_saveexec_b64 s[46:47], s[4:5]
	s_cbranch_execz .LBB199_149
; %bb.144:                              ;   in Loop: Header=BB199_14 Depth=1
	v_cmp_ne_u16_e64 s[4:5], s60, v79
	v_bfrev_b32_e32 v77, 1
	s_and_saveexec_b64 s[48:49], s[4:5]
	s_cbranch_execz .LBB199_148
; %bb.145:                              ;   in Loop: Header=BB199_14 Depth=1
	v_and_b32_e32 v44, 0xffff, v79
	v_and_b32_e32 v80, 0x7f, v44
	v_cmp_ne_u32_e64 s[4:5], s61, v80
	v_mov_b32_e32 v77, 0x7f800001
	s_and_saveexec_b64 s[50:51], s[4:5]
	s_cbranch_execz .LBB199_147
; %bb.146:                              ;   in Loop: Header=BB199_14 Depth=1
	v_and_b32_e32 v77, 7, v44
	v_ffbh_u32_e32 v82, v77
	v_min_u32_e32 v84, 32, v82
	v_subrev_u32_e32 v82, 28, v84
	v_lshlrev_b64 v[82:83], v82, v[44:45]
	v_lshrrev_b32_e32 v81, 3, v80
	v_sub_u32_e32 v44, 29, v84
	v_and_b32_e32 v82, 7, v82
	v_cmp_gt_u32_e64 s[4:5], 8, v80
	v_cndmask_b32_e64 v44, v81, v44, s[4:5]
	v_cndmask_b32_e64 v77, v77, v82, s[4:5]
	v_lshlrev_b32_e32 v79, 24, v79
	v_lshlrev_b32_e32 v77, 20, v77
	v_and_b32_e32 v79, 0x80000000, v79
	v_lshl_add_u32 v44, v44, 23, v54
	v_or3_b32 v77, v79, v44, v77
.LBB199_147:                            ;   in Loop: Header=BB199_14 Depth=1
	s_or_b64 exec, exec, s[50:51]
.LBB199_148:                            ;   in Loop: Header=BB199_14 Depth=1
	s_or_b64 exec, exec, s[48:49]
.LBB199_149:                            ;   in Loop: Header=BB199_14 Depth=1
	s_or_b64 exec, exec, s[46:47]
	global_load_ubyte v81, v[42:43], off offset:1408
	v_mov_b32_e32 v79, 0
	v_mov_b32_e32 v80, 0
	s_waitcnt vmcnt(0)
	v_cmp_ne_u16_e64 s[4:5], 0, v81
	s_and_saveexec_b64 s[46:47], s[4:5]
	s_cbranch_execz .LBB199_155
; %bb.150:                              ;   in Loop: Header=BB199_14 Depth=1
	v_cmp_ne_u16_e64 s[4:5], s60, v81
	v_bfrev_b32_e32 v80, 1
	s_and_saveexec_b64 s[48:49], s[4:5]
	s_cbranch_execz .LBB199_154
; %bb.151:                              ;   in Loop: Header=BB199_14 Depth=1
	v_and_b32_e32 v44, 0xffff, v81
	v_and_b32_e32 v82, 0x7f, v44
	v_cmp_ne_u32_e64 s[4:5], s61, v82
	v_mov_b32_e32 v80, 0x7f800001
	s_and_saveexec_b64 s[50:51], s[4:5]
	s_cbranch_execz .LBB199_153
; %bb.152:                              ;   in Loop: Header=BB199_14 Depth=1
	v_and_b32_e32 v80, 7, v44
	v_ffbh_u32_e32 v84, v80
	v_min_u32_e32 v86, 32, v84
	v_subrev_u32_e32 v84, 28, v86
	v_lshlrev_b64 v[84:85], v84, v[44:45]
	v_lshrrev_b32_e32 v83, 3, v82
	v_sub_u32_e32 v44, 29, v86
	v_and_b32_e32 v84, 7, v84
	v_cmp_gt_u32_e64 s[4:5], 8, v82
	v_cndmask_b32_e64 v44, v83, v44, s[4:5]
	v_cndmask_b32_e64 v80, v80, v84, s[4:5]
	v_lshlrev_b32_e32 v81, 24, v81
	v_lshlrev_b32_e32 v80, 20, v80
	v_and_b32_e32 v81, 0x80000000, v81
	v_lshl_add_u32 v44, v44, 23, v54
	v_or3_b32 v80, v81, v44, v80
.LBB199_153:                            ;   in Loop: Header=BB199_14 Depth=1
	s_or_b64 exec, exec, s[50:51]
.LBB199_154:                            ;   in Loop: Header=BB199_14 Depth=1
	s_or_b64 exec, exec, s[48:49]
.LBB199_155:                            ;   in Loop: Header=BB199_14 Depth=1
	s_or_b64 exec, exec, s[46:47]
	global_load_ubyte v81, v[42:43], off offset:1416
	s_waitcnt vmcnt(0)
	v_cmp_ne_u16_e64 s[4:5], 0, v81
	s_and_saveexec_b64 s[46:47], s[4:5]
	s_cbranch_execz .LBB199_161
; %bb.156:                              ;   in Loop: Header=BB199_14 Depth=1
	v_cmp_ne_u16_e64 s[4:5], s60, v81
	v_bfrev_b32_e32 v79, 1
	s_and_saveexec_b64 s[48:49], s[4:5]
	s_cbranch_execz .LBB199_160
; %bb.157:                              ;   in Loop: Header=BB199_14 Depth=1
	v_and_b32_e32 v44, 0xffff, v81
	v_and_b32_e32 v82, 0x7f, v44
	v_cmp_ne_u32_e64 s[4:5], s61, v82
	v_mov_b32_e32 v79, 0x7f800001
	s_and_saveexec_b64 s[50:51], s[4:5]
	s_cbranch_execz .LBB199_159
; %bb.158:                              ;   in Loop: Header=BB199_14 Depth=1
	v_and_b32_e32 v79, 7, v44
	v_ffbh_u32_e32 v84, v79
	v_min_u32_e32 v86, 32, v84
	v_subrev_u32_e32 v84, 28, v86
	v_lshlrev_b64 v[84:85], v84, v[44:45]
	v_lshrrev_b32_e32 v83, 3, v82
	v_sub_u32_e32 v44, 29, v86
	v_and_b32_e32 v84, 7, v84
	v_cmp_gt_u32_e64 s[4:5], 8, v82
	v_cndmask_b32_e64 v44, v83, v44, s[4:5]
	v_cndmask_b32_e64 v79, v79, v84, s[4:5]
	v_lshlrev_b32_e32 v81, 24, v81
	v_lshlrev_b32_e32 v79, 20, v79
	v_and_b32_e32 v81, 0x80000000, v81
	v_lshl_add_u32 v44, v44, 23, v54
	v_or3_b32 v79, v81, v44, v79
.LBB199_159:                            ;   in Loop: Header=BB199_14 Depth=1
	s_or_b64 exec, exec, s[50:51]
.LBB199_160:                            ;   in Loop: Header=BB199_14 Depth=1
	s_or_b64 exec, exec, s[48:49]
.LBB199_161:                            ;   in Loop: Header=BB199_14 Depth=1
	s_or_b64 exec, exec, s[46:47]
	global_load_ubyte v83, v[42:43], off offset:1536
	v_mov_b32_e32 v81, 0
	v_mov_b32_e32 v82, 0
	s_waitcnt vmcnt(0)
	v_cmp_ne_u16_e64 s[4:5], 0, v83
	s_and_saveexec_b64 s[46:47], s[4:5]
	s_cbranch_execz .LBB199_167
; %bb.162:                              ;   in Loop: Header=BB199_14 Depth=1
	v_cmp_ne_u16_e64 s[4:5], s60, v83
	v_bfrev_b32_e32 v82, 1
	s_and_saveexec_b64 s[48:49], s[4:5]
	s_cbranch_execz .LBB199_166
; %bb.163:                              ;   in Loop: Header=BB199_14 Depth=1
	v_and_b32_e32 v44, 0xffff, v83
	v_and_b32_e32 v84, 0x7f, v44
	v_cmp_ne_u32_e64 s[4:5], s61, v84
	v_mov_b32_e32 v82, 0x7f800001
	s_and_saveexec_b64 s[50:51], s[4:5]
	s_cbranch_execz .LBB199_165
; %bb.164:                              ;   in Loop: Header=BB199_14 Depth=1
	v_and_b32_e32 v82, 7, v44
	v_ffbh_u32_e32 v86, v82
	v_min_u32_e32 v88, 32, v86
	v_subrev_u32_e32 v86, 28, v88
	v_lshlrev_b64 v[86:87], v86, v[44:45]
	v_lshrrev_b32_e32 v85, 3, v84
	v_sub_u32_e32 v44, 29, v88
	v_and_b32_e32 v86, 7, v86
	v_cmp_gt_u32_e64 s[4:5], 8, v84
	v_cndmask_b32_e64 v44, v85, v44, s[4:5]
	v_cndmask_b32_e64 v82, v82, v86, s[4:5]
	v_lshlrev_b32_e32 v83, 24, v83
	v_lshlrev_b32_e32 v82, 20, v82
	v_and_b32_e32 v83, 0x80000000, v83
	v_lshl_add_u32 v44, v44, 23, v54
	v_or3_b32 v82, v83, v44, v82
.LBB199_165:                            ;   in Loop: Header=BB199_14 Depth=1
	s_or_b64 exec, exec, s[50:51]
.LBB199_166:                            ;   in Loop: Header=BB199_14 Depth=1
	s_or_b64 exec, exec, s[48:49]
.LBB199_167:                            ;   in Loop: Header=BB199_14 Depth=1
	s_or_b64 exec, exec, s[46:47]
	global_load_ubyte v83, v[42:43], off offset:1544
	s_waitcnt vmcnt(0)
	v_cmp_ne_u16_e64 s[4:5], 0, v83
	s_and_saveexec_b64 s[46:47], s[4:5]
	s_cbranch_execz .LBB199_173
; %bb.168:                              ;   in Loop: Header=BB199_14 Depth=1
	v_cmp_ne_u16_e64 s[4:5], s60, v83
	v_bfrev_b32_e32 v81, 1
	s_and_saveexec_b64 s[48:49], s[4:5]
	s_cbranch_execz .LBB199_172
; %bb.169:                              ;   in Loop: Header=BB199_14 Depth=1
	v_and_b32_e32 v44, 0xffff, v83
	v_and_b32_e32 v84, 0x7f, v44
	v_cmp_ne_u32_e64 s[4:5], s61, v84
	v_mov_b32_e32 v81, 0x7f800001
	s_and_saveexec_b64 s[50:51], s[4:5]
	s_cbranch_execz .LBB199_171
; %bb.170:                              ;   in Loop: Header=BB199_14 Depth=1
	v_and_b32_e32 v81, 7, v44
	v_ffbh_u32_e32 v86, v81
	v_min_u32_e32 v88, 32, v86
	v_subrev_u32_e32 v86, 28, v88
	v_lshlrev_b64 v[86:87], v86, v[44:45]
	v_lshrrev_b32_e32 v85, 3, v84
	v_sub_u32_e32 v44, 29, v88
	v_and_b32_e32 v86, 7, v86
	v_cmp_gt_u32_e64 s[4:5], 8, v84
	v_cndmask_b32_e64 v44, v85, v44, s[4:5]
	v_cndmask_b32_e64 v81, v81, v86, s[4:5]
	v_lshlrev_b32_e32 v83, 24, v83
	v_lshlrev_b32_e32 v81, 20, v81
	v_and_b32_e32 v83, 0x80000000, v83
	v_lshl_add_u32 v44, v44, 23, v54
	v_or3_b32 v81, v83, v44, v81
.LBB199_171:                            ;   in Loop: Header=BB199_14 Depth=1
	s_or_b64 exec, exec, s[50:51]
.LBB199_172:                            ;   in Loop: Header=BB199_14 Depth=1
	s_or_b64 exec, exec, s[48:49]
.LBB199_173:                            ;   in Loop: Header=BB199_14 Depth=1
	s_or_b64 exec, exec, s[46:47]
	global_load_ubyte v85, v[42:43], off offset:1664
	v_mov_b32_e32 v83, 0
	v_mov_b32_e32 v84, 0
	s_waitcnt vmcnt(0)
	v_cmp_ne_u16_e64 s[4:5], 0, v85
	s_and_saveexec_b64 s[46:47], s[4:5]
	s_cbranch_execz .LBB199_179
; %bb.174:                              ;   in Loop: Header=BB199_14 Depth=1
	v_cmp_ne_u16_e64 s[4:5], s60, v85
	v_bfrev_b32_e32 v84, 1
	s_and_saveexec_b64 s[48:49], s[4:5]
	s_cbranch_execz .LBB199_178
; %bb.175:                              ;   in Loop: Header=BB199_14 Depth=1
	v_and_b32_e32 v44, 0xffff, v85
	v_and_b32_e32 v86, 0x7f, v44
	v_cmp_ne_u32_e64 s[4:5], s61, v86
	v_mov_b32_e32 v84, 0x7f800001
	s_and_saveexec_b64 s[50:51], s[4:5]
	s_cbranch_execz .LBB199_177
; %bb.176:                              ;   in Loop: Header=BB199_14 Depth=1
	v_and_b32_e32 v84, 7, v44
	v_ffbh_u32_e32 v88, v84
	v_min_u32_e32 v90, 32, v88
	v_subrev_u32_e32 v88, 28, v90
	v_lshlrev_b64 v[88:89], v88, v[44:45]
	v_lshrrev_b32_e32 v87, 3, v86
	v_sub_u32_e32 v44, 29, v90
	v_and_b32_e32 v88, 7, v88
	v_cmp_gt_u32_e64 s[4:5], 8, v86
	v_cndmask_b32_e64 v44, v87, v44, s[4:5]
	v_cndmask_b32_e64 v84, v84, v88, s[4:5]
	v_lshlrev_b32_e32 v85, 24, v85
	v_lshlrev_b32_e32 v84, 20, v84
	v_and_b32_e32 v85, 0x80000000, v85
	v_lshl_add_u32 v44, v44, 23, v54
	v_or3_b32 v84, v85, v44, v84
.LBB199_177:                            ;   in Loop: Header=BB199_14 Depth=1
	s_or_b64 exec, exec, s[50:51]
.LBB199_178:                            ;   in Loop: Header=BB199_14 Depth=1
	s_or_b64 exec, exec, s[48:49]
.LBB199_179:                            ;   in Loop: Header=BB199_14 Depth=1
	s_or_b64 exec, exec, s[46:47]
	global_load_ubyte v85, v[42:43], off offset:1672
	s_waitcnt vmcnt(0)
	v_cmp_ne_u16_e64 s[4:5], 0, v85
	s_and_saveexec_b64 s[46:47], s[4:5]
	s_cbranch_execz .LBB199_185
; %bb.180:                              ;   in Loop: Header=BB199_14 Depth=1
	v_cmp_ne_u16_e64 s[4:5], s60, v85
	v_bfrev_b32_e32 v83, 1
	s_and_saveexec_b64 s[48:49], s[4:5]
	s_cbranch_execz .LBB199_184
; %bb.181:                              ;   in Loop: Header=BB199_14 Depth=1
	v_and_b32_e32 v44, 0xffff, v85
	v_and_b32_e32 v86, 0x7f, v44
	v_cmp_ne_u32_e64 s[4:5], s61, v86
	v_mov_b32_e32 v83, 0x7f800001
	s_and_saveexec_b64 s[50:51], s[4:5]
	s_cbranch_execz .LBB199_183
; %bb.182:                              ;   in Loop: Header=BB199_14 Depth=1
	v_and_b32_e32 v83, 7, v44
	v_ffbh_u32_e32 v88, v83
	v_min_u32_e32 v90, 32, v88
	v_subrev_u32_e32 v88, 28, v90
	v_lshlrev_b64 v[88:89], v88, v[44:45]
	v_lshrrev_b32_e32 v87, 3, v86
	v_sub_u32_e32 v44, 29, v90
	v_and_b32_e32 v88, 7, v88
	v_cmp_gt_u32_e64 s[4:5], 8, v86
	v_cndmask_b32_e64 v44, v87, v44, s[4:5]
	v_cndmask_b32_e64 v83, v83, v88, s[4:5]
	v_lshlrev_b32_e32 v85, 24, v85
	v_lshlrev_b32_e32 v83, 20, v83
	v_and_b32_e32 v85, 0x80000000, v85
	v_lshl_add_u32 v44, v44, 23, v54
	v_or3_b32 v83, v85, v44, v83
.LBB199_183:                            ;   in Loop: Header=BB199_14 Depth=1
	s_or_b64 exec, exec, s[50:51]
.LBB199_184:                            ;   in Loop: Header=BB199_14 Depth=1
	s_or_b64 exec, exec, s[48:49]
.LBB199_185:                            ;   in Loop: Header=BB199_14 Depth=1
	s_or_b64 exec, exec, s[46:47]
	global_load_ubyte v87, v[42:43], off offset:1792
	v_mov_b32_e32 v85, 0
	v_mov_b32_e32 v86, 0
	s_waitcnt vmcnt(0)
	v_cmp_ne_u16_e64 s[4:5], 0, v87
	s_and_saveexec_b64 s[46:47], s[4:5]
	s_cbranch_execz .LBB199_191
; %bb.186:                              ;   in Loop: Header=BB199_14 Depth=1
	v_cmp_ne_u16_e64 s[4:5], s60, v87
	v_bfrev_b32_e32 v86, 1
	s_and_saveexec_b64 s[48:49], s[4:5]
	s_cbranch_execz .LBB199_190
; %bb.187:                              ;   in Loop: Header=BB199_14 Depth=1
	v_and_b32_e32 v44, 0xffff, v87
	v_and_b32_e32 v88, 0x7f, v44
	v_cmp_ne_u32_e64 s[4:5], s61, v88
	v_mov_b32_e32 v86, 0x7f800001
	s_and_saveexec_b64 s[50:51], s[4:5]
	s_cbranch_execz .LBB199_189
; %bb.188:                              ;   in Loop: Header=BB199_14 Depth=1
	v_and_b32_e32 v86, 7, v44
	v_ffbh_u32_e32 v90, v86
	v_min_u32_e32 v92, 32, v90
	v_subrev_u32_e32 v90, 28, v92
	v_lshlrev_b64 v[90:91], v90, v[44:45]
	v_lshrrev_b32_e32 v89, 3, v88
	v_sub_u32_e32 v44, 29, v92
	v_and_b32_e32 v90, 7, v90
	v_cmp_gt_u32_e64 s[4:5], 8, v88
	v_cndmask_b32_e64 v44, v89, v44, s[4:5]
	v_cndmask_b32_e64 v86, v86, v90, s[4:5]
	v_lshlrev_b32_e32 v87, 24, v87
	v_lshlrev_b32_e32 v86, 20, v86
	v_and_b32_e32 v87, 0x80000000, v87
	v_lshl_add_u32 v44, v44, 23, v54
	v_or3_b32 v86, v87, v44, v86
.LBB199_189:                            ;   in Loop: Header=BB199_14 Depth=1
	s_or_b64 exec, exec, s[50:51]
.LBB199_190:                            ;   in Loop: Header=BB199_14 Depth=1
	s_or_b64 exec, exec, s[48:49]
.LBB199_191:                            ;   in Loop: Header=BB199_14 Depth=1
	s_or_b64 exec, exec, s[46:47]
	global_load_ubyte v87, v[42:43], off offset:1800
	s_waitcnt vmcnt(0)
	v_cmp_ne_u16_e64 s[4:5], 0, v87
	s_and_saveexec_b64 s[46:47], s[4:5]
	s_cbranch_execz .LBB199_197
; %bb.192:                              ;   in Loop: Header=BB199_14 Depth=1
	v_cmp_ne_u16_e64 s[4:5], s60, v87
	v_bfrev_b32_e32 v85, 1
	s_and_saveexec_b64 s[48:49], s[4:5]
	s_cbranch_execz .LBB199_196
; %bb.193:                              ;   in Loop: Header=BB199_14 Depth=1
	v_and_b32_e32 v44, 0xffff, v87
	v_and_b32_e32 v88, 0x7f, v44
	v_cmp_ne_u32_e64 s[4:5], s61, v88
	v_mov_b32_e32 v85, 0x7f800001
	s_and_saveexec_b64 s[50:51], s[4:5]
	s_cbranch_execz .LBB199_195
; %bb.194:                              ;   in Loop: Header=BB199_14 Depth=1
	v_and_b32_e32 v85, 7, v44
	v_ffbh_u32_e32 v90, v85
	v_min_u32_e32 v92, 32, v90
	v_subrev_u32_e32 v90, 28, v92
	v_lshlrev_b64 v[90:91], v90, v[44:45]
	v_lshrrev_b32_e32 v89, 3, v88
	v_sub_u32_e32 v44, 29, v92
	v_and_b32_e32 v90, 7, v90
	v_cmp_gt_u32_e64 s[4:5], 8, v88
	v_cndmask_b32_e64 v44, v89, v44, s[4:5]
	v_cndmask_b32_e64 v85, v85, v90, s[4:5]
	v_lshlrev_b32_e32 v87, 24, v87
	v_lshlrev_b32_e32 v85, 20, v85
	v_and_b32_e32 v87, 0x80000000, v87
	v_lshl_add_u32 v44, v44, 23, v54
	v_or3_b32 v85, v87, v44, v85
.LBB199_195:                            ;   in Loop: Header=BB199_14 Depth=1
	s_or_b64 exec, exec, s[50:51]
.LBB199_196:                            ;   in Loop: Header=BB199_14 Depth=1
	s_or_b64 exec, exec, s[48:49]
.LBB199_197:                            ;   in Loop: Header=BB199_14 Depth=1
	s_or_b64 exec, exec, s[46:47]
	global_load_ubyte v89, v[42:43], off offset:1920
	v_mov_b32_e32 v87, 0
	v_mov_b32_e32 v88, 0
	s_waitcnt vmcnt(0)
	v_cmp_ne_u16_e64 s[4:5], 0, v89
	s_and_saveexec_b64 s[46:47], s[4:5]
	s_cbranch_execz .LBB199_203
; %bb.198:                              ;   in Loop: Header=BB199_14 Depth=1
	v_cmp_ne_u16_e64 s[4:5], s60, v89
	v_bfrev_b32_e32 v88, 1
	s_and_saveexec_b64 s[48:49], s[4:5]
	s_cbranch_execz .LBB199_202
; %bb.199:                              ;   in Loop: Header=BB199_14 Depth=1
	v_and_b32_e32 v44, 0xffff, v89
	v_and_b32_e32 v90, 0x7f, v44
	v_cmp_ne_u32_e64 s[4:5], s61, v90
	v_mov_b32_e32 v88, 0x7f800001
	s_and_saveexec_b64 s[50:51], s[4:5]
	s_cbranch_execz .LBB199_201
; %bb.200:                              ;   in Loop: Header=BB199_14 Depth=1
	v_and_b32_e32 v88, 7, v44
	v_ffbh_u32_e32 v92, v88
	v_min_u32_e32 v94, 32, v92
	v_subrev_u32_e32 v92, 28, v94
	v_lshlrev_b64 v[92:93], v92, v[44:45]
	v_lshrrev_b32_e32 v91, 3, v90
	v_sub_u32_e32 v44, 29, v94
	v_and_b32_e32 v92, 7, v92
	v_cmp_gt_u32_e64 s[4:5], 8, v90
	v_cndmask_b32_e64 v44, v91, v44, s[4:5]
	v_cndmask_b32_e64 v88, v88, v92, s[4:5]
	v_lshlrev_b32_e32 v89, 24, v89
	v_lshlrev_b32_e32 v88, 20, v88
	v_and_b32_e32 v89, 0x80000000, v89
	v_lshl_add_u32 v44, v44, 23, v54
	v_or3_b32 v88, v89, v44, v88
.LBB199_201:                            ;   in Loop: Header=BB199_14 Depth=1
	s_or_b64 exec, exec, s[50:51]
.LBB199_202:                            ;   in Loop: Header=BB199_14 Depth=1
	s_or_b64 exec, exec, s[48:49]
.LBB199_203:                            ;   in Loop: Header=BB199_14 Depth=1
	s_or_b64 exec, exec, s[46:47]
	global_load_ubyte v43, v[42:43], off offset:1928
	s_waitcnt vmcnt(0)
	v_cmp_ne_u16_e64 s[4:5], 0, v43
	s_and_saveexec_b64 s[46:47], s[4:5]
	s_cbranch_execz .LBB199_209
; %bb.204:                              ;   in Loop: Header=BB199_14 Depth=1
	v_cmp_ne_u16_e64 s[4:5], s60, v43
	v_bfrev_b32_e32 v87, 1
	s_and_saveexec_b64 s[48:49], s[4:5]
	s_cbranch_execz .LBB199_208
; %bb.205:                              ;   in Loop: Header=BB199_14 Depth=1
	v_and_b32_e32 v42, 0xffff, v43
	v_and_b32_e32 v44, 0x7f, v42
	v_cmp_ne_u32_e64 s[4:5], s61, v44
	v_mov_b32_e32 v87, 0x7f800001
	s_and_saveexec_b64 s[50:51], s[4:5]
	s_cbranch_execz .LBB199_207
; %bb.206:                              ;   in Loop: Header=BB199_14 Depth=1
	v_and_b32_e32 v87, 7, v42
	v_ffbh_u32_e32 v90, v87
	v_min_u32_e32 v92, 32, v90
	v_subrev_u32_e32 v90, 28, v92
	v_lshlrev_b64 v[90:91], v90, v[42:43]
	v_lshrrev_b32_e32 v89, 3, v44
	v_sub_u32_e32 v42, 29, v92
	v_and_b32_e32 v90, 7, v90
	v_cmp_gt_u32_e64 s[4:5], 8, v44
	v_cndmask_b32_e64 v42, v89, v42, s[4:5]
	v_cndmask_b32_e64 v44, v87, v90, s[4:5]
	v_lshlrev_b32_e32 v43, 24, v43
	v_lshlrev_b32_e32 v44, 20, v44
	v_and_b32_e32 v43, 0x80000000, v43
	v_lshl_add_u32 v42, v42, 23, v54
	v_or3_b32 v87, v43, v42, v44
.LBB199_207:                            ;   in Loop: Header=BB199_14 Depth=1
	s_or_b64 exec, exec, s[50:51]
.LBB199_208:                            ;   in Loop: Header=BB199_14 Depth=1
	s_or_b64 exec, exec, s[48:49]
.LBB199_209:                            ;   in Loop: Header=BB199_14 Depth=1
	s_or_b64 exec, exec, s[46:47]
	s_waitcnt lgkmcnt(0)
	v_mul_f32_e32 v57, s62, v57
	v_mul_f32_e32 v58, s62, v58
	;; [unrolled: 1-line block ×4, first 2 shown]
	v_fmac_f32_e32 v31, v30, v58
	v_mul_f32_e32 v59, s62, v59
	v_fmac_f32_e32 v31, v32, v60
	v_mul_f32_e32 v62, s62, v62
	;; [unrolled: 2-line block ×26, first 2 shown]
	v_mul_f32_e32 v44, s62, v86
	v_and_b32_e32 v85, 64, v55
	v_fmac_f32_e32 v31, v9, v83
	v_add_u32_e32 v85, 64, v85
	v_xor_b32_e32 v86, 4, v55
	v_fmac_f32_e32 v31, v2, v44
	v_mul_f32_e32 v42, s62, v88
	v_cmp_lt_i32_e64 s[4:5], v86, v85
	v_fmac_f32_e32 v31, v3, v43
	v_cndmask_b32_e64 v86, v55, v86, s[4:5]
	v_mul_f32_e32 v87, s62, v87
	v_fmac_f32_e32 v31, v4, v42
	v_lshlrev_b32_e32 v86, 2, v86
	v_fmac_f32_e32 v31, v5, v87
	ds_bpermute_b32 v2, v86, v31
	v_xor_b32_e32 v3, 2, v55
	v_cmp_lt_i32_e64 s[4:5], v3, v85
	v_cndmask_b32_e64 v3, v55, v3, s[4:5]
	v_lshlrev_b32_e32 v3, 2, v3
	s_waitcnt lgkmcnt(0)
	v_add_f32_e32 v2, v31, v2
	ds_bpermute_b32 v3, v3, v2
	v_xor_b32_e32 v4, 1, v55
	v_cmp_lt_i32_e64 s[4:5], v4, v85
	v_cndmask_b32_e64 v4, v55, v4, s[4:5]
	v_lshlrev_b32_e32 v4, 2, v4
	s_waitcnt lgkmcnt(0)
	v_add_f32_e32 v2, v2, v3
	ds_bpermute_b32 v3, v4, v2
	s_and_saveexec_b64 s[46:47], vcc
	s_cbranch_execz .LBB199_12
; %bb.210:                              ;   in Loop: Header=BB199_14 Depth=1
	v_add_u32_e32 v4, v52, v50
	v_cvt_f32_i32_e32 v4, v4
	s_waitcnt lgkmcnt(0)
	v_add_f32_e32 v2, v2, v3
	v_add_u32_e32 v5, v46, v50
	v_cmp_gt_i32_e64 s[4:5], s41, v5
	v_mul_f32_e32 v3, s56, v4
	v_cndmask_b32_e64 v3, 0, v3, s[2:3]
	v_fmac_f32_e32 v3, s45, v2
	v_cndmask_b32_e64 v2, 0, v3, s[4:5]
	ds_write_b32 v51, v2
	v_max_f32_e32 v2, v48, v48
	v_max_f32_e32 v2, v2, v3
	v_cndmask_b32_e64 v48, v48, v2, s[4:5]
	s_branch .LBB199_12
.LBB199_211:
	s_or_b64 exec, exec, s[16:17]
.LBB199_212:
	s_or_b64 exec, exec, s[14:15]
	v_mbcnt_hi_u32_b32 v2, -1, v45
	s_waitcnt lgkmcnt(0)
	v_and_b32_e32 v3, 64, v2
	v_add_u32_e32 v3, 64, v3
	v_xor_b32_e32 v4, 32, v2
	v_cmp_lt_i32_e32 vcc, v4, v3
	v_cndmask_b32_e32 v4, v2, v4, vcc
	v_lshlrev_b32_e32 v6, 2, v4
	ds_bpermute_b32 v4, v6, v48
	v_xor_b32_e32 v7, 16, v2
	v_max_f32_e32 v5, v48, v48
	v_cmp_lt_i32_e32 vcc, v7, v3
	v_and_b32_e32 v60, 63, v0
	s_waitcnt lgkmcnt(0)
	v_max_f32_e32 v4, v4, v4
	v_max_f32_e32 v4, v5, v4
	v_cndmask_b32_e32 v5, v2, v7, vcc
	v_lshlrev_b32_e32 v8, 2, v5
	ds_bpermute_b32 v5, v8, v4
	v_xor_b32_e32 v7, 8, v2
	v_cmp_lt_i32_e32 vcc, v7, v3
	s_waitcnt lgkmcnt(0)
	v_max_f32_e32 v5, v5, v5
	v_max_f32_e32 v4, v4, v5
	v_cndmask_b32_e32 v5, v2, v7, vcc
	v_lshlrev_b32_e32 v9, 2, v5
	ds_bpermute_b32 v7, v9, v4
	v_cmp_eq_u32_e32 vcc, 0, v60
	v_lshlrev_b32_e32 v5, 2, v37
	s_and_saveexec_b64 s[2:3], vcc
	s_cbranch_execz .LBB199_214
; %bb.213:
	s_waitcnt lgkmcnt(0)
	v_max_f32_e32 v7, v7, v7
	v_max_f32_e32 v4, v4, v4
	;; [unrolled: 1-line block ×3, first 2 shown]
	ds_write_b32 v5, v4 offset:1024
.LBB199_214:
	s_or_b64 exec, exec, s[2:3]
	v_cmp_gt_u32_e64 s[2:3], 2, v60
	v_mov_b32_e32 v4, 0xff7fffff
	s_waitcnt lgkmcnt(0)
	v_lshlrev_b32_e32 v7, 2, v60
	s_barrier
	s_and_saveexec_b64 s[4:5], s[2:3]
	s_cbranch_execz .LBB199_216
; %bb.215:
	ds_read_b32 v4, v7 offset:1024
.LBB199_216:
	s_or_b64 exec, exec, s[4:5]
	v_xor_b32_e32 v10, 1, v2
	v_cmp_lt_i32_e64 s[4:5], v10, v3
	v_cndmask_b32_e64 v10, v2, v10, s[4:5]
	v_lshlrev_b32_e32 v61, 2, v10
	s_waitcnt lgkmcnt(0)
	ds_bpermute_b32 v10, v61, v4
	v_max_f32_e32 v4, v4, v4
	s_sub_i32 s4, s28, s12
	s_lshl_b32 s4, s4, 3
	s_add_i32 s4, s4, s55
	s_waitcnt lgkmcnt(0)
	v_max_f32_e32 v10, v10, v10
	v_max_f32_e32 v4, v4, v10
	v_lshlrev_b32_e32 v10, 2, v2
	v_and_b32_e32 v10, 0x100, v10
	ds_bpermute_b32 v4, v10, v4
	s_min_i32 s20, s4, s41
	s_sub_i32 s12, s20, s55
	v_cmp_gt_i32_e64 s[4:5], s12, v0
	v_mov_b32_e32 v11, 0
	s_and_saveexec_b64 s[14:15], s[4:5]
	s_cbranch_execz .LBB199_220
; %bb.217:
	v_mov_b32_e32 v11, 0x410
	v_lshl_add_u32 v12, v0, 2, v11
	s_mov_b64 s[16:17], 0
	v_mov_b32_e32 v11, 0
	v_mov_b32_e32 v13, v0
.LBB199_218:                            ; =>This Inner Loop Header: Depth=1
	ds_read_b32 v14, v12
	v_add_u32_e32 v13, 0x80, v13
	v_cmp_le_i32_e64 s[10:11], s12, v13
	s_or_b64 s[16:17], s[10:11], s[16:17]
	s_waitcnt lgkmcnt(0)
	v_sub_f32_e32 v14, v14, v4
	v_mul_f32_e32 v14, 0x3fb8aa3b, v14
	v_exp_f32_e32 v14, v14
	ds_write_b32 v12, v14
	v_add_f32_e32 v11, v11, v14
	v_add_u32_e32 v12, 0x200, v12
	s_andn2_b64 exec, exec, s[16:17]
	s_cbranch_execnz .LBB199_218
; %bb.219:
	s_or_b64 exec, exec, s[16:17]
.LBB199_220:
	s_or_b64 exec, exec, s[14:15]
	ds_bpermute_b32 v6, v6, v11
	s_waitcnt lgkmcnt(0)
	v_add_f32_e32 v6, v11, v6
	ds_bpermute_b32 v8, v8, v6
	s_waitcnt lgkmcnt(0)
	v_add_f32_e32 v6, v6, v8
	ds_bpermute_b32 v8, v9, v6
	v_xor_b32_e32 v9, 4, v2
	v_cmp_lt_i32_e64 s[10:11], v9, v3
	v_cndmask_b32_e64 v9, v2, v9, s[10:11]
	v_lshlrev_b32_e32 v9, 2, v9
	s_waitcnt lgkmcnt(0)
	v_add_f32_e32 v6, v6, v8
	ds_bpermute_b32 v8, v9, v6
	v_xor_b32_e32 v9, 2, v2
	v_cmp_lt_i32_e64 s[10:11], v9, v3
	v_cndmask_b32_e64 v2, v2, v9, s[10:11]
	v_lshlrev_b32_e32 v2, 2, v2
	s_waitcnt lgkmcnt(0)
	v_add_f32_e32 v3, v6, v8
	ds_bpermute_b32 v2, v2, v3
	s_waitcnt lgkmcnt(0)
	v_add_f32_e32 v2, v3, v2
	ds_bpermute_b32 v3, v61, v2
	s_waitcnt lgkmcnt(0)
	v_add_f32_e32 v2, v2, v3
	s_and_saveexec_b64 s[10:11], vcc
	s_cbranch_execz .LBB199_222
; %bb.221:
	ds_write_b32 v5, v2 offset:1032
.LBB199_222:
	s_or_b64 exec, exec, s[10:11]
	s_waitcnt lgkmcnt(0)
	s_barrier
	s_and_saveexec_b64 s[10:11], s[2:3]
	s_cbranch_execz .LBB199_224
; %bb.223:
	ds_read_b32 v2, v7 offset:1032
.LBB199_224:
	s_or_b64 exec, exec, s[10:11]
	s_waitcnt lgkmcnt(0)
	ds_bpermute_b32 v3, v61, v2
	s_waitcnt lgkmcnt(0)
	v_add_f32_e32 v2, v2, v3
	ds_bpermute_b32 v5, v10, v2
	s_and_saveexec_b64 s[2:3], s[4:5]
	s_cbranch_execz .LBB199_237
; %bb.225:
	s_waitcnt lgkmcnt(0)
	v_add_f32_e32 v2, 0x358637bd, v5
	v_div_scale_f32 v3, s[4:5], v2, v2, 1.0
	v_rcp_f32_e32 v6, v3
	v_div_scale_f32 v7, vcc, 1.0, v2, 1.0
	s_movk_i32 s4, 0x7f
	v_fma_f32 v8, -v3, v6, 1.0
	v_fmac_f32_e32 v6, v8, v6
	v_mul_f32_e32 v8, v7, v6
	v_fma_f32 v9, -v3, v8, v7
	v_fmac_f32_e32 v8, v9, v6
	v_fma_f32 v3, -v3, v8, v7
	v_div_fmas_f32 v3, v3, v6, v8
	v_div_fixup_f32 v2, v3, v2, 1.0
	v_xad_u32 v3, v0, -1, s20
	v_subrev_u32_e32 v6, s55, v3
	v_cmp_lt_u32_e32 vcc, s4, v6
	s_mov_b64 s[10:11], -1
	v_mov_b32_e32 v3, v0
	s_and_saveexec_b64 s[4:5], vcc
	s_cbranch_execz .LBB199_234
; %bb.226:
	v_lshrrev_b32_e32 v6, 7, v6
	v_add_u32_e32 v8, -1, v6
	v_lshrrev_b32_e32 v7, 1, v8
	v_mov_b32_e32 v3, v2
	v_add_u32_e32 v7, 1, v7
	v_cmp_lt_u32_e32 vcc, 13, v8
	v_mov_b32_e32 v10, 0
	s_and_saveexec_b64 s[10:11], vcc
	s_cbranch_execz .LBB199_230
; %bb.227:
	v_mov_b32_e32 v9, 0x410
	v_and_b32_e32 v8, -8, v7
	v_lshl_add_u32 v9, v0, 2, v9
	s_mov_b32 s16, 0
	s_mov_b64 s[14:15], 0
.LBB199_228:                            ; =>This Inner Loop Header: Depth=1
	ds_read2st64_b32 v[10:11], v9 offset1:2
	ds_read2st64_b32 v[12:13], v9 offset0:4 offset1:6
	ds_read2st64_b32 v[14:15], v9 offset0:8 offset1:10
	;; [unrolled: 1-line block ×3, first 2 shown]
	v_add_u32_e32 v8, -8, v8
	s_waitcnt lgkmcnt(3)
	v_pk_mul_f32 v[10:11], v[2:3], v[10:11]
	s_waitcnt lgkmcnt(2)
	v_pk_mul_f32 v[12:13], v[2:3], v[12:13]
	ds_write2st64_b32 v9, v10, v11 offset1:2
	ds_write2st64_b32 v9, v12, v13 offset0:4 offset1:6
	ds_read2st64_b32 v[12:13], v9 offset0:16 offset1:18
	s_waitcnt lgkmcnt(4)
	v_pk_mul_f32 v[10:11], v[2:3], v[14:15]
	ds_write2st64_b32 v9, v10, v11 offset0:8 offset1:10
	s_waitcnt lgkmcnt(4)
	v_pk_mul_f32 v[10:11], v[2:3], v[16:17]
	ds_write2st64_b32 v9, v10, v11 offset0:12 offset1:14
	ds_read2st64_b32 v[10:11], v9 offset0:20 offset1:22
	s_waitcnt lgkmcnt(3)
	v_pk_mul_f32 v[12:13], v[2:3], v[12:13]
	ds_read2st64_b32 v[14:15], v9 offset0:24 offset1:26
	ds_write2st64_b32 v9, v12, v13 offset0:16 offset1:18
	ds_read2st64_b32 v[12:13], v9 offset0:28 offset1:30
	s_waitcnt lgkmcnt(3)
	v_pk_mul_f32 v[10:11], v[2:3], v[10:11]
	ds_write2st64_b32 v9, v10, v11 offset0:20 offset1:22
	s_waitcnt lgkmcnt(3)
	v_pk_mul_f32 v[10:11], v[2:3], v[14:15]
	ds_write2st64_b32 v9, v10, v11 offset0:24 offset1:26
	s_waitcnt lgkmcnt(2)
	v_pk_mul_f32 v[10:11], v[2:3], v[12:13]
	s_add_i32 s16, s16, 16
	v_cmp_eq_u32_e32 vcc, 0, v8
	ds_write2st64_b32 v9, v10, v11 offset0:28 offset1:30
	v_add_u32_e32 v9, 0x2000, v9
	s_or_b64 s[14:15], vcc, s[14:15]
	v_mov_b32_e32 v10, s16
	s_andn2_b64 exec, exec, s[14:15]
	s_cbranch_execnz .LBB199_228
; %bb.229:
	s_or_b64 exec, exec, s[14:15]
.LBB199_230:
	s_or_b64 exec, exec, s[10:11]
	v_and_b32_e32 v7, 7, v7
	v_cmp_ne_u32_e32 vcc, 0, v7
	s_and_saveexec_b64 s[10:11], vcc
	s_cbranch_execz .LBB199_233
; %bb.231:
	v_lshlrev_b32_e32 v8, 9, v10
	v_lshlrev_b32_e32 v9, 2, v0
	s_movk_i32 s14, 0x410
	v_add3_u32 v8, v8, v9, s14
	s_mov_b64 s[14:15], 0
.LBB199_232:                            ; =>This Inner Loop Header: Depth=1
	ds_read2st64_b32 v[10:11], v8 offset1:2
	v_add_u32_e32 v7, -1, v7
	v_cmp_eq_u32_e32 vcc, 0, v7
	s_or_b64 s[14:15], vcc, s[14:15]
	s_waitcnt lgkmcnt(0)
	v_pk_mul_f32 v[10:11], v[2:3], v[10:11]
	ds_write2st64_b32 v8, v10, v11 offset1:2
	v_add_u32_e32 v8, 0x400, v8
	s_andn2_b64 exec, exec, s[14:15]
	s_cbranch_execnz .LBB199_232
.LBB199_233:
	s_or_b64 exec, exec, s[10:11]
	v_add_u32_e32 v6, 1, v6
	v_and_b32_e32 v7, 0x3fffffe, v6
	v_cmp_ne_u32_e32 vcc, v6, v7
	v_lshl_add_u32 v3, v7, 7, v0
	s_orn2_b64 s[10:11], vcc, exec
.LBB199_234:
	s_or_b64 exec, exec, s[4:5]
	s_and_b64 exec, exec, s[10:11]
	s_cbranch_execz .LBB199_237
; %bb.235:
	v_mov_b32_e32 v6, 0x410
	v_lshl_add_u32 v6, v3, 2, v6
	s_mov_b64 s[4:5], 0
.LBB199_236:                            ; =>This Inner Loop Header: Depth=1
	ds_read_b32 v7, v6
	v_add_u32_e32 v3, 0x80, v3
	v_cmp_le_i32_e32 vcc, s12, v3
	s_or_b64 s[4:5], vcc, s[4:5]
	s_waitcnt lgkmcnt(0)
	v_mul_f32_e32 v7, v2, v7
	ds_write_b32 v6, v7
	v_add_u32_e32 v6, 0x200, v6
	s_andn2_b64 exec, exec, s[4:5]
	s_cbranch_execnz .LBB199_236
.LBB199_237:
	s_or_b64 exec, exec, s[2:3]
	s_mul_i32 s2, s33, s40
	v_cmp_eq_u32_e32 vcc, 0, v0
	s_mul_i32 s2, s2, s9
	s_waitcnt lgkmcnt(0)
	s_barrier
	s_and_saveexec_b64 s[4:5], vcc
	s_cbranch_execz .LBB199_239
; %bb.238:
	s_ashr_i32 s3, s2, 31
	s_lshl_b64 s[10:11], s[2:3], 2
	s_add_u32 s3, s26, s10
	s_mul_i32 s14, s33, s6
	s_addc_u32 s9, s27, s11
	s_ashr_i32 s15, s14, 31
	s_lshl_b64 s[14:15], s[14:15], 2
	s_add_u32 s3, s3, s14
	s_addc_u32 s6, s9, s15
	s_ashr_i32 s9, s8, 31
	s_lshl_b64 s[16:17], s[8:9], 2
	s_add_u32 s20, s3, s16
	s_addc_u32 s21, s6, s17
	s_add_u32 s3, s24, s10
	s_addc_u32 s6, s25, s11
	;; [unrolled: 2-line block ×3, first 2 shown]
	s_add_u32 s10, s3, s16
	v_mov_b32_e32 v2, 0
	s_addc_u32 s11, s6, s17
	global_store_dword v2, v4, s[20:21]
	global_store_dword v2, v5, s[10:11]
.LBB199_239:
	s_or_b64 exec, exec, s[4:5]
	s_mov_b32 s12, 0
	v_mov_b32_e32 v9, 0
	v_and_b32_e32 v62, 1, v0
	v_mov_b32_e32 v8, 0
	v_mov_b32_e32 v7, 0
	;; [unrolled: 1-line block ×7, first 2 shown]
	s_and_saveexec_b64 s[4:5], s[0:1]
	s_cbranch_execz .LBB199_453
; %bb.240:
	s_sub_i32 s3, s53, s29
	s_ashr_i32 s0, s54, 31
	s_add_u32 s1, s18, s54
	s_addc_u32 s0, s19, s0
	s_abs_i32 s9, s30
	v_cvt_f32_u32_e32 v2, s9
	v_lshlrev_b32_e32 v3, 2, v0
	s_sub_i32 s6, 0, s9
	v_and_b32_e32 v63, 4, v3
	v_rcp_iflag_f32_e32 v2, v2
	v_and_b32_e32 v3, 0xfc, v3
	s_add_i32 s27, s7, -1
	v_mov_b32_e32 v4, s0
	v_mul_f32_e32 v2, 0x4f7ffffe, v2
	v_cvt_u32_f32_e32 v2, v2
	v_add_co_u32_e32 v14, vcc, s1, v3
	s_lshl_b64 s[0:1], s[42:43], 2
	v_mul_lo_u32 v5, s6, v2
	v_mul_hi_u32 v5, v2, v5
	v_add_u32_e32 v64, v2, v5
	v_addc_co_u32_e32 v15, vcc, 0, v4, vcc
	v_lshlrev_b64 v[2:3], 2, v[34:35]
	s_add_u32 s0, s38, s0
	s_addc_u32 s1, s39, s1
	v_add_co_u32_e32 v16, vcc, s0, v2
	v_lshlrev_b32_e32 v2, 4, v62
	s_mov_b32 s26, s13
	v_mov_b32_e32 v4, s1
	v_lshl_or_b32 v2, v37, 5, v2
	s_mov_b32 s13, s12
	v_addc_co_u32_e32 v17, vcc, v4, v3, vcc
	v_add_u32_e32 v35, 0x410, v2
	s_mov_b32 s14, s12
	s_mov_b32 s15, s12
	;; [unrolled: 1-line block ×6, first 2 shown]
	v_pk_mov_b32 v[2:3], s[12:13], s[12:13] op_sel:[0,1]
	s_mov_b64 s[6:7], 0
	v_pk_mov_b32 v[4:5], s[14:15], s[14:15] op_sel:[0,1]
	v_pk_mov_b32 v[6:7], s[16:17], s[16:17] op_sel:[0,1]
	;; [unrolled: 1-line block ×3, first 2 shown]
	s_movk_i32 s29, 0x80
	s_movk_i32 s30, 0x7f
	v_mov_b32_e32 v19, 0
	s_brev_b32 s13, 1
	s_mov_b32 s11, 0x7f800001
	s_mov_b32 s38, 0xffffff
	v_bfrev_b32_e32 v65, 60
	v_mov_b32_e32 v66, 7
	v_mov_b32_e32 v67, 24
	s_branch .LBB199_243
.LBB199_241:                            ;   in Loop: Header=BB199_243 Depth=1
	s_or_b64 exec, exec, s[0:1]
	v_mul_f32_e32 v18, v11, v21
	v_fmac_f32_e32 v18, v10, v20
	v_fmac_f32_e32 v18, v12, v22
	v_fmac_f32_e32 v18, v13, v23
	v_add_f32_e32 v2, v2, v18
	v_mul_f32_e32 v18, v11, v27
	v_fmac_f32_e32 v18, v10, v26
	v_fmac_f32_e32 v18, v12, v28
	v_fmac_f32_e32 v18, v13, v29
	v_add_f32_e32 v3, v3, v18
	;; [unrolled: 5-line block ×6, first 2 shown]
	v_mul_f32_e32 v18, v11, v49
	v_mul_f32_e32 v11, v11, v25
	v_fmac_f32_e32 v18, v10, v48
	v_fmac_f32_e32 v11, v10, v24
	v_fmac_f32_e32 v18, v12, v50
	v_fmac_f32_e32 v11, v12, v52
	v_fmac_f32_e32 v18, v13, v51
	v_fmac_f32_e32 v11, v13, v53
	v_add_f32_e32 v8, v8, v18
	v_add_f32_e32 v9, v9, v11
.LBB199_242:                            ;   in Loop: Header=BB199_243 Depth=1
	s_or_b64 exec, exec, s[14:15]
	v_add_co_u32_e32 v16, vcc, 8, v16
	v_add_u32_e32 v34, 2, v34
	v_addc_co_u32_e32 v17, vcc, 0, v17, vcc
	v_cmp_le_i32_e32 vcc, s28, v34
	v_add_u32_e32 v1, 16, v1
	s_or_b64 s[6:7], vcc, s[6:7]
	v_add_u32_e32 v35, 64, v35
	s_andn2_b64 exec, exec, s[6:7]
	s_cbranch_execz .LBB199_452
.LBB199_243:                            ; =>This Inner Loop Header: Depth=1
	v_sub_u32_e32 v11, 0, v1
	v_max_i32_e32 v11, v1, v11
	v_mul_hi_u32 v12, v11, s52
	v_mul_lo_u32 v13, v12, s37
	v_sub_u32_e32 v11, v11, v13
	v_add_u32_e32 v13, 1, v12
	v_cmp_le_u32_e32 vcc, s37, v11
	v_cndmask_b32_e32 v12, v12, v13, vcc
	v_subrev_u32_e32 v13, s37, v11
	v_cndmask_b32_e32 v11, v11, v13, vcc
	v_ashrrev_i32_e32 v10, 31, v1
	v_add_u32_e32 v13, 1, v12
	v_cmp_le_u32_e32 vcc, s37, v11
	v_xor_b32_e32 v10, s31, v10
	v_cndmask_b32_e32 v11, v12, v13, vcc
	v_xor_b32_e32 v11, v11, v10
	v_sub_u32_e32 v10, v11, v10
	v_add_u32_e32 v11, s44, v10
	v_sub_u32_e32 v13, 0, v11
	v_ashrrev_i32_e32 v12, 31, v11
	v_max_i32_e32 v11, v11, v13
	v_mul_hi_u32 v13, v11, v64
	v_mul_lo_u32 v13, v13, s9
	v_sub_u32_e32 v11, v11, v13
	v_subrev_u32_e32 v13, s9, v11
	v_cmp_le_u32_e32 vcc, s9, v11
	v_cndmask_b32_e32 v11, v11, v13, vcc
	v_subrev_u32_e32 v13, s9, v11
	v_cmp_le_u32_e32 vcc, s9, v11
	v_cndmask_b32_e32 v11, v11, v13, vcc
	v_xor_b32_e32 v11, v11, v12
	v_sub_u32_e32 v11, v11, v12
	v_cmp_eq_u32_e32 vcc, 0, v11
	v_cmp_lt_i32_e64 s[0:1], s3, v10
	s_or_b64 s[0:1], vcc, s[0:1]
	s_and_saveexec_b64 s[14:15], s[0:1]
	s_cbranch_execz .LBB199_242
; %bb.244:                              ;   in Loop: Header=BB199_243 Depth=1
	global_load_dword v10, v[16:17], off
	s_load_dword s16, s[22:23], 0x0
	v_pk_mov_b32 v[26:27], 0, 0
	v_pk_mov_b32 v[22:23], v[26:27], v[26:27] op_sel:[0,1]
	s_waitcnt vmcnt(0)
	v_mad_i64_i32 v[24:25], s[0:1], v10, s26, v[14:15]
	global_load_dword v20, v[24:25], off
	ds_read_b128 v[10:13], v35
	s_waitcnt vmcnt(0)
	v_cmp_ne_u16_sdwa s[18:19], v20, v19 src0_sel:BYTE_0 src1_sel:DWORD
	s_and_saveexec_b64 s[0:1], s[18:19]
	s_cbranch_execz .LBB199_250
; %bb.245:                              ;   in Loop: Header=BB199_243 Depth=1
	v_bfrev_b32_e32 v22, 1
	v_cmp_ne_u16_sdwa s[20:21], v20, s29 src0_sel:BYTE_0 src1_sel:DWORD
	v_mov_b32_e32 v23, 0
	s_and_saveexec_b64 s[18:19], s[20:21]
	s_cbranch_execz .LBB199_249
; %bb.246:                              ;   in Loop: Header=BB199_243 Depth=1
	v_and_b32_e32 v18, 0x7f, v20
	v_mov_b32_e32 v22, 0x7f800001
	v_cmp_ne_u32_e32 vcc, s30, v18
	v_mov_b32_e32 v23, 0
	s_and_saveexec_b64 s[20:21], vcc
	s_cbranch_execz .LBB199_248
; %bb.247:                              ;   in Loop: Header=BB199_243 Depth=1
	v_and_b32_e32 v21, 7, v20
	v_ffbh_u32_e32 v22, v21
	v_min_u32_e32 v29, 32, v22
	v_subrev_u32_e32 v22, 28, v29
	v_lshlrev_b64 v[22:23], v22, v[20:21]
	v_lshrrev_b32_e32 v28, 3, v18
	v_sub_u32_e32 v23, 29, v29
	v_and_b32_e32 v22, 7, v22
	v_cmp_gt_u32_e32 vcc, 8, v18
	v_cndmask_b32_e32 v18, v28, v23, vcc
	v_cndmask_b32_e32 v21, v21, v22, vcc
	v_lshlrev_b32_e32 v21, 20, v21
	v_and_b32_sdwa v22, sext(v20), s13 dst_sel:DWORD dst_unused:UNUSED_PAD src0_sel:BYTE_0 src1_sel:DWORD
	v_lshl_add_u32 v18, v18, 23, v65
	v_or3_b32 v18, v22, v18, v21
	v_pk_mov_b32 v[22:23], v[18:19], v[18:19] op_sel:[0,1]
.LBB199_248:                            ;   in Loop: Header=BB199_243 Depth=1
	s_or_b64 exec, exec, s[20:21]
.LBB199_249:                            ;   in Loop: Header=BB199_243 Depth=1
	s_or_b64 exec, exec, s[18:19]
.LBB199_250:                            ;   in Loop: Header=BB199_243 Depth=1
	s_or_b64 exec, exec, s[0:1]
	v_cmp_ne_u16_sdwa s[18:19], v20, v19 src0_sel:BYTE_1 src1_sel:DWORD
	s_and_saveexec_b64 s[0:1], s[18:19]
	s_cbranch_execz .LBB199_256
; %bb.251:                              ;   in Loop: Header=BB199_243 Depth=1
	v_cmp_ne_u16_sdwa s[20:21], v20, s29 src0_sel:BYTE_1 src1_sel:DWORD
	v_pk_mov_b32 v[26:27], s[12:13], s[12:13] op_sel:[0,1]
	s_and_saveexec_b64 s[18:19], s[20:21]
	s_cbranch_execz .LBB199_255
; %bb.252:                              ;   in Loop: Header=BB199_243 Depth=1
	v_and_b32_sdwa v21, v20, s30 dst_sel:DWORD dst_unused:UNUSED_PAD src0_sel:BYTE_1 src1_sel:DWORD
	s_mov_b32 s10, s12
	v_cmp_ne_u32_e32 vcc, s30, v21
	v_pk_mov_b32 v[26:27], s[10:11], s[10:11] op_sel:[0,1]
	s_and_saveexec_b64 s[20:21], vcc
	s_cbranch_execz .LBB199_254
; %bb.253:                              ;   in Loop: Header=BB199_243 Depth=1
	v_and_b32_sdwa v18, v20, v66 dst_sel:DWORD dst_unused:UNUSED_PAD src0_sel:BYTE_1 src1_sel:DWORD
	v_ffbh_u32_e32 v26, v18
	v_min_u32_e32 v29, 32, v26
	v_subrev_u32_e32 v26, 28, v29
	v_lshlrev_b64 v[26:27], v26, v[18:19]
	v_lshrrev_b32_e32 v28, 3, v21
	v_sub_u32_e32 v27, 29, v29
	v_cmp_gt_u32_e32 vcc, 8, v21
	v_and_b32_e32 v26, 7, v26
	v_cndmask_b32_e32 v21, v28, v27, vcc
	v_cndmask_b32_e32 v18, v18, v26, vcc
	v_lshlrev_b32_e32 v26, 16, v20
	v_lshl_add_u32 v21, v21, 23, v65
	v_and_or_b32 v21, v26, s13, v21
	v_lshlrev_b32_e32 v18, 20, v18
	v_or_b32_e32 v27, v21, v18
	v_mov_b32_e32 v26, v19
.LBB199_254:                            ;   in Loop: Header=BB199_243 Depth=1
	s_or_b64 exec, exec, s[20:21]
.LBB199_255:                            ;   in Loop: Header=BB199_243 Depth=1
	s_or_b64 exec, exec, s[18:19]
.LBB199_256:                            ;   in Loop: Header=BB199_243 Depth=1
	s_or_b64 exec, exec, s[0:1]
	v_lshrrev_b32_e32 v18, 16, v20
	v_pk_mov_b32 v[30:31], 0, 0
	v_cmp_ne_u16_sdwa s[18:19], v18, v19 src0_sel:BYTE_0 src1_sel:DWORD
	v_pk_mov_b32 v[28:29], v[30:31], v[30:31] op_sel:[0,1]
	s_and_saveexec_b64 s[0:1], s[18:19]
	s_cbranch_execz .LBB199_262
; %bb.257:                              ;   in Loop: Header=BB199_243 Depth=1
	v_bfrev_b32_e32 v28, 1
	v_cmp_ne_u16_sdwa s[20:21], v18, s29 src0_sel:BYTE_0 src1_sel:DWORD
	v_mov_b32_e32 v29, 0
	s_and_saveexec_b64 s[18:19], s[20:21]
	s_cbranch_execz .LBB199_261
; %bb.258:                              ;   in Loop: Header=BB199_243 Depth=1
	v_bfe_u32 v21, v20, 16, 7
	v_mov_b32_e32 v28, 0x7f800001
	v_cmp_ne_u32_e32 vcc, s30, v21
	v_mov_b32_e32 v29, 0
	s_and_saveexec_b64 s[20:21], vcc
	s_cbranch_execz .LBB199_260
; %bb.259:                              ;   in Loop: Header=BB199_243 Depth=1
	v_and_b32_e32 v32, 7, v18
	v_ffbh_u32_e32 v28, v32
	v_min_u32_e32 v36, 32, v28
	v_subrev_u32_e32 v28, 28, v36
	v_lshlrev_b64 v[28:29], v28, v[18:19]
	v_lshrrev_b32_e32 v33, 3, v21
	v_sub_u32_e32 v29, 29, v36
	v_and_b32_e32 v28, 7, v28
	v_cmp_gt_u32_e32 vcc, 8, v21
	v_cndmask_b32_e32 v21, v33, v29, vcc
	v_cndmask_b32_e32 v28, v32, v28, vcc
	v_lshlrev_b32_e32 v28, 20, v28
	v_and_b32_sdwa v18, sext(v18), s13 dst_sel:DWORD dst_unused:UNUSED_PAD src0_sel:BYTE_0 src1_sel:DWORD
	v_lshl_add_u32 v21, v21, 23, v65
	v_or3_b32 v18, v18, v21, v28
	v_pk_mov_b32 v[28:29], v[18:19], v[18:19] op_sel:[0,1]
.LBB199_260:                            ;   in Loop: Header=BB199_243 Depth=1
	s_or_b64 exec, exec, s[20:21]
.LBB199_261:                            ;   in Loop: Header=BB199_243 Depth=1
	s_or_b64 exec, exec, s[18:19]
.LBB199_262:                            ;   in Loop: Header=BB199_243 Depth=1
	s_or_b64 exec, exec, s[0:1]
	v_cmp_lt_u32_e32 vcc, s38, v20
	s_and_saveexec_b64 s[0:1], vcc
	s_cbranch_execz .LBB199_268
; %bb.263:                              ;   in Loop: Header=BB199_243 Depth=1
	v_cmp_ne_u32_sdwa s[20:21], v20, s29 src0_sel:BYTE_3 src1_sel:DWORD
	v_pk_mov_b32 v[30:31], s[12:13], s[12:13] op_sel:[0,1]
	s_and_saveexec_b64 s[18:19], s[20:21]
	s_cbranch_execz .LBB199_267
; %bb.264:                              ;   in Loop: Header=BB199_243 Depth=1
	v_bfe_u32 v21, v20, 24, 7
	s_mov_b32 s10, s12
	v_cmp_ne_u32_e32 vcc, s30, v21
	v_pk_mov_b32 v[30:31], s[10:11], s[10:11] op_sel:[0,1]
	s_and_saveexec_b64 s[20:21], vcc
	s_cbranch_execz .LBB199_266
; %bb.265:                              ;   in Loop: Header=BB199_243 Depth=1
	v_and_b32_sdwa v18, v20, v66 dst_sel:DWORD dst_unused:UNUSED_PAD src0_sel:BYTE_3 src1_sel:DWORD
	v_ffbh_u32_e32 v30, v18
	v_min_u32_e32 v33, 32, v30
	v_subrev_u32_e32 v30, 28, v33
	v_lshlrev_b64 v[30:31], v30, v[18:19]
	v_lshrrev_b32_e32 v32, 3, v21
	v_sub_u32_e32 v31, 29, v33
	v_cmp_gt_u32_e32 vcc, 8, v21
	v_and_b32_e32 v30, 7, v30
	v_cndmask_b32_e32 v21, v32, v31, vcc
	v_cndmask_b32_e32 v18, v18, v30, vcc
	v_lshlrev_b32_sdwa v20, v67, v20 dst_sel:DWORD dst_unused:UNUSED_PAD src0_sel:DWORD src1_sel:BYTE_3
	v_lshl_add_u32 v21, v21, 23, v65
	v_and_or_b32 v20, v20, s13, v21
	v_lshlrev_b32_e32 v18, 20, v18
	v_or_b32_e32 v31, v20, v18
	v_mov_b32_e32 v30, v19
.LBB199_266:                            ;   in Loop: Header=BB199_243 Depth=1
	s_or_b64 exec, exec, s[20:21]
.LBB199_267:                            ;   in Loop: Header=BB199_243 Depth=1
	s_or_b64 exec, exec, s[18:19]
.LBB199_268:                            ;   in Loop: Header=BB199_243 Depth=1
	s_or_b64 exec, exec, s[0:1]
	v_add_u32_e32 v68, v63, v1
	v_or_b32_e32 v21, v27, v23
	v_or_b32_e32 v20, v26, v22
	;; [unrolled: 1-line block ×4, first 2 shown]
	v_cmp_eq_u32_e32 vcc, s27, v34
	s_waitcnt lgkmcnt(0)
	v_pk_mul_f32 v[20:21], s[16:17], v[20:21] op_sel_hi:[0,1]
	v_pk_mul_f32 v[22:23], s[16:17], v[22:23] op_sel_hi:[0,1]
	v_add_u32_e32 v71, 1, v68
	v_add_u32_e32 v70, 2, v68
	;; [unrolled: 1-line block ×3, first 2 shown]
	s_and_saveexec_b64 s[18:19], vcc
; %bb.269:                              ;   in Loop: Header=BB199_243 Depth=1
	v_cmp_gt_i32_e64 s[0:1], s41, v68
	v_cndmask_b32_e64 v20, 0, v20, s[0:1]
	v_cmp_gt_i32_e64 s[0:1], s41, v71
	v_cndmask_b32_e64 v21, 0, v21, s[0:1]
	;; [unrolled: 2-line block ×4, first 2 shown]
; %bb.270:                              ;   in Loop: Header=BB199_243 Depth=1
	s_or_b64 exec, exec, s[18:19]
	global_load_dword v26, v[24:25], off offset:256
	v_pk_mov_b32 v[30:31], 0, 0
	v_pk_mov_b32 v[28:29], v[30:31], v[30:31] op_sel:[0,1]
	s_waitcnt vmcnt(0)
	v_cmp_ne_u16_sdwa s[0:1], v26, v19 src0_sel:BYTE_0 src1_sel:DWORD
	s_and_saveexec_b64 s[18:19], s[0:1]
	s_cbranch_execz .LBB199_276
; %bb.271:                              ;   in Loop: Header=BB199_243 Depth=1
	v_bfrev_b32_e32 v28, 1
	v_cmp_ne_u16_sdwa s[0:1], v26, s29 src0_sel:BYTE_0 src1_sel:DWORD
	v_mov_b32_e32 v29, 0
	s_and_saveexec_b64 s[20:21], s[0:1]
	s_cbranch_execz .LBB199_275
; %bb.272:                              ;   in Loop: Header=BB199_243 Depth=1
	v_and_b32_e32 v18, 0x7f, v26
	v_mov_b32_e32 v28, 0x7f800001
	v_cmp_ne_u32_e64 s[0:1], s30, v18
	v_mov_b32_e32 v29, 0
	s_and_saveexec_b64 s[24:25], s[0:1]
	s_cbranch_execz .LBB199_274
; %bb.273:                              ;   in Loop: Header=BB199_243 Depth=1
	v_and_b32_e32 v27, 7, v26
	v_ffbh_u32_e32 v28, v27
	v_min_u32_e32 v33, 32, v28
	v_subrev_u32_e32 v28, 28, v33
	v_lshlrev_b64 v[28:29], v28, v[26:27]
	v_lshrrev_b32_e32 v32, 3, v18
	v_sub_u32_e32 v29, 29, v33
	v_and_b32_e32 v28, 7, v28
	v_cmp_gt_u32_e64 s[0:1], 8, v18
	v_cndmask_b32_e64 v18, v32, v29, s[0:1]
	v_cndmask_b32_e64 v27, v27, v28, s[0:1]
	v_lshlrev_b32_e32 v27, 20, v27
	v_and_b32_sdwa v28, sext(v26), s13 dst_sel:DWORD dst_unused:UNUSED_PAD src0_sel:BYTE_0 src1_sel:DWORD
	v_lshl_add_u32 v18, v18, 23, v65
	v_or3_b32 v18, v28, v18, v27
	v_pk_mov_b32 v[28:29], v[18:19], v[18:19] op_sel:[0,1]
.LBB199_274:                            ;   in Loop: Header=BB199_243 Depth=1
	s_or_b64 exec, exec, s[24:25]
.LBB199_275:                            ;   in Loop: Header=BB199_243 Depth=1
	s_or_b64 exec, exec, s[20:21]
.LBB199_276:                            ;   in Loop: Header=BB199_243 Depth=1
	s_or_b64 exec, exec, s[18:19]
	v_cmp_ne_u16_sdwa s[0:1], v26, v19 src0_sel:BYTE_1 src1_sel:DWORD
	s_and_saveexec_b64 s[18:19], s[0:1]
	s_cbranch_execz .LBB199_282
; %bb.277:                              ;   in Loop: Header=BB199_243 Depth=1
	v_cmp_ne_u16_sdwa s[0:1], v26, s29 src0_sel:BYTE_1 src1_sel:DWORD
	v_pk_mov_b32 v[30:31], s[12:13], s[12:13] op_sel:[0,1]
	s_and_saveexec_b64 s[20:21], s[0:1]
	s_cbranch_execz .LBB199_281
; %bb.278:                              ;   in Loop: Header=BB199_243 Depth=1
	v_and_b32_sdwa v27, v26, s30 dst_sel:DWORD dst_unused:UNUSED_PAD src0_sel:BYTE_1 src1_sel:DWORD
	s_mov_b32 s10, s12
	v_cmp_ne_u32_e64 s[0:1], s30, v27
	v_pk_mov_b32 v[30:31], s[10:11], s[10:11] op_sel:[0,1]
	s_and_saveexec_b64 s[24:25], s[0:1]
	s_cbranch_execz .LBB199_280
; %bb.279:                              ;   in Loop: Header=BB199_243 Depth=1
	v_and_b32_sdwa v18, v26, v66 dst_sel:DWORD dst_unused:UNUSED_PAD src0_sel:BYTE_1 src1_sel:DWORD
	v_ffbh_u32_e32 v30, v18
	v_min_u32_e32 v33, 32, v30
	v_subrev_u32_e32 v30, 28, v33
	v_lshlrev_b64 v[30:31], v30, v[18:19]
	v_lshrrev_b32_e32 v32, 3, v27
	v_sub_u32_e32 v31, 29, v33
	v_cmp_gt_u32_e64 s[0:1], 8, v27
	v_and_b32_e32 v30, 7, v30
	v_cndmask_b32_e64 v27, v32, v31, s[0:1]
	v_cndmask_b32_e64 v18, v18, v30, s[0:1]
	v_lshlrev_b32_e32 v30, 16, v26
	v_lshl_add_u32 v27, v27, 23, v65
	v_and_or_b32 v27, v30, s13, v27
	v_lshlrev_b32_e32 v18, 20, v18
	v_or_b32_e32 v31, v27, v18
	v_mov_b32_e32 v30, v19
.LBB199_280:                            ;   in Loop: Header=BB199_243 Depth=1
	s_or_b64 exec, exec, s[24:25]
.LBB199_281:                            ;   in Loop: Header=BB199_243 Depth=1
	s_or_b64 exec, exec, s[20:21]
.LBB199_282:                            ;   in Loop: Header=BB199_243 Depth=1
	s_or_b64 exec, exec, s[18:19]
	v_lshrrev_b32_e32 v18, 16, v26
	v_pk_mov_b32 v[36:37], 0, 0
	v_cmp_ne_u16_sdwa s[0:1], v18, v19 src0_sel:BYTE_0 src1_sel:DWORD
	v_pk_mov_b32 v[32:33], v[36:37], v[36:37] op_sel:[0,1]
	s_and_saveexec_b64 s[18:19], s[0:1]
	s_cbranch_execz .LBB199_288
; %bb.283:                              ;   in Loop: Header=BB199_243 Depth=1
	v_bfrev_b32_e32 v32, 1
	v_cmp_ne_u16_sdwa s[0:1], v18, s29 src0_sel:BYTE_0 src1_sel:DWORD
	v_mov_b32_e32 v33, 0
	s_and_saveexec_b64 s[20:21], s[0:1]
	s_cbranch_execz .LBB199_287
; %bb.284:                              ;   in Loop: Header=BB199_243 Depth=1
	v_bfe_u32 v27, v26, 16, 7
	v_mov_b32_e32 v32, 0x7f800001
	v_cmp_ne_u32_e64 s[0:1], s30, v27
	v_mov_b32_e32 v33, 0
	s_and_saveexec_b64 s[24:25], s[0:1]
	s_cbranch_execz .LBB199_286
; %bb.285:                              ;   in Loop: Header=BB199_243 Depth=1
	v_and_b32_e32 v38, 7, v18
	v_ffbh_u32_e32 v32, v38
	v_min_u32_e32 v40, 32, v32
	v_subrev_u32_e32 v32, 28, v40
	v_lshlrev_b64 v[32:33], v32, v[18:19]
	v_lshrrev_b32_e32 v39, 3, v27
	v_sub_u32_e32 v33, 29, v40
	v_and_b32_e32 v32, 7, v32
	v_cmp_gt_u32_e64 s[0:1], 8, v27
	v_cndmask_b32_e64 v27, v39, v33, s[0:1]
	v_cndmask_b32_e64 v32, v38, v32, s[0:1]
	v_lshlrev_b32_e32 v32, 20, v32
	v_and_b32_sdwa v18, sext(v18), s13 dst_sel:DWORD dst_unused:UNUSED_PAD src0_sel:BYTE_0 src1_sel:DWORD
	v_lshl_add_u32 v27, v27, 23, v65
	v_or3_b32 v18, v18, v27, v32
	v_pk_mov_b32 v[32:33], v[18:19], v[18:19] op_sel:[0,1]
.LBB199_286:                            ;   in Loop: Header=BB199_243 Depth=1
	s_or_b64 exec, exec, s[24:25]
.LBB199_287:                            ;   in Loop: Header=BB199_243 Depth=1
	s_or_b64 exec, exec, s[20:21]
.LBB199_288:                            ;   in Loop: Header=BB199_243 Depth=1
	s_or_b64 exec, exec, s[18:19]
	v_cmp_lt_u32_e64 s[0:1], s38, v26
	s_and_saveexec_b64 s[18:19], s[0:1]
	s_cbranch_execz .LBB199_294
; %bb.289:                              ;   in Loop: Header=BB199_243 Depth=1
	v_cmp_ne_u32_sdwa s[0:1], v26, s29 src0_sel:BYTE_3 src1_sel:DWORD
	v_pk_mov_b32 v[36:37], s[12:13], s[12:13] op_sel:[0,1]
	s_and_saveexec_b64 s[20:21], s[0:1]
	s_cbranch_execz .LBB199_293
; %bb.290:                              ;   in Loop: Header=BB199_243 Depth=1
	v_bfe_u32 v27, v26, 24, 7
	s_mov_b32 s10, s12
	v_cmp_ne_u32_e64 s[0:1], s30, v27
	v_pk_mov_b32 v[36:37], s[10:11], s[10:11] op_sel:[0,1]
	s_and_saveexec_b64 s[24:25], s[0:1]
	s_cbranch_execz .LBB199_292
; %bb.291:                              ;   in Loop: Header=BB199_243 Depth=1
	v_and_b32_sdwa v18, v26, v66 dst_sel:DWORD dst_unused:UNUSED_PAD src0_sel:BYTE_3 src1_sel:DWORD
	v_ffbh_u32_e32 v36, v18
	v_min_u32_e32 v39, 32, v36
	v_subrev_u32_e32 v36, 28, v39
	v_lshlrev_b64 v[36:37], v36, v[18:19]
	v_lshrrev_b32_e32 v38, 3, v27
	v_sub_u32_e32 v37, 29, v39
	v_cmp_gt_u32_e64 s[0:1], 8, v27
	v_and_b32_e32 v36, 7, v36
	v_cndmask_b32_e64 v27, v38, v37, s[0:1]
	v_cndmask_b32_e64 v18, v18, v36, s[0:1]
	v_lshlrev_b32_sdwa v26, v67, v26 dst_sel:DWORD dst_unused:UNUSED_PAD src0_sel:DWORD src1_sel:BYTE_3
	v_lshl_add_u32 v27, v27, 23, v65
	v_and_or_b32 v26, v26, s13, v27
	v_lshlrev_b32_e32 v18, 20, v18
	v_or_b32_e32 v37, v26, v18
	v_mov_b32_e32 v36, v19
.LBB199_292:                            ;   in Loop: Header=BB199_243 Depth=1
	s_or_b64 exec, exec, s[24:25]
.LBB199_293:                            ;   in Loop: Header=BB199_243 Depth=1
	s_or_b64 exec, exec, s[20:21]
.LBB199_294:                            ;   in Loop: Header=BB199_243 Depth=1
	s_or_b64 exec, exec, s[18:19]
	s_mov_b32 s17, s16
	v_or_b32_e32 v27, v31, v29
	v_or_b32_e32 v26, v30, v28
	;; [unrolled: 1-line block ×4, first 2 shown]
	v_pk_mul_f32 v[26:27], s[16:17], v[26:27]
	v_pk_mul_f32 v[28:29], s[16:17], v[28:29]
	s_and_saveexec_b64 s[18:19], vcc
; %bb.295:                              ;   in Loop: Header=BB199_243 Depth=1
	v_cmp_gt_i32_e64 s[0:1], s41, v68
	v_cndmask_b32_e64 v26, 0, v26, s[0:1]
	v_cmp_gt_i32_e64 s[0:1], s41, v71
	v_cndmask_b32_e64 v27, 0, v27, s[0:1]
	;; [unrolled: 2-line block ×4, first 2 shown]
; %bb.296:                              ;   in Loop: Header=BB199_243 Depth=1
	s_or_b64 exec, exec, s[18:19]
	global_load_dword v30, v[24:25], off offset:512
	v_pk_mov_b32 v[36:37], 0, 0
	v_pk_mov_b32 v[32:33], v[36:37], v[36:37] op_sel:[0,1]
	s_waitcnt vmcnt(0)
	v_cmp_ne_u16_sdwa s[0:1], v30, v19 src0_sel:BYTE_0 src1_sel:DWORD
	s_and_saveexec_b64 s[18:19], s[0:1]
	s_cbranch_execz .LBB199_302
; %bb.297:                              ;   in Loop: Header=BB199_243 Depth=1
	v_bfrev_b32_e32 v32, 1
	v_cmp_ne_u16_sdwa s[0:1], v30, s29 src0_sel:BYTE_0 src1_sel:DWORD
	v_mov_b32_e32 v33, 0
	s_and_saveexec_b64 s[20:21], s[0:1]
	s_cbranch_execz .LBB199_301
; %bb.298:                              ;   in Loop: Header=BB199_243 Depth=1
	v_and_b32_e32 v18, 0x7f, v30
	v_mov_b32_e32 v32, 0x7f800001
	v_cmp_ne_u32_e64 s[0:1], s30, v18
	v_mov_b32_e32 v33, 0
	s_and_saveexec_b64 s[24:25], s[0:1]
	s_cbranch_execz .LBB199_300
; %bb.299:                              ;   in Loop: Header=BB199_243 Depth=1
	v_and_b32_e32 v31, 7, v30
	v_ffbh_u32_e32 v32, v31
	v_min_u32_e32 v39, 32, v32
	v_subrev_u32_e32 v32, 28, v39
	v_lshlrev_b64 v[32:33], v32, v[30:31]
	v_lshrrev_b32_e32 v38, 3, v18
	v_sub_u32_e32 v33, 29, v39
	v_and_b32_e32 v32, 7, v32
	v_cmp_gt_u32_e64 s[0:1], 8, v18
	v_cndmask_b32_e64 v18, v38, v33, s[0:1]
	v_cndmask_b32_e64 v31, v31, v32, s[0:1]
	v_lshlrev_b32_e32 v31, 20, v31
	v_and_b32_sdwa v32, sext(v30), s13 dst_sel:DWORD dst_unused:UNUSED_PAD src0_sel:BYTE_0 src1_sel:DWORD
	v_lshl_add_u32 v18, v18, 23, v65
	v_or3_b32 v18, v32, v18, v31
	v_pk_mov_b32 v[32:33], v[18:19], v[18:19] op_sel:[0,1]
.LBB199_300:                            ;   in Loop: Header=BB199_243 Depth=1
	s_or_b64 exec, exec, s[24:25]
.LBB199_301:                            ;   in Loop: Header=BB199_243 Depth=1
	s_or_b64 exec, exec, s[20:21]
.LBB199_302:                            ;   in Loop: Header=BB199_243 Depth=1
	s_or_b64 exec, exec, s[18:19]
	v_cmp_ne_u16_sdwa s[0:1], v30, v19 src0_sel:BYTE_1 src1_sel:DWORD
	s_and_saveexec_b64 s[18:19], s[0:1]
	s_cbranch_execz .LBB199_308
; %bb.303:                              ;   in Loop: Header=BB199_243 Depth=1
	v_cmp_ne_u16_sdwa s[0:1], v30, s29 src0_sel:BYTE_1 src1_sel:DWORD
	v_pk_mov_b32 v[36:37], s[12:13], s[12:13] op_sel:[0,1]
	s_and_saveexec_b64 s[20:21], s[0:1]
	s_cbranch_execz .LBB199_307
; %bb.304:                              ;   in Loop: Header=BB199_243 Depth=1
	v_and_b32_sdwa v31, v30, s30 dst_sel:DWORD dst_unused:UNUSED_PAD src0_sel:BYTE_1 src1_sel:DWORD
	s_mov_b32 s10, s12
	v_cmp_ne_u32_e64 s[0:1], s30, v31
	v_pk_mov_b32 v[36:37], s[10:11], s[10:11] op_sel:[0,1]
	s_and_saveexec_b64 s[24:25], s[0:1]
	s_cbranch_execz .LBB199_306
; %bb.305:                              ;   in Loop: Header=BB199_243 Depth=1
	v_and_b32_sdwa v18, v30, v66 dst_sel:DWORD dst_unused:UNUSED_PAD src0_sel:BYTE_1 src1_sel:DWORD
	v_ffbh_u32_e32 v36, v18
	v_min_u32_e32 v39, 32, v36
	v_subrev_u32_e32 v36, 28, v39
	v_lshlrev_b64 v[36:37], v36, v[18:19]
	v_lshrrev_b32_e32 v38, 3, v31
	v_sub_u32_e32 v37, 29, v39
	v_cmp_gt_u32_e64 s[0:1], 8, v31
	v_and_b32_e32 v36, 7, v36
	v_cndmask_b32_e64 v31, v38, v37, s[0:1]
	v_cndmask_b32_e64 v18, v18, v36, s[0:1]
	v_lshlrev_b32_e32 v36, 16, v30
	v_lshl_add_u32 v31, v31, 23, v65
	v_and_or_b32 v31, v36, s13, v31
	v_lshlrev_b32_e32 v18, 20, v18
	v_or_b32_e32 v37, v31, v18
	v_mov_b32_e32 v36, v19
.LBB199_306:                            ;   in Loop: Header=BB199_243 Depth=1
	s_or_b64 exec, exec, s[24:25]
.LBB199_307:                            ;   in Loop: Header=BB199_243 Depth=1
	s_or_b64 exec, exec, s[20:21]
.LBB199_308:                            ;   in Loop: Header=BB199_243 Depth=1
	s_or_b64 exec, exec, s[18:19]
	v_lshrrev_b32_e32 v18, 16, v30
	v_pk_mov_b32 v[40:41], 0, 0
	v_cmp_ne_u16_sdwa s[0:1], v18, v19 src0_sel:BYTE_0 src1_sel:DWORD
	v_pk_mov_b32 v[38:39], v[40:41], v[40:41] op_sel:[0,1]
	s_and_saveexec_b64 s[18:19], s[0:1]
	s_cbranch_execz .LBB199_314
; %bb.309:                              ;   in Loop: Header=BB199_243 Depth=1
	v_bfrev_b32_e32 v38, 1
	v_cmp_ne_u16_sdwa s[0:1], v18, s29 src0_sel:BYTE_0 src1_sel:DWORD
	v_mov_b32_e32 v39, 0
	s_and_saveexec_b64 s[20:21], s[0:1]
	s_cbranch_execz .LBB199_313
; %bb.310:                              ;   in Loop: Header=BB199_243 Depth=1
	v_bfe_u32 v31, v30, 16, 7
	v_mov_b32_e32 v38, 0x7f800001
	v_cmp_ne_u32_e64 s[0:1], s30, v31
	v_mov_b32_e32 v39, 0
	s_and_saveexec_b64 s[24:25], s[0:1]
	s_cbranch_execz .LBB199_312
; %bb.311:                              ;   in Loop: Header=BB199_243 Depth=1
	v_and_b32_e32 v42, 7, v18
	v_ffbh_u32_e32 v38, v42
	v_min_u32_e32 v44, 32, v38
	v_subrev_u32_e32 v38, 28, v44
	v_lshlrev_b64 v[38:39], v38, v[18:19]
	v_lshrrev_b32_e32 v43, 3, v31
	v_sub_u32_e32 v39, 29, v44
	v_and_b32_e32 v38, 7, v38
	v_cmp_gt_u32_e64 s[0:1], 8, v31
	v_cndmask_b32_e64 v31, v43, v39, s[0:1]
	v_cndmask_b32_e64 v38, v42, v38, s[0:1]
	v_lshlrev_b32_e32 v38, 20, v38
	v_and_b32_sdwa v18, sext(v18), s13 dst_sel:DWORD dst_unused:UNUSED_PAD src0_sel:BYTE_0 src1_sel:DWORD
	v_lshl_add_u32 v31, v31, 23, v65
	v_or3_b32 v18, v18, v31, v38
	v_pk_mov_b32 v[38:39], v[18:19], v[18:19] op_sel:[0,1]
.LBB199_312:                            ;   in Loop: Header=BB199_243 Depth=1
	s_or_b64 exec, exec, s[24:25]
.LBB199_313:                            ;   in Loop: Header=BB199_243 Depth=1
	s_or_b64 exec, exec, s[20:21]
.LBB199_314:                            ;   in Loop: Header=BB199_243 Depth=1
	s_or_b64 exec, exec, s[18:19]
	v_cmp_lt_u32_e64 s[0:1], s38, v30
	s_and_saveexec_b64 s[18:19], s[0:1]
	s_cbranch_execz .LBB199_320
; %bb.315:                              ;   in Loop: Header=BB199_243 Depth=1
	v_cmp_ne_u32_sdwa s[0:1], v30, s29 src0_sel:BYTE_3 src1_sel:DWORD
	v_pk_mov_b32 v[40:41], s[12:13], s[12:13] op_sel:[0,1]
	s_and_saveexec_b64 s[20:21], s[0:1]
	s_cbranch_execz .LBB199_319
; %bb.316:                              ;   in Loop: Header=BB199_243 Depth=1
	v_bfe_u32 v31, v30, 24, 7
	s_mov_b32 s10, s12
	v_cmp_ne_u32_e64 s[0:1], s30, v31
	v_pk_mov_b32 v[40:41], s[10:11], s[10:11] op_sel:[0,1]
	s_and_saveexec_b64 s[24:25], s[0:1]
	s_cbranch_execz .LBB199_318
; %bb.317:                              ;   in Loop: Header=BB199_243 Depth=1
	v_and_b32_sdwa v18, v30, v66 dst_sel:DWORD dst_unused:UNUSED_PAD src0_sel:BYTE_3 src1_sel:DWORD
	v_ffbh_u32_e32 v40, v18
	v_min_u32_e32 v43, 32, v40
	v_subrev_u32_e32 v40, 28, v43
	v_lshlrev_b64 v[40:41], v40, v[18:19]
	v_lshrrev_b32_e32 v42, 3, v31
	v_sub_u32_e32 v41, 29, v43
	v_cmp_gt_u32_e64 s[0:1], 8, v31
	v_and_b32_e32 v40, 7, v40
	v_cndmask_b32_e64 v31, v42, v41, s[0:1]
	v_cndmask_b32_e64 v18, v18, v40, s[0:1]
	v_lshlrev_b32_sdwa v30, v67, v30 dst_sel:DWORD dst_unused:UNUSED_PAD src0_sel:DWORD src1_sel:BYTE_3
	v_lshl_add_u32 v31, v31, 23, v65
	v_and_or_b32 v30, v30, s13, v31
	v_lshlrev_b32_e32 v18, 20, v18
	v_or_b32_e32 v41, v30, v18
	v_mov_b32_e32 v40, v19
.LBB199_318:                            ;   in Loop: Header=BB199_243 Depth=1
	s_or_b64 exec, exec, s[24:25]
.LBB199_319:                            ;   in Loop: Header=BB199_243 Depth=1
	s_or_b64 exec, exec, s[20:21]
.LBB199_320:                            ;   in Loop: Header=BB199_243 Depth=1
	s_or_b64 exec, exec, s[18:19]
	v_or_b32_e32 v31, v37, v33
	v_or_b32_e32 v30, v36, v32
	;; [unrolled: 1-line block ×4, first 2 shown]
	v_pk_mul_f32 v[30:31], s[16:17], v[30:31]
	v_pk_mul_f32 v[32:33], s[16:17], v[32:33]
	s_and_saveexec_b64 s[18:19], vcc
; %bb.321:                              ;   in Loop: Header=BB199_243 Depth=1
	v_cmp_gt_i32_e64 s[0:1], s41, v68
	v_cndmask_b32_e64 v30, 0, v30, s[0:1]
	v_cmp_gt_i32_e64 s[0:1], s41, v71
	v_cndmask_b32_e64 v31, 0, v31, s[0:1]
	;; [unrolled: 2-line block ×4, first 2 shown]
; %bb.322:                              ;   in Loop: Header=BB199_243 Depth=1
	s_or_b64 exec, exec, s[18:19]
	global_load_dword v36, v[24:25], off offset:768
	v_pk_mov_b32 v[40:41], 0, 0
	v_pk_mov_b32 v[38:39], v[40:41], v[40:41] op_sel:[0,1]
	s_waitcnt vmcnt(0)
	v_cmp_ne_u16_sdwa s[0:1], v36, v19 src0_sel:BYTE_0 src1_sel:DWORD
	s_and_saveexec_b64 s[18:19], s[0:1]
	s_cbranch_execz .LBB199_328
; %bb.323:                              ;   in Loop: Header=BB199_243 Depth=1
	v_bfrev_b32_e32 v38, 1
	v_cmp_ne_u16_sdwa s[0:1], v36, s29 src0_sel:BYTE_0 src1_sel:DWORD
	v_mov_b32_e32 v39, 0
	s_and_saveexec_b64 s[20:21], s[0:1]
	s_cbranch_execz .LBB199_327
; %bb.324:                              ;   in Loop: Header=BB199_243 Depth=1
	v_and_b32_e32 v18, 0x7f, v36
	v_mov_b32_e32 v38, 0x7f800001
	v_cmp_ne_u32_e64 s[0:1], s30, v18
	v_mov_b32_e32 v39, 0
	s_and_saveexec_b64 s[24:25], s[0:1]
	s_cbranch_execz .LBB199_326
; %bb.325:                              ;   in Loop: Header=BB199_243 Depth=1
	v_and_b32_e32 v37, 7, v36
	v_ffbh_u32_e32 v38, v37
	v_min_u32_e32 v43, 32, v38
	v_subrev_u32_e32 v38, 28, v43
	v_lshlrev_b64 v[38:39], v38, v[36:37]
	v_lshrrev_b32_e32 v42, 3, v18
	v_sub_u32_e32 v39, 29, v43
	v_and_b32_e32 v38, 7, v38
	v_cmp_gt_u32_e64 s[0:1], 8, v18
	v_cndmask_b32_e64 v18, v42, v39, s[0:1]
	v_cndmask_b32_e64 v37, v37, v38, s[0:1]
	v_lshlrev_b32_e32 v37, 20, v37
	v_and_b32_sdwa v38, sext(v36), s13 dst_sel:DWORD dst_unused:UNUSED_PAD src0_sel:BYTE_0 src1_sel:DWORD
	v_lshl_add_u32 v18, v18, 23, v65
	v_or3_b32 v18, v38, v18, v37
	v_pk_mov_b32 v[38:39], v[18:19], v[18:19] op_sel:[0,1]
.LBB199_326:                            ;   in Loop: Header=BB199_243 Depth=1
	s_or_b64 exec, exec, s[24:25]
.LBB199_327:                            ;   in Loop: Header=BB199_243 Depth=1
	s_or_b64 exec, exec, s[20:21]
.LBB199_328:                            ;   in Loop: Header=BB199_243 Depth=1
	s_or_b64 exec, exec, s[18:19]
	v_cmp_ne_u16_sdwa s[0:1], v36, v19 src0_sel:BYTE_1 src1_sel:DWORD
	s_and_saveexec_b64 s[18:19], s[0:1]
	s_cbranch_execz .LBB199_334
; %bb.329:                              ;   in Loop: Header=BB199_243 Depth=1
	v_cmp_ne_u16_sdwa s[0:1], v36, s29 src0_sel:BYTE_1 src1_sel:DWORD
	v_pk_mov_b32 v[40:41], s[12:13], s[12:13] op_sel:[0,1]
	s_and_saveexec_b64 s[20:21], s[0:1]
	s_cbranch_execz .LBB199_333
; %bb.330:                              ;   in Loop: Header=BB199_243 Depth=1
	v_and_b32_sdwa v37, v36, s30 dst_sel:DWORD dst_unused:UNUSED_PAD src0_sel:BYTE_1 src1_sel:DWORD
	s_mov_b32 s10, s12
	v_cmp_ne_u32_e64 s[0:1], s30, v37
	v_pk_mov_b32 v[40:41], s[10:11], s[10:11] op_sel:[0,1]
	s_and_saveexec_b64 s[24:25], s[0:1]
	s_cbranch_execz .LBB199_332
; %bb.331:                              ;   in Loop: Header=BB199_243 Depth=1
	v_and_b32_sdwa v18, v36, v66 dst_sel:DWORD dst_unused:UNUSED_PAD src0_sel:BYTE_1 src1_sel:DWORD
	v_ffbh_u32_e32 v40, v18
	v_min_u32_e32 v43, 32, v40
	v_subrev_u32_e32 v40, 28, v43
	v_lshlrev_b64 v[40:41], v40, v[18:19]
	v_lshrrev_b32_e32 v42, 3, v37
	v_sub_u32_e32 v41, 29, v43
	v_cmp_gt_u32_e64 s[0:1], 8, v37
	v_and_b32_e32 v40, 7, v40
	v_cndmask_b32_e64 v37, v42, v41, s[0:1]
	v_cndmask_b32_e64 v18, v18, v40, s[0:1]
	v_lshlrev_b32_e32 v40, 16, v36
	v_lshl_add_u32 v37, v37, 23, v65
	v_and_or_b32 v37, v40, s13, v37
	v_lshlrev_b32_e32 v18, 20, v18
	v_or_b32_e32 v41, v37, v18
	v_mov_b32_e32 v40, v19
.LBB199_332:                            ;   in Loop: Header=BB199_243 Depth=1
	s_or_b64 exec, exec, s[24:25]
.LBB199_333:                            ;   in Loop: Header=BB199_243 Depth=1
	s_or_b64 exec, exec, s[20:21]
.LBB199_334:                            ;   in Loop: Header=BB199_243 Depth=1
	s_or_b64 exec, exec, s[18:19]
	v_lshrrev_b32_e32 v18, 16, v36
	v_pk_mov_b32 v[44:45], 0, 0
	v_cmp_ne_u16_sdwa s[0:1], v18, v19 src0_sel:BYTE_0 src1_sel:DWORD
	v_pk_mov_b32 v[42:43], v[44:45], v[44:45] op_sel:[0,1]
	s_and_saveexec_b64 s[18:19], s[0:1]
	s_cbranch_execz .LBB199_340
; %bb.335:                              ;   in Loop: Header=BB199_243 Depth=1
	v_bfrev_b32_e32 v42, 1
	v_cmp_ne_u16_sdwa s[0:1], v18, s29 src0_sel:BYTE_0 src1_sel:DWORD
	v_mov_b32_e32 v43, 0
	s_and_saveexec_b64 s[20:21], s[0:1]
	s_cbranch_execz .LBB199_339
; %bb.336:                              ;   in Loop: Header=BB199_243 Depth=1
	v_bfe_u32 v37, v36, 16, 7
	v_mov_b32_e32 v42, 0x7f800001
	v_cmp_ne_u32_e64 s[0:1], s30, v37
	v_mov_b32_e32 v43, 0
	s_and_saveexec_b64 s[24:25], s[0:1]
	s_cbranch_execz .LBB199_338
; %bb.337:                              ;   in Loop: Header=BB199_243 Depth=1
	v_and_b32_e32 v46, 7, v18
	v_ffbh_u32_e32 v42, v46
	v_min_u32_e32 v48, 32, v42
	v_subrev_u32_e32 v42, 28, v48
	v_lshlrev_b64 v[42:43], v42, v[18:19]
	v_lshrrev_b32_e32 v47, 3, v37
	v_sub_u32_e32 v43, 29, v48
	v_and_b32_e32 v42, 7, v42
	v_cmp_gt_u32_e64 s[0:1], 8, v37
	v_cndmask_b32_e64 v37, v47, v43, s[0:1]
	v_cndmask_b32_e64 v42, v46, v42, s[0:1]
	v_lshlrev_b32_e32 v42, 20, v42
	v_and_b32_sdwa v18, sext(v18), s13 dst_sel:DWORD dst_unused:UNUSED_PAD src0_sel:BYTE_0 src1_sel:DWORD
	v_lshl_add_u32 v37, v37, 23, v65
	v_or3_b32 v18, v18, v37, v42
	v_pk_mov_b32 v[42:43], v[18:19], v[18:19] op_sel:[0,1]
.LBB199_338:                            ;   in Loop: Header=BB199_243 Depth=1
	s_or_b64 exec, exec, s[24:25]
.LBB199_339:                            ;   in Loop: Header=BB199_243 Depth=1
	s_or_b64 exec, exec, s[20:21]
.LBB199_340:                            ;   in Loop: Header=BB199_243 Depth=1
	s_or_b64 exec, exec, s[18:19]
	v_cmp_lt_u32_e64 s[0:1], s38, v36
	s_and_saveexec_b64 s[18:19], s[0:1]
	s_cbranch_execz .LBB199_346
; %bb.341:                              ;   in Loop: Header=BB199_243 Depth=1
	v_cmp_ne_u32_sdwa s[0:1], v36, s29 src0_sel:BYTE_3 src1_sel:DWORD
	v_pk_mov_b32 v[44:45], s[12:13], s[12:13] op_sel:[0,1]
	s_and_saveexec_b64 s[20:21], s[0:1]
	s_cbranch_execz .LBB199_345
; %bb.342:                              ;   in Loop: Header=BB199_243 Depth=1
	v_bfe_u32 v37, v36, 24, 7
	s_mov_b32 s10, s12
	v_cmp_ne_u32_e64 s[0:1], s30, v37
	v_pk_mov_b32 v[44:45], s[10:11], s[10:11] op_sel:[0,1]
	s_and_saveexec_b64 s[24:25], s[0:1]
	s_cbranch_execz .LBB199_344
; %bb.343:                              ;   in Loop: Header=BB199_243 Depth=1
	v_and_b32_sdwa v18, v36, v66 dst_sel:DWORD dst_unused:UNUSED_PAD src0_sel:BYTE_3 src1_sel:DWORD
	v_ffbh_u32_e32 v44, v18
	v_min_u32_e32 v47, 32, v44
	v_subrev_u32_e32 v44, 28, v47
	v_lshlrev_b64 v[44:45], v44, v[18:19]
	v_lshrrev_b32_e32 v46, 3, v37
	v_sub_u32_e32 v45, 29, v47
	v_cmp_gt_u32_e64 s[0:1], 8, v37
	v_and_b32_e32 v44, 7, v44
	v_cndmask_b32_e64 v37, v46, v45, s[0:1]
	v_cndmask_b32_e64 v18, v18, v44, s[0:1]
	v_lshlrev_b32_sdwa v36, v67, v36 dst_sel:DWORD dst_unused:UNUSED_PAD src0_sel:DWORD src1_sel:BYTE_3
	v_lshl_add_u32 v37, v37, 23, v65
	v_and_or_b32 v36, v36, s13, v37
	v_lshlrev_b32_e32 v18, 20, v18
	v_or_b32_e32 v45, v36, v18
	v_mov_b32_e32 v44, v19
.LBB199_344:                            ;   in Loop: Header=BB199_243 Depth=1
	s_or_b64 exec, exec, s[24:25]
.LBB199_345:                            ;   in Loop: Header=BB199_243 Depth=1
	s_or_b64 exec, exec, s[20:21]
.LBB199_346:                            ;   in Loop: Header=BB199_243 Depth=1
	s_or_b64 exec, exec, s[18:19]
	v_or_b32_e32 v37, v41, v39
	v_or_b32_e32 v36, v40, v38
	;; [unrolled: 1-line block ×4, first 2 shown]
	v_pk_mul_f32 v[36:37], s[16:17], v[36:37]
	v_pk_mul_f32 v[38:39], s[16:17], v[38:39]
	s_and_saveexec_b64 s[18:19], vcc
; %bb.347:                              ;   in Loop: Header=BB199_243 Depth=1
	v_cmp_gt_i32_e64 s[0:1], s41, v68
	v_cndmask_b32_e64 v36, 0, v36, s[0:1]
	v_cmp_gt_i32_e64 s[0:1], s41, v71
	v_cndmask_b32_e64 v37, 0, v37, s[0:1]
	;; [unrolled: 2-line block ×4, first 2 shown]
; %bb.348:                              ;   in Loop: Header=BB199_243 Depth=1
	s_or_b64 exec, exec, s[18:19]
	global_load_dword v40, v[24:25], off offset:1024
	v_pk_mov_b32 v[44:45], 0, 0
	v_pk_mov_b32 v[42:43], v[44:45], v[44:45] op_sel:[0,1]
	s_waitcnt vmcnt(0)
	v_cmp_ne_u16_sdwa s[0:1], v40, v19 src0_sel:BYTE_0 src1_sel:DWORD
	s_and_saveexec_b64 s[18:19], s[0:1]
	s_cbranch_execz .LBB199_354
; %bb.349:                              ;   in Loop: Header=BB199_243 Depth=1
	v_bfrev_b32_e32 v42, 1
	v_cmp_ne_u16_sdwa s[0:1], v40, s29 src0_sel:BYTE_0 src1_sel:DWORD
	v_mov_b32_e32 v43, 0
	s_and_saveexec_b64 s[20:21], s[0:1]
	s_cbranch_execz .LBB199_353
; %bb.350:                              ;   in Loop: Header=BB199_243 Depth=1
	v_and_b32_e32 v18, 0x7f, v40
	v_mov_b32_e32 v42, 0x7f800001
	v_cmp_ne_u32_e64 s[0:1], s30, v18
	v_mov_b32_e32 v43, 0
	s_and_saveexec_b64 s[24:25], s[0:1]
	s_cbranch_execz .LBB199_352
; %bb.351:                              ;   in Loop: Header=BB199_243 Depth=1
	v_and_b32_e32 v41, 7, v40
	v_ffbh_u32_e32 v42, v41
	v_min_u32_e32 v47, 32, v42
	v_subrev_u32_e32 v42, 28, v47
	v_lshlrev_b64 v[42:43], v42, v[40:41]
	v_lshrrev_b32_e32 v46, 3, v18
	v_sub_u32_e32 v43, 29, v47
	v_and_b32_e32 v42, 7, v42
	v_cmp_gt_u32_e64 s[0:1], 8, v18
	v_cndmask_b32_e64 v18, v46, v43, s[0:1]
	v_cndmask_b32_e64 v41, v41, v42, s[0:1]
	v_lshlrev_b32_e32 v41, 20, v41
	v_and_b32_sdwa v42, sext(v40), s13 dst_sel:DWORD dst_unused:UNUSED_PAD src0_sel:BYTE_0 src1_sel:DWORD
	v_lshl_add_u32 v18, v18, 23, v65
	v_or3_b32 v18, v42, v18, v41
	v_pk_mov_b32 v[42:43], v[18:19], v[18:19] op_sel:[0,1]
.LBB199_352:                            ;   in Loop: Header=BB199_243 Depth=1
	s_or_b64 exec, exec, s[24:25]
.LBB199_353:                            ;   in Loop: Header=BB199_243 Depth=1
	s_or_b64 exec, exec, s[20:21]
.LBB199_354:                            ;   in Loop: Header=BB199_243 Depth=1
	s_or_b64 exec, exec, s[18:19]
	v_cmp_ne_u16_sdwa s[0:1], v40, v19 src0_sel:BYTE_1 src1_sel:DWORD
	s_and_saveexec_b64 s[18:19], s[0:1]
	s_cbranch_execz .LBB199_360
; %bb.355:                              ;   in Loop: Header=BB199_243 Depth=1
	v_cmp_ne_u16_sdwa s[0:1], v40, s29 src0_sel:BYTE_1 src1_sel:DWORD
	v_pk_mov_b32 v[44:45], s[12:13], s[12:13] op_sel:[0,1]
	s_and_saveexec_b64 s[20:21], s[0:1]
	s_cbranch_execz .LBB199_359
; %bb.356:                              ;   in Loop: Header=BB199_243 Depth=1
	v_and_b32_sdwa v41, v40, s30 dst_sel:DWORD dst_unused:UNUSED_PAD src0_sel:BYTE_1 src1_sel:DWORD
	s_mov_b32 s10, s12
	v_cmp_ne_u32_e64 s[0:1], s30, v41
	v_pk_mov_b32 v[44:45], s[10:11], s[10:11] op_sel:[0,1]
	s_and_saveexec_b64 s[24:25], s[0:1]
	s_cbranch_execz .LBB199_358
; %bb.357:                              ;   in Loop: Header=BB199_243 Depth=1
	v_and_b32_sdwa v18, v40, v66 dst_sel:DWORD dst_unused:UNUSED_PAD src0_sel:BYTE_1 src1_sel:DWORD
	v_ffbh_u32_e32 v44, v18
	v_min_u32_e32 v47, 32, v44
	v_subrev_u32_e32 v44, 28, v47
	v_lshlrev_b64 v[44:45], v44, v[18:19]
	v_lshrrev_b32_e32 v46, 3, v41
	v_sub_u32_e32 v45, 29, v47
	v_cmp_gt_u32_e64 s[0:1], 8, v41
	v_and_b32_e32 v44, 7, v44
	v_cndmask_b32_e64 v41, v46, v45, s[0:1]
	v_cndmask_b32_e64 v18, v18, v44, s[0:1]
	v_lshlrev_b32_e32 v44, 16, v40
	v_lshl_add_u32 v41, v41, 23, v65
	v_and_or_b32 v41, v44, s13, v41
	v_lshlrev_b32_e32 v18, 20, v18
	v_or_b32_e32 v45, v41, v18
	v_mov_b32_e32 v44, v19
.LBB199_358:                            ;   in Loop: Header=BB199_243 Depth=1
	s_or_b64 exec, exec, s[24:25]
.LBB199_359:                            ;   in Loop: Header=BB199_243 Depth=1
	s_or_b64 exec, exec, s[20:21]
.LBB199_360:                            ;   in Loop: Header=BB199_243 Depth=1
	s_or_b64 exec, exec, s[18:19]
	v_lshrrev_b32_e32 v18, 16, v40
	v_pk_mov_b32 v[48:49], 0, 0
	v_cmp_ne_u16_sdwa s[0:1], v18, v19 src0_sel:BYTE_0 src1_sel:DWORD
	v_pk_mov_b32 v[46:47], v[48:49], v[48:49] op_sel:[0,1]
	s_and_saveexec_b64 s[18:19], s[0:1]
	s_cbranch_execz .LBB199_366
; %bb.361:                              ;   in Loop: Header=BB199_243 Depth=1
	v_bfrev_b32_e32 v46, 1
	v_cmp_ne_u16_sdwa s[0:1], v18, s29 src0_sel:BYTE_0 src1_sel:DWORD
	v_mov_b32_e32 v47, 0
	s_and_saveexec_b64 s[20:21], s[0:1]
	s_cbranch_execz .LBB199_365
; %bb.362:                              ;   in Loop: Header=BB199_243 Depth=1
	v_bfe_u32 v41, v40, 16, 7
	v_mov_b32_e32 v46, 0x7f800001
	v_cmp_ne_u32_e64 s[0:1], s30, v41
	v_mov_b32_e32 v47, 0
	s_and_saveexec_b64 s[24:25], s[0:1]
	s_cbranch_execz .LBB199_364
; %bb.363:                              ;   in Loop: Header=BB199_243 Depth=1
	v_and_b32_e32 v50, 7, v18
	v_ffbh_u32_e32 v46, v50
	v_min_u32_e32 v52, 32, v46
	v_subrev_u32_e32 v46, 28, v52
	v_lshlrev_b64 v[46:47], v46, v[18:19]
	v_lshrrev_b32_e32 v51, 3, v41
	v_sub_u32_e32 v47, 29, v52
	v_and_b32_e32 v46, 7, v46
	v_cmp_gt_u32_e64 s[0:1], 8, v41
	v_cndmask_b32_e64 v41, v51, v47, s[0:1]
	v_cndmask_b32_e64 v46, v50, v46, s[0:1]
	v_lshlrev_b32_e32 v46, 20, v46
	v_and_b32_sdwa v18, sext(v18), s13 dst_sel:DWORD dst_unused:UNUSED_PAD src0_sel:BYTE_0 src1_sel:DWORD
	v_lshl_add_u32 v41, v41, 23, v65
	v_or3_b32 v18, v18, v41, v46
	v_pk_mov_b32 v[46:47], v[18:19], v[18:19] op_sel:[0,1]
.LBB199_364:                            ;   in Loop: Header=BB199_243 Depth=1
	s_or_b64 exec, exec, s[24:25]
.LBB199_365:                            ;   in Loop: Header=BB199_243 Depth=1
	s_or_b64 exec, exec, s[20:21]
.LBB199_366:                            ;   in Loop: Header=BB199_243 Depth=1
	s_or_b64 exec, exec, s[18:19]
	v_cmp_lt_u32_e64 s[0:1], s38, v40
	s_and_saveexec_b64 s[18:19], s[0:1]
	s_cbranch_execz .LBB199_372
; %bb.367:                              ;   in Loop: Header=BB199_243 Depth=1
	v_cmp_ne_u32_sdwa s[0:1], v40, s29 src0_sel:BYTE_3 src1_sel:DWORD
	v_pk_mov_b32 v[48:49], s[12:13], s[12:13] op_sel:[0,1]
	s_and_saveexec_b64 s[20:21], s[0:1]
	s_cbranch_execz .LBB199_371
; %bb.368:                              ;   in Loop: Header=BB199_243 Depth=1
	v_bfe_u32 v41, v40, 24, 7
	s_mov_b32 s10, s12
	v_cmp_ne_u32_e64 s[0:1], s30, v41
	v_pk_mov_b32 v[48:49], s[10:11], s[10:11] op_sel:[0,1]
	s_and_saveexec_b64 s[24:25], s[0:1]
	s_cbranch_execz .LBB199_370
; %bb.369:                              ;   in Loop: Header=BB199_243 Depth=1
	v_and_b32_sdwa v18, v40, v66 dst_sel:DWORD dst_unused:UNUSED_PAD src0_sel:BYTE_3 src1_sel:DWORD
	v_ffbh_u32_e32 v48, v18
	v_min_u32_e32 v51, 32, v48
	v_subrev_u32_e32 v48, 28, v51
	v_lshlrev_b64 v[48:49], v48, v[18:19]
	v_lshrrev_b32_e32 v50, 3, v41
	v_sub_u32_e32 v49, 29, v51
	v_cmp_gt_u32_e64 s[0:1], 8, v41
	v_and_b32_e32 v48, 7, v48
	v_cndmask_b32_e64 v41, v50, v49, s[0:1]
	v_cndmask_b32_e64 v18, v18, v48, s[0:1]
	v_lshlrev_b32_sdwa v40, v67, v40 dst_sel:DWORD dst_unused:UNUSED_PAD src0_sel:DWORD src1_sel:BYTE_3
	v_lshl_add_u32 v41, v41, 23, v65
	v_and_or_b32 v40, v40, s13, v41
	v_lshlrev_b32_e32 v18, 20, v18
	v_or_b32_e32 v49, v40, v18
	v_mov_b32_e32 v48, v19
.LBB199_370:                            ;   in Loop: Header=BB199_243 Depth=1
	s_or_b64 exec, exec, s[24:25]
.LBB199_371:                            ;   in Loop: Header=BB199_243 Depth=1
	s_or_b64 exec, exec, s[20:21]
.LBB199_372:                            ;   in Loop: Header=BB199_243 Depth=1
	s_or_b64 exec, exec, s[18:19]
	v_or_b32_e32 v41, v45, v43
	v_or_b32_e32 v40, v44, v42
	;; [unrolled: 1-line block ×4, first 2 shown]
	v_pk_mul_f32 v[40:41], s[16:17], v[40:41]
	v_pk_mul_f32 v[42:43], s[16:17], v[42:43]
	s_and_saveexec_b64 s[18:19], vcc
; %bb.373:                              ;   in Loop: Header=BB199_243 Depth=1
	v_cmp_gt_i32_e64 s[0:1], s41, v68
	v_cndmask_b32_e64 v40, 0, v40, s[0:1]
	v_cmp_gt_i32_e64 s[0:1], s41, v71
	v_cndmask_b32_e64 v41, 0, v41, s[0:1]
	;; [unrolled: 2-line block ×4, first 2 shown]
; %bb.374:                              ;   in Loop: Header=BB199_243 Depth=1
	s_or_b64 exec, exec, s[18:19]
	global_load_dword v44, v[24:25], off offset:1280
	v_pk_mov_b32 v[48:49], 0, 0
	v_pk_mov_b32 v[46:47], v[48:49], v[48:49] op_sel:[0,1]
	s_waitcnt vmcnt(0)
	v_cmp_ne_u16_sdwa s[0:1], v44, v19 src0_sel:BYTE_0 src1_sel:DWORD
	s_and_saveexec_b64 s[18:19], s[0:1]
	s_cbranch_execz .LBB199_380
; %bb.375:                              ;   in Loop: Header=BB199_243 Depth=1
	v_bfrev_b32_e32 v46, 1
	v_cmp_ne_u16_sdwa s[0:1], v44, s29 src0_sel:BYTE_0 src1_sel:DWORD
	v_mov_b32_e32 v47, 0
	s_and_saveexec_b64 s[20:21], s[0:1]
	s_cbranch_execz .LBB199_379
; %bb.376:                              ;   in Loop: Header=BB199_243 Depth=1
	v_and_b32_e32 v18, 0x7f, v44
	v_mov_b32_e32 v46, 0x7f800001
	v_cmp_ne_u32_e64 s[0:1], s30, v18
	v_mov_b32_e32 v47, 0
	s_and_saveexec_b64 s[24:25], s[0:1]
	s_cbranch_execz .LBB199_378
; %bb.377:                              ;   in Loop: Header=BB199_243 Depth=1
	v_and_b32_e32 v45, 7, v44
	v_ffbh_u32_e32 v46, v45
	v_min_u32_e32 v51, 32, v46
	v_subrev_u32_e32 v46, 28, v51
	v_lshlrev_b64 v[46:47], v46, v[44:45]
	v_lshrrev_b32_e32 v50, 3, v18
	v_sub_u32_e32 v47, 29, v51
	v_and_b32_e32 v46, 7, v46
	v_cmp_gt_u32_e64 s[0:1], 8, v18
	v_cndmask_b32_e64 v18, v50, v47, s[0:1]
	v_cndmask_b32_e64 v45, v45, v46, s[0:1]
	v_lshlrev_b32_e32 v45, 20, v45
	v_and_b32_sdwa v46, sext(v44), s13 dst_sel:DWORD dst_unused:UNUSED_PAD src0_sel:BYTE_0 src1_sel:DWORD
	v_lshl_add_u32 v18, v18, 23, v65
	v_or3_b32 v18, v46, v18, v45
	v_pk_mov_b32 v[46:47], v[18:19], v[18:19] op_sel:[0,1]
.LBB199_378:                            ;   in Loop: Header=BB199_243 Depth=1
	s_or_b64 exec, exec, s[24:25]
.LBB199_379:                            ;   in Loop: Header=BB199_243 Depth=1
	s_or_b64 exec, exec, s[20:21]
.LBB199_380:                            ;   in Loop: Header=BB199_243 Depth=1
	s_or_b64 exec, exec, s[18:19]
	v_cmp_ne_u16_sdwa s[0:1], v44, v19 src0_sel:BYTE_1 src1_sel:DWORD
	s_and_saveexec_b64 s[18:19], s[0:1]
	s_cbranch_execz .LBB199_386
; %bb.381:                              ;   in Loop: Header=BB199_243 Depth=1
	v_cmp_ne_u16_sdwa s[0:1], v44, s29 src0_sel:BYTE_1 src1_sel:DWORD
	v_pk_mov_b32 v[48:49], s[12:13], s[12:13] op_sel:[0,1]
	s_and_saveexec_b64 s[20:21], s[0:1]
	s_cbranch_execz .LBB199_385
; %bb.382:                              ;   in Loop: Header=BB199_243 Depth=1
	v_and_b32_sdwa v45, v44, s30 dst_sel:DWORD dst_unused:UNUSED_PAD src0_sel:BYTE_1 src1_sel:DWORD
	s_mov_b32 s10, s12
	v_cmp_ne_u32_e64 s[0:1], s30, v45
	v_pk_mov_b32 v[48:49], s[10:11], s[10:11] op_sel:[0,1]
	s_and_saveexec_b64 s[24:25], s[0:1]
	s_cbranch_execz .LBB199_384
; %bb.383:                              ;   in Loop: Header=BB199_243 Depth=1
	v_and_b32_sdwa v18, v44, v66 dst_sel:DWORD dst_unused:UNUSED_PAD src0_sel:BYTE_1 src1_sel:DWORD
	v_ffbh_u32_e32 v48, v18
	v_min_u32_e32 v51, 32, v48
	v_subrev_u32_e32 v48, 28, v51
	v_lshlrev_b64 v[48:49], v48, v[18:19]
	v_lshrrev_b32_e32 v50, 3, v45
	v_sub_u32_e32 v49, 29, v51
	v_cmp_gt_u32_e64 s[0:1], 8, v45
	v_and_b32_e32 v48, 7, v48
	v_cndmask_b32_e64 v45, v50, v49, s[0:1]
	v_cndmask_b32_e64 v18, v18, v48, s[0:1]
	v_lshlrev_b32_e32 v48, 16, v44
	v_lshl_add_u32 v45, v45, 23, v65
	v_and_or_b32 v45, v48, s13, v45
	v_lshlrev_b32_e32 v18, 20, v18
	v_or_b32_e32 v49, v45, v18
	v_mov_b32_e32 v48, v19
.LBB199_384:                            ;   in Loop: Header=BB199_243 Depth=1
	s_or_b64 exec, exec, s[24:25]
.LBB199_385:                            ;   in Loop: Header=BB199_243 Depth=1
	s_or_b64 exec, exec, s[20:21]
.LBB199_386:                            ;   in Loop: Header=BB199_243 Depth=1
	s_or_b64 exec, exec, s[18:19]
	v_lshrrev_b32_e32 v18, 16, v44
	v_pk_mov_b32 v[52:53], 0, 0
	v_cmp_ne_u16_sdwa s[0:1], v18, v19 src0_sel:BYTE_0 src1_sel:DWORD
	v_pk_mov_b32 v[50:51], v[52:53], v[52:53] op_sel:[0,1]
	s_and_saveexec_b64 s[18:19], s[0:1]
	s_cbranch_execz .LBB199_392
; %bb.387:                              ;   in Loop: Header=BB199_243 Depth=1
	v_bfrev_b32_e32 v50, 1
	v_cmp_ne_u16_sdwa s[0:1], v18, s29 src0_sel:BYTE_0 src1_sel:DWORD
	v_mov_b32_e32 v51, 0
	s_and_saveexec_b64 s[20:21], s[0:1]
	s_cbranch_execz .LBB199_391
; %bb.388:                              ;   in Loop: Header=BB199_243 Depth=1
	v_bfe_u32 v45, v44, 16, 7
	v_mov_b32_e32 v50, 0x7f800001
	v_cmp_ne_u32_e64 s[0:1], s30, v45
	v_mov_b32_e32 v51, 0
	s_and_saveexec_b64 s[24:25], s[0:1]
	s_cbranch_execz .LBB199_390
; %bb.389:                              ;   in Loop: Header=BB199_243 Depth=1
	v_and_b32_e32 v54, 7, v18
	v_ffbh_u32_e32 v50, v54
	v_min_u32_e32 v56, 32, v50
	v_subrev_u32_e32 v50, 28, v56
	v_lshlrev_b64 v[50:51], v50, v[18:19]
	v_lshrrev_b32_e32 v55, 3, v45
	v_sub_u32_e32 v51, 29, v56
	v_and_b32_e32 v50, 7, v50
	v_cmp_gt_u32_e64 s[0:1], 8, v45
	v_cndmask_b32_e64 v45, v55, v51, s[0:1]
	v_cndmask_b32_e64 v50, v54, v50, s[0:1]
	v_lshlrev_b32_e32 v50, 20, v50
	v_and_b32_sdwa v18, sext(v18), s13 dst_sel:DWORD dst_unused:UNUSED_PAD src0_sel:BYTE_0 src1_sel:DWORD
	v_lshl_add_u32 v45, v45, 23, v65
	v_or3_b32 v18, v18, v45, v50
	v_pk_mov_b32 v[50:51], v[18:19], v[18:19] op_sel:[0,1]
.LBB199_390:                            ;   in Loop: Header=BB199_243 Depth=1
	s_or_b64 exec, exec, s[24:25]
.LBB199_391:                            ;   in Loop: Header=BB199_243 Depth=1
	s_or_b64 exec, exec, s[20:21]
.LBB199_392:                            ;   in Loop: Header=BB199_243 Depth=1
	s_or_b64 exec, exec, s[18:19]
	v_cmp_lt_u32_e64 s[0:1], s38, v44
	s_and_saveexec_b64 s[18:19], s[0:1]
	s_cbranch_execz .LBB199_398
; %bb.393:                              ;   in Loop: Header=BB199_243 Depth=1
	v_cmp_ne_u32_sdwa s[0:1], v44, s29 src0_sel:BYTE_3 src1_sel:DWORD
	v_pk_mov_b32 v[52:53], s[12:13], s[12:13] op_sel:[0,1]
	s_and_saveexec_b64 s[20:21], s[0:1]
	s_cbranch_execz .LBB199_397
; %bb.394:                              ;   in Loop: Header=BB199_243 Depth=1
	v_bfe_u32 v45, v44, 24, 7
	s_mov_b32 s10, s12
	v_cmp_ne_u32_e64 s[0:1], s30, v45
	v_pk_mov_b32 v[52:53], s[10:11], s[10:11] op_sel:[0,1]
	s_and_saveexec_b64 s[24:25], s[0:1]
	s_cbranch_execz .LBB199_396
; %bb.395:                              ;   in Loop: Header=BB199_243 Depth=1
	v_and_b32_sdwa v18, v44, v66 dst_sel:DWORD dst_unused:UNUSED_PAD src0_sel:BYTE_3 src1_sel:DWORD
	v_ffbh_u32_e32 v52, v18
	v_min_u32_e32 v55, 32, v52
	v_subrev_u32_e32 v52, 28, v55
	v_lshlrev_b64 v[52:53], v52, v[18:19]
	v_lshrrev_b32_e32 v54, 3, v45
	v_sub_u32_e32 v53, 29, v55
	v_cmp_gt_u32_e64 s[0:1], 8, v45
	v_and_b32_e32 v52, 7, v52
	v_cndmask_b32_e64 v45, v54, v53, s[0:1]
	v_cndmask_b32_e64 v18, v18, v52, s[0:1]
	v_lshlrev_b32_sdwa v44, v67, v44 dst_sel:DWORD dst_unused:UNUSED_PAD src0_sel:DWORD src1_sel:BYTE_3
	v_lshl_add_u32 v45, v45, 23, v65
	v_and_or_b32 v44, v44, s13, v45
	v_lshlrev_b32_e32 v18, 20, v18
	v_or_b32_e32 v53, v44, v18
	v_mov_b32_e32 v52, v19
.LBB199_396:                            ;   in Loop: Header=BB199_243 Depth=1
	s_or_b64 exec, exec, s[24:25]
.LBB199_397:                            ;   in Loop: Header=BB199_243 Depth=1
	s_or_b64 exec, exec, s[20:21]
.LBB199_398:                            ;   in Loop: Header=BB199_243 Depth=1
	s_or_b64 exec, exec, s[18:19]
	v_or_b32_e32 v45, v49, v47
	v_or_b32_e32 v44, v48, v46
	;; [unrolled: 1-line block ×4, first 2 shown]
	v_pk_mul_f32 v[44:45], s[16:17], v[44:45]
	v_pk_mul_f32 v[46:47], s[16:17], v[46:47]
	s_and_saveexec_b64 s[18:19], vcc
; %bb.399:                              ;   in Loop: Header=BB199_243 Depth=1
	v_cmp_gt_i32_e64 s[0:1], s41, v68
	v_cndmask_b32_e64 v44, 0, v44, s[0:1]
	v_cmp_gt_i32_e64 s[0:1], s41, v71
	v_cndmask_b32_e64 v45, 0, v45, s[0:1]
	;; [unrolled: 2-line block ×4, first 2 shown]
; %bb.400:                              ;   in Loop: Header=BB199_243 Depth=1
	s_or_b64 exec, exec, s[18:19]
	global_load_dword v48, v[24:25], off offset:1536
	v_pk_mov_b32 v[52:53], 0, 0
	v_pk_mov_b32 v[50:51], v[52:53], v[52:53] op_sel:[0,1]
	s_waitcnt vmcnt(0)
	v_cmp_ne_u16_sdwa s[0:1], v48, v19 src0_sel:BYTE_0 src1_sel:DWORD
	s_and_saveexec_b64 s[18:19], s[0:1]
	s_cbranch_execz .LBB199_406
; %bb.401:                              ;   in Loop: Header=BB199_243 Depth=1
	v_bfrev_b32_e32 v50, 1
	v_cmp_ne_u16_sdwa s[0:1], v48, s29 src0_sel:BYTE_0 src1_sel:DWORD
	v_mov_b32_e32 v51, 0
	s_and_saveexec_b64 s[20:21], s[0:1]
	s_cbranch_execz .LBB199_405
; %bb.402:                              ;   in Loop: Header=BB199_243 Depth=1
	v_and_b32_e32 v18, 0x7f, v48
	v_mov_b32_e32 v50, 0x7f800001
	v_cmp_ne_u32_e64 s[0:1], s30, v18
	v_mov_b32_e32 v51, 0
	s_and_saveexec_b64 s[24:25], s[0:1]
	s_cbranch_execz .LBB199_404
; %bb.403:                              ;   in Loop: Header=BB199_243 Depth=1
	v_and_b32_e32 v49, 7, v48
	v_ffbh_u32_e32 v50, v49
	v_min_u32_e32 v55, 32, v50
	v_subrev_u32_e32 v50, 28, v55
	v_lshlrev_b64 v[50:51], v50, v[48:49]
	v_lshrrev_b32_e32 v54, 3, v18
	v_sub_u32_e32 v51, 29, v55
	v_and_b32_e32 v50, 7, v50
	v_cmp_gt_u32_e64 s[0:1], 8, v18
	v_cndmask_b32_e64 v18, v54, v51, s[0:1]
	v_cndmask_b32_e64 v49, v49, v50, s[0:1]
	v_lshlrev_b32_e32 v49, 20, v49
	v_and_b32_sdwa v50, sext(v48), s13 dst_sel:DWORD dst_unused:UNUSED_PAD src0_sel:BYTE_0 src1_sel:DWORD
	v_lshl_add_u32 v18, v18, 23, v65
	v_or3_b32 v18, v50, v18, v49
	v_pk_mov_b32 v[50:51], v[18:19], v[18:19] op_sel:[0,1]
.LBB199_404:                            ;   in Loop: Header=BB199_243 Depth=1
	s_or_b64 exec, exec, s[24:25]
.LBB199_405:                            ;   in Loop: Header=BB199_243 Depth=1
	s_or_b64 exec, exec, s[20:21]
.LBB199_406:                            ;   in Loop: Header=BB199_243 Depth=1
	s_or_b64 exec, exec, s[18:19]
	v_cmp_ne_u16_sdwa s[0:1], v48, v19 src0_sel:BYTE_1 src1_sel:DWORD
	s_and_saveexec_b64 s[18:19], s[0:1]
	s_cbranch_execz .LBB199_412
; %bb.407:                              ;   in Loop: Header=BB199_243 Depth=1
	v_cmp_ne_u16_sdwa s[0:1], v48, s29 src0_sel:BYTE_1 src1_sel:DWORD
	v_pk_mov_b32 v[52:53], s[12:13], s[12:13] op_sel:[0,1]
	s_and_saveexec_b64 s[20:21], s[0:1]
	s_cbranch_execz .LBB199_411
; %bb.408:                              ;   in Loop: Header=BB199_243 Depth=1
	v_and_b32_sdwa v49, v48, s30 dst_sel:DWORD dst_unused:UNUSED_PAD src0_sel:BYTE_1 src1_sel:DWORD
	s_mov_b32 s10, s12
	v_cmp_ne_u32_e64 s[0:1], s30, v49
	v_pk_mov_b32 v[52:53], s[10:11], s[10:11] op_sel:[0,1]
	s_and_saveexec_b64 s[24:25], s[0:1]
	s_cbranch_execz .LBB199_410
; %bb.409:                              ;   in Loop: Header=BB199_243 Depth=1
	v_and_b32_sdwa v18, v48, v66 dst_sel:DWORD dst_unused:UNUSED_PAD src0_sel:BYTE_1 src1_sel:DWORD
	v_ffbh_u32_e32 v52, v18
	v_min_u32_e32 v55, 32, v52
	v_subrev_u32_e32 v52, 28, v55
	v_lshlrev_b64 v[52:53], v52, v[18:19]
	v_lshrrev_b32_e32 v54, 3, v49
	v_sub_u32_e32 v53, 29, v55
	v_cmp_gt_u32_e64 s[0:1], 8, v49
	v_and_b32_e32 v52, 7, v52
	v_cndmask_b32_e64 v49, v54, v53, s[0:1]
	v_cndmask_b32_e64 v18, v18, v52, s[0:1]
	v_lshlrev_b32_e32 v52, 16, v48
	v_lshl_add_u32 v49, v49, 23, v65
	v_and_or_b32 v49, v52, s13, v49
	v_lshlrev_b32_e32 v18, 20, v18
	v_or_b32_e32 v53, v49, v18
	v_mov_b32_e32 v52, v19
.LBB199_410:                            ;   in Loop: Header=BB199_243 Depth=1
	s_or_b64 exec, exec, s[24:25]
.LBB199_411:                            ;   in Loop: Header=BB199_243 Depth=1
	s_or_b64 exec, exec, s[20:21]
.LBB199_412:                            ;   in Loop: Header=BB199_243 Depth=1
	s_or_b64 exec, exec, s[18:19]
	v_lshrrev_b32_e32 v18, 16, v48
	v_pk_mov_b32 v[56:57], 0, 0
	v_cmp_ne_u16_sdwa s[0:1], v18, v19 src0_sel:BYTE_0 src1_sel:DWORD
	v_pk_mov_b32 v[54:55], v[56:57], v[56:57] op_sel:[0,1]
	s_and_saveexec_b64 s[18:19], s[0:1]
	s_cbranch_execz .LBB199_418
; %bb.413:                              ;   in Loop: Header=BB199_243 Depth=1
	v_bfrev_b32_e32 v54, 1
	v_cmp_ne_u16_sdwa s[0:1], v18, s29 src0_sel:BYTE_0 src1_sel:DWORD
	v_mov_b32_e32 v55, 0
	s_and_saveexec_b64 s[20:21], s[0:1]
	s_cbranch_execz .LBB199_417
; %bb.414:                              ;   in Loop: Header=BB199_243 Depth=1
	v_bfe_u32 v49, v48, 16, 7
	v_mov_b32_e32 v54, 0x7f800001
	v_cmp_ne_u32_e64 s[0:1], s30, v49
	v_mov_b32_e32 v55, 0
	s_and_saveexec_b64 s[24:25], s[0:1]
	s_cbranch_execz .LBB199_416
; %bb.415:                              ;   in Loop: Header=BB199_243 Depth=1
	v_and_b32_e32 v58, 7, v18
	v_ffbh_u32_e32 v54, v58
	v_min_u32_e32 v72, 32, v54
	v_subrev_u32_e32 v54, 28, v72
	v_lshlrev_b64 v[54:55], v54, v[18:19]
	v_lshrrev_b32_e32 v59, 3, v49
	v_sub_u32_e32 v55, 29, v72
	v_and_b32_e32 v54, 7, v54
	v_cmp_gt_u32_e64 s[0:1], 8, v49
	v_cndmask_b32_e64 v49, v59, v55, s[0:1]
	v_cndmask_b32_e64 v54, v58, v54, s[0:1]
	v_lshlrev_b32_e32 v54, 20, v54
	v_and_b32_sdwa v18, sext(v18), s13 dst_sel:DWORD dst_unused:UNUSED_PAD src0_sel:BYTE_0 src1_sel:DWORD
	v_lshl_add_u32 v49, v49, 23, v65
	v_or3_b32 v18, v18, v49, v54
	v_pk_mov_b32 v[54:55], v[18:19], v[18:19] op_sel:[0,1]
.LBB199_416:                            ;   in Loop: Header=BB199_243 Depth=1
	s_or_b64 exec, exec, s[24:25]
.LBB199_417:                            ;   in Loop: Header=BB199_243 Depth=1
	s_or_b64 exec, exec, s[20:21]
.LBB199_418:                            ;   in Loop: Header=BB199_243 Depth=1
	s_or_b64 exec, exec, s[18:19]
	v_cmp_lt_u32_e64 s[0:1], s38, v48
	s_and_saveexec_b64 s[18:19], s[0:1]
	s_cbranch_execz .LBB199_424
; %bb.419:                              ;   in Loop: Header=BB199_243 Depth=1
	v_cmp_ne_u32_sdwa s[0:1], v48, s29 src0_sel:BYTE_3 src1_sel:DWORD
	v_pk_mov_b32 v[56:57], s[12:13], s[12:13] op_sel:[0,1]
	s_and_saveexec_b64 s[20:21], s[0:1]
	s_cbranch_execz .LBB199_423
; %bb.420:                              ;   in Loop: Header=BB199_243 Depth=1
	v_bfe_u32 v49, v48, 24, 7
	s_mov_b32 s10, s12
	v_cmp_ne_u32_e64 s[0:1], s30, v49
	v_pk_mov_b32 v[56:57], s[10:11], s[10:11] op_sel:[0,1]
	s_and_saveexec_b64 s[24:25], s[0:1]
	s_cbranch_execz .LBB199_422
; %bb.421:                              ;   in Loop: Header=BB199_243 Depth=1
	v_and_b32_sdwa v18, v48, v66 dst_sel:DWORD dst_unused:UNUSED_PAD src0_sel:BYTE_3 src1_sel:DWORD
	v_ffbh_u32_e32 v56, v18
	v_min_u32_e32 v59, 32, v56
	v_subrev_u32_e32 v56, 28, v59
	v_lshlrev_b64 v[56:57], v56, v[18:19]
	v_lshrrev_b32_e32 v58, 3, v49
	v_sub_u32_e32 v57, 29, v59
	v_cmp_gt_u32_e64 s[0:1], 8, v49
	v_and_b32_e32 v56, 7, v56
	v_cndmask_b32_e64 v49, v58, v57, s[0:1]
	v_cndmask_b32_e64 v18, v18, v56, s[0:1]
	v_lshlrev_b32_sdwa v48, v67, v48 dst_sel:DWORD dst_unused:UNUSED_PAD src0_sel:DWORD src1_sel:BYTE_3
	v_lshl_add_u32 v49, v49, 23, v65
	v_and_or_b32 v48, v48, s13, v49
	v_lshlrev_b32_e32 v18, 20, v18
	v_or_b32_e32 v57, v48, v18
	v_mov_b32_e32 v56, v19
.LBB199_422:                            ;   in Loop: Header=BB199_243 Depth=1
	s_or_b64 exec, exec, s[24:25]
.LBB199_423:                            ;   in Loop: Header=BB199_243 Depth=1
	s_or_b64 exec, exec, s[20:21]
.LBB199_424:                            ;   in Loop: Header=BB199_243 Depth=1
	s_or_b64 exec, exec, s[18:19]
	v_or_b32_e32 v49, v53, v51
	v_or_b32_e32 v48, v52, v50
	;; [unrolled: 1-line block ×4, first 2 shown]
	v_pk_mul_f32 v[48:49], s[16:17], v[48:49]
	v_pk_mul_f32 v[50:51], s[16:17], v[50:51]
	s_and_saveexec_b64 s[18:19], vcc
; %bb.425:                              ;   in Loop: Header=BB199_243 Depth=1
	v_cmp_gt_i32_e64 s[0:1], s41, v68
	v_cndmask_b32_e64 v48, 0, v48, s[0:1]
	v_cmp_gt_i32_e64 s[0:1], s41, v71
	v_cndmask_b32_e64 v49, 0, v49, s[0:1]
	v_cmp_gt_i32_e64 s[0:1], s41, v70
	v_cndmask_b32_e64 v50, 0, v50, s[0:1]
	v_cmp_gt_i32_e64 s[0:1], s41, v69
	v_cndmask_b32_e64 v51, 0, v51, s[0:1]
; %bb.426:                              ;   in Loop: Header=BB199_243 Depth=1
	s_or_b64 exec, exec, s[18:19]
	global_load_dword v24, v[24:25], off offset:1792
	v_pk_mov_b32 v[54:55], 0, 0
	v_pk_mov_b32 v[52:53], v[54:55], v[54:55] op_sel:[0,1]
	s_waitcnt vmcnt(0)
	v_cmp_ne_u16_sdwa s[0:1], v24, v19 src0_sel:BYTE_0 src1_sel:DWORD
	s_and_saveexec_b64 s[18:19], s[0:1]
	s_cbranch_execz .LBB199_432
; %bb.427:                              ;   in Loop: Header=BB199_243 Depth=1
	v_bfrev_b32_e32 v52, 1
	v_cmp_ne_u16_sdwa s[0:1], v24, s29 src0_sel:BYTE_0 src1_sel:DWORD
	v_mov_b32_e32 v53, 0
	s_and_saveexec_b64 s[20:21], s[0:1]
	s_cbranch_execz .LBB199_431
; %bb.428:                              ;   in Loop: Header=BB199_243 Depth=1
	v_and_b32_e32 v18, 0x7f, v24
	v_mov_b32_e32 v52, 0x7f800001
	v_cmp_ne_u32_e64 s[0:1], s30, v18
	v_mov_b32_e32 v53, 0
	s_and_saveexec_b64 s[24:25], s[0:1]
	s_cbranch_execz .LBB199_430
; %bb.429:                              ;   in Loop: Header=BB199_243 Depth=1
	v_and_b32_e32 v25, 7, v24
	v_ffbh_u32_e32 v52, v25
	v_min_u32_e32 v57, 32, v52
	v_subrev_u32_e32 v52, 28, v57
	v_lshlrev_b64 v[52:53], v52, v[24:25]
	v_lshrrev_b32_e32 v56, 3, v18
	v_sub_u32_e32 v53, 29, v57
	v_and_b32_e32 v52, 7, v52
	v_cmp_gt_u32_e64 s[0:1], 8, v18
	v_cndmask_b32_e64 v18, v56, v53, s[0:1]
	v_cndmask_b32_e64 v25, v25, v52, s[0:1]
	v_lshlrev_b32_e32 v25, 20, v25
	v_and_b32_sdwa v52, sext(v24), s13 dst_sel:DWORD dst_unused:UNUSED_PAD src0_sel:BYTE_0 src1_sel:DWORD
	v_lshl_add_u32 v18, v18, 23, v65
	v_or3_b32 v18, v52, v18, v25
	v_pk_mov_b32 v[52:53], v[18:19], v[18:19] op_sel:[0,1]
.LBB199_430:                            ;   in Loop: Header=BB199_243 Depth=1
	s_or_b64 exec, exec, s[24:25]
.LBB199_431:                            ;   in Loop: Header=BB199_243 Depth=1
	s_or_b64 exec, exec, s[20:21]
.LBB199_432:                            ;   in Loop: Header=BB199_243 Depth=1
	s_or_b64 exec, exec, s[18:19]
	v_cmp_ne_u16_sdwa s[0:1], v24, v19 src0_sel:BYTE_1 src1_sel:DWORD
	s_and_saveexec_b64 s[18:19], s[0:1]
	s_cbranch_execz .LBB199_438
; %bb.433:                              ;   in Loop: Header=BB199_243 Depth=1
	v_cmp_ne_u16_sdwa s[0:1], v24, s29 src0_sel:BYTE_1 src1_sel:DWORD
	v_pk_mov_b32 v[54:55], s[12:13], s[12:13] op_sel:[0,1]
	s_and_saveexec_b64 s[20:21], s[0:1]
	s_cbranch_execz .LBB199_437
; %bb.434:                              ;   in Loop: Header=BB199_243 Depth=1
	v_and_b32_sdwa v25, v24, s30 dst_sel:DWORD dst_unused:UNUSED_PAD src0_sel:BYTE_1 src1_sel:DWORD
	s_mov_b32 s10, s12
	v_cmp_ne_u32_e64 s[0:1], s30, v25
	v_pk_mov_b32 v[54:55], s[10:11], s[10:11] op_sel:[0,1]
	s_and_saveexec_b64 s[24:25], s[0:1]
	s_cbranch_execz .LBB199_436
; %bb.435:                              ;   in Loop: Header=BB199_243 Depth=1
	v_and_b32_sdwa v18, v24, v66 dst_sel:DWORD dst_unused:UNUSED_PAD src0_sel:BYTE_1 src1_sel:DWORD
	v_ffbh_u32_e32 v54, v18
	v_min_u32_e32 v57, 32, v54
	v_subrev_u32_e32 v54, 28, v57
	v_lshlrev_b64 v[54:55], v54, v[18:19]
	v_lshrrev_b32_e32 v56, 3, v25
	v_sub_u32_e32 v55, 29, v57
	v_cmp_gt_u32_e64 s[0:1], 8, v25
	v_and_b32_e32 v54, 7, v54
	v_cndmask_b32_e64 v25, v56, v55, s[0:1]
	v_cndmask_b32_e64 v18, v18, v54, s[0:1]
	v_lshlrev_b32_e32 v54, 16, v24
	v_lshl_add_u32 v25, v25, 23, v65
	v_and_or_b32 v25, v54, s13, v25
	v_lshlrev_b32_e32 v18, 20, v18
	v_or_b32_e32 v55, v25, v18
	v_mov_b32_e32 v54, v19
.LBB199_436:                            ;   in Loop: Header=BB199_243 Depth=1
	s_or_b64 exec, exec, s[24:25]
.LBB199_437:                            ;   in Loop: Header=BB199_243 Depth=1
	s_or_b64 exec, exec, s[20:21]
.LBB199_438:                            ;   in Loop: Header=BB199_243 Depth=1
	s_or_b64 exec, exec, s[18:19]
	v_lshrrev_b32_e32 v18, 16, v24
	v_pk_mov_b32 v[58:59], 0, 0
	v_cmp_ne_u16_sdwa s[0:1], v18, v19 src0_sel:BYTE_0 src1_sel:DWORD
	v_pk_mov_b32 v[56:57], v[58:59], v[58:59] op_sel:[0,1]
	s_and_saveexec_b64 s[18:19], s[0:1]
	s_cbranch_execz .LBB199_444
; %bb.439:                              ;   in Loop: Header=BB199_243 Depth=1
	v_bfrev_b32_e32 v56, 1
	v_cmp_ne_u16_sdwa s[0:1], v18, s29 src0_sel:BYTE_0 src1_sel:DWORD
	v_mov_b32_e32 v57, 0
	s_and_saveexec_b64 s[20:21], s[0:1]
	s_cbranch_execz .LBB199_443
; %bb.440:                              ;   in Loop: Header=BB199_243 Depth=1
	v_bfe_u32 v25, v24, 16, 7
	v_mov_b32_e32 v56, 0x7f800001
	v_cmp_ne_u32_e64 s[0:1], s30, v25
	v_mov_b32_e32 v57, 0
	s_and_saveexec_b64 s[24:25], s[0:1]
	s_cbranch_execz .LBB199_442
; %bb.441:                              ;   in Loop: Header=BB199_243 Depth=1
	v_and_b32_e32 v72, 7, v18
	v_ffbh_u32_e32 v56, v72
	v_min_u32_e32 v74, 32, v56
	v_subrev_u32_e32 v56, 28, v74
	v_lshlrev_b64 v[56:57], v56, v[18:19]
	v_lshrrev_b32_e32 v73, 3, v25
	v_sub_u32_e32 v57, 29, v74
	v_and_b32_e32 v56, 7, v56
	v_cmp_gt_u32_e64 s[0:1], 8, v25
	v_cndmask_b32_e64 v25, v73, v57, s[0:1]
	v_cndmask_b32_e64 v56, v72, v56, s[0:1]
	v_lshlrev_b32_e32 v56, 20, v56
	v_and_b32_sdwa v18, sext(v18), s13 dst_sel:DWORD dst_unused:UNUSED_PAD src0_sel:BYTE_0 src1_sel:DWORD
	v_lshl_add_u32 v25, v25, 23, v65
	v_or3_b32 v18, v18, v25, v56
	v_pk_mov_b32 v[56:57], v[18:19], v[18:19] op_sel:[0,1]
.LBB199_442:                            ;   in Loop: Header=BB199_243 Depth=1
	s_or_b64 exec, exec, s[24:25]
.LBB199_443:                            ;   in Loop: Header=BB199_243 Depth=1
	s_or_b64 exec, exec, s[20:21]
.LBB199_444:                            ;   in Loop: Header=BB199_243 Depth=1
	s_or_b64 exec, exec, s[18:19]
	v_cmp_lt_u32_e64 s[0:1], s38, v24
	s_and_saveexec_b64 s[18:19], s[0:1]
	s_cbranch_execz .LBB199_450
; %bb.445:                              ;   in Loop: Header=BB199_243 Depth=1
	v_cmp_ne_u32_sdwa s[0:1], v24, s29 src0_sel:BYTE_3 src1_sel:DWORD
	v_pk_mov_b32 v[58:59], s[12:13], s[12:13] op_sel:[0,1]
	s_and_saveexec_b64 s[20:21], s[0:1]
	s_cbranch_execz .LBB199_449
; %bb.446:                              ;   in Loop: Header=BB199_243 Depth=1
	v_bfe_u32 v25, v24, 24, 7
	s_mov_b32 s10, s12
	v_cmp_ne_u32_e64 s[0:1], s30, v25
	v_pk_mov_b32 v[58:59], s[10:11], s[10:11] op_sel:[0,1]
	s_and_saveexec_b64 s[24:25], s[0:1]
	s_cbranch_execz .LBB199_448
; %bb.447:                              ;   in Loop: Header=BB199_243 Depth=1
	v_and_b32_sdwa v18, v24, v66 dst_sel:DWORD dst_unused:UNUSED_PAD src0_sel:BYTE_3 src1_sel:DWORD
	v_ffbh_u32_e32 v58, v18
	v_min_u32_e32 v73, 32, v58
	v_subrev_u32_e32 v58, 28, v73
	v_lshlrev_b64 v[58:59], v58, v[18:19]
	v_lshrrev_b32_e32 v72, 3, v25
	v_sub_u32_e32 v59, 29, v73
	v_cmp_gt_u32_e64 s[0:1], 8, v25
	v_and_b32_e32 v58, 7, v58
	v_cndmask_b32_e64 v25, v72, v59, s[0:1]
	v_cndmask_b32_e64 v18, v18, v58, s[0:1]
	v_lshlrev_b32_sdwa v24, v67, v24 dst_sel:DWORD dst_unused:UNUSED_PAD src0_sel:DWORD src1_sel:BYTE_3
	v_lshl_add_u32 v25, v25, 23, v65
	v_and_or_b32 v24, v24, s13, v25
	v_lshlrev_b32_e32 v18, 20, v18
	v_or_b32_e32 v59, v24, v18
	v_mov_b32_e32 v58, v19
.LBB199_448:                            ;   in Loop: Header=BB199_243 Depth=1
	s_or_b64 exec, exec, s[24:25]
.LBB199_449:                            ;   in Loop: Header=BB199_243 Depth=1
	s_or_b64 exec, exec, s[20:21]
.LBB199_450:                            ;   in Loop: Header=BB199_243 Depth=1
	s_or_b64 exec, exec, s[18:19]
	v_or_b32_e32 v25, v55, v53
	v_or_b32_e32 v24, v54, v52
	v_or_b32_e32 v53, v59, v57
	v_or_b32_e32 v52, v58, v56
	v_pk_mul_f32 v[24:25], s[16:17], v[24:25]
	v_pk_mul_f32 v[52:53], s[16:17], v[52:53]
	s_and_saveexec_b64 s[0:1], vcc
	s_cbranch_execz .LBB199_241
; %bb.451:                              ;   in Loop: Header=BB199_243 Depth=1
	v_cmp_gt_i32_e32 vcc, s41, v68
	v_cndmask_b32_e32 v24, 0, v24, vcc
	v_cmp_gt_i32_e32 vcc, s41, v71
	v_cndmask_b32_e32 v25, 0, v25, vcc
	;; [unrolled: 2-line block ×4, first 2 shown]
	s_branch .LBB199_241
.LBB199_452:
	s_or_b64 exec, exec, s[6:7]
.LBB199_453:
	s_or_b64 exec, exec, s[4:5]
	ds_bpermute_b32 v10, v61, v2
	ds_bpermute_b32 v11, v61, v3
	;; [unrolled: 1-line block ×8, first 2 shown]
	v_and_b32_e32 v1, 0x3c1, v0
	s_waitcnt lgkmcnt(6)
	v_pk_add_f32 v[10:11], v[2:3], v[10:11]
	s_waitcnt lgkmcnt(4)
	v_pk_add_f32 v[4:5], v[4:5], v[12:13]
	s_waitcnt lgkmcnt(2)
	v_pk_add_f32 v[2:3], v[6:7], v[14:15]
	s_waitcnt lgkmcnt(0)
	v_pk_add_f32 v[6:7], v[8:9], v[16:17]
	v_cmp_eq_u32_e32 vcc, 64, v1
	s_barrier
	s_and_saveexec_b64 s[0:1], vcc
	s_cbranch_execz .LBB199_455
; %bb.454:
	v_mov_b32_e32 v8, 0x410
	v_lshl_add_u32 v8, v60, 1, v8
	ds_write2_b32 v8, v10, v11 offset1:32
	ds_write2_b32 v8, v4, v5 offset0:64 offset1:96
	ds_write2_b32 v8, v2, v3 offset0:128 offset1:160
	;; [unrolled: 1-line block ×3, first 2 shown]
.LBB199_455:
	s_or_b64 exec, exec, s[0:1]
	v_cmp_gt_u32_e32 vcc, 64, v0
	s_waitcnt lgkmcnt(0)
	s_barrier
	s_and_saveexec_b64 s[0:1], vcc
	s_cbranch_execz .LBB199_466
; %bb.456:
	v_cmp_eq_u32_e32 vcc, 0, v62
	v_lshrrev_b32_e32 v8, 1, v0
	s_and_saveexec_b64 s[4:5], vcc
	s_cbranch_execnz .LBB199_469
; %bb.457:
	s_or_b64 exec, exec, s[4:5]
	s_and_saveexec_b64 s[4:5], vcc
	s_cbranch_execnz .LBB199_470
.LBB199_458:
	s_or_b64 exec, exec, s[4:5]
	s_and_saveexec_b64 s[4:5], vcc
	s_cbranch_execnz .LBB199_471
.LBB199_459:
	s_or_b64 exec, exec, s[4:5]
	s_and_saveexec_b64 s[4:5], vcc
	s_cbranch_execnz .LBB199_472
.LBB199_460:
	s_or_b64 exec, exec, s[4:5]
	s_and_saveexec_b64 s[4:5], vcc
	s_cbranch_execnz .LBB199_473
.LBB199_461:
	s_or_b64 exec, exec, s[4:5]
	s_and_saveexec_b64 s[4:5], vcc
	s_cbranch_execnz .LBB199_474
.LBB199_462:
	s_or_b64 exec, exec, s[4:5]
	s_and_saveexec_b64 s[4:5], vcc
	s_cbranch_execnz .LBB199_475
.LBB199_463:
	s_or_b64 exec, exec, s[4:5]
	s_and_saveexec_b64 s[4:5], vcc
	s_cbranch_execz .LBB199_465
.LBB199_464:
	v_mov_b32_e32 v9, 0x410
	v_lshl_add_u32 v8, v8, 2, v9
	ds_read_b32 v8, v8 offset:896
	s_waitcnt lgkmcnt(0)
	v_add_f32_e32 v7, v7, v8
.LBB199_465:
	s_or_b64 exec, exec, s[4:5]
.LBB199_466:
	s_or_b64 exec, exec, s[0:1]
	v_cmp_eq_u32_e32 vcc, 0, v1
	s_barrier
	s_and_saveexec_b64 s[0:1], vcc
	s_cbranch_execz .LBB199_468
; %bb.467:
	s_lshl_b32 s0, s2, 8
	s_ashr_i32 s1, s0, 31
	s_lshl_b64 s[0:1], s[0:1], 2
	s_add_u32 s2, s34, s0
	s_mul_i32 s0, s33, s36
	s_addc_u32 s3, s35, s1
	s_ashr_i32 s1, s0, 31
	s_lshl_b64 s[0:1], s[0:1], 2
	s_add_u32 s2, s2, s0
	s_addc_u32 s3, s3, s1
	s_lshl_b32 s0, s8, 8
	s_ashr_i32 s1, s0, 31
	s_lshl_b64 s[0:1], s[0:1], 2
	s_add_u32 s0, s2, s0
	s_addc_u32 s1, s3, s1
	v_lshlrev_b32_e32 v0, 1, v0
	global_store_dword v0, v10, s[0:1]
	global_store_dword v0, v11, s[0:1] offset:128
	global_store_dword v0, v4, s[0:1] offset:256
	;; [unrolled: 1-line block ×7, first 2 shown]
.LBB199_468:
	s_endpgm
.LBB199_469:
	v_mov_b32_e32 v9, 0x410
	v_lshl_add_u32 v9, v8, 2, v9
	ds_read_b32 v9, v9
	s_waitcnt lgkmcnt(0)
	v_add_f32_e32 v10, v10, v9
	s_or_b64 exec, exec, s[4:5]
	s_and_saveexec_b64 s[4:5], vcc
	s_cbranch_execz .LBB199_458
.LBB199_470:
	v_mov_b32_e32 v9, 0x410
	v_lshl_add_u32 v9, v8, 2, v9
	ds_read_b32 v9, v9 offset:128
	s_waitcnt lgkmcnt(0)
	v_add_f32_e32 v11, v11, v9
	s_or_b64 exec, exec, s[4:5]
	s_and_saveexec_b64 s[4:5], vcc
	s_cbranch_execz .LBB199_459
.LBB199_471:
	v_mov_b32_e32 v9, 0x410
	v_lshl_add_u32 v9, v8, 2, v9
	ds_read_b32 v9, v9 offset:256
	s_waitcnt lgkmcnt(0)
	v_add_f32_e32 v4, v4, v9
	s_or_b64 exec, exec, s[4:5]
	s_and_saveexec_b64 s[4:5], vcc
	s_cbranch_execz .LBB199_460
.LBB199_472:
	v_mov_b32_e32 v9, 0x410
	v_lshl_add_u32 v9, v8, 2, v9
	ds_read_b32 v9, v9 offset:384
	s_waitcnt lgkmcnt(0)
	v_add_f32_e32 v5, v5, v9
	s_or_b64 exec, exec, s[4:5]
	s_and_saveexec_b64 s[4:5], vcc
	s_cbranch_execz .LBB199_461
.LBB199_473:
	v_mov_b32_e32 v9, 0x410
	v_lshl_add_u32 v9, v8, 2, v9
	ds_read_b32 v9, v9 offset:512
	s_waitcnt lgkmcnt(0)
	v_add_f32_e32 v2, v2, v9
	s_or_b64 exec, exec, s[4:5]
	s_and_saveexec_b64 s[4:5], vcc
	s_cbranch_execz .LBB199_462
.LBB199_474:
	v_mov_b32_e32 v9, 0x410
	v_lshl_add_u32 v9, v8, 2, v9
	ds_read_b32 v9, v9 offset:640
	s_waitcnt lgkmcnt(0)
	v_add_f32_e32 v3, v3, v9
	s_or_b64 exec, exec, s[4:5]
	s_and_saveexec_b64 s[4:5], vcc
	s_cbranch_execz .LBB199_463
.LBB199_475:
	v_mov_b32_e32 v9, 0x410
	v_lshl_add_u32 v9, v8, 2, v9
	ds_read_b32 v9, v9 offset:768
	s_waitcnt lgkmcnt(0)
	v_add_f32_e32 v6, v6, v9
	s_or_b64 exec, exec, s[4:5]
	s_and_saveexec_b64 s[4:5], vcc
	s_cbranch_execnz .LBB199_464
	s_branch .LBB199_465
	.section	.rodata,"a",@progbits
	.p2align	6, 0x0
	.amdhsa_kernel _ZN4vllm25paged_attention_v2_kernelIfhLi256ELi8ELi128ELNS_18Fp8KVCacheDataTypeE1ELb1ELi512EEEvPfS2_PT_PKS3_PKT0_S9_ifPKiSB_iPKfiiiSD_SD_iiiii
		.amdhsa_group_segment_fixed_size 1040
		.amdhsa_private_segment_fixed_size 0
		.amdhsa_kernarg_size 400
		.amdhsa_user_sgpr_count 6
		.amdhsa_user_sgpr_private_segment_buffer 1
		.amdhsa_user_sgpr_dispatch_ptr 0
		.amdhsa_user_sgpr_queue_ptr 0
		.amdhsa_user_sgpr_kernarg_segment_ptr 1
		.amdhsa_user_sgpr_dispatch_id 0
		.amdhsa_user_sgpr_flat_scratch_init 0
		.amdhsa_user_sgpr_kernarg_preload_length 0
		.amdhsa_user_sgpr_kernarg_preload_offset 0
		.amdhsa_user_sgpr_private_segment_size 0
		.amdhsa_uses_dynamic_stack 0
		.amdhsa_system_sgpr_private_segment_wavefront_offset 0
		.amdhsa_system_sgpr_workgroup_id_x 1
		.amdhsa_system_sgpr_workgroup_id_y 1
		.amdhsa_system_sgpr_workgroup_id_z 1
		.amdhsa_system_sgpr_workgroup_info 0
		.amdhsa_system_vgpr_workitem_id 0
		.amdhsa_next_free_vgpr 95
		.amdhsa_next_free_sgpr 63
		.amdhsa_accum_offset 96
		.amdhsa_reserve_vcc 1
		.amdhsa_reserve_flat_scratch 0
		.amdhsa_float_round_mode_32 0
		.amdhsa_float_round_mode_16_64 0
		.amdhsa_float_denorm_mode_32 3
		.amdhsa_float_denorm_mode_16_64 3
		.amdhsa_dx10_clamp 1
		.amdhsa_ieee_mode 1
		.amdhsa_fp16_overflow 0
		.amdhsa_tg_split 0
		.amdhsa_exception_fp_ieee_invalid_op 0
		.amdhsa_exception_fp_denorm_src 0
		.amdhsa_exception_fp_ieee_div_zero 0
		.amdhsa_exception_fp_ieee_overflow 0
		.amdhsa_exception_fp_ieee_underflow 0
		.amdhsa_exception_fp_ieee_inexact 0
		.amdhsa_exception_int_div_zero 0
	.end_amdhsa_kernel
	.section	.text._ZN4vllm25paged_attention_v2_kernelIfhLi256ELi8ELi128ELNS_18Fp8KVCacheDataTypeE1ELb1ELi512EEEvPfS2_PT_PKS3_PKT0_S9_ifPKiSB_iPKfiiiSD_SD_iiiii,"axG",@progbits,_ZN4vllm25paged_attention_v2_kernelIfhLi256ELi8ELi128ELNS_18Fp8KVCacheDataTypeE1ELb1ELi512EEEvPfS2_PT_PKS3_PKT0_S9_ifPKiSB_iPKfiiiSD_SD_iiiii,comdat
.Lfunc_end199:
	.size	_ZN4vllm25paged_attention_v2_kernelIfhLi256ELi8ELi128ELNS_18Fp8KVCacheDataTypeE1ELb1ELi512EEEvPfS2_PT_PKS3_PKT0_S9_ifPKiSB_iPKfiiiSD_SD_iiiii, .Lfunc_end199-_ZN4vllm25paged_attention_v2_kernelIfhLi256ELi8ELi128ELNS_18Fp8KVCacheDataTypeE1ELb1ELi512EEEvPfS2_PT_PKS3_PKT0_S9_ifPKiSB_iPKfiiiSD_SD_iiiii
                                        ; -- End function
	.section	.AMDGPU.csdata,"",@progbits
; Kernel info:
; codeLenInByte = 18356
; NumSgprs: 67
; NumVgprs: 95
; NumAgprs: 0
; TotalNumVgprs: 95
; ScratchSize: 0
; MemoryBound: 0
; FloatMode: 240
; IeeeMode: 1
; LDSByteSize: 1040 bytes/workgroup (compile time only)
; SGPRBlocks: 8
; VGPRBlocks: 11
; NumSGPRsForWavesPerEU: 67
; NumVGPRsForWavesPerEU: 95
; AccumOffset: 96
; Occupancy: 5
; WaveLimiterHint : 1
; COMPUTE_PGM_RSRC2:SCRATCH_EN: 0
; COMPUTE_PGM_RSRC2:USER_SGPR: 6
; COMPUTE_PGM_RSRC2:TRAP_HANDLER: 0
; COMPUTE_PGM_RSRC2:TGID_X_EN: 1
; COMPUTE_PGM_RSRC2:TGID_Y_EN: 1
; COMPUTE_PGM_RSRC2:TGID_Z_EN: 1
; COMPUTE_PGM_RSRC2:TIDIG_COMP_CNT: 0
; COMPUTE_PGM_RSRC3_GFX90A:ACCUM_OFFSET: 23
; COMPUTE_PGM_RSRC3_GFX90A:TG_SPLIT: 0
	.section	.text._ZN4vllm25paged_attention_v2_kernelIfhLi32ELi8ELi128ELNS_18Fp8KVCacheDataTypeE1ELb0ELi512EEEvPfS2_PT_PKS3_PKT0_S9_ifPKiSB_iPKfiiiSD_SD_iiiii,"axG",@progbits,_ZN4vllm25paged_attention_v2_kernelIfhLi32ELi8ELi128ELNS_18Fp8KVCacheDataTypeE1ELb0ELi512EEEvPfS2_PT_PKS3_PKT0_S9_ifPKiSB_iPKfiiiSD_SD_iiiii,comdat
	.protected	_ZN4vllm25paged_attention_v2_kernelIfhLi32ELi8ELi128ELNS_18Fp8KVCacheDataTypeE1ELb0ELi512EEEvPfS2_PT_PKS3_PKT0_S9_ifPKiSB_iPKfiiiSD_SD_iiiii ; -- Begin function _ZN4vllm25paged_attention_v2_kernelIfhLi32ELi8ELi128ELNS_18Fp8KVCacheDataTypeE1ELb0ELi512EEEvPfS2_PT_PKS3_PKT0_S9_ifPKiSB_iPKfiiiSD_SD_iiiii
	.globl	_ZN4vllm25paged_attention_v2_kernelIfhLi32ELi8ELi128ELNS_18Fp8KVCacheDataTypeE1ELb0ELi512EEEvPfS2_PT_PKS3_PKT0_S9_ifPKiSB_iPKfiiiSD_SD_iiiii
	.p2align	8
	.type	_ZN4vllm25paged_attention_v2_kernelIfhLi32ELi8ELi128ELNS_18Fp8KVCacheDataTypeE1ELb0ELi512EEEvPfS2_PT_PKS3_PKT0_S9_ifPKiSB_iPKfiiiSD_SD_iiiii,@function
_ZN4vllm25paged_attention_v2_kernelIfhLi32ELi8ELi128ELNS_18Fp8KVCacheDataTypeE1ELb0ELi512EEEvPfS2_PT_PKS3_PKT0_S9_ifPKiSB_iPKfiiiSD_SD_iiiii: ; @_ZN4vllm25paged_attention_v2_kernelIfhLi32ELi8ELi128ELNS_18Fp8KVCacheDataTypeE1ELb0ELi512EEEvPfS2_PT_PKS3_PKT0_S9_ifPKiSB_iPKfiiiSD_SD_iiiii
; %bb.0:
	s_load_dwordx2 s[0:1], s[4:5], 0x40
	s_mov_b32 s28, s7
	s_ashr_i32 s29, s7, 31
	s_lshl_b64 s[2:3], s[28:29], 2
	s_waitcnt lgkmcnt(0)
	s_add_u32 s0, s0, s2
	s_addc_u32 s1, s1, s3
	s_load_dword s29, s[0:1], 0x0
	s_lshl_b32 s44, s8, 9
	s_waitcnt lgkmcnt(0)
	s_cmp_ge_i32 s44, s29
	s_cbranch_scc1 .LBB200_100
; %bb.1:
	s_load_dword s9, s[4:5], 0x90
	s_load_dwordx2 s[10:11], s[4:5], 0x30
	s_mov_b32 s45, 0
	s_waitcnt lgkmcnt(0)
	s_abs_i32 s2, s9
	s_abs_i32 s0, s10
	v_cvt_f32_u32_e32 v1, s0
	s_sub_i32 s3, 0, s0
	s_xor_b32 s1, s9, s10
	s_ashr_i32 s1, s1, 31
	v_rcp_iflag_f32_e32 v1, v1
	v_mul_f32_e32 v1, 0x4f7ffffe, v1
	v_cvt_u32_f32_e32 v1, v1
	v_readfirstlane_b32 s7, v1
	s_mul_i32 s3, s3, s7
	s_mul_hi_u32 s3, s7, s3
	s_add_i32 s7, s7, s3
	s_mul_hi_u32 s3, s2, s7
	s_mul_i32 s7, s3, s0
	s_sub_i32 s2, s2, s7
	s_add_i32 s10, s3, 1
	s_sub_i32 s7, s2, s0
	s_cmp_ge_u32 s2, s0
	s_cselect_b32 s3, s10, s3
	s_cselect_b32 s2, s7, s2
	s_add_i32 s7, s3, 1
	s_cmp_ge_u32 s2, s0
	s_cselect_b32 s0, s7, s3
	s_xor_b32 s0, s0, s1
	s_sub_i32 s10, s0, s1
	s_abs_i32 s2, s10
	v_cvt_f32_u32_e32 v1, s2
	s_load_dwordx2 s[0:1], s[4:5], 0x50
	s_sub_i32 s7, 0, s2
	s_abs_i32 s3, s6
	v_rcp_iflag_f32_e32 v1, v1
	v_mul_f32_e32 v1, 0x4f7ffffe, v1
	v_cvt_u32_f32_e32 v1, v1
	v_readfirstlane_b32 s12, v1
	s_mul_i32 s7, s7, s12
	s_mul_hi_u32 s7, s12, s7
	s_add_i32 s12, s12, s7
	s_waitcnt lgkmcnt(0)
	s_cmp_eq_u64 s[0:1], 0
	s_mul_hi_u32 s16, s3, s12
	s_cbranch_scc1 .LBB200_3
; %bb.2:
	s_ashr_i32 s7, s6, 31
	s_lshl_b64 s[12:13], s[6:7], 2
	s_add_u32 s0, s0, s12
	s_addc_u32 s1, s1, s13
	s_load_dword s45, s[0:1], 0x0
.LBB200_3:
	s_load_dwordx4 s[12:15], s[4:5], 0x58
	s_ashr_i32 s17, s6, 31
	s_ashr_i32 s18, s10, 31
	v_and_b32_e32 v8, 7, v0
	s_lshl_b32 s24, s6, 5
	v_cmp_gt_u32_e32 vcc, 32, v0
	v_lshlrev_b32_e32 v1, 2, v0
	s_and_saveexec_b64 s[0:1], vcc
	s_cbranch_execz .LBB200_5
; %bb.4:
	s_load_dwordx2 s[20:21], s[4:5], 0x18
	s_waitcnt lgkmcnt(0)
	s_mul_i32 s22, s28, s12
	s_ashr_i32 s23, s22, 31
	s_lshl_b64 s[22:23], s[22:23], 2
	v_lshrrev_b32_e32 v3, 1, v0
	s_add_u32 s7, s20, s22
	s_addc_u32 s10, s21, s23
	s_ashr_i32 s25, s24, 31
	s_lshl_b64 s[20:21], s[24:25], 2
	s_add_u32 s20, s7, s20
	s_addc_u32 s21, s10, s21
	global_load_dword v2, v1, s[20:21]
	v_and_b32_e32 v3, 0x1fc, v3
	v_lshl_add_u32 v3, v8, 4, v3
	s_waitcnt vmcnt(0)
	ds_write_b32 v3, v2
.LBB200_5:
	s_or_b64 exec, exec, s[0:1]
	s_add_i32 s0, s29, 7
	s_ashr_i32 s1, s0, 31
	s_lshr_b32 s1, s1, 29
	s_add_i32 s0, s0, s1
	s_lshl_b32 s10, s8, 6
	s_mul_i32 s1, s16, s2
	s_ashr_i32 s7, s0, 3
	s_add_i32 s0, s10, 64
	s_sub_i32 s1, s3, s1
	s_min_i32 s33, s0, s7
	s_xor_b32 s0, s17, s18
	s_add_i32 s3, s16, 1
	s_waitcnt lgkmcnt(0)
	s_sub_i32 s12, s1, s2
	s_cmp_ge_u32 s1, s2
	s_cselect_b32 s3, s3, s16
	s_cselect_b32 s1, s12, s1
	s_add_i32 s12, s3, 1
	s_cmp_ge_u32 s1, s2
	s_load_dwordx2 s[30:31], s[4:5], 0x38
	s_load_dword s2, s[4:5], 0x48
	v_lshrrev_b32_e32 v17, 6, v0
	s_cselect_b32 s1, s12, s3
	s_xor_b32 s1, s1, s0
	v_or_b32_e32 v6, s10, v17
	s_waitcnt lgkmcnt(0)
	s_mul_i32 s34, s28, s2
	s_sub_i32 s12, s1, s0
	s_ashr_i32 s35, s34, 31
	v_cmp_gt_i32_e64 s[0:1], s33, v6
	v_cmp_le_i32_e32 vcc, s33, v6
	v_mbcnt_lo_u32_b32 v12, -1, 0
	s_barrier
	s_waitcnt lgkmcnt(0)
                                        ; implicit-def: $sgpr15
                                        ; implicit-def: $vgpr9
                                        ; implicit-def: $vgpr18
	s_and_saveexec_b64 s[2:3], vcc
	s_xor_b64 s[2:3], exec, s[2:3]
; %bb.6:
	v_mbcnt_hi_u32_b32 v9, -1, v12
	v_and_b32_e32 v2, 64, v9
	v_add_u32_e32 v18, 64, v2
	s_mov_b32 s15, 0xff7fffff
                                        ; implicit-def: $vgpr8
                                        ; implicit-def: $vgpr12
; %bb.7:
	s_or_saveexec_b64 s[38:39], s[2:3]
	s_load_dwordx4 s[20:23], s[4:5], 0x0
	s_load_dwordx2 s[26:27], s[4:5], 0x10
	s_load_dword s25, s[4:5], 0x98
	s_load_dwordx2 s[36:37], s[4:5], 0x28
	s_load_dwordx4 s[16:19], s[4:5], 0x68
	v_mov_b32_e32 v20, s15
	s_mul_i32 s12, s12, s14
	v_ashrrev_i32_e32 v7, 31, v6
	s_xor_b64 exec, exec, s[38:39]
	s_cbranch_execz .LBB200_37
; %bb.8:
	s_load_dwordx2 s[2:3], s[4:5], 0x20
	s_ashr_i32 s4, s12, 31
	v_bfe_u32 v13, v0, 3, 3
	v_lshlrev_b32_e32 v2, 4, v13
	v_mbcnt_hi_u32_b32 v9, -1, v12
	s_waitcnt lgkmcnt(0)
	s_add_u32 s2, s2, s12
	s_addc_u32 s3, s3, s4
	v_mov_b32_e32 v3, s3
	v_add_co_u32_e32 v10, vcc, s2, v2
	v_and_b32_e32 v12, 64, v9
	v_addc_co_u32_e32 v11, vcc, 0, v3, vcc
	v_add_u32_e32 v18, 64, v12
	v_xor_b32_e32 v12, 4, v9
	v_cmp_lt_i32_e32 vcc, v12, v18
	v_cndmask_b32_e32 v12, v9, v12, vcc
	v_lshlrev_b32_e32 v19, 2, v12
	v_xor_b32_e32 v12, 2, v9
	v_cmp_lt_i32_e32 vcc, v12, v18
	v_cndmask_b32_e32 v12, v9, v12, vcc
	v_lshlrev_b32_e32 v21, 2, v12
	;; [unrolled: 4-line block ×3, first 2 shown]
	v_lshlrev_b32_e32 v22, 2, v12
	v_lshlrev_b32_e32 v12, 3, v17
	ds_read_b128 v[2:5], v2
	s_load_dword s47, s[16:17], 0x0
	s_sub_i32 s48, 1, s29
	v_add3_u32 v23, s44, v12, v13
	v_lshlrev_b32_e32 v12, 2, v13
	s_lshl_b64 s[4:5], s[34:35], 2
	v_lshl_or_b32 v12, v17, 5, v12
	s_add_u32 s4, s30, s4
	v_add_u32_e32 v24, 0x90, v12
	v_lshlrev_b64 v[12:13], 2, v[6:7]
	s_addc_u32 s5, s31, s5
	v_mov_b32_e32 v14, s5
	v_add_co_u32_e64 v12, s[4:5], s4, v12
	s_mov_b32 s46, s13
	v_cmp_eq_u32_e32 vcc, 0, v8
	v_cmp_neq_f32_e64 s[2:3], s45, 0
	v_addc_co_u32_e64 v13, s[4:5], v14, v13, s[4:5]
	s_mov_b64 s[14:15], 0
	v_mov_b32_e32 v20, 0xff7fffff
	s_movk_i32 s49, 0x80
	s_movk_i32 s50, 0x7f
	v_bfrev_b32_e32 v25, 60
	v_mov_b32_e32 v26, v6
	s_branch .LBB200_10
.LBB200_9:                              ;   in Loop: Header=BB200_10 Depth=1
	s_or_b64 exec, exec, s[16:17]
	v_add_u32_e32 v26, 2, v26
	v_cmp_le_i32_e64 s[4:5], s33, v26
	s_or_b64 s[14:15], s[4:5], s[14:15]
	v_add_co_u32_e64 v12, s[4:5], 8, v12
	v_add_u32_e32 v23, 16, v23
	v_add_u32_e32 v24, 64, v24
	v_addc_co_u32_e64 v13, s[4:5], 0, v13, s[4:5]
	s_andn2_b64 exec, exec, s[14:15]
	s_cbranch_execz .LBB200_36
.LBB200_10:                             ; =>This Inner Loop Header: Depth=1
	global_load_dword v14, v[12:13], off
	v_mov_b32_e32 v27, 0
	s_waitcnt vmcnt(0) lgkmcnt(0)
	v_mad_i64_i32 v[14:15], s[4:5], v14, s46, v[10:11]
	v_add_co_u32_e64 v14, s[4:5], v14, v8
	v_addc_co_u32_e64 v15, s[4:5], 0, v15, s[4:5]
	global_load_ubyte v28, v[14:15], off
	s_waitcnt vmcnt(0)
	v_cmp_ne_u16_e64 s[4:5], 0, v28
	s_and_saveexec_b64 s[16:17], s[4:5]
	s_cbranch_execz .LBB200_16
; %bb.11:                               ;   in Loop: Header=BB200_10 Depth=1
	v_cmp_ne_u16_e64 s[4:5], s49, v28
	v_bfrev_b32_e32 v27, 1
	s_and_saveexec_b64 s[40:41], s[4:5]
	s_cbranch_execz .LBB200_15
; %bb.12:                               ;   in Loop: Header=BB200_10 Depth=1
	v_and_b32_e32 v16, 0xffff, v28
	v_and_b32_e32 v29, 0x7f, v16
	v_cmp_ne_u32_e64 s[4:5], s50, v29
	v_mov_b32_e32 v27, 0x7f800001
	s_and_saveexec_b64 s[42:43], s[4:5]
	s_cbranch_execz .LBB200_14
; %bb.13:                               ;   in Loop: Header=BB200_10 Depth=1
	v_and_b32_e32 v27, 7, v16
	v_ffbh_u32_e32 v30, v27
	v_min_u32_e32 v33, 32, v30
	v_subrev_u32_e32 v30, 28, v33
	v_lshlrev_b64 v[30:31], v30, v[16:17]
	v_lshrrev_b32_e32 v32, 3, v29
	v_sub_u32_e32 v16, 29, v33
	v_and_b32_e32 v30, 7, v30
	v_cmp_gt_u32_e64 s[4:5], 8, v29
	v_cndmask_b32_e64 v16, v32, v16, s[4:5]
	v_cndmask_b32_e64 v27, v27, v30, s[4:5]
	v_lshlrev_b32_e32 v28, 24, v28
	v_lshlrev_b32_e32 v27, 20, v27
	v_and_b32_e32 v28, 0x80000000, v28
	v_lshl_add_u32 v16, v16, 23, v25
	v_or3_b32 v27, v28, v16, v27
.LBB200_14:                             ;   in Loop: Header=BB200_10 Depth=1
	s_or_b64 exec, exec, s[42:43]
.LBB200_15:                             ;   in Loop: Header=BB200_10 Depth=1
	s_or_b64 exec, exec, s[40:41]
.LBB200_16:                             ;   in Loop: Header=BB200_10 Depth=1
	s_or_b64 exec, exec, s[16:17]
	global_load_ubyte v29, v[14:15], off offset:8
	v_mov_b32_e32 v28, 0
	s_waitcnt vmcnt(0)
	v_cmp_ne_u16_e64 s[4:5], 0, v29
	s_and_saveexec_b64 s[16:17], s[4:5]
	s_cbranch_execz .LBB200_22
; %bb.17:                               ;   in Loop: Header=BB200_10 Depth=1
	v_cmp_ne_u16_e64 s[4:5], s49, v29
	v_bfrev_b32_e32 v28, 1
	s_and_saveexec_b64 s[40:41], s[4:5]
	s_cbranch_execz .LBB200_21
; %bb.18:                               ;   in Loop: Header=BB200_10 Depth=1
	v_and_b32_e32 v16, 0xffff, v29
	v_and_b32_e32 v30, 0x7f, v16
	v_cmp_ne_u32_e64 s[4:5], s50, v30
	v_mov_b32_e32 v28, 0x7f800001
	s_and_saveexec_b64 s[42:43], s[4:5]
	s_cbranch_execz .LBB200_20
; %bb.19:                               ;   in Loop: Header=BB200_10 Depth=1
	v_and_b32_e32 v28, 7, v16
	v_ffbh_u32_e32 v32, v28
	v_min_u32_e32 v34, 32, v32
	v_subrev_u32_e32 v32, 28, v34
	v_lshlrev_b64 v[32:33], v32, v[16:17]
	v_lshrrev_b32_e32 v31, 3, v30
	v_sub_u32_e32 v16, 29, v34
	v_and_b32_e32 v32, 7, v32
	v_cmp_gt_u32_e64 s[4:5], 8, v30
	v_cndmask_b32_e64 v16, v31, v16, s[4:5]
	v_cndmask_b32_e64 v28, v28, v32, s[4:5]
	v_lshlrev_b32_e32 v29, 24, v29
	v_lshlrev_b32_e32 v28, 20, v28
	v_and_b32_e32 v29, 0x80000000, v29
	v_lshl_add_u32 v16, v16, 23, v25
	v_or3_b32 v28, v29, v16, v28
.LBB200_20:                             ;   in Loop: Header=BB200_10 Depth=1
	s_or_b64 exec, exec, s[42:43]
.LBB200_21:                             ;   in Loop: Header=BB200_10 Depth=1
	s_or_b64 exec, exec, s[40:41]
.LBB200_22:                             ;   in Loop: Header=BB200_10 Depth=1
	s_or_b64 exec, exec, s[16:17]
	global_load_ubyte v31, v[14:15], off offset:128
	v_mov_b32_e32 v29, 0
	v_mov_b32_e32 v30, 0
	s_waitcnt vmcnt(0)
	v_cmp_ne_u16_e64 s[4:5], 0, v31
	s_and_saveexec_b64 s[16:17], s[4:5]
	s_cbranch_execz .LBB200_28
; %bb.23:                               ;   in Loop: Header=BB200_10 Depth=1
	v_cmp_ne_u16_e64 s[4:5], s49, v31
	v_bfrev_b32_e32 v30, 1
	s_and_saveexec_b64 s[40:41], s[4:5]
	s_cbranch_execz .LBB200_27
; %bb.24:                               ;   in Loop: Header=BB200_10 Depth=1
	v_and_b32_e32 v16, 0xffff, v31
	v_and_b32_e32 v32, 0x7f, v16
	v_cmp_ne_u32_e64 s[4:5], s50, v32
	v_mov_b32_e32 v30, 0x7f800001
	s_and_saveexec_b64 s[42:43], s[4:5]
	s_cbranch_execz .LBB200_26
; %bb.25:                               ;   in Loop: Header=BB200_10 Depth=1
	v_and_b32_e32 v30, 7, v16
	v_ffbh_u32_e32 v34, v30
	v_min_u32_e32 v36, 32, v34
	v_subrev_u32_e32 v34, 28, v36
	v_lshlrev_b64 v[34:35], v34, v[16:17]
	v_lshrrev_b32_e32 v33, 3, v32
	v_sub_u32_e32 v16, 29, v36
	v_and_b32_e32 v34, 7, v34
	v_cmp_gt_u32_e64 s[4:5], 8, v32
	v_cndmask_b32_e64 v16, v33, v16, s[4:5]
	v_cndmask_b32_e64 v30, v30, v34, s[4:5]
	v_lshlrev_b32_e32 v31, 24, v31
	v_lshlrev_b32_e32 v30, 20, v30
	v_and_b32_e32 v31, 0x80000000, v31
	v_lshl_add_u32 v16, v16, 23, v25
	v_or3_b32 v30, v31, v16, v30
.LBB200_26:                             ;   in Loop: Header=BB200_10 Depth=1
	s_or_b64 exec, exec, s[42:43]
.LBB200_27:                             ;   in Loop: Header=BB200_10 Depth=1
	s_or_b64 exec, exec, s[40:41]
.LBB200_28:                             ;   in Loop: Header=BB200_10 Depth=1
	s_or_b64 exec, exec, s[16:17]
	global_load_ubyte v15, v[14:15], off offset:136
	s_waitcnt vmcnt(0)
	v_cmp_ne_u16_e64 s[4:5], 0, v15
	s_and_saveexec_b64 s[16:17], s[4:5]
	s_cbranch_execz .LBB200_34
; %bb.29:                               ;   in Loop: Header=BB200_10 Depth=1
	v_cmp_ne_u16_e64 s[4:5], s49, v15
	v_bfrev_b32_e32 v29, 1
	s_and_saveexec_b64 s[40:41], s[4:5]
	s_cbranch_execz .LBB200_33
; %bb.30:                               ;   in Loop: Header=BB200_10 Depth=1
	v_and_b32_e32 v14, 0xffff, v15
	v_and_b32_e32 v16, 0x7f, v14
	v_cmp_ne_u32_e64 s[4:5], s50, v16
	v_mov_b32_e32 v29, 0x7f800001
	s_and_saveexec_b64 s[42:43], s[4:5]
	s_cbranch_execz .LBB200_32
; %bb.31:                               ;   in Loop: Header=BB200_10 Depth=1
	v_and_b32_e32 v29, 7, v14
	v_ffbh_u32_e32 v32, v29
	v_min_u32_e32 v34, 32, v32
	v_subrev_u32_e32 v32, 28, v34
	v_lshlrev_b64 v[32:33], v32, v[14:15]
	v_lshrrev_b32_e32 v31, 3, v16
	v_sub_u32_e32 v14, 29, v34
	v_and_b32_e32 v32, 7, v32
	v_cmp_gt_u32_e64 s[4:5], 8, v16
	v_cndmask_b32_e64 v14, v31, v14, s[4:5]
	v_cndmask_b32_e64 v16, v29, v32, s[4:5]
	v_lshlrev_b32_e32 v15, 24, v15
	v_lshlrev_b32_e32 v16, 20, v16
	v_and_b32_e32 v15, 0x80000000, v15
	v_lshl_add_u32 v14, v14, 23, v25
	v_or3_b32 v29, v15, v14, v16
.LBB200_32:                             ;   in Loop: Header=BB200_10 Depth=1
	s_or_b64 exec, exec, s[42:43]
.LBB200_33:                             ;   in Loop: Header=BB200_10 Depth=1
	s_or_b64 exec, exec, s[40:41]
.LBB200_34:                             ;   in Loop: Header=BB200_10 Depth=1
	s_or_b64 exec, exec, s[16:17]
	s_waitcnt lgkmcnt(0)
	v_mul_f32_e32 v15, s47, v28
	v_mul_f32_e32 v16, s47, v27
	v_mul_f32_e32 v15, v3, v15
	v_mul_f32_e32 v14, s47, v30
	v_fmac_f32_e32 v15, v2, v16
	v_mul_f32_e32 v27, s47, v29
	v_fmac_f32_e32 v15, v4, v14
	v_fmac_f32_e32 v15, v5, v27
	ds_bpermute_b32 v14, v19, v15
	s_waitcnt lgkmcnt(0)
	v_add_f32_e32 v14, v15, v14
	ds_bpermute_b32 v15, v21, v14
	s_waitcnt lgkmcnt(0)
	v_add_f32_e32 v14, v14, v15
	ds_bpermute_b32 v15, v22, v14
	s_and_saveexec_b64 s[16:17], vcc
	s_cbranch_execz .LBB200_9
; %bb.35:                               ;   in Loop: Header=BB200_10 Depth=1
	v_add_u32_e32 v16, s48, v23
	v_cvt_f32_i32_e32 v16, v16
	s_waitcnt lgkmcnt(0)
	v_add_f32_e32 v14, v14, v15
	v_cmp_gt_i32_e64 s[4:5], s29, v23
	v_max_f32_e32 v15, v20, v20
	v_mul_f32_e32 v16, s45, v16
	v_cndmask_b32_e64 v16, 0, v16, s[2:3]
	v_fmac_f32_e32 v16, s11, v14
	v_cndmask_b32_e64 v14, 0, v16, s[4:5]
	ds_write_b32 v24, v14
	v_max_f32_e32 v14, v15, v16
	v_cndmask_b32_e64 v20, v20, v14, s[4:5]
	s_branch .LBB200_9
.LBB200_36:
	s_or_b64 exec, exec, s[14:15]
.LBB200_37:
	s_or_b64 exec, exec, s[38:39]
	v_xor_b32_e32 v2, 32, v9
	v_cmp_lt_i32_e32 vcc, v2, v18
	v_cndmask_b32_e32 v2, v9, v2, vcc
	v_lshlrev_b32_e32 v3, 2, v2
	ds_bpermute_b32 v2, v3, v20
	v_xor_b32_e32 v5, 16, v9
	v_max_f32_e32 v4, v20, v20
	v_cmp_lt_i32_e32 vcc, v5, v18
	v_and_b32_e32 v24, 63, v0
	s_waitcnt lgkmcnt(0)
	v_max_f32_e32 v2, v2, v2
	v_max_f32_e32 v2, v4, v2
	v_cndmask_b32_e32 v4, v9, v5, vcc
	v_lshlrev_b32_e32 v8, 2, v4
	ds_bpermute_b32 v4, v8, v2
	v_xor_b32_e32 v5, 8, v9
	v_cmp_lt_i32_e32 vcc, v5, v18
	s_waitcnt lgkmcnt(0)
	v_max_f32_e32 v4, v4, v4
	v_max_f32_e32 v4, v2, v4
	v_cndmask_b32_e32 v2, v9, v5, vcc
	v_lshlrev_b32_e32 v10, 2, v2
	ds_bpermute_b32 v5, v10, v4
	v_cmp_eq_u32_e32 vcc, 0, v24
	v_lshlrev_b32_e32 v2, 2, v17
	s_and_saveexec_b64 s[2:3], vcc
	s_cbranch_execz .LBB200_39
; %bb.38:
	s_waitcnt lgkmcnt(0)
	v_max_f32_e32 v5, v5, v5
	v_max_f32_e32 v4, v4, v4
	;; [unrolled: 1-line block ×3, first 2 shown]
	ds_write_b32 v2, v4 offset:128
.LBB200_39:
	s_or_b64 exec, exec, s[2:3]
	v_cmp_gt_u32_e64 s[2:3], 2, v24
	v_mov_b32_e32 v4, 0xff7fffff
	s_waitcnt lgkmcnt(0)
	v_lshlrev_b32_e32 v5, 2, v24
	s_barrier
	s_and_saveexec_b64 s[4:5], s[2:3]
	s_cbranch_execz .LBB200_41
; %bb.40:
	ds_read_b32 v4, v5 offset:128
.LBB200_41:
	s_or_b64 exec, exec, s[4:5]
	v_xor_b32_e32 v11, 1, v9
	v_cmp_lt_i32_e64 s[4:5], v11, v18
	v_cndmask_b32_e64 v11, v9, v11, s[4:5]
	v_lshlrev_b32_e32 v25, 2, v11
	s_waitcnt lgkmcnt(0)
	ds_bpermute_b32 v11, v25, v4
	v_max_f32_e32 v4, v4, v4
	s_sub_i32 s4, s33, s10
	s_lshl_b32 s4, s4, 3
	s_add_i32 s4, s4, s44
	s_waitcnt lgkmcnt(0)
	v_max_f32_e32 v11, v11, v11
	v_max_f32_e32 v4, v4, v11
	v_lshlrev_b32_e32 v11, 2, v9
	v_and_b32_e32 v11, 0xffffff00, v11
	ds_bpermute_b32 v4, v11, v4
	s_min_i32 s39, s4, s29
	s_sub_i32 s38, s39, s44
	v_cmp_gt_i32_e64 s[4:5], s38, v0
	v_mov_b32_e32 v12, 0
	s_and_saveexec_b64 s[14:15], s[4:5]
	s_cbranch_execz .LBB200_45
; %bb.42:
	v_mov_b32_e32 v12, 0x90
	v_lshl_add_u32 v13, v0, 2, v12
	s_mov_b64 s[16:17], 0
	v_mov_b32_e32 v12, 0
	v_mov_b32_e32 v14, v0
.LBB200_43:                             ; =>This Inner Loop Header: Depth=1
	ds_read_b32 v15, v13
	v_add_u32_e32 v14, 0x80, v14
	v_cmp_le_i32_e64 s[10:11], s38, v14
	s_or_b64 s[16:17], s[10:11], s[16:17]
	s_waitcnt lgkmcnt(0)
	v_sub_f32_e32 v15, v15, v4
	v_mul_f32_e32 v15, 0x3fb8aa3b, v15
	v_exp_f32_e32 v15, v15
	ds_write_b32 v13, v15
	v_add_f32_e32 v12, v12, v15
	v_add_u32_e32 v13, 0x200, v13
	s_andn2_b64 exec, exec, s[16:17]
	s_cbranch_execnz .LBB200_43
; %bb.44:
	s_or_b64 exec, exec, s[16:17]
.LBB200_45:
	s_or_b64 exec, exec, s[14:15]
	ds_bpermute_b32 v3, v3, v12
	s_waitcnt lgkmcnt(0)
	v_add_f32_e32 v3, v12, v3
	ds_bpermute_b32 v8, v8, v3
	s_waitcnt lgkmcnt(0)
	v_add_f32_e32 v3, v3, v8
	ds_bpermute_b32 v8, v10, v3
	v_xor_b32_e32 v10, 4, v9
	v_cmp_lt_i32_e64 s[10:11], v10, v18
	v_cndmask_b32_e64 v10, v9, v10, s[10:11]
	v_lshlrev_b32_e32 v10, 2, v10
	s_waitcnt lgkmcnt(0)
	v_add_f32_e32 v3, v3, v8
	ds_bpermute_b32 v8, v10, v3
	v_xor_b32_e32 v10, 2, v9
	v_cmp_lt_i32_e64 s[10:11], v10, v18
	v_cndmask_b32_e64 v9, v9, v10, s[10:11]
	s_waitcnt lgkmcnt(0)
	v_add_f32_e32 v3, v3, v8
	v_lshlrev_b32_e32 v8, 2, v9
	ds_bpermute_b32 v8, v8, v3
	s_waitcnt lgkmcnt(0)
	v_add_f32_e32 v3, v3, v8
	ds_bpermute_b32 v8, v25, v3
	s_waitcnt lgkmcnt(0)
	v_add_f32_e32 v3, v3, v8
	s_and_saveexec_b64 s[10:11], vcc
	s_cbranch_execz .LBB200_47
; %bb.46:
	ds_write_b32 v2, v3 offset:136
.LBB200_47:
	s_or_b64 exec, exec, s[10:11]
	s_waitcnt lgkmcnt(0)
	s_barrier
	s_and_saveexec_b64 s[10:11], s[2:3]
	s_cbranch_execz .LBB200_49
; %bb.48:
	ds_read_b32 v3, v5 offset:136
.LBB200_49:
	s_or_b64 exec, exec, s[10:11]
	s_waitcnt lgkmcnt(0)
	ds_bpermute_b32 v2, v25, v3
	s_waitcnt lgkmcnt(0)
	v_add_f32_e32 v2, v3, v2
	ds_bpermute_b32 v5, v11, v2
	s_and_saveexec_b64 s[2:3], s[4:5]
	s_cbranch_execz .LBB200_62
; %bb.50:
	s_waitcnt lgkmcnt(0)
	v_add_f32_e32 v2, 0x358637bd, v5
	v_div_scale_f32 v3, s[4:5], v2, v2, 1.0
	v_rcp_f32_e32 v8, v3
	v_div_scale_f32 v9, vcc, 1.0, v2, 1.0
	s_movk_i32 s4, 0x7f
	v_fma_f32 v10, -v3, v8, 1.0
	v_fmac_f32_e32 v8, v10, v8
	v_mul_f32_e32 v10, v9, v8
	v_fma_f32 v11, -v3, v10, v9
	v_fmac_f32_e32 v10, v11, v8
	v_fma_f32 v3, -v3, v10, v9
	v_div_fmas_f32 v3, v3, v8, v10
	v_div_fixup_f32 v2, v3, v2, 1.0
	v_xad_u32 v3, v0, -1, s39
	v_subrev_u32_e32 v8, s44, v3
	v_cmp_lt_u32_e32 vcc, s4, v8
	s_mov_b64 s[10:11], -1
	v_mov_b32_e32 v3, v0
	s_and_saveexec_b64 s[4:5], vcc
	s_cbranch_execz .LBB200_59
; %bb.51:
	v_lshrrev_b32_e32 v8, 7, v8
	v_add_u32_e32 v10, -1, v8
	v_lshrrev_b32_e32 v9, 1, v10
	v_mov_b32_e32 v3, v2
	v_add_u32_e32 v9, 1, v9
	v_cmp_lt_u32_e32 vcc, 13, v10
	v_mov_b32_e32 v12, 0
	s_and_saveexec_b64 s[10:11], vcc
	s_cbranch_execz .LBB200_55
; %bb.52:
	v_mov_b32_e32 v11, 0x90
	v_and_b32_e32 v10, -8, v9
	v_lshl_add_u32 v11, v0, 2, v11
	s_mov_b32 s16, 0
	s_mov_b64 s[14:15], 0
.LBB200_53:                             ; =>This Inner Loop Header: Depth=1
	ds_read2st64_b32 v[12:13], v11 offset1:2
	ds_read2st64_b32 v[14:15], v11 offset0:4 offset1:6
	ds_read2st64_b32 v[18:19], v11 offset0:8 offset1:10
	;; [unrolled: 1-line block ×3, first 2 shown]
	v_add_u32_e32 v10, -8, v10
	s_waitcnt lgkmcnt(3)
	v_pk_mul_f32 v[12:13], v[2:3], v[12:13]
	s_waitcnt lgkmcnt(2)
	v_pk_mul_f32 v[14:15], v[2:3], v[14:15]
	ds_write2st64_b32 v11, v12, v13 offset1:2
	ds_write2st64_b32 v11, v14, v15 offset0:4 offset1:6
	ds_read2st64_b32 v[14:15], v11 offset0:16 offset1:18
	s_waitcnt lgkmcnt(4)
	v_pk_mul_f32 v[12:13], v[2:3], v[18:19]
	ds_write2st64_b32 v11, v12, v13 offset0:8 offset1:10
	s_waitcnt lgkmcnt(4)
	v_pk_mul_f32 v[12:13], v[2:3], v[20:21]
	ds_write2st64_b32 v11, v12, v13 offset0:12 offset1:14
	ds_read2st64_b32 v[12:13], v11 offset0:20 offset1:22
	s_waitcnt lgkmcnt(3)
	v_pk_mul_f32 v[14:15], v[2:3], v[14:15]
	ds_read2st64_b32 v[18:19], v11 offset0:24 offset1:26
	ds_write2st64_b32 v11, v14, v15 offset0:16 offset1:18
	ds_read2st64_b32 v[14:15], v11 offset0:28 offset1:30
	s_waitcnt lgkmcnt(3)
	v_pk_mul_f32 v[12:13], v[2:3], v[12:13]
	ds_write2st64_b32 v11, v12, v13 offset0:20 offset1:22
	s_waitcnt lgkmcnt(3)
	v_pk_mul_f32 v[12:13], v[2:3], v[18:19]
	ds_write2st64_b32 v11, v12, v13 offset0:24 offset1:26
	s_waitcnt lgkmcnt(2)
	v_pk_mul_f32 v[12:13], v[2:3], v[14:15]
	s_add_i32 s16, s16, 16
	v_cmp_eq_u32_e32 vcc, 0, v10
	ds_write2st64_b32 v11, v12, v13 offset0:28 offset1:30
	v_add_u32_e32 v11, 0x2000, v11
	s_or_b64 s[14:15], vcc, s[14:15]
	v_mov_b32_e32 v12, s16
	s_andn2_b64 exec, exec, s[14:15]
	s_cbranch_execnz .LBB200_53
; %bb.54:
	s_or_b64 exec, exec, s[14:15]
.LBB200_55:
	s_or_b64 exec, exec, s[10:11]
	v_and_b32_e32 v9, 7, v9
	v_cmp_ne_u32_e32 vcc, 0, v9
	s_and_saveexec_b64 s[10:11], vcc
	s_cbranch_execz .LBB200_58
; %bb.56:
	v_lshlrev_b32_e32 v10, 9, v12
	s_movk_i32 s14, 0x90
	v_add3_u32 v10, v10, v1, s14
	s_mov_b64 s[14:15], 0
.LBB200_57:                             ; =>This Inner Loop Header: Depth=1
	ds_read2st64_b32 v[12:13], v10 offset1:2
	v_add_u32_e32 v9, -1, v9
	v_cmp_eq_u32_e32 vcc, 0, v9
	s_or_b64 s[14:15], vcc, s[14:15]
	s_waitcnt lgkmcnt(0)
	v_pk_mul_f32 v[12:13], v[2:3], v[12:13]
	ds_write2st64_b32 v10, v12, v13 offset1:2
	v_add_u32_e32 v10, 0x400, v10
	s_andn2_b64 exec, exec, s[14:15]
	s_cbranch_execnz .LBB200_57
.LBB200_58:
	s_or_b64 exec, exec, s[10:11]
	v_add_u32_e32 v8, 1, v8
	v_and_b32_e32 v9, 0x3fffffe, v8
	v_cmp_ne_u32_e32 vcc, v8, v9
	v_lshl_add_u32 v3, v9, 7, v0
	s_orn2_b64 s[10:11], vcc, exec
.LBB200_59:
	s_or_b64 exec, exec, s[4:5]
	s_and_b64 exec, exec, s[10:11]
	s_cbranch_execz .LBB200_62
; %bb.60:
	v_mov_b32_e32 v8, 0x90
	v_lshl_add_u32 v8, v3, 2, v8
	s_mov_b64 s[4:5], 0
.LBB200_61:                             ; =>This Inner Loop Header: Depth=1
	ds_read_b32 v9, v8
	v_add_u32_e32 v3, 0x80, v3
	v_cmp_le_i32_e32 vcc, s38, v3
	s_or_b64 s[4:5], vcc, s[4:5]
	s_waitcnt lgkmcnt(0)
	v_mul_f32_e32 v9, v2, v9
	ds_write_b32 v8, v9
	v_add_u32_e32 v8, 0x200, v8
	s_andn2_b64 exec, exec, s[4:5]
	s_cbranch_execnz .LBB200_61
.LBB200_62:
	s_or_b64 exec, exec, s[2:3]
	s_mul_i32 s2, s25, s28
	v_cmp_eq_u32_e32 vcc, 0, v0
	s_mul_i32 s2, s2, s9
	s_waitcnt lgkmcnt(0)
	s_barrier
	s_and_saveexec_b64 s[4:5], vcc
	s_cbranch_execz .LBB200_64
; %bb.63:
	s_ashr_i32 s3, s2, 31
	s_lshl_b64 s[10:11], s[2:3], 2
	s_add_u32 s3, s22, s10
	s_mul_i32 s14, s25, s6
	s_addc_u32 s9, s23, s11
	s_ashr_i32 s15, s14, 31
	s_lshl_b64 s[14:15], s[14:15], 2
	s_add_u32 s3, s3, s14
	s_addc_u32 s6, s9, s15
	s_ashr_i32 s9, s8, 31
	s_lshl_b64 s[16:17], s[8:9], 2
	s_add_u32 s22, s3, s16
	s_addc_u32 s23, s6, s17
	s_add_u32 s3, s20, s10
	s_addc_u32 s6, s21, s11
	;; [unrolled: 2-line block ×3, first 2 shown]
	s_add_u32 s10, s3, s16
	v_mov_b32_e32 v2, 0
	s_addc_u32 s11, s6, s17
	global_store_dword v2, v4, s[22:23]
	global_store_dword v2, v5, s[10:11]
.LBB200_64:
	s_or_b64 exec, exec, s[4:5]
	v_mov_b32_e32 v27, 0
	s_and_saveexec_b64 s[4:5], s[0:1]
	s_cbranch_execz .LBB200_94
; %bb.65:
	s_ashr_i32 s0, s12, 31
	v_and_b32_e32 v2, 4, v1
	s_add_u32 s1, s36, s12
	v_and_b32_e32 v1, 0xfc, v1
	s_addc_u32 s0, s37, s0
	v_add_co_u32_e32 v10, vcc, s1, v1
	v_lshl_add_u32 v1, v17, 3, s44
	v_mov_b32_e32 v3, s0
	s_load_dword s0, s[18:19], 0x0
	v_add3_u32 v1, v1, v2, 3
	v_and_b32_e32 v2, 1, v0
	s_add_i32 s9, s7, -1
	v_lshlrev_b32_e32 v2, 4, v2
	s_lshl_b64 s[6:7], s[34:35], 2
	v_lshl_or_b32 v2, v17, 5, v2
	s_add_u32 s6, s30, s6
	v_addc_co_u32_e32 v11, vcc, 0, v3, vcc
	v_add_u32_e32 v26, 0x90, v2
	v_lshlrev_b64 v[2:3], 2, v[6:7]
	s_addc_u32 s7, s31, s7
	v_mov_b32_e32 v4, s7
	v_add_co_u32_e32 v12, vcc, s6, v2
	s_mov_b32 s10, 0
	s_mov_b32 s3, s13
	v_mov_b32_e32 v9, 0
	s_waitcnt lgkmcnt(0)
	s_mov_b32 s1, s0
	v_addc_co_u32_e32 v13, vcc, v4, v3, vcc
	s_mov_b64 s[6:7], 0
	s_brev_b32 s11, 1
	s_movk_i32 s20, 0x80
	s_movk_i32 s21, 0x7f
	s_mov_b32 s13, 0x7f800001
	s_mov_b32 s22, 0xffffff
	v_bfrev_b32_e32 v7, 60
	v_mov_b32_e32 v28, 7
	v_mov_b32_e32 v29, 24
	;; [unrolled: 1-line block ×3, first 2 shown]
	s_branch .LBB200_67
.LBB200_66:                             ;   in Loop: Header=BB200_67 Depth=1
	s_or_b64 exec, exec, s[14:15]
	s_waitcnt lgkmcnt(0)
	v_mul_f32_e32 v3, v3, v15
	v_fmac_f32_e32 v3, v2, v14
	v_add_u32_e32 v6, 2, v6
	v_fmac_f32_e32 v3, v4, v16
	v_cmp_le_i32_e32 vcc, s33, v6
	v_fmac_f32_e32 v3, v5, v17
	s_or_b64 s[6:7], vcc, s[6:7]
	v_add_co_u32_e32 v12, vcc, 8, v12
	v_add_f32_e32 v27, v27, v3
	v_add_u32_e32 v1, 16, v1
	v_add_u32_e32 v26, 64, v26
	v_addc_co_u32_e32 v13, vcc, 0, v13, vcc
	s_andn2_b64 exec, exec, s[6:7]
	s_cbranch_execz .LBB200_93
.LBB200_67:                             ; =>This Inner Loop Header: Depth=1
	global_load_dword v2, v[12:13], off
	v_pk_mov_b32 v[18:19], 0, 0
	v_pk_mov_b32 v[16:17], v[18:19], v[18:19] op_sel:[0,1]
	s_waitcnt vmcnt(0)
	v_mad_i64_i32 v[2:3], s[14:15], v2, s3, v[10:11]
	global_load_dword v14, v[2:3], off
	ds_read_b128 v[2:5], v26
	s_waitcnt vmcnt(0)
	v_cmp_ne_u16_sdwa s[16:17], v14, v9 src0_sel:BYTE_0 src1_sel:DWORD
	s_and_saveexec_b64 s[14:15], s[16:17]
	s_cbranch_execz .LBB200_73
; %bb.68:                               ;   in Loop: Header=BB200_67 Depth=1
	v_bfrev_b32_e32 v16, 1
	v_cmp_ne_u16_sdwa s[18:19], v14, s20 src0_sel:BYTE_0 src1_sel:DWORD
	v_mov_b32_e32 v17, 0
	s_and_saveexec_b64 s[16:17], s[18:19]
	s_cbranch_execz .LBB200_72
; %bb.69:                               ;   in Loop: Header=BB200_67 Depth=1
	v_and_b32_e32 v8, 0x7f, v14
	v_mov_b32_e32 v16, 0x7f800001
	v_cmp_ne_u32_e32 vcc, s21, v8
	v_mov_b32_e32 v17, 0
	s_and_saveexec_b64 s[18:19], vcc
	s_cbranch_execz .LBB200_71
; %bb.70:                               ;   in Loop: Header=BB200_67 Depth=1
	v_and_b32_e32 v15, 7, v14
	v_ffbh_u32_e32 v16, v15
	v_min_u32_e32 v21, 32, v16
	v_subrev_u32_e32 v16, 28, v21
	v_lshlrev_b64 v[16:17], v16, v[14:15]
	v_lshrrev_b32_e32 v20, 3, v8
	v_sub_u32_e32 v17, 29, v21
	v_and_b32_e32 v16, 7, v16
	v_cmp_gt_u32_e32 vcc, 8, v8
	v_cndmask_b32_e32 v8, v20, v17, vcc
	v_cndmask_b32_e32 v15, v15, v16, vcc
	v_lshlrev_b32_e32 v15, 20, v15
	v_and_b32_sdwa v16, sext(v14), s11 dst_sel:DWORD dst_unused:UNUSED_PAD src0_sel:BYTE_0 src1_sel:DWORD
	v_lshl_add_u32 v8, v8, 23, v7
	v_or3_b32 v8, v16, v8, v15
	v_pk_mov_b32 v[16:17], v[8:9], v[8:9] op_sel:[0,1]
.LBB200_71:                             ;   in Loop: Header=BB200_67 Depth=1
	s_or_b64 exec, exec, s[18:19]
.LBB200_72:                             ;   in Loop: Header=BB200_67 Depth=1
	s_or_b64 exec, exec, s[16:17]
.LBB200_73:                             ;   in Loop: Header=BB200_67 Depth=1
	s_or_b64 exec, exec, s[14:15]
	v_cmp_ne_u16_sdwa s[16:17], v14, v9 src0_sel:BYTE_1 src1_sel:DWORD
	s_and_saveexec_b64 s[14:15], s[16:17]
	s_cbranch_execz .LBB200_79
; %bb.74:                               ;   in Loop: Header=BB200_67 Depth=1
	v_cmp_ne_u16_sdwa s[18:19], v14, s20 src0_sel:BYTE_1 src1_sel:DWORD
	v_pk_mov_b32 v[18:19], s[10:11], s[10:11] op_sel:[0,1]
	s_and_saveexec_b64 s[16:17], s[18:19]
	s_cbranch_execz .LBB200_78
; %bb.75:                               ;   in Loop: Header=BB200_67 Depth=1
	v_and_b32_sdwa v15, v14, s21 dst_sel:DWORD dst_unused:UNUSED_PAD src0_sel:BYTE_1 src1_sel:DWORD
	s_mov_b32 s12, s10
	v_cmp_ne_u32_e32 vcc, s21, v15
	v_pk_mov_b32 v[18:19], s[12:13], s[12:13] op_sel:[0,1]
	s_and_saveexec_b64 s[18:19], vcc
	s_cbranch_execz .LBB200_77
; %bb.76:                               ;   in Loop: Header=BB200_67 Depth=1
	v_and_b32_sdwa v8, v14, v28 dst_sel:DWORD dst_unused:UNUSED_PAD src0_sel:BYTE_1 src1_sel:DWORD
	v_ffbh_u32_e32 v18, v8
	v_min_u32_e32 v21, 32, v18
	v_subrev_u32_e32 v18, 28, v21
	v_lshlrev_b64 v[18:19], v18, v[8:9]
	v_lshrrev_b32_e32 v20, 3, v15
	v_sub_u32_e32 v19, 29, v21
	v_cmp_gt_u32_e32 vcc, 8, v15
	v_and_b32_e32 v18, 7, v18
	v_cndmask_b32_e32 v15, v20, v19, vcc
	v_cndmask_b32_e32 v8, v8, v18, vcc
	v_lshlrev_b32_e32 v18, 16, v14
	v_lshl_add_u32 v15, v15, 23, v7
	v_and_or_b32 v15, v18, s11, v15
	v_lshlrev_b32_e32 v8, 20, v8
	v_or_b32_e32 v19, v15, v8
	v_mov_b32_e32 v18, v9
.LBB200_77:                             ;   in Loop: Header=BB200_67 Depth=1
	s_or_b64 exec, exec, s[18:19]
.LBB200_78:                             ;   in Loop: Header=BB200_67 Depth=1
	s_or_b64 exec, exec, s[16:17]
.LBB200_79:                             ;   in Loop: Header=BB200_67 Depth=1
	s_or_b64 exec, exec, s[14:15]
	v_lshrrev_b32_e32 v8, 16, v14
	v_pk_mov_b32 v[22:23], 0, 0
	v_cmp_ne_u16_sdwa s[16:17], v8, v9 src0_sel:BYTE_0 src1_sel:DWORD
	v_pk_mov_b32 v[20:21], v[22:23], v[22:23] op_sel:[0,1]
	s_and_saveexec_b64 s[14:15], s[16:17]
	s_cbranch_execz .LBB200_85
; %bb.80:                               ;   in Loop: Header=BB200_67 Depth=1
	v_bfrev_b32_e32 v20, 1
	v_cmp_ne_u16_sdwa s[18:19], v8, s20 src0_sel:BYTE_0 src1_sel:DWORD
	v_mov_b32_e32 v21, 0
	s_and_saveexec_b64 s[16:17], s[18:19]
	s_cbranch_execz .LBB200_84
; %bb.81:                               ;   in Loop: Header=BB200_67 Depth=1
	v_bfe_u32 v15, v14, 16, 7
	v_mov_b32_e32 v20, 0x7f800001
	v_cmp_ne_u32_e32 vcc, s21, v15
	v_mov_b32_e32 v21, 0
	s_and_saveexec_b64 s[18:19], vcc
	s_cbranch_execz .LBB200_83
; %bb.82:                               ;   in Loop: Header=BB200_67 Depth=1
	v_and_b32_e32 v30, 7, v8
	v_ffbh_u32_e32 v20, v30
	v_min_u32_e32 v32, 32, v20
	v_subrev_u32_e32 v20, 28, v32
	v_lshlrev_b64 v[20:21], v20, v[8:9]
	v_lshrrev_b32_e32 v31, 3, v15
	v_sub_u32_e32 v21, 29, v32
	v_and_b32_e32 v20, 7, v20
	v_cmp_gt_u32_e32 vcc, 8, v15
	v_cndmask_b32_e32 v15, v31, v21, vcc
	v_cndmask_b32_e32 v20, v30, v20, vcc
	v_lshlrev_b32_e32 v20, 20, v20
	v_and_b32_sdwa v8, sext(v8), s11 dst_sel:DWORD dst_unused:UNUSED_PAD src0_sel:BYTE_0 src1_sel:DWORD
	v_lshl_add_u32 v15, v15, 23, v7
	v_or3_b32 v8, v8, v15, v20
	v_pk_mov_b32 v[20:21], v[8:9], v[8:9] op_sel:[0,1]
.LBB200_83:                             ;   in Loop: Header=BB200_67 Depth=1
	s_or_b64 exec, exec, s[18:19]
.LBB200_84:                             ;   in Loop: Header=BB200_67 Depth=1
	s_or_b64 exec, exec, s[16:17]
.LBB200_85:                             ;   in Loop: Header=BB200_67 Depth=1
	s_or_b64 exec, exec, s[14:15]
	v_cmp_lt_u32_e32 vcc, s22, v14
	s_and_saveexec_b64 s[14:15], vcc
	s_cbranch_execz .LBB200_91
; %bb.86:                               ;   in Loop: Header=BB200_67 Depth=1
	v_cmp_ne_u32_sdwa s[18:19], v14, s20 src0_sel:BYTE_3 src1_sel:DWORD
	v_pk_mov_b32 v[22:23], s[10:11], s[10:11] op_sel:[0,1]
	s_and_saveexec_b64 s[16:17], s[18:19]
	s_cbranch_execz .LBB200_90
; %bb.87:                               ;   in Loop: Header=BB200_67 Depth=1
	v_bfe_u32 v15, v14, 24, 7
	s_mov_b32 s12, s10
	v_cmp_ne_u32_e32 vcc, s21, v15
	v_pk_mov_b32 v[22:23], s[12:13], s[12:13] op_sel:[0,1]
	s_and_saveexec_b64 s[18:19], vcc
	s_cbranch_execz .LBB200_89
; %bb.88:                               ;   in Loop: Header=BB200_67 Depth=1
	v_and_b32_sdwa v8, v14, v28 dst_sel:DWORD dst_unused:UNUSED_PAD src0_sel:BYTE_3 src1_sel:DWORD
	v_ffbh_u32_e32 v22, v8
	v_min_u32_e32 v31, 32, v22
	v_subrev_u32_e32 v22, 28, v31
	v_lshlrev_b64 v[22:23], v22, v[8:9]
	v_lshrrev_b32_e32 v30, 3, v15
	v_sub_u32_e32 v23, 29, v31
	v_cmp_gt_u32_e32 vcc, 8, v15
	v_and_b32_e32 v22, 7, v22
	v_cndmask_b32_e32 v15, v30, v23, vcc
	v_cndmask_b32_e32 v8, v8, v22, vcc
	v_lshlrev_b32_sdwa v14, v29, v14 dst_sel:DWORD dst_unused:UNUSED_PAD src0_sel:DWORD src1_sel:BYTE_3
	v_lshl_add_u32 v15, v15, 23, v7
	v_and_or_b32 v14, v14, s11, v15
	v_lshlrev_b32_e32 v8, 20, v8
	v_or_b32_e32 v23, v14, v8
	v_mov_b32_e32 v22, v9
.LBB200_89:                             ;   in Loop: Header=BB200_67 Depth=1
	s_or_b64 exec, exec, s[18:19]
.LBB200_90:                             ;   in Loop: Header=BB200_67 Depth=1
	s_or_b64 exec, exec, s[16:17]
.LBB200_91:                             ;   in Loop: Header=BB200_67 Depth=1
	s_or_b64 exec, exec, s[14:15]
	v_or_b32_e32 v15, v19, v17
	v_or_b32_e32 v14, v18, v16
	;; [unrolled: 1-line block ×4, first 2 shown]
	v_pk_mul_f32 v[14:15], s[0:1], v[14:15]
	v_pk_mul_f32 v[16:17], s[0:1], v[16:17]
	v_cmp_eq_u32_e32 vcc, s9, v6
	s_and_saveexec_b64 s[14:15], vcc
	s_cbranch_execz .LBB200_66
; %bb.92:                               ;   in Loop: Header=BB200_67 Depth=1
	v_add_u32_e32 v8, -3, v1
	v_cmp_gt_i32_e32 vcc, s29, v8
	v_add_u32_e32 v8, -2, v1
	v_cndmask_b32_e32 v14, 0, v14, vcc
	v_cmp_gt_i32_e32 vcc, s29, v8
	v_add_u32_e32 v8, -1, v1
	v_cndmask_b32_e32 v15, 0, v15, vcc
	v_cmp_gt_i32_e32 vcc, s29, v8
	v_cndmask_b32_e32 v16, 0, v16, vcc
	v_cmp_gt_i32_e32 vcc, s29, v1
	v_cndmask_b32_e32 v17, 0, v17, vcc
	s_branch .LBB200_66
.LBB200_93:
	s_or_b64 exec, exec, s[6:7]
.LBB200_94:
	s_or_b64 exec, exec, s[4:5]
	ds_bpermute_b32 v1, v25, v27
	v_and_b32_e32 v2, 0x3c1, v0
	v_cmp_eq_u32_e32 vcc, 64, v2
	s_waitcnt lgkmcnt(0)
	s_barrier
	v_add_f32_e32 v1, v27, v1
	s_and_saveexec_b64 s[0:1], vcc
	s_cbranch_execz .LBB200_96
; %bb.95:
	v_mov_b32_e32 v3, 0x90
	v_lshl_add_u32 v3, v24, 1, v3
	ds_write_b32 v3, v1
.LBB200_96:
	s_or_b64 exec, exec, s[0:1]
	v_cmp_eq_u32_e32 vcc, 0, v2
	s_waitcnt lgkmcnt(0)
	s_barrier
	s_and_saveexec_b64 s[0:1], vcc
	s_cbranch_execz .LBB200_98
; %bb.97:
	v_mov_b32_e32 v2, 0x90
	v_lshl_add_u32 v2, v0, 1, v2
	ds_read_b32 v2, v2
	s_waitcnt lgkmcnt(0)
	v_add_f32_e32 v1, v1, v2
.LBB200_98:
	s_or_b64 exec, exec, s[0:1]
	s_barrier
	s_and_saveexec_b64 s[0:1], vcc
	s_cbranch_execz .LBB200_100
; %bb.99:
	s_lshl_b32 s0, s2, 5
	s_ashr_i32 s1, s0, 31
	s_lshl_b64 s[0:1], s[0:1], 2
	s_add_u32 s2, s26, s0
	s_mul_i32 s0, s25, s24
	s_addc_u32 s3, s27, s1
	s_ashr_i32 s1, s0, 31
	s_lshl_b64 s[0:1], s[0:1], 2
	s_add_u32 s2, s2, s0
	s_addc_u32 s3, s3, s1
	s_lshl_b32 s0, s8, 5
	s_ashr_i32 s1, s0, 31
	s_lshl_b64 s[0:1], s[0:1], 2
	s_add_u32 s0, s2, s0
	s_addc_u32 s1, s3, s1
	v_lshlrev_b32_e32 v0, 1, v0
	global_store_dword v0, v1, s[0:1]
.LBB200_100:
	s_endpgm
	.section	.rodata,"a",@progbits
	.p2align	6, 0x0
	.amdhsa_kernel _ZN4vllm25paged_attention_v2_kernelIfhLi32ELi8ELi128ELNS_18Fp8KVCacheDataTypeE1ELb0ELi512EEEvPfS2_PT_PKS3_PKT0_S9_ifPKiSB_iPKfiiiSD_SD_iiiii
		.amdhsa_group_segment_fixed_size 144
		.amdhsa_private_segment_fixed_size 0
		.amdhsa_kernarg_size 400
		.amdhsa_user_sgpr_count 6
		.amdhsa_user_sgpr_private_segment_buffer 1
		.amdhsa_user_sgpr_dispatch_ptr 0
		.amdhsa_user_sgpr_queue_ptr 0
		.amdhsa_user_sgpr_kernarg_segment_ptr 1
		.amdhsa_user_sgpr_dispatch_id 0
		.amdhsa_user_sgpr_flat_scratch_init 0
		.amdhsa_user_sgpr_kernarg_preload_length 0
		.amdhsa_user_sgpr_kernarg_preload_offset 0
		.amdhsa_user_sgpr_private_segment_size 0
		.amdhsa_uses_dynamic_stack 0
		.amdhsa_system_sgpr_private_segment_wavefront_offset 0
		.amdhsa_system_sgpr_workgroup_id_x 1
		.amdhsa_system_sgpr_workgroup_id_y 1
		.amdhsa_system_sgpr_workgroup_id_z 1
		.amdhsa_system_sgpr_workgroup_info 0
		.amdhsa_system_vgpr_workitem_id 0
		.amdhsa_next_free_vgpr 37
		.amdhsa_next_free_sgpr 51
		.amdhsa_accum_offset 40
		.amdhsa_reserve_vcc 1
		.amdhsa_reserve_flat_scratch 0
		.amdhsa_float_round_mode_32 0
		.amdhsa_float_round_mode_16_64 0
		.amdhsa_float_denorm_mode_32 3
		.amdhsa_float_denorm_mode_16_64 3
		.amdhsa_dx10_clamp 1
		.amdhsa_ieee_mode 1
		.amdhsa_fp16_overflow 0
		.amdhsa_tg_split 0
		.amdhsa_exception_fp_ieee_invalid_op 0
		.amdhsa_exception_fp_denorm_src 0
		.amdhsa_exception_fp_ieee_div_zero 0
		.amdhsa_exception_fp_ieee_overflow 0
		.amdhsa_exception_fp_ieee_underflow 0
		.amdhsa_exception_fp_ieee_inexact 0
		.amdhsa_exception_int_div_zero 0
	.end_amdhsa_kernel
	.section	.text._ZN4vllm25paged_attention_v2_kernelIfhLi32ELi8ELi128ELNS_18Fp8KVCacheDataTypeE1ELb0ELi512EEEvPfS2_PT_PKS3_PKT0_S9_ifPKiSB_iPKfiiiSD_SD_iiiii,"axG",@progbits,_ZN4vllm25paged_attention_v2_kernelIfhLi32ELi8ELi128ELNS_18Fp8KVCacheDataTypeE1ELb0ELi512EEEvPfS2_PT_PKS3_PKT0_S9_ifPKiSB_iPKfiiiSD_SD_iiiii,comdat
.Lfunc_end200:
	.size	_ZN4vllm25paged_attention_v2_kernelIfhLi32ELi8ELi128ELNS_18Fp8KVCacheDataTypeE1ELb0ELi512EEEvPfS2_PT_PKS3_PKT0_S9_ifPKiSB_iPKfiiiSD_SD_iiiii, .Lfunc_end200-_ZN4vllm25paged_attention_v2_kernelIfhLi32ELi8ELi128ELNS_18Fp8KVCacheDataTypeE1ELb0ELi512EEEvPfS2_PT_PKS3_PKT0_S9_ifPKiSB_iPKfiiiSD_SD_iiiii
                                        ; -- End function
	.section	.AMDGPU.csdata,"",@progbits
; Kernel info:
; codeLenInByte = 4732
; NumSgprs: 55
; NumVgprs: 37
; NumAgprs: 0
; TotalNumVgprs: 37
; ScratchSize: 0
; MemoryBound: 0
; FloatMode: 240
; IeeeMode: 1
; LDSByteSize: 144 bytes/workgroup (compile time only)
; SGPRBlocks: 6
; VGPRBlocks: 4
; NumSGPRsForWavesPerEU: 55
; NumVGPRsForWavesPerEU: 37
; AccumOffset: 40
; Occupancy: 8
; WaveLimiterHint : 1
; COMPUTE_PGM_RSRC2:SCRATCH_EN: 0
; COMPUTE_PGM_RSRC2:USER_SGPR: 6
; COMPUTE_PGM_RSRC2:TRAP_HANDLER: 0
; COMPUTE_PGM_RSRC2:TGID_X_EN: 1
; COMPUTE_PGM_RSRC2:TGID_Y_EN: 1
; COMPUTE_PGM_RSRC2:TGID_Z_EN: 1
; COMPUTE_PGM_RSRC2:TIDIG_COMP_CNT: 0
; COMPUTE_PGM_RSRC3_GFX90A:ACCUM_OFFSET: 9
; COMPUTE_PGM_RSRC3_GFX90A:TG_SPLIT: 0
	.section	.text._ZN4vllm25paged_attention_v2_kernelIfhLi64ELi8ELi128ELNS_18Fp8KVCacheDataTypeE1ELb0ELi512EEEvPfS2_PT_PKS3_PKT0_S9_ifPKiSB_iPKfiiiSD_SD_iiiii,"axG",@progbits,_ZN4vllm25paged_attention_v2_kernelIfhLi64ELi8ELi128ELNS_18Fp8KVCacheDataTypeE1ELb0ELi512EEEvPfS2_PT_PKS3_PKT0_S9_ifPKiSB_iPKfiiiSD_SD_iiiii,comdat
	.protected	_ZN4vllm25paged_attention_v2_kernelIfhLi64ELi8ELi128ELNS_18Fp8KVCacheDataTypeE1ELb0ELi512EEEvPfS2_PT_PKS3_PKT0_S9_ifPKiSB_iPKfiiiSD_SD_iiiii ; -- Begin function _ZN4vllm25paged_attention_v2_kernelIfhLi64ELi8ELi128ELNS_18Fp8KVCacheDataTypeE1ELb0ELi512EEEvPfS2_PT_PKS3_PKT0_S9_ifPKiSB_iPKfiiiSD_SD_iiiii
	.globl	_ZN4vllm25paged_attention_v2_kernelIfhLi64ELi8ELi128ELNS_18Fp8KVCacheDataTypeE1ELb0ELi512EEEvPfS2_PT_PKS3_PKT0_S9_ifPKiSB_iPKfiiiSD_SD_iiiii
	.p2align	8
	.type	_ZN4vllm25paged_attention_v2_kernelIfhLi64ELi8ELi128ELNS_18Fp8KVCacheDataTypeE1ELb0ELi512EEEvPfS2_PT_PKS3_PKT0_S9_ifPKiSB_iPKfiiiSD_SD_iiiii,@function
_ZN4vllm25paged_attention_v2_kernelIfhLi64ELi8ELi128ELNS_18Fp8KVCacheDataTypeE1ELb0ELi512EEEvPfS2_PT_PKS3_PKT0_S9_ifPKiSB_iPKfiiiSD_SD_iiiii: ; @_ZN4vllm25paged_attention_v2_kernelIfhLi64ELi8ELi128ELNS_18Fp8KVCacheDataTypeE1ELb0ELi512EEEvPfS2_PT_PKS3_PKT0_S9_ifPKiSB_iPKfiiiSD_SD_iiiii
; %bb.0:
	s_load_dwordx2 s[0:1], s[4:5], 0x40
	s_mov_b32 s28, s7
	s_ashr_i32 s29, s7, 31
	s_lshl_b64 s[2:3], s[28:29], 2
	s_waitcnt lgkmcnt(0)
	s_add_u32 s0, s0, s2
	s_addc_u32 s1, s1, s3
	s_load_dword s29, s[0:1], 0x0
	s_lshl_b32 s46, s8, 9
	s_waitcnt lgkmcnt(0)
	s_cmp_ge_i32 s46, s29
	s_cbranch_scc1 .LBB201_154
; %bb.1:
	s_load_dword s9, s[4:5], 0x90
	s_load_dwordx2 s[38:39], s[4:5], 0x30
	s_waitcnt lgkmcnt(0)
	s_abs_i32 s2, s9
	s_abs_i32 s0, s38
	v_cvt_f32_u32_e32 v1, s0
	s_sub_i32 s3, 0, s0
	s_xor_b32 s1, s9, s38
	s_ashr_i32 s1, s1, 31
	v_rcp_iflag_f32_e32 v1, v1
	v_mul_f32_e32 v1, 0x4f7ffffe, v1
	v_cvt_u32_f32_e32 v1, v1
	v_readfirstlane_b32 s7, v1
	s_mul_i32 s3, s3, s7
	s_mul_hi_u32 s3, s7, s3
	s_add_i32 s7, s7, s3
	s_mul_hi_u32 s3, s2, s7
	s_mul_i32 s7, s3, s0
	s_sub_i32 s2, s2, s7
	s_add_i32 s10, s3, 1
	s_sub_i32 s7, s2, s0
	s_cmp_ge_u32 s2, s0
	s_cselect_b32 s3, s10, s3
	s_cselect_b32 s2, s7, s2
	s_add_i32 s7, s3, 1
	s_cmp_ge_u32 s2, s0
	s_cselect_b32 s0, s7, s3
	s_xor_b32 s0, s0, s1
	s_sub_i32 s2, s0, s1
	s_abs_i32 s10, s2
	v_cvt_f32_u32_e32 v1, s10
	s_load_dwordx2 s[0:1], s[4:5], 0x50
	s_sub_i32 s3, 0, s10
	s_abs_i32 s11, s6
	v_rcp_iflag_f32_e32 v1, v1
	s_mov_b32 s7, 0
	v_mul_f32_e32 v1, 0x4f7ffffe, v1
	v_cvt_u32_f32_e32 v1, v1
	v_readfirstlane_b32 s12, v1
	s_mul_i32 s3, s3, s12
	s_mul_hi_u32 s3, s12, s3
	s_add_i32 s12, s12, s3
	s_waitcnt lgkmcnt(0)
	s_cmp_eq_u64 s[0:1], 0
	s_mul_hi_u32 s12, s11, s12
	s_cbranch_scc1 .LBB201_3
; %bb.2:
	s_ashr_i32 s7, s6, 31
	s_lshl_b64 s[14:15], s[6:7], 2
	s_add_u32 s0, s0, s14
	s_addc_u32 s1, s1, s15
	s_load_dword s7, s[0:1], 0x0
.LBB201_3:
	s_load_dwordx4 s[16:19], s[4:5], 0x58
	s_ashr_i32 s13, s6, 31
	s_ashr_i32 s14, s2, 31
	v_and_b32_e32 v12, 7, v0
	s_lshl_b32 s24, s6, 6
	v_cmp_gt_u32_e64 s[0:1], 64, v0
	v_lshlrev_b32_e32 v21, 2, v0
	v_lshrrev_b32_e32 v1, 1, v0
	s_and_saveexec_b64 s[2:3], s[0:1]
	s_cbranch_execz .LBB201_5
; %bb.4:
	s_load_dwordx2 s[20:21], s[4:5], 0x18
	s_waitcnt lgkmcnt(0)
	s_mul_i32 s22, s28, s16
	s_ashr_i32 s23, s22, 31
	s_lshl_b64 s[22:23], s[22:23], 2
	v_and_b32_e32 v3, 0x1fc, v1
	s_add_u32 s15, s20, s22
	s_addc_u32 s16, s21, s23
	s_ashr_i32 s25, s24, 31
	s_lshl_b64 s[20:21], s[24:25], 2
	s_add_u32 s20, s15, s20
	s_addc_u32 s21, s16, s21
	global_load_dword v2, v21, s[20:21]
	v_lshl_add_u32 v3, v12, 5, v3
	s_waitcnt vmcnt(0)
	ds_write_b32 v3, v2
.LBB201_5:
	s_or_b64 exec, exec, s[2:3]
	s_add_i32 s2, s29, 7
	s_ashr_i32 s3, s2, 31
	s_lshr_b32 s3, s3, 29
	s_add_i32 s2, s2, s3
	s_waitcnt lgkmcnt(0)
	s_lshl_b32 s16, s8, 6
	s_mul_i32 s3, s12, s10
	s_ashr_i32 s47, s2, 3
	s_add_i32 s2, s16, 64
	s_sub_i32 s3, s11, s3
	s_min_i32 s33, s2, s47
	s_xor_b32 s2, s13, s14
	s_add_i32 s11, s12, 1
	s_sub_i32 s13, s3, s10
	s_cmp_ge_u32 s3, s10
	s_cselect_b32 s11, s11, s12
	s_cselect_b32 s3, s13, s3
	s_add_i32 s12, s11, 1
	s_cmp_ge_u32 s3, s10
	s_load_dwordx2 s[30:31], s[4:5], 0x38
	s_load_dword s10, s[4:5], 0x48
	v_lshrrev_b32_e32 v22, 6, v0
	s_cselect_b32 s3, s12, s11
	s_xor_b32 s3, s3, s2
	v_or_b32_e32 v10, s16, v22
	s_waitcnt lgkmcnt(0)
	s_mul_i32 s34, s28, s10
	s_sub_i32 s48, s3, s2
	s_ashr_i32 s35, s34, 31
	v_cmp_gt_i32_e64 s[2:3], s33, v10
	v_cmp_le_i32_e32 vcc, s33, v10
	v_mbcnt_lo_u32_b32 v16, -1, 0
	s_barrier
	s_waitcnt lgkmcnt(0)
                                        ; implicit-def: $sgpr19
                                        ; implicit-def: $vgpr13
                                        ; implicit-def: $vgpr23
	s_and_saveexec_b64 s[10:11], vcc
	s_xor_b64 s[10:11], exec, s[10:11]
; %bb.6:
	v_mbcnt_hi_u32_b32 v13, -1, v16
	v_and_b32_e32 v2, 64, v13
	v_add_u32_e32 v23, 64, v2
	s_mov_b32 s19, 0xff7fffff
                                        ; implicit-def: $vgpr12
                                        ; implicit-def: $vgpr16
; %bb.7:
	s_or_saveexec_b64 s[40:41], s[10:11]
	s_load_dwordx4 s[20:23], s[4:5], 0x0
	s_load_dwordx2 s[26:27], s[4:5], 0x10
	s_load_dword s25, s[4:5], 0x98
	s_load_dwordx2 s[36:37], s[4:5], 0x28
	s_load_dwordx4 s[12:15], s[4:5], 0x68
	v_mov_b32_e32 v25, s19
	s_mul_i32 s48, s48, s18
	v_ashrrev_i32_e32 v11, 31, v10
	s_xor_b64 exec, exec, s[40:41]
	s_cbranch_execz .LBB201_61
; %bb.8:
	s_load_dwordx2 s[4:5], s[4:5], 0x20
	s_ashr_i32 s10, s48, 31
	v_bfe_u32 v17, v0, 3, 3
	v_lshlrev_b32_e32 v2, 4, v17
	v_mbcnt_hi_u32_b32 v13, -1, v16
	s_waitcnt lgkmcnt(0)
	s_add_u32 s4, s4, s48
	s_addc_u32 s5, s5, s10
	v_mov_b32_e32 v3, s5
	v_add_co_u32_e32 v14, vcc, s4, v2
	v_and_b32_e32 v16, 64, v13
	v_addc_co_u32_e32 v15, vcc, 0, v3, vcc
	v_add_u32_e32 v23, 64, v16
	v_xor_b32_e32 v16, 4, v13
	v_cmp_lt_i32_e32 vcc, v16, v23
	v_cndmask_b32_e32 v16, v13, v16, vcc
	v_lshlrev_b32_e32 v24, 2, v16
	v_xor_b32_e32 v16, 2, v13
	v_cmp_lt_i32_e32 vcc, v16, v23
	v_cndmask_b32_e32 v16, v13, v16, vcc
	v_lshlrev_b32_e32 v26, 2, v16
	;; [unrolled: 4-line block ×3, first 2 shown]
	v_lshlrev_b32_e32 v27, 2, v16
	v_lshlrev_b32_e32 v16, 3, v22
	ds_read_b128 v[2:5], v6
	ds_read_b128 v[6:9], v6 offset:16
	s_load_dword s49, s[12:13], 0x0
	s_sub_i32 s50, 1, s29
	v_add3_u32 v28, s46, v16, v17
	v_lshlrev_b32_e32 v16, 2, v17
	s_lshl_b64 s[10:11], s[34:35], 2
	v_lshl_or_b32 v16, v22, 5, v16
	s_add_u32 s10, s30, s10
	v_add_u32_e32 v29, 0x110, v16
	v_lshlrev_b64 v[16:17], 2, v[10:11]
	s_addc_u32 s11, s31, s11
	v_mov_b32_e32 v18, s11
	v_add_co_u32_e64 v16, s[10:11], s10, v16
	s_mov_b32 s38, s17
	v_cmp_eq_u32_e32 vcc, 0, v12
	v_cmp_neq_f32_e64 s[4:5], s7, 0
	v_addc_co_u32_e64 v17, s[10:11], v18, v17, s[10:11]
	s_mov_b64 s[12:13], 0
	v_mov_b32_e32 v25, 0xff7fffff
	s_movk_i32 s51, 0x80
	s_movk_i32 s52, 0x7f
	v_bfrev_b32_e32 v30, 60
	v_mov_b32_e32 v31, v10
	s_branch .LBB201_10
.LBB201_9:                              ;   in Loop: Header=BB201_10 Depth=1
	s_or_b64 exec, exec, s[18:19]
	v_add_u32_e32 v31, 2, v31
	v_cmp_le_i32_e64 s[10:11], s33, v31
	s_or_b64 s[12:13], s[10:11], s[12:13]
	v_add_co_u32_e64 v16, s[10:11], 8, v16
	v_add_u32_e32 v28, 16, v28
	v_add_u32_e32 v29, 64, v29
	v_addc_co_u32_e64 v17, s[10:11], 0, v17, s[10:11]
	s_andn2_b64 exec, exec, s[12:13]
	s_cbranch_execz .LBB201_60
.LBB201_10:                             ; =>This Inner Loop Header: Depth=1
	global_load_dword v18, v[16:17], off
	v_mov_b32_e32 v32, 0
	s_waitcnt vmcnt(0) lgkmcnt(0)
	v_mad_i64_i32 v[18:19], s[10:11], v18, s38, v[14:15]
	v_add_co_u32_e64 v18, s[10:11], v18, v12
	v_addc_co_u32_e64 v19, s[10:11], 0, v19, s[10:11]
	global_load_ubyte v33, v[18:19], off
	s_waitcnt vmcnt(0)
	v_cmp_ne_u16_e64 s[10:11], 0, v33
	s_and_saveexec_b64 s[18:19], s[10:11]
	s_cbranch_execz .LBB201_16
; %bb.11:                               ;   in Loop: Header=BB201_10 Depth=1
	v_cmp_ne_u16_e64 s[10:11], s51, v33
	v_bfrev_b32_e32 v32, 1
	s_and_saveexec_b64 s[42:43], s[10:11]
	s_cbranch_execz .LBB201_15
; %bb.12:                               ;   in Loop: Header=BB201_10 Depth=1
	v_and_b32_e32 v20, 0xffff, v33
	v_and_b32_e32 v34, 0x7f, v20
	v_cmp_ne_u32_e64 s[10:11], s52, v34
	v_mov_b32_e32 v32, 0x7f800001
	s_and_saveexec_b64 s[44:45], s[10:11]
	s_cbranch_execz .LBB201_14
; %bb.13:                               ;   in Loop: Header=BB201_10 Depth=1
	v_and_b32_e32 v32, 7, v20
	v_ffbh_u32_e32 v36, v32
	v_min_u32_e32 v38, 32, v36
	v_subrev_u32_e32 v36, 28, v38
	v_lshlrev_b64 v[36:37], v36, v[20:21]
	v_lshrrev_b32_e32 v35, 3, v34
	v_sub_u32_e32 v20, 29, v38
	v_and_b32_e32 v36, 7, v36
	v_cmp_gt_u32_e64 s[10:11], 8, v34
	v_cndmask_b32_e64 v20, v35, v20, s[10:11]
	v_cndmask_b32_e64 v32, v32, v36, s[10:11]
	v_lshlrev_b32_e32 v33, 24, v33
	v_lshlrev_b32_e32 v32, 20, v32
	v_and_b32_e32 v33, 0x80000000, v33
	v_lshl_add_u32 v20, v20, 23, v30
	v_or3_b32 v32, v33, v20, v32
.LBB201_14:                             ;   in Loop: Header=BB201_10 Depth=1
	s_or_b64 exec, exec, s[44:45]
.LBB201_15:                             ;   in Loop: Header=BB201_10 Depth=1
	s_or_b64 exec, exec, s[42:43]
.LBB201_16:                             ;   in Loop: Header=BB201_10 Depth=1
	s_or_b64 exec, exec, s[18:19]
	global_load_ubyte v34, v[18:19], off offset:8
	v_mov_b32_e32 v33, 0
	s_waitcnt vmcnt(0)
	v_cmp_ne_u16_e64 s[10:11], 0, v34
	s_and_saveexec_b64 s[18:19], s[10:11]
	s_cbranch_execz .LBB201_22
; %bb.17:                               ;   in Loop: Header=BB201_10 Depth=1
	v_cmp_ne_u16_e64 s[10:11], s51, v34
	v_bfrev_b32_e32 v33, 1
	s_and_saveexec_b64 s[42:43], s[10:11]
	s_cbranch_execz .LBB201_21
; %bb.18:                               ;   in Loop: Header=BB201_10 Depth=1
	v_and_b32_e32 v20, 0xffff, v34
	v_and_b32_e32 v35, 0x7f, v20
	v_cmp_ne_u32_e64 s[10:11], s52, v35
	v_mov_b32_e32 v33, 0x7f800001
	s_and_saveexec_b64 s[44:45], s[10:11]
	s_cbranch_execz .LBB201_20
; %bb.19:                               ;   in Loop: Header=BB201_10 Depth=1
	v_and_b32_e32 v33, 7, v20
	v_ffbh_u32_e32 v36, v33
	v_min_u32_e32 v39, 32, v36
	v_subrev_u32_e32 v36, 28, v39
	v_lshlrev_b64 v[36:37], v36, v[20:21]
	v_lshrrev_b32_e32 v38, 3, v35
	v_sub_u32_e32 v20, 29, v39
	v_and_b32_e32 v36, 7, v36
	v_cmp_gt_u32_e64 s[10:11], 8, v35
	v_cndmask_b32_e64 v20, v38, v20, s[10:11]
	v_cndmask_b32_e64 v33, v33, v36, s[10:11]
	v_lshlrev_b32_e32 v34, 24, v34
	v_lshlrev_b32_e32 v33, 20, v33
	v_and_b32_e32 v34, 0x80000000, v34
	v_lshl_add_u32 v20, v20, 23, v30
	v_or3_b32 v33, v34, v20, v33
.LBB201_20:                             ;   in Loop: Header=BB201_10 Depth=1
	s_or_b64 exec, exec, s[44:45]
.LBB201_21:                             ;   in Loop: Header=BB201_10 Depth=1
	s_or_b64 exec, exec, s[42:43]
.LBB201_22:                             ;   in Loop: Header=BB201_10 Depth=1
	s_or_b64 exec, exec, s[18:19]
	global_load_ubyte v36, v[18:19], off offset:128
	v_mov_b32_e32 v34, 0
	v_mov_b32_e32 v35, 0
	s_waitcnt vmcnt(0)
	v_cmp_ne_u16_e64 s[10:11], 0, v36
	s_and_saveexec_b64 s[18:19], s[10:11]
	s_cbranch_execz .LBB201_28
; %bb.23:                               ;   in Loop: Header=BB201_10 Depth=1
	v_cmp_ne_u16_e64 s[10:11], s51, v36
	v_bfrev_b32_e32 v35, 1
	s_and_saveexec_b64 s[42:43], s[10:11]
	s_cbranch_execz .LBB201_27
; %bb.24:                               ;   in Loop: Header=BB201_10 Depth=1
	v_and_b32_e32 v20, 0xffff, v36
	v_and_b32_e32 v37, 0x7f, v20
	v_cmp_ne_u32_e64 s[10:11], s52, v37
	v_mov_b32_e32 v35, 0x7f800001
	s_and_saveexec_b64 s[44:45], s[10:11]
	s_cbranch_execz .LBB201_26
; %bb.25:                               ;   in Loop: Header=BB201_10 Depth=1
	v_and_b32_e32 v35, 7, v20
	v_ffbh_u32_e32 v38, v35
	v_min_u32_e32 v41, 32, v38
	v_subrev_u32_e32 v38, 28, v41
	v_lshlrev_b64 v[38:39], v38, v[20:21]
	v_lshrrev_b32_e32 v40, 3, v37
	v_sub_u32_e32 v20, 29, v41
	v_and_b32_e32 v38, 7, v38
	v_cmp_gt_u32_e64 s[10:11], 8, v37
	v_cndmask_b32_e64 v20, v40, v20, s[10:11]
	v_cndmask_b32_e64 v35, v35, v38, s[10:11]
	v_lshlrev_b32_e32 v36, 24, v36
	v_lshlrev_b32_e32 v35, 20, v35
	v_and_b32_e32 v36, 0x80000000, v36
	v_lshl_add_u32 v20, v20, 23, v30
	v_or3_b32 v35, v36, v20, v35
.LBB201_26:                             ;   in Loop: Header=BB201_10 Depth=1
	s_or_b64 exec, exec, s[44:45]
.LBB201_27:                             ;   in Loop: Header=BB201_10 Depth=1
	s_or_b64 exec, exec, s[42:43]
.LBB201_28:                             ;   in Loop: Header=BB201_10 Depth=1
	s_or_b64 exec, exec, s[18:19]
	global_load_ubyte v36, v[18:19], off offset:136
	s_waitcnt vmcnt(0)
	v_cmp_ne_u16_e64 s[10:11], 0, v36
	s_and_saveexec_b64 s[18:19], s[10:11]
	s_cbranch_execz .LBB201_34
; %bb.29:                               ;   in Loop: Header=BB201_10 Depth=1
	v_cmp_ne_u16_e64 s[10:11], s51, v36
	v_bfrev_b32_e32 v34, 1
	s_and_saveexec_b64 s[42:43], s[10:11]
	s_cbranch_execz .LBB201_33
; %bb.30:                               ;   in Loop: Header=BB201_10 Depth=1
	v_and_b32_e32 v20, 0xffff, v36
	v_and_b32_e32 v37, 0x7f, v20
	v_cmp_ne_u32_e64 s[10:11], s52, v37
	v_mov_b32_e32 v34, 0x7f800001
	s_and_saveexec_b64 s[44:45], s[10:11]
	s_cbranch_execz .LBB201_32
; %bb.31:                               ;   in Loop: Header=BB201_10 Depth=1
	v_and_b32_e32 v34, 7, v20
	v_ffbh_u32_e32 v38, v34
	v_min_u32_e32 v41, 32, v38
	v_subrev_u32_e32 v38, 28, v41
	v_lshlrev_b64 v[38:39], v38, v[20:21]
	v_lshrrev_b32_e32 v40, 3, v37
	v_sub_u32_e32 v20, 29, v41
	v_and_b32_e32 v38, 7, v38
	v_cmp_gt_u32_e64 s[10:11], 8, v37
	v_cndmask_b32_e64 v20, v40, v20, s[10:11]
	v_cndmask_b32_e64 v34, v34, v38, s[10:11]
	v_lshlrev_b32_e32 v36, 24, v36
	v_lshlrev_b32_e32 v34, 20, v34
	v_and_b32_e32 v36, 0x80000000, v36
	v_lshl_add_u32 v20, v20, 23, v30
	v_or3_b32 v34, v36, v20, v34
.LBB201_32:                             ;   in Loop: Header=BB201_10 Depth=1
	s_or_b64 exec, exec, s[44:45]
.LBB201_33:                             ;   in Loop: Header=BB201_10 Depth=1
	s_or_b64 exec, exec, s[42:43]
.LBB201_34:                             ;   in Loop: Header=BB201_10 Depth=1
	s_or_b64 exec, exec, s[18:19]
	global_load_ubyte v38, v[18:19], off offset:256
	v_mov_b32_e32 v36, 0
	v_mov_b32_e32 v37, 0
	s_waitcnt vmcnt(0)
	v_cmp_ne_u16_e64 s[10:11], 0, v38
	s_and_saveexec_b64 s[18:19], s[10:11]
	s_cbranch_execz .LBB201_40
; %bb.35:                               ;   in Loop: Header=BB201_10 Depth=1
	v_cmp_ne_u16_e64 s[10:11], s51, v38
	v_bfrev_b32_e32 v37, 1
	s_and_saveexec_b64 s[42:43], s[10:11]
	s_cbranch_execz .LBB201_39
; %bb.36:                               ;   in Loop: Header=BB201_10 Depth=1
	v_and_b32_e32 v20, 0xffff, v38
	v_and_b32_e32 v39, 0x7f, v20
	v_cmp_ne_u32_e64 s[10:11], s52, v39
	v_mov_b32_e32 v37, 0x7f800001
	s_and_saveexec_b64 s[44:45], s[10:11]
	s_cbranch_execz .LBB201_38
; %bb.37:                               ;   in Loop: Header=BB201_10 Depth=1
	v_and_b32_e32 v37, 7, v20
	v_ffbh_u32_e32 v40, v37
	v_min_u32_e32 v43, 32, v40
	v_subrev_u32_e32 v40, 28, v43
	v_lshlrev_b64 v[40:41], v40, v[20:21]
	v_lshrrev_b32_e32 v42, 3, v39
	v_sub_u32_e32 v20, 29, v43
	v_and_b32_e32 v40, 7, v40
	v_cmp_gt_u32_e64 s[10:11], 8, v39
	v_cndmask_b32_e64 v20, v42, v20, s[10:11]
	v_cndmask_b32_e64 v37, v37, v40, s[10:11]
	v_lshlrev_b32_e32 v38, 24, v38
	v_lshlrev_b32_e32 v37, 20, v37
	v_and_b32_e32 v38, 0x80000000, v38
	v_lshl_add_u32 v20, v20, 23, v30
	v_or3_b32 v37, v38, v20, v37
.LBB201_38:                             ;   in Loop: Header=BB201_10 Depth=1
	s_or_b64 exec, exec, s[44:45]
.LBB201_39:                             ;   in Loop: Header=BB201_10 Depth=1
	s_or_b64 exec, exec, s[42:43]
.LBB201_40:                             ;   in Loop: Header=BB201_10 Depth=1
	s_or_b64 exec, exec, s[18:19]
	global_load_ubyte v38, v[18:19], off offset:264
	s_waitcnt vmcnt(0)
	v_cmp_ne_u16_e64 s[10:11], 0, v38
	s_and_saveexec_b64 s[18:19], s[10:11]
	s_cbranch_execz .LBB201_46
; %bb.41:                               ;   in Loop: Header=BB201_10 Depth=1
	v_cmp_ne_u16_e64 s[10:11], s51, v38
	v_bfrev_b32_e32 v36, 1
	s_and_saveexec_b64 s[42:43], s[10:11]
	s_cbranch_execz .LBB201_45
; %bb.42:                               ;   in Loop: Header=BB201_10 Depth=1
	v_and_b32_e32 v20, 0xffff, v38
	v_and_b32_e32 v39, 0x7f, v20
	v_cmp_ne_u32_e64 s[10:11], s52, v39
	v_mov_b32_e32 v36, 0x7f800001
	s_and_saveexec_b64 s[44:45], s[10:11]
	s_cbranch_execz .LBB201_44
; %bb.43:                               ;   in Loop: Header=BB201_10 Depth=1
	v_and_b32_e32 v36, 7, v20
	v_ffbh_u32_e32 v40, v36
	v_min_u32_e32 v43, 32, v40
	v_subrev_u32_e32 v40, 28, v43
	v_lshlrev_b64 v[40:41], v40, v[20:21]
	v_lshrrev_b32_e32 v42, 3, v39
	v_sub_u32_e32 v20, 29, v43
	v_and_b32_e32 v40, 7, v40
	v_cmp_gt_u32_e64 s[10:11], 8, v39
	v_cndmask_b32_e64 v20, v42, v20, s[10:11]
	v_cndmask_b32_e64 v36, v36, v40, s[10:11]
	v_lshlrev_b32_e32 v38, 24, v38
	v_lshlrev_b32_e32 v36, 20, v36
	v_and_b32_e32 v38, 0x80000000, v38
	v_lshl_add_u32 v20, v20, 23, v30
	v_or3_b32 v36, v38, v20, v36
.LBB201_44:                             ;   in Loop: Header=BB201_10 Depth=1
	s_or_b64 exec, exec, s[44:45]
.LBB201_45:                             ;   in Loop: Header=BB201_10 Depth=1
	s_or_b64 exec, exec, s[42:43]
.LBB201_46:                             ;   in Loop: Header=BB201_10 Depth=1
	s_or_b64 exec, exec, s[18:19]
	global_load_ubyte v40, v[18:19], off offset:384
	v_mov_b32_e32 v38, 0
	v_mov_b32_e32 v39, 0
	s_waitcnt vmcnt(0)
	v_cmp_ne_u16_e64 s[10:11], 0, v40
	s_and_saveexec_b64 s[18:19], s[10:11]
	s_cbranch_execz .LBB201_52
; %bb.47:                               ;   in Loop: Header=BB201_10 Depth=1
	v_cmp_ne_u16_e64 s[10:11], s51, v40
	v_bfrev_b32_e32 v39, 1
	s_and_saveexec_b64 s[42:43], s[10:11]
	s_cbranch_execz .LBB201_51
; %bb.48:                               ;   in Loop: Header=BB201_10 Depth=1
	v_and_b32_e32 v20, 0xffff, v40
	v_and_b32_e32 v41, 0x7f, v20
	v_cmp_ne_u32_e64 s[10:11], s52, v41
	v_mov_b32_e32 v39, 0x7f800001
	s_and_saveexec_b64 s[44:45], s[10:11]
	s_cbranch_execz .LBB201_50
; %bb.49:                               ;   in Loop: Header=BB201_10 Depth=1
	v_and_b32_e32 v39, 7, v20
	v_ffbh_u32_e32 v42, v39
	v_min_u32_e32 v45, 32, v42
	v_subrev_u32_e32 v42, 28, v45
	v_lshlrev_b64 v[42:43], v42, v[20:21]
	v_lshrrev_b32_e32 v44, 3, v41
	v_sub_u32_e32 v20, 29, v45
	v_and_b32_e32 v42, 7, v42
	v_cmp_gt_u32_e64 s[10:11], 8, v41
	v_cndmask_b32_e64 v20, v44, v20, s[10:11]
	v_cndmask_b32_e64 v39, v39, v42, s[10:11]
	v_lshlrev_b32_e32 v40, 24, v40
	v_lshlrev_b32_e32 v39, 20, v39
	v_and_b32_e32 v40, 0x80000000, v40
	v_lshl_add_u32 v20, v20, 23, v30
	v_or3_b32 v39, v40, v20, v39
.LBB201_50:                             ;   in Loop: Header=BB201_10 Depth=1
	s_or_b64 exec, exec, s[44:45]
.LBB201_51:                             ;   in Loop: Header=BB201_10 Depth=1
	s_or_b64 exec, exec, s[42:43]
.LBB201_52:                             ;   in Loop: Header=BB201_10 Depth=1
	s_or_b64 exec, exec, s[18:19]
	global_load_ubyte v19, v[18:19], off offset:392
	s_waitcnt vmcnt(0)
	v_cmp_ne_u16_e64 s[10:11], 0, v19
	s_and_saveexec_b64 s[18:19], s[10:11]
	s_cbranch_execz .LBB201_58
; %bb.53:                               ;   in Loop: Header=BB201_10 Depth=1
	v_cmp_ne_u16_e64 s[10:11], s51, v19
	v_bfrev_b32_e32 v38, 1
	s_and_saveexec_b64 s[42:43], s[10:11]
	s_cbranch_execz .LBB201_57
; %bb.54:                               ;   in Loop: Header=BB201_10 Depth=1
	v_and_b32_e32 v18, 0xffff, v19
	v_and_b32_e32 v20, 0x7f, v18
	v_cmp_ne_u32_e64 s[10:11], s52, v20
	v_mov_b32_e32 v38, 0x7f800001
	s_and_saveexec_b64 s[44:45], s[10:11]
	s_cbranch_execz .LBB201_56
; %bb.55:                               ;   in Loop: Header=BB201_10 Depth=1
	v_and_b32_e32 v38, 7, v18
	v_ffbh_u32_e32 v40, v38
	v_min_u32_e32 v43, 32, v40
	v_subrev_u32_e32 v40, 28, v43
	v_lshlrev_b64 v[40:41], v40, v[18:19]
	v_lshrrev_b32_e32 v42, 3, v20
	v_sub_u32_e32 v18, 29, v43
	v_and_b32_e32 v40, 7, v40
	v_cmp_gt_u32_e64 s[10:11], 8, v20
	v_cndmask_b32_e64 v18, v42, v18, s[10:11]
	v_cndmask_b32_e64 v20, v38, v40, s[10:11]
	v_lshlrev_b32_e32 v19, 24, v19
	v_lshlrev_b32_e32 v20, 20, v20
	v_and_b32_e32 v19, 0x80000000, v19
	v_lshl_add_u32 v18, v18, 23, v30
	v_or3_b32 v38, v19, v18, v20
.LBB201_56:                             ;   in Loop: Header=BB201_10 Depth=1
	s_or_b64 exec, exec, s[44:45]
.LBB201_57:                             ;   in Loop: Header=BB201_10 Depth=1
	s_or_b64 exec, exec, s[42:43]
.LBB201_58:                             ;   in Loop: Header=BB201_10 Depth=1
	s_or_b64 exec, exec, s[18:19]
	s_waitcnt lgkmcnt(0)
	v_mul_f32_e32 v33, s49, v33
	v_mul_f32_e32 v32, s49, v32
	;; [unrolled: 1-line block ×4, first 2 shown]
	v_fmac_f32_e32 v33, v2, v32
	v_mul_f32_e32 v34, s49, v34
	v_fmac_f32_e32 v33, v4, v35
	v_mul_f32_e32 v20, s49, v37
	;; [unrolled: 2-line block ×5, first 2 shown]
	v_fmac_f32_e32 v33, v8, v18
	v_fmac_f32_e32 v33, v9, v36
	ds_bpermute_b32 v18, v24, v33
	s_waitcnt lgkmcnt(0)
	v_add_f32_e32 v18, v33, v18
	ds_bpermute_b32 v19, v26, v18
	s_waitcnt lgkmcnt(0)
	v_add_f32_e32 v18, v18, v19
	ds_bpermute_b32 v19, v27, v18
	s_and_saveexec_b64 s[18:19], vcc
	s_cbranch_execz .LBB201_9
; %bb.59:                               ;   in Loop: Header=BB201_10 Depth=1
	v_add_u32_e32 v20, s50, v28
	v_cvt_f32_i32_e32 v20, v20
	s_waitcnt lgkmcnt(0)
	v_add_f32_e32 v18, v18, v19
	v_cmp_gt_i32_e64 s[10:11], s29, v28
	v_max_f32_e32 v19, v25, v25
	v_mul_f32_e32 v20, s7, v20
	v_cndmask_b32_e64 v20, 0, v20, s[4:5]
	v_fmac_f32_e32 v20, s39, v18
	v_cndmask_b32_e64 v18, 0, v20, s[10:11]
	ds_write_b32 v29, v18
	v_max_f32_e32 v18, v19, v20
	v_cndmask_b32_e64 v25, v25, v18, s[10:11]
	s_branch .LBB201_9
.LBB201_60:
	s_or_b64 exec, exec, s[12:13]
.LBB201_61:
	s_or_b64 exec, exec, s[40:41]
	v_xor_b32_e32 v2, 32, v13
	v_cmp_lt_i32_e32 vcc, v2, v23
	v_cndmask_b32_e32 v2, v13, v2, vcc
	v_lshlrev_b32_e32 v3, 2, v2
	ds_bpermute_b32 v2, v3, v25
	v_xor_b32_e32 v5, 16, v13
	v_max_f32_e32 v4, v25, v25
	v_cmp_lt_i32_e32 vcc, v5, v23
	v_and_b32_e32 v30, 63, v0
	s_waitcnt lgkmcnt(0)
	v_max_f32_e32 v2, v2, v2
	v_max_f32_e32 v2, v4, v2
	v_cndmask_b32_e32 v4, v13, v5, vcc
	v_lshlrev_b32_e32 v6, 2, v4
	ds_bpermute_b32 v4, v6, v2
	v_xor_b32_e32 v5, 8, v13
	v_cmp_lt_i32_e32 vcc, v5, v23
	s_waitcnt lgkmcnt(0)
	v_max_f32_e32 v4, v4, v4
	v_max_f32_e32 v4, v2, v4
	v_cndmask_b32_e32 v2, v13, v5, vcc
	v_lshlrev_b32_e32 v7, 2, v2
	ds_bpermute_b32 v5, v7, v4
	v_cmp_eq_u32_e32 vcc, 0, v30
	v_lshlrev_b32_e32 v2, 2, v22
	s_and_saveexec_b64 s[4:5], vcc
	s_cbranch_execz .LBB201_63
; %bb.62:
	s_waitcnt lgkmcnt(0)
	v_max_f32_e32 v5, v5, v5
	v_max_f32_e32 v4, v4, v4
	;; [unrolled: 1-line block ×3, first 2 shown]
	ds_write_b32 v2, v4 offset:256
.LBB201_63:
	s_or_b64 exec, exec, s[4:5]
	v_cmp_gt_u32_e64 s[4:5], 2, v30
	v_mov_b32_e32 v4, 0xff7fffff
	s_waitcnt lgkmcnt(0)
	v_lshlrev_b32_e32 v5, 2, v30
	s_barrier
	s_and_saveexec_b64 s[10:11], s[4:5]
	s_cbranch_execz .LBB201_65
; %bb.64:
	ds_read_b32 v4, v5 offset:256
.LBB201_65:
	s_or_b64 exec, exec, s[10:11]
	v_xor_b32_e32 v8, 1, v13
	v_cmp_lt_i32_e64 s[10:11], v8, v23
	v_cndmask_b32_e64 v8, v13, v8, s[10:11]
	v_lshlrev_b32_e32 v31, 2, v8
	s_waitcnt lgkmcnt(0)
	ds_bpermute_b32 v8, v31, v4
	v_max_f32_e32 v4, v4, v4
	s_sub_i32 s7, s33, s16
	s_lshl_b32 s7, s7, 3
	s_add_i32 s7, s7, s46
	s_waitcnt lgkmcnt(0)
	v_max_f32_e32 v8, v8, v8
	v_max_f32_e32 v4, v4, v8
	v_lshlrev_b32_e32 v8, 2, v13
	v_and_b32_e32 v8, 0xffffff00, v8
	ds_bpermute_b32 v4, v8, v4
	s_min_i32 s40, s7, s29
	s_sub_i32 s7, s40, s46
	v_cmp_gt_i32_e64 s[10:11], s7, v0
	v_mov_b32_e32 v9, 0
	s_and_saveexec_b64 s[18:19], s[10:11]
	s_cbranch_execz .LBB201_69
; %bb.66:
	v_mov_b32_e32 v9, 0x110
	v_lshl_add_u32 v12, v0, 2, v9
	s_mov_b64 s[38:39], 0
	v_mov_b32_e32 v9, 0
	v_mov_b32_e32 v14, v0
.LBB201_67:                             ; =>This Inner Loop Header: Depth=1
	ds_read_b32 v15, v12
	v_add_u32_e32 v14, 0x80, v14
	v_cmp_le_i32_e64 s[12:13], s7, v14
	s_or_b64 s[38:39], s[12:13], s[38:39]
	s_waitcnt lgkmcnt(0)
	v_sub_f32_e32 v15, v15, v4
	v_mul_f32_e32 v15, 0x3fb8aa3b, v15
	v_exp_f32_e32 v15, v15
	ds_write_b32 v12, v15
	v_add_f32_e32 v9, v9, v15
	v_add_u32_e32 v12, 0x200, v12
	s_andn2_b64 exec, exec, s[38:39]
	s_cbranch_execnz .LBB201_67
; %bb.68:
	s_or_b64 exec, exec, s[38:39]
.LBB201_69:
	s_or_b64 exec, exec, s[18:19]
	ds_bpermute_b32 v3, v3, v9
	s_waitcnt lgkmcnt(0)
	v_add_f32_e32 v3, v9, v3
	ds_bpermute_b32 v6, v6, v3
	s_waitcnt lgkmcnt(0)
	v_add_f32_e32 v3, v3, v6
	ds_bpermute_b32 v6, v7, v3
	v_xor_b32_e32 v7, 4, v13
	v_cmp_lt_i32_e64 s[12:13], v7, v23
	v_cndmask_b32_e64 v7, v13, v7, s[12:13]
	v_lshlrev_b32_e32 v7, 2, v7
	s_waitcnt lgkmcnt(0)
	v_add_f32_e32 v3, v3, v6
	ds_bpermute_b32 v6, v7, v3
	v_xor_b32_e32 v7, 2, v13
	v_cmp_lt_i32_e64 s[12:13], v7, v23
	v_cndmask_b32_e64 v7, v13, v7, s[12:13]
	s_waitcnt lgkmcnt(0)
	v_add_f32_e32 v3, v3, v6
	v_lshlrev_b32_e32 v6, 2, v7
	ds_bpermute_b32 v6, v6, v3
	s_waitcnt lgkmcnt(0)
	v_add_f32_e32 v3, v3, v6
	ds_bpermute_b32 v6, v31, v3
	s_waitcnt lgkmcnt(0)
	v_add_f32_e32 v3, v3, v6
	s_and_saveexec_b64 s[12:13], vcc
	s_cbranch_execz .LBB201_71
; %bb.70:
	ds_write_b32 v2, v3 offset:264
.LBB201_71:
	s_or_b64 exec, exec, s[12:13]
	s_waitcnt lgkmcnt(0)
	s_barrier
	s_and_saveexec_b64 s[12:13], s[4:5]
	s_cbranch_execz .LBB201_73
; %bb.72:
	ds_read_b32 v3, v5 offset:264
.LBB201_73:
	s_or_b64 exec, exec, s[12:13]
	s_waitcnt lgkmcnt(0)
	ds_bpermute_b32 v2, v31, v3
	s_waitcnt lgkmcnt(0)
	v_add_f32_e32 v2, v3, v2
	ds_bpermute_b32 v5, v8, v2
	s_and_saveexec_b64 s[4:5], s[10:11]
	s_cbranch_execz .LBB201_86
; %bb.74:
	s_waitcnt lgkmcnt(0)
	v_add_f32_e32 v2, 0x358637bd, v5
	v_div_scale_f32 v3, s[10:11], v2, v2, 1.0
	v_rcp_f32_e32 v6, v3
	v_div_scale_f32 v7, vcc, 1.0, v2, 1.0
	s_movk_i32 s10, 0x7f
	v_fma_f32 v8, -v3, v6, 1.0
	v_fmac_f32_e32 v6, v8, v6
	v_mul_f32_e32 v8, v7, v6
	v_fma_f32 v9, -v3, v8, v7
	v_fmac_f32_e32 v8, v9, v6
	v_fma_f32 v3, -v3, v8, v7
	v_div_fmas_f32 v3, v3, v6, v8
	v_div_fixup_f32 v2, v3, v2, 1.0
	v_xad_u32 v3, v0, -1, s40
	v_subrev_u32_e32 v6, s46, v3
	v_cmp_lt_u32_e32 vcc, s10, v6
	s_mov_b64 s[12:13], -1
	v_mov_b32_e32 v3, v0
	s_and_saveexec_b64 s[10:11], vcc
	s_cbranch_execz .LBB201_83
; %bb.75:
	v_lshrrev_b32_e32 v6, 7, v6
	v_add_u32_e32 v8, -1, v6
	v_lshrrev_b32_e32 v7, 1, v8
	v_mov_b32_e32 v3, v2
	v_add_u32_e32 v7, 1, v7
	v_cmp_lt_u32_e32 vcc, 13, v8
	v_mov_b32_e32 v12, 0
	s_and_saveexec_b64 s[12:13], vcc
	s_cbranch_execz .LBB201_79
; %bb.76:
	v_mov_b32_e32 v9, 0x110
	v_and_b32_e32 v8, -8, v7
	v_lshl_add_u32 v9, v0, 2, v9
	s_mov_b32 s38, 0
	s_mov_b64 s[18:19], 0
.LBB201_77:                             ; =>This Inner Loop Header: Depth=1
	ds_read2st64_b32 v[12:13], v9 offset1:2
	ds_read2st64_b32 v[14:15], v9 offset0:4 offset1:6
	ds_read2st64_b32 v[16:17], v9 offset0:8 offset1:10
	;; [unrolled: 1-line block ×3, first 2 shown]
	v_add_u32_e32 v8, -8, v8
	s_waitcnt lgkmcnt(3)
	v_pk_mul_f32 v[12:13], v[2:3], v[12:13]
	s_waitcnt lgkmcnt(2)
	v_pk_mul_f32 v[14:15], v[2:3], v[14:15]
	ds_write2st64_b32 v9, v12, v13 offset1:2
	ds_write2st64_b32 v9, v14, v15 offset0:4 offset1:6
	ds_read2st64_b32 v[14:15], v9 offset0:16 offset1:18
	s_waitcnt lgkmcnt(4)
	v_pk_mul_f32 v[12:13], v[2:3], v[16:17]
	ds_write2st64_b32 v9, v12, v13 offset0:8 offset1:10
	s_waitcnt lgkmcnt(4)
	v_pk_mul_f32 v[12:13], v[2:3], v[18:19]
	ds_write2st64_b32 v9, v12, v13 offset0:12 offset1:14
	ds_read2st64_b32 v[12:13], v9 offset0:20 offset1:22
	s_waitcnt lgkmcnt(3)
	v_pk_mul_f32 v[14:15], v[2:3], v[14:15]
	ds_read2st64_b32 v[16:17], v9 offset0:24 offset1:26
	ds_write2st64_b32 v9, v14, v15 offset0:16 offset1:18
	ds_read2st64_b32 v[14:15], v9 offset0:28 offset1:30
	s_waitcnt lgkmcnt(3)
	v_pk_mul_f32 v[12:13], v[2:3], v[12:13]
	ds_write2st64_b32 v9, v12, v13 offset0:20 offset1:22
	s_waitcnt lgkmcnt(3)
	v_pk_mul_f32 v[12:13], v[2:3], v[16:17]
	ds_write2st64_b32 v9, v12, v13 offset0:24 offset1:26
	s_waitcnt lgkmcnt(2)
	v_pk_mul_f32 v[12:13], v[2:3], v[14:15]
	s_add_i32 s38, s38, 16
	v_cmp_eq_u32_e32 vcc, 0, v8
	ds_write2st64_b32 v9, v12, v13 offset0:28 offset1:30
	v_add_u32_e32 v9, 0x2000, v9
	s_or_b64 s[18:19], vcc, s[18:19]
	v_mov_b32_e32 v12, s38
	s_andn2_b64 exec, exec, s[18:19]
	s_cbranch_execnz .LBB201_77
; %bb.78:
	s_or_b64 exec, exec, s[18:19]
.LBB201_79:
	s_or_b64 exec, exec, s[12:13]
	v_and_b32_e32 v7, 7, v7
	v_cmp_ne_u32_e32 vcc, 0, v7
	s_and_saveexec_b64 s[12:13], vcc
	s_cbranch_execz .LBB201_82
; %bb.80:
	v_lshlrev_b32_e32 v8, 9, v12
	s_movk_i32 s18, 0x110
	v_add3_u32 v8, v8, v21, s18
	s_mov_b64 s[18:19], 0
.LBB201_81:                             ; =>This Inner Loop Header: Depth=1
	ds_read2st64_b32 v[12:13], v8 offset1:2
	v_add_u32_e32 v7, -1, v7
	v_cmp_eq_u32_e32 vcc, 0, v7
	s_or_b64 s[18:19], vcc, s[18:19]
	s_waitcnt lgkmcnt(0)
	v_pk_mul_f32 v[12:13], v[2:3], v[12:13]
	ds_write2st64_b32 v8, v12, v13 offset1:2
	v_add_u32_e32 v8, 0x400, v8
	s_andn2_b64 exec, exec, s[18:19]
	s_cbranch_execnz .LBB201_81
.LBB201_82:
	s_or_b64 exec, exec, s[12:13]
	v_add_u32_e32 v6, 1, v6
	v_and_b32_e32 v7, 0x3fffffe, v6
	v_cmp_ne_u32_e32 vcc, v6, v7
	v_lshl_add_u32 v3, v7, 7, v0
	s_orn2_b64 s[12:13], vcc, exec
.LBB201_83:
	s_or_b64 exec, exec, s[10:11]
	s_and_b64 exec, exec, s[12:13]
	s_cbranch_execz .LBB201_86
; %bb.84:
	v_mov_b32_e32 v6, 0x110
	v_lshl_add_u32 v6, v3, 2, v6
	s_mov_b64 s[10:11], 0
.LBB201_85:                             ; =>This Inner Loop Header: Depth=1
	ds_read_b32 v7, v6
	v_add_u32_e32 v3, 0x80, v3
	v_cmp_le_i32_e32 vcc, s7, v3
	s_or_b64 s[10:11], vcc, s[10:11]
	s_waitcnt lgkmcnt(0)
	v_mul_f32_e32 v7, v2, v7
	ds_write_b32 v6, v7
	v_add_u32_e32 v6, 0x200, v6
	s_andn2_b64 exec, exec, s[10:11]
	s_cbranch_execnz .LBB201_85
.LBB201_86:
	s_or_b64 exec, exec, s[4:5]
	s_mul_i32 s4, s25, s28
	v_cmp_eq_u32_e32 vcc, 0, v0
	s_mul_i32 s4, s4, s9
	s_waitcnt lgkmcnt(0)
	s_barrier
	s_and_saveexec_b64 s[10:11], vcc
	s_cbranch_execz .LBB201_88
; %bb.87:
	s_ashr_i32 s5, s4, 31
	s_lshl_b64 s[12:13], s[4:5], 2
	s_add_u32 s5, s22, s12
	s_mul_i32 s6, s25, s6
	s_addc_u32 s9, s23, s13
	s_ashr_i32 s7, s6, 31
	s_lshl_b64 s[6:7], s[6:7], 2
	s_add_u32 s5, s5, s6
	s_addc_u32 s19, s9, s7
	s_ashr_i32 s9, s8, 31
	s_lshl_b64 s[8:9], s[8:9], 2
	s_add_u32 s18, s5, s8
	s_addc_u32 s19, s19, s9
	s_add_u32 s5, s20, s12
	s_addc_u32 s12, s21, s13
	;; [unrolled: 2-line block ×3, first 2 shown]
	s_add_u32 s6, s5, s8
	v_mov_b32_e32 v2, 0
	s_addc_u32 s7, s7, s9
	global_store_dword v2, v4, s[18:19]
	global_store_dword v2, v5, s[6:7]
.LBB201_88:
	s_or_b64 exec, exec, s[10:11]
	s_mov_b32 s8, 0
	v_mov_b32_e32 v13, 0
	v_and_b32_e32 v32, 1, v0
	v_mov_b32_e32 v12, 0
	s_and_saveexec_b64 s[6:7], s[2:3]
	s_cbranch_execz .LBB201_144
; %bb.89:
	s_ashr_i32 s2, s48, 31
	s_add_u32 s3, s36, s48
	v_and_b32_e32 v3, 0xfc, v21
	v_and_b32_e32 v2, 4, v21
	s_load_dword s10, s[14:15], 0x0
	s_addc_u32 s2, s37, s2
	v_add_co_u32_e32 v8, vcc, s3, v3
	v_lshl_add_u32 v3, v22, 3, s46
	s_add_i32 s47, s47, -1
	v_mov_b32_e32 v4, s2
	v_add3_u32 v33, v3, v2, 3
	v_lshlrev_b32_e32 v2, 4, v32
	s_lshl_b64 s[2:3], s[34:35], 2
	v_lshl_or_b32 v2, v22, 5, v2
	s_add_u32 s2, s30, s2
	v_addc_co_u32_e32 v9, vcc, 0, v4, vcc
	v_add_u32_e32 v34, 0x110, v2
	v_lshlrev_b64 v[2:3], 2, v[10:11]
	s_addc_u32 s3, s31, s3
	v_mov_b32_e32 v4, s3
	v_add_co_u32_e32 v14, vcc, s2, v2
	s_mov_b32 s5, s17
	s_waitcnt lgkmcnt(0)
	s_mov_b32 s11, s10
	v_mov_b32_e32 v7, 0
	v_addc_co_u32_e32 v15, vcc, v4, v3, vcc
	s_mov_b64 s[12:13], 0
	s_movk_i32 s17, 0x80
	s_movk_i32 s28, 0x7f
	s_brev_b32 s9, 1
	s_mov_b32 s15, 0x7f800001
	s_mov_b32 s30, 0xffffff
	v_bfrev_b32_e32 v11, 60
	v_mov_b32_e32 v35, 7
	v_mov_b32_e32 v36, 24
	v_mov_b32_e32 v13, 0
	v_mov_b32_e32 v12, 0
	s_branch .LBB201_91
.LBB201_90:                             ;   in Loop: Header=BB201_91 Depth=1
	s_or_b64 exec, exec, s[2:3]
	s_waitcnt lgkmcnt(0)
	v_mul_f32_e32 v6, v3, v17
	v_mul_f32_e32 v3, v3, v21
	v_fmac_f32_e32 v6, v2, v16
	v_fmac_f32_e32 v3, v2, v20
	v_add_u32_e32 v10, 2, v10
	v_fmac_f32_e32 v6, v4, v18
	v_fmac_f32_e32 v3, v4, v22
	v_cmp_le_i32_e32 vcc, s33, v10
	v_fmac_f32_e32 v6, v5, v19
	v_fmac_f32_e32 v3, v5, v23
	s_or_b64 s[12:13], vcc, s[12:13]
	v_add_co_u32_e32 v14, vcc, 8, v14
	v_add_f32_e32 v12, v12, v6
	v_add_f32_e32 v13, v13, v3
	v_add_u32_e32 v33, 16, v33
	v_add_u32_e32 v34, 64, v34
	v_addc_co_u32_e32 v15, vcc, 0, v15, vcc
	s_andn2_b64 exec, exec, s[12:13]
	s_cbranch_execz .LBB201_143
.LBB201_91:                             ; =>This Inner Loop Header: Depth=1
	global_load_dword v2, v[14:15], off
	v_pk_mov_b32 v[22:23], 0, 0
	v_pk_mov_b32 v[18:19], v[22:23], v[22:23] op_sel:[0,1]
	s_waitcnt vmcnt(0)
	v_mad_i64_i32 v[20:21], s[2:3], v2, s5, v[8:9]
	global_load_dword v16, v[20:21], off
	ds_read_b128 v[2:5], v34
	s_waitcnt vmcnt(0)
	v_cmp_ne_u16_sdwa s[18:19], v16, v7 src0_sel:BYTE_0 src1_sel:DWORD
	s_and_saveexec_b64 s[2:3], s[18:19]
	s_cbranch_execz .LBB201_97
; %bb.92:                               ;   in Loop: Header=BB201_91 Depth=1
	v_bfrev_b32_e32 v18, 1
	v_cmp_ne_u16_sdwa s[20:21], v16, s17 src0_sel:BYTE_0 src1_sel:DWORD
	v_mov_b32_e32 v19, 0
	s_and_saveexec_b64 s[18:19], s[20:21]
	s_cbranch_execz .LBB201_96
; %bb.93:                               ;   in Loop: Header=BB201_91 Depth=1
	v_and_b32_e32 v6, 0x7f, v16
	v_mov_b32_e32 v18, 0x7f800001
	v_cmp_ne_u32_e32 vcc, s28, v6
	v_mov_b32_e32 v19, 0
	s_and_saveexec_b64 s[20:21], vcc
	s_cbranch_execz .LBB201_95
; %bb.94:                               ;   in Loop: Header=BB201_91 Depth=1
	v_and_b32_e32 v17, 7, v16
	v_ffbh_u32_e32 v18, v17
	v_min_u32_e32 v25, 32, v18
	v_subrev_u32_e32 v18, 28, v25
	v_lshlrev_b64 v[18:19], v18, v[16:17]
	v_lshrrev_b32_e32 v24, 3, v6
	v_sub_u32_e32 v19, 29, v25
	v_and_b32_e32 v18, 7, v18
	v_cmp_gt_u32_e32 vcc, 8, v6
	v_cndmask_b32_e32 v6, v24, v19, vcc
	v_cndmask_b32_e32 v17, v17, v18, vcc
	v_lshlrev_b32_e32 v17, 20, v17
	v_and_b32_sdwa v18, sext(v16), s9 dst_sel:DWORD dst_unused:UNUSED_PAD src0_sel:BYTE_0 src1_sel:DWORD
	v_lshl_add_u32 v6, v6, 23, v11
	v_or3_b32 v6, v18, v6, v17
	v_pk_mov_b32 v[18:19], v[6:7], v[6:7] op_sel:[0,1]
.LBB201_95:                             ;   in Loop: Header=BB201_91 Depth=1
	s_or_b64 exec, exec, s[20:21]
.LBB201_96:                             ;   in Loop: Header=BB201_91 Depth=1
	s_or_b64 exec, exec, s[18:19]
.LBB201_97:                             ;   in Loop: Header=BB201_91 Depth=1
	s_or_b64 exec, exec, s[2:3]
	v_cmp_ne_u16_sdwa s[18:19], v16, v7 src0_sel:BYTE_1 src1_sel:DWORD
	s_and_saveexec_b64 s[2:3], s[18:19]
	s_cbranch_execz .LBB201_103
; %bb.98:                               ;   in Loop: Header=BB201_91 Depth=1
	v_cmp_ne_u16_sdwa s[20:21], v16, s17 src0_sel:BYTE_1 src1_sel:DWORD
	v_pk_mov_b32 v[22:23], s[8:9], s[8:9] op_sel:[0,1]
	s_and_saveexec_b64 s[18:19], s[20:21]
	s_cbranch_execz .LBB201_102
; %bb.99:                               ;   in Loop: Header=BB201_91 Depth=1
	v_and_b32_sdwa v17, v16, s28 dst_sel:DWORD dst_unused:UNUSED_PAD src0_sel:BYTE_1 src1_sel:DWORD
	s_mov_b32 s14, s8
	v_cmp_ne_u32_e32 vcc, s28, v17
	v_pk_mov_b32 v[22:23], s[14:15], s[14:15] op_sel:[0,1]
	s_and_saveexec_b64 s[20:21], vcc
	s_cbranch_execz .LBB201_101
; %bb.100:                              ;   in Loop: Header=BB201_91 Depth=1
	v_and_b32_sdwa v6, v16, v35 dst_sel:DWORD dst_unused:UNUSED_PAD src0_sel:BYTE_1 src1_sel:DWORD
	v_ffbh_u32_e32 v22, v6
	v_min_u32_e32 v25, 32, v22
	v_subrev_u32_e32 v22, 28, v25
	v_lshlrev_b64 v[22:23], v22, v[6:7]
	v_lshrrev_b32_e32 v24, 3, v17
	v_sub_u32_e32 v23, 29, v25
	v_cmp_gt_u32_e32 vcc, 8, v17
	v_and_b32_e32 v22, 7, v22
	v_cndmask_b32_e32 v17, v24, v23, vcc
	v_cndmask_b32_e32 v6, v6, v22, vcc
	v_lshlrev_b32_e32 v22, 16, v16
	v_lshl_add_u32 v17, v17, 23, v11
	v_and_or_b32 v17, v22, s9, v17
	v_lshlrev_b32_e32 v6, 20, v6
	v_or_b32_e32 v23, v17, v6
	v_mov_b32_e32 v22, v7
.LBB201_101:                            ;   in Loop: Header=BB201_91 Depth=1
	s_or_b64 exec, exec, s[20:21]
.LBB201_102:                            ;   in Loop: Header=BB201_91 Depth=1
	s_or_b64 exec, exec, s[18:19]
.LBB201_103:                            ;   in Loop: Header=BB201_91 Depth=1
	s_or_b64 exec, exec, s[2:3]
	v_lshrrev_b32_e32 v6, 16, v16
	v_pk_mov_b32 v[26:27], 0, 0
	v_cmp_ne_u16_sdwa s[18:19], v6, v7 src0_sel:BYTE_0 src1_sel:DWORD
	v_pk_mov_b32 v[24:25], v[26:27], v[26:27] op_sel:[0,1]
	s_and_saveexec_b64 s[2:3], s[18:19]
	s_cbranch_execz .LBB201_109
; %bb.104:                              ;   in Loop: Header=BB201_91 Depth=1
	v_bfrev_b32_e32 v24, 1
	v_cmp_ne_u16_sdwa s[20:21], v6, s17 src0_sel:BYTE_0 src1_sel:DWORD
	v_mov_b32_e32 v25, 0
	s_and_saveexec_b64 s[18:19], s[20:21]
	s_cbranch_execz .LBB201_108
; %bb.105:                              ;   in Loop: Header=BB201_91 Depth=1
	v_bfe_u32 v17, v16, 16, 7
	v_mov_b32_e32 v24, 0x7f800001
	v_cmp_ne_u32_e32 vcc, s28, v17
	v_mov_b32_e32 v25, 0
	s_and_saveexec_b64 s[20:21], vcc
	s_cbranch_execz .LBB201_107
; %bb.106:                              ;   in Loop: Header=BB201_91 Depth=1
	v_and_b32_e32 v28, 7, v6
	v_ffbh_u32_e32 v24, v28
	v_min_u32_e32 v37, 32, v24
	v_subrev_u32_e32 v24, 28, v37
	v_lshlrev_b64 v[24:25], v24, v[6:7]
	v_lshrrev_b32_e32 v29, 3, v17
	v_sub_u32_e32 v25, 29, v37
	v_and_b32_e32 v24, 7, v24
	v_cmp_gt_u32_e32 vcc, 8, v17
	v_cndmask_b32_e32 v17, v29, v25, vcc
	v_cndmask_b32_e32 v24, v28, v24, vcc
	v_lshlrev_b32_e32 v24, 20, v24
	v_and_b32_sdwa v6, sext(v6), s9 dst_sel:DWORD dst_unused:UNUSED_PAD src0_sel:BYTE_0 src1_sel:DWORD
	v_lshl_add_u32 v17, v17, 23, v11
	v_or3_b32 v6, v6, v17, v24
	v_pk_mov_b32 v[24:25], v[6:7], v[6:7] op_sel:[0,1]
.LBB201_107:                            ;   in Loop: Header=BB201_91 Depth=1
	s_or_b64 exec, exec, s[20:21]
.LBB201_108:                            ;   in Loop: Header=BB201_91 Depth=1
	s_or_b64 exec, exec, s[18:19]
.LBB201_109:                            ;   in Loop: Header=BB201_91 Depth=1
	s_or_b64 exec, exec, s[2:3]
	v_cmp_lt_u32_e32 vcc, s30, v16
	s_and_saveexec_b64 s[2:3], vcc
	s_cbranch_execz .LBB201_115
; %bb.110:                              ;   in Loop: Header=BB201_91 Depth=1
	v_cmp_ne_u32_sdwa s[20:21], v16, s17 src0_sel:BYTE_3 src1_sel:DWORD
	v_pk_mov_b32 v[26:27], s[8:9], s[8:9] op_sel:[0,1]
	s_and_saveexec_b64 s[18:19], s[20:21]
	s_cbranch_execz .LBB201_114
; %bb.111:                              ;   in Loop: Header=BB201_91 Depth=1
	v_bfe_u32 v17, v16, 24, 7
	s_mov_b32 s14, s8
	v_cmp_ne_u32_e32 vcc, s28, v17
	v_pk_mov_b32 v[26:27], s[14:15], s[14:15] op_sel:[0,1]
	s_and_saveexec_b64 s[20:21], vcc
	s_cbranch_execz .LBB201_113
; %bb.112:                              ;   in Loop: Header=BB201_91 Depth=1
	v_and_b32_sdwa v6, v16, v35 dst_sel:DWORD dst_unused:UNUSED_PAD src0_sel:BYTE_3 src1_sel:DWORD
	v_ffbh_u32_e32 v26, v6
	v_min_u32_e32 v29, 32, v26
	v_subrev_u32_e32 v26, 28, v29
	v_lshlrev_b64 v[26:27], v26, v[6:7]
	v_lshrrev_b32_e32 v28, 3, v17
	v_sub_u32_e32 v27, 29, v29
	v_cmp_gt_u32_e32 vcc, 8, v17
	v_and_b32_e32 v26, 7, v26
	v_cndmask_b32_e32 v17, v28, v27, vcc
	v_cndmask_b32_e32 v6, v6, v26, vcc
	v_lshlrev_b32_sdwa v16, v36, v16 dst_sel:DWORD dst_unused:UNUSED_PAD src0_sel:DWORD src1_sel:BYTE_3
	v_lshl_add_u32 v17, v17, 23, v11
	v_and_or_b32 v16, v16, s9, v17
	v_lshlrev_b32_e32 v6, 20, v6
	v_or_b32_e32 v27, v16, v6
	v_mov_b32_e32 v26, v7
.LBB201_113:                            ;   in Loop: Header=BB201_91 Depth=1
	s_or_b64 exec, exec, s[20:21]
.LBB201_114:                            ;   in Loop: Header=BB201_91 Depth=1
	s_or_b64 exec, exec, s[18:19]
.LBB201_115:                            ;   in Loop: Header=BB201_91 Depth=1
	s_or_b64 exec, exec, s[2:3]
	v_or_b32_e32 v17, v23, v19
	v_or_b32_e32 v16, v22, v18
	;; [unrolled: 1-line block ×4, first 2 shown]
	v_add_u32_e32 v37, -3, v33
	v_cmp_eq_u32_e32 vcc, s47, v10
	v_pk_mul_f32 v[16:17], s[10:11], v[16:17]
	v_pk_mul_f32 v[18:19], s[10:11], v[18:19]
	v_add_u32_e32 v39, -2, v33
	v_add_u32_e32 v38, -1, v33
	s_and_saveexec_b64 s[18:19], vcc
; %bb.116:                              ;   in Loop: Header=BB201_91 Depth=1
	v_cmp_gt_i32_e64 s[2:3], s29, v37
	v_cndmask_b32_e64 v16, 0, v16, s[2:3]
	v_cmp_gt_i32_e64 s[2:3], s29, v39
	v_cndmask_b32_e64 v17, 0, v17, s[2:3]
	;; [unrolled: 2-line block ×4, first 2 shown]
; %bb.117:                              ;   in Loop: Header=BB201_91 Depth=1
	s_or_b64 exec, exec, s[18:19]
	global_load_dword v20, v[20:21], off offset:256
	v_pk_mov_b32 v[24:25], 0, 0
	v_pk_mov_b32 v[22:23], v[24:25], v[24:25] op_sel:[0,1]
	s_waitcnt vmcnt(0)
	v_cmp_ne_u16_sdwa s[2:3], v20, v7 src0_sel:BYTE_0 src1_sel:DWORD
	s_and_saveexec_b64 s[18:19], s[2:3]
	s_cbranch_execz .LBB201_123
; %bb.118:                              ;   in Loop: Header=BB201_91 Depth=1
	v_bfrev_b32_e32 v22, 1
	v_cmp_ne_u16_sdwa s[2:3], v20, s17 src0_sel:BYTE_0 src1_sel:DWORD
	v_mov_b32_e32 v23, 0
	s_and_saveexec_b64 s[20:21], s[2:3]
	s_cbranch_execz .LBB201_122
; %bb.119:                              ;   in Loop: Header=BB201_91 Depth=1
	v_and_b32_e32 v6, 0x7f, v20
	v_mov_b32_e32 v22, 0x7f800001
	v_cmp_ne_u32_e64 s[2:3], s28, v6
	v_mov_b32_e32 v23, 0
	s_and_saveexec_b64 s[22:23], s[2:3]
	s_cbranch_execz .LBB201_121
; %bb.120:                              ;   in Loop: Header=BB201_91 Depth=1
	v_and_b32_e32 v21, 7, v20
	v_ffbh_u32_e32 v22, v21
	v_min_u32_e32 v27, 32, v22
	v_subrev_u32_e32 v22, 28, v27
	v_lshlrev_b64 v[22:23], v22, v[20:21]
	v_lshrrev_b32_e32 v26, 3, v6
	v_sub_u32_e32 v23, 29, v27
	v_and_b32_e32 v22, 7, v22
	v_cmp_gt_u32_e64 s[2:3], 8, v6
	v_cndmask_b32_e64 v6, v26, v23, s[2:3]
	v_cndmask_b32_e64 v21, v21, v22, s[2:3]
	v_lshlrev_b32_e32 v21, 20, v21
	v_and_b32_sdwa v22, sext(v20), s9 dst_sel:DWORD dst_unused:UNUSED_PAD src0_sel:BYTE_0 src1_sel:DWORD
	v_lshl_add_u32 v6, v6, 23, v11
	v_or3_b32 v6, v22, v6, v21
	v_pk_mov_b32 v[22:23], v[6:7], v[6:7] op_sel:[0,1]
.LBB201_121:                            ;   in Loop: Header=BB201_91 Depth=1
	s_or_b64 exec, exec, s[22:23]
.LBB201_122:                            ;   in Loop: Header=BB201_91 Depth=1
	s_or_b64 exec, exec, s[20:21]
.LBB201_123:                            ;   in Loop: Header=BB201_91 Depth=1
	s_or_b64 exec, exec, s[18:19]
	v_cmp_ne_u16_sdwa s[2:3], v20, v7 src0_sel:BYTE_1 src1_sel:DWORD
	s_and_saveexec_b64 s[18:19], s[2:3]
	s_cbranch_execz .LBB201_129
; %bb.124:                              ;   in Loop: Header=BB201_91 Depth=1
	v_cmp_ne_u16_sdwa s[2:3], v20, s17 src0_sel:BYTE_1 src1_sel:DWORD
	v_pk_mov_b32 v[24:25], s[8:9], s[8:9] op_sel:[0,1]
	s_and_saveexec_b64 s[20:21], s[2:3]
	s_cbranch_execz .LBB201_128
; %bb.125:                              ;   in Loop: Header=BB201_91 Depth=1
	v_and_b32_sdwa v21, v20, s28 dst_sel:DWORD dst_unused:UNUSED_PAD src0_sel:BYTE_1 src1_sel:DWORD
	s_mov_b32 s14, s8
	v_cmp_ne_u32_e64 s[2:3], s28, v21
	v_pk_mov_b32 v[24:25], s[14:15], s[14:15] op_sel:[0,1]
	s_and_saveexec_b64 s[22:23], s[2:3]
	s_cbranch_execz .LBB201_127
; %bb.126:                              ;   in Loop: Header=BB201_91 Depth=1
	v_and_b32_sdwa v6, v20, v35 dst_sel:DWORD dst_unused:UNUSED_PAD src0_sel:BYTE_1 src1_sel:DWORD
	v_ffbh_u32_e32 v24, v6
	v_min_u32_e32 v27, 32, v24
	v_subrev_u32_e32 v24, 28, v27
	v_lshlrev_b64 v[24:25], v24, v[6:7]
	v_lshrrev_b32_e32 v26, 3, v21
	v_sub_u32_e32 v25, 29, v27
	v_cmp_gt_u32_e64 s[2:3], 8, v21
	v_and_b32_e32 v24, 7, v24
	v_cndmask_b32_e64 v21, v26, v25, s[2:3]
	v_cndmask_b32_e64 v6, v6, v24, s[2:3]
	v_lshlrev_b32_e32 v24, 16, v20
	v_lshl_add_u32 v21, v21, 23, v11
	v_and_or_b32 v21, v24, s9, v21
	v_lshlrev_b32_e32 v6, 20, v6
	v_or_b32_e32 v25, v21, v6
	v_mov_b32_e32 v24, v7
.LBB201_127:                            ;   in Loop: Header=BB201_91 Depth=1
	s_or_b64 exec, exec, s[22:23]
.LBB201_128:                            ;   in Loop: Header=BB201_91 Depth=1
	s_or_b64 exec, exec, s[20:21]
.LBB201_129:                            ;   in Loop: Header=BB201_91 Depth=1
	s_or_b64 exec, exec, s[18:19]
	v_lshrrev_b32_e32 v6, 16, v20
	v_pk_mov_b32 v[28:29], 0, 0
	v_cmp_ne_u16_sdwa s[2:3], v6, v7 src0_sel:BYTE_0 src1_sel:DWORD
	v_pk_mov_b32 v[26:27], v[28:29], v[28:29] op_sel:[0,1]
	s_and_saveexec_b64 s[18:19], s[2:3]
	s_cbranch_execz .LBB201_135
; %bb.130:                              ;   in Loop: Header=BB201_91 Depth=1
	v_bfrev_b32_e32 v26, 1
	v_cmp_ne_u16_sdwa s[2:3], v6, s17 src0_sel:BYTE_0 src1_sel:DWORD
	v_mov_b32_e32 v27, 0
	s_and_saveexec_b64 s[20:21], s[2:3]
	s_cbranch_execz .LBB201_134
; %bb.131:                              ;   in Loop: Header=BB201_91 Depth=1
	v_bfe_u32 v21, v20, 16, 7
	v_mov_b32_e32 v26, 0x7f800001
	v_cmp_ne_u32_e64 s[2:3], s28, v21
	v_mov_b32_e32 v27, 0
	s_and_saveexec_b64 s[22:23], s[2:3]
	s_cbranch_execz .LBB201_133
; %bb.132:                              ;   in Loop: Header=BB201_91 Depth=1
	v_and_b32_e32 v40, 7, v6
	v_ffbh_u32_e32 v26, v40
	v_min_u32_e32 v42, 32, v26
	v_subrev_u32_e32 v26, 28, v42
	v_lshlrev_b64 v[26:27], v26, v[6:7]
	v_lshrrev_b32_e32 v41, 3, v21
	v_sub_u32_e32 v27, 29, v42
	v_and_b32_e32 v26, 7, v26
	v_cmp_gt_u32_e64 s[2:3], 8, v21
	v_cndmask_b32_e64 v21, v41, v27, s[2:3]
	v_cndmask_b32_e64 v26, v40, v26, s[2:3]
	v_lshlrev_b32_e32 v26, 20, v26
	v_and_b32_sdwa v6, sext(v6), s9 dst_sel:DWORD dst_unused:UNUSED_PAD src0_sel:BYTE_0 src1_sel:DWORD
	v_lshl_add_u32 v21, v21, 23, v11
	v_or3_b32 v6, v6, v21, v26
	v_pk_mov_b32 v[26:27], v[6:7], v[6:7] op_sel:[0,1]
.LBB201_133:                            ;   in Loop: Header=BB201_91 Depth=1
	s_or_b64 exec, exec, s[22:23]
.LBB201_134:                            ;   in Loop: Header=BB201_91 Depth=1
	s_or_b64 exec, exec, s[20:21]
.LBB201_135:                            ;   in Loop: Header=BB201_91 Depth=1
	s_or_b64 exec, exec, s[18:19]
	v_cmp_lt_u32_e64 s[2:3], s30, v20
	s_and_saveexec_b64 s[18:19], s[2:3]
	s_cbranch_execz .LBB201_141
; %bb.136:                              ;   in Loop: Header=BB201_91 Depth=1
	v_cmp_ne_u32_sdwa s[2:3], v20, s17 src0_sel:BYTE_3 src1_sel:DWORD
	v_pk_mov_b32 v[28:29], s[8:9], s[8:9] op_sel:[0,1]
	s_and_saveexec_b64 s[20:21], s[2:3]
	s_cbranch_execz .LBB201_140
; %bb.137:                              ;   in Loop: Header=BB201_91 Depth=1
	v_bfe_u32 v21, v20, 24, 7
	s_mov_b32 s14, s8
	v_cmp_ne_u32_e64 s[2:3], s28, v21
	v_pk_mov_b32 v[28:29], s[14:15], s[14:15] op_sel:[0,1]
	s_and_saveexec_b64 s[22:23], s[2:3]
	s_cbranch_execz .LBB201_139
; %bb.138:                              ;   in Loop: Header=BB201_91 Depth=1
	v_and_b32_sdwa v6, v20, v35 dst_sel:DWORD dst_unused:UNUSED_PAD src0_sel:BYTE_3 src1_sel:DWORD
	v_ffbh_u32_e32 v28, v6
	v_min_u32_e32 v41, 32, v28
	v_subrev_u32_e32 v28, 28, v41
	v_lshlrev_b64 v[28:29], v28, v[6:7]
	v_lshrrev_b32_e32 v40, 3, v21
	v_sub_u32_e32 v29, 29, v41
	v_cmp_gt_u32_e64 s[2:3], 8, v21
	v_and_b32_e32 v28, 7, v28
	v_cndmask_b32_e64 v21, v40, v29, s[2:3]
	v_cndmask_b32_e64 v6, v6, v28, s[2:3]
	v_lshlrev_b32_sdwa v20, v36, v20 dst_sel:DWORD dst_unused:UNUSED_PAD src0_sel:DWORD src1_sel:BYTE_3
	v_lshl_add_u32 v21, v21, 23, v11
	v_and_or_b32 v20, v20, s9, v21
	v_lshlrev_b32_e32 v6, 20, v6
	v_or_b32_e32 v29, v20, v6
	v_mov_b32_e32 v28, v7
.LBB201_139:                            ;   in Loop: Header=BB201_91 Depth=1
	s_or_b64 exec, exec, s[22:23]
.LBB201_140:                            ;   in Loop: Header=BB201_91 Depth=1
	s_or_b64 exec, exec, s[20:21]
.LBB201_141:                            ;   in Loop: Header=BB201_91 Depth=1
	s_or_b64 exec, exec, s[18:19]
	v_or_b32_e32 v21, v25, v23
	v_or_b32_e32 v20, v24, v22
	;; [unrolled: 1-line block ×4, first 2 shown]
	v_pk_mul_f32 v[20:21], s[10:11], v[20:21]
	v_pk_mul_f32 v[22:23], s[10:11], v[22:23]
	s_and_saveexec_b64 s[2:3], vcc
	s_cbranch_execz .LBB201_90
; %bb.142:                              ;   in Loop: Header=BB201_91 Depth=1
	v_cmp_gt_i32_e32 vcc, s29, v37
	v_cndmask_b32_e32 v20, 0, v20, vcc
	v_cmp_gt_i32_e32 vcc, s29, v39
	v_cndmask_b32_e32 v21, 0, v21, vcc
	v_cmp_gt_i32_e32 vcc, s29, v38
	v_cndmask_b32_e32 v22, 0, v22, vcc
	v_cmp_gt_i32_e32 vcc, s29, v33
	v_cndmask_b32_e32 v23, 0, v23, vcc
	s_branch .LBB201_90
.LBB201_143:
	s_or_b64 exec, exec, s[12:13]
.LBB201_144:
	s_or_b64 exec, exec, s[6:7]
	ds_bpermute_b32 v2, v31, v12
	ds_bpermute_b32 v3, v31, v13
	v_and_b32_e32 v4, 0x3c1, v0
	v_cmp_eq_u32_e32 vcc, 64, v4
	s_waitcnt lgkmcnt(0)
	s_barrier
	v_pk_add_f32 v[2:3], v[12:13], v[2:3]
	s_and_saveexec_b64 s[2:3], vcc
	s_cbranch_execz .LBB201_146
; %bb.145:
	v_mov_b32_e32 v5, 0x110
	v_lshl_add_u32 v5, v30, 1, v5
	ds_write2_b32 v5, v2, v3 offset1:32
.LBB201_146:
	s_or_b64 exec, exec, s[2:3]
	s_waitcnt lgkmcnt(0)
	s_barrier
	s_and_saveexec_b64 s[2:3], s[0:1]
	s_cbranch_execz .LBB201_152
; %bb.147:
	v_cmp_eq_u32_e32 vcc, 0, v32
	s_and_saveexec_b64 s[0:1], vcc
	s_cbranch_execz .LBB201_149
; %bb.148:
	v_mov_b32_e32 v5, 0x110
	v_lshl_add_u32 v5, v1, 2, v5
	ds_read_b32 v5, v5
	s_waitcnt lgkmcnt(0)
	v_add_f32_e32 v2, v2, v5
.LBB201_149:
	s_or_b64 exec, exec, s[0:1]
	s_and_saveexec_b64 s[0:1], vcc
	s_cbranch_execz .LBB201_151
; %bb.150:
	v_mov_b32_e32 v5, 0x110
	v_lshl_add_u32 v1, v1, 2, v5
	ds_read_b32 v1, v1 offset:128
	s_waitcnt lgkmcnt(0)
	v_add_f32_e32 v3, v3, v1
.LBB201_151:
	s_or_b64 exec, exec, s[0:1]
.LBB201_152:
	s_or_b64 exec, exec, s[2:3]
	v_cmp_eq_u32_e32 vcc, 0, v4
	s_barrier
	s_and_saveexec_b64 s[0:1], vcc
	s_cbranch_execz .LBB201_154
; %bb.153:
	s_lshl_b32 s0, s4, 6
	s_ashr_i32 s1, s0, 31
	s_lshl_b64 s[0:1], s[0:1], 2
	s_add_u32 s2, s26, s0
	s_mul_i32 s0, s25, s24
	s_addc_u32 s3, s27, s1
	s_ashr_i32 s1, s0, 31
	s_lshl_b64 s[0:1], s[0:1], 2
	s_add_u32 s2, s2, s0
	s_addc_u32 s3, s3, s1
	s_ashr_i32 s17, s16, 31
	s_lshl_b64 s[0:1], s[16:17], 2
	s_add_u32 s0, s2, s0
	s_addc_u32 s1, s3, s1
	v_lshlrev_b32_e32 v0, 1, v0
	global_store_dword v0, v2, s[0:1]
	global_store_dword v0, v3, s[0:1] offset:128
.LBB201_154:
	s_endpgm
	.section	.rodata,"a",@progbits
	.p2align	6, 0x0
	.amdhsa_kernel _ZN4vllm25paged_attention_v2_kernelIfhLi64ELi8ELi128ELNS_18Fp8KVCacheDataTypeE1ELb0ELi512EEEvPfS2_PT_PKS3_PKT0_S9_ifPKiSB_iPKfiiiSD_SD_iiiii
		.amdhsa_group_segment_fixed_size 272
		.amdhsa_private_segment_fixed_size 0
		.amdhsa_kernarg_size 400
		.amdhsa_user_sgpr_count 6
		.amdhsa_user_sgpr_private_segment_buffer 1
		.amdhsa_user_sgpr_dispatch_ptr 0
		.amdhsa_user_sgpr_queue_ptr 0
		.amdhsa_user_sgpr_kernarg_segment_ptr 1
		.amdhsa_user_sgpr_dispatch_id 0
		.amdhsa_user_sgpr_flat_scratch_init 0
		.amdhsa_user_sgpr_kernarg_preload_length 0
		.amdhsa_user_sgpr_kernarg_preload_offset 0
		.amdhsa_user_sgpr_private_segment_size 0
		.amdhsa_uses_dynamic_stack 0
		.amdhsa_system_sgpr_private_segment_wavefront_offset 0
		.amdhsa_system_sgpr_workgroup_id_x 1
		.amdhsa_system_sgpr_workgroup_id_y 1
		.amdhsa_system_sgpr_workgroup_id_z 1
		.amdhsa_system_sgpr_workgroup_info 0
		.amdhsa_system_vgpr_workitem_id 0
		.amdhsa_next_free_vgpr 46
		.amdhsa_next_free_sgpr 53
		.amdhsa_accum_offset 48
		.amdhsa_reserve_vcc 1
		.amdhsa_reserve_flat_scratch 0
		.amdhsa_float_round_mode_32 0
		.amdhsa_float_round_mode_16_64 0
		.amdhsa_float_denorm_mode_32 3
		.amdhsa_float_denorm_mode_16_64 3
		.amdhsa_dx10_clamp 1
		.amdhsa_ieee_mode 1
		.amdhsa_fp16_overflow 0
		.amdhsa_tg_split 0
		.amdhsa_exception_fp_ieee_invalid_op 0
		.amdhsa_exception_fp_denorm_src 0
		.amdhsa_exception_fp_ieee_div_zero 0
		.amdhsa_exception_fp_ieee_overflow 0
		.amdhsa_exception_fp_ieee_underflow 0
		.amdhsa_exception_fp_ieee_inexact 0
		.amdhsa_exception_int_div_zero 0
	.end_amdhsa_kernel
	.section	.text._ZN4vllm25paged_attention_v2_kernelIfhLi64ELi8ELi128ELNS_18Fp8KVCacheDataTypeE1ELb0ELi512EEEvPfS2_PT_PKS3_PKT0_S9_ifPKiSB_iPKfiiiSD_SD_iiiii,"axG",@progbits,_ZN4vllm25paged_attention_v2_kernelIfhLi64ELi8ELi128ELNS_18Fp8KVCacheDataTypeE1ELb0ELi512EEEvPfS2_PT_PKS3_PKT0_S9_ifPKiSB_iPKfiiiSD_SD_iiiii,comdat
.Lfunc_end201:
	.size	_ZN4vllm25paged_attention_v2_kernelIfhLi64ELi8ELi128ELNS_18Fp8KVCacheDataTypeE1ELb0ELi512EEEvPfS2_PT_PKS3_PKT0_S9_ifPKiSB_iPKfiiiSD_SD_iiiii, .Lfunc_end201-_ZN4vllm25paged_attention_v2_kernelIfhLi64ELi8ELi128ELNS_18Fp8KVCacheDataTypeE1ELb0ELi512EEEvPfS2_PT_PKS3_PKT0_S9_ifPKiSB_iPKfiiiSD_SD_iiiii
                                        ; -- End function
	.section	.AMDGPU.csdata,"",@progbits
; Kernel info:
; codeLenInByte = 6556
; NumSgprs: 57
; NumVgprs: 46
; NumAgprs: 0
; TotalNumVgprs: 46
; ScratchSize: 0
; MemoryBound: 0
; FloatMode: 240
; IeeeMode: 1
; LDSByteSize: 272 bytes/workgroup (compile time only)
; SGPRBlocks: 7
; VGPRBlocks: 5
; NumSGPRsForWavesPerEU: 57
; NumVGPRsForWavesPerEU: 46
; AccumOffset: 48
; Occupancy: 8
; WaveLimiterHint : 1
; COMPUTE_PGM_RSRC2:SCRATCH_EN: 0
; COMPUTE_PGM_RSRC2:USER_SGPR: 6
; COMPUTE_PGM_RSRC2:TRAP_HANDLER: 0
; COMPUTE_PGM_RSRC2:TGID_X_EN: 1
; COMPUTE_PGM_RSRC2:TGID_Y_EN: 1
; COMPUTE_PGM_RSRC2:TGID_Z_EN: 1
; COMPUTE_PGM_RSRC2:TIDIG_COMP_CNT: 0
; COMPUTE_PGM_RSRC3_GFX90A:ACCUM_OFFSET: 11
; COMPUTE_PGM_RSRC3_GFX90A:TG_SPLIT: 0
	.section	.text._ZN4vllm25paged_attention_v2_kernelIfhLi80ELi8ELi128ELNS_18Fp8KVCacheDataTypeE1ELb0ELi512EEEvPfS2_PT_PKS3_PKT0_S9_ifPKiSB_iPKfiiiSD_SD_iiiii,"axG",@progbits,_ZN4vllm25paged_attention_v2_kernelIfhLi80ELi8ELi128ELNS_18Fp8KVCacheDataTypeE1ELb0ELi512EEEvPfS2_PT_PKS3_PKT0_S9_ifPKiSB_iPKfiiiSD_SD_iiiii,comdat
	.protected	_ZN4vllm25paged_attention_v2_kernelIfhLi80ELi8ELi128ELNS_18Fp8KVCacheDataTypeE1ELb0ELi512EEEvPfS2_PT_PKS3_PKT0_S9_ifPKiSB_iPKfiiiSD_SD_iiiii ; -- Begin function _ZN4vllm25paged_attention_v2_kernelIfhLi80ELi8ELi128ELNS_18Fp8KVCacheDataTypeE1ELb0ELi512EEEvPfS2_PT_PKS3_PKT0_S9_ifPKiSB_iPKfiiiSD_SD_iiiii
	.globl	_ZN4vllm25paged_attention_v2_kernelIfhLi80ELi8ELi128ELNS_18Fp8KVCacheDataTypeE1ELb0ELi512EEEvPfS2_PT_PKS3_PKT0_S9_ifPKiSB_iPKfiiiSD_SD_iiiii
	.p2align	8
	.type	_ZN4vllm25paged_attention_v2_kernelIfhLi80ELi8ELi128ELNS_18Fp8KVCacheDataTypeE1ELb0ELi512EEEvPfS2_PT_PKS3_PKT0_S9_ifPKiSB_iPKfiiiSD_SD_iiiii,@function
_ZN4vllm25paged_attention_v2_kernelIfhLi80ELi8ELi128ELNS_18Fp8KVCacheDataTypeE1ELb0ELi512EEEvPfS2_PT_PKS3_PKT0_S9_ifPKiSB_iPKfiiiSD_SD_iiiii: ; @_ZN4vllm25paged_attention_v2_kernelIfhLi80ELi8ELi128ELNS_18Fp8KVCacheDataTypeE1ELb0ELi512EEEvPfS2_PT_PKS3_PKT0_S9_ifPKiSB_iPKfiiiSD_SD_iiiii
; %bb.0:
	s_load_dwordx2 s[0:1], s[4:5], 0x40
	s_mov_b32 s28, s7
	s_ashr_i32 s29, s7, 31
	s_lshl_b64 s[2:3], s[28:29], 2
	s_waitcnt lgkmcnt(0)
	s_add_u32 s0, s0, s2
	s_addc_u32 s1, s1, s3
	s_load_dword s33, s[0:1], 0x0
	s_lshl_b32 s29, s8, 9
	s_waitcnt lgkmcnt(0)
	s_cmp_ge_i32 s29, s33
	s_cbranch_scc1 .LBB202_202
; %bb.1:
	s_load_dword s9, s[4:5], 0x90
	s_load_dwordx2 s[10:11], s[4:5], 0x30
	s_waitcnt lgkmcnt(0)
	s_abs_i32 s2, s9
	s_abs_i32 s0, s10
	v_cvt_f32_u32_e32 v1, s0
	s_sub_i32 s3, 0, s0
	s_xor_b32 s1, s9, s10
	s_ashr_i32 s1, s1, 31
	v_rcp_iflag_f32_e32 v1, v1
	v_mul_f32_e32 v1, 0x4f7ffffe, v1
	v_cvt_u32_f32_e32 v1, v1
	v_readfirstlane_b32 s7, v1
	s_mul_i32 s3, s3, s7
	s_mul_hi_u32 s3, s7, s3
	s_add_i32 s7, s7, s3
	s_mul_hi_u32 s3, s2, s7
	s_mul_i32 s7, s3, s0
	s_sub_i32 s2, s2, s7
	s_add_i32 s10, s3, 1
	s_sub_i32 s7, s2, s0
	s_cmp_ge_u32 s2, s0
	s_cselect_b32 s3, s10, s3
	s_cselect_b32 s2, s7, s2
	s_add_i32 s7, s3, 1
	s_cmp_ge_u32 s2, s0
	s_cselect_b32 s0, s7, s3
	s_xor_b32 s0, s0, s1
	s_sub_i32 s12, s0, s1
	s_abs_i32 s2, s12
	v_cvt_f32_u32_e32 v1, s2
	s_load_dwordx2 s[0:1], s[4:5], 0x50
	s_sub_i32 s7, 0, s2
	s_abs_i32 s3, s6
	v_rcp_iflag_f32_e32 v1, v1
	s_mov_b32 s10, 0
	v_mul_f32_e32 v1, 0x4f7ffffe, v1
	v_cvt_u32_f32_e32 v1, v1
	v_readfirstlane_b32 s13, v1
	s_mul_i32 s7, s7, s13
	s_mul_hi_u32 s7, s13, s7
	s_add_i32 s13, s13, s7
	s_waitcnt lgkmcnt(0)
	s_cmp_eq_u64 s[0:1], 0
	s_mul_hi_u32 s16, s3, s13
	s_cbranch_scc1 .LBB202_3
; %bb.2:
	s_ashr_i32 s7, s6, 31
	s_lshl_b64 s[14:15], s[6:7], 2
	s_add_u32 s0, s0, s14
	s_addc_u32 s1, s1, s15
	s_load_dword s10, s[0:1], 0x0
.LBB202_3:
	s_ashr_i32 s18, s12, 31
	s_load_dwordx4 s[12:15], s[4:5], 0x58
	s_movk_i32 s0, 0x50
	s_ashr_i32 s17, s6, 31
	v_and_b32_e32 v12, 7, v0
	s_mul_i32 s24, s6, 0x50
	v_cmp_gt_u32_e32 vcc, s0, v0
	v_lshlrev_b32_e32 v13, 2, v0
	v_lshrrev_b32_e32 v1, 1, v0
	s_and_saveexec_b64 s[0:1], vcc
	s_cbranch_execz .LBB202_5
; %bb.4:
	s_load_dwordx2 s[20:21], s[4:5], 0x18
	s_waitcnt lgkmcnt(0)
	s_mul_i32 s22, s28, s12
	s_ashr_i32 s23, s22, 31
	s_lshl_b64 s[22:23], s[22:23], 2
	v_and_b32_e32 v3, 0x1fc, v1
	s_add_u32 s7, s20, s22
	s_addc_u32 s12, s21, s23
	s_ashr_i32 s25, s24, 31
	s_lshl_b64 s[20:21], s[24:25], 2
	s_add_u32 s20, s7, s20
	s_addc_u32 s21, s12, s21
	global_load_dword v2, v13, s[20:21]
	v_mad_u32_u24 v3, v12, 40, v3
	s_waitcnt vmcnt(0)
	ds_write_b32 v3, v2
.LBB202_5:
	s_or_b64 exec, exec, s[0:1]
	s_add_i32 s0, s33, 7
	s_ashr_i32 s1, s0, 31
	s_lshr_b32 s1, s1, 29
	s_add_i32 s0, s0, s1
	s_lshl_b32 s7, s8, 6
	s_mul_i32 s1, s16, s2
	s_ashr_i32 s45, s0, 3
	s_add_i32 s0, s7, 64
	s_sub_i32 s1, s3, s1
	s_min_i32 s44, s0, s45
	s_xor_b32 s0, s17, s18
	s_add_i32 s3, s16, 1
	s_waitcnt lgkmcnt(0)
	s_sub_i32 s12, s1, s2
	s_cmp_ge_u32 s1, s2
	s_cselect_b32 s3, s3, s16
	s_cselect_b32 s1, s12, s1
	s_add_i32 s12, s3, 1
	s_cmp_ge_u32 s1, s2
	s_load_dwordx2 s[30:31], s[4:5], 0x38
	s_load_dword s2, s[4:5], 0x48
	v_lshrrev_b32_e32 v23, 6, v0
	s_cselect_b32 s1, s12, s3
	s_xor_b32 s1, s1, s0
	v_or_b32_e32 v10, s7, v23
	s_waitcnt lgkmcnt(0)
	s_mul_i32 s34, s28, s2
	s_sub_i32 s12, s1, s0
	s_ashr_i32 s35, s34, 31
	v_cmp_gt_i32_e64 s[0:1], s44, v10
	v_cmp_le_i32_e32 vcc, s44, v10
	v_mbcnt_lo_u32_b32 v18, -1, 0
	s_barrier
	s_waitcnt lgkmcnt(0)
                                        ; implicit-def: $sgpr15
                                        ; implicit-def: $vgpr24
                                        ; implicit-def: $vgpr25
	s_and_saveexec_b64 s[2:3], vcc
	s_xor_b64 s[2:3], exec, s[2:3]
; %bb.6:
	v_mbcnt_hi_u32_b32 v24, -1, v18
	v_and_b32_e32 v2, 64, v24
	v_add_u32_e32 v25, 64, v2
	s_mov_b32 s15, 0xff7fffff
                                        ; implicit-def: $vgpr12
                                        ; implicit-def: $vgpr18
; %bb.7:
	s_or_saveexec_b64 s[38:39], s[2:3]
	s_load_dwordx4 s[20:23], s[4:5], 0x0
	s_load_dwordx2 s[26:27], s[4:5], 0x10
	s_load_dword s25, s[4:5], 0x98
	s_load_dwordx2 s[36:37], s[4:5], 0x28
	s_load_dwordx4 s[16:19], s[4:5], 0x68
	v_mov_b32_e32 v27, s15
	s_mul_i32 s12, s12, s14
	v_ashrrev_i32_e32 v11, 31, v10
	s_xor_b64 exec, exec, s[38:39]
	s_cbranch_execz .LBB202_73
; %bb.8:
	s_load_dwordx2 s[2:3], s[4:5], 0x20
	s_ashr_i32 s4, s12, 31
	v_bfe_u32 v19, v0, 3, 3
	v_lshlrev_b32_e32 v2, 4, v19
	v_mbcnt_hi_u32_b32 v24, -1, v18
	s_waitcnt lgkmcnt(0)
	s_add_u32 s2, s2, s12
	s_addc_u32 s3, s3, s4
	v_mov_b32_e32 v3, s3
	v_add_co_u32_e32 v14, vcc, s2, v2
	v_and_b32_e32 v18, 64, v24
	v_addc_co_u32_e32 v15, vcc, 0, v3, vcc
	v_add_u32_e32 v25, 64, v18
	v_xor_b32_e32 v18, 4, v24
	v_cmp_lt_i32_e32 vcc, v18, v25
	v_cndmask_b32_e32 v18, v24, v18, vcc
	v_lshlrev_b32_e32 v26, 2, v18
	v_xor_b32_e32 v18, 2, v24
	v_cmp_lt_i32_e32 vcc, v18, v25
	v_cndmask_b32_e32 v18, v24, v18, vcc
	v_lshlrev_b32_e32 v28, 2, v18
	v_xor_b32_e32 v18, 1, v24
	v_cmp_lt_i32_e32 vcc, v18, v25
	v_mul_u32_u24_e32 v16, 40, v12
	v_cndmask_b32_e32 v18, v24, v18, vcc
	ds_read2_b64 v[2:5], v16 offset1:1
	ds_read2_b64 v[6:9], v16 offset0:2 offset1:3
	ds_read_b64 v[16:17], v16 offset:32
	v_lshlrev_b32_e32 v29, 2, v18
	v_lshlrev_b32_e32 v18, 3, v23
	s_load_dword s47, s[16:17], 0x0
	s_sub_i32 s48, 1, s33
	v_add3_u32 v30, s29, v18, v19
	v_lshlrev_b32_e32 v18, 2, v19
	s_lshl_b64 s[4:5], s[34:35], 2
	v_lshl_or_b32 v18, v23, 5, v18
	s_add_u32 s4, s30, s4
	v_add_u32_e32 v31, 0x150, v18
	v_lshlrev_b64 v[18:19], 2, v[10:11]
	s_addc_u32 s5, s31, s5
	v_mov_b32_e32 v20, s5
	v_add_co_u32_e64 v18, s[4:5], s4, v18
	s_mov_b32 s46, s13
	v_cmp_eq_u32_e32 vcc, 0, v12
	v_cmp_neq_f32_e64 s[2:3], s10, 0
	v_addc_co_u32_e64 v19, s[4:5], v20, v19, s[4:5]
	s_mov_b64 s[14:15], 0
	v_mov_b32_e32 v27, 0xff7fffff
	s_movk_i32 s49, 0x80
	s_movk_i32 s50, 0x7f
	v_bfrev_b32_e32 v32, 60
	v_mov_b32_e32 v33, v10
	s_branch .LBB202_10
.LBB202_9:                              ;   in Loop: Header=BB202_10 Depth=1
	s_or_b64 exec, exec, s[16:17]
	v_add_u32_e32 v33, 2, v33
	v_cmp_le_i32_e64 s[4:5], s44, v33
	s_or_b64 s[14:15], s[4:5], s[14:15]
	v_add_co_u32_e64 v18, s[4:5], 8, v18
	v_add_u32_e32 v30, 16, v30
	v_add_u32_e32 v31, 64, v31
	v_addc_co_u32_e64 v19, s[4:5], 0, v19, s[4:5]
	s_andn2_b64 exec, exec, s[14:15]
	s_cbranch_execz .LBB202_72
.LBB202_10:                             ; =>This Inner Loop Header: Depth=1
	global_load_dword v20, v[18:19], off
	v_mov_b32_e32 v34, 0
	s_waitcnt vmcnt(0) lgkmcnt(0)
	v_mad_i64_i32 v[20:21], s[4:5], v20, s46, v[14:15]
	v_add_co_u32_e64 v20, s[4:5], v20, v12
	v_addc_co_u32_e64 v21, s[4:5], 0, v21, s[4:5]
	global_load_ubyte v35, v[20:21], off
	s_waitcnt vmcnt(0)
	v_cmp_ne_u16_e64 s[4:5], 0, v35
	s_and_saveexec_b64 s[16:17], s[4:5]
	s_cbranch_execz .LBB202_16
; %bb.11:                               ;   in Loop: Header=BB202_10 Depth=1
	v_cmp_ne_u16_e64 s[4:5], s49, v35
	v_bfrev_b32_e32 v34, 1
	s_and_saveexec_b64 s[40:41], s[4:5]
	s_cbranch_execz .LBB202_15
; %bb.12:                               ;   in Loop: Header=BB202_10 Depth=1
	v_and_b32_e32 v22, 0xffff, v35
	v_and_b32_e32 v36, 0x7f, v22
	v_cmp_ne_u32_e64 s[4:5], s50, v36
	v_mov_b32_e32 v34, 0x7f800001
	s_and_saveexec_b64 s[42:43], s[4:5]
	s_cbranch_execz .LBB202_14
; %bb.13:                               ;   in Loop: Header=BB202_10 Depth=1
	v_and_b32_e32 v34, 7, v22
	v_ffbh_u32_e32 v38, v34
	v_min_u32_e32 v40, 32, v38
	v_subrev_u32_e32 v38, 28, v40
	v_lshlrev_b64 v[38:39], v38, v[22:23]
	v_lshrrev_b32_e32 v37, 3, v36
	v_sub_u32_e32 v22, 29, v40
	v_and_b32_e32 v38, 7, v38
	v_cmp_gt_u32_e64 s[4:5], 8, v36
	v_cndmask_b32_e64 v22, v37, v22, s[4:5]
	v_cndmask_b32_e64 v34, v34, v38, s[4:5]
	v_lshlrev_b32_e32 v35, 24, v35
	v_lshlrev_b32_e32 v34, 20, v34
	v_and_b32_e32 v35, 0x80000000, v35
	v_lshl_add_u32 v22, v22, 23, v32
	v_or3_b32 v34, v35, v22, v34
.LBB202_14:                             ;   in Loop: Header=BB202_10 Depth=1
	s_or_b64 exec, exec, s[42:43]
.LBB202_15:                             ;   in Loop: Header=BB202_10 Depth=1
	s_or_b64 exec, exec, s[40:41]
.LBB202_16:                             ;   in Loop: Header=BB202_10 Depth=1
	s_or_b64 exec, exec, s[16:17]
	global_load_ubyte v36, v[20:21], off offset:8
	v_mov_b32_e32 v35, 0
	s_waitcnt vmcnt(0)
	v_cmp_ne_u16_e64 s[4:5], 0, v36
	s_and_saveexec_b64 s[16:17], s[4:5]
	s_cbranch_execz .LBB202_22
; %bb.17:                               ;   in Loop: Header=BB202_10 Depth=1
	v_cmp_ne_u16_e64 s[4:5], s49, v36
	v_bfrev_b32_e32 v35, 1
	s_and_saveexec_b64 s[40:41], s[4:5]
	s_cbranch_execz .LBB202_21
; %bb.18:                               ;   in Loop: Header=BB202_10 Depth=1
	v_and_b32_e32 v22, 0xffff, v36
	v_and_b32_e32 v37, 0x7f, v22
	v_cmp_ne_u32_e64 s[4:5], s50, v37
	v_mov_b32_e32 v35, 0x7f800001
	s_and_saveexec_b64 s[42:43], s[4:5]
	s_cbranch_execz .LBB202_20
; %bb.19:                               ;   in Loop: Header=BB202_10 Depth=1
	v_and_b32_e32 v35, 7, v22
	v_ffbh_u32_e32 v38, v35
	v_min_u32_e32 v41, 32, v38
	v_subrev_u32_e32 v38, 28, v41
	v_lshlrev_b64 v[38:39], v38, v[22:23]
	v_lshrrev_b32_e32 v40, 3, v37
	v_sub_u32_e32 v22, 29, v41
	v_and_b32_e32 v38, 7, v38
	v_cmp_gt_u32_e64 s[4:5], 8, v37
	v_cndmask_b32_e64 v22, v40, v22, s[4:5]
	v_cndmask_b32_e64 v35, v35, v38, s[4:5]
	v_lshlrev_b32_e32 v36, 24, v36
	v_lshlrev_b32_e32 v35, 20, v35
	v_and_b32_e32 v36, 0x80000000, v36
	v_lshl_add_u32 v22, v22, 23, v32
	v_or3_b32 v35, v36, v22, v35
.LBB202_20:                             ;   in Loop: Header=BB202_10 Depth=1
	s_or_b64 exec, exec, s[42:43]
.LBB202_21:                             ;   in Loop: Header=BB202_10 Depth=1
	s_or_b64 exec, exec, s[40:41]
.LBB202_22:                             ;   in Loop: Header=BB202_10 Depth=1
	s_or_b64 exec, exec, s[16:17]
	global_load_ubyte v38, v[20:21], off offset:128
	v_mov_b32_e32 v36, 0
	v_mov_b32_e32 v37, 0
	s_waitcnt vmcnt(0)
	v_cmp_ne_u16_e64 s[4:5], 0, v38
	s_and_saveexec_b64 s[16:17], s[4:5]
	s_cbranch_execz .LBB202_28
; %bb.23:                               ;   in Loop: Header=BB202_10 Depth=1
	v_cmp_ne_u16_e64 s[4:5], s49, v38
	v_bfrev_b32_e32 v37, 1
	s_and_saveexec_b64 s[40:41], s[4:5]
	s_cbranch_execz .LBB202_27
; %bb.24:                               ;   in Loop: Header=BB202_10 Depth=1
	v_and_b32_e32 v22, 0xffff, v38
	v_and_b32_e32 v39, 0x7f, v22
	v_cmp_ne_u32_e64 s[4:5], s50, v39
	v_mov_b32_e32 v37, 0x7f800001
	s_and_saveexec_b64 s[42:43], s[4:5]
	s_cbranch_execz .LBB202_26
; %bb.25:                               ;   in Loop: Header=BB202_10 Depth=1
	v_and_b32_e32 v37, 7, v22
	v_ffbh_u32_e32 v40, v37
	v_min_u32_e32 v43, 32, v40
	v_subrev_u32_e32 v40, 28, v43
	v_lshlrev_b64 v[40:41], v40, v[22:23]
	v_lshrrev_b32_e32 v42, 3, v39
	v_sub_u32_e32 v22, 29, v43
	v_and_b32_e32 v40, 7, v40
	v_cmp_gt_u32_e64 s[4:5], 8, v39
	v_cndmask_b32_e64 v22, v42, v22, s[4:5]
	v_cndmask_b32_e64 v37, v37, v40, s[4:5]
	v_lshlrev_b32_e32 v38, 24, v38
	v_lshlrev_b32_e32 v37, 20, v37
	v_and_b32_e32 v38, 0x80000000, v38
	v_lshl_add_u32 v22, v22, 23, v32
	v_or3_b32 v37, v38, v22, v37
.LBB202_26:                             ;   in Loop: Header=BB202_10 Depth=1
	s_or_b64 exec, exec, s[42:43]
.LBB202_27:                             ;   in Loop: Header=BB202_10 Depth=1
	s_or_b64 exec, exec, s[40:41]
.LBB202_28:                             ;   in Loop: Header=BB202_10 Depth=1
	s_or_b64 exec, exec, s[16:17]
	global_load_ubyte v38, v[20:21], off offset:136
	s_waitcnt vmcnt(0)
	v_cmp_ne_u16_e64 s[4:5], 0, v38
	s_and_saveexec_b64 s[16:17], s[4:5]
	s_cbranch_execz .LBB202_34
; %bb.29:                               ;   in Loop: Header=BB202_10 Depth=1
	v_cmp_ne_u16_e64 s[4:5], s49, v38
	v_bfrev_b32_e32 v36, 1
	s_and_saveexec_b64 s[40:41], s[4:5]
	s_cbranch_execz .LBB202_33
; %bb.30:                               ;   in Loop: Header=BB202_10 Depth=1
	v_and_b32_e32 v22, 0xffff, v38
	v_and_b32_e32 v39, 0x7f, v22
	v_cmp_ne_u32_e64 s[4:5], s50, v39
	v_mov_b32_e32 v36, 0x7f800001
	s_and_saveexec_b64 s[42:43], s[4:5]
	s_cbranch_execz .LBB202_32
; %bb.31:                               ;   in Loop: Header=BB202_10 Depth=1
	v_and_b32_e32 v36, 7, v22
	v_ffbh_u32_e32 v40, v36
	v_min_u32_e32 v43, 32, v40
	v_subrev_u32_e32 v40, 28, v43
	v_lshlrev_b64 v[40:41], v40, v[22:23]
	v_lshrrev_b32_e32 v42, 3, v39
	v_sub_u32_e32 v22, 29, v43
	v_and_b32_e32 v40, 7, v40
	v_cmp_gt_u32_e64 s[4:5], 8, v39
	v_cndmask_b32_e64 v22, v42, v22, s[4:5]
	v_cndmask_b32_e64 v36, v36, v40, s[4:5]
	v_lshlrev_b32_e32 v38, 24, v38
	v_lshlrev_b32_e32 v36, 20, v36
	v_and_b32_e32 v38, 0x80000000, v38
	v_lshl_add_u32 v22, v22, 23, v32
	v_or3_b32 v36, v38, v22, v36
.LBB202_32:                             ;   in Loop: Header=BB202_10 Depth=1
	s_or_b64 exec, exec, s[42:43]
.LBB202_33:                             ;   in Loop: Header=BB202_10 Depth=1
	s_or_b64 exec, exec, s[40:41]
.LBB202_34:                             ;   in Loop: Header=BB202_10 Depth=1
	s_or_b64 exec, exec, s[16:17]
	global_load_ubyte v40, v[20:21], off offset:256
	v_mov_b32_e32 v38, 0
	v_mov_b32_e32 v39, 0
	s_waitcnt vmcnt(0)
	v_cmp_ne_u16_e64 s[4:5], 0, v40
	s_and_saveexec_b64 s[16:17], s[4:5]
	s_cbranch_execz .LBB202_40
; %bb.35:                               ;   in Loop: Header=BB202_10 Depth=1
	v_cmp_ne_u16_e64 s[4:5], s49, v40
	v_bfrev_b32_e32 v39, 1
	s_and_saveexec_b64 s[40:41], s[4:5]
	s_cbranch_execz .LBB202_39
; %bb.36:                               ;   in Loop: Header=BB202_10 Depth=1
	v_and_b32_e32 v22, 0xffff, v40
	v_and_b32_e32 v41, 0x7f, v22
	v_cmp_ne_u32_e64 s[4:5], s50, v41
	v_mov_b32_e32 v39, 0x7f800001
	s_and_saveexec_b64 s[42:43], s[4:5]
	s_cbranch_execz .LBB202_38
; %bb.37:                               ;   in Loop: Header=BB202_10 Depth=1
	v_and_b32_e32 v39, 7, v22
	v_ffbh_u32_e32 v42, v39
	v_min_u32_e32 v45, 32, v42
	v_subrev_u32_e32 v42, 28, v45
	v_lshlrev_b64 v[42:43], v42, v[22:23]
	v_lshrrev_b32_e32 v44, 3, v41
	v_sub_u32_e32 v22, 29, v45
	v_and_b32_e32 v42, 7, v42
	v_cmp_gt_u32_e64 s[4:5], 8, v41
	v_cndmask_b32_e64 v22, v44, v22, s[4:5]
	v_cndmask_b32_e64 v39, v39, v42, s[4:5]
	v_lshlrev_b32_e32 v40, 24, v40
	v_lshlrev_b32_e32 v39, 20, v39
	v_and_b32_e32 v40, 0x80000000, v40
	v_lshl_add_u32 v22, v22, 23, v32
	v_or3_b32 v39, v40, v22, v39
.LBB202_38:                             ;   in Loop: Header=BB202_10 Depth=1
	s_or_b64 exec, exec, s[42:43]
.LBB202_39:                             ;   in Loop: Header=BB202_10 Depth=1
	s_or_b64 exec, exec, s[40:41]
.LBB202_40:                             ;   in Loop: Header=BB202_10 Depth=1
	s_or_b64 exec, exec, s[16:17]
	global_load_ubyte v40, v[20:21], off offset:264
	s_waitcnt vmcnt(0)
	v_cmp_ne_u16_e64 s[4:5], 0, v40
	s_and_saveexec_b64 s[16:17], s[4:5]
	s_cbranch_execz .LBB202_46
; %bb.41:                               ;   in Loop: Header=BB202_10 Depth=1
	v_cmp_ne_u16_e64 s[4:5], s49, v40
	v_bfrev_b32_e32 v38, 1
	s_and_saveexec_b64 s[40:41], s[4:5]
	s_cbranch_execz .LBB202_45
; %bb.42:                               ;   in Loop: Header=BB202_10 Depth=1
	v_and_b32_e32 v22, 0xffff, v40
	v_and_b32_e32 v41, 0x7f, v22
	v_cmp_ne_u32_e64 s[4:5], s50, v41
	v_mov_b32_e32 v38, 0x7f800001
	s_and_saveexec_b64 s[42:43], s[4:5]
	s_cbranch_execz .LBB202_44
; %bb.43:                               ;   in Loop: Header=BB202_10 Depth=1
	v_and_b32_e32 v38, 7, v22
	v_ffbh_u32_e32 v42, v38
	v_min_u32_e32 v45, 32, v42
	v_subrev_u32_e32 v42, 28, v45
	v_lshlrev_b64 v[42:43], v42, v[22:23]
	v_lshrrev_b32_e32 v44, 3, v41
	v_sub_u32_e32 v22, 29, v45
	v_and_b32_e32 v42, 7, v42
	v_cmp_gt_u32_e64 s[4:5], 8, v41
	v_cndmask_b32_e64 v22, v44, v22, s[4:5]
	v_cndmask_b32_e64 v38, v38, v42, s[4:5]
	v_lshlrev_b32_e32 v40, 24, v40
	v_lshlrev_b32_e32 v38, 20, v38
	v_and_b32_e32 v40, 0x80000000, v40
	v_lshl_add_u32 v22, v22, 23, v32
	v_or3_b32 v38, v40, v22, v38
.LBB202_44:                             ;   in Loop: Header=BB202_10 Depth=1
	s_or_b64 exec, exec, s[42:43]
.LBB202_45:                             ;   in Loop: Header=BB202_10 Depth=1
	s_or_b64 exec, exec, s[40:41]
.LBB202_46:                             ;   in Loop: Header=BB202_10 Depth=1
	s_or_b64 exec, exec, s[16:17]
	global_load_ubyte v42, v[20:21], off offset:384
	v_mov_b32_e32 v40, 0
	v_mov_b32_e32 v41, 0
	s_waitcnt vmcnt(0)
	v_cmp_ne_u16_e64 s[4:5], 0, v42
	s_and_saveexec_b64 s[16:17], s[4:5]
	s_cbranch_execz .LBB202_52
; %bb.47:                               ;   in Loop: Header=BB202_10 Depth=1
	v_cmp_ne_u16_e64 s[4:5], s49, v42
	v_bfrev_b32_e32 v41, 1
	s_and_saveexec_b64 s[40:41], s[4:5]
	s_cbranch_execz .LBB202_51
; %bb.48:                               ;   in Loop: Header=BB202_10 Depth=1
	v_and_b32_e32 v22, 0xffff, v42
	v_and_b32_e32 v43, 0x7f, v22
	v_cmp_ne_u32_e64 s[4:5], s50, v43
	v_mov_b32_e32 v41, 0x7f800001
	s_and_saveexec_b64 s[42:43], s[4:5]
	s_cbranch_execz .LBB202_50
; %bb.49:                               ;   in Loop: Header=BB202_10 Depth=1
	v_and_b32_e32 v41, 7, v22
	v_ffbh_u32_e32 v44, v41
	v_min_u32_e32 v47, 32, v44
	v_subrev_u32_e32 v44, 28, v47
	v_lshlrev_b64 v[44:45], v44, v[22:23]
	v_lshrrev_b32_e32 v46, 3, v43
	v_sub_u32_e32 v22, 29, v47
	v_and_b32_e32 v44, 7, v44
	v_cmp_gt_u32_e64 s[4:5], 8, v43
	v_cndmask_b32_e64 v22, v46, v22, s[4:5]
	v_cndmask_b32_e64 v41, v41, v44, s[4:5]
	v_lshlrev_b32_e32 v42, 24, v42
	v_lshlrev_b32_e32 v41, 20, v41
	v_and_b32_e32 v42, 0x80000000, v42
	v_lshl_add_u32 v22, v22, 23, v32
	v_or3_b32 v41, v42, v22, v41
.LBB202_50:                             ;   in Loop: Header=BB202_10 Depth=1
	s_or_b64 exec, exec, s[42:43]
.LBB202_51:                             ;   in Loop: Header=BB202_10 Depth=1
	s_or_b64 exec, exec, s[40:41]
.LBB202_52:                             ;   in Loop: Header=BB202_10 Depth=1
	s_or_b64 exec, exec, s[16:17]
	global_load_ubyte v42, v[20:21], off offset:392
	s_waitcnt vmcnt(0)
	v_cmp_ne_u16_e64 s[4:5], 0, v42
	s_and_saveexec_b64 s[16:17], s[4:5]
	s_cbranch_execz .LBB202_58
; %bb.53:                               ;   in Loop: Header=BB202_10 Depth=1
	v_cmp_ne_u16_e64 s[4:5], s49, v42
	v_bfrev_b32_e32 v40, 1
	s_and_saveexec_b64 s[40:41], s[4:5]
	s_cbranch_execz .LBB202_57
; %bb.54:                               ;   in Loop: Header=BB202_10 Depth=1
	v_and_b32_e32 v22, 0xffff, v42
	v_and_b32_e32 v43, 0x7f, v22
	v_cmp_ne_u32_e64 s[4:5], s50, v43
	v_mov_b32_e32 v40, 0x7f800001
	s_and_saveexec_b64 s[42:43], s[4:5]
	s_cbranch_execz .LBB202_56
; %bb.55:                               ;   in Loop: Header=BB202_10 Depth=1
	v_and_b32_e32 v40, 7, v22
	v_ffbh_u32_e32 v44, v40
	v_min_u32_e32 v47, 32, v44
	v_subrev_u32_e32 v44, 28, v47
	v_lshlrev_b64 v[44:45], v44, v[22:23]
	v_lshrrev_b32_e32 v46, 3, v43
	v_sub_u32_e32 v22, 29, v47
	v_and_b32_e32 v44, 7, v44
	v_cmp_gt_u32_e64 s[4:5], 8, v43
	v_cndmask_b32_e64 v22, v46, v22, s[4:5]
	v_cndmask_b32_e64 v40, v40, v44, s[4:5]
	v_lshlrev_b32_e32 v42, 24, v42
	v_lshlrev_b32_e32 v40, 20, v40
	v_and_b32_e32 v42, 0x80000000, v42
	v_lshl_add_u32 v22, v22, 23, v32
	v_or3_b32 v40, v42, v22, v40
.LBB202_56:                             ;   in Loop: Header=BB202_10 Depth=1
	s_or_b64 exec, exec, s[42:43]
.LBB202_57:                             ;   in Loop: Header=BB202_10 Depth=1
	s_or_b64 exec, exec, s[40:41]
.LBB202_58:                             ;   in Loop: Header=BB202_10 Depth=1
	s_or_b64 exec, exec, s[16:17]
	global_load_ubyte v44, v[20:21], off offset:512
	v_mov_b32_e32 v42, 0
	v_mov_b32_e32 v43, 0
	s_waitcnt vmcnt(0)
	v_cmp_ne_u16_e64 s[4:5], 0, v44
	s_and_saveexec_b64 s[16:17], s[4:5]
	s_cbranch_execz .LBB202_64
; %bb.59:                               ;   in Loop: Header=BB202_10 Depth=1
	v_cmp_ne_u16_e64 s[4:5], s49, v44
	v_bfrev_b32_e32 v43, 1
	s_and_saveexec_b64 s[40:41], s[4:5]
	s_cbranch_execz .LBB202_63
; %bb.60:                               ;   in Loop: Header=BB202_10 Depth=1
	v_and_b32_e32 v22, 0xffff, v44
	v_and_b32_e32 v45, 0x7f, v22
	v_cmp_ne_u32_e64 s[4:5], s50, v45
	v_mov_b32_e32 v43, 0x7f800001
	s_and_saveexec_b64 s[42:43], s[4:5]
	s_cbranch_execz .LBB202_62
; %bb.61:                               ;   in Loop: Header=BB202_10 Depth=1
	v_and_b32_e32 v43, 7, v22
	v_ffbh_u32_e32 v46, v43
	v_min_u32_e32 v49, 32, v46
	v_subrev_u32_e32 v46, 28, v49
	v_lshlrev_b64 v[46:47], v46, v[22:23]
	v_lshrrev_b32_e32 v48, 3, v45
	v_sub_u32_e32 v22, 29, v49
	v_and_b32_e32 v46, 7, v46
	v_cmp_gt_u32_e64 s[4:5], 8, v45
	v_cndmask_b32_e64 v22, v48, v22, s[4:5]
	v_cndmask_b32_e64 v43, v43, v46, s[4:5]
	v_lshlrev_b32_e32 v44, 24, v44
	v_lshlrev_b32_e32 v43, 20, v43
	v_and_b32_e32 v44, 0x80000000, v44
	v_lshl_add_u32 v22, v22, 23, v32
	v_or3_b32 v43, v44, v22, v43
.LBB202_62:                             ;   in Loop: Header=BB202_10 Depth=1
	s_or_b64 exec, exec, s[42:43]
.LBB202_63:                             ;   in Loop: Header=BB202_10 Depth=1
	s_or_b64 exec, exec, s[40:41]
.LBB202_64:                             ;   in Loop: Header=BB202_10 Depth=1
	s_or_b64 exec, exec, s[16:17]
	global_load_ubyte v21, v[20:21], off offset:520
	s_waitcnt vmcnt(0)
	v_cmp_ne_u16_e64 s[4:5], 0, v21
	s_and_saveexec_b64 s[16:17], s[4:5]
	s_cbranch_execz .LBB202_70
; %bb.65:                               ;   in Loop: Header=BB202_10 Depth=1
	v_cmp_ne_u16_e64 s[4:5], s49, v21
	v_bfrev_b32_e32 v42, 1
	s_and_saveexec_b64 s[40:41], s[4:5]
	s_cbranch_execz .LBB202_69
; %bb.66:                               ;   in Loop: Header=BB202_10 Depth=1
	v_and_b32_e32 v20, 0xffff, v21
	v_and_b32_e32 v22, 0x7f, v20
	v_cmp_ne_u32_e64 s[4:5], s50, v22
	v_mov_b32_e32 v42, 0x7f800001
	s_and_saveexec_b64 s[42:43], s[4:5]
	s_cbranch_execz .LBB202_68
; %bb.67:                               ;   in Loop: Header=BB202_10 Depth=1
	v_and_b32_e32 v42, 7, v20
	v_ffbh_u32_e32 v44, v42
	v_min_u32_e32 v47, 32, v44
	v_subrev_u32_e32 v44, 28, v47
	v_lshlrev_b64 v[44:45], v44, v[20:21]
	v_lshrrev_b32_e32 v46, 3, v22
	v_sub_u32_e32 v20, 29, v47
	v_and_b32_e32 v44, 7, v44
	v_cmp_gt_u32_e64 s[4:5], 8, v22
	v_cndmask_b32_e64 v20, v46, v20, s[4:5]
	v_cndmask_b32_e64 v22, v42, v44, s[4:5]
	v_lshlrev_b32_e32 v21, 24, v21
	v_lshlrev_b32_e32 v22, 20, v22
	v_and_b32_e32 v21, 0x80000000, v21
	v_lshl_add_u32 v20, v20, 23, v32
	v_or3_b32 v42, v21, v20, v22
.LBB202_68:                             ;   in Loop: Header=BB202_10 Depth=1
	s_or_b64 exec, exec, s[42:43]
.LBB202_69:                             ;   in Loop: Header=BB202_10 Depth=1
	s_or_b64 exec, exec, s[40:41]
.LBB202_70:                             ;   in Loop: Header=BB202_10 Depth=1
	s_or_b64 exec, exec, s[16:17]
	s_waitcnt lgkmcnt(0)
	v_mul_f32_e32 v35, s47, v35
	v_mul_f32_e32 v34, s47, v34
	;; [unrolled: 1-line block ×4, first 2 shown]
	v_fmac_f32_e32 v35, v2, v34
	v_mul_f32_e32 v36, s47, v36
	v_fmac_f32_e32 v35, v4, v37
	v_mul_f32_e32 v39, s47, v39
	;; [unrolled: 2-line block ×7, first 2 shown]
	v_fmac_f32_e32 v35, v16, v20
	v_fmac_f32_e32 v35, v17, v40
	ds_bpermute_b32 v20, v26, v35
	s_waitcnt lgkmcnt(0)
	v_add_f32_e32 v20, v35, v20
	ds_bpermute_b32 v21, v28, v20
	s_waitcnt lgkmcnt(0)
	v_add_f32_e32 v20, v20, v21
	ds_bpermute_b32 v21, v29, v20
	s_and_saveexec_b64 s[16:17], vcc
	s_cbranch_execz .LBB202_9
; %bb.71:                               ;   in Loop: Header=BB202_10 Depth=1
	v_add_u32_e32 v22, s48, v30
	v_cvt_f32_i32_e32 v22, v22
	s_waitcnt lgkmcnt(0)
	v_add_f32_e32 v20, v20, v21
	v_cmp_gt_i32_e64 s[4:5], s33, v30
	v_max_f32_e32 v21, v27, v27
	v_mul_f32_e32 v22, s10, v22
	v_cndmask_b32_e64 v22, 0, v22, s[2:3]
	v_fmac_f32_e32 v22, s11, v20
	v_cndmask_b32_e64 v20, 0, v22, s[4:5]
	ds_write_b32 v31, v20
	v_max_f32_e32 v20, v21, v22
	v_cndmask_b32_e64 v27, v27, v20, s[4:5]
	s_branch .LBB202_9
.LBB202_72:
	s_or_b64 exec, exec, s[14:15]
.LBB202_73:
	s_or_b64 exec, exec, s[38:39]
	v_xor_b32_e32 v2, 32, v24
	v_cmp_lt_i32_e32 vcc, v2, v25
	v_cndmask_b32_e32 v2, v24, v2, vcc
	v_lshlrev_b32_e32 v3, 2, v2
	ds_bpermute_b32 v2, v3, v27
	v_xor_b32_e32 v5, 16, v24
	v_max_f32_e32 v4, v27, v27
	v_cmp_lt_i32_e32 vcc, v5, v25
	v_xor_b32_e32 v6, 8, v24
	s_waitcnt lgkmcnt(0)
	v_max_f32_e32 v2, v2, v2
	v_max_f32_e32 v2, v4, v2
	v_cndmask_b32_e32 v4, v24, v5, vcc
	v_lshlrev_b32_e32 v8, 2, v4
	ds_bpermute_b32 v4, v8, v2
	v_cmp_lt_i32_e32 vcc, v6, v25
	s_waitcnt lgkmcnt(0)
	v_max_f32_e32 v4, v4, v4
	v_max_f32_e32 v5, v2, v4
	v_cndmask_b32_e32 v2, v24, v6, vcc
	v_lshlrev_b32_e32 v9, 2, v2
	ds_bpermute_b32 v6, v9, v5
	v_and_b32_e32 v4, 63, v0
	v_cmp_eq_u32_e32 vcc, 0, v4
	v_lshlrev_b32_e32 v2, 2, v23
	s_and_saveexec_b64 s[2:3], vcc
	s_cbranch_execz .LBB202_75
; %bb.74:
	s_waitcnt lgkmcnt(0)
	v_max_f32_e32 v6, v6, v6
	v_max_f32_e32 v5, v5, v5
	;; [unrolled: 1-line block ×3, first 2 shown]
	ds_write_b32 v2, v5 offset:320
.LBB202_75:
	s_or_b64 exec, exec, s[2:3]
	v_cmp_gt_u32_e64 s[2:3], 2, v4
	v_mov_b32_e32 v5, 0xff7fffff
	s_waitcnt lgkmcnt(0)
	v_lshlrev_b32_e32 v6, 2, v4
	s_barrier
	s_and_saveexec_b64 s[4:5], s[2:3]
	s_cbranch_execz .LBB202_77
; %bb.76:
	ds_read_b32 v5, v6 offset:320
.LBB202_77:
	s_or_b64 exec, exec, s[4:5]
	v_xor_b32_e32 v7, 1, v24
	v_cmp_lt_i32_e64 s[4:5], v7, v25
	v_cndmask_b32_e64 v7, v24, v7, s[4:5]
	v_lshlrev_b32_e32 v7, 2, v7
	s_waitcnt lgkmcnt(0)
	ds_bpermute_b32 v12, v7, v5
	v_max_f32_e32 v5, v5, v5
	s_sub_i32 s4, s44, s7
	s_lshl_b32 s4, s4, 3
	s_add_i32 s4, s4, s29
	s_waitcnt lgkmcnt(0)
	v_max_f32_e32 v12, v12, v12
	v_max_f32_e32 v5, v5, v12
	v_lshlrev_b32_e32 v12, 2, v24
	v_and_b32_e32 v12, 0xffffff00, v12
	ds_bpermute_b32 v5, v12, v5
	s_min_i32 s38, s4, s33
	s_sub_i32 s7, s38, s29
	v_cmp_gt_i32_e64 s[4:5], s7, v0
	v_mov_b32_e32 v14, 0
	s_and_saveexec_b64 s[14:15], s[4:5]
	s_cbranch_execz .LBB202_81
; %bb.78:
	v_mov_b32_e32 v14, 0x150
	v_lshl_add_u32 v15, v0, 2, v14
	s_mov_b64 s[16:17], 0
	v_mov_b32_e32 v14, 0
	v_mov_b32_e32 v16, v0
.LBB202_79:                             ; =>This Inner Loop Header: Depth=1
	ds_read_b32 v17, v15
	v_add_u32_e32 v16, 0x80, v16
	v_cmp_le_i32_e64 s[10:11], s7, v16
	s_or_b64 s[16:17], s[10:11], s[16:17]
	s_waitcnt lgkmcnt(0)
	v_sub_f32_e32 v17, v17, v5
	v_mul_f32_e32 v17, 0x3fb8aa3b, v17
	v_exp_f32_e32 v17, v17
	ds_write_b32 v15, v17
	v_add_f32_e32 v14, v14, v17
	v_add_u32_e32 v15, 0x200, v15
	s_andn2_b64 exec, exec, s[16:17]
	s_cbranch_execnz .LBB202_79
; %bb.80:
	s_or_b64 exec, exec, s[16:17]
.LBB202_81:
	s_or_b64 exec, exec, s[14:15]
	ds_bpermute_b32 v3, v3, v14
	s_waitcnt lgkmcnt(0)
	v_add_f32_e32 v3, v14, v3
	ds_bpermute_b32 v8, v8, v3
	s_waitcnt lgkmcnt(0)
	v_add_f32_e32 v3, v3, v8
	ds_bpermute_b32 v8, v9, v3
	v_xor_b32_e32 v9, 4, v24
	v_cmp_lt_i32_e64 s[10:11], v9, v25
	v_cndmask_b32_e64 v9, v24, v9, s[10:11]
	v_lshlrev_b32_e32 v9, 2, v9
	s_waitcnt lgkmcnt(0)
	v_add_f32_e32 v3, v3, v8
	ds_bpermute_b32 v8, v9, v3
	v_xor_b32_e32 v9, 2, v24
	v_cmp_lt_i32_e64 s[10:11], v9, v25
	v_cndmask_b32_e64 v9, v24, v9, s[10:11]
	s_waitcnt lgkmcnt(0)
	v_add_f32_e32 v3, v3, v8
	v_lshlrev_b32_e32 v8, 2, v9
	ds_bpermute_b32 v8, v8, v3
	s_waitcnt lgkmcnt(0)
	v_add_f32_e32 v3, v3, v8
	ds_bpermute_b32 v8, v7, v3
	s_waitcnt lgkmcnt(0)
	v_add_f32_e32 v3, v3, v8
	s_and_saveexec_b64 s[10:11], vcc
	s_cbranch_execz .LBB202_83
; %bb.82:
	ds_write_b32 v2, v3 offset:328
.LBB202_83:
	s_or_b64 exec, exec, s[10:11]
	s_waitcnt lgkmcnt(0)
	s_barrier
	s_and_saveexec_b64 s[10:11], s[2:3]
	s_cbranch_execz .LBB202_85
; %bb.84:
	ds_read_b32 v3, v6 offset:328
.LBB202_85:
	s_or_b64 exec, exec, s[10:11]
	s_waitcnt lgkmcnt(0)
	ds_bpermute_b32 v2, v7, v3
	s_waitcnt lgkmcnt(0)
	v_add_f32_e32 v2, v3, v2
	ds_bpermute_b32 v6, v12, v2
	s_and_saveexec_b64 s[2:3], s[4:5]
	s_cbranch_execz .LBB202_98
; %bb.86:
	s_waitcnt lgkmcnt(0)
	v_add_f32_e32 v2, 0x358637bd, v6
	v_div_scale_f32 v3, s[4:5], v2, v2, 1.0
	v_rcp_f32_e32 v8, v3
	v_div_scale_f32 v9, vcc, 1.0, v2, 1.0
	s_movk_i32 s4, 0x7f
	v_fma_f32 v12, -v3, v8, 1.0
	v_fmac_f32_e32 v8, v12, v8
	v_mul_f32_e32 v12, v9, v8
	v_fma_f32 v14, -v3, v12, v9
	v_fmac_f32_e32 v12, v14, v8
	v_fma_f32 v3, -v3, v12, v9
	v_div_fmas_f32 v3, v3, v8, v12
	v_div_fixup_f32 v2, v3, v2, 1.0
	v_xad_u32 v3, v0, -1, s38
	v_subrev_u32_e32 v8, s29, v3
	v_cmp_lt_u32_e32 vcc, s4, v8
	s_mov_b64 s[10:11], -1
	v_mov_b32_e32 v3, v0
	s_and_saveexec_b64 s[4:5], vcc
	s_cbranch_execz .LBB202_95
; %bb.87:
	v_lshrrev_b32_e32 v8, 7, v8
	v_add_u32_e32 v12, -1, v8
	v_lshrrev_b32_e32 v9, 1, v12
	v_mov_b32_e32 v3, v2
	v_add_u32_e32 v9, 1, v9
	v_cmp_lt_u32_e32 vcc, 13, v12
	v_mov_b32_e32 v15, 0
	s_and_saveexec_b64 s[10:11], vcc
	s_cbranch_execz .LBB202_91
; %bb.88:
	v_mov_b32_e32 v14, 0x150
	v_and_b32_e32 v12, -8, v9
	v_lshl_add_u32 v14, v0, 2, v14
	s_mov_b32 s16, 0
	s_mov_b64 s[14:15], 0
.LBB202_89:                             ; =>This Inner Loop Header: Depth=1
	ds_read2st64_b32 v[16:17], v14 offset1:2
	ds_read2st64_b32 v[18:19], v14 offset0:4 offset1:6
	ds_read2st64_b32 v[20:21], v14 offset0:8 offset1:10
	;; [unrolled: 1-line block ×3, first 2 shown]
	v_add_u32_e32 v12, -8, v12
	s_waitcnt lgkmcnt(3)
	v_pk_mul_f32 v[16:17], v[2:3], v[16:17]
	s_waitcnt lgkmcnt(2)
	v_pk_mul_f32 v[18:19], v[2:3], v[18:19]
	ds_write2st64_b32 v14, v16, v17 offset1:2
	ds_write2st64_b32 v14, v18, v19 offset0:4 offset1:6
	ds_read2st64_b32 v[18:19], v14 offset0:16 offset1:18
	s_waitcnt lgkmcnt(4)
	v_pk_mul_f32 v[16:17], v[2:3], v[20:21]
	ds_write2st64_b32 v14, v16, v17 offset0:8 offset1:10
	s_waitcnt lgkmcnt(4)
	v_pk_mul_f32 v[16:17], v[2:3], v[24:25]
	ds_write2st64_b32 v14, v16, v17 offset0:12 offset1:14
	ds_read2st64_b32 v[16:17], v14 offset0:20 offset1:22
	s_waitcnt lgkmcnt(3)
	v_pk_mul_f32 v[18:19], v[2:3], v[18:19]
	ds_read2st64_b32 v[20:21], v14 offset0:24 offset1:26
	ds_write2st64_b32 v14, v18, v19 offset0:16 offset1:18
	ds_read2st64_b32 v[18:19], v14 offset0:28 offset1:30
	s_waitcnt lgkmcnt(3)
	v_pk_mul_f32 v[16:17], v[2:3], v[16:17]
	ds_write2st64_b32 v14, v16, v17 offset0:20 offset1:22
	s_waitcnt lgkmcnt(3)
	v_pk_mul_f32 v[16:17], v[2:3], v[20:21]
	ds_write2st64_b32 v14, v16, v17 offset0:24 offset1:26
	s_waitcnt lgkmcnt(2)
	v_pk_mul_f32 v[16:17], v[2:3], v[18:19]
	s_add_i32 s16, s16, 16
	v_cmp_eq_u32_e32 vcc, 0, v12
	ds_write2st64_b32 v14, v16, v17 offset0:28 offset1:30
	v_add_u32_e32 v14, 0x2000, v14
	s_or_b64 s[14:15], vcc, s[14:15]
	v_mov_b32_e32 v15, s16
	s_andn2_b64 exec, exec, s[14:15]
	s_cbranch_execnz .LBB202_89
; %bb.90:
	s_or_b64 exec, exec, s[14:15]
.LBB202_91:
	s_or_b64 exec, exec, s[10:11]
	v_and_b32_e32 v9, 7, v9
	v_cmp_ne_u32_e32 vcc, 0, v9
	s_and_saveexec_b64 s[10:11], vcc
	s_cbranch_execz .LBB202_94
; %bb.92:
	v_lshlrev_b32_e32 v12, 9, v15
	s_movk_i32 s14, 0x150
	v_add3_u32 v12, v12, v13, s14
	s_mov_b64 s[14:15], 0
.LBB202_93:                             ; =>This Inner Loop Header: Depth=1
	ds_read2st64_b32 v[14:15], v12 offset1:2
	v_add_u32_e32 v9, -1, v9
	v_cmp_eq_u32_e32 vcc, 0, v9
	s_or_b64 s[14:15], vcc, s[14:15]
	s_waitcnt lgkmcnt(0)
	v_pk_mul_f32 v[14:15], v[2:3], v[14:15]
	ds_write2st64_b32 v12, v14, v15 offset1:2
	v_add_u32_e32 v12, 0x400, v12
	s_andn2_b64 exec, exec, s[14:15]
	s_cbranch_execnz .LBB202_93
.LBB202_94:
	s_or_b64 exec, exec, s[10:11]
	v_add_u32_e32 v8, 1, v8
	v_and_b32_e32 v9, 0x3fffffe, v8
	v_cmp_ne_u32_e32 vcc, v8, v9
	v_lshl_add_u32 v3, v9, 7, v0
	s_orn2_b64 s[10:11], vcc, exec
.LBB202_95:
	s_or_b64 exec, exec, s[4:5]
	s_and_b64 exec, exec, s[10:11]
	s_cbranch_execz .LBB202_98
; %bb.96:
	v_mov_b32_e32 v8, 0x150
	v_lshl_add_u32 v8, v3, 2, v8
	s_mov_b64 s[4:5], 0
.LBB202_97:                             ; =>This Inner Loop Header: Depth=1
	ds_read_b32 v9, v8
	v_add_u32_e32 v3, 0x80, v3
	v_cmp_le_i32_e32 vcc, s7, v3
	s_or_b64 s[4:5], vcc, s[4:5]
	s_waitcnt lgkmcnt(0)
	v_mul_f32_e32 v9, v2, v9
	ds_write_b32 v8, v9
	v_add_u32_e32 v8, 0x200, v8
	s_andn2_b64 exec, exec, s[4:5]
	s_cbranch_execnz .LBB202_97
.LBB202_98:
	s_or_b64 exec, exec, s[2:3]
	s_mul_i32 s2, s25, s28
	v_cmp_eq_u32_e32 vcc, 0, v0
	s_mul_i32 s4, s2, s9
	s_waitcnt lgkmcnt(0)
	s_barrier
	s_and_saveexec_b64 s[2:3], vcc
	s_cbranch_execz .LBB202_100
; %bb.99:
	s_ashr_i32 s5, s4, 31
	s_lshl_b64 s[10:11], s[4:5], 2
	s_add_u32 s5, s22, s10
	s_mul_i32 s6, s25, s6
	s_addc_u32 s9, s23, s11
	s_ashr_i32 s7, s6, 31
	s_lshl_b64 s[6:7], s[6:7], 2
	s_add_u32 s5, s5, s6
	s_addc_u32 s17, s9, s7
	s_ashr_i32 s9, s8, 31
	s_lshl_b64 s[14:15], s[8:9], 2
	s_add_u32 s16, s5, s14
	s_addc_u32 s17, s17, s15
	s_add_u32 s5, s20, s10
	s_addc_u32 s9, s21, s11
	;; [unrolled: 2-line block ×3, first 2 shown]
	s_add_u32 s6, s5, s14
	v_mov_b32_e32 v2, 0
	s_addc_u32 s7, s7, s15
	global_store_dword v2, v5, s[16:17]
	global_store_dword v2, v6, s[6:7]
.LBB202_100:
	s_or_b64 exec, exec, s[2:3]
	v_mov_b32_e32 v6, 0
	s_mov_b32 s10, 0
	v_lshrrev_b32_e32 v15, 1, v4
	v_and_b32_e32 v9, 1, v0
	v_mov_b32_e32 v17, v6
	v_mov_b32_e32 v16, v6
	s_and_saveexec_b64 s[6:7], s[0:1]
	s_cbranch_execz .LBB202_184
; %bb.101:
	s_ashr_i32 s0, s12, 31
	s_add_u32 s2, s36, s12
	v_and_b32_e32 v2, 4, v13
	s_addc_u32 s3, s37, s0
	v_or_b32_e32 v3, 64, v15
	s_movk_i32 s0, 0x50
	s_load_dword s12, s[18:19], 0x0
	v_cmp_gt_u32_e32 vcc, s0, v3
	v_lshl_or_b32 v14, v3, 3, v2
	v_lshl_add_u32 v3, v23, 3, s29
	s_add_i32 s45, s45, -1
	v_lshl_or_b32 v8, v15, 3, v2
	v_add3_u32 v38, v3, v2, 3
	v_lshlrev_b32_e32 v2, 4, v9
	s_lshl_b64 s[0:1], s[34:35], 2
	v_lshl_or_b32 v2, v23, 5, v2
	s_add_u32 s0, s30, s0
	v_add_u32_e32 v39, 0x150, v2
	v_lshlrev_b64 v[2:3], 2, v[10:11]
	s_addc_u32 s1, s31, s1
	v_mov_b32_e32 v13, 0
	v_mov_b32_e32 v4, s1
	v_add_co_u32_e64 v18, s[0:1], s0, v2
	s_mov_b32 s5, s13
	s_waitcnt lgkmcnt(0)
	s_mov_b32 s13, s12
	v_addc_co_u32_e64 v19, s[0:1], v4, v3, s[0:1]
	s_mov_b64 s[14:15], 0
	v_pk_mov_b32 v[20:21], s[2:3], s[2:3] op_sel:[0,1]
	s_movk_i32 s9, 0x80
	s_movk_i32 s30, 0x7f
	s_brev_b32 s11, 1
	s_mov_b32 s17, 0x7f800001
	s_mov_b32 s31, 0xffffff
	v_bfrev_b32_e32 v11, 60
	v_mov_b32_e32 v40, 7
	v_mov_b32_e32 v41, 24
	;; [unrolled: 1-line block ×5, first 2 shown]
	s_branch .LBB202_104
.LBB202_102:                            ;   in Loop: Header=BB202_104 Depth=1
	s_or_b64 exec, exec, s[2:3]
	v_mul_f32_e32 v3, v3, v23
	v_fmac_f32_e32 v3, v2, v22
	v_fmac_f32_e32 v3, v4, v24
	;; [unrolled: 1-line block ×3, first 2 shown]
	v_add_f32_e32 v6, v6, v3
.LBB202_103:                            ;   in Loop: Header=BB202_104 Depth=1
	s_or_b64 exec, exec, s[18:19]
	v_add_u32_e32 v10, 2, v10
	v_cmp_le_i32_e64 s[0:1], s44, v10
	s_or_b64 s[14:15], s[0:1], s[14:15]
	v_add_co_u32_e64 v18, s[0:1], 8, v18
	v_add_u32_e32 v38, 16, v38
	v_add_u32_e32 v39, 64, v39
	v_addc_co_u32_e64 v19, s[0:1], 0, v19, s[0:1]
	s_andn2_b64 exec, exec, s[14:15]
	s_cbranch_execz .LBB202_183
.LBB202_104:                            ; =>This Inner Loop Header: Depth=1
	global_load_dword v2, v[18:19], off
	v_pk_mov_b32 v[30:31], 0, 0
	v_pk_mov_b32 v[26:27], v[30:31], v[30:31] op_sel:[0,1]
	s_waitcnt vmcnt(0)
	v_mad_i64_i32 v[22:23], s[0:1], v2, s5, v[20:21]
	v_add_co_u32_e64 v28, s[0:1], v22, v8
	v_addc_co_u32_e64 v29, s[0:1], 0, v23, s[0:1]
	global_load_dword v24, v[28:29], off
	ds_read_b128 v[2:5], v39
	s_waitcnt vmcnt(0)
	v_cmp_ne_u16_sdwa s[0:1], v24, v13 src0_sel:BYTE_0 src1_sel:DWORD
	s_and_saveexec_b64 s[2:3], s[0:1]
	s_cbranch_execz .LBB202_110
; %bb.105:                              ;   in Loop: Header=BB202_104 Depth=1
	v_bfrev_b32_e32 v26, 1
	v_cmp_ne_u16_sdwa s[0:1], v24, s9 src0_sel:BYTE_0 src1_sel:DWORD
	v_mov_b32_e32 v27, 0
	s_and_saveexec_b64 s[18:19], s[0:1]
	s_cbranch_execz .LBB202_109
; %bb.106:                              ;   in Loop: Header=BB202_104 Depth=1
	v_and_b32_e32 v12, 0x7f, v24
	v_mov_b32_e32 v26, 0x7f800001
	v_cmp_ne_u32_e64 s[0:1], s30, v12
	v_mov_b32_e32 v27, 0
	s_and_saveexec_b64 s[20:21], s[0:1]
	s_cbranch_execz .LBB202_108
; %bb.107:                              ;   in Loop: Header=BB202_104 Depth=1
	v_and_b32_e32 v25, 7, v24
	v_ffbh_u32_e32 v26, v25
	v_min_u32_e32 v33, 32, v26
	v_subrev_u32_e32 v26, 28, v33
	v_lshlrev_b64 v[26:27], v26, v[24:25]
	v_lshrrev_b32_e32 v32, 3, v12
	v_sub_u32_e32 v27, 29, v33
	v_and_b32_e32 v26, 7, v26
	v_cmp_gt_u32_e64 s[0:1], 8, v12
	v_cndmask_b32_e64 v12, v32, v27, s[0:1]
	v_cndmask_b32_e64 v25, v25, v26, s[0:1]
	v_lshlrev_b32_e32 v25, 20, v25
	v_and_b32_sdwa v26, sext(v24), s11 dst_sel:DWORD dst_unused:UNUSED_PAD src0_sel:BYTE_0 src1_sel:DWORD
	v_lshl_add_u32 v12, v12, 23, v11
	v_or3_b32 v12, v26, v12, v25
	v_pk_mov_b32 v[26:27], v[12:13], v[12:13] op_sel:[0,1]
.LBB202_108:                            ;   in Loop: Header=BB202_104 Depth=1
	s_or_b64 exec, exec, s[20:21]
.LBB202_109:                            ;   in Loop: Header=BB202_104 Depth=1
	s_or_b64 exec, exec, s[18:19]
.LBB202_110:                            ;   in Loop: Header=BB202_104 Depth=1
	s_or_b64 exec, exec, s[2:3]
	v_cmp_ne_u16_sdwa s[0:1], v24, v13 src0_sel:BYTE_1 src1_sel:DWORD
	s_and_saveexec_b64 s[2:3], s[0:1]
	s_cbranch_execz .LBB202_116
; %bb.111:                              ;   in Loop: Header=BB202_104 Depth=1
	v_cmp_ne_u16_sdwa s[0:1], v24, s9 src0_sel:BYTE_1 src1_sel:DWORD
	v_pk_mov_b32 v[30:31], s[10:11], s[10:11] op_sel:[0,1]
	s_and_saveexec_b64 s[18:19], s[0:1]
	s_cbranch_execz .LBB202_115
; %bb.112:                              ;   in Loop: Header=BB202_104 Depth=1
	v_and_b32_sdwa v25, v24, s30 dst_sel:DWORD dst_unused:UNUSED_PAD src0_sel:BYTE_1 src1_sel:DWORD
	s_mov_b32 s16, s10
	v_cmp_ne_u32_e64 s[0:1], s30, v25
	v_pk_mov_b32 v[30:31], s[16:17], s[16:17] op_sel:[0,1]
	s_and_saveexec_b64 s[20:21], s[0:1]
	s_cbranch_execz .LBB202_114
; %bb.113:                              ;   in Loop: Header=BB202_104 Depth=1
	v_and_b32_sdwa v12, v24, v40 dst_sel:DWORD dst_unused:UNUSED_PAD src0_sel:BYTE_1 src1_sel:DWORD
	v_ffbh_u32_e32 v30, v12
	v_min_u32_e32 v33, 32, v30
	v_subrev_u32_e32 v30, 28, v33
	v_lshlrev_b64 v[30:31], v30, v[12:13]
	v_lshrrev_b32_e32 v32, 3, v25
	v_sub_u32_e32 v31, 29, v33
	v_cmp_gt_u32_e64 s[0:1], 8, v25
	v_and_b32_e32 v30, 7, v30
	v_cndmask_b32_e64 v25, v32, v31, s[0:1]
	v_cndmask_b32_e64 v12, v12, v30, s[0:1]
	v_lshlrev_b32_e32 v30, 16, v24
	v_lshl_add_u32 v25, v25, 23, v11
	v_and_or_b32 v25, v30, s11, v25
	v_lshlrev_b32_e32 v12, 20, v12
	v_or_b32_e32 v31, v25, v12
	v_mov_b32_e32 v30, v13
.LBB202_114:                            ;   in Loop: Header=BB202_104 Depth=1
	s_or_b64 exec, exec, s[20:21]
.LBB202_115:                            ;   in Loop: Header=BB202_104 Depth=1
	s_or_b64 exec, exec, s[18:19]
.LBB202_116:                            ;   in Loop: Header=BB202_104 Depth=1
	s_or_b64 exec, exec, s[2:3]
	v_lshrrev_b32_e32 v12, 16, v24
	v_pk_mov_b32 v[34:35], 0, 0
	v_cmp_ne_u16_sdwa s[0:1], v12, v13 src0_sel:BYTE_0 src1_sel:DWORD
	v_pk_mov_b32 v[32:33], v[34:35], v[34:35] op_sel:[0,1]
	s_and_saveexec_b64 s[2:3], s[0:1]
	s_cbranch_execz .LBB202_122
; %bb.117:                              ;   in Loop: Header=BB202_104 Depth=1
	v_bfrev_b32_e32 v32, 1
	v_cmp_ne_u16_sdwa s[0:1], v12, s9 src0_sel:BYTE_0 src1_sel:DWORD
	v_mov_b32_e32 v33, 0
	s_and_saveexec_b64 s[18:19], s[0:1]
	s_cbranch_execz .LBB202_121
; %bb.118:                              ;   in Loop: Header=BB202_104 Depth=1
	v_bfe_u32 v25, v24, 16, 7
	v_mov_b32_e32 v32, 0x7f800001
	v_cmp_ne_u32_e64 s[0:1], s30, v25
	v_mov_b32_e32 v33, 0
	s_and_saveexec_b64 s[20:21], s[0:1]
	s_cbranch_execz .LBB202_120
; %bb.119:                              ;   in Loop: Header=BB202_104 Depth=1
	v_and_b32_e32 v36, 7, v12
	v_ffbh_u32_e32 v32, v36
	v_min_u32_e32 v42, 32, v32
	v_subrev_u32_e32 v32, 28, v42
	v_lshlrev_b64 v[32:33], v32, v[12:13]
	v_lshrrev_b32_e32 v37, 3, v25
	v_sub_u32_e32 v33, 29, v42
	v_and_b32_e32 v32, 7, v32
	v_cmp_gt_u32_e64 s[0:1], 8, v25
	v_cndmask_b32_e64 v25, v37, v33, s[0:1]
	v_cndmask_b32_e64 v32, v36, v32, s[0:1]
	v_lshlrev_b32_e32 v32, 20, v32
	v_and_b32_sdwa v12, sext(v12), s11 dst_sel:DWORD dst_unused:UNUSED_PAD src0_sel:BYTE_0 src1_sel:DWORD
	v_lshl_add_u32 v25, v25, 23, v11
	v_or3_b32 v12, v12, v25, v32
	v_pk_mov_b32 v[32:33], v[12:13], v[12:13] op_sel:[0,1]
.LBB202_120:                            ;   in Loop: Header=BB202_104 Depth=1
	s_or_b64 exec, exec, s[20:21]
.LBB202_121:                            ;   in Loop: Header=BB202_104 Depth=1
	s_or_b64 exec, exec, s[18:19]
.LBB202_122:                            ;   in Loop: Header=BB202_104 Depth=1
	s_or_b64 exec, exec, s[2:3]
	v_cmp_lt_u32_e64 s[0:1], s31, v24
	s_and_saveexec_b64 s[2:3], s[0:1]
	s_cbranch_execz .LBB202_128
; %bb.123:                              ;   in Loop: Header=BB202_104 Depth=1
	v_cmp_ne_u32_sdwa s[0:1], v24, s9 src0_sel:BYTE_3 src1_sel:DWORD
	v_pk_mov_b32 v[34:35], s[10:11], s[10:11] op_sel:[0,1]
	s_and_saveexec_b64 s[18:19], s[0:1]
	s_cbranch_execz .LBB202_127
; %bb.124:                              ;   in Loop: Header=BB202_104 Depth=1
	v_bfe_u32 v25, v24, 24, 7
	s_mov_b32 s16, s10
	v_cmp_ne_u32_e64 s[0:1], s30, v25
	v_pk_mov_b32 v[34:35], s[16:17], s[16:17] op_sel:[0,1]
	s_and_saveexec_b64 s[20:21], s[0:1]
	s_cbranch_execz .LBB202_126
; %bb.125:                              ;   in Loop: Header=BB202_104 Depth=1
	v_and_b32_sdwa v12, v24, v40 dst_sel:DWORD dst_unused:UNUSED_PAD src0_sel:BYTE_3 src1_sel:DWORD
	v_ffbh_u32_e32 v34, v12
	v_min_u32_e32 v37, 32, v34
	v_subrev_u32_e32 v34, 28, v37
	v_lshlrev_b64 v[34:35], v34, v[12:13]
	v_lshrrev_b32_e32 v36, 3, v25
	v_sub_u32_e32 v35, 29, v37
	v_cmp_gt_u32_e64 s[0:1], 8, v25
	v_and_b32_e32 v34, 7, v34
	v_cndmask_b32_e64 v25, v36, v35, s[0:1]
	v_cndmask_b32_e64 v12, v12, v34, s[0:1]
	v_lshlrev_b32_sdwa v24, v41, v24 dst_sel:DWORD dst_unused:UNUSED_PAD src0_sel:DWORD src1_sel:BYTE_3
	v_lshl_add_u32 v25, v25, 23, v11
	v_and_or_b32 v24, v24, s11, v25
	v_lshlrev_b32_e32 v12, 20, v12
	v_or_b32_e32 v35, v24, v12
	v_mov_b32_e32 v34, v13
.LBB202_126:                            ;   in Loop: Header=BB202_104 Depth=1
	s_or_b64 exec, exec, s[20:21]
.LBB202_127:                            ;   in Loop: Header=BB202_104 Depth=1
	s_or_b64 exec, exec, s[18:19]
.LBB202_128:                            ;   in Loop: Header=BB202_104 Depth=1
	s_or_b64 exec, exec, s[2:3]
	v_or_b32_e32 v25, v31, v27
	v_or_b32_e32 v24, v30, v26
	;; [unrolled: 1-line block ×4, first 2 shown]
	v_add_u32_e32 v42, -3, v38
	v_cmp_eq_u32_e64 s[0:1], s45, v10
	v_pk_mul_f32 v[24:25], s[12:13], v[24:25]
	v_pk_mul_f32 v[26:27], s[12:13], v[26:27]
	s_and_saveexec_b64 s[18:19], s[0:1]
; %bb.129:                              ;   in Loop: Header=BB202_104 Depth=1
	v_cmp_gt_i32_e64 s[2:3], s33, v42
	v_add_u32_e32 v12, -2, v38
	v_cndmask_b32_e64 v24, 0, v24, s[2:3]
	v_cmp_gt_i32_e64 s[2:3], s33, v12
	v_add_u32_e32 v12, -1, v38
	v_cndmask_b32_e64 v25, 0, v25, s[2:3]
	v_cmp_gt_i32_e64 s[2:3], s33, v12
	v_cndmask_b32_e64 v26, 0, v26, s[2:3]
	v_cmp_gt_i32_e64 s[2:3], s33, v38
	v_cndmask_b32_e64 v27, 0, v27, s[2:3]
; %bb.130:                              ;   in Loop: Header=BB202_104 Depth=1
	s_or_b64 exec, exec, s[18:19]
	global_load_dword v28, v[28:29], off offset:256
	v_pk_mov_b32 v[32:33], 0, 0
	v_pk_mov_b32 v[30:31], v[32:33], v[32:33] op_sel:[0,1]
	s_waitcnt vmcnt(0)
	v_cmp_ne_u16_sdwa s[2:3], v28, v13 src0_sel:BYTE_0 src1_sel:DWORD
	s_and_saveexec_b64 s[18:19], s[2:3]
	s_cbranch_execz .LBB202_136
; %bb.131:                              ;   in Loop: Header=BB202_104 Depth=1
	v_bfrev_b32_e32 v30, 1
	v_cmp_ne_u16_sdwa s[2:3], v28, s9 src0_sel:BYTE_0 src1_sel:DWORD
	v_mov_b32_e32 v31, 0
	s_and_saveexec_b64 s[20:21], s[2:3]
	s_cbranch_execz .LBB202_135
; %bb.132:                              ;   in Loop: Header=BB202_104 Depth=1
	v_and_b32_e32 v12, 0x7f, v28
	v_mov_b32_e32 v30, 0x7f800001
	v_cmp_ne_u32_e64 s[2:3], s30, v12
	v_mov_b32_e32 v31, 0
	s_and_saveexec_b64 s[22:23], s[2:3]
	s_cbranch_execz .LBB202_134
; %bb.133:                              ;   in Loop: Header=BB202_104 Depth=1
	v_and_b32_e32 v29, 7, v28
	v_ffbh_u32_e32 v30, v29
	v_min_u32_e32 v35, 32, v30
	v_subrev_u32_e32 v30, 28, v35
	v_lshlrev_b64 v[30:31], v30, v[28:29]
	v_lshrrev_b32_e32 v34, 3, v12
	v_sub_u32_e32 v31, 29, v35
	v_and_b32_e32 v30, 7, v30
	v_cmp_gt_u32_e64 s[2:3], 8, v12
	v_cndmask_b32_e64 v12, v34, v31, s[2:3]
	v_cndmask_b32_e64 v29, v29, v30, s[2:3]
	v_lshlrev_b32_e32 v29, 20, v29
	v_and_b32_sdwa v30, sext(v28), s11 dst_sel:DWORD dst_unused:UNUSED_PAD src0_sel:BYTE_0 src1_sel:DWORD
	v_lshl_add_u32 v12, v12, 23, v11
	v_or3_b32 v12, v30, v12, v29
	v_pk_mov_b32 v[30:31], v[12:13], v[12:13] op_sel:[0,1]
.LBB202_134:                            ;   in Loop: Header=BB202_104 Depth=1
	s_or_b64 exec, exec, s[22:23]
.LBB202_135:                            ;   in Loop: Header=BB202_104 Depth=1
	s_or_b64 exec, exec, s[20:21]
.LBB202_136:                            ;   in Loop: Header=BB202_104 Depth=1
	s_or_b64 exec, exec, s[18:19]
	v_cmp_ne_u16_sdwa s[2:3], v28, v13 src0_sel:BYTE_1 src1_sel:DWORD
	s_and_saveexec_b64 s[18:19], s[2:3]
	s_cbranch_execz .LBB202_142
; %bb.137:                              ;   in Loop: Header=BB202_104 Depth=1
	v_cmp_ne_u16_sdwa s[2:3], v28, s9 src0_sel:BYTE_1 src1_sel:DWORD
	v_pk_mov_b32 v[32:33], s[10:11], s[10:11] op_sel:[0,1]
	s_and_saveexec_b64 s[20:21], s[2:3]
	s_cbranch_execz .LBB202_141
; %bb.138:                              ;   in Loop: Header=BB202_104 Depth=1
	v_and_b32_sdwa v29, v28, s30 dst_sel:DWORD dst_unused:UNUSED_PAD src0_sel:BYTE_1 src1_sel:DWORD
	s_mov_b32 s16, s10
	v_cmp_ne_u32_e64 s[2:3], s30, v29
	v_pk_mov_b32 v[32:33], s[16:17], s[16:17] op_sel:[0,1]
	s_and_saveexec_b64 s[22:23], s[2:3]
	s_cbranch_execz .LBB202_140
; %bb.139:                              ;   in Loop: Header=BB202_104 Depth=1
	v_and_b32_sdwa v12, v28, v40 dst_sel:DWORD dst_unused:UNUSED_PAD src0_sel:BYTE_1 src1_sel:DWORD
	v_ffbh_u32_e32 v32, v12
	v_min_u32_e32 v35, 32, v32
	v_subrev_u32_e32 v32, 28, v35
	v_lshlrev_b64 v[32:33], v32, v[12:13]
	v_lshrrev_b32_e32 v34, 3, v29
	v_sub_u32_e32 v33, 29, v35
	v_cmp_gt_u32_e64 s[2:3], 8, v29
	v_and_b32_e32 v32, 7, v32
	v_cndmask_b32_e64 v29, v34, v33, s[2:3]
	v_cndmask_b32_e64 v12, v12, v32, s[2:3]
	v_lshlrev_b32_e32 v32, 16, v28
	v_lshl_add_u32 v29, v29, 23, v11
	v_and_or_b32 v29, v32, s11, v29
	v_lshlrev_b32_e32 v12, 20, v12
	v_or_b32_e32 v33, v29, v12
	v_mov_b32_e32 v32, v13
.LBB202_140:                            ;   in Loop: Header=BB202_104 Depth=1
	s_or_b64 exec, exec, s[22:23]
.LBB202_141:                            ;   in Loop: Header=BB202_104 Depth=1
	s_or_b64 exec, exec, s[20:21]
.LBB202_142:                            ;   in Loop: Header=BB202_104 Depth=1
	s_or_b64 exec, exec, s[18:19]
	v_lshrrev_b32_e32 v12, 16, v28
	v_pk_mov_b32 v[36:37], 0, 0
	v_cmp_ne_u16_sdwa s[2:3], v12, v13 src0_sel:BYTE_0 src1_sel:DWORD
	v_pk_mov_b32 v[34:35], v[36:37], v[36:37] op_sel:[0,1]
	s_and_saveexec_b64 s[18:19], s[2:3]
	s_cbranch_execz .LBB202_148
; %bb.143:                              ;   in Loop: Header=BB202_104 Depth=1
	v_bfrev_b32_e32 v34, 1
	v_cmp_ne_u16_sdwa s[2:3], v12, s9 src0_sel:BYTE_0 src1_sel:DWORD
	v_mov_b32_e32 v35, 0
	s_and_saveexec_b64 s[20:21], s[2:3]
	s_cbranch_execz .LBB202_147
; %bb.144:                              ;   in Loop: Header=BB202_104 Depth=1
	v_bfe_u32 v29, v28, 16, 7
	v_mov_b32_e32 v34, 0x7f800001
	v_cmp_ne_u32_e64 s[2:3], s30, v29
	v_mov_b32_e32 v35, 0
	s_and_saveexec_b64 s[22:23], s[2:3]
	s_cbranch_execz .LBB202_146
; %bb.145:                              ;   in Loop: Header=BB202_104 Depth=1
	v_and_b32_e32 v43, 7, v12
	v_ffbh_u32_e32 v34, v43
	v_min_u32_e32 v45, 32, v34
	v_subrev_u32_e32 v34, 28, v45
	v_lshlrev_b64 v[34:35], v34, v[12:13]
	v_lshrrev_b32_e32 v44, 3, v29
	v_sub_u32_e32 v35, 29, v45
	v_and_b32_e32 v34, 7, v34
	v_cmp_gt_u32_e64 s[2:3], 8, v29
	v_cndmask_b32_e64 v29, v44, v35, s[2:3]
	v_cndmask_b32_e64 v34, v43, v34, s[2:3]
	v_lshlrev_b32_e32 v34, 20, v34
	v_and_b32_sdwa v12, sext(v12), s11 dst_sel:DWORD dst_unused:UNUSED_PAD src0_sel:BYTE_0 src1_sel:DWORD
	v_lshl_add_u32 v29, v29, 23, v11
	v_or3_b32 v12, v12, v29, v34
	v_pk_mov_b32 v[34:35], v[12:13], v[12:13] op_sel:[0,1]
.LBB202_146:                            ;   in Loop: Header=BB202_104 Depth=1
	s_or_b64 exec, exec, s[22:23]
.LBB202_147:                            ;   in Loop: Header=BB202_104 Depth=1
	s_or_b64 exec, exec, s[20:21]
.LBB202_148:                            ;   in Loop: Header=BB202_104 Depth=1
	s_or_b64 exec, exec, s[18:19]
	v_cmp_lt_u32_e64 s[2:3], s31, v28
	s_and_saveexec_b64 s[18:19], s[2:3]
	s_cbranch_execz .LBB202_154
; %bb.149:                              ;   in Loop: Header=BB202_104 Depth=1
	v_cmp_ne_u32_sdwa s[2:3], v28, s9 src0_sel:BYTE_3 src1_sel:DWORD
	v_pk_mov_b32 v[36:37], s[10:11], s[10:11] op_sel:[0,1]
	s_and_saveexec_b64 s[20:21], s[2:3]
	s_cbranch_execz .LBB202_153
; %bb.150:                              ;   in Loop: Header=BB202_104 Depth=1
	v_bfe_u32 v29, v28, 24, 7
	s_mov_b32 s16, s10
	v_cmp_ne_u32_e64 s[2:3], s30, v29
	v_pk_mov_b32 v[36:37], s[16:17], s[16:17] op_sel:[0,1]
	s_and_saveexec_b64 s[22:23], s[2:3]
	s_cbranch_execz .LBB202_152
; %bb.151:                              ;   in Loop: Header=BB202_104 Depth=1
	v_and_b32_sdwa v12, v28, v40 dst_sel:DWORD dst_unused:UNUSED_PAD src0_sel:BYTE_3 src1_sel:DWORD
	v_ffbh_u32_e32 v36, v12
	v_min_u32_e32 v44, 32, v36
	v_subrev_u32_e32 v36, 28, v44
	v_lshlrev_b64 v[36:37], v36, v[12:13]
	v_lshrrev_b32_e32 v43, 3, v29
	v_sub_u32_e32 v37, 29, v44
	v_cmp_gt_u32_e64 s[2:3], 8, v29
	v_and_b32_e32 v36, 7, v36
	v_cndmask_b32_e64 v29, v43, v37, s[2:3]
	v_cndmask_b32_e64 v12, v12, v36, s[2:3]
	v_lshlrev_b32_sdwa v28, v41, v28 dst_sel:DWORD dst_unused:UNUSED_PAD src0_sel:DWORD src1_sel:BYTE_3
	v_lshl_add_u32 v29, v29, 23, v11
	v_and_or_b32 v28, v28, s11, v29
	v_lshlrev_b32_e32 v12, 20, v12
	v_or_b32_e32 v37, v28, v12
	v_mov_b32_e32 v36, v13
.LBB202_152:                            ;   in Loop: Header=BB202_104 Depth=1
	s_or_b64 exec, exec, s[22:23]
.LBB202_153:                            ;   in Loop: Header=BB202_104 Depth=1
	s_or_b64 exec, exec, s[20:21]
.LBB202_154:                            ;   in Loop: Header=BB202_104 Depth=1
	s_or_b64 exec, exec, s[18:19]
	v_or_b32_e32 v29, v33, v31
	v_or_b32_e32 v28, v32, v30
	;; [unrolled: 1-line block ×4, first 2 shown]
	v_pk_mul_f32 v[28:29], s[12:13], v[28:29]
	v_pk_mul_f32 v[30:31], s[12:13], v[30:31]
	s_and_saveexec_b64 s[18:19], s[0:1]
; %bb.155:                              ;   in Loop: Header=BB202_104 Depth=1
	v_cmp_gt_i32_e64 s[2:3], s33, v42
	v_add_u32_e32 v12, -2, v38
	v_cndmask_b32_e64 v28, 0, v28, s[2:3]
	v_cmp_gt_i32_e64 s[2:3], s33, v12
	v_add_u32_e32 v12, -1, v38
	v_cndmask_b32_e64 v29, 0, v29, s[2:3]
	v_cmp_gt_i32_e64 s[2:3], s33, v12
	v_cndmask_b32_e64 v30, 0, v30, s[2:3]
	v_cmp_gt_i32_e64 s[2:3], s33, v38
	v_cndmask_b32_e64 v31, 0, v31, s[2:3]
; %bb.156:                              ;   in Loop: Header=BB202_104 Depth=1
	s_or_b64 exec, exec, s[18:19]
	s_waitcnt lgkmcnt(0)
	v_mul_f32_e32 v12, v3, v25
	v_fmac_f32_e32 v12, v2, v24
	v_fmac_f32_e32 v12, v4, v26
	v_fmac_f32_e32 v12, v5, v27
	v_add_f32_e32 v16, v16, v12
	v_mul_f32_e32 v12, v3, v29
	v_fmac_f32_e32 v12, v2, v28
	v_fmac_f32_e32 v12, v4, v30
	;; [unrolled: 1-line block ×3, first 2 shown]
	v_add_f32_e32 v17, v17, v12
	s_and_saveexec_b64 s[18:19], vcc
	s_cbranch_execz .LBB202_103
; %bb.157:                              ;   in Loop: Header=BB202_104 Depth=1
	v_add_co_u32_e64 v22, s[2:3], v22, v14
	v_addc_co_u32_e64 v23, s[2:3], 0, v23, s[2:3]
	global_load_dword v22, v[22:23], off
	v_pk_mov_b32 v[26:27], 0, 0
	v_pk_mov_b32 v[24:25], v[26:27], v[26:27] op_sel:[0,1]
	s_waitcnt vmcnt(0)
	v_cmp_ne_u16_sdwa s[2:3], v22, v13 src0_sel:BYTE_0 src1_sel:DWORD
	s_and_saveexec_b64 s[20:21], s[2:3]
	s_cbranch_execz .LBB202_163
; %bb.158:                              ;   in Loop: Header=BB202_104 Depth=1
	v_bfrev_b32_e32 v24, 1
	v_cmp_ne_u16_sdwa s[2:3], v22, s9 src0_sel:BYTE_0 src1_sel:DWORD
	v_mov_b32_e32 v25, 0
	s_and_saveexec_b64 s[22:23], s[2:3]
	s_cbranch_execz .LBB202_162
; %bb.159:                              ;   in Loop: Header=BB202_104 Depth=1
	v_and_b32_e32 v12, 0x7f, v22
	v_mov_b32_e32 v24, 0x7f800001
	v_cmp_ne_u32_e64 s[2:3], s30, v12
	v_mov_b32_e32 v25, 0
	s_and_saveexec_b64 s[28:29], s[2:3]
	s_cbranch_execz .LBB202_161
; %bb.160:                              ;   in Loop: Header=BB202_104 Depth=1
	v_and_b32_e32 v23, 7, v22
	v_ffbh_u32_e32 v24, v23
	v_min_u32_e32 v29, 32, v24
	v_subrev_u32_e32 v24, 28, v29
	v_lshlrev_b64 v[24:25], v24, v[22:23]
	v_lshrrev_b32_e32 v28, 3, v12
	v_sub_u32_e32 v25, 29, v29
	v_and_b32_e32 v24, 7, v24
	v_cmp_gt_u32_e64 s[2:3], 8, v12
	v_cndmask_b32_e64 v12, v28, v25, s[2:3]
	v_cndmask_b32_e64 v23, v23, v24, s[2:3]
	v_lshlrev_b32_e32 v23, 20, v23
	v_and_b32_sdwa v24, sext(v22), s11 dst_sel:DWORD dst_unused:UNUSED_PAD src0_sel:BYTE_0 src1_sel:DWORD
	v_lshl_add_u32 v12, v12, 23, v11
	v_or3_b32 v12, v24, v12, v23
	v_pk_mov_b32 v[24:25], v[12:13], v[12:13] op_sel:[0,1]
.LBB202_161:                            ;   in Loop: Header=BB202_104 Depth=1
	s_or_b64 exec, exec, s[28:29]
.LBB202_162:                            ;   in Loop: Header=BB202_104 Depth=1
	s_or_b64 exec, exec, s[22:23]
.LBB202_163:                            ;   in Loop: Header=BB202_104 Depth=1
	s_or_b64 exec, exec, s[20:21]
	v_cmp_ne_u16_sdwa s[2:3], v22, v13 src0_sel:BYTE_1 src1_sel:DWORD
	s_and_saveexec_b64 s[20:21], s[2:3]
	s_cbranch_execz .LBB202_169
; %bb.164:                              ;   in Loop: Header=BB202_104 Depth=1
	v_cmp_ne_u16_sdwa s[2:3], v22, s9 src0_sel:BYTE_1 src1_sel:DWORD
	v_pk_mov_b32 v[26:27], s[10:11], s[10:11] op_sel:[0,1]
	s_and_saveexec_b64 s[22:23], s[2:3]
	s_cbranch_execz .LBB202_168
; %bb.165:                              ;   in Loop: Header=BB202_104 Depth=1
	v_and_b32_sdwa v23, v22, s30 dst_sel:DWORD dst_unused:UNUSED_PAD src0_sel:BYTE_1 src1_sel:DWORD
	s_mov_b32 s16, s10
	v_cmp_ne_u32_e64 s[2:3], s30, v23
	v_pk_mov_b32 v[26:27], s[16:17], s[16:17] op_sel:[0,1]
	s_and_saveexec_b64 s[28:29], s[2:3]
	s_cbranch_execz .LBB202_167
; %bb.166:                              ;   in Loop: Header=BB202_104 Depth=1
	v_and_b32_sdwa v12, v22, v40 dst_sel:DWORD dst_unused:UNUSED_PAD src0_sel:BYTE_1 src1_sel:DWORD
	v_ffbh_u32_e32 v26, v12
	v_min_u32_e32 v29, 32, v26
	v_subrev_u32_e32 v26, 28, v29
	v_lshlrev_b64 v[26:27], v26, v[12:13]
	v_lshrrev_b32_e32 v28, 3, v23
	v_sub_u32_e32 v27, 29, v29
	v_cmp_gt_u32_e64 s[2:3], 8, v23
	v_and_b32_e32 v26, 7, v26
	v_cndmask_b32_e64 v23, v28, v27, s[2:3]
	v_cndmask_b32_e64 v12, v12, v26, s[2:3]
	v_lshlrev_b32_e32 v26, 16, v22
	v_lshl_add_u32 v23, v23, 23, v11
	v_and_or_b32 v23, v26, s11, v23
	v_lshlrev_b32_e32 v12, 20, v12
	v_or_b32_e32 v27, v23, v12
	v_mov_b32_e32 v26, v13
.LBB202_167:                            ;   in Loop: Header=BB202_104 Depth=1
	s_or_b64 exec, exec, s[28:29]
.LBB202_168:                            ;   in Loop: Header=BB202_104 Depth=1
	s_or_b64 exec, exec, s[22:23]
.LBB202_169:                            ;   in Loop: Header=BB202_104 Depth=1
	s_or_b64 exec, exec, s[20:21]
	v_lshrrev_b32_e32 v12, 16, v22
	v_pk_mov_b32 v[30:31], 0, 0
	v_cmp_ne_u16_sdwa s[2:3], v12, v13 src0_sel:BYTE_0 src1_sel:DWORD
	v_pk_mov_b32 v[28:29], v[30:31], v[30:31] op_sel:[0,1]
	s_and_saveexec_b64 s[20:21], s[2:3]
	s_cbranch_execz .LBB202_175
; %bb.170:                              ;   in Loop: Header=BB202_104 Depth=1
	v_bfrev_b32_e32 v28, 1
	v_cmp_ne_u16_sdwa s[2:3], v12, s9 src0_sel:BYTE_0 src1_sel:DWORD
	v_mov_b32_e32 v29, 0
	s_and_saveexec_b64 s[22:23], s[2:3]
	s_cbranch_execz .LBB202_174
; %bb.171:                              ;   in Loop: Header=BB202_104 Depth=1
	v_bfe_u32 v23, v22, 16, 7
	v_mov_b32_e32 v28, 0x7f800001
	v_cmp_ne_u32_e64 s[2:3], s30, v23
	v_mov_b32_e32 v29, 0
	s_and_saveexec_b64 s[28:29], s[2:3]
	s_cbranch_execz .LBB202_173
; %bb.172:                              ;   in Loop: Header=BB202_104 Depth=1
	v_and_b32_e32 v32, 7, v12
	v_ffbh_u32_e32 v28, v32
	v_min_u32_e32 v34, 32, v28
	v_subrev_u32_e32 v28, 28, v34
	v_lshlrev_b64 v[28:29], v28, v[12:13]
	v_lshrrev_b32_e32 v33, 3, v23
	v_sub_u32_e32 v29, 29, v34
	v_and_b32_e32 v28, 7, v28
	v_cmp_gt_u32_e64 s[2:3], 8, v23
	v_cndmask_b32_e64 v23, v33, v29, s[2:3]
	v_cndmask_b32_e64 v28, v32, v28, s[2:3]
	v_lshlrev_b32_e32 v28, 20, v28
	v_and_b32_sdwa v12, sext(v12), s11 dst_sel:DWORD dst_unused:UNUSED_PAD src0_sel:BYTE_0 src1_sel:DWORD
	v_lshl_add_u32 v23, v23, 23, v11
	v_or3_b32 v12, v12, v23, v28
	v_pk_mov_b32 v[28:29], v[12:13], v[12:13] op_sel:[0,1]
.LBB202_173:                            ;   in Loop: Header=BB202_104 Depth=1
	s_or_b64 exec, exec, s[28:29]
.LBB202_174:                            ;   in Loop: Header=BB202_104 Depth=1
	s_or_b64 exec, exec, s[22:23]
.LBB202_175:                            ;   in Loop: Header=BB202_104 Depth=1
	s_or_b64 exec, exec, s[20:21]
	v_cmp_lt_u32_e64 s[2:3], s31, v22
	s_and_saveexec_b64 s[20:21], s[2:3]
	s_cbranch_execz .LBB202_181
; %bb.176:                              ;   in Loop: Header=BB202_104 Depth=1
	v_cmp_ne_u32_sdwa s[2:3], v22, s9 src0_sel:BYTE_3 src1_sel:DWORD
	v_pk_mov_b32 v[30:31], s[10:11], s[10:11] op_sel:[0,1]
	s_and_saveexec_b64 s[22:23], s[2:3]
	s_cbranch_execz .LBB202_180
; %bb.177:                              ;   in Loop: Header=BB202_104 Depth=1
	v_bfe_u32 v23, v22, 24, 7
	s_mov_b32 s16, s10
	v_cmp_ne_u32_e64 s[2:3], s30, v23
	v_pk_mov_b32 v[30:31], s[16:17], s[16:17] op_sel:[0,1]
	s_and_saveexec_b64 s[28:29], s[2:3]
	s_cbranch_execz .LBB202_179
; %bb.178:                              ;   in Loop: Header=BB202_104 Depth=1
	v_and_b32_sdwa v12, v22, v40 dst_sel:DWORD dst_unused:UNUSED_PAD src0_sel:BYTE_3 src1_sel:DWORD
	v_ffbh_u32_e32 v30, v12
	v_min_u32_e32 v33, 32, v30
	v_subrev_u32_e32 v30, 28, v33
	v_lshlrev_b64 v[30:31], v30, v[12:13]
	v_lshrrev_b32_e32 v32, 3, v23
	v_sub_u32_e32 v31, 29, v33
	v_cmp_gt_u32_e64 s[2:3], 8, v23
	v_and_b32_e32 v30, 7, v30
	v_cndmask_b32_e64 v23, v32, v31, s[2:3]
	v_cndmask_b32_e64 v12, v12, v30, s[2:3]
	v_lshlrev_b32_sdwa v22, v41, v22 dst_sel:DWORD dst_unused:UNUSED_PAD src0_sel:DWORD src1_sel:BYTE_3
	v_lshl_add_u32 v23, v23, 23, v11
	v_and_or_b32 v22, v22, s11, v23
	v_lshlrev_b32_e32 v12, 20, v12
	v_or_b32_e32 v31, v22, v12
	v_mov_b32_e32 v30, v13
.LBB202_179:                            ;   in Loop: Header=BB202_104 Depth=1
	s_or_b64 exec, exec, s[28:29]
.LBB202_180:                            ;   in Loop: Header=BB202_104 Depth=1
	s_or_b64 exec, exec, s[22:23]
.LBB202_181:                            ;   in Loop: Header=BB202_104 Depth=1
	s_or_b64 exec, exec, s[20:21]
	v_or_b32_e32 v23, v27, v25
	v_or_b32_e32 v22, v26, v24
	;; [unrolled: 1-line block ×4, first 2 shown]
	v_pk_mul_f32 v[22:23], s[12:13], v[22:23]
	v_pk_mul_f32 v[24:25], s[12:13], v[24:25]
	s_and_saveexec_b64 s[2:3], s[0:1]
	s_cbranch_execz .LBB202_102
; %bb.182:                              ;   in Loop: Header=BB202_104 Depth=1
	v_cmp_gt_i32_e64 s[0:1], s33, v42
	v_add_u32_e32 v12, -2, v38
	v_cndmask_b32_e64 v22, 0, v22, s[0:1]
	v_cmp_gt_i32_e64 s[0:1], s33, v12
	v_add_u32_e32 v12, -1, v38
	v_cndmask_b32_e64 v23, 0, v23, s[0:1]
	v_cmp_gt_i32_e64 s[0:1], s33, v12
	v_cndmask_b32_e64 v24, 0, v24, s[0:1]
	v_cmp_gt_i32_e64 s[0:1], s33, v38
	v_cndmask_b32_e64 v25, 0, v25, s[0:1]
	s_branch .LBB202_102
.LBB202_183:
	s_or_b64 exec, exec, s[14:15]
.LBB202_184:
	s_or_b64 exec, exec, s[6:7]
	ds_bpermute_b32 v2, v7, v16
	ds_bpermute_b32 v3, v7, v17
	;; [unrolled: 1-line block ×3, first 2 shown]
	v_and_b32_e32 v5, 0x3c0, v0
	v_cmp_eq_u32_e32 vcc, 64, v5
	s_waitcnt lgkmcnt(0)
	v_pk_add_f32 v[2:3], v[16:17], v[2:3]
	v_add_f32_e32 v4, v6, v4
	s_barrier
	s_and_saveexec_b64 s[2:3], vcc
	s_cbranch_execz .LBB202_189
; %bb.185:
	v_cmp_eq_u32_e32 vcc, 0, v9
	s_and_saveexec_b64 s[0:1], vcc
	s_cbranch_execz .LBB202_187
; %bb.186:
	v_mov_b32_e32 v5, 0x150
	v_lshl_add_u32 v5, v15, 2, v5
	ds_write2_b32 v5, v2, v3 offset1:32
.LBB202_187:
	s_or_b64 exec, exec, s[0:1]
	v_or_b32_e32 v5, 64, v15
	s_movk_i32 s0, 0x50
	v_cmp_gt_u32_e64 s[0:1], s0, v5
	s_and_b64 s[0:1], vcc, s[0:1]
	s_and_b64 exec, exec, s[0:1]
	s_cbranch_execz .LBB202_189
; %bb.188:
	v_mov_b32_e32 v5, 0x150
	v_lshl_add_u32 v5, v15, 2, v5
	ds_write_b32 v5, v4 offset:256
.LBB202_189:
	s_or_b64 exec, exec, s[2:3]
	v_cmp_gt_u32_e32 vcc, 64, v0
	s_waitcnt lgkmcnt(0)
	s_barrier
	s_and_saveexec_b64 s[6:7], vcc
	s_cbranch_execz .LBB202_197
; %bb.190:
	v_cmp_eq_u32_e64 s[0:1], 0, v9
	s_and_saveexec_b64 s[2:3], s[0:1]
	s_cbranch_execz .LBB202_192
; %bb.191:
	v_mov_b32_e32 v0, 0x150
	v_lshl_add_u32 v0, v1, 2, v0
	ds_read_b32 v0, v0
	s_waitcnt lgkmcnt(0)
	v_add_f32_e32 v2, v2, v0
.LBB202_192:
	s_or_b64 exec, exec, s[2:3]
	s_and_saveexec_b64 s[2:3], s[0:1]
	s_cbranch_execz .LBB202_194
; %bb.193:
	v_mov_b32_e32 v0, 0x150
	v_lshl_add_u32 v0, v1, 2, v0
	ds_read_b32 v0, v0 offset:128
	s_waitcnt lgkmcnt(0)
	v_add_f32_e32 v3, v3, v0
.LBB202_194:
	s_or_b64 exec, exec, s[2:3]
	v_or_b32_e32 v0, 64, v1
	s_movk_i32 s2, 0x50
	v_cmp_gt_u32_e64 s[2:3], s2, v0
	s_and_b64 s[2:3], s[0:1], s[2:3]
	s_and_saveexec_b64 s[0:1], s[2:3]
	s_cbranch_execz .LBB202_196
; %bb.195:
	v_mov_b32_e32 v0, 0x150
	v_lshl_add_u32 v0, v1, 2, v0
	ds_read_b32 v0, v0 offset:256
	s_waitcnt lgkmcnt(0)
	v_add_f32_e32 v4, v4, v0
.LBB202_196:
	s_or_b64 exec, exec, s[0:1]
.LBB202_197:
	s_or_b64 exec, exec, s[6:7]
	s_barrier
	s_and_saveexec_b64 s[0:1], vcc
	s_cbranch_execz .LBB202_202
; %bb.198:
	s_mul_i32 s0, s4, 0x50
	s_ashr_i32 s1, s0, 31
	s_lshl_b64 s[0:1], s[0:1], 2
	s_add_u32 s2, s26, s0
	s_mul_i32 s0, s25, s24
	s_addc_u32 s3, s27, s1
	s_ashr_i32 s1, s0, 31
	s_lshl_b64 s[0:1], s[0:1], 2
	s_add_u32 s2, s2, s0
	s_mul_i32 s0, s8, 0x50
	s_addc_u32 s3, s3, s1
	s_ashr_i32 s1, s0, 31
	s_lshl_b64 s[0:1], s[0:1], 2
	s_add_u32 s2, s2, s0
	s_movk_i32 s5, 0x50
	s_addc_u32 s3, s3, s1
	v_cmp_eq_u32_e32 vcc, 0, v9
	v_lshlrev_b32_e32 v0, 2, v1
	s_and_saveexec_b64 s[0:1], vcc
	s_cbranch_execz .LBB202_200
; %bb.199:
	global_store_dword v0, v2, s[2:3]
	global_store_dword v0, v3, s[2:3] offset:128
.LBB202_200:
	s_or_b64 exec, exec, s[0:1]
	v_or_b32_e32 v1, 64, v1
	v_cmp_gt_u32_e64 s[0:1], s5, v1
	s_and_b64 s[0:1], vcc, s[0:1]
	s_and_b64 exec, exec, s[0:1]
	s_cbranch_execz .LBB202_202
; %bb.201:
	global_store_dword v0, v4, s[2:3] offset:256
.LBB202_202:
	s_endpgm
	.section	.rodata,"a",@progbits
	.p2align	6, 0x0
	.amdhsa_kernel _ZN4vllm25paged_attention_v2_kernelIfhLi80ELi8ELi128ELNS_18Fp8KVCacheDataTypeE1ELb0ELi512EEEvPfS2_PT_PKS3_PKT0_S9_ifPKiSB_iPKfiiiSD_SD_iiiii
		.amdhsa_group_segment_fixed_size 336
		.amdhsa_private_segment_fixed_size 0
		.amdhsa_kernarg_size 400
		.amdhsa_user_sgpr_count 6
		.amdhsa_user_sgpr_private_segment_buffer 1
		.amdhsa_user_sgpr_dispatch_ptr 0
		.amdhsa_user_sgpr_queue_ptr 0
		.amdhsa_user_sgpr_kernarg_segment_ptr 1
		.amdhsa_user_sgpr_dispatch_id 0
		.amdhsa_user_sgpr_flat_scratch_init 0
		.amdhsa_user_sgpr_kernarg_preload_length 0
		.amdhsa_user_sgpr_kernarg_preload_offset 0
		.amdhsa_user_sgpr_private_segment_size 0
		.amdhsa_uses_dynamic_stack 0
		.amdhsa_system_sgpr_private_segment_wavefront_offset 0
		.amdhsa_system_sgpr_workgroup_id_x 1
		.amdhsa_system_sgpr_workgroup_id_y 1
		.amdhsa_system_sgpr_workgroup_id_z 1
		.amdhsa_system_sgpr_workgroup_info 0
		.amdhsa_system_vgpr_workitem_id 0
		.amdhsa_next_free_vgpr 50
		.amdhsa_next_free_sgpr 51
		.amdhsa_accum_offset 52
		.amdhsa_reserve_vcc 1
		.amdhsa_reserve_flat_scratch 0
		.amdhsa_float_round_mode_32 0
		.amdhsa_float_round_mode_16_64 0
		.amdhsa_float_denorm_mode_32 3
		.amdhsa_float_denorm_mode_16_64 3
		.amdhsa_dx10_clamp 1
		.amdhsa_ieee_mode 1
		.amdhsa_fp16_overflow 0
		.amdhsa_tg_split 0
		.amdhsa_exception_fp_ieee_invalid_op 0
		.amdhsa_exception_fp_denorm_src 0
		.amdhsa_exception_fp_ieee_div_zero 0
		.amdhsa_exception_fp_ieee_overflow 0
		.amdhsa_exception_fp_ieee_underflow 0
		.amdhsa_exception_fp_ieee_inexact 0
		.amdhsa_exception_int_div_zero 0
	.end_amdhsa_kernel
	.section	.text._ZN4vllm25paged_attention_v2_kernelIfhLi80ELi8ELi128ELNS_18Fp8KVCacheDataTypeE1ELb0ELi512EEEvPfS2_PT_PKS3_PKT0_S9_ifPKiSB_iPKfiiiSD_SD_iiiii,"axG",@progbits,_ZN4vllm25paged_attention_v2_kernelIfhLi80ELi8ELi128ELNS_18Fp8KVCacheDataTypeE1ELb0ELi512EEEvPfS2_PT_PKS3_PKT0_S9_ifPKiSB_iPKfiiiSD_SD_iiiii,comdat
.Lfunc_end202:
	.size	_ZN4vllm25paged_attention_v2_kernelIfhLi80ELi8ELi128ELNS_18Fp8KVCacheDataTypeE1ELb0ELi512EEEvPfS2_PT_PKS3_PKT0_S9_ifPKiSB_iPKfiiiSD_SD_iiiii, .Lfunc_end202-_ZN4vllm25paged_attention_v2_kernelIfhLi80ELi8ELi128ELNS_18Fp8KVCacheDataTypeE1ELb0ELi512EEEvPfS2_PT_PKS3_PKT0_S9_ifPKiSB_iPKfiiiSD_SD_iiiii
                                        ; -- End function
	.section	.AMDGPU.csdata,"",@progbits
; Kernel info:
; codeLenInByte = 8312
; NumSgprs: 55
; NumVgprs: 50
; NumAgprs: 0
; TotalNumVgprs: 50
; ScratchSize: 0
; MemoryBound: 0
; FloatMode: 240
; IeeeMode: 1
; LDSByteSize: 336 bytes/workgroup (compile time only)
; SGPRBlocks: 6
; VGPRBlocks: 6
; NumSGPRsForWavesPerEU: 55
; NumVGPRsForWavesPerEU: 50
; AccumOffset: 52
; Occupancy: 8
; WaveLimiterHint : 1
; COMPUTE_PGM_RSRC2:SCRATCH_EN: 0
; COMPUTE_PGM_RSRC2:USER_SGPR: 6
; COMPUTE_PGM_RSRC2:TRAP_HANDLER: 0
; COMPUTE_PGM_RSRC2:TGID_X_EN: 1
; COMPUTE_PGM_RSRC2:TGID_Y_EN: 1
; COMPUTE_PGM_RSRC2:TGID_Z_EN: 1
; COMPUTE_PGM_RSRC2:TIDIG_COMP_CNT: 0
; COMPUTE_PGM_RSRC3_GFX90A:ACCUM_OFFSET: 12
; COMPUTE_PGM_RSRC3_GFX90A:TG_SPLIT: 0
	.section	.text._ZN4vllm25paged_attention_v2_kernelIfhLi96ELi8ELi128ELNS_18Fp8KVCacheDataTypeE1ELb0ELi512EEEvPfS2_PT_PKS3_PKT0_S9_ifPKiSB_iPKfiiiSD_SD_iiiii,"axG",@progbits,_ZN4vllm25paged_attention_v2_kernelIfhLi96ELi8ELi128ELNS_18Fp8KVCacheDataTypeE1ELb0ELi512EEEvPfS2_PT_PKS3_PKT0_S9_ifPKiSB_iPKfiiiSD_SD_iiiii,comdat
	.protected	_ZN4vllm25paged_attention_v2_kernelIfhLi96ELi8ELi128ELNS_18Fp8KVCacheDataTypeE1ELb0ELi512EEEvPfS2_PT_PKS3_PKT0_S9_ifPKiSB_iPKfiiiSD_SD_iiiii ; -- Begin function _ZN4vllm25paged_attention_v2_kernelIfhLi96ELi8ELi128ELNS_18Fp8KVCacheDataTypeE1ELb0ELi512EEEvPfS2_PT_PKS3_PKT0_S9_ifPKiSB_iPKfiiiSD_SD_iiiii
	.globl	_ZN4vllm25paged_attention_v2_kernelIfhLi96ELi8ELi128ELNS_18Fp8KVCacheDataTypeE1ELb0ELi512EEEvPfS2_PT_PKS3_PKT0_S9_ifPKiSB_iPKfiiiSD_SD_iiiii
	.p2align	8
	.type	_ZN4vllm25paged_attention_v2_kernelIfhLi96ELi8ELi128ELNS_18Fp8KVCacheDataTypeE1ELb0ELi512EEEvPfS2_PT_PKS3_PKT0_S9_ifPKiSB_iPKfiiiSD_SD_iiiii,@function
_ZN4vllm25paged_attention_v2_kernelIfhLi96ELi8ELi128ELNS_18Fp8KVCacheDataTypeE1ELb0ELi512EEEvPfS2_PT_PKS3_PKT0_S9_ifPKiSB_iPKfiiiSD_SD_iiiii: ; @_ZN4vllm25paged_attention_v2_kernelIfhLi96ELi8ELi128ELNS_18Fp8KVCacheDataTypeE1ELb0ELi512EEEvPfS2_PT_PKS3_PKT0_S9_ifPKiSB_iPKfiiiSD_SD_iiiii
; %bb.0:
	s_load_dwordx2 s[0:1], s[4:5], 0x40
	s_mov_b32 s28, s7
	s_ashr_i32 s29, s7, 31
	s_lshl_b64 s[2:3], s[28:29], 2
	s_waitcnt lgkmcnt(0)
	s_add_u32 s0, s0, s2
	s_addc_u32 s1, s1, s3
	s_load_dword s29, s[0:1], 0x0
	s_lshl_b32 s44, s8, 9
	s_waitcnt lgkmcnt(0)
	s_cmp_ge_i32 s44, s29
	s_cbranch_scc1 .LBB203_204
; %bb.1:
	s_load_dword s9, s[4:5], 0x90
	s_load_dwordx2 s[10:11], s[4:5], 0x30
	s_mov_b32 s45, 0
	s_waitcnt lgkmcnt(0)
	s_abs_i32 s2, s9
	s_abs_i32 s0, s10
	v_cvt_f32_u32_e32 v1, s0
	s_sub_i32 s3, 0, s0
	s_xor_b32 s1, s9, s10
	s_ashr_i32 s1, s1, 31
	v_rcp_iflag_f32_e32 v1, v1
	v_mul_f32_e32 v1, 0x4f7ffffe, v1
	v_cvt_u32_f32_e32 v1, v1
	v_readfirstlane_b32 s7, v1
	s_mul_i32 s3, s3, s7
	s_mul_hi_u32 s3, s7, s3
	s_add_i32 s7, s7, s3
	s_mul_hi_u32 s3, s2, s7
	s_mul_i32 s7, s3, s0
	s_sub_i32 s2, s2, s7
	s_add_i32 s10, s3, 1
	s_sub_i32 s7, s2, s0
	s_cmp_ge_u32 s2, s0
	s_cselect_b32 s3, s10, s3
	s_cselect_b32 s2, s7, s2
	s_add_i32 s7, s3, 1
	s_cmp_ge_u32 s2, s0
	s_cselect_b32 s0, s7, s3
	s_xor_b32 s0, s0, s1
	s_sub_i32 s10, s0, s1
	s_abs_i32 s2, s10
	v_cvt_f32_u32_e32 v1, s2
	s_load_dwordx2 s[0:1], s[4:5], 0x50
	s_sub_i32 s7, 0, s2
	s_abs_i32 s3, s6
	v_rcp_iflag_f32_e32 v1, v1
	v_mul_f32_e32 v1, 0x4f7ffffe, v1
	v_cvt_u32_f32_e32 v1, v1
	v_readfirstlane_b32 s12, v1
	s_mul_i32 s7, s7, s12
	s_mul_hi_u32 s7, s12, s7
	s_add_i32 s12, s12, s7
	s_waitcnt lgkmcnt(0)
	s_cmp_eq_u64 s[0:1], 0
	s_mul_hi_u32 s16, s3, s12
	s_cbranch_scc1 .LBB203_3
; %bb.2:
	s_ashr_i32 s7, s6, 31
	s_lshl_b64 s[12:13], s[6:7], 2
	s_add_u32 s0, s0, s12
	s_addc_u32 s1, s1, s13
	s_load_dword s45, s[0:1], 0x0
.LBB203_3:
	s_load_dwordx4 s[12:15], s[4:5], 0x58
	s_movk_i32 s0, 0x60
	s_ashr_i32 s17, s6, 31
	s_ashr_i32 s18, s10, 31
	v_and_b32_e32 v16, 7, v0
	s_mul_i32 s24, s6, 0x60
	v_cmp_gt_u32_e32 vcc, s0, v0
	v_lshlrev_b32_e32 v17, 2, v0
	v_lshrrev_b32_e32 v1, 1, v0
	s_and_saveexec_b64 s[0:1], vcc
	s_cbranch_execz .LBB203_5
; %bb.4:
	s_load_dwordx2 s[20:21], s[4:5], 0x18
	s_waitcnt lgkmcnt(0)
	s_mul_i32 s22, s28, s12
	s_ashr_i32 s23, s22, 31
	s_lshl_b64 s[22:23], s[22:23], 2
	v_and_b32_e32 v3, 0x1fc, v1
	s_add_u32 s7, s20, s22
	s_addc_u32 s10, s21, s23
	s_ashr_i32 s25, s24, 31
	s_lshl_b64 s[20:21], s[24:25], 2
	s_add_u32 s20, s7, s20
	s_addc_u32 s21, s10, s21
	global_load_dword v2, v17, s[20:21]
	v_mad_u32_u24 v3, v16, 48, v3
	s_waitcnt vmcnt(0)
	ds_write_b32 v3, v2
.LBB203_5:
	s_or_b64 exec, exec, s[0:1]
	s_add_i32 s0, s29, 7
	s_ashr_i32 s1, s0, 31
	s_lshr_b32 s1, s1, 29
	s_add_i32 s0, s0, s1
	s_lshl_b32 s10, s8, 6
	s_mul_i32 s1, s16, s2
	s_ashr_i32 s7, s0, 3
	s_add_i32 s0, s10, 64
	s_sub_i32 s1, s3, s1
	s_min_i32 s33, s0, s7
	s_xor_b32 s0, s17, s18
	s_add_i32 s3, s16, 1
	s_waitcnt lgkmcnt(0)
	s_sub_i32 s12, s1, s2
	s_cmp_ge_u32 s1, s2
	s_cselect_b32 s3, s3, s16
	s_cselect_b32 s1, s12, s1
	s_add_i32 s12, s3, 1
	s_cmp_ge_u32 s1, s2
	s_load_dwordx2 s[30:31], s[4:5], 0x38
	s_load_dword s2, s[4:5], 0x48
	v_lshrrev_b32_e32 v25, 6, v0
	s_cselect_b32 s1, s12, s3
	s_xor_b32 s1, s1, s0
	v_or_b32_e32 v14, s10, v25
	s_waitcnt lgkmcnt(0)
	s_mul_i32 s34, s28, s2
	s_sub_i32 s12, s1, s0
	s_ashr_i32 s35, s34, 31
	v_cmp_gt_i32_e64 s[0:1], s33, v14
	v_cmp_le_i32_e32 vcc, s33, v14
	v_mbcnt_lo_u32_b32 v20, -1, 0
	s_barrier
	s_waitcnt lgkmcnt(0)
                                        ; implicit-def: $sgpr15
                                        ; implicit-def: $vgpr26
                                        ; implicit-def: $vgpr27
	s_and_saveexec_b64 s[2:3], vcc
	s_xor_b64 s[2:3], exec, s[2:3]
; %bb.6:
	v_mbcnt_hi_u32_b32 v26, -1, v20
	v_and_b32_e32 v2, 64, v26
	v_add_u32_e32 v27, 64, v2
	s_mov_b32 s15, 0xff7fffff
                                        ; implicit-def: $vgpr16
                                        ; implicit-def: $vgpr20
; %bb.7:
	s_or_saveexec_b64 s[38:39], s[2:3]
	s_load_dwordx4 s[20:23], s[4:5], 0x0
	s_load_dwordx2 s[26:27], s[4:5], 0x10
	s_load_dword s25, s[4:5], 0x98
	s_load_dwordx2 s[36:37], s[4:5], 0x28
	s_load_dwordx4 s[16:19], s[4:5], 0x68
	v_mov_b32_e32 v29, s15
	s_mul_i32 s12, s12, s14
	v_ashrrev_i32_e32 v15, 31, v14
	s_xor_b64 exec, exec, s[38:39]
	s_cbranch_execz .LBB203_85
; %bb.8:
	s_load_dwordx2 s[2:3], s[4:5], 0x20
	s_ashr_i32 s4, s12, 31
	v_bfe_u32 v21, v0, 3, 3
	v_lshlrev_b32_e32 v2, 4, v21
	v_mbcnt_hi_u32_b32 v26, -1, v20
	s_waitcnt lgkmcnt(0)
	s_add_u32 s2, s2, s12
	s_addc_u32 s3, s3, s4
	v_mov_b32_e32 v3, s3
	v_add_co_u32_e32 v18, vcc, s2, v2
	v_and_b32_e32 v20, 64, v26
	v_addc_co_u32_e32 v19, vcc, 0, v3, vcc
	v_add_u32_e32 v27, 64, v20
	v_xor_b32_e32 v20, 4, v26
	v_cmp_lt_i32_e32 vcc, v20, v27
	v_cndmask_b32_e32 v20, v26, v20, vcc
	v_lshlrev_b32_e32 v28, 2, v20
	v_xor_b32_e32 v20, 2, v26
	v_cmp_lt_i32_e32 vcc, v20, v27
	v_cndmask_b32_e32 v20, v26, v20, vcc
	v_lshlrev_b32_e32 v30, 2, v20
	v_xor_b32_e32 v20, 1, v26
	v_cmp_lt_i32_e32 vcc, v20, v27
	v_mul_u32_u24_e32 v10, 48, v16
	v_cndmask_b32_e32 v20, v26, v20, vcc
	ds_read_b128 v[2:5], v10
	ds_read_b128 v[6:9], v10 offset:16
	ds_read_b128 v[10:13], v10 offset:32
	v_lshlrev_b32_e32 v31, 2, v20
	v_lshlrev_b32_e32 v20, 3, v25
	s_load_dword s47, s[16:17], 0x0
	s_sub_i32 s48, 1, s29
	v_add3_u32 v32, s44, v20, v21
	v_lshlrev_b32_e32 v20, 2, v21
	s_lshl_b64 s[4:5], s[34:35], 2
	v_lshl_or_b32 v20, v25, 5, v20
	s_add_u32 s4, s30, s4
	v_add_u32_e32 v33, 0x190, v20
	v_lshlrev_b64 v[20:21], 2, v[14:15]
	s_addc_u32 s5, s31, s5
	v_mov_b32_e32 v22, s5
	v_add_co_u32_e64 v20, s[4:5], s4, v20
	s_mov_b32 s46, s13
	v_cmp_eq_u32_e32 vcc, 0, v16
	v_cmp_neq_f32_e64 s[2:3], s45, 0
	v_addc_co_u32_e64 v21, s[4:5], v22, v21, s[4:5]
	s_mov_b64 s[14:15], 0
	v_mov_b32_e32 v29, 0xff7fffff
	s_movk_i32 s49, 0x80
	s_movk_i32 s50, 0x7f
	v_bfrev_b32_e32 v34, 60
	v_mov_b32_e32 v35, v14
	s_branch .LBB203_10
.LBB203_9:                              ;   in Loop: Header=BB203_10 Depth=1
	s_or_b64 exec, exec, s[16:17]
	v_add_u32_e32 v35, 2, v35
	v_cmp_le_i32_e64 s[4:5], s33, v35
	s_or_b64 s[14:15], s[4:5], s[14:15]
	v_add_co_u32_e64 v20, s[4:5], 8, v20
	v_add_u32_e32 v32, 16, v32
	v_add_u32_e32 v33, 64, v33
	v_addc_co_u32_e64 v21, s[4:5], 0, v21, s[4:5]
	s_andn2_b64 exec, exec, s[14:15]
	s_cbranch_execz .LBB203_84
.LBB203_10:                             ; =>This Inner Loop Header: Depth=1
	global_load_dword v22, v[20:21], off
	v_mov_b32_e32 v36, 0
	s_waitcnt vmcnt(0) lgkmcnt(0)
	v_mad_i64_i32 v[22:23], s[4:5], v22, s46, v[18:19]
	v_add_co_u32_e64 v22, s[4:5], v22, v16
	v_addc_co_u32_e64 v23, s[4:5], 0, v23, s[4:5]
	global_load_ubyte v37, v[22:23], off
	s_waitcnt vmcnt(0)
	v_cmp_ne_u16_e64 s[4:5], 0, v37
	s_and_saveexec_b64 s[16:17], s[4:5]
	s_cbranch_execz .LBB203_16
; %bb.11:                               ;   in Loop: Header=BB203_10 Depth=1
	v_cmp_ne_u16_e64 s[4:5], s49, v37
	v_bfrev_b32_e32 v36, 1
	s_and_saveexec_b64 s[40:41], s[4:5]
	s_cbranch_execz .LBB203_15
; %bb.12:                               ;   in Loop: Header=BB203_10 Depth=1
	v_and_b32_e32 v24, 0xffff, v37
	v_and_b32_e32 v38, 0x7f, v24
	v_cmp_ne_u32_e64 s[4:5], s50, v38
	v_mov_b32_e32 v36, 0x7f800001
	s_and_saveexec_b64 s[42:43], s[4:5]
	s_cbranch_execz .LBB203_14
; %bb.13:                               ;   in Loop: Header=BB203_10 Depth=1
	v_and_b32_e32 v36, 7, v24
	v_ffbh_u32_e32 v40, v36
	v_min_u32_e32 v42, 32, v40
	v_subrev_u32_e32 v40, 28, v42
	v_lshlrev_b64 v[40:41], v40, v[24:25]
	v_lshrrev_b32_e32 v39, 3, v38
	v_sub_u32_e32 v24, 29, v42
	v_and_b32_e32 v40, 7, v40
	v_cmp_gt_u32_e64 s[4:5], 8, v38
	v_cndmask_b32_e64 v24, v39, v24, s[4:5]
	v_cndmask_b32_e64 v36, v36, v40, s[4:5]
	v_lshlrev_b32_e32 v37, 24, v37
	v_lshlrev_b32_e32 v36, 20, v36
	v_and_b32_e32 v37, 0x80000000, v37
	v_lshl_add_u32 v24, v24, 23, v34
	v_or3_b32 v36, v37, v24, v36
.LBB203_14:                             ;   in Loop: Header=BB203_10 Depth=1
	s_or_b64 exec, exec, s[42:43]
.LBB203_15:                             ;   in Loop: Header=BB203_10 Depth=1
	s_or_b64 exec, exec, s[40:41]
.LBB203_16:                             ;   in Loop: Header=BB203_10 Depth=1
	s_or_b64 exec, exec, s[16:17]
	global_load_ubyte v38, v[22:23], off offset:8
	v_mov_b32_e32 v37, 0
	s_waitcnt vmcnt(0)
	v_cmp_ne_u16_e64 s[4:5], 0, v38
	s_and_saveexec_b64 s[16:17], s[4:5]
	s_cbranch_execz .LBB203_22
; %bb.17:                               ;   in Loop: Header=BB203_10 Depth=1
	v_cmp_ne_u16_e64 s[4:5], s49, v38
	v_bfrev_b32_e32 v37, 1
	s_and_saveexec_b64 s[40:41], s[4:5]
	s_cbranch_execz .LBB203_21
; %bb.18:                               ;   in Loop: Header=BB203_10 Depth=1
	v_and_b32_e32 v24, 0xffff, v38
	v_and_b32_e32 v39, 0x7f, v24
	v_cmp_ne_u32_e64 s[4:5], s50, v39
	v_mov_b32_e32 v37, 0x7f800001
	s_and_saveexec_b64 s[42:43], s[4:5]
	s_cbranch_execz .LBB203_20
; %bb.19:                               ;   in Loop: Header=BB203_10 Depth=1
	v_and_b32_e32 v37, 7, v24
	v_ffbh_u32_e32 v40, v37
	v_min_u32_e32 v43, 32, v40
	v_subrev_u32_e32 v40, 28, v43
	v_lshlrev_b64 v[40:41], v40, v[24:25]
	v_lshrrev_b32_e32 v42, 3, v39
	v_sub_u32_e32 v24, 29, v43
	v_and_b32_e32 v40, 7, v40
	v_cmp_gt_u32_e64 s[4:5], 8, v39
	v_cndmask_b32_e64 v24, v42, v24, s[4:5]
	v_cndmask_b32_e64 v37, v37, v40, s[4:5]
	v_lshlrev_b32_e32 v38, 24, v38
	v_lshlrev_b32_e32 v37, 20, v37
	v_and_b32_e32 v38, 0x80000000, v38
	v_lshl_add_u32 v24, v24, 23, v34
	v_or3_b32 v37, v38, v24, v37
.LBB203_20:                             ;   in Loop: Header=BB203_10 Depth=1
	s_or_b64 exec, exec, s[42:43]
.LBB203_21:                             ;   in Loop: Header=BB203_10 Depth=1
	s_or_b64 exec, exec, s[40:41]
.LBB203_22:                             ;   in Loop: Header=BB203_10 Depth=1
	s_or_b64 exec, exec, s[16:17]
	global_load_ubyte v40, v[22:23], off offset:128
	v_mov_b32_e32 v38, 0
	v_mov_b32_e32 v39, 0
	s_waitcnt vmcnt(0)
	v_cmp_ne_u16_e64 s[4:5], 0, v40
	s_and_saveexec_b64 s[16:17], s[4:5]
	s_cbranch_execz .LBB203_28
; %bb.23:                               ;   in Loop: Header=BB203_10 Depth=1
	v_cmp_ne_u16_e64 s[4:5], s49, v40
	v_bfrev_b32_e32 v39, 1
	s_and_saveexec_b64 s[40:41], s[4:5]
	s_cbranch_execz .LBB203_27
; %bb.24:                               ;   in Loop: Header=BB203_10 Depth=1
	v_and_b32_e32 v24, 0xffff, v40
	v_and_b32_e32 v41, 0x7f, v24
	v_cmp_ne_u32_e64 s[4:5], s50, v41
	v_mov_b32_e32 v39, 0x7f800001
	s_and_saveexec_b64 s[42:43], s[4:5]
	s_cbranch_execz .LBB203_26
; %bb.25:                               ;   in Loop: Header=BB203_10 Depth=1
	v_and_b32_e32 v39, 7, v24
	v_ffbh_u32_e32 v42, v39
	v_min_u32_e32 v45, 32, v42
	v_subrev_u32_e32 v42, 28, v45
	v_lshlrev_b64 v[42:43], v42, v[24:25]
	v_lshrrev_b32_e32 v44, 3, v41
	v_sub_u32_e32 v24, 29, v45
	v_and_b32_e32 v42, 7, v42
	v_cmp_gt_u32_e64 s[4:5], 8, v41
	v_cndmask_b32_e64 v24, v44, v24, s[4:5]
	v_cndmask_b32_e64 v39, v39, v42, s[4:5]
	v_lshlrev_b32_e32 v40, 24, v40
	v_lshlrev_b32_e32 v39, 20, v39
	v_and_b32_e32 v40, 0x80000000, v40
	v_lshl_add_u32 v24, v24, 23, v34
	v_or3_b32 v39, v40, v24, v39
.LBB203_26:                             ;   in Loop: Header=BB203_10 Depth=1
	s_or_b64 exec, exec, s[42:43]
.LBB203_27:                             ;   in Loop: Header=BB203_10 Depth=1
	s_or_b64 exec, exec, s[40:41]
.LBB203_28:                             ;   in Loop: Header=BB203_10 Depth=1
	s_or_b64 exec, exec, s[16:17]
	global_load_ubyte v40, v[22:23], off offset:136
	s_waitcnt vmcnt(0)
	v_cmp_ne_u16_e64 s[4:5], 0, v40
	s_and_saveexec_b64 s[16:17], s[4:5]
	s_cbranch_execz .LBB203_34
; %bb.29:                               ;   in Loop: Header=BB203_10 Depth=1
	v_cmp_ne_u16_e64 s[4:5], s49, v40
	v_bfrev_b32_e32 v38, 1
	s_and_saveexec_b64 s[40:41], s[4:5]
	s_cbranch_execz .LBB203_33
; %bb.30:                               ;   in Loop: Header=BB203_10 Depth=1
	v_and_b32_e32 v24, 0xffff, v40
	v_and_b32_e32 v41, 0x7f, v24
	v_cmp_ne_u32_e64 s[4:5], s50, v41
	v_mov_b32_e32 v38, 0x7f800001
	s_and_saveexec_b64 s[42:43], s[4:5]
	s_cbranch_execz .LBB203_32
; %bb.31:                               ;   in Loop: Header=BB203_10 Depth=1
	v_and_b32_e32 v38, 7, v24
	v_ffbh_u32_e32 v42, v38
	v_min_u32_e32 v45, 32, v42
	v_subrev_u32_e32 v42, 28, v45
	v_lshlrev_b64 v[42:43], v42, v[24:25]
	v_lshrrev_b32_e32 v44, 3, v41
	v_sub_u32_e32 v24, 29, v45
	v_and_b32_e32 v42, 7, v42
	v_cmp_gt_u32_e64 s[4:5], 8, v41
	v_cndmask_b32_e64 v24, v44, v24, s[4:5]
	v_cndmask_b32_e64 v38, v38, v42, s[4:5]
	v_lshlrev_b32_e32 v40, 24, v40
	v_lshlrev_b32_e32 v38, 20, v38
	v_and_b32_e32 v40, 0x80000000, v40
	v_lshl_add_u32 v24, v24, 23, v34
	v_or3_b32 v38, v40, v24, v38
.LBB203_32:                             ;   in Loop: Header=BB203_10 Depth=1
	s_or_b64 exec, exec, s[42:43]
.LBB203_33:                             ;   in Loop: Header=BB203_10 Depth=1
	s_or_b64 exec, exec, s[40:41]
.LBB203_34:                             ;   in Loop: Header=BB203_10 Depth=1
	s_or_b64 exec, exec, s[16:17]
	global_load_ubyte v42, v[22:23], off offset:256
	v_mov_b32_e32 v40, 0
	v_mov_b32_e32 v41, 0
	s_waitcnt vmcnt(0)
	v_cmp_ne_u16_e64 s[4:5], 0, v42
	s_and_saveexec_b64 s[16:17], s[4:5]
	s_cbranch_execz .LBB203_40
; %bb.35:                               ;   in Loop: Header=BB203_10 Depth=1
	v_cmp_ne_u16_e64 s[4:5], s49, v42
	v_bfrev_b32_e32 v41, 1
	s_and_saveexec_b64 s[40:41], s[4:5]
	s_cbranch_execz .LBB203_39
; %bb.36:                               ;   in Loop: Header=BB203_10 Depth=1
	v_and_b32_e32 v24, 0xffff, v42
	v_and_b32_e32 v43, 0x7f, v24
	v_cmp_ne_u32_e64 s[4:5], s50, v43
	v_mov_b32_e32 v41, 0x7f800001
	s_and_saveexec_b64 s[42:43], s[4:5]
	s_cbranch_execz .LBB203_38
; %bb.37:                               ;   in Loop: Header=BB203_10 Depth=1
	v_and_b32_e32 v41, 7, v24
	v_ffbh_u32_e32 v44, v41
	v_min_u32_e32 v47, 32, v44
	v_subrev_u32_e32 v44, 28, v47
	v_lshlrev_b64 v[44:45], v44, v[24:25]
	v_lshrrev_b32_e32 v46, 3, v43
	v_sub_u32_e32 v24, 29, v47
	v_and_b32_e32 v44, 7, v44
	v_cmp_gt_u32_e64 s[4:5], 8, v43
	v_cndmask_b32_e64 v24, v46, v24, s[4:5]
	v_cndmask_b32_e64 v41, v41, v44, s[4:5]
	v_lshlrev_b32_e32 v42, 24, v42
	v_lshlrev_b32_e32 v41, 20, v41
	v_and_b32_e32 v42, 0x80000000, v42
	v_lshl_add_u32 v24, v24, 23, v34
	v_or3_b32 v41, v42, v24, v41
.LBB203_38:                             ;   in Loop: Header=BB203_10 Depth=1
	s_or_b64 exec, exec, s[42:43]
.LBB203_39:                             ;   in Loop: Header=BB203_10 Depth=1
	s_or_b64 exec, exec, s[40:41]
.LBB203_40:                             ;   in Loop: Header=BB203_10 Depth=1
	s_or_b64 exec, exec, s[16:17]
	global_load_ubyte v42, v[22:23], off offset:264
	s_waitcnt vmcnt(0)
	v_cmp_ne_u16_e64 s[4:5], 0, v42
	s_and_saveexec_b64 s[16:17], s[4:5]
	s_cbranch_execz .LBB203_46
; %bb.41:                               ;   in Loop: Header=BB203_10 Depth=1
	v_cmp_ne_u16_e64 s[4:5], s49, v42
	v_bfrev_b32_e32 v40, 1
	s_and_saveexec_b64 s[40:41], s[4:5]
	s_cbranch_execz .LBB203_45
; %bb.42:                               ;   in Loop: Header=BB203_10 Depth=1
	v_and_b32_e32 v24, 0xffff, v42
	v_and_b32_e32 v43, 0x7f, v24
	v_cmp_ne_u32_e64 s[4:5], s50, v43
	v_mov_b32_e32 v40, 0x7f800001
	s_and_saveexec_b64 s[42:43], s[4:5]
	s_cbranch_execz .LBB203_44
; %bb.43:                               ;   in Loop: Header=BB203_10 Depth=1
	v_and_b32_e32 v40, 7, v24
	v_ffbh_u32_e32 v44, v40
	v_min_u32_e32 v47, 32, v44
	v_subrev_u32_e32 v44, 28, v47
	v_lshlrev_b64 v[44:45], v44, v[24:25]
	v_lshrrev_b32_e32 v46, 3, v43
	v_sub_u32_e32 v24, 29, v47
	v_and_b32_e32 v44, 7, v44
	v_cmp_gt_u32_e64 s[4:5], 8, v43
	v_cndmask_b32_e64 v24, v46, v24, s[4:5]
	v_cndmask_b32_e64 v40, v40, v44, s[4:5]
	v_lshlrev_b32_e32 v42, 24, v42
	v_lshlrev_b32_e32 v40, 20, v40
	v_and_b32_e32 v42, 0x80000000, v42
	v_lshl_add_u32 v24, v24, 23, v34
	v_or3_b32 v40, v42, v24, v40
.LBB203_44:                             ;   in Loop: Header=BB203_10 Depth=1
	s_or_b64 exec, exec, s[42:43]
.LBB203_45:                             ;   in Loop: Header=BB203_10 Depth=1
	s_or_b64 exec, exec, s[40:41]
.LBB203_46:                             ;   in Loop: Header=BB203_10 Depth=1
	s_or_b64 exec, exec, s[16:17]
	global_load_ubyte v44, v[22:23], off offset:384
	v_mov_b32_e32 v42, 0
	v_mov_b32_e32 v43, 0
	s_waitcnt vmcnt(0)
	v_cmp_ne_u16_e64 s[4:5], 0, v44
	s_and_saveexec_b64 s[16:17], s[4:5]
	s_cbranch_execz .LBB203_52
; %bb.47:                               ;   in Loop: Header=BB203_10 Depth=1
	v_cmp_ne_u16_e64 s[4:5], s49, v44
	v_bfrev_b32_e32 v43, 1
	s_and_saveexec_b64 s[40:41], s[4:5]
	s_cbranch_execz .LBB203_51
; %bb.48:                               ;   in Loop: Header=BB203_10 Depth=1
	v_and_b32_e32 v24, 0xffff, v44
	v_and_b32_e32 v45, 0x7f, v24
	v_cmp_ne_u32_e64 s[4:5], s50, v45
	v_mov_b32_e32 v43, 0x7f800001
	s_and_saveexec_b64 s[42:43], s[4:5]
	s_cbranch_execz .LBB203_50
; %bb.49:                               ;   in Loop: Header=BB203_10 Depth=1
	v_and_b32_e32 v43, 7, v24
	v_ffbh_u32_e32 v46, v43
	v_min_u32_e32 v49, 32, v46
	v_subrev_u32_e32 v46, 28, v49
	v_lshlrev_b64 v[46:47], v46, v[24:25]
	v_lshrrev_b32_e32 v48, 3, v45
	v_sub_u32_e32 v24, 29, v49
	v_and_b32_e32 v46, 7, v46
	v_cmp_gt_u32_e64 s[4:5], 8, v45
	v_cndmask_b32_e64 v24, v48, v24, s[4:5]
	v_cndmask_b32_e64 v43, v43, v46, s[4:5]
	v_lshlrev_b32_e32 v44, 24, v44
	v_lshlrev_b32_e32 v43, 20, v43
	v_and_b32_e32 v44, 0x80000000, v44
	v_lshl_add_u32 v24, v24, 23, v34
	v_or3_b32 v43, v44, v24, v43
.LBB203_50:                             ;   in Loop: Header=BB203_10 Depth=1
	s_or_b64 exec, exec, s[42:43]
.LBB203_51:                             ;   in Loop: Header=BB203_10 Depth=1
	s_or_b64 exec, exec, s[40:41]
.LBB203_52:                             ;   in Loop: Header=BB203_10 Depth=1
	s_or_b64 exec, exec, s[16:17]
	global_load_ubyte v44, v[22:23], off offset:392
	s_waitcnt vmcnt(0)
	v_cmp_ne_u16_e64 s[4:5], 0, v44
	s_and_saveexec_b64 s[16:17], s[4:5]
	s_cbranch_execz .LBB203_58
; %bb.53:                               ;   in Loop: Header=BB203_10 Depth=1
	v_cmp_ne_u16_e64 s[4:5], s49, v44
	v_bfrev_b32_e32 v42, 1
	s_and_saveexec_b64 s[40:41], s[4:5]
	s_cbranch_execz .LBB203_57
; %bb.54:                               ;   in Loop: Header=BB203_10 Depth=1
	v_and_b32_e32 v24, 0xffff, v44
	v_and_b32_e32 v45, 0x7f, v24
	v_cmp_ne_u32_e64 s[4:5], s50, v45
	v_mov_b32_e32 v42, 0x7f800001
	s_and_saveexec_b64 s[42:43], s[4:5]
	s_cbranch_execz .LBB203_56
; %bb.55:                               ;   in Loop: Header=BB203_10 Depth=1
	v_and_b32_e32 v42, 7, v24
	v_ffbh_u32_e32 v46, v42
	v_min_u32_e32 v49, 32, v46
	v_subrev_u32_e32 v46, 28, v49
	v_lshlrev_b64 v[46:47], v46, v[24:25]
	v_lshrrev_b32_e32 v48, 3, v45
	v_sub_u32_e32 v24, 29, v49
	v_and_b32_e32 v46, 7, v46
	v_cmp_gt_u32_e64 s[4:5], 8, v45
	v_cndmask_b32_e64 v24, v48, v24, s[4:5]
	v_cndmask_b32_e64 v42, v42, v46, s[4:5]
	v_lshlrev_b32_e32 v44, 24, v44
	v_lshlrev_b32_e32 v42, 20, v42
	v_and_b32_e32 v44, 0x80000000, v44
	v_lshl_add_u32 v24, v24, 23, v34
	v_or3_b32 v42, v44, v24, v42
.LBB203_56:                             ;   in Loop: Header=BB203_10 Depth=1
	s_or_b64 exec, exec, s[42:43]
.LBB203_57:                             ;   in Loop: Header=BB203_10 Depth=1
	s_or_b64 exec, exec, s[40:41]
.LBB203_58:                             ;   in Loop: Header=BB203_10 Depth=1
	s_or_b64 exec, exec, s[16:17]
	global_load_ubyte v46, v[22:23], off offset:512
	v_mov_b32_e32 v44, 0
	v_mov_b32_e32 v45, 0
	s_waitcnt vmcnt(0)
	v_cmp_ne_u16_e64 s[4:5], 0, v46
	s_and_saveexec_b64 s[16:17], s[4:5]
	s_cbranch_execz .LBB203_64
; %bb.59:                               ;   in Loop: Header=BB203_10 Depth=1
	v_cmp_ne_u16_e64 s[4:5], s49, v46
	v_bfrev_b32_e32 v45, 1
	s_and_saveexec_b64 s[40:41], s[4:5]
	s_cbranch_execz .LBB203_63
; %bb.60:                               ;   in Loop: Header=BB203_10 Depth=1
	v_and_b32_e32 v24, 0xffff, v46
	v_and_b32_e32 v47, 0x7f, v24
	v_cmp_ne_u32_e64 s[4:5], s50, v47
	v_mov_b32_e32 v45, 0x7f800001
	s_and_saveexec_b64 s[42:43], s[4:5]
	s_cbranch_execz .LBB203_62
; %bb.61:                               ;   in Loop: Header=BB203_10 Depth=1
	v_and_b32_e32 v45, 7, v24
	v_ffbh_u32_e32 v48, v45
	v_min_u32_e32 v51, 32, v48
	v_subrev_u32_e32 v48, 28, v51
	v_lshlrev_b64 v[48:49], v48, v[24:25]
	v_lshrrev_b32_e32 v50, 3, v47
	v_sub_u32_e32 v24, 29, v51
	v_and_b32_e32 v48, 7, v48
	v_cmp_gt_u32_e64 s[4:5], 8, v47
	v_cndmask_b32_e64 v24, v50, v24, s[4:5]
	v_cndmask_b32_e64 v45, v45, v48, s[4:5]
	v_lshlrev_b32_e32 v46, 24, v46
	v_lshlrev_b32_e32 v45, 20, v45
	v_and_b32_e32 v46, 0x80000000, v46
	v_lshl_add_u32 v24, v24, 23, v34
	v_or3_b32 v45, v46, v24, v45
.LBB203_62:                             ;   in Loop: Header=BB203_10 Depth=1
	s_or_b64 exec, exec, s[42:43]
.LBB203_63:                             ;   in Loop: Header=BB203_10 Depth=1
	s_or_b64 exec, exec, s[40:41]
.LBB203_64:                             ;   in Loop: Header=BB203_10 Depth=1
	s_or_b64 exec, exec, s[16:17]
	global_load_ubyte v46, v[22:23], off offset:520
	s_waitcnt vmcnt(0)
	v_cmp_ne_u16_e64 s[4:5], 0, v46
	s_and_saveexec_b64 s[16:17], s[4:5]
	s_cbranch_execz .LBB203_70
; %bb.65:                               ;   in Loop: Header=BB203_10 Depth=1
	v_cmp_ne_u16_e64 s[4:5], s49, v46
	v_bfrev_b32_e32 v44, 1
	s_and_saveexec_b64 s[40:41], s[4:5]
	s_cbranch_execz .LBB203_69
; %bb.66:                               ;   in Loop: Header=BB203_10 Depth=1
	v_and_b32_e32 v24, 0xffff, v46
	v_and_b32_e32 v47, 0x7f, v24
	v_cmp_ne_u32_e64 s[4:5], s50, v47
	v_mov_b32_e32 v44, 0x7f800001
	s_and_saveexec_b64 s[42:43], s[4:5]
	s_cbranch_execz .LBB203_68
; %bb.67:                               ;   in Loop: Header=BB203_10 Depth=1
	v_and_b32_e32 v44, 7, v24
	v_ffbh_u32_e32 v48, v44
	v_min_u32_e32 v51, 32, v48
	v_subrev_u32_e32 v48, 28, v51
	v_lshlrev_b64 v[48:49], v48, v[24:25]
	v_lshrrev_b32_e32 v50, 3, v47
	v_sub_u32_e32 v24, 29, v51
	v_and_b32_e32 v48, 7, v48
	v_cmp_gt_u32_e64 s[4:5], 8, v47
	v_cndmask_b32_e64 v24, v50, v24, s[4:5]
	v_cndmask_b32_e64 v44, v44, v48, s[4:5]
	v_lshlrev_b32_e32 v46, 24, v46
	v_lshlrev_b32_e32 v44, 20, v44
	v_and_b32_e32 v46, 0x80000000, v46
	v_lshl_add_u32 v24, v24, 23, v34
	v_or3_b32 v44, v46, v24, v44
.LBB203_68:                             ;   in Loop: Header=BB203_10 Depth=1
	s_or_b64 exec, exec, s[42:43]
.LBB203_69:                             ;   in Loop: Header=BB203_10 Depth=1
	s_or_b64 exec, exec, s[40:41]
.LBB203_70:                             ;   in Loop: Header=BB203_10 Depth=1
	s_or_b64 exec, exec, s[16:17]
	global_load_ubyte v48, v[22:23], off offset:640
	v_mov_b32_e32 v46, 0
	v_mov_b32_e32 v47, 0
	s_waitcnt vmcnt(0)
	v_cmp_ne_u16_e64 s[4:5], 0, v48
	s_and_saveexec_b64 s[16:17], s[4:5]
	s_cbranch_execz .LBB203_76
; %bb.71:                               ;   in Loop: Header=BB203_10 Depth=1
	v_cmp_ne_u16_e64 s[4:5], s49, v48
	v_bfrev_b32_e32 v47, 1
	s_and_saveexec_b64 s[40:41], s[4:5]
	s_cbranch_execz .LBB203_75
; %bb.72:                               ;   in Loop: Header=BB203_10 Depth=1
	v_and_b32_e32 v24, 0xffff, v48
	v_and_b32_e32 v49, 0x7f, v24
	v_cmp_ne_u32_e64 s[4:5], s50, v49
	v_mov_b32_e32 v47, 0x7f800001
	s_and_saveexec_b64 s[42:43], s[4:5]
	s_cbranch_execz .LBB203_74
; %bb.73:                               ;   in Loop: Header=BB203_10 Depth=1
	v_and_b32_e32 v47, 7, v24
	v_ffbh_u32_e32 v50, v47
	v_min_u32_e32 v53, 32, v50
	v_subrev_u32_e32 v50, 28, v53
	v_lshlrev_b64 v[50:51], v50, v[24:25]
	v_lshrrev_b32_e32 v52, 3, v49
	v_sub_u32_e32 v24, 29, v53
	v_and_b32_e32 v50, 7, v50
	v_cmp_gt_u32_e64 s[4:5], 8, v49
	v_cndmask_b32_e64 v24, v52, v24, s[4:5]
	v_cndmask_b32_e64 v47, v47, v50, s[4:5]
	v_lshlrev_b32_e32 v48, 24, v48
	v_lshlrev_b32_e32 v47, 20, v47
	v_and_b32_e32 v48, 0x80000000, v48
	v_lshl_add_u32 v24, v24, 23, v34
	v_or3_b32 v47, v48, v24, v47
.LBB203_74:                             ;   in Loop: Header=BB203_10 Depth=1
	s_or_b64 exec, exec, s[42:43]
.LBB203_75:                             ;   in Loop: Header=BB203_10 Depth=1
	s_or_b64 exec, exec, s[40:41]
.LBB203_76:                             ;   in Loop: Header=BB203_10 Depth=1
	s_or_b64 exec, exec, s[16:17]
	global_load_ubyte v23, v[22:23], off offset:648
	s_waitcnt vmcnt(0)
	v_cmp_ne_u16_e64 s[4:5], 0, v23
	s_and_saveexec_b64 s[16:17], s[4:5]
	s_cbranch_execz .LBB203_82
; %bb.77:                               ;   in Loop: Header=BB203_10 Depth=1
	v_cmp_ne_u16_e64 s[4:5], s49, v23
	v_bfrev_b32_e32 v46, 1
	s_and_saveexec_b64 s[40:41], s[4:5]
	s_cbranch_execz .LBB203_81
; %bb.78:                               ;   in Loop: Header=BB203_10 Depth=1
	v_and_b32_e32 v22, 0xffff, v23
	v_and_b32_e32 v24, 0x7f, v22
	v_cmp_ne_u32_e64 s[4:5], s50, v24
	v_mov_b32_e32 v46, 0x7f800001
	s_and_saveexec_b64 s[42:43], s[4:5]
	s_cbranch_execz .LBB203_80
; %bb.79:                               ;   in Loop: Header=BB203_10 Depth=1
	v_and_b32_e32 v46, 7, v22
	v_ffbh_u32_e32 v48, v46
	v_min_u32_e32 v51, 32, v48
	v_subrev_u32_e32 v48, 28, v51
	v_lshlrev_b64 v[48:49], v48, v[22:23]
	v_lshrrev_b32_e32 v50, 3, v24
	v_sub_u32_e32 v22, 29, v51
	v_and_b32_e32 v48, 7, v48
	v_cmp_gt_u32_e64 s[4:5], 8, v24
	v_cndmask_b32_e64 v22, v50, v22, s[4:5]
	v_cndmask_b32_e64 v24, v46, v48, s[4:5]
	v_lshlrev_b32_e32 v23, 24, v23
	v_lshlrev_b32_e32 v24, 20, v24
	v_and_b32_e32 v23, 0x80000000, v23
	v_lshl_add_u32 v22, v22, 23, v34
	v_or3_b32 v46, v23, v22, v24
.LBB203_80:                             ;   in Loop: Header=BB203_10 Depth=1
	s_or_b64 exec, exec, s[42:43]
.LBB203_81:                             ;   in Loop: Header=BB203_10 Depth=1
	s_or_b64 exec, exec, s[40:41]
.LBB203_82:                             ;   in Loop: Header=BB203_10 Depth=1
	s_or_b64 exec, exec, s[16:17]
	s_waitcnt lgkmcnt(0)
	v_mul_f32_e32 v37, s47, v37
	v_mul_f32_e32 v36, s47, v36
	;; [unrolled: 1-line block ×4, first 2 shown]
	v_fmac_f32_e32 v37, v2, v36
	v_mul_f32_e32 v38, s47, v38
	v_fmac_f32_e32 v37, v4, v39
	v_mul_f32_e32 v41, s47, v41
	;; [unrolled: 2-line block ×9, first 2 shown]
	v_fmac_f32_e32 v37, v12, v22
	v_fmac_f32_e32 v37, v13, v44
	ds_bpermute_b32 v22, v28, v37
	s_waitcnt lgkmcnt(0)
	v_add_f32_e32 v22, v37, v22
	ds_bpermute_b32 v23, v30, v22
	s_waitcnt lgkmcnt(0)
	v_add_f32_e32 v22, v22, v23
	ds_bpermute_b32 v23, v31, v22
	s_and_saveexec_b64 s[16:17], vcc
	s_cbranch_execz .LBB203_9
; %bb.83:                               ;   in Loop: Header=BB203_10 Depth=1
	v_add_u32_e32 v24, s48, v32
	v_cvt_f32_i32_e32 v24, v24
	s_waitcnt lgkmcnt(0)
	v_add_f32_e32 v22, v22, v23
	v_cmp_gt_i32_e64 s[4:5], s29, v32
	v_max_f32_e32 v23, v29, v29
	v_mul_f32_e32 v24, s45, v24
	v_cndmask_b32_e64 v24, 0, v24, s[2:3]
	v_fmac_f32_e32 v24, s11, v22
	v_cndmask_b32_e64 v22, 0, v24, s[4:5]
	ds_write_b32 v33, v22
	v_max_f32_e32 v22, v23, v24
	v_cndmask_b32_e64 v29, v29, v22, s[4:5]
	s_branch .LBB203_9
.LBB203_84:
	s_or_b64 exec, exec, s[14:15]
.LBB203_85:
	s_or_b64 exec, exec, s[38:39]
	v_xor_b32_e32 v2, 32, v26
	v_cmp_lt_i32_e32 vcc, v2, v27
	v_cndmask_b32_e32 v2, v26, v2, vcc
	v_lshlrev_b32_e32 v3, 2, v2
	ds_bpermute_b32 v2, v3, v29
	v_xor_b32_e32 v5, 16, v26
	v_max_f32_e32 v4, v29, v29
	v_cmp_lt_i32_e32 vcc, v5, v27
	v_and_b32_e32 v34, 63, v0
	s_waitcnt lgkmcnt(0)
	v_max_f32_e32 v2, v2, v2
	v_max_f32_e32 v2, v4, v2
	v_cndmask_b32_e32 v4, v26, v5, vcc
	v_lshlrev_b32_e32 v6, 2, v4
	ds_bpermute_b32 v4, v6, v2
	v_xor_b32_e32 v5, 8, v26
	v_cmp_lt_i32_e32 vcc, v5, v27
	s_waitcnt lgkmcnt(0)
	v_max_f32_e32 v4, v4, v4
	v_max_f32_e32 v4, v2, v4
	v_cndmask_b32_e32 v2, v26, v5, vcc
	v_lshlrev_b32_e32 v7, 2, v2
	ds_bpermute_b32 v5, v7, v4
	v_cmp_eq_u32_e32 vcc, 0, v34
	v_lshlrev_b32_e32 v2, 2, v25
	s_and_saveexec_b64 s[2:3], vcc
	s_cbranch_execz .LBB203_87
; %bb.86:
	s_waitcnt lgkmcnt(0)
	v_max_f32_e32 v5, v5, v5
	v_max_f32_e32 v4, v4, v4
	;; [unrolled: 1-line block ×3, first 2 shown]
	ds_write_b32 v2, v4 offset:384
.LBB203_87:
	s_or_b64 exec, exec, s[2:3]
	v_cmp_gt_u32_e64 s[2:3], 2, v34
	v_mov_b32_e32 v4, 0xff7fffff
	s_waitcnt lgkmcnt(0)
	v_lshlrev_b32_e32 v5, 2, v34
	s_barrier
	s_and_saveexec_b64 s[4:5], s[2:3]
	s_cbranch_execz .LBB203_89
; %bb.88:
	ds_read_b32 v4, v5 offset:384
.LBB203_89:
	s_or_b64 exec, exec, s[4:5]
	v_xor_b32_e32 v8, 1, v26
	v_cmp_lt_i32_e64 s[4:5], v8, v27
	v_cndmask_b32_e64 v8, v26, v8, s[4:5]
	v_lshlrev_b32_e32 v35, 2, v8
	s_waitcnt lgkmcnt(0)
	ds_bpermute_b32 v8, v35, v4
	v_max_f32_e32 v4, v4, v4
	s_sub_i32 s4, s33, s10
	s_lshl_b32 s4, s4, 3
	s_add_i32 s4, s4, s44
	s_waitcnt lgkmcnt(0)
	v_max_f32_e32 v8, v8, v8
	v_max_f32_e32 v4, v4, v8
	v_lshlrev_b32_e32 v8, 2, v26
	v_and_b32_e32 v8, 0xffffff00, v8
	ds_bpermute_b32 v4, v8, v4
	s_min_i32 s39, s4, s29
	s_sub_i32 s38, s39, s44
	v_cmp_gt_i32_e64 s[4:5], s38, v0
	v_mov_b32_e32 v9, 0
	s_and_saveexec_b64 s[14:15], s[4:5]
	s_cbranch_execz .LBB203_93
; %bb.90:
	v_mov_b32_e32 v9, 0x190
	v_lshl_add_u32 v10, v0, 2, v9
	s_mov_b64 s[16:17], 0
	v_mov_b32_e32 v9, 0
	v_mov_b32_e32 v11, v0
.LBB203_91:                             ; =>This Inner Loop Header: Depth=1
	ds_read_b32 v12, v10
	v_add_u32_e32 v11, 0x80, v11
	v_cmp_le_i32_e64 s[10:11], s38, v11
	s_or_b64 s[16:17], s[10:11], s[16:17]
	s_waitcnt lgkmcnt(0)
	v_sub_f32_e32 v12, v12, v4
	v_mul_f32_e32 v12, 0x3fb8aa3b, v12
	v_exp_f32_e32 v12, v12
	ds_write_b32 v10, v12
	v_add_f32_e32 v9, v9, v12
	v_add_u32_e32 v10, 0x200, v10
	s_andn2_b64 exec, exec, s[16:17]
	s_cbranch_execnz .LBB203_91
; %bb.92:
	s_or_b64 exec, exec, s[16:17]
.LBB203_93:
	s_or_b64 exec, exec, s[14:15]
	ds_bpermute_b32 v3, v3, v9
	s_waitcnt lgkmcnt(0)
	v_add_f32_e32 v3, v9, v3
	ds_bpermute_b32 v6, v6, v3
	s_waitcnt lgkmcnt(0)
	v_add_f32_e32 v3, v3, v6
	ds_bpermute_b32 v6, v7, v3
	v_xor_b32_e32 v7, 4, v26
	v_cmp_lt_i32_e64 s[10:11], v7, v27
	v_cndmask_b32_e64 v7, v26, v7, s[10:11]
	v_lshlrev_b32_e32 v7, 2, v7
	s_waitcnt lgkmcnt(0)
	v_add_f32_e32 v3, v3, v6
	ds_bpermute_b32 v6, v7, v3
	v_xor_b32_e32 v7, 2, v26
	v_cmp_lt_i32_e64 s[10:11], v7, v27
	v_cndmask_b32_e64 v7, v26, v7, s[10:11]
	s_waitcnt lgkmcnt(0)
	v_add_f32_e32 v3, v3, v6
	v_lshlrev_b32_e32 v6, 2, v7
	ds_bpermute_b32 v6, v6, v3
	s_waitcnt lgkmcnt(0)
	v_add_f32_e32 v3, v3, v6
	ds_bpermute_b32 v6, v35, v3
	s_waitcnt lgkmcnt(0)
	v_add_f32_e32 v3, v3, v6
	s_and_saveexec_b64 s[10:11], vcc
	s_cbranch_execz .LBB203_95
; %bb.94:
	ds_write_b32 v2, v3 offset:392
.LBB203_95:
	s_or_b64 exec, exec, s[10:11]
	s_waitcnt lgkmcnt(0)
	s_barrier
	s_and_saveexec_b64 s[10:11], s[2:3]
	s_cbranch_execz .LBB203_97
; %bb.96:
	ds_read_b32 v3, v5 offset:392
.LBB203_97:
	s_or_b64 exec, exec, s[10:11]
	s_waitcnt lgkmcnt(0)
	ds_bpermute_b32 v2, v35, v3
	s_waitcnt lgkmcnt(0)
	v_add_f32_e32 v2, v3, v2
	ds_bpermute_b32 v5, v8, v2
	s_and_saveexec_b64 s[2:3], s[4:5]
	s_cbranch_execz .LBB203_110
; %bb.98:
	s_waitcnt lgkmcnt(0)
	v_add_f32_e32 v2, 0x358637bd, v5
	v_div_scale_f32 v3, s[4:5], v2, v2, 1.0
	v_rcp_f32_e32 v6, v3
	v_div_scale_f32 v7, vcc, 1.0, v2, 1.0
	s_movk_i32 s4, 0x7f
	v_fma_f32 v8, -v3, v6, 1.0
	v_fmac_f32_e32 v6, v8, v6
	v_mul_f32_e32 v8, v7, v6
	v_fma_f32 v9, -v3, v8, v7
	v_fmac_f32_e32 v8, v9, v6
	v_fma_f32 v3, -v3, v8, v7
	v_div_fmas_f32 v3, v3, v6, v8
	v_div_fixup_f32 v2, v3, v2, 1.0
	v_xad_u32 v3, v0, -1, s39
	v_subrev_u32_e32 v6, s44, v3
	v_cmp_lt_u32_e32 vcc, s4, v6
	s_mov_b64 s[10:11], -1
	v_mov_b32_e32 v3, v0
	s_and_saveexec_b64 s[4:5], vcc
	s_cbranch_execz .LBB203_107
; %bb.99:
	v_lshrrev_b32_e32 v6, 7, v6
	v_add_u32_e32 v8, -1, v6
	v_lshrrev_b32_e32 v7, 1, v8
	v_mov_b32_e32 v3, v2
	v_add_u32_e32 v7, 1, v7
	v_cmp_lt_u32_e32 vcc, 13, v8
	v_mov_b32_e32 v10, 0
	s_and_saveexec_b64 s[10:11], vcc
	s_cbranch_execz .LBB203_103
; %bb.100:
	v_mov_b32_e32 v9, 0x190
	v_and_b32_e32 v8, -8, v7
	v_lshl_add_u32 v9, v0, 2, v9
	s_mov_b32 s16, 0
	s_mov_b64 s[14:15], 0
.LBB203_101:                            ; =>This Inner Loop Header: Depth=1
	ds_read2st64_b32 v[10:11], v9 offset1:2
	ds_read2st64_b32 v[12:13], v9 offset0:4 offset1:6
	ds_read2st64_b32 v[18:19], v9 offset0:8 offset1:10
	;; [unrolled: 1-line block ×3, first 2 shown]
	v_add_u32_e32 v8, -8, v8
	s_waitcnt lgkmcnt(3)
	v_pk_mul_f32 v[10:11], v[2:3], v[10:11]
	s_waitcnt lgkmcnt(2)
	v_pk_mul_f32 v[12:13], v[2:3], v[12:13]
	ds_write2st64_b32 v9, v10, v11 offset1:2
	ds_write2st64_b32 v9, v12, v13 offset0:4 offset1:6
	ds_read2st64_b32 v[12:13], v9 offset0:16 offset1:18
	s_waitcnt lgkmcnt(4)
	v_pk_mul_f32 v[10:11], v[2:3], v[18:19]
	ds_write2st64_b32 v9, v10, v11 offset0:8 offset1:10
	s_waitcnt lgkmcnt(4)
	v_pk_mul_f32 v[10:11], v[2:3], v[20:21]
	ds_write2st64_b32 v9, v10, v11 offset0:12 offset1:14
	ds_read2st64_b32 v[10:11], v9 offset0:20 offset1:22
	s_waitcnt lgkmcnt(3)
	v_pk_mul_f32 v[12:13], v[2:3], v[12:13]
	ds_read2st64_b32 v[18:19], v9 offset0:24 offset1:26
	ds_write2st64_b32 v9, v12, v13 offset0:16 offset1:18
	ds_read2st64_b32 v[12:13], v9 offset0:28 offset1:30
	s_waitcnt lgkmcnt(3)
	v_pk_mul_f32 v[10:11], v[2:3], v[10:11]
	ds_write2st64_b32 v9, v10, v11 offset0:20 offset1:22
	s_waitcnt lgkmcnt(3)
	v_pk_mul_f32 v[10:11], v[2:3], v[18:19]
	ds_write2st64_b32 v9, v10, v11 offset0:24 offset1:26
	s_waitcnt lgkmcnt(2)
	v_pk_mul_f32 v[10:11], v[2:3], v[12:13]
	s_add_i32 s16, s16, 16
	v_cmp_eq_u32_e32 vcc, 0, v8
	ds_write2st64_b32 v9, v10, v11 offset0:28 offset1:30
	v_add_u32_e32 v9, 0x2000, v9
	s_or_b64 s[14:15], vcc, s[14:15]
	v_mov_b32_e32 v10, s16
	s_andn2_b64 exec, exec, s[14:15]
	s_cbranch_execnz .LBB203_101
; %bb.102:
	s_or_b64 exec, exec, s[14:15]
.LBB203_103:
	s_or_b64 exec, exec, s[10:11]
	v_and_b32_e32 v7, 7, v7
	v_cmp_ne_u32_e32 vcc, 0, v7
	s_and_saveexec_b64 s[10:11], vcc
	s_cbranch_execz .LBB203_106
; %bb.104:
	v_lshlrev_b32_e32 v8, 9, v10
	s_movk_i32 s14, 0x190
	v_add3_u32 v8, v8, v17, s14
	s_mov_b64 s[14:15], 0
.LBB203_105:                            ; =>This Inner Loop Header: Depth=1
	ds_read2st64_b32 v[10:11], v8 offset1:2
	v_add_u32_e32 v7, -1, v7
	v_cmp_eq_u32_e32 vcc, 0, v7
	s_or_b64 s[14:15], vcc, s[14:15]
	s_waitcnt lgkmcnt(0)
	v_pk_mul_f32 v[10:11], v[2:3], v[10:11]
	ds_write2st64_b32 v8, v10, v11 offset1:2
	v_add_u32_e32 v8, 0x400, v8
	s_andn2_b64 exec, exec, s[14:15]
	s_cbranch_execnz .LBB203_105
.LBB203_106:
	s_or_b64 exec, exec, s[10:11]
	v_add_u32_e32 v6, 1, v6
	v_and_b32_e32 v7, 0x3fffffe, v6
	v_cmp_ne_u32_e32 vcc, v6, v7
	v_lshl_add_u32 v3, v7, 7, v0
	s_orn2_b64 s[10:11], vcc, exec
.LBB203_107:
	s_or_b64 exec, exec, s[4:5]
	s_and_b64 exec, exec, s[10:11]
	s_cbranch_execz .LBB203_110
; %bb.108:
	v_mov_b32_e32 v6, 0x190
	v_lshl_add_u32 v6, v3, 2, v6
	s_mov_b64 s[4:5], 0
.LBB203_109:                            ; =>This Inner Loop Header: Depth=1
	ds_read_b32 v7, v6
	v_add_u32_e32 v3, 0x80, v3
	v_cmp_le_i32_e32 vcc, s38, v3
	s_or_b64 s[4:5], vcc, s[4:5]
	s_waitcnt lgkmcnt(0)
	v_mul_f32_e32 v7, v2, v7
	ds_write_b32 v6, v7
	v_add_u32_e32 v6, 0x200, v6
	s_andn2_b64 exec, exec, s[4:5]
	s_cbranch_execnz .LBB203_109
.LBB203_110:
	s_or_b64 exec, exec, s[2:3]
	s_mul_i32 s2, s25, s28
	v_cmp_eq_u32_e32 vcc, 0, v0
	s_mul_i32 s2, s2, s9
	s_waitcnt lgkmcnt(0)
	s_barrier
	s_and_saveexec_b64 s[4:5], vcc
	s_cbranch_execz .LBB203_112
; %bb.111:
	s_ashr_i32 s3, s2, 31
	s_lshl_b64 s[10:11], s[2:3], 2
	s_add_u32 s3, s22, s10
	s_mul_i32 s14, s25, s6
	s_addc_u32 s9, s23, s11
	s_ashr_i32 s15, s14, 31
	s_lshl_b64 s[14:15], s[14:15], 2
	s_add_u32 s3, s3, s14
	s_addc_u32 s6, s9, s15
	s_ashr_i32 s9, s8, 31
	s_lshl_b64 s[16:17], s[8:9], 2
	s_add_u32 s22, s3, s16
	s_addc_u32 s23, s6, s17
	s_add_u32 s3, s20, s10
	s_addc_u32 s6, s21, s11
	;; [unrolled: 2-line block ×3, first 2 shown]
	s_add_u32 s10, s3, s16
	v_mov_b32_e32 v2, 0
	s_addc_u32 s11, s6, s17
	global_store_dword v2, v4, s[22:23]
	global_store_dword v2, v5, s[10:11]
.LBB203_112:
	s_or_b64 exec, exec, s[4:5]
	s_mov_b32 s6, 0
	v_mov_b32_e32 v37, 0
	v_and_b32_e32 v36, 1, v0
	v_mov_b32_e32 v11, 0
	v_mov_b32_e32 v10, 0
	s_and_saveexec_b64 s[4:5], s[0:1]
	s_cbranch_execz .LBB203_194
; %bb.113:
	s_ashr_i32 s0, s12, 31
	s_add_u32 s1, s36, s12
	v_and_b32_e32 v3, 0xfc, v17
	v_and_b32_e32 v2, 4, v17
	s_load_dword s10, s[18:19], 0x0
	s_addc_u32 s0, s37, s0
	v_add_co_u32_e32 v8, vcc, s1, v3
	v_lshl_add_u32 v3, v25, 3, s44
	s_add_i32 s9, s7, -1
	v_mov_b32_e32 v4, s0
	v_add3_u32 v38, v3, v2, 3
	v_lshlrev_b32_e32 v2, 4, v36
	s_lshl_b64 s[0:1], s[34:35], 2
	v_lshl_or_b32 v2, v25, 5, v2
	s_add_u32 s0, s30, s0
	v_addc_co_u32_e32 v9, vcc, 0, v4, vcc
	v_add_u32_e32 v39, 0x190, v2
	v_lshlrev_b64 v[2:3], 2, v[14:15]
	s_addc_u32 s1, s31, s1
	v_mov_b32_e32 v4, s1
	v_add_co_u32_e32 v12, vcc, s0, v2
	s_mov_b32 s3, s13
	s_waitcnt lgkmcnt(0)
	s_mov_b32 s11, s10
	v_mov_b32_e32 v7, 0
	v_addc_co_u32_e32 v13, vcc, v4, v3, vcc
	s_mov_b64 s[12:13], 0
	s_movk_i32 s22, 0x80
	s_movk_i32 s23, 0x7f
	s_brev_b32 s7, 1
	s_mov_b32 s15, 0x7f800001
	s_mov_b32 s28, 0xffffff
	v_bfrev_b32_e32 v15, 60
	v_mov_b32_e32 v40, 7
	v_mov_b32_e32 v41, 24
	;; [unrolled: 1-line block ×5, first 2 shown]
	s_branch .LBB203_115
.LBB203_114:                            ;   in Loop: Header=BB203_115 Depth=1
	s_or_b64 exec, exec, s[0:1]
	s_waitcnt lgkmcnt(0)
	v_mul_f32_e32 v6, v3, v17
	v_fmac_f32_e32 v6, v2, v16
	v_fmac_f32_e32 v6, v4, v18
	;; [unrolled: 1-line block ×3, first 2 shown]
	v_add_f32_e32 v10, v10, v6
	v_mul_f32_e32 v6, v3, v23
	v_mul_f32_e32 v3, v3, v21
	v_fmac_f32_e32 v6, v2, v22
	v_fmac_f32_e32 v3, v2, v20
	v_add_u32_e32 v14, 2, v14
	v_fmac_f32_e32 v6, v4, v24
	v_fmac_f32_e32 v3, v4, v26
	v_cmp_le_i32_e32 vcc, s33, v14
	v_fmac_f32_e32 v6, v5, v25
	v_fmac_f32_e32 v3, v5, v27
	s_or_b64 s[12:13], vcc, s[12:13]
	v_add_co_u32_e32 v12, vcc, 8, v12
	v_add_f32_e32 v11, v11, v6
	v_add_f32_e32 v37, v37, v3
	v_add_u32_e32 v38, 16, v38
	v_add_u32_e32 v39, 64, v39
	v_addc_co_u32_e32 v13, vcc, 0, v13, vcc
	s_andn2_b64 exec, exec, s[12:13]
	s_cbranch_execz .LBB203_193
.LBB203_115:                            ; =>This Inner Loop Header: Depth=1
	global_load_dword v2, v[12:13], off
	v_pk_mov_b32 v[22:23], 0, 0
	v_pk_mov_b32 v[18:19], v[22:23], v[22:23] op_sel:[0,1]
	s_waitcnt vmcnt(0)
	v_mad_i64_i32 v[20:21], s[0:1], v2, s3, v[8:9]
	global_load_dword v16, v[20:21], off
	ds_read_b128 v[2:5], v39
	s_waitcnt vmcnt(0)
	v_cmp_ne_u16_sdwa s[16:17], v16, v7 src0_sel:BYTE_0 src1_sel:DWORD
	s_and_saveexec_b64 s[0:1], s[16:17]
	s_cbranch_execz .LBB203_121
; %bb.116:                              ;   in Loop: Header=BB203_115 Depth=1
	v_bfrev_b32_e32 v18, 1
	v_cmp_ne_u16_sdwa s[18:19], v16, s22 src0_sel:BYTE_0 src1_sel:DWORD
	v_mov_b32_e32 v19, 0
	s_and_saveexec_b64 s[16:17], s[18:19]
	s_cbranch_execz .LBB203_120
; %bb.117:                              ;   in Loop: Header=BB203_115 Depth=1
	v_and_b32_e32 v6, 0x7f, v16
	v_mov_b32_e32 v18, 0x7f800001
	v_cmp_ne_u32_e32 vcc, s23, v6
	v_mov_b32_e32 v19, 0
	s_and_saveexec_b64 s[18:19], vcc
	s_cbranch_execz .LBB203_119
; %bb.118:                              ;   in Loop: Header=BB203_115 Depth=1
	v_and_b32_e32 v17, 7, v16
	v_ffbh_u32_e32 v18, v17
	v_min_u32_e32 v25, 32, v18
	v_subrev_u32_e32 v18, 28, v25
	v_lshlrev_b64 v[18:19], v18, v[16:17]
	v_lshrrev_b32_e32 v24, 3, v6
	v_sub_u32_e32 v19, 29, v25
	v_and_b32_e32 v18, 7, v18
	v_cmp_gt_u32_e32 vcc, 8, v6
	v_cndmask_b32_e32 v6, v24, v19, vcc
	v_cndmask_b32_e32 v17, v17, v18, vcc
	v_lshlrev_b32_e32 v17, 20, v17
	v_and_b32_sdwa v18, sext(v16), s7 dst_sel:DWORD dst_unused:UNUSED_PAD src0_sel:BYTE_0 src1_sel:DWORD
	v_lshl_add_u32 v6, v6, 23, v15
	v_or3_b32 v6, v18, v6, v17
	v_pk_mov_b32 v[18:19], v[6:7], v[6:7] op_sel:[0,1]
.LBB203_119:                            ;   in Loop: Header=BB203_115 Depth=1
	s_or_b64 exec, exec, s[18:19]
.LBB203_120:                            ;   in Loop: Header=BB203_115 Depth=1
	s_or_b64 exec, exec, s[16:17]
.LBB203_121:                            ;   in Loop: Header=BB203_115 Depth=1
	s_or_b64 exec, exec, s[0:1]
	v_cmp_ne_u16_sdwa s[16:17], v16, v7 src0_sel:BYTE_1 src1_sel:DWORD
	s_and_saveexec_b64 s[0:1], s[16:17]
	s_cbranch_execz .LBB203_127
; %bb.122:                              ;   in Loop: Header=BB203_115 Depth=1
	v_cmp_ne_u16_sdwa s[18:19], v16, s22 src0_sel:BYTE_1 src1_sel:DWORD
	v_pk_mov_b32 v[22:23], s[6:7], s[6:7] op_sel:[0,1]
	s_and_saveexec_b64 s[16:17], s[18:19]
	s_cbranch_execz .LBB203_126
; %bb.123:                              ;   in Loop: Header=BB203_115 Depth=1
	v_and_b32_sdwa v17, v16, s23 dst_sel:DWORD dst_unused:UNUSED_PAD src0_sel:BYTE_1 src1_sel:DWORD
	s_mov_b32 s14, s6
	v_cmp_ne_u32_e32 vcc, s23, v17
	v_pk_mov_b32 v[22:23], s[14:15], s[14:15] op_sel:[0,1]
	s_and_saveexec_b64 s[18:19], vcc
	s_cbranch_execz .LBB203_125
; %bb.124:                              ;   in Loop: Header=BB203_115 Depth=1
	v_and_b32_sdwa v6, v16, v40 dst_sel:DWORD dst_unused:UNUSED_PAD src0_sel:BYTE_1 src1_sel:DWORD
	v_ffbh_u32_e32 v22, v6
	v_min_u32_e32 v25, 32, v22
	v_subrev_u32_e32 v22, 28, v25
	v_lshlrev_b64 v[22:23], v22, v[6:7]
	v_lshrrev_b32_e32 v24, 3, v17
	v_sub_u32_e32 v23, 29, v25
	v_cmp_gt_u32_e32 vcc, 8, v17
	v_and_b32_e32 v22, 7, v22
	v_cndmask_b32_e32 v17, v24, v23, vcc
	v_cndmask_b32_e32 v6, v6, v22, vcc
	v_lshlrev_b32_e32 v22, 16, v16
	v_lshl_add_u32 v17, v17, 23, v15
	v_and_or_b32 v17, v22, s7, v17
	v_lshlrev_b32_e32 v6, 20, v6
	v_or_b32_e32 v23, v17, v6
	v_mov_b32_e32 v22, v7
.LBB203_125:                            ;   in Loop: Header=BB203_115 Depth=1
	s_or_b64 exec, exec, s[18:19]
.LBB203_126:                            ;   in Loop: Header=BB203_115 Depth=1
	s_or_b64 exec, exec, s[16:17]
.LBB203_127:                            ;   in Loop: Header=BB203_115 Depth=1
	s_or_b64 exec, exec, s[0:1]
	v_lshrrev_b32_e32 v6, 16, v16
	v_pk_mov_b32 v[26:27], 0, 0
	v_cmp_ne_u16_sdwa s[16:17], v6, v7 src0_sel:BYTE_0 src1_sel:DWORD
	v_pk_mov_b32 v[24:25], v[26:27], v[26:27] op_sel:[0,1]
	s_and_saveexec_b64 s[0:1], s[16:17]
	s_cbranch_execz .LBB203_133
; %bb.128:                              ;   in Loop: Header=BB203_115 Depth=1
	v_bfrev_b32_e32 v24, 1
	v_cmp_ne_u16_sdwa s[18:19], v6, s22 src0_sel:BYTE_0 src1_sel:DWORD
	v_mov_b32_e32 v25, 0
	s_and_saveexec_b64 s[16:17], s[18:19]
	s_cbranch_execz .LBB203_132
; %bb.129:                              ;   in Loop: Header=BB203_115 Depth=1
	v_bfe_u32 v17, v16, 16, 7
	v_mov_b32_e32 v24, 0x7f800001
	v_cmp_ne_u32_e32 vcc, s23, v17
	v_mov_b32_e32 v25, 0
	s_and_saveexec_b64 s[18:19], vcc
	s_cbranch_execz .LBB203_131
; %bb.130:                              ;   in Loop: Header=BB203_115 Depth=1
	v_and_b32_e32 v28, 7, v6
	v_ffbh_u32_e32 v24, v28
	v_min_u32_e32 v30, 32, v24
	v_subrev_u32_e32 v24, 28, v30
	v_lshlrev_b64 v[24:25], v24, v[6:7]
	v_lshrrev_b32_e32 v29, 3, v17
	v_sub_u32_e32 v25, 29, v30
	v_and_b32_e32 v24, 7, v24
	v_cmp_gt_u32_e32 vcc, 8, v17
	v_cndmask_b32_e32 v17, v29, v25, vcc
	v_cndmask_b32_e32 v24, v28, v24, vcc
	v_lshlrev_b32_e32 v24, 20, v24
	v_and_b32_sdwa v6, sext(v6), s7 dst_sel:DWORD dst_unused:UNUSED_PAD src0_sel:BYTE_0 src1_sel:DWORD
	v_lshl_add_u32 v17, v17, 23, v15
	v_or3_b32 v6, v6, v17, v24
	v_pk_mov_b32 v[24:25], v[6:7], v[6:7] op_sel:[0,1]
.LBB203_131:                            ;   in Loop: Header=BB203_115 Depth=1
	s_or_b64 exec, exec, s[18:19]
.LBB203_132:                            ;   in Loop: Header=BB203_115 Depth=1
	s_or_b64 exec, exec, s[16:17]
.LBB203_133:                            ;   in Loop: Header=BB203_115 Depth=1
	s_or_b64 exec, exec, s[0:1]
	v_cmp_lt_u32_e32 vcc, s28, v16
	s_and_saveexec_b64 s[0:1], vcc
	s_cbranch_execz .LBB203_139
; %bb.134:                              ;   in Loop: Header=BB203_115 Depth=1
	v_cmp_ne_u32_sdwa s[18:19], v16, s22 src0_sel:BYTE_3 src1_sel:DWORD
	v_pk_mov_b32 v[26:27], s[6:7], s[6:7] op_sel:[0,1]
	s_and_saveexec_b64 s[16:17], s[18:19]
	s_cbranch_execz .LBB203_138
; %bb.135:                              ;   in Loop: Header=BB203_115 Depth=1
	v_bfe_u32 v17, v16, 24, 7
	s_mov_b32 s14, s6
	v_cmp_ne_u32_e32 vcc, s23, v17
	v_pk_mov_b32 v[26:27], s[14:15], s[14:15] op_sel:[0,1]
	s_and_saveexec_b64 s[18:19], vcc
	s_cbranch_execz .LBB203_137
; %bb.136:                              ;   in Loop: Header=BB203_115 Depth=1
	v_and_b32_sdwa v6, v16, v40 dst_sel:DWORD dst_unused:UNUSED_PAD src0_sel:BYTE_3 src1_sel:DWORD
	v_ffbh_u32_e32 v26, v6
	v_min_u32_e32 v29, 32, v26
	v_subrev_u32_e32 v26, 28, v29
	v_lshlrev_b64 v[26:27], v26, v[6:7]
	v_lshrrev_b32_e32 v28, 3, v17
	v_sub_u32_e32 v27, 29, v29
	v_cmp_gt_u32_e32 vcc, 8, v17
	v_and_b32_e32 v26, 7, v26
	v_cndmask_b32_e32 v17, v28, v27, vcc
	v_cndmask_b32_e32 v6, v6, v26, vcc
	v_lshlrev_b32_sdwa v16, v41, v16 dst_sel:DWORD dst_unused:UNUSED_PAD src0_sel:DWORD src1_sel:BYTE_3
	v_lshl_add_u32 v17, v17, 23, v15
	v_and_or_b32 v16, v16, s7, v17
	v_lshlrev_b32_e32 v6, 20, v6
	v_or_b32_e32 v27, v16, v6
	v_mov_b32_e32 v26, v7
.LBB203_137:                            ;   in Loop: Header=BB203_115 Depth=1
	s_or_b64 exec, exec, s[18:19]
.LBB203_138:                            ;   in Loop: Header=BB203_115 Depth=1
	s_or_b64 exec, exec, s[16:17]
.LBB203_139:                            ;   in Loop: Header=BB203_115 Depth=1
	s_or_b64 exec, exec, s[0:1]
	v_or_b32_e32 v17, v23, v19
	v_or_b32_e32 v16, v22, v18
	;; [unrolled: 1-line block ×4, first 2 shown]
	v_add_u32_e32 v42, -3, v38
	v_cmp_eq_u32_e32 vcc, s9, v14
	v_pk_mul_f32 v[16:17], s[10:11], v[16:17]
	v_pk_mul_f32 v[18:19], s[10:11], v[18:19]
	v_add_u32_e32 v44, -2, v38
	v_add_u32_e32 v43, -1, v38
	s_and_saveexec_b64 s[16:17], vcc
; %bb.140:                              ;   in Loop: Header=BB203_115 Depth=1
	v_cmp_gt_i32_e64 s[0:1], s29, v42
	v_cndmask_b32_e64 v16, 0, v16, s[0:1]
	v_cmp_gt_i32_e64 s[0:1], s29, v44
	v_cndmask_b32_e64 v17, 0, v17, s[0:1]
	v_cmp_gt_i32_e64 s[0:1], s29, v43
	v_cndmask_b32_e64 v18, 0, v18, s[0:1]
	v_cmp_gt_i32_e64 s[0:1], s29, v38
	v_cndmask_b32_e64 v19, 0, v19, s[0:1]
; %bb.141:                              ;   in Loop: Header=BB203_115 Depth=1
	s_or_b64 exec, exec, s[16:17]
	global_load_dword v22, v[20:21], off offset:256
	v_pk_mov_b32 v[26:27], 0, 0
	v_pk_mov_b32 v[24:25], v[26:27], v[26:27] op_sel:[0,1]
	s_waitcnt vmcnt(0)
	v_cmp_ne_u16_sdwa s[0:1], v22, v7 src0_sel:BYTE_0 src1_sel:DWORD
	s_and_saveexec_b64 s[16:17], s[0:1]
	s_cbranch_execz .LBB203_147
; %bb.142:                              ;   in Loop: Header=BB203_115 Depth=1
	v_bfrev_b32_e32 v24, 1
	v_cmp_ne_u16_sdwa s[0:1], v22, s22 src0_sel:BYTE_0 src1_sel:DWORD
	v_mov_b32_e32 v25, 0
	s_and_saveexec_b64 s[18:19], s[0:1]
	s_cbranch_execz .LBB203_146
; %bb.143:                              ;   in Loop: Header=BB203_115 Depth=1
	v_and_b32_e32 v6, 0x7f, v22
	v_mov_b32_e32 v24, 0x7f800001
	v_cmp_ne_u32_e64 s[0:1], s23, v6
	v_mov_b32_e32 v25, 0
	s_and_saveexec_b64 s[20:21], s[0:1]
	s_cbranch_execz .LBB203_145
; %bb.144:                              ;   in Loop: Header=BB203_115 Depth=1
	v_and_b32_e32 v23, 7, v22
	v_ffbh_u32_e32 v24, v23
	v_min_u32_e32 v29, 32, v24
	v_subrev_u32_e32 v24, 28, v29
	v_lshlrev_b64 v[24:25], v24, v[22:23]
	v_lshrrev_b32_e32 v28, 3, v6
	v_sub_u32_e32 v25, 29, v29
	v_and_b32_e32 v24, 7, v24
	v_cmp_gt_u32_e64 s[0:1], 8, v6
	v_cndmask_b32_e64 v6, v28, v25, s[0:1]
	v_cndmask_b32_e64 v23, v23, v24, s[0:1]
	v_lshlrev_b32_e32 v23, 20, v23
	v_and_b32_sdwa v24, sext(v22), s7 dst_sel:DWORD dst_unused:UNUSED_PAD src0_sel:BYTE_0 src1_sel:DWORD
	v_lshl_add_u32 v6, v6, 23, v15
	v_or3_b32 v6, v24, v6, v23
	v_pk_mov_b32 v[24:25], v[6:7], v[6:7] op_sel:[0,1]
.LBB203_145:                            ;   in Loop: Header=BB203_115 Depth=1
	s_or_b64 exec, exec, s[20:21]
.LBB203_146:                            ;   in Loop: Header=BB203_115 Depth=1
	s_or_b64 exec, exec, s[18:19]
.LBB203_147:                            ;   in Loop: Header=BB203_115 Depth=1
	s_or_b64 exec, exec, s[16:17]
	v_cmp_ne_u16_sdwa s[0:1], v22, v7 src0_sel:BYTE_1 src1_sel:DWORD
	s_and_saveexec_b64 s[16:17], s[0:1]
	s_cbranch_execz .LBB203_153
; %bb.148:                              ;   in Loop: Header=BB203_115 Depth=1
	v_cmp_ne_u16_sdwa s[0:1], v22, s22 src0_sel:BYTE_1 src1_sel:DWORD
	v_pk_mov_b32 v[26:27], s[6:7], s[6:7] op_sel:[0,1]
	s_and_saveexec_b64 s[18:19], s[0:1]
	s_cbranch_execz .LBB203_152
; %bb.149:                              ;   in Loop: Header=BB203_115 Depth=1
	v_and_b32_sdwa v23, v22, s23 dst_sel:DWORD dst_unused:UNUSED_PAD src0_sel:BYTE_1 src1_sel:DWORD
	s_mov_b32 s14, s6
	v_cmp_ne_u32_e64 s[0:1], s23, v23
	v_pk_mov_b32 v[26:27], s[14:15], s[14:15] op_sel:[0,1]
	s_and_saveexec_b64 s[20:21], s[0:1]
	s_cbranch_execz .LBB203_151
; %bb.150:                              ;   in Loop: Header=BB203_115 Depth=1
	v_and_b32_sdwa v6, v22, v40 dst_sel:DWORD dst_unused:UNUSED_PAD src0_sel:BYTE_1 src1_sel:DWORD
	v_ffbh_u32_e32 v26, v6
	v_min_u32_e32 v29, 32, v26
	v_subrev_u32_e32 v26, 28, v29
	v_lshlrev_b64 v[26:27], v26, v[6:7]
	v_lshrrev_b32_e32 v28, 3, v23
	v_sub_u32_e32 v27, 29, v29
	v_cmp_gt_u32_e64 s[0:1], 8, v23
	v_and_b32_e32 v26, 7, v26
	v_cndmask_b32_e64 v23, v28, v27, s[0:1]
	v_cndmask_b32_e64 v6, v6, v26, s[0:1]
	v_lshlrev_b32_e32 v26, 16, v22
	v_lshl_add_u32 v23, v23, 23, v15
	v_and_or_b32 v23, v26, s7, v23
	v_lshlrev_b32_e32 v6, 20, v6
	v_or_b32_e32 v27, v23, v6
	v_mov_b32_e32 v26, v7
.LBB203_151:                            ;   in Loop: Header=BB203_115 Depth=1
	s_or_b64 exec, exec, s[20:21]
.LBB203_152:                            ;   in Loop: Header=BB203_115 Depth=1
	s_or_b64 exec, exec, s[18:19]
.LBB203_153:                            ;   in Loop: Header=BB203_115 Depth=1
	s_or_b64 exec, exec, s[16:17]
	v_lshrrev_b32_e32 v6, 16, v22
	v_pk_mov_b32 v[30:31], 0, 0
	v_cmp_ne_u16_sdwa s[0:1], v6, v7 src0_sel:BYTE_0 src1_sel:DWORD
	v_pk_mov_b32 v[28:29], v[30:31], v[30:31] op_sel:[0,1]
	s_and_saveexec_b64 s[16:17], s[0:1]
	s_cbranch_execz .LBB203_159
; %bb.154:                              ;   in Loop: Header=BB203_115 Depth=1
	v_bfrev_b32_e32 v28, 1
	v_cmp_ne_u16_sdwa s[0:1], v6, s22 src0_sel:BYTE_0 src1_sel:DWORD
	v_mov_b32_e32 v29, 0
	s_and_saveexec_b64 s[18:19], s[0:1]
	s_cbranch_execz .LBB203_158
; %bb.155:                              ;   in Loop: Header=BB203_115 Depth=1
	v_bfe_u32 v23, v22, 16, 7
	v_mov_b32_e32 v28, 0x7f800001
	v_cmp_ne_u32_e64 s[0:1], s23, v23
	v_mov_b32_e32 v29, 0
	s_and_saveexec_b64 s[20:21], s[0:1]
	s_cbranch_execz .LBB203_157
; %bb.156:                              ;   in Loop: Header=BB203_115 Depth=1
	v_and_b32_e32 v32, 7, v6
	v_ffbh_u32_e32 v28, v32
	v_min_u32_e32 v45, 32, v28
	v_subrev_u32_e32 v28, 28, v45
	v_lshlrev_b64 v[28:29], v28, v[6:7]
	v_lshrrev_b32_e32 v33, 3, v23
	v_sub_u32_e32 v29, 29, v45
	v_and_b32_e32 v28, 7, v28
	v_cmp_gt_u32_e64 s[0:1], 8, v23
	v_cndmask_b32_e64 v23, v33, v29, s[0:1]
	v_cndmask_b32_e64 v28, v32, v28, s[0:1]
	v_lshlrev_b32_e32 v28, 20, v28
	v_and_b32_sdwa v6, sext(v6), s7 dst_sel:DWORD dst_unused:UNUSED_PAD src0_sel:BYTE_0 src1_sel:DWORD
	v_lshl_add_u32 v23, v23, 23, v15
	v_or3_b32 v6, v6, v23, v28
	v_pk_mov_b32 v[28:29], v[6:7], v[6:7] op_sel:[0,1]
.LBB203_157:                            ;   in Loop: Header=BB203_115 Depth=1
	s_or_b64 exec, exec, s[20:21]
.LBB203_158:                            ;   in Loop: Header=BB203_115 Depth=1
	s_or_b64 exec, exec, s[18:19]
.LBB203_159:                            ;   in Loop: Header=BB203_115 Depth=1
	s_or_b64 exec, exec, s[16:17]
	v_cmp_lt_u32_e64 s[0:1], s28, v22
	s_and_saveexec_b64 s[16:17], s[0:1]
	s_cbranch_execz .LBB203_165
; %bb.160:                              ;   in Loop: Header=BB203_115 Depth=1
	v_cmp_ne_u32_sdwa s[0:1], v22, s22 src0_sel:BYTE_3 src1_sel:DWORD
	v_pk_mov_b32 v[30:31], s[6:7], s[6:7] op_sel:[0,1]
	s_and_saveexec_b64 s[18:19], s[0:1]
	s_cbranch_execz .LBB203_164
; %bb.161:                              ;   in Loop: Header=BB203_115 Depth=1
	v_bfe_u32 v23, v22, 24, 7
	s_mov_b32 s14, s6
	v_cmp_ne_u32_e64 s[0:1], s23, v23
	v_pk_mov_b32 v[30:31], s[14:15], s[14:15] op_sel:[0,1]
	s_and_saveexec_b64 s[20:21], s[0:1]
	s_cbranch_execz .LBB203_163
; %bb.162:                              ;   in Loop: Header=BB203_115 Depth=1
	v_and_b32_sdwa v6, v22, v40 dst_sel:DWORD dst_unused:UNUSED_PAD src0_sel:BYTE_3 src1_sel:DWORD
	v_ffbh_u32_e32 v30, v6
	v_min_u32_e32 v33, 32, v30
	v_subrev_u32_e32 v30, 28, v33
	v_lshlrev_b64 v[30:31], v30, v[6:7]
	v_lshrrev_b32_e32 v32, 3, v23
	v_sub_u32_e32 v31, 29, v33
	v_cmp_gt_u32_e64 s[0:1], 8, v23
	v_and_b32_e32 v30, 7, v30
	v_cndmask_b32_e64 v23, v32, v31, s[0:1]
	v_cndmask_b32_e64 v6, v6, v30, s[0:1]
	v_lshlrev_b32_sdwa v22, v41, v22 dst_sel:DWORD dst_unused:UNUSED_PAD src0_sel:DWORD src1_sel:BYTE_3
	v_lshl_add_u32 v23, v23, 23, v15
	v_and_or_b32 v22, v22, s7, v23
	v_lshlrev_b32_e32 v6, 20, v6
	v_or_b32_e32 v31, v22, v6
	v_mov_b32_e32 v30, v7
.LBB203_163:                            ;   in Loop: Header=BB203_115 Depth=1
	s_or_b64 exec, exec, s[20:21]
.LBB203_164:                            ;   in Loop: Header=BB203_115 Depth=1
	s_or_b64 exec, exec, s[18:19]
.LBB203_165:                            ;   in Loop: Header=BB203_115 Depth=1
	s_or_b64 exec, exec, s[16:17]
	v_or_b32_e32 v23, v27, v25
	v_or_b32_e32 v22, v26, v24
	;; [unrolled: 1-line block ×4, first 2 shown]
	v_pk_mul_f32 v[22:23], s[10:11], v[22:23]
	v_pk_mul_f32 v[24:25], s[10:11], v[24:25]
	s_and_saveexec_b64 s[16:17], vcc
; %bb.166:                              ;   in Loop: Header=BB203_115 Depth=1
	v_cmp_gt_i32_e64 s[0:1], s29, v42
	v_cndmask_b32_e64 v22, 0, v22, s[0:1]
	v_cmp_gt_i32_e64 s[0:1], s29, v44
	v_cndmask_b32_e64 v23, 0, v23, s[0:1]
	;; [unrolled: 2-line block ×4, first 2 shown]
; %bb.167:                              ;   in Loop: Header=BB203_115 Depth=1
	s_or_b64 exec, exec, s[16:17]
	global_load_dword v20, v[20:21], off offset:512
	v_pk_mov_b32 v[28:29], 0, 0
	v_pk_mov_b32 v[26:27], v[28:29], v[28:29] op_sel:[0,1]
	s_waitcnt vmcnt(0)
	v_cmp_ne_u16_sdwa s[0:1], v20, v7 src0_sel:BYTE_0 src1_sel:DWORD
	s_and_saveexec_b64 s[16:17], s[0:1]
	s_cbranch_execz .LBB203_173
; %bb.168:                              ;   in Loop: Header=BB203_115 Depth=1
	v_bfrev_b32_e32 v26, 1
	v_cmp_ne_u16_sdwa s[0:1], v20, s22 src0_sel:BYTE_0 src1_sel:DWORD
	v_mov_b32_e32 v27, 0
	s_and_saveexec_b64 s[18:19], s[0:1]
	s_cbranch_execz .LBB203_172
; %bb.169:                              ;   in Loop: Header=BB203_115 Depth=1
	v_and_b32_e32 v6, 0x7f, v20
	v_mov_b32_e32 v26, 0x7f800001
	v_cmp_ne_u32_e64 s[0:1], s23, v6
	v_mov_b32_e32 v27, 0
	s_and_saveexec_b64 s[20:21], s[0:1]
	s_cbranch_execz .LBB203_171
; %bb.170:                              ;   in Loop: Header=BB203_115 Depth=1
	v_and_b32_e32 v21, 7, v20
	v_ffbh_u32_e32 v26, v21
	v_min_u32_e32 v31, 32, v26
	v_subrev_u32_e32 v26, 28, v31
	v_lshlrev_b64 v[26:27], v26, v[20:21]
	v_lshrrev_b32_e32 v30, 3, v6
	v_sub_u32_e32 v27, 29, v31
	v_and_b32_e32 v26, 7, v26
	v_cmp_gt_u32_e64 s[0:1], 8, v6
	v_cndmask_b32_e64 v6, v30, v27, s[0:1]
	v_cndmask_b32_e64 v21, v21, v26, s[0:1]
	v_lshlrev_b32_e32 v21, 20, v21
	v_and_b32_sdwa v26, sext(v20), s7 dst_sel:DWORD dst_unused:UNUSED_PAD src0_sel:BYTE_0 src1_sel:DWORD
	v_lshl_add_u32 v6, v6, 23, v15
	v_or3_b32 v6, v26, v6, v21
	v_pk_mov_b32 v[26:27], v[6:7], v[6:7] op_sel:[0,1]
.LBB203_171:                            ;   in Loop: Header=BB203_115 Depth=1
	s_or_b64 exec, exec, s[20:21]
.LBB203_172:                            ;   in Loop: Header=BB203_115 Depth=1
	s_or_b64 exec, exec, s[18:19]
.LBB203_173:                            ;   in Loop: Header=BB203_115 Depth=1
	s_or_b64 exec, exec, s[16:17]
	v_cmp_ne_u16_sdwa s[0:1], v20, v7 src0_sel:BYTE_1 src1_sel:DWORD
	s_and_saveexec_b64 s[16:17], s[0:1]
	s_cbranch_execz .LBB203_179
; %bb.174:                              ;   in Loop: Header=BB203_115 Depth=1
	v_cmp_ne_u16_sdwa s[0:1], v20, s22 src0_sel:BYTE_1 src1_sel:DWORD
	v_pk_mov_b32 v[28:29], s[6:7], s[6:7] op_sel:[0,1]
	s_and_saveexec_b64 s[18:19], s[0:1]
	s_cbranch_execz .LBB203_178
; %bb.175:                              ;   in Loop: Header=BB203_115 Depth=1
	v_and_b32_sdwa v21, v20, s23 dst_sel:DWORD dst_unused:UNUSED_PAD src0_sel:BYTE_1 src1_sel:DWORD
	s_mov_b32 s14, s6
	v_cmp_ne_u32_e64 s[0:1], s23, v21
	v_pk_mov_b32 v[28:29], s[14:15], s[14:15] op_sel:[0,1]
	s_and_saveexec_b64 s[20:21], s[0:1]
	s_cbranch_execz .LBB203_177
; %bb.176:                              ;   in Loop: Header=BB203_115 Depth=1
	v_and_b32_sdwa v6, v20, v40 dst_sel:DWORD dst_unused:UNUSED_PAD src0_sel:BYTE_1 src1_sel:DWORD
	v_ffbh_u32_e32 v28, v6
	v_min_u32_e32 v31, 32, v28
	v_subrev_u32_e32 v28, 28, v31
	v_lshlrev_b64 v[28:29], v28, v[6:7]
	v_lshrrev_b32_e32 v30, 3, v21
	v_sub_u32_e32 v29, 29, v31
	v_cmp_gt_u32_e64 s[0:1], 8, v21
	v_and_b32_e32 v28, 7, v28
	v_cndmask_b32_e64 v21, v30, v29, s[0:1]
	v_cndmask_b32_e64 v6, v6, v28, s[0:1]
	v_lshlrev_b32_e32 v28, 16, v20
	v_lshl_add_u32 v21, v21, 23, v15
	v_and_or_b32 v21, v28, s7, v21
	v_lshlrev_b32_e32 v6, 20, v6
	v_or_b32_e32 v29, v21, v6
	v_mov_b32_e32 v28, v7
.LBB203_177:                            ;   in Loop: Header=BB203_115 Depth=1
	s_or_b64 exec, exec, s[20:21]
.LBB203_178:                            ;   in Loop: Header=BB203_115 Depth=1
	s_or_b64 exec, exec, s[18:19]
.LBB203_179:                            ;   in Loop: Header=BB203_115 Depth=1
	s_or_b64 exec, exec, s[16:17]
	v_lshrrev_b32_e32 v6, 16, v20
	v_pk_mov_b32 v[32:33], 0, 0
	v_cmp_ne_u16_sdwa s[0:1], v6, v7 src0_sel:BYTE_0 src1_sel:DWORD
	v_pk_mov_b32 v[30:31], v[32:33], v[32:33] op_sel:[0,1]
	s_and_saveexec_b64 s[16:17], s[0:1]
	s_cbranch_execz .LBB203_185
; %bb.180:                              ;   in Loop: Header=BB203_115 Depth=1
	v_bfrev_b32_e32 v30, 1
	v_cmp_ne_u16_sdwa s[0:1], v6, s22 src0_sel:BYTE_0 src1_sel:DWORD
	v_mov_b32_e32 v31, 0
	s_and_saveexec_b64 s[18:19], s[0:1]
	s_cbranch_execz .LBB203_184
; %bb.181:                              ;   in Loop: Header=BB203_115 Depth=1
	v_bfe_u32 v21, v20, 16, 7
	v_mov_b32_e32 v30, 0x7f800001
	v_cmp_ne_u32_e64 s[0:1], s23, v21
	v_mov_b32_e32 v31, 0
	s_and_saveexec_b64 s[20:21], s[0:1]
	s_cbranch_execz .LBB203_183
; %bb.182:                              ;   in Loop: Header=BB203_115 Depth=1
	v_and_b32_e32 v45, 7, v6
	v_ffbh_u32_e32 v30, v45
	v_min_u32_e32 v47, 32, v30
	v_subrev_u32_e32 v30, 28, v47
	v_lshlrev_b64 v[30:31], v30, v[6:7]
	v_lshrrev_b32_e32 v46, 3, v21
	v_sub_u32_e32 v31, 29, v47
	v_and_b32_e32 v30, 7, v30
	v_cmp_gt_u32_e64 s[0:1], 8, v21
	v_cndmask_b32_e64 v21, v46, v31, s[0:1]
	v_cndmask_b32_e64 v30, v45, v30, s[0:1]
	v_lshlrev_b32_e32 v30, 20, v30
	v_and_b32_sdwa v6, sext(v6), s7 dst_sel:DWORD dst_unused:UNUSED_PAD src0_sel:BYTE_0 src1_sel:DWORD
	v_lshl_add_u32 v21, v21, 23, v15
	v_or3_b32 v6, v6, v21, v30
	v_pk_mov_b32 v[30:31], v[6:7], v[6:7] op_sel:[0,1]
.LBB203_183:                            ;   in Loop: Header=BB203_115 Depth=1
	s_or_b64 exec, exec, s[20:21]
.LBB203_184:                            ;   in Loop: Header=BB203_115 Depth=1
	s_or_b64 exec, exec, s[18:19]
.LBB203_185:                            ;   in Loop: Header=BB203_115 Depth=1
	s_or_b64 exec, exec, s[16:17]
	v_cmp_lt_u32_e64 s[0:1], s28, v20
	s_and_saveexec_b64 s[16:17], s[0:1]
	s_cbranch_execz .LBB203_191
; %bb.186:                              ;   in Loop: Header=BB203_115 Depth=1
	v_cmp_ne_u32_sdwa s[0:1], v20, s22 src0_sel:BYTE_3 src1_sel:DWORD
	v_pk_mov_b32 v[32:33], s[6:7], s[6:7] op_sel:[0,1]
	s_and_saveexec_b64 s[18:19], s[0:1]
	s_cbranch_execz .LBB203_190
; %bb.187:                              ;   in Loop: Header=BB203_115 Depth=1
	v_bfe_u32 v21, v20, 24, 7
	s_mov_b32 s14, s6
	v_cmp_ne_u32_e64 s[0:1], s23, v21
	v_pk_mov_b32 v[32:33], s[14:15], s[14:15] op_sel:[0,1]
	s_and_saveexec_b64 s[20:21], s[0:1]
	s_cbranch_execz .LBB203_189
; %bb.188:                              ;   in Loop: Header=BB203_115 Depth=1
	v_and_b32_sdwa v6, v20, v40 dst_sel:DWORD dst_unused:UNUSED_PAD src0_sel:BYTE_3 src1_sel:DWORD
	v_ffbh_u32_e32 v32, v6
	v_min_u32_e32 v46, 32, v32
	v_subrev_u32_e32 v32, 28, v46
	v_lshlrev_b64 v[32:33], v32, v[6:7]
	v_lshrrev_b32_e32 v45, 3, v21
	v_sub_u32_e32 v33, 29, v46
	v_cmp_gt_u32_e64 s[0:1], 8, v21
	v_and_b32_e32 v32, 7, v32
	v_cndmask_b32_e64 v21, v45, v33, s[0:1]
	v_cndmask_b32_e64 v6, v6, v32, s[0:1]
	v_lshlrev_b32_sdwa v20, v41, v20 dst_sel:DWORD dst_unused:UNUSED_PAD src0_sel:DWORD src1_sel:BYTE_3
	v_lshl_add_u32 v21, v21, 23, v15
	v_and_or_b32 v20, v20, s7, v21
	v_lshlrev_b32_e32 v6, 20, v6
	v_or_b32_e32 v33, v20, v6
	v_mov_b32_e32 v32, v7
.LBB203_189:                            ;   in Loop: Header=BB203_115 Depth=1
	s_or_b64 exec, exec, s[20:21]
.LBB203_190:                            ;   in Loop: Header=BB203_115 Depth=1
	s_or_b64 exec, exec, s[18:19]
.LBB203_191:                            ;   in Loop: Header=BB203_115 Depth=1
	s_or_b64 exec, exec, s[16:17]
	v_or_b32_e32 v21, v29, v27
	v_or_b32_e32 v20, v28, v26
	;; [unrolled: 1-line block ×4, first 2 shown]
	v_pk_mul_f32 v[20:21], s[10:11], v[20:21]
	v_pk_mul_f32 v[26:27], s[10:11], v[26:27]
	s_and_saveexec_b64 s[0:1], vcc
	s_cbranch_execz .LBB203_114
; %bb.192:                              ;   in Loop: Header=BB203_115 Depth=1
	v_cmp_gt_i32_e32 vcc, s29, v42
	v_cndmask_b32_e32 v20, 0, v20, vcc
	v_cmp_gt_i32_e32 vcc, s29, v44
	v_cndmask_b32_e32 v21, 0, v21, vcc
	;; [unrolled: 2-line block ×4, first 2 shown]
	s_branch .LBB203_114
.LBB203_193:
	s_or_b64 exec, exec, s[12:13]
.LBB203_194:
	s_or_b64 exec, exec, s[4:5]
	ds_bpermute_b32 v2, v35, v10
	ds_bpermute_b32 v3, v35, v11
	;; [unrolled: 1-line block ×3, first 2 shown]
	v_and_b32_e32 v5, 0x3c1, v0
	v_cmp_eq_u32_e32 vcc, 64, v5
	s_waitcnt lgkmcnt(0)
	v_pk_add_f32 v[2:3], v[10:11], v[2:3]
	v_add_f32_e32 v4, v37, v4
	s_barrier
	s_and_saveexec_b64 s[0:1], vcc
	s_cbranch_execz .LBB203_196
; %bb.195:
	v_mov_b32_e32 v6, 0x190
	v_lshl_add_u32 v6, v34, 1, v6
	ds_write2_b32 v6, v2, v3 offset1:32
	ds_write_b32 v6, v4 offset:256
.LBB203_196:
	s_or_b64 exec, exec, s[0:1]
	v_cmp_gt_u32_e32 vcc, 64, v0
	s_waitcnt lgkmcnt(0)
	s_barrier
	s_and_saveexec_b64 s[0:1], vcc
	s_cbranch_execz .LBB203_202
; %bb.197:
	v_cmp_eq_u32_e32 vcc, 0, v36
	s_and_saveexec_b64 s[4:5], vcc
	s_cbranch_execnz .LBB203_205
; %bb.198:
	s_or_b64 exec, exec, s[4:5]
	s_and_saveexec_b64 s[4:5], vcc
	s_cbranch_execnz .LBB203_206
.LBB203_199:
	s_or_b64 exec, exec, s[4:5]
	s_and_saveexec_b64 s[4:5], vcc
	s_cbranch_execz .LBB203_201
.LBB203_200:
	v_mov_b32_e32 v6, 0x190
	v_lshl_add_u32 v1, v1, 2, v6
	ds_read_b32 v1, v1 offset:256
	s_waitcnt lgkmcnt(0)
	v_add_f32_e32 v4, v4, v1
.LBB203_201:
	s_or_b64 exec, exec, s[4:5]
.LBB203_202:
	s_or_b64 exec, exec, s[0:1]
	v_cmp_eq_u32_e32 vcc, 0, v5
	s_barrier
	s_and_saveexec_b64 s[0:1], vcc
	s_cbranch_execz .LBB203_204
; %bb.203:
	s_mul_i32 s0, s2, 0x60
	s_ashr_i32 s1, s0, 31
	s_lshl_b64 s[0:1], s[0:1], 2
	s_add_u32 s2, s26, s0
	s_mul_i32 s0, s25, s24
	s_addc_u32 s3, s27, s1
	s_ashr_i32 s1, s0, 31
	s_lshl_b64 s[0:1], s[0:1], 2
	s_add_u32 s2, s2, s0
	s_mul_i32 s0, s8, 0x60
	s_addc_u32 s3, s3, s1
	s_ashr_i32 s1, s0, 31
	s_lshl_b64 s[0:1], s[0:1], 2
	s_add_u32 s0, s2, s0
	s_addc_u32 s1, s3, s1
	v_lshlrev_b32_e32 v0, 1, v0
	global_store_dword v0, v2, s[0:1]
	global_store_dword v0, v3, s[0:1] offset:128
	global_store_dword v0, v4, s[0:1] offset:256
.LBB203_204:
	s_endpgm
.LBB203_205:
	v_mov_b32_e32 v6, 0x190
	v_lshl_add_u32 v6, v1, 2, v6
	ds_read_b32 v6, v6
	s_waitcnt lgkmcnt(0)
	v_add_f32_e32 v2, v2, v6
	s_or_b64 exec, exec, s[4:5]
	s_and_saveexec_b64 s[4:5], vcc
	s_cbranch_execz .LBB203_199
.LBB203_206:
	v_mov_b32_e32 v6, 0x190
	v_lshl_add_u32 v6, v1, 2, v6
	ds_read_b32 v6, v6 offset:128
	s_waitcnt lgkmcnt(0)
	v_add_f32_e32 v3, v3, v6
	s_or_b64 exec, exec, s[4:5]
	s_and_saveexec_b64 s[4:5], vcc
	s_cbranch_execnz .LBB203_200
	s_branch .LBB203_201
	.section	.rodata,"a",@progbits
	.p2align	6, 0x0
	.amdhsa_kernel _ZN4vllm25paged_attention_v2_kernelIfhLi96ELi8ELi128ELNS_18Fp8KVCacheDataTypeE1ELb0ELi512EEEvPfS2_PT_PKS3_PKT0_S9_ifPKiSB_iPKfiiiSD_SD_iiiii
		.amdhsa_group_segment_fixed_size 400
		.amdhsa_private_segment_fixed_size 0
		.amdhsa_kernarg_size 400
		.amdhsa_user_sgpr_count 6
		.amdhsa_user_sgpr_private_segment_buffer 1
		.amdhsa_user_sgpr_dispatch_ptr 0
		.amdhsa_user_sgpr_queue_ptr 0
		.amdhsa_user_sgpr_kernarg_segment_ptr 1
		.amdhsa_user_sgpr_dispatch_id 0
		.amdhsa_user_sgpr_flat_scratch_init 0
		.amdhsa_user_sgpr_kernarg_preload_length 0
		.amdhsa_user_sgpr_kernarg_preload_offset 0
		.amdhsa_user_sgpr_private_segment_size 0
		.amdhsa_uses_dynamic_stack 0
		.amdhsa_system_sgpr_private_segment_wavefront_offset 0
		.amdhsa_system_sgpr_workgroup_id_x 1
		.amdhsa_system_sgpr_workgroup_id_y 1
		.amdhsa_system_sgpr_workgroup_id_z 1
		.amdhsa_system_sgpr_workgroup_info 0
		.amdhsa_system_vgpr_workitem_id 0
		.amdhsa_next_free_vgpr 54
		.amdhsa_next_free_sgpr 51
		.amdhsa_accum_offset 56
		.amdhsa_reserve_vcc 1
		.amdhsa_reserve_flat_scratch 0
		.amdhsa_float_round_mode_32 0
		.amdhsa_float_round_mode_16_64 0
		.amdhsa_float_denorm_mode_32 3
		.amdhsa_float_denorm_mode_16_64 3
		.amdhsa_dx10_clamp 1
		.amdhsa_ieee_mode 1
		.amdhsa_fp16_overflow 0
		.amdhsa_tg_split 0
		.amdhsa_exception_fp_ieee_invalid_op 0
		.amdhsa_exception_fp_denorm_src 0
		.amdhsa_exception_fp_ieee_div_zero 0
		.amdhsa_exception_fp_ieee_overflow 0
		.amdhsa_exception_fp_ieee_underflow 0
		.amdhsa_exception_fp_ieee_inexact 0
		.amdhsa_exception_int_div_zero 0
	.end_amdhsa_kernel
	.section	.text._ZN4vllm25paged_attention_v2_kernelIfhLi96ELi8ELi128ELNS_18Fp8KVCacheDataTypeE1ELb0ELi512EEEvPfS2_PT_PKS3_PKT0_S9_ifPKiSB_iPKfiiiSD_SD_iiiii,"axG",@progbits,_ZN4vllm25paged_attention_v2_kernelIfhLi96ELi8ELi128ELNS_18Fp8KVCacheDataTypeE1ELb0ELi512EEEvPfS2_PT_PKS3_PKT0_S9_ifPKiSB_iPKfiiiSD_SD_iiiii,comdat
.Lfunc_end203:
	.size	_ZN4vllm25paged_attention_v2_kernelIfhLi96ELi8ELi128ELNS_18Fp8KVCacheDataTypeE1ELb0ELi512EEEvPfS2_PT_PKS3_PKT0_S9_ifPKiSB_iPKfiiiSD_SD_iiiii, .Lfunc_end203-_ZN4vllm25paged_attention_v2_kernelIfhLi96ELi8ELi128ELNS_18Fp8KVCacheDataTypeE1ELb0ELi512EEEvPfS2_PT_PKS3_PKT0_S9_ifPKiSB_iPKfiiiSD_SD_iiiii
                                        ; -- End function
	.section	.AMDGPU.csdata,"",@progbits
; Kernel info:
; codeLenInByte = 8420
; NumSgprs: 55
; NumVgprs: 54
; NumAgprs: 0
; TotalNumVgprs: 54
; ScratchSize: 0
; MemoryBound: 0
; FloatMode: 240
; IeeeMode: 1
; LDSByteSize: 400 bytes/workgroup (compile time only)
; SGPRBlocks: 6
; VGPRBlocks: 6
; NumSGPRsForWavesPerEU: 55
; NumVGPRsForWavesPerEU: 54
; AccumOffset: 56
; Occupancy: 8
; WaveLimiterHint : 1
; COMPUTE_PGM_RSRC2:SCRATCH_EN: 0
; COMPUTE_PGM_RSRC2:USER_SGPR: 6
; COMPUTE_PGM_RSRC2:TRAP_HANDLER: 0
; COMPUTE_PGM_RSRC2:TGID_X_EN: 1
; COMPUTE_PGM_RSRC2:TGID_Y_EN: 1
; COMPUTE_PGM_RSRC2:TGID_Z_EN: 1
; COMPUTE_PGM_RSRC2:TIDIG_COMP_CNT: 0
; COMPUTE_PGM_RSRC3_GFX90A:ACCUM_OFFSET: 13
; COMPUTE_PGM_RSRC3_GFX90A:TG_SPLIT: 0
	.section	.text._ZN4vllm25paged_attention_v2_kernelIfhLi112ELi8ELi128ELNS_18Fp8KVCacheDataTypeE1ELb0ELi512EEEvPfS2_PT_PKS3_PKT0_S9_ifPKiSB_iPKfiiiSD_SD_iiiii,"axG",@progbits,_ZN4vllm25paged_attention_v2_kernelIfhLi112ELi8ELi128ELNS_18Fp8KVCacheDataTypeE1ELb0ELi512EEEvPfS2_PT_PKS3_PKT0_S9_ifPKiSB_iPKfiiiSD_SD_iiiii,comdat
	.protected	_ZN4vllm25paged_attention_v2_kernelIfhLi112ELi8ELi128ELNS_18Fp8KVCacheDataTypeE1ELb0ELi512EEEvPfS2_PT_PKS3_PKT0_S9_ifPKiSB_iPKfiiiSD_SD_iiiii ; -- Begin function _ZN4vllm25paged_attention_v2_kernelIfhLi112ELi8ELi128ELNS_18Fp8KVCacheDataTypeE1ELb0ELi512EEEvPfS2_PT_PKS3_PKT0_S9_ifPKiSB_iPKfiiiSD_SD_iiiii
	.globl	_ZN4vllm25paged_attention_v2_kernelIfhLi112ELi8ELi128ELNS_18Fp8KVCacheDataTypeE1ELb0ELi512EEEvPfS2_PT_PKS3_PKT0_S9_ifPKiSB_iPKfiiiSD_SD_iiiii
	.p2align	8
	.type	_ZN4vllm25paged_attention_v2_kernelIfhLi112ELi8ELi128ELNS_18Fp8KVCacheDataTypeE1ELb0ELi512EEEvPfS2_PT_PKS3_PKT0_S9_ifPKiSB_iPKfiiiSD_SD_iiiii,@function
_ZN4vllm25paged_attention_v2_kernelIfhLi112ELi8ELi128ELNS_18Fp8KVCacheDataTypeE1ELb0ELi512EEEvPfS2_PT_PKS3_PKT0_S9_ifPKiSB_iPKfiiiSD_SD_iiiii: ; @_ZN4vllm25paged_attention_v2_kernelIfhLi112ELi8ELi128ELNS_18Fp8KVCacheDataTypeE1ELb0ELi512EEEvPfS2_PT_PKS3_PKT0_S9_ifPKiSB_iPKfiiiSD_SD_iiiii
; %bb.0:
	s_load_dwordx2 s[0:1], s[4:5], 0x40
	s_mov_b32 s28, s7
	s_ashr_i32 s29, s7, 31
	s_lshl_b64 s[2:3], s[28:29], 2
	s_waitcnt lgkmcnt(0)
	s_add_u32 s0, s0, s2
	s_addc_u32 s1, s1, s3
	s_load_dword s33, s[0:1], 0x0
	s_lshl_b32 s29, s8, 9
	s_waitcnt lgkmcnt(0)
	s_cmp_ge_i32 s29, s33
	s_cbranch_scc1 .LBB204_252
; %bb.1:
	s_load_dword s9, s[4:5], 0x90
	s_load_dwordx2 s[10:11], s[4:5], 0x30
	s_waitcnt lgkmcnt(0)
	s_abs_i32 s2, s9
	s_abs_i32 s0, s10
	v_cvt_f32_u32_e32 v1, s0
	s_sub_i32 s3, 0, s0
	s_xor_b32 s1, s9, s10
	s_ashr_i32 s1, s1, 31
	v_rcp_iflag_f32_e32 v1, v1
	v_mul_f32_e32 v1, 0x4f7ffffe, v1
	v_cvt_u32_f32_e32 v1, v1
	v_readfirstlane_b32 s7, v1
	s_mul_i32 s3, s3, s7
	s_mul_hi_u32 s3, s7, s3
	s_add_i32 s7, s7, s3
	s_mul_hi_u32 s3, s2, s7
	s_mul_i32 s7, s3, s0
	s_sub_i32 s2, s2, s7
	s_add_i32 s10, s3, 1
	s_sub_i32 s7, s2, s0
	s_cmp_ge_u32 s2, s0
	s_cselect_b32 s3, s10, s3
	s_cselect_b32 s2, s7, s2
	s_add_i32 s7, s3, 1
	s_cmp_ge_u32 s2, s0
	s_cselect_b32 s0, s7, s3
	s_xor_b32 s0, s0, s1
	s_sub_i32 s12, s0, s1
	s_abs_i32 s2, s12
	v_cvt_f32_u32_e32 v1, s2
	s_load_dwordx2 s[0:1], s[4:5], 0x50
	s_sub_i32 s7, 0, s2
	s_abs_i32 s3, s6
	v_rcp_iflag_f32_e32 v1, v1
	s_mov_b32 s10, 0
	v_mul_f32_e32 v1, 0x4f7ffffe, v1
	v_cvt_u32_f32_e32 v1, v1
	v_readfirstlane_b32 s13, v1
	s_mul_i32 s7, s7, s13
	s_mul_hi_u32 s7, s13, s7
	s_add_i32 s13, s13, s7
	s_waitcnt lgkmcnt(0)
	s_cmp_eq_u64 s[0:1], 0
	s_mul_hi_u32 s16, s3, s13
	s_cbranch_scc1 .LBB204_3
; %bb.2:
	s_ashr_i32 s7, s6, 31
	s_lshl_b64 s[14:15], s[6:7], 2
	s_add_u32 s0, s0, s14
	s_addc_u32 s1, s1, s15
	s_load_dword s10, s[0:1], 0x0
.LBB204_3:
	s_ashr_i32 s18, s12, 31
	s_load_dwordx4 s[12:15], s[4:5], 0x58
	s_movk_i32 s0, 0x70
	s_ashr_i32 s17, s6, 31
	v_and_b32_e32 v16, 7, v0
	s_mul_i32 s24, s6, 0x70
	v_cmp_gt_u32_e32 vcc, s0, v0
	v_lshlrev_b32_e32 v27, 2, v0
	v_lshrrev_b32_e32 v1, 1, v0
	s_and_saveexec_b64 s[0:1], vcc
	s_cbranch_execz .LBB204_5
; %bb.4:
	s_load_dwordx2 s[20:21], s[4:5], 0x18
	s_waitcnt lgkmcnt(0)
	s_mul_i32 s22, s28, s12
	s_ashr_i32 s23, s22, 31
	s_lshl_b64 s[22:23], s[22:23], 2
	v_and_b32_e32 v3, 0x1fc, v1
	s_add_u32 s7, s20, s22
	s_addc_u32 s12, s21, s23
	s_ashr_i32 s25, s24, 31
	s_lshl_b64 s[20:21], s[24:25], 2
	s_add_u32 s20, s7, s20
	s_addc_u32 s21, s12, s21
	global_load_dword v2, v27, s[20:21]
	v_mad_u32_u24 v3, v16, 56, v3
	s_waitcnt vmcnt(0)
	ds_write_b32 v3, v2
.LBB204_5:
	s_or_b64 exec, exec, s[0:1]
	s_add_i32 s0, s33, 7
	s_ashr_i32 s1, s0, 31
	s_lshr_b32 s1, s1, 29
	s_add_i32 s0, s0, s1
	s_lshl_b32 s7, s8, 6
	s_mul_i32 s1, s16, s2
	s_ashr_i32 s45, s0, 3
	s_add_i32 s0, s7, 64
	s_sub_i32 s1, s3, s1
	s_min_i32 s44, s0, s45
	s_xor_b32 s0, s17, s18
	s_add_i32 s3, s16, 1
	s_waitcnt lgkmcnt(0)
	s_sub_i32 s12, s1, s2
	s_cmp_ge_u32 s1, s2
	s_cselect_b32 s3, s3, s16
	s_cselect_b32 s1, s12, s1
	s_add_i32 s12, s3, 1
	s_cmp_ge_u32 s1, s2
	s_load_dwordx2 s[30:31], s[4:5], 0x38
	s_load_dword s2, s[4:5], 0x48
	v_lshrrev_b32_e32 v28, 6, v0
	s_cselect_b32 s1, s12, s3
	s_xor_b32 s1, s1, s0
	v_or_b32_e32 v14, s7, v28
	s_waitcnt lgkmcnt(0)
	s_mul_i32 s34, s28, s2
	s_sub_i32 s12, s1, s0
	s_ashr_i32 s35, s34, 31
	v_cmp_gt_i32_e64 s[0:1], s44, v14
	v_cmp_le_i32_e32 vcc, s44, v14
	v_mbcnt_lo_u32_b32 v22, -1, 0
	s_barrier
	s_waitcnt lgkmcnt(0)
                                        ; implicit-def: $sgpr15
                                        ; implicit-def: $vgpr17
                                        ; implicit-def: $vgpr29
	s_and_saveexec_b64 s[2:3], vcc
	s_xor_b64 s[2:3], exec, s[2:3]
; %bb.6:
	v_mbcnt_hi_u32_b32 v17, -1, v22
	v_and_b32_e32 v2, 64, v17
	v_add_u32_e32 v29, 64, v2
	s_mov_b32 s15, 0xff7fffff
                                        ; implicit-def: $vgpr16
                                        ; implicit-def: $vgpr22
; %bb.7:
	s_or_saveexec_b64 s[38:39], s[2:3]
	s_load_dwordx4 s[20:23], s[4:5], 0x0
	s_load_dwordx2 s[26:27], s[4:5], 0x10
	s_load_dword s25, s[4:5], 0x98
	s_load_dwordx2 s[36:37], s[4:5], 0x28
	s_load_dwordx4 s[16:19], s[4:5], 0x68
	v_mov_b32_e32 v31, s15
	s_mul_i32 s12, s12, s14
	v_ashrrev_i32_e32 v15, 31, v14
	s_xor_b64 exec, exec, s[38:39]
	s_cbranch_execz .LBB204_97
; %bb.8:
	s_load_dwordx2 s[2:3], s[4:5], 0x20
	s_ashr_i32 s4, s12, 31
	v_bfe_u32 v23, v0, 3, 3
	v_lshlrev_b32_e32 v2, 4, v23
	v_mul_u32_u24_e32 v17, 56, v16
	s_waitcnt lgkmcnt(0)
	s_add_u32 s2, s2, s12
	s_addc_u32 s3, s3, s4
	v_mov_b32_e32 v3, s3
	v_add_co_u32_e32 v18, vcc, s2, v2
	v_addc_co_u32_e32 v19, vcc, 0, v3, vcc
	ds_read2_b64 v[2:5], v17 offset1:1
	ds_read2_b64 v[6:9], v17 offset0:2 offset1:3
	ds_read2_b64 v[10:13], v17 offset0:4 offset1:5
	ds_read_b64 v[20:21], v17 offset:48
	v_mbcnt_hi_u32_b32 v17, -1, v22
	v_and_b32_e32 v22, 64, v17
	v_add_u32_e32 v29, 64, v22
	v_xor_b32_e32 v22, 4, v17
	v_cmp_lt_i32_e32 vcc, v22, v29
	v_cndmask_b32_e32 v22, v17, v22, vcc
	v_lshlrev_b32_e32 v30, 2, v22
	v_xor_b32_e32 v22, 2, v17
	v_cmp_lt_i32_e32 vcc, v22, v29
	v_cndmask_b32_e32 v22, v17, v22, vcc
	v_lshlrev_b32_e32 v32, 2, v22
	;; [unrolled: 4-line block ×3, first 2 shown]
	v_lshlrev_b32_e32 v22, 3, v28
	s_load_dword s47, s[16:17], 0x0
	s_sub_i32 s48, 1, s33
	v_add3_u32 v34, s29, v22, v23
	v_lshlrev_b32_e32 v22, 2, v23
	s_lshl_b64 s[4:5], s[34:35], 2
	v_lshl_or_b32 v22, v28, 5, v22
	s_add_u32 s4, s30, s4
	v_add_u32_e32 v35, 0x1d0, v22
	v_lshlrev_b64 v[22:23], 2, v[14:15]
	s_addc_u32 s5, s31, s5
	v_mov_b32_e32 v24, s5
	v_add_co_u32_e64 v22, s[4:5], s4, v22
	s_mov_b32 s46, s13
	v_cmp_eq_u32_e32 vcc, 0, v16
	v_cmp_neq_f32_e64 s[2:3], s10, 0
	v_addc_co_u32_e64 v23, s[4:5], v24, v23, s[4:5]
	s_mov_b64 s[14:15], 0
	v_mov_b32_e32 v31, 0xff7fffff
	s_movk_i32 s49, 0x80
	s_movk_i32 s50, 0x7f
	v_bfrev_b32_e32 v36, 60
	v_mov_b32_e32 v37, v14
	s_branch .LBB204_10
.LBB204_9:                              ;   in Loop: Header=BB204_10 Depth=1
	s_or_b64 exec, exec, s[16:17]
	v_add_u32_e32 v37, 2, v37
	v_cmp_le_i32_e64 s[4:5], s44, v37
	s_or_b64 s[14:15], s[4:5], s[14:15]
	v_add_co_u32_e64 v22, s[4:5], 8, v22
	v_add_u32_e32 v34, 16, v34
	v_add_u32_e32 v35, 64, v35
	v_addc_co_u32_e64 v23, s[4:5], 0, v23, s[4:5]
	s_andn2_b64 exec, exec, s[14:15]
	s_cbranch_execz .LBB204_96
.LBB204_10:                             ; =>This Inner Loop Header: Depth=1
	global_load_dword v24, v[22:23], off
	v_mov_b32_e32 v38, 0
	s_waitcnt vmcnt(0) lgkmcnt(0)
	v_mad_i64_i32 v[24:25], s[4:5], v24, s46, v[18:19]
	v_add_co_u32_e64 v24, s[4:5], v24, v16
	v_addc_co_u32_e64 v25, s[4:5], 0, v25, s[4:5]
	global_load_ubyte v39, v[24:25], off
	s_waitcnt vmcnt(0)
	v_cmp_ne_u16_e64 s[4:5], 0, v39
	s_and_saveexec_b64 s[16:17], s[4:5]
	s_cbranch_execz .LBB204_16
; %bb.11:                               ;   in Loop: Header=BB204_10 Depth=1
	v_cmp_ne_u16_e64 s[4:5], s49, v39
	v_bfrev_b32_e32 v38, 1
	s_and_saveexec_b64 s[40:41], s[4:5]
	s_cbranch_execz .LBB204_15
; %bb.12:                               ;   in Loop: Header=BB204_10 Depth=1
	v_and_b32_e32 v26, 0xffff, v39
	v_and_b32_e32 v40, 0x7f, v26
	v_cmp_ne_u32_e64 s[4:5], s50, v40
	v_mov_b32_e32 v38, 0x7f800001
	s_and_saveexec_b64 s[42:43], s[4:5]
	s_cbranch_execz .LBB204_14
; %bb.13:                               ;   in Loop: Header=BB204_10 Depth=1
	v_and_b32_e32 v38, 7, v26
	v_ffbh_u32_e32 v42, v38
	v_min_u32_e32 v44, 32, v42
	v_subrev_u32_e32 v42, 28, v44
	v_lshlrev_b64 v[42:43], v42, v[26:27]
	v_lshrrev_b32_e32 v41, 3, v40
	v_sub_u32_e32 v26, 29, v44
	v_and_b32_e32 v42, 7, v42
	v_cmp_gt_u32_e64 s[4:5], 8, v40
	v_cndmask_b32_e64 v26, v41, v26, s[4:5]
	v_cndmask_b32_e64 v38, v38, v42, s[4:5]
	v_lshlrev_b32_e32 v39, 24, v39
	v_lshlrev_b32_e32 v38, 20, v38
	v_and_b32_e32 v39, 0x80000000, v39
	v_lshl_add_u32 v26, v26, 23, v36
	v_or3_b32 v38, v39, v26, v38
.LBB204_14:                             ;   in Loop: Header=BB204_10 Depth=1
	s_or_b64 exec, exec, s[42:43]
.LBB204_15:                             ;   in Loop: Header=BB204_10 Depth=1
	s_or_b64 exec, exec, s[40:41]
.LBB204_16:                             ;   in Loop: Header=BB204_10 Depth=1
	s_or_b64 exec, exec, s[16:17]
	global_load_ubyte v40, v[24:25], off offset:8
	v_mov_b32_e32 v39, 0
	s_waitcnt vmcnt(0)
	v_cmp_ne_u16_e64 s[4:5], 0, v40
	s_and_saveexec_b64 s[16:17], s[4:5]
	s_cbranch_execz .LBB204_22
; %bb.17:                               ;   in Loop: Header=BB204_10 Depth=1
	v_cmp_ne_u16_e64 s[4:5], s49, v40
	v_bfrev_b32_e32 v39, 1
	s_and_saveexec_b64 s[40:41], s[4:5]
	s_cbranch_execz .LBB204_21
; %bb.18:                               ;   in Loop: Header=BB204_10 Depth=1
	v_and_b32_e32 v26, 0xffff, v40
	v_and_b32_e32 v41, 0x7f, v26
	v_cmp_ne_u32_e64 s[4:5], s50, v41
	v_mov_b32_e32 v39, 0x7f800001
	s_and_saveexec_b64 s[42:43], s[4:5]
	s_cbranch_execz .LBB204_20
; %bb.19:                               ;   in Loop: Header=BB204_10 Depth=1
	v_and_b32_e32 v39, 7, v26
	v_ffbh_u32_e32 v42, v39
	v_min_u32_e32 v45, 32, v42
	v_subrev_u32_e32 v42, 28, v45
	v_lshlrev_b64 v[42:43], v42, v[26:27]
	v_lshrrev_b32_e32 v44, 3, v41
	v_sub_u32_e32 v26, 29, v45
	v_and_b32_e32 v42, 7, v42
	v_cmp_gt_u32_e64 s[4:5], 8, v41
	v_cndmask_b32_e64 v26, v44, v26, s[4:5]
	v_cndmask_b32_e64 v39, v39, v42, s[4:5]
	v_lshlrev_b32_e32 v40, 24, v40
	v_lshlrev_b32_e32 v39, 20, v39
	v_and_b32_e32 v40, 0x80000000, v40
	v_lshl_add_u32 v26, v26, 23, v36
	v_or3_b32 v39, v40, v26, v39
.LBB204_20:                             ;   in Loop: Header=BB204_10 Depth=1
	s_or_b64 exec, exec, s[42:43]
.LBB204_21:                             ;   in Loop: Header=BB204_10 Depth=1
	s_or_b64 exec, exec, s[40:41]
.LBB204_22:                             ;   in Loop: Header=BB204_10 Depth=1
	s_or_b64 exec, exec, s[16:17]
	global_load_ubyte v42, v[24:25], off offset:128
	v_mov_b32_e32 v40, 0
	v_mov_b32_e32 v41, 0
	s_waitcnt vmcnt(0)
	v_cmp_ne_u16_e64 s[4:5], 0, v42
	s_and_saveexec_b64 s[16:17], s[4:5]
	s_cbranch_execz .LBB204_28
; %bb.23:                               ;   in Loop: Header=BB204_10 Depth=1
	v_cmp_ne_u16_e64 s[4:5], s49, v42
	v_bfrev_b32_e32 v41, 1
	s_and_saveexec_b64 s[40:41], s[4:5]
	s_cbranch_execz .LBB204_27
; %bb.24:                               ;   in Loop: Header=BB204_10 Depth=1
	v_and_b32_e32 v26, 0xffff, v42
	v_and_b32_e32 v43, 0x7f, v26
	v_cmp_ne_u32_e64 s[4:5], s50, v43
	v_mov_b32_e32 v41, 0x7f800001
	s_and_saveexec_b64 s[42:43], s[4:5]
	s_cbranch_execz .LBB204_26
; %bb.25:                               ;   in Loop: Header=BB204_10 Depth=1
	v_and_b32_e32 v41, 7, v26
	v_ffbh_u32_e32 v44, v41
	v_min_u32_e32 v47, 32, v44
	v_subrev_u32_e32 v44, 28, v47
	v_lshlrev_b64 v[44:45], v44, v[26:27]
	v_lshrrev_b32_e32 v46, 3, v43
	v_sub_u32_e32 v26, 29, v47
	v_and_b32_e32 v44, 7, v44
	v_cmp_gt_u32_e64 s[4:5], 8, v43
	v_cndmask_b32_e64 v26, v46, v26, s[4:5]
	v_cndmask_b32_e64 v41, v41, v44, s[4:5]
	v_lshlrev_b32_e32 v42, 24, v42
	v_lshlrev_b32_e32 v41, 20, v41
	v_and_b32_e32 v42, 0x80000000, v42
	v_lshl_add_u32 v26, v26, 23, v36
	v_or3_b32 v41, v42, v26, v41
.LBB204_26:                             ;   in Loop: Header=BB204_10 Depth=1
	s_or_b64 exec, exec, s[42:43]
.LBB204_27:                             ;   in Loop: Header=BB204_10 Depth=1
	s_or_b64 exec, exec, s[40:41]
.LBB204_28:                             ;   in Loop: Header=BB204_10 Depth=1
	s_or_b64 exec, exec, s[16:17]
	global_load_ubyte v42, v[24:25], off offset:136
	s_waitcnt vmcnt(0)
	v_cmp_ne_u16_e64 s[4:5], 0, v42
	s_and_saveexec_b64 s[16:17], s[4:5]
	s_cbranch_execz .LBB204_34
; %bb.29:                               ;   in Loop: Header=BB204_10 Depth=1
	v_cmp_ne_u16_e64 s[4:5], s49, v42
	v_bfrev_b32_e32 v40, 1
	s_and_saveexec_b64 s[40:41], s[4:5]
	s_cbranch_execz .LBB204_33
; %bb.30:                               ;   in Loop: Header=BB204_10 Depth=1
	v_and_b32_e32 v26, 0xffff, v42
	v_and_b32_e32 v43, 0x7f, v26
	v_cmp_ne_u32_e64 s[4:5], s50, v43
	v_mov_b32_e32 v40, 0x7f800001
	s_and_saveexec_b64 s[42:43], s[4:5]
	s_cbranch_execz .LBB204_32
; %bb.31:                               ;   in Loop: Header=BB204_10 Depth=1
	v_and_b32_e32 v40, 7, v26
	v_ffbh_u32_e32 v44, v40
	v_min_u32_e32 v47, 32, v44
	v_subrev_u32_e32 v44, 28, v47
	v_lshlrev_b64 v[44:45], v44, v[26:27]
	v_lshrrev_b32_e32 v46, 3, v43
	v_sub_u32_e32 v26, 29, v47
	v_and_b32_e32 v44, 7, v44
	v_cmp_gt_u32_e64 s[4:5], 8, v43
	v_cndmask_b32_e64 v26, v46, v26, s[4:5]
	v_cndmask_b32_e64 v40, v40, v44, s[4:5]
	v_lshlrev_b32_e32 v42, 24, v42
	v_lshlrev_b32_e32 v40, 20, v40
	v_and_b32_e32 v42, 0x80000000, v42
	v_lshl_add_u32 v26, v26, 23, v36
	v_or3_b32 v40, v42, v26, v40
.LBB204_32:                             ;   in Loop: Header=BB204_10 Depth=1
	s_or_b64 exec, exec, s[42:43]
.LBB204_33:                             ;   in Loop: Header=BB204_10 Depth=1
	s_or_b64 exec, exec, s[40:41]
.LBB204_34:                             ;   in Loop: Header=BB204_10 Depth=1
	s_or_b64 exec, exec, s[16:17]
	global_load_ubyte v44, v[24:25], off offset:256
	v_mov_b32_e32 v42, 0
	v_mov_b32_e32 v43, 0
	s_waitcnt vmcnt(0)
	v_cmp_ne_u16_e64 s[4:5], 0, v44
	s_and_saveexec_b64 s[16:17], s[4:5]
	s_cbranch_execz .LBB204_40
; %bb.35:                               ;   in Loop: Header=BB204_10 Depth=1
	v_cmp_ne_u16_e64 s[4:5], s49, v44
	v_bfrev_b32_e32 v43, 1
	s_and_saveexec_b64 s[40:41], s[4:5]
	s_cbranch_execz .LBB204_39
; %bb.36:                               ;   in Loop: Header=BB204_10 Depth=1
	v_and_b32_e32 v26, 0xffff, v44
	v_and_b32_e32 v45, 0x7f, v26
	v_cmp_ne_u32_e64 s[4:5], s50, v45
	v_mov_b32_e32 v43, 0x7f800001
	s_and_saveexec_b64 s[42:43], s[4:5]
	s_cbranch_execz .LBB204_38
; %bb.37:                               ;   in Loop: Header=BB204_10 Depth=1
	v_and_b32_e32 v43, 7, v26
	v_ffbh_u32_e32 v46, v43
	v_min_u32_e32 v49, 32, v46
	v_subrev_u32_e32 v46, 28, v49
	v_lshlrev_b64 v[46:47], v46, v[26:27]
	v_lshrrev_b32_e32 v48, 3, v45
	v_sub_u32_e32 v26, 29, v49
	v_and_b32_e32 v46, 7, v46
	v_cmp_gt_u32_e64 s[4:5], 8, v45
	v_cndmask_b32_e64 v26, v48, v26, s[4:5]
	v_cndmask_b32_e64 v43, v43, v46, s[4:5]
	v_lshlrev_b32_e32 v44, 24, v44
	v_lshlrev_b32_e32 v43, 20, v43
	v_and_b32_e32 v44, 0x80000000, v44
	v_lshl_add_u32 v26, v26, 23, v36
	v_or3_b32 v43, v44, v26, v43
.LBB204_38:                             ;   in Loop: Header=BB204_10 Depth=1
	s_or_b64 exec, exec, s[42:43]
.LBB204_39:                             ;   in Loop: Header=BB204_10 Depth=1
	s_or_b64 exec, exec, s[40:41]
.LBB204_40:                             ;   in Loop: Header=BB204_10 Depth=1
	s_or_b64 exec, exec, s[16:17]
	global_load_ubyte v44, v[24:25], off offset:264
	s_waitcnt vmcnt(0)
	v_cmp_ne_u16_e64 s[4:5], 0, v44
	s_and_saveexec_b64 s[16:17], s[4:5]
	s_cbranch_execz .LBB204_46
; %bb.41:                               ;   in Loop: Header=BB204_10 Depth=1
	v_cmp_ne_u16_e64 s[4:5], s49, v44
	v_bfrev_b32_e32 v42, 1
	s_and_saveexec_b64 s[40:41], s[4:5]
	s_cbranch_execz .LBB204_45
; %bb.42:                               ;   in Loop: Header=BB204_10 Depth=1
	v_and_b32_e32 v26, 0xffff, v44
	v_and_b32_e32 v45, 0x7f, v26
	v_cmp_ne_u32_e64 s[4:5], s50, v45
	v_mov_b32_e32 v42, 0x7f800001
	s_and_saveexec_b64 s[42:43], s[4:5]
	s_cbranch_execz .LBB204_44
; %bb.43:                               ;   in Loop: Header=BB204_10 Depth=1
	v_and_b32_e32 v42, 7, v26
	v_ffbh_u32_e32 v46, v42
	v_min_u32_e32 v49, 32, v46
	v_subrev_u32_e32 v46, 28, v49
	v_lshlrev_b64 v[46:47], v46, v[26:27]
	v_lshrrev_b32_e32 v48, 3, v45
	v_sub_u32_e32 v26, 29, v49
	v_and_b32_e32 v46, 7, v46
	v_cmp_gt_u32_e64 s[4:5], 8, v45
	v_cndmask_b32_e64 v26, v48, v26, s[4:5]
	v_cndmask_b32_e64 v42, v42, v46, s[4:5]
	v_lshlrev_b32_e32 v44, 24, v44
	v_lshlrev_b32_e32 v42, 20, v42
	v_and_b32_e32 v44, 0x80000000, v44
	v_lshl_add_u32 v26, v26, 23, v36
	v_or3_b32 v42, v44, v26, v42
.LBB204_44:                             ;   in Loop: Header=BB204_10 Depth=1
	s_or_b64 exec, exec, s[42:43]
.LBB204_45:                             ;   in Loop: Header=BB204_10 Depth=1
	s_or_b64 exec, exec, s[40:41]
.LBB204_46:                             ;   in Loop: Header=BB204_10 Depth=1
	s_or_b64 exec, exec, s[16:17]
	global_load_ubyte v46, v[24:25], off offset:384
	v_mov_b32_e32 v44, 0
	v_mov_b32_e32 v45, 0
	s_waitcnt vmcnt(0)
	v_cmp_ne_u16_e64 s[4:5], 0, v46
	s_and_saveexec_b64 s[16:17], s[4:5]
	s_cbranch_execz .LBB204_52
; %bb.47:                               ;   in Loop: Header=BB204_10 Depth=1
	v_cmp_ne_u16_e64 s[4:5], s49, v46
	v_bfrev_b32_e32 v45, 1
	s_and_saveexec_b64 s[40:41], s[4:5]
	s_cbranch_execz .LBB204_51
; %bb.48:                               ;   in Loop: Header=BB204_10 Depth=1
	v_and_b32_e32 v26, 0xffff, v46
	v_and_b32_e32 v47, 0x7f, v26
	v_cmp_ne_u32_e64 s[4:5], s50, v47
	v_mov_b32_e32 v45, 0x7f800001
	s_and_saveexec_b64 s[42:43], s[4:5]
	s_cbranch_execz .LBB204_50
; %bb.49:                               ;   in Loop: Header=BB204_10 Depth=1
	v_and_b32_e32 v45, 7, v26
	v_ffbh_u32_e32 v48, v45
	v_min_u32_e32 v51, 32, v48
	v_subrev_u32_e32 v48, 28, v51
	v_lshlrev_b64 v[48:49], v48, v[26:27]
	v_lshrrev_b32_e32 v50, 3, v47
	v_sub_u32_e32 v26, 29, v51
	v_and_b32_e32 v48, 7, v48
	v_cmp_gt_u32_e64 s[4:5], 8, v47
	v_cndmask_b32_e64 v26, v50, v26, s[4:5]
	v_cndmask_b32_e64 v45, v45, v48, s[4:5]
	v_lshlrev_b32_e32 v46, 24, v46
	v_lshlrev_b32_e32 v45, 20, v45
	v_and_b32_e32 v46, 0x80000000, v46
	v_lshl_add_u32 v26, v26, 23, v36
	v_or3_b32 v45, v46, v26, v45
.LBB204_50:                             ;   in Loop: Header=BB204_10 Depth=1
	s_or_b64 exec, exec, s[42:43]
.LBB204_51:                             ;   in Loop: Header=BB204_10 Depth=1
	s_or_b64 exec, exec, s[40:41]
.LBB204_52:                             ;   in Loop: Header=BB204_10 Depth=1
	s_or_b64 exec, exec, s[16:17]
	global_load_ubyte v46, v[24:25], off offset:392
	s_waitcnt vmcnt(0)
	v_cmp_ne_u16_e64 s[4:5], 0, v46
	s_and_saveexec_b64 s[16:17], s[4:5]
	s_cbranch_execz .LBB204_58
; %bb.53:                               ;   in Loop: Header=BB204_10 Depth=1
	v_cmp_ne_u16_e64 s[4:5], s49, v46
	v_bfrev_b32_e32 v44, 1
	s_and_saveexec_b64 s[40:41], s[4:5]
	s_cbranch_execz .LBB204_57
; %bb.54:                               ;   in Loop: Header=BB204_10 Depth=1
	v_and_b32_e32 v26, 0xffff, v46
	v_and_b32_e32 v47, 0x7f, v26
	v_cmp_ne_u32_e64 s[4:5], s50, v47
	v_mov_b32_e32 v44, 0x7f800001
	s_and_saveexec_b64 s[42:43], s[4:5]
	s_cbranch_execz .LBB204_56
; %bb.55:                               ;   in Loop: Header=BB204_10 Depth=1
	v_and_b32_e32 v44, 7, v26
	v_ffbh_u32_e32 v48, v44
	v_min_u32_e32 v51, 32, v48
	v_subrev_u32_e32 v48, 28, v51
	v_lshlrev_b64 v[48:49], v48, v[26:27]
	v_lshrrev_b32_e32 v50, 3, v47
	v_sub_u32_e32 v26, 29, v51
	v_and_b32_e32 v48, 7, v48
	v_cmp_gt_u32_e64 s[4:5], 8, v47
	v_cndmask_b32_e64 v26, v50, v26, s[4:5]
	v_cndmask_b32_e64 v44, v44, v48, s[4:5]
	v_lshlrev_b32_e32 v46, 24, v46
	v_lshlrev_b32_e32 v44, 20, v44
	v_and_b32_e32 v46, 0x80000000, v46
	v_lshl_add_u32 v26, v26, 23, v36
	v_or3_b32 v44, v46, v26, v44
.LBB204_56:                             ;   in Loop: Header=BB204_10 Depth=1
	s_or_b64 exec, exec, s[42:43]
.LBB204_57:                             ;   in Loop: Header=BB204_10 Depth=1
	s_or_b64 exec, exec, s[40:41]
.LBB204_58:                             ;   in Loop: Header=BB204_10 Depth=1
	s_or_b64 exec, exec, s[16:17]
	global_load_ubyte v48, v[24:25], off offset:512
	v_mov_b32_e32 v46, 0
	v_mov_b32_e32 v47, 0
	s_waitcnt vmcnt(0)
	v_cmp_ne_u16_e64 s[4:5], 0, v48
	s_and_saveexec_b64 s[16:17], s[4:5]
	s_cbranch_execz .LBB204_64
; %bb.59:                               ;   in Loop: Header=BB204_10 Depth=1
	v_cmp_ne_u16_e64 s[4:5], s49, v48
	v_bfrev_b32_e32 v47, 1
	s_and_saveexec_b64 s[40:41], s[4:5]
	s_cbranch_execz .LBB204_63
; %bb.60:                               ;   in Loop: Header=BB204_10 Depth=1
	v_and_b32_e32 v26, 0xffff, v48
	v_and_b32_e32 v49, 0x7f, v26
	v_cmp_ne_u32_e64 s[4:5], s50, v49
	v_mov_b32_e32 v47, 0x7f800001
	s_and_saveexec_b64 s[42:43], s[4:5]
	s_cbranch_execz .LBB204_62
; %bb.61:                               ;   in Loop: Header=BB204_10 Depth=1
	v_and_b32_e32 v47, 7, v26
	v_ffbh_u32_e32 v50, v47
	v_min_u32_e32 v53, 32, v50
	v_subrev_u32_e32 v50, 28, v53
	v_lshlrev_b64 v[50:51], v50, v[26:27]
	v_lshrrev_b32_e32 v52, 3, v49
	v_sub_u32_e32 v26, 29, v53
	v_and_b32_e32 v50, 7, v50
	v_cmp_gt_u32_e64 s[4:5], 8, v49
	v_cndmask_b32_e64 v26, v52, v26, s[4:5]
	v_cndmask_b32_e64 v47, v47, v50, s[4:5]
	v_lshlrev_b32_e32 v48, 24, v48
	v_lshlrev_b32_e32 v47, 20, v47
	v_and_b32_e32 v48, 0x80000000, v48
	v_lshl_add_u32 v26, v26, 23, v36
	v_or3_b32 v47, v48, v26, v47
.LBB204_62:                             ;   in Loop: Header=BB204_10 Depth=1
	s_or_b64 exec, exec, s[42:43]
.LBB204_63:                             ;   in Loop: Header=BB204_10 Depth=1
	s_or_b64 exec, exec, s[40:41]
.LBB204_64:                             ;   in Loop: Header=BB204_10 Depth=1
	s_or_b64 exec, exec, s[16:17]
	global_load_ubyte v48, v[24:25], off offset:520
	s_waitcnt vmcnt(0)
	v_cmp_ne_u16_e64 s[4:5], 0, v48
	s_and_saveexec_b64 s[16:17], s[4:5]
	s_cbranch_execz .LBB204_70
; %bb.65:                               ;   in Loop: Header=BB204_10 Depth=1
	v_cmp_ne_u16_e64 s[4:5], s49, v48
	v_bfrev_b32_e32 v46, 1
	s_and_saveexec_b64 s[40:41], s[4:5]
	s_cbranch_execz .LBB204_69
; %bb.66:                               ;   in Loop: Header=BB204_10 Depth=1
	v_and_b32_e32 v26, 0xffff, v48
	v_and_b32_e32 v49, 0x7f, v26
	v_cmp_ne_u32_e64 s[4:5], s50, v49
	v_mov_b32_e32 v46, 0x7f800001
	s_and_saveexec_b64 s[42:43], s[4:5]
	s_cbranch_execz .LBB204_68
; %bb.67:                               ;   in Loop: Header=BB204_10 Depth=1
	v_and_b32_e32 v46, 7, v26
	v_ffbh_u32_e32 v50, v46
	v_min_u32_e32 v53, 32, v50
	v_subrev_u32_e32 v50, 28, v53
	v_lshlrev_b64 v[50:51], v50, v[26:27]
	v_lshrrev_b32_e32 v52, 3, v49
	v_sub_u32_e32 v26, 29, v53
	v_and_b32_e32 v50, 7, v50
	v_cmp_gt_u32_e64 s[4:5], 8, v49
	v_cndmask_b32_e64 v26, v52, v26, s[4:5]
	v_cndmask_b32_e64 v46, v46, v50, s[4:5]
	v_lshlrev_b32_e32 v48, 24, v48
	v_lshlrev_b32_e32 v46, 20, v46
	v_and_b32_e32 v48, 0x80000000, v48
	v_lshl_add_u32 v26, v26, 23, v36
	v_or3_b32 v46, v48, v26, v46
.LBB204_68:                             ;   in Loop: Header=BB204_10 Depth=1
	s_or_b64 exec, exec, s[42:43]
.LBB204_69:                             ;   in Loop: Header=BB204_10 Depth=1
	s_or_b64 exec, exec, s[40:41]
.LBB204_70:                             ;   in Loop: Header=BB204_10 Depth=1
	s_or_b64 exec, exec, s[16:17]
	global_load_ubyte v50, v[24:25], off offset:640
	v_mov_b32_e32 v48, 0
	v_mov_b32_e32 v49, 0
	s_waitcnt vmcnt(0)
	v_cmp_ne_u16_e64 s[4:5], 0, v50
	s_and_saveexec_b64 s[16:17], s[4:5]
	s_cbranch_execz .LBB204_76
; %bb.71:                               ;   in Loop: Header=BB204_10 Depth=1
	v_cmp_ne_u16_e64 s[4:5], s49, v50
	v_bfrev_b32_e32 v49, 1
	s_and_saveexec_b64 s[40:41], s[4:5]
	s_cbranch_execz .LBB204_75
; %bb.72:                               ;   in Loop: Header=BB204_10 Depth=1
	v_and_b32_e32 v26, 0xffff, v50
	v_and_b32_e32 v51, 0x7f, v26
	v_cmp_ne_u32_e64 s[4:5], s50, v51
	v_mov_b32_e32 v49, 0x7f800001
	s_and_saveexec_b64 s[42:43], s[4:5]
	s_cbranch_execz .LBB204_74
; %bb.73:                               ;   in Loop: Header=BB204_10 Depth=1
	v_and_b32_e32 v49, 7, v26
	v_ffbh_u32_e32 v52, v49
	v_min_u32_e32 v55, 32, v52
	v_subrev_u32_e32 v52, 28, v55
	v_lshlrev_b64 v[52:53], v52, v[26:27]
	v_lshrrev_b32_e32 v54, 3, v51
	v_sub_u32_e32 v26, 29, v55
	v_and_b32_e32 v52, 7, v52
	v_cmp_gt_u32_e64 s[4:5], 8, v51
	v_cndmask_b32_e64 v26, v54, v26, s[4:5]
	v_cndmask_b32_e64 v49, v49, v52, s[4:5]
	v_lshlrev_b32_e32 v50, 24, v50
	v_lshlrev_b32_e32 v49, 20, v49
	v_and_b32_e32 v50, 0x80000000, v50
	v_lshl_add_u32 v26, v26, 23, v36
	v_or3_b32 v49, v50, v26, v49
.LBB204_74:                             ;   in Loop: Header=BB204_10 Depth=1
	s_or_b64 exec, exec, s[42:43]
.LBB204_75:                             ;   in Loop: Header=BB204_10 Depth=1
	s_or_b64 exec, exec, s[40:41]
.LBB204_76:                             ;   in Loop: Header=BB204_10 Depth=1
	s_or_b64 exec, exec, s[16:17]
	global_load_ubyte v50, v[24:25], off offset:648
	s_waitcnt vmcnt(0)
	v_cmp_ne_u16_e64 s[4:5], 0, v50
	s_and_saveexec_b64 s[16:17], s[4:5]
	s_cbranch_execz .LBB204_82
; %bb.77:                               ;   in Loop: Header=BB204_10 Depth=1
	v_cmp_ne_u16_e64 s[4:5], s49, v50
	v_bfrev_b32_e32 v48, 1
	s_and_saveexec_b64 s[40:41], s[4:5]
	s_cbranch_execz .LBB204_81
; %bb.78:                               ;   in Loop: Header=BB204_10 Depth=1
	v_and_b32_e32 v26, 0xffff, v50
	v_and_b32_e32 v51, 0x7f, v26
	v_cmp_ne_u32_e64 s[4:5], s50, v51
	v_mov_b32_e32 v48, 0x7f800001
	s_and_saveexec_b64 s[42:43], s[4:5]
	s_cbranch_execz .LBB204_80
; %bb.79:                               ;   in Loop: Header=BB204_10 Depth=1
	v_and_b32_e32 v48, 7, v26
	v_ffbh_u32_e32 v52, v48
	v_min_u32_e32 v55, 32, v52
	v_subrev_u32_e32 v52, 28, v55
	v_lshlrev_b64 v[52:53], v52, v[26:27]
	v_lshrrev_b32_e32 v54, 3, v51
	v_sub_u32_e32 v26, 29, v55
	v_and_b32_e32 v52, 7, v52
	v_cmp_gt_u32_e64 s[4:5], 8, v51
	v_cndmask_b32_e64 v26, v54, v26, s[4:5]
	v_cndmask_b32_e64 v48, v48, v52, s[4:5]
	v_lshlrev_b32_e32 v50, 24, v50
	v_lshlrev_b32_e32 v48, 20, v48
	v_and_b32_e32 v50, 0x80000000, v50
	v_lshl_add_u32 v26, v26, 23, v36
	v_or3_b32 v48, v50, v26, v48
.LBB204_80:                             ;   in Loop: Header=BB204_10 Depth=1
	s_or_b64 exec, exec, s[42:43]
.LBB204_81:                             ;   in Loop: Header=BB204_10 Depth=1
	s_or_b64 exec, exec, s[40:41]
.LBB204_82:                             ;   in Loop: Header=BB204_10 Depth=1
	s_or_b64 exec, exec, s[16:17]
	global_load_ubyte v52, v[24:25], off offset:768
	v_mov_b32_e32 v50, 0
	v_mov_b32_e32 v51, 0
	s_waitcnt vmcnt(0)
	v_cmp_ne_u16_e64 s[4:5], 0, v52
	s_and_saveexec_b64 s[16:17], s[4:5]
	s_cbranch_execz .LBB204_88
; %bb.83:                               ;   in Loop: Header=BB204_10 Depth=1
	v_cmp_ne_u16_e64 s[4:5], s49, v52
	v_bfrev_b32_e32 v51, 1
	s_and_saveexec_b64 s[40:41], s[4:5]
	s_cbranch_execz .LBB204_87
; %bb.84:                               ;   in Loop: Header=BB204_10 Depth=1
	v_and_b32_e32 v26, 0xffff, v52
	v_and_b32_e32 v53, 0x7f, v26
	v_cmp_ne_u32_e64 s[4:5], s50, v53
	v_mov_b32_e32 v51, 0x7f800001
	s_and_saveexec_b64 s[42:43], s[4:5]
	s_cbranch_execz .LBB204_86
; %bb.85:                               ;   in Loop: Header=BB204_10 Depth=1
	v_and_b32_e32 v51, 7, v26
	v_ffbh_u32_e32 v54, v51
	v_min_u32_e32 v57, 32, v54
	v_subrev_u32_e32 v54, 28, v57
	v_lshlrev_b64 v[54:55], v54, v[26:27]
	v_lshrrev_b32_e32 v56, 3, v53
	v_sub_u32_e32 v26, 29, v57
	v_and_b32_e32 v54, 7, v54
	v_cmp_gt_u32_e64 s[4:5], 8, v53
	v_cndmask_b32_e64 v26, v56, v26, s[4:5]
	v_cndmask_b32_e64 v51, v51, v54, s[4:5]
	v_lshlrev_b32_e32 v52, 24, v52
	v_lshlrev_b32_e32 v51, 20, v51
	v_and_b32_e32 v52, 0x80000000, v52
	v_lshl_add_u32 v26, v26, 23, v36
	v_or3_b32 v51, v52, v26, v51
.LBB204_86:                             ;   in Loop: Header=BB204_10 Depth=1
	s_or_b64 exec, exec, s[42:43]
.LBB204_87:                             ;   in Loop: Header=BB204_10 Depth=1
	s_or_b64 exec, exec, s[40:41]
.LBB204_88:                             ;   in Loop: Header=BB204_10 Depth=1
	s_or_b64 exec, exec, s[16:17]
	global_load_ubyte v25, v[24:25], off offset:776
	s_waitcnt vmcnt(0)
	v_cmp_ne_u16_e64 s[4:5], 0, v25
	s_and_saveexec_b64 s[16:17], s[4:5]
	s_cbranch_execz .LBB204_94
; %bb.89:                               ;   in Loop: Header=BB204_10 Depth=1
	v_cmp_ne_u16_e64 s[4:5], s49, v25
	v_bfrev_b32_e32 v50, 1
	s_and_saveexec_b64 s[40:41], s[4:5]
	s_cbranch_execz .LBB204_93
; %bb.90:                               ;   in Loop: Header=BB204_10 Depth=1
	v_and_b32_e32 v24, 0xffff, v25
	v_and_b32_e32 v26, 0x7f, v24
	v_cmp_ne_u32_e64 s[4:5], s50, v26
	v_mov_b32_e32 v50, 0x7f800001
	s_and_saveexec_b64 s[42:43], s[4:5]
	s_cbranch_execz .LBB204_92
; %bb.91:                               ;   in Loop: Header=BB204_10 Depth=1
	v_and_b32_e32 v50, 7, v24
	v_ffbh_u32_e32 v52, v50
	v_min_u32_e32 v55, 32, v52
	v_subrev_u32_e32 v52, 28, v55
	v_lshlrev_b64 v[52:53], v52, v[24:25]
	v_lshrrev_b32_e32 v54, 3, v26
	v_sub_u32_e32 v24, 29, v55
	v_and_b32_e32 v52, 7, v52
	v_cmp_gt_u32_e64 s[4:5], 8, v26
	v_cndmask_b32_e64 v24, v54, v24, s[4:5]
	v_cndmask_b32_e64 v26, v50, v52, s[4:5]
	v_lshlrev_b32_e32 v25, 24, v25
	v_lshlrev_b32_e32 v26, 20, v26
	v_and_b32_e32 v25, 0x80000000, v25
	v_lshl_add_u32 v24, v24, 23, v36
	v_or3_b32 v50, v25, v24, v26
.LBB204_92:                             ;   in Loop: Header=BB204_10 Depth=1
	s_or_b64 exec, exec, s[42:43]
.LBB204_93:                             ;   in Loop: Header=BB204_10 Depth=1
	s_or_b64 exec, exec, s[40:41]
.LBB204_94:                             ;   in Loop: Header=BB204_10 Depth=1
	s_or_b64 exec, exec, s[16:17]
	s_waitcnt lgkmcnt(0)
	v_mul_f32_e32 v39, s47, v39
	v_mul_f32_e32 v38, s47, v38
	;; [unrolled: 1-line block ×4, first 2 shown]
	v_fmac_f32_e32 v39, v2, v38
	v_mul_f32_e32 v40, s47, v40
	v_fmac_f32_e32 v39, v4, v41
	v_mul_f32_e32 v43, s47, v43
	;; [unrolled: 2-line block ×11, first 2 shown]
	v_fmac_f32_e32 v39, v20, v24
	v_fmac_f32_e32 v39, v21, v48
	ds_bpermute_b32 v24, v30, v39
	s_waitcnt lgkmcnt(0)
	v_add_f32_e32 v24, v39, v24
	ds_bpermute_b32 v25, v32, v24
	s_waitcnt lgkmcnt(0)
	v_add_f32_e32 v24, v24, v25
	ds_bpermute_b32 v25, v33, v24
	s_and_saveexec_b64 s[16:17], vcc
	s_cbranch_execz .LBB204_9
; %bb.95:                               ;   in Loop: Header=BB204_10 Depth=1
	v_add_u32_e32 v26, s48, v34
	v_cvt_f32_i32_e32 v26, v26
	s_waitcnt lgkmcnt(0)
	v_add_f32_e32 v24, v24, v25
	v_cmp_gt_i32_e64 s[4:5], s33, v34
	v_max_f32_e32 v25, v31, v31
	v_mul_f32_e32 v26, s10, v26
	v_cndmask_b32_e64 v26, 0, v26, s[2:3]
	v_fmac_f32_e32 v26, s11, v24
	v_cndmask_b32_e64 v24, 0, v26, s[4:5]
	ds_write_b32 v35, v24
	v_max_f32_e32 v24, v25, v26
	v_cndmask_b32_e64 v31, v31, v24, s[4:5]
	s_branch .LBB204_9
.LBB204_96:
	s_or_b64 exec, exec, s[14:15]
.LBB204_97:
	s_or_b64 exec, exec, s[38:39]
	v_xor_b32_e32 v2, 32, v17
	v_cmp_lt_i32_e32 vcc, v2, v29
	v_cndmask_b32_e32 v2, v17, v2, vcc
	v_lshlrev_b32_e32 v3, 2, v2
	ds_bpermute_b32 v2, v3, v31
	v_xor_b32_e32 v5, 16, v17
	v_max_f32_e32 v4, v31, v31
	v_cmp_lt_i32_e32 vcc, v5, v29
	v_xor_b32_e32 v6, 8, v17
	s_waitcnt lgkmcnt(0)
	v_max_f32_e32 v2, v2, v2
	v_max_f32_e32 v2, v4, v2
	v_cndmask_b32_e32 v4, v17, v5, vcc
	v_lshlrev_b32_e32 v8, 2, v4
	ds_bpermute_b32 v4, v8, v2
	v_cmp_lt_i32_e32 vcc, v6, v29
	s_waitcnt lgkmcnt(0)
	v_max_f32_e32 v4, v4, v4
	v_max_f32_e32 v5, v2, v4
	v_cndmask_b32_e32 v2, v17, v6, vcc
	v_lshlrev_b32_e32 v9, 2, v2
	ds_bpermute_b32 v6, v9, v5
	v_and_b32_e32 v4, 63, v0
	v_cmp_eq_u32_e32 vcc, 0, v4
	v_lshlrev_b32_e32 v2, 2, v28
	s_and_saveexec_b64 s[2:3], vcc
	s_cbranch_execz .LBB204_99
; %bb.98:
	s_waitcnt lgkmcnt(0)
	v_max_f32_e32 v6, v6, v6
	v_max_f32_e32 v5, v5, v5
	;; [unrolled: 1-line block ×3, first 2 shown]
	ds_write_b32 v2, v5 offset:448
.LBB204_99:
	s_or_b64 exec, exec, s[2:3]
	v_cmp_gt_u32_e64 s[2:3], 2, v4
	v_mov_b32_e32 v5, 0xff7fffff
	s_waitcnt lgkmcnt(0)
	v_lshlrev_b32_e32 v6, 2, v4
	s_barrier
	s_and_saveexec_b64 s[4:5], s[2:3]
	s_cbranch_execz .LBB204_101
; %bb.100:
	ds_read_b32 v5, v6 offset:448
.LBB204_101:
	s_or_b64 exec, exec, s[4:5]
	v_xor_b32_e32 v7, 1, v17
	v_cmp_lt_i32_e64 s[4:5], v7, v29
	v_cndmask_b32_e64 v7, v17, v7, s[4:5]
	v_lshlrev_b32_e32 v7, 2, v7
	s_waitcnt lgkmcnt(0)
	ds_bpermute_b32 v10, v7, v5
	v_max_f32_e32 v5, v5, v5
	s_sub_i32 s4, s44, s7
	s_lshl_b32 s4, s4, 3
	s_add_i32 s4, s4, s29
	s_waitcnt lgkmcnt(0)
	v_max_f32_e32 v10, v10, v10
	v_max_f32_e32 v5, v5, v10
	v_lshlrev_b32_e32 v10, 2, v17
	v_and_b32_e32 v10, 0xffffff00, v10
	ds_bpermute_b32 v5, v10, v5
	s_min_i32 s38, s4, s33
	s_sub_i32 s7, s38, s29
	v_cmp_gt_i32_e64 s[4:5], s7, v0
	v_mov_b32_e32 v11, 0
	s_and_saveexec_b64 s[14:15], s[4:5]
	s_cbranch_execz .LBB204_105
; %bb.102:
	v_mov_b32_e32 v11, 0x1d0
	v_lshl_add_u32 v12, v0, 2, v11
	s_mov_b64 s[16:17], 0
	v_mov_b32_e32 v11, 0
	v_mov_b32_e32 v13, v0
.LBB204_103:                            ; =>This Inner Loop Header: Depth=1
	ds_read_b32 v16, v12
	v_add_u32_e32 v13, 0x80, v13
	v_cmp_le_i32_e64 s[10:11], s7, v13
	s_or_b64 s[16:17], s[10:11], s[16:17]
	s_waitcnt lgkmcnt(0)
	v_sub_f32_e32 v16, v16, v5
	v_mul_f32_e32 v16, 0x3fb8aa3b, v16
	v_exp_f32_e32 v16, v16
	ds_write_b32 v12, v16
	v_add_f32_e32 v11, v11, v16
	v_add_u32_e32 v12, 0x200, v12
	s_andn2_b64 exec, exec, s[16:17]
	s_cbranch_execnz .LBB204_103
; %bb.104:
	s_or_b64 exec, exec, s[16:17]
.LBB204_105:
	s_or_b64 exec, exec, s[14:15]
	ds_bpermute_b32 v3, v3, v11
	s_waitcnt lgkmcnt(0)
	v_add_f32_e32 v3, v11, v3
	ds_bpermute_b32 v8, v8, v3
	s_waitcnt lgkmcnt(0)
	v_add_f32_e32 v3, v3, v8
	ds_bpermute_b32 v8, v9, v3
	v_xor_b32_e32 v9, 4, v17
	v_cmp_lt_i32_e64 s[10:11], v9, v29
	v_cndmask_b32_e64 v9, v17, v9, s[10:11]
	v_lshlrev_b32_e32 v9, 2, v9
	s_waitcnt lgkmcnt(0)
	v_add_f32_e32 v3, v3, v8
	ds_bpermute_b32 v8, v9, v3
	v_xor_b32_e32 v9, 2, v17
	v_cmp_lt_i32_e64 s[10:11], v9, v29
	v_cndmask_b32_e64 v9, v17, v9, s[10:11]
	s_waitcnt lgkmcnt(0)
	v_add_f32_e32 v3, v3, v8
	v_lshlrev_b32_e32 v8, 2, v9
	ds_bpermute_b32 v8, v8, v3
	s_waitcnt lgkmcnt(0)
	v_add_f32_e32 v3, v3, v8
	ds_bpermute_b32 v8, v7, v3
	s_waitcnt lgkmcnt(0)
	v_add_f32_e32 v3, v3, v8
	s_and_saveexec_b64 s[10:11], vcc
	s_cbranch_execz .LBB204_107
; %bb.106:
	ds_write_b32 v2, v3 offset:456
.LBB204_107:
	s_or_b64 exec, exec, s[10:11]
	s_waitcnt lgkmcnt(0)
	s_barrier
	s_and_saveexec_b64 s[10:11], s[2:3]
	s_cbranch_execz .LBB204_109
; %bb.108:
	ds_read_b32 v3, v6 offset:456
.LBB204_109:
	s_or_b64 exec, exec, s[10:11]
	s_waitcnt lgkmcnt(0)
	ds_bpermute_b32 v2, v7, v3
	s_waitcnt lgkmcnt(0)
	v_add_f32_e32 v2, v3, v2
	ds_bpermute_b32 v6, v10, v2
	s_and_saveexec_b64 s[2:3], s[4:5]
	s_cbranch_execz .LBB204_122
; %bb.110:
	s_waitcnt lgkmcnt(0)
	v_add_f32_e32 v2, 0x358637bd, v6
	v_div_scale_f32 v3, s[4:5], v2, v2, 1.0
	v_rcp_f32_e32 v8, v3
	v_div_scale_f32 v9, vcc, 1.0, v2, 1.0
	s_movk_i32 s4, 0x7f
	v_fma_f32 v10, -v3, v8, 1.0
	v_fmac_f32_e32 v8, v10, v8
	v_mul_f32_e32 v10, v9, v8
	v_fma_f32 v11, -v3, v10, v9
	v_fmac_f32_e32 v10, v11, v8
	v_fma_f32 v3, -v3, v10, v9
	v_div_fmas_f32 v3, v3, v8, v10
	v_div_fixup_f32 v2, v3, v2, 1.0
	v_xad_u32 v3, v0, -1, s38
	v_subrev_u32_e32 v8, s29, v3
	v_cmp_lt_u32_e32 vcc, s4, v8
	s_mov_b64 s[10:11], -1
	v_mov_b32_e32 v3, v0
	s_and_saveexec_b64 s[4:5], vcc
	s_cbranch_execz .LBB204_119
; %bb.111:
	v_lshrrev_b32_e32 v8, 7, v8
	v_add_u32_e32 v10, -1, v8
	v_lshrrev_b32_e32 v9, 1, v10
	v_mov_b32_e32 v3, v2
	v_add_u32_e32 v9, 1, v9
	v_cmp_lt_u32_e32 vcc, 13, v10
	v_mov_b32_e32 v12, 0
	s_and_saveexec_b64 s[10:11], vcc
	s_cbranch_execz .LBB204_115
; %bb.112:
	v_mov_b32_e32 v11, 0x1d0
	v_and_b32_e32 v10, -8, v9
	v_lshl_add_u32 v11, v0, 2, v11
	s_mov_b32 s16, 0
	s_mov_b64 s[14:15], 0
.LBB204_113:                            ; =>This Inner Loop Header: Depth=1
	ds_read2st64_b32 v[12:13], v11 offset1:2
	ds_read2st64_b32 v[16:17], v11 offset0:4 offset1:6
	ds_read2st64_b32 v[18:19], v11 offset0:8 offset1:10
	;; [unrolled: 1-line block ×3, first 2 shown]
	v_add_u32_e32 v10, -8, v10
	s_waitcnt lgkmcnt(3)
	v_pk_mul_f32 v[12:13], v[2:3], v[12:13]
	s_waitcnt lgkmcnt(2)
	v_pk_mul_f32 v[16:17], v[2:3], v[16:17]
	ds_write2st64_b32 v11, v12, v13 offset1:2
	ds_write2st64_b32 v11, v16, v17 offset0:4 offset1:6
	ds_read2st64_b32 v[16:17], v11 offset0:16 offset1:18
	s_waitcnt lgkmcnt(4)
	v_pk_mul_f32 v[12:13], v[2:3], v[18:19]
	ds_write2st64_b32 v11, v12, v13 offset0:8 offset1:10
	s_waitcnt lgkmcnt(4)
	v_pk_mul_f32 v[12:13], v[2:3], v[20:21]
	ds_write2st64_b32 v11, v12, v13 offset0:12 offset1:14
	ds_read2st64_b32 v[12:13], v11 offset0:20 offset1:22
	s_waitcnt lgkmcnt(3)
	v_pk_mul_f32 v[16:17], v[2:3], v[16:17]
	ds_read2st64_b32 v[18:19], v11 offset0:24 offset1:26
	ds_write2st64_b32 v11, v16, v17 offset0:16 offset1:18
	ds_read2st64_b32 v[16:17], v11 offset0:28 offset1:30
	s_waitcnt lgkmcnt(3)
	v_pk_mul_f32 v[12:13], v[2:3], v[12:13]
	ds_write2st64_b32 v11, v12, v13 offset0:20 offset1:22
	s_waitcnt lgkmcnt(3)
	v_pk_mul_f32 v[12:13], v[2:3], v[18:19]
	ds_write2st64_b32 v11, v12, v13 offset0:24 offset1:26
	s_waitcnt lgkmcnt(2)
	v_pk_mul_f32 v[12:13], v[2:3], v[16:17]
	s_add_i32 s16, s16, 16
	v_cmp_eq_u32_e32 vcc, 0, v10
	ds_write2st64_b32 v11, v12, v13 offset0:28 offset1:30
	v_add_u32_e32 v11, 0x2000, v11
	s_or_b64 s[14:15], vcc, s[14:15]
	v_mov_b32_e32 v12, s16
	s_andn2_b64 exec, exec, s[14:15]
	s_cbranch_execnz .LBB204_113
; %bb.114:
	s_or_b64 exec, exec, s[14:15]
.LBB204_115:
	s_or_b64 exec, exec, s[10:11]
	v_and_b32_e32 v9, 7, v9
	v_cmp_ne_u32_e32 vcc, 0, v9
	s_and_saveexec_b64 s[10:11], vcc
	s_cbranch_execz .LBB204_118
; %bb.116:
	v_lshlrev_b32_e32 v10, 9, v12
	s_movk_i32 s14, 0x1d0
	v_add3_u32 v10, v10, v27, s14
	s_mov_b64 s[14:15], 0
.LBB204_117:                            ; =>This Inner Loop Header: Depth=1
	ds_read2st64_b32 v[12:13], v10 offset1:2
	v_add_u32_e32 v9, -1, v9
	v_cmp_eq_u32_e32 vcc, 0, v9
	s_or_b64 s[14:15], vcc, s[14:15]
	s_waitcnt lgkmcnt(0)
	v_pk_mul_f32 v[12:13], v[2:3], v[12:13]
	ds_write2st64_b32 v10, v12, v13 offset1:2
	v_add_u32_e32 v10, 0x400, v10
	s_andn2_b64 exec, exec, s[14:15]
	s_cbranch_execnz .LBB204_117
.LBB204_118:
	s_or_b64 exec, exec, s[10:11]
	v_add_u32_e32 v8, 1, v8
	v_and_b32_e32 v9, 0x3fffffe, v8
	v_cmp_ne_u32_e32 vcc, v8, v9
	v_lshl_add_u32 v3, v9, 7, v0
	s_orn2_b64 s[10:11], vcc, exec
.LBB204_119:
	s_or_b64 exec, exec, s[4:5]
	s_and_b64 exec, exec, s[10:11]
	s_cbranch_execz .LBB204_122
; %bb.120:
	v_mov_b32_e32 v8, 0x1d0
	v_lshl_add_u32 v8, v3, 2, v8
	s_mov_b64 s[4:5], 0
.LBB204_121:                            ; =>This Inner Loop Header: Depth=1
	ds_read_b32 v9, v8
	v_add_u32_e32 v3, 0x80, v3
	v_cmp_le_i32_e32 vcc, s7, v3
	s_or_b64 s[4:5], vcc, s[4:5]
	s_waitcnt lgkmcnt(0)
	v_mul_f32_e32 v9, v2, v9
	ds_write_b32 v8, v9
	v_add_u32_e32 v8, 0x200, v8
	s_andn2_b64 exec, exec, s[4:5]
	s_cbranch_execnz .LBB204_121
.LBB204_122:
	s_or_b64 exec, exec, s[2:3]
	s_mul_i32 s2, s25, s28
	v_cmp_eq_u32_e32 vcc, 0, v0
	s_mul_i32 s4, s2, s9
	s_waitcnt lgkmcnt(0)
	s_barrier
	s_and_saveexec_b64 s[2:3], vcc
	s_cbranch_execz .LBB204_124
; %bb.123:
	s_ashr_i32 s5, s4, 31
	s_lshl_b64 s[10:11], s[4:5], 2
	s_add_u32 s5, s22, s10
	s_mul_i32 s6, s25, s6
	s_addc_u32 s9, s23, s11
	s_ashr_i32 s7, s6, 31
	s_lshl_b64 s[6:7], s[6:7], 2
	s_add_u32 s5, s5, s6
	s_addc_u32 s17, s9, s7
	s_ashr_i32 s9, s8, 31
	s_lshl_b64 s[14:15], s[8:9], 2
	s_add_u32 s16, s5, s14
	s_addc_u32 s17, s17, s15
	s_add_u32 s5, s20, s10
	s_addc_u32 s9, s21, s11
	;; [unrolled: 2-line block ×3, first 2 shown]
	s_add_u32 s6, s5, s14
	v_mov_b32_e32 v2, 0
	s_addc_u32 s7, s7, s15
	global_store_dword v2, v5, s[16:17]
	global_store_dword v2, v6, s[6:7]
.LBB204_124:
	s_or_b64 exec, exec, s[2:3]
	v_mov_b32_e32 v11, 0
	s_mov_b32 s10, 0
	v_lshrrev_b32_e32 v42, 1, v4
	v_and_b32_e32 v13, 1, v0
	v_mov_b32_e32 v10, v11
	v_mov_b32_e32 v17, v11
	;; [unrolled: 1-line block ×3, first 2 shown]
	s_and_saveexec_b64 s[6:7], s[0:1]
	s_cbranch_execz .LBB204_234
; %bb.125:
	s_ashr_i32 s0, s12, 31
	s_add_u32 s2, s36, s12
	v_and_b32_e32 v2, 4, v27
	s_addc_u32 s3, s37, s0
	v_or_b32_e32 v3, 0x60, v42
	s_movk_i32 s0, 0x70
	s_load_dword s12, s[18:19], 0x0
	v_cmp_gt_u32_e32 vcc, s0, v3
	v_lshl_or_b32 v12, v3, 3, v2
	v_lshl_add_u32 v3, v28, 3, s29
	s_add_i32 s45, s45, -1
	v_lshl_or_b32 v6, v42, 3, v2
	v_add3_u32 v43, v3, v2, 3
	v_lshlrev_b32_e32 v2, 4, v13
	s_lshl_b64 s[0:1], s[34:35], 2
	v_lshl_or_b32 v2, v28, 5, v2
	s_add_u32 s0, s30, s0
	v_add_u32_e32 v44, 0x1d0, v2
	v_lshlrev_b64 v[2:3], 2, v[14:15]
	s_addc_u32 s1, s31, s1
	v_mov_b32_e32 v9, 0
	v_mov_b32_e32 v4, s1
	v_add_co_u32_e64 v18, s[0:1], s0, v2
	s_mov_b32 s5, s13
	s_waitcnt lgkmcnt(0)
	s_mov_b32 s13, s12
	v_addc_co_u32_e64 v19, s[0:1], v4, v3, s[0:1]
	s_mov_b64 s[14:15], 0
	v_pk_mov_b32 v[20:21], s[2:3], s[2:3] op_sel:[0,1]
	s_movk_i32 s9, 0x80
	s_movk_i32 s30, 0x7f
	s_brev_b32 s11, 1
	s_mov_b32 s17, 0x7f800001
	s_mov_b32 s31, 0xffffff
	v_bfrev_b32_e32 v15, 60
	v_mov_b32_e32 v45, 7
	v_mov_b32_e32 v46, 24
	v_mov_b32_e32 v16, v9
	v_mov_b32_e32 v17, v9
	v_mov_b32_e32 v10, v9
	v_mov_b32_e32 v11, v9
	s_branch .LBB204_128
.LBB204_126:                            ;   in Loop: Header=BB204_128 Depth=1
	s_or_b64 exec, exec, s[2:3]
	v_mul_f32_e32 v3, v3, v23
	v_fmac_f32_e32 v3, v2, v22
	v_fmac_f32_e32 v3, v4, v24
	;; [unrolled: 1-line block ×3, first 2 shown]
	v_add_f32_e32 v11, v11, v3
.LBB204_127:                            ;   in Loop: Header=BB204_128 Depth=1
	s_or_b64 exec, exec, s[18:19]
	v_add_u32_e32 v14, 2, v14
	v_cmp_le_i32_e64 s[0:1], s44, v14
	s_or_b64 s[14:15], s[0:1], s[14:15]
	v_add_co_u32_e64 v18, s[0:1], 8, v18
	v_add_u32_e32 v43, 16, v43
	v_add_u32_e32 v44, 64, v44
	v_addc_co_u32_e64 v19, s[0:1], 0, v19, s[0:1]
	s_andn2_b64 exec, exec, s[14:15]
	s_cbranch_execz .LBB204_233
.LBB204_128:                            ; =>This Inner Loop Header: Depth=1
	global_load_dword v2, v[18:19], off
	v_pk_mov_b32 v[30:31], 0, 0
	v_pk_mov_b32 v[26:27], v[30:31], v[30:31] op_sel:[0,1]
	s_waitcnt vmcnt(0)
	v_mad_i64_i32 v[22:23], s[0:1], v2, s5, v[20:21]
	v_add_co_u32_e64 v28, s[0:1], v22, v6
	v_addc_co_u32_e64 v29, s[0:1], 0, v23, s[0:1]
	global_load_dword v24, v[28:29], off
	ds_read_b128 v[2:5], v44
	s_waitcnt vmcnt(0)
	v_cmp_ne_u16_sdwa s[0:1], v24, v9 src0_sel:BYTE_0 src1_sel:DWORD
	s_and_saveexec_b64 s[2:3], s[0:1]
	s_cbranch_execz .LBB204_134
; %bb.129:                              ;   in Loop: Header=BB204_128 Depth=1
	v_bfrev_b32_e32 v26, 1
	v_cmp_ne_u16_sdwa s[0:1], v24, s9 src0_sel:BYTE_0 src1_sel:DWORD
	v_mov_b32_e32 v27, 0
	s_and_saveexec_b64 s[18:19], s[0:1]
	s_cbranch_execz .LBB204_133
; %bb.130:                              ;   in Loop: Header=BB204_128 Depth=1
	v_and_b32_e32 v8, 0x7f, v24
	v_mov_b32_e32 v26, 0x7f800001
	v_cmp_ne_u32_e64 s[0:1], s30, v8
	v_mov_b32_e32 v27, 0
	s_and_saveexec_b64 s[20:21], s[0:1]
	s_cbranch_execz .LBB204_132
; %bb.131:                              ;   in Loop: Header=BB204_128 Depth=1
	v_and_b32_e32 v25, 7, v24
	v_ffbh_u32_e32 v26, v25
	v_min_u32_e32 v33, 32, v26
	v_subrev_u32_e32 v26, 28, v33
	v_lshlrev_b64 v[26:27], v26, v[24:25]
	v_lshrrev_b32_e32 v32, 3, v8
	v_sub_u32_e32 v27, 29, v33
	v_and_b32_e32 v26, 7, v26
	v_cmp_gt_u32_e64 s[0:1], 8, v8
	v_cndmask_b32_e64 v8, v32, v27, s[0:1]
	v_cndmask_b32_e64 v25, v25, v26, s[0:1]
	v_lshlrev_b32_e32 v25, 20, v25
	v_and_b32_sdwa v26, sext(v24), s11 dst_sel:DWORD dst_unused:UNUSED_PAD src0_sel:BYTE_0 src1_sel:DWORD
	v_lshl_add_u32 v8, v8, 23, v15
	v_or3_b32 v8, v26, v8, v25
	v_pk_mov_b32 v[26:27], v[8:9], v[8:9] op_sel:[0,1]
.LBB204_132:                            ;   in Loop: Header=BB204_128 Depth=1
	s_or_b64 exec, exec, s[20:21]
.LBB204_133:                            ;   in Loop: Header=BB204_128 Depth=1
	s_or_b64 exec, exec, s[18:19]
.LBB204_134:                            ;   in Loop: Header=BB204_128 Depth=1
	s_or_b64 exec, exec, s[2:3]
	v_cmp_ne_u16_sdwa s[0:1], v24, v9 src0_sel:BYTE_1 src1_sel:DWORD
	s_and_saveexec_b64 s[2:3], s[0:1]
	s_cbranch_execz .LBB204_140
; %bb.135:                              ;   in Loop: Header=BB204_128 Depth=1
	v_cmp_ne_u16_sdwa s[0:1], v24, s9 src0_sel:BYTE_1 src1_sel:DWORD
	v_pk_mov_b32 v[30:31], s[10:11], s[10:11] op_sel:[0,1]
	s_and_saveexec_b64 s[18:19], s[0:1]
	s_cbranch_execz .LBB204_139
; %bb.136:                              ;   in Loop: Header=BB204_128 Depth=1
	v_and_b32_sdwa v25, v24, s30 dst_sel:DWORD dst_unused:UNUSED_PAD src0_sel:BYTE_1 src1_sel:DWORD
	s_mov_b32 s16, s10
	v_cmp_ne_u32_e64 s[0:1], s30, v25
	v_pk_mov_b32 v[30:31], s[16:17], s[16:17] op_sel:[0,1]
	s_and_saveexec_b64 s[20:21], s[0:1]
	s_cbranch_execz .LBB204_138
; %bb.137:                              ;   in Loop: Header=BB204_128 Depth=1
	v_and_b32_sdwa v8, v24, v45 dst_sel:DWORD dst_unused:UNUSED_PAD src0_sel:BYTE_1 src1_sel:DWORD
	v_ffbh_u32_e32 v30, v8
	v_min_u32_e32 v33, 32, v30
	v_subrev_u32_e32 v30, 28, v33
	v_lshlrev_b64 v[30:31], v30, v[8:9]
	v_lshrrev_b32_e32 v32, 3, v25
	v_sub_u32_e32 v31, 29, v33
	v_cmp_gt_u32_e64 s[0:1], 8, v25
	v_and_b32_e32 v30, 7, v30
	v_cndmask_b32_e64 v25, v32, v31, s[0:1]
	v_cndmask_b32_e64 v8, v8, v30, s[0:1]
	v_lshlrev_b32_e32 v30, 16, v24
	v_lshl_add_u32 v25, v25, 23, v15
	v_and_or_b32 v25, v30, s11, v25
	v_lshlrev_b32_e32 v8, 20, v8
	v_or_b32_e32 v31, v25, v8
	v_mov_b32_e32 v30, v9
.LBB204_138:                            ;   in Loop: Header=BB204_128 Depth=1
	s_or_b64 exec, exec, s[20:21]
.LBB204_139:                            ;   in Loop: Header=BB204_128 Depth=1
	s_or_b64 exec, exec, s[18:19]
.LBB204_140:                            ;   in Loop: Header=BB204_128 Depth=1
	s_or_b64 exec, exec, s[2:3]
	v_lshrrev_b32_e32 v8, 16, v24
	v_pk_mov_b32 v[34:35], 0, 0
	v_cmp_ne_u16_sdwa s[0:1], v8, v9 src0_sel:BYTE_0 src1_sel:DWORD
	v_pk_mov_b32 v[32:33], v[34:35], v[34:35] op_sel:[0,1]
	s_and_saveexec_b64 s[2:3], s[0:1]
	s_cbranch_execz .LBB204_146
; %bb.141:                              ;   in Loop: Header=BB204_128 Depth=1
	v_bfrev_b32_e32 v32, 1
	v_cmp_ne_u16_sdwa s[0:1], v8, s9 src0_sel:BYTE_0 src1_sel:DWORD
	v_mov_b32_e32 v33, 0
	s_and_saveexec_b64 s[18:19], s[0:1]
	s_cbranch_execz .LBB204_145
; %bb.142:                              ;   in Loop: Header=BB204_128 Depth=1
	v_bfe_u32 v25, v24, 16, 7
	v_mov_b32_e32 v32, 0x7f800001
	v_cmp_ne_u32_e64 s[0:1], s30, v25
	v_mov_b32_e32 v33, 0
	s_and_saveexec_b64 s[20:21], s[0:1]
	s_cbranch_execz .LBB204_144
; %bb.143:                              ;   in Loop: Header=BB204_128 Depth=1
	v_and_b32_e32 v36, 7, v8
	v_ffbh_u32_e32 v32, v36
	v_min_u32_e32 v38, 32, v32
	v_subrev_u32_e32 v32, 28, v38
	v_lshlrev_b64 v[32:33], v32, v[8:9]
	v_lshrrev_b32_e32 v37, 3, v25
	v_sub_u32_e32 v33, 29, v38
	v_and_b32_e32 v32, 7, v32
	v_cmp_gt_u32_e64 s[0:1], 8, v25
	v_cndmask_b32_e64 v25, v37, v33, s[0:1]
	v_cndmask_b32_e64 v32, v36, v32, s[0:1]
	v_lshlrev_b32_e32 v32, 20, v32
	v_and_b32_sdwa v8, sext(v8), s11 dst_sel:DWORD dst_unused:UNUSED_PAD src0_sel:BYTE_0 src1_sel:DWORD
	v_lshl_add_u32 v25, v25, 23, v15
	v_or3_b32 v8, v8, v25, v32
	v_pk_mov_b32 v[32:33], v[8:9], v[8:9] op_sel:[0,1]
.LBB204_144:                            ;   in Loop: Header=BB204_128 Depth=1
	s_or_b64 exec, exec, s[20:21]
.LBB204_145:                            ;   in Loop: Header=BB204_128 Depth=1
	s_or_b64 exec, exec, s[18:19]
.LBB204_146:                            ;   in Loop: Header=BB204_128 Depth=1
	s_or_b64 exec, exec, s[2:3]
	v_cmp_lt_u32_e64 s[0:1], s31, v24
	s_and_saveexec_b64 s[2:3], s[0:1]
	s_cbranch_execz .LBB204_152
; %bb.147:                              ;   in Loop: Header=BB204_128 Depth=1
	v_cmp_ne_u32_sdwa s[0:1], v24, s9 src0_sel:BYTE_3 src1_sel:DWORD
	v_pk_mov_b32 v[34:35], s[10:11], s[10:11] op_sel:[0,1]
	s_and_saveexec_b64 s[18:19], s[0:1]
	s_cbranch_execz .LBB204_151
; %bb.148:                              ;   in Loop: Header=BB204_128 Depth=1
	v_bfe_u32 v25, v24, 24, 7
	s_mov_b32 s16, s10
	v_cmp_ne_u32_e64 s[0:1], s30, v25
	v_pk_mov_b32 v[34:35], s[16:17], s[16:17] op_sel:[0,1]
	s_and_saveexec_b64 s[20:21], s[0:1]
	s_cbranch_execz .LBB204_150
; %bb.149:                              ;   in Loop: Header=BB204_128 Depth=1
	v_and_b32_sdwa v8, v24, v45 dst_sel:DWORD dst_unused:UNUSED_PAD src0_sel:BYTE_3 src1_sel:DWORD
	v_ffbh_u32_e32 v34, v8
	v_min_u32_e32 v37, 32, v34
	v_subrev_u32_e32 v34, 28, v37
	v_lshlrev_b64 v[34:35], v34, v[8:9]
	v_lshrrev_b32_e32 v36, 3, v25
	v_sub_u32_e32 v35, 29, v37
	v_cmp_gt_u32_e64 s[0:1], 8, v25
	v_and_b32_e32 v34, 7, v34
	v_cndmask_b32_e64 v25, v36, v35, s[0:1]
	v_cndmask_b32_e64 v8, v8, v34, s[0:1]
	v_lshlrev_b32_sdwa v24, v46, v24 dst_sel:DWORD dst_unused:UNUSED_PAD src0_sel:DWORD src1_sel:BYTE_3
	v_lshl_add_u32 v25, v25, 23, v15
	v_and_or_b32 v24, v24, s11, v25
	v_lshlrev_b32_e32 v8, 20, v8
	v_or_b32_e32 v35, v24, v8
	v_mov_b32_e32 v34, v9
.LBB204_150:                            ;   in Loop: Header=BB204_128 Depth=1
	s_or_b64 exec, exec, s[20:21]
.LBB204_151:                            ;   in Loop: Header=BB204_128 Depth=1
	s_or_b64 exec, exec, s[18:19]
.LBB204_152:                            ;   in Loop: Header=BB204_128 Depth=1
	s_or_b64 exec, exec, s[2:3]
	v_or_b32_e32 v25, v31, v27
	v_or_b32_e32 v24, v30, v26
	;; [unrolled: 1-line block ×4, first 2 shown]
	v_add_u32_e32 v47, -3, v43
	v_cmp_eq_u32_e64 s[0:1], s45, v14
	v_pk_mul_f32 v[24:25], s[12:13], v[24:25]
	v_pk_mul_f32 v[26:27], s[12:13], v[26:27]
	s_and_saveexec_b64 s[18:19], s[0:1]
; %bb.153:                              ;   in Loop: Header=BB204_128 Depth=1
	v_cmp_gt_i32_e64 s[2:3], s33, v47
	v_add_u32_e32 v8, -2, v43
	v_cndmask_b32_e64 v24, 0, v24, s[2:3]
	v_cmp_gt_i32_e64 s[2:3], s33, v8
	v_add_u32_e32 v8, -1, v43
	v_cndmask_b32_e64 v25, 0, v25, s[2:3]
	v_cmp_gt_i32_e64 s[2:3], s33, v8
	v_cndmask_b32_e64 v26, 0, v26, s[2:3]
	v_cmp_gt_i32_e64 s[2:3], s33, v43
	v_cndmask_b32_e64 v27, 0, v27, s[2:3]
; %bb.154:                              ;   in Loop: Header=BB204_128 Depth=1
	s_or_b64 exec, exec, s[18:19]
	global_load_dword v30, v[28:29], off offset:256
	v_pk_mov_b32 v[34:35], 0, 0
	v_pk_mov_b32 v[32:33], v[34:35], v[34:35] op_sel:[0,1]
	s_waitcnt vmcnt(0)
	v_cmp_ne_u16_sdwa s[2:3], v30, v9 src0_sel:BYTE_0 src1_sel:DWORD
	s_and_saveexec_b64 s[18:19], s[2:3]
	s_cbranch_execz .LBB204_160
; %bb.155:                              ;   in Loop: Header=BB204_128 Depth=1
	v_bfrev_b32_e32 v32, 1
	v_cmp_ne_u16_sdwa s[2:3], v30, s9 src0_sel:BYTE_0 src1_sel:DWORD
	v_mov_b32_e32 v33, 0
	s_and_saveexec_b64 s[20:21], s[2:3]
	s_cbranch_execz .LBB204_159
; %bb.156:                              ;   in Loop: Header=BB204_128 Depth=1
	v_and_b32_e32 v8, 0x7f, v30
	v_mov_b32_e32 v32, 0x7f800001
	v_cmp_ne_u32_e64 s[2:3], s30, v8
	v_mov_b32_e32 v33, 0
	s_and_saveexec_b64 s[22:23], s[2:3]
	s_cbranch_execz .LBB204_158
; %bb.157:                              ;   in Loop: Header=BB204_128 Depth=1
	v_and_b32_e32 v31, 7, v30
	v_ffbh_u32_e32 v32, v31
	v_min_u32_e32 v37, 32, v32
	v_subrev_u32_e32 v32, 28, v37
	v_lshlrev_b64 v[32:33], v32, v[30:31]
	v_lshrrev_b32_e32 v36, 3, v8
	v_sub_u32_e32 v33, 29, v37
	v_and_b32_e32 v32, 7, v32
	v_cmp_gt_u32_e64 s[2:3], 8, v8
	v_cndmask_b32_e64 v8, v36, v33, s[2:3]
	v_cndmask_b32_e64 v31, v31, v32, s[2:3]
	v_lshlrev_b32_e32 v31, 20, v31
	v_and_b32_sdwa v32, sext(v30), s11 dst_sel:DWORD dst_unused:UNUSED_PAD src0_sel:BYTE_0 src1_sel:DWORD
	v_lshl_add_u32 v8, v8, 23, v15
	v_or3_b32 v8, v32, v8, v31
	v_pk_mov_b32 v[32:33], v[8:9], v[8:9] op_sel:[0,1]
.LBB204_158:                            ;   in Loop: Header=BB204_128 Depth=1
	s_or_b64 exec, exec, s[22:23]
.LBB204_159:                            ;   in Loop: Header=BB204_128 Depth=1
	s_or_b64 exec, exec, s[20:21]
.LBB204_160:                            ;   in Loop: Header=BB204_128 Depth=1
	s_or_b64 exec, exec, s[18:19]
	v_cmp_ne_u16_sdwa s[2:3], v30, v9 src0_sel:BYTE_1 src1_sel:DWORD
	s_and_saveexec_b64 s[18:19], s[2:3]
	s_cbranch_execz .LBB204_166
; %bb.161:                              ;   in Loop: Header=BB204_128 Depth=1
	v_cmp_ne_u16_sdwa s[2:3], v30, s9 src0_sel:BYTE_1 src1_sel:DWORD
	v_pk_mov_b32 v[34:35], s[10:11], s[10:11] op_sel:[0,1]
	s_and_saveexec_b64 s[20:21], s[2:3]
	s_cbranch_execz .LBB204_165
; %bb.162:                              ;   in Loop: Header=BB204_128 Depth=1
	v_and_b32_sdwa v31, v30, s30 dst_sel:DWORD dst_unused:UNUSED_PAD src0_sel:BYTE_1 src1_sel:DWORD
	s_mov_b32 s16, s10
	v_cmp_ne_u32_e64 s[2:3], s30, v31
	v_pk_mov_b32 v[34:35], s[16:17], s[16:17] op_sel:[0,1]
	s_and_saveexec_b64 s[22:23], s[2:3]
	s_cbranch_execz .LBB204_164
; %bb.163:                              ;   in Loop: Header=BB204_128 Depth=1
	v_and_b32_sdwa v8, v30, v45 dst_sel:DWORD dst_unused:UNUSED_PAD src0_sel:BYTE_1 src1_sel:DWORD
	v_ffbh_u32_e32 v34, v8
	v_min_u32_e32 v37, 32, v34
	v_subrev_u32_e32 v34, 28, v37
	v_lshlrev_b64 v[34:35], v34, v[8:9]
	v_lshrrev_b32_e32 v36, 3, v31
	v_sub_u32_e32 v35, 29, v37
	v_cmp_gt_u32_e64 s[2:3], 8, v31
	v_and_b32_e32 v34, 7, v34
	v_cndmask_b32_e64 v31, v36, v35, s[2:3]
	v_cndmask_b32_e64 v8, v8, v34, s[2:3]
	v_lshlrev_b32_e32 v34, 16, v30
	v_lshl_add_u32 v31, v31, 23, v15
	v_and_or_b32 v31, v34, s11, v31
	v_lshlrev_b32_e32 v8, 20, v8
	v_or_b32_e32 v35, v31, v8
	v_mov_b32_e32 v34, v9
.LBB204_164:                            ;   in Loop: Header=BB204_128 Depth=1
	s_or_b64 exec, exec, s[22:23]
.LBB204_165:                            ;   in Loop: Header=BB204_128 Depth=1
	s_or_b64 exec, exec, s[20:21]
.LBB204_166:                            ;   in Loop: Header=BB204_128 Depth=1
	s_or_b64 exec, exec, s[18:19]
	v_lshrrev_b32_e32 v8, 16, v30
	v_pk_mov_b32 v[38:39], 0, 0
	v_cmp_ne_u16_sdwa s[2:3], v8, v9 src0_sel:BYTE_0 src1_sel:DWORD
	v_pk_mov_b32 v[36:37], v[38:39], v[38:39] op_sel:[0,1]
	s_and_saveexec_b64 s[18:19], s[2:3]
	s_cbranch_execz .LBB204_172
; %bb.167:                              ;   in Loop: Header=BB204_128 Depth=1
	v_bfrev_b32_e32 v36, 1
	v_cmp_ne_u16_sdwa s[2:3], v8, s9 src0_sel:BYTE_0 src1_sel:DWORD
	v_mov_b32_e32 v37, 0
	s_and_saveexec_b64 s[20:21], s[2:3]
	s_cbranch_execz .LBB204_171
; %bb.168:                              ;   in Loop: Header=BB204_128 Depth=1
	v_bfe_u32 v31, v30, 16, 7
	v_mov_b32_e32 v36, 0x7f800001
	v_cmp_ne_u32_e64 s[2:3], s30, v31
	v_mov_b32_e32 v37, 0
	s_and_saveexec_b64 s[22:23], s[2:3]
	s_cbranch_execz .LBB204_170
; %bb.169:                              ;   in Loop: Header=BB204_128 Depth=1
	v_and_b32_e32 v40, 7, v8
	v_ffbh_u32_e32 v36, v40
	v_min_u32_e32 v48, 32, v36
	v_subrev_u32_e32 v36, 28, v48
	v_lshlrev_b64 v[36:37], v36, v[8:9]
	v_lshrrev_b32_e32 v41, 3, v31
	v_sub_u32_e32 v37, 29, v48
	v_and_b32_e32 v36, 7, v36
	v_cmp_gt_u32_e64 s[2:3], 8, v31
	v_cndmask_b32_e64 v31, v41, v37, s[2:3]
	v_cndmask_b32_e64 v36, v40, v36, s[2:3]
	v_lshlrev_b32_e32 v36, 20, v36
	v_and_b32_sdwa v8, sext(v8), s11 dst_sel:DWORD dst_unused:UNUSED_PAD src0_sel:BYTE_0 src1_sel:DWORD
	v_lshl_add_u32 v31, v31, 23, v15
	v_or3_b32 v8, v8, v31, v36
	v_pk_mov_b32 v[36:37], v[8:9], v[8:9] op_sel:[0,1]
.LBB204_170:                            ;   in Loop: Header=BB204_128 Depth=1
	s_or_b64 exec, exec, s[22:23]
.LBB204_171:                            ;   in Loop: Header=BB204_128 Depth=1
	s_or_b64 exec, exec, s[20:21]
.LBB204_172:                            ;   in Loop: Header=BB204_128 Depth=1
	s_or_b64 exec, exec, s[18:19]
	v_cmp_lt_u32_e64 s[2:3], s31, v30
	s_and_saveexec_b64 s[18:19], s[2:3]
	s_cbranch_execz .LBB204_178
; %bb.173:                              ;   in Loop: Header=BB204_128 Depth=1
	v_cmp_ne_u32_sdwa s[2:3], v30, s9 src0_sel:BYTE_3 src1_sel:DWORD
	v_pk_mov_b32 v[38:39], s[10:11], s[10:11] op_sel:[0,1]
	s_and_saveexec_b64 s[20:21], s[2:3]
	s_cbranch_execz .LBB204_177
; %bb.174:                              ;   in Loop: Header=BB204_128 Depth=1
	v_bfe_u32 v31, v30, 24, 7
	s_mov_b32 s16, s10
	v_cmp_ne_u32_e64 s[2:3], s30, v31
	v_pk_mov_b32 v[38:39], s[16:17], s[16:17] op_sel:[0,1]
	s_and_saveexec_b64 s[22:23], s[2:3]
	s_cbranch_execz .LBB204_176
; %bb.175:                              ;   in Loop: Header=BB204_128 Depth=1
	v_and_b32_sdwa v8, v30, v45 dst_sel:DWORD dst_unused:UNUSED_PAD src0_sel:BYTE_3 src1_sel:DWORD
	v_ffbh_u32_e32 v38, v8
	v_min_u32_e32 v41, 32, v38
	v_subrev_u32_e32 v38, 28, v41
	v_lshlrev_b64 v[38:39], v38, v[8:9]
	v_lshrrev_b32_e32 v40, 3, v31
	v_sub_u32_e32 v39, 29, v41
	v_cmp_gt_u32_e64 s[2:3], 8, v31
	v_and_b32_e32 v38, 7, v38
	v_cndmask_b32_e64 v31, v40, v39, s[2:3]
	v_cndmask_b32_e64 v8, v8, v38, s[2:3]
	v_lshlrev_b32_sdwa v30, v46, v30 dst_sel:DWORD dst_unused:UNUSED_PAD src0_sel:DWORD src1_sel:BYTE_3
	v_lshl_add_u32 v31, v31, 23, v15
	v_and_or_b32 v30, v30, s11, v31
	v_lshlrev_b32_e32 v8, 20, v8
	v_or_b32_e32 v39, v30, v8
	v_mov_b32_e32 v38, v9
.LBB204_176:                            ;   in Loop: Header=BB204_128 Depth=1
	s_or_b64 exec, exec, s[22:23]
.LBB204_177:                            ;   in Loop: Header=BB204_128 Depth=1
	s_or_b64 exec, exec, s[20:21]
.LBB204_178:                            ;   in Loop: Header=BB204_128 Depth=1
	s_or_b64 exec, exec, s[18:19]
	v_or_b32_e32 v31, v35, v33
	v_or_b32_e32 v30, v34, v32
	;; [unrolled: 1-line block ×4, first 2 shown]
	v_pk_mul_f32 v[30:31], s[12:13], v[30:31]
	v_pk_mul_f32 v[32:33], s[12:13], v[32:33]
	s_and_saveexec_b64 s[18:19], s[0:1]
; %bb.179:                              ;   in Loop: Header=BB204_128 Depth=1
	v_cmp_gt_i32_e64 s[2:3], s33, v47
	v_add_u32_e32 v8, -2, v43
	v_cndmask_b32_e64 v30, 0, v30, s[2:3]
	v_cmp_gt_i32_e64 s[2:3], s33, v8
	v_add_u32_e32 v8, -1, v43
	v_cndmask_b32_e64 v31, 0, v31, s[2:3]
	v_cmp_gt_i32_e64 s[2:3], s33, v8
	v_cndmask_b32_e64 v32, 0, v32, s[2:3]
	v_cmp_gt_i32_e64 s[2:3], s33, v43
	v_cndmask_b32_e64 v33, 0, v33, s[2:3]
; %bb.180:                              ;   in Loop: Header=BB204_128 Depth=1
	s_or_b64 exec, exec, s[18:19]
	global_load_dword v28, v[28:29], off offset:512
	v_pk_mov_b32 v[36:37], 0, 0
	v_pk_mov_b32 v[34:35], v[36:37], v[36:37] op_sel:[0,1]
	s_waitcnt vmcnt(0)
	v_cmp_ne_u16_sdwa s[2:3], v28, v9 src0_sel:BYTE_0 src1_sel:DWORD
	s_and_saveexec_b64 s[18:19], s[2:3]
	s_cbranch_execz .LBB204_186
; %bb.181:                              ;   in Loop: Header=BB204_128 Depth=1
	v_bfrev_b32_e32 v34, 1
	v_cmp_ne_u16_sdwa s[2:3], v28, s9 src0_sel:BYTE_0 src1_sel:DWORD
	v_mov_b32_e32 v35, 0
	s_and_saveexec_b64 s[20:21], s[2:3]
	s_cbranch_execz .LBB204_185
; %bb.182:                              ;   in Loop: Header=BB204_128 Depth=1
	v_and_b32_e32 v8, 0x7f, v28
	v_mov_b32_e32 v34, 0x7f800001
	v_cmp_ne_u32_e64 s[2:3], s30, v8
	v_mov_b32_e32 v35, 0
	s_and_saveexec_b64 s[22:23], s[2:3]
	s_cbranch_execz .LBB204_184
; %bb.183:                              ;   in Loop: Header=BB204_128 Depth=1
	v_and_b32_e32 v29, 7, v28
	v_ffbh_u32_e32 v34, v29
	v_min_u32_e32 v39, 32, v34
	v_subrev_u32_e32 v34, 28, v39
	v_lshlrev_b64 v[34:35], v34, v[28:29]
	v_lshrrev_b32_e32 v38, 3, v8
	v_sub_u32_e32 v35, 29, v39
	v_and_b32_e32 v34, 7, v34
	v_cmp_gt_u32_e64 s[2:3], 8, v8
	v_cndmask_b32_e64 v8, v38, v35, s[2:3]
	v_cndmask_b32_e64 v29, v29, v34, s[2:3]
	v_lshlrev_b32_e32 v29, 20, v29
	v_and_b32_sdwa v34, sext(v28), s11 dst_sel:DWORD dst_unused:UNUSED_PAD src0_sel:BYTE_0 src1_sel:DWORD
	v_lshl_add_u32 v8, v8, 23, v15
	v_or3_b32 v8, v34, v8, v29
	v_pk_mov_b32 v[34:35], v[8:9], v[8:9] op_sel:[0,1]
.LBB204_184:                            ;   in Loop: Header=BB204_128 Depth=1
	s_or_b64 exec, exec, s[22:23]
.LBB204_185:                            ;   in Loop: Header=BB204_128 Depth=1
	s_or_b64 exec, exec, s[20:21]
.LBB204_186:                            ;   in Loop: Header=BB204_128 Depth=1
	s_or_b64 exec, exec, s[18:19]
	v_cmp_ne_u16_sdwa s[2:3], v28, v9 src0_sel:BYTE_1 src1_sel:DWORD
	s_and_saveexec_b64 s[18:19], s[2:3]
	s_cbranch_execz .LBB204_192
; %bb.187:                              ;   in Loop: Header=BB204_128 Depth=1
	v_cmp_ne_u16_sdwa s[2:3], v28, s9 src0_sel:BYTE_1 src1_sel:DWORD
	v_pk_mov_b32 v[36:37], s[10:11], s[10:11] op_sel:[0,1]
	s_and_saveexec_b64 s[20:21], s[2:3]
	s_cbranch_execz .LBB204_191
; %bb.188:                              ;   in Loop: Header=BB204_128 Depth=1
	v_and_b32_sdwa v29, v28, s30 dst_sel:DWORD dst_unused:UNUSED_PAD src0_sel:BYTE_1 src1_sel:DWORD
	s_mov_b32 s16, s10
	v_cmp_ne_u32_e64 s[2:3], s30, v29
	v_pk_mov_b32 v[36:37], s[16:17], s[16:17] op_sel:[0,1]
	s_and_saveexec_b64 s[22:23], s[2:3]
	s_cbranch_execz .LBB204_190
; %bb.189:                              ;   in Loop: Header=BB204_128 Depth=1
	v_and_b32_sdwa v8, v28, v45 dst_sel:DWORD dst_unused:UNUSED_PAD src0_sel:BYTE_1 src1_sel:DWORD
	v_ffbh_u32_e32 v36, v8
	v_min_u32_e32 v39, 32, v36
	v_subrev_u32_e32 v36, 28, v39
	v_lshlrev_b64 v[36:37], v36, v[8:9]
	v_lshrrev_b32_e32 v38, 3, v29
	v_sub_u32_e32 v37, 29, v39
	v_cmp_gt_u32_e64 s[2:3], 8, v29
	v_and_b32_e32 v36, 7, v36
	v_cndmask_b32_e64 v29, v38, v37, s[2:3]
	v_cndmask_b32_e64 v8, v8, v36, s[2:3]
	v_lshlrev_b32_e32 v36, 16, v28
	v_lshl_add_u32 v29, v29, 23, v15
	v_and_or_b32 v29, v36, s11, v29
	v_lshlrev_b32_e32 v8, 20, v8
	v_or_b32_e32 v37, v29, v8
	v_mov_b32_e32 v36, v9
.LBB204_190:                            ;   in Loop: Header=BB204_128 Depth=1
	s_or_b64 exec, exec, s[22:23]
.LBB204_191:                            ;   in Loop: Header=BB204_128 Depth=1
	s_or_b64 exec, exec, s[20:21]
.LBB204_192:                            ;   in Loop: Header=BB204_128 Depth=1
	s_or_b64 exec, exec, s[18:19]
	v_lshrrev_b32_e32 v8, 16, v28
	v_pk_mov_b32 v[40:41], 0, 0
	v_cmp_ne_u16_sdwa s[2:3], v8, v9 src0_sel:BYTE_0 src1_sel:DWORD
	v_pk_mov_b32 v[38:39], v[40:41], v[40:41] op_sel:[0,1]
	s_and_saveexec_b64 s[18:19], s[2:3]
	s_cbranch_execz .LBB204_198
; %bb.193:                              ;   in Loop: Header=BB204_128 Depth=1
	v_bfrev_b32_e32 v38, 1
	v_cmp_ne_u16_sdwa s[2:3], v8, s9 src0_sel:BYTE_0 src1_sel:DWORD
	v_mov_b32_e32 v39, 0
	s_and_saveexec_b64 s[20:21], s[2:3]
	s_cbranch_execz .LBB204_197
; %bb.194:                              ;   in Loop: Header=BB204_128 Depth=1
	v_bfe_u32 v29, v28, 16, 7
	v_mov_b32_e32 v38, 0x7f800001
	v_cmp_ne_u32_e64 s[2:3], s30, v29
	v_mov_b32_e32 v39, 0
	s_and_saveexec_b64 s[22:23], s[2:3]
	s_cbranch_execz .LBB204_196
; %bb.195:                              ;   in Loop: Header=BB204_128 Depth=1
	v_and_b32_e32 v48, 7, v8
	v_ffbh_u32_e32 v38, v48
	v_min_u32_e32 v50, 32, v38
	v_subrev_u32_e32 v38, 28, v50
	v_lshlrev_b64 v[38:39], v38, v[8:9]
	v_lshrrev_b32_e32 v49, 3, v29
	v_sub_u32_e32 v39, 29, v50
	v_and_b32_e32 v38, 7, v38
	v_cmp_gt_u32_e64 s[2:3], 8, v29
	v_cndmask_b32_e64 v29, v49, v39, s[2:3]
	v_cndmask_b32_e64 v38, v48, v38, s[2:3]
	v_lshlrev_b32_e32 v38, 20, v38
	v_and_b32_sdwa v8, sext(v8), s11 dst_sel:DWORD dst_unused:UNUSED_PAD src0_sel:BYTE_0 src1_sel:DWORD
	v_lshl_add_u32 v29, v29, 23, v15
	v_or3_b32 v8, v8, v29, v38
	v_pk_mov_b32 v[38:39], v[8:9], v[8:9] op_sel:[0,1]
.LBB204_196:                            ;   in Loop: Header=BB204_128 Depth=1
	s_or_b64 exec, exec, s[22:23]
.LBB204_197:                            ;   in Loop: Header=BB204_128 Depth=1
	s_or_b64 exec, exec, s[20:21]
.LBB204_198:                            ;   in Loop: Header=BB204_128 Depth=1
	s_or_b64 exec, exec, s[18:19]
	v_cmp_lt_u32_e64 s[2:3], s31, v28
	s_and_saveexec_b64 s[18:19], s[2:3]
	s_cbranch_execz .LBB204_204
; %bb.199:                              ;   in Loop: Header=BB204_128 Depth=1
	v_cmp_ne_u32_sdwa s[2:3], v28, s9 src0_sel:BYTE_3 src1_sel:DWORD
	v_pk_mov_b32 v[40:41], s[10:11], s[10:11] op_sel:[0,1]
	s_and_saveexec_b64 s[20:21], s[2:3]
	s_cbranch_execz .LBB204_203
; %bb.200:                              ;   in Loop: Header=BB204_128 Depth=1
	v_bfe_u32 v29, v28, 24, 7
	s_mov_b32 s16, s10
	v_cmp_ne_u32_e64 s[2:3], s30, v29
	v_pk_mov_b32 v[40:41], s[16:17], s[16:17] op_sel:[0,1]
	s_and_saveexec_b64 s[22:23], s[2:3]
	s_cbranch_execz .LBB204_202
; %bb.201:                              ;   in Loop: Header=BB204_128 Depth=1
	v_and_b32_sdwa v8, v28, v45 dst_sel:DWORD dst_unused:UNUSED_PAD src0_sel:BYTE_3 src1_sel:DWORD
	v_ffbh_u32_e32 v40, v8
	v_min_u32_e32 v49, 32, v40
	v_subrev_u32_e32 v40, 28, v49
	v_lshlrev_b64 v[40:41], v40, v[8:9]
	v_lshrrev_b32_e32 v48, 3, v29
	v_sub_u32_e32 v41, 29, v49
	v_cmp_gt_u32_e64 s[2:3], 8, v29
	v_and_b32_e32 v40, 7, v40
	v_cndmask_b32_e64 v29, v48, v41, s[2:3]
	v_cndmask_b32_e64 v8, v8, v40, s[2:3]
	v_lshlrev_b32_sdwa v28, v46, v28 dst_sel:DWORD dst_unused:UNUSED_PAD src0_sel:DWORD src1_sel:BYTE_3
	v_lshl_add_u32 v29, v29, 23, v15
	v_and_or_b32 v28, v28, s11, v29
	v_lshlrev_b32_e32 v8, 20, v8
	v_or_b32_e32 v41, v28, v8
	v_mov_b32_e32 v40, v9
.LBB204_202:                            ;   in Loop: Header=BB204_128 Depth=1
	s_or_b64 exec, exec, s[22:23]
.LBB204_203:                            ;   in Loop: Header=BB204_128 Depth=1
	s_or_b64 exec, exec, s[20:21]
.LBB204_204:                            ;   in Loop: Header=BB204_128 Depth=1
	s_or_b64 exec, exec, s[18:19]
	v_or_b32_e32 v29, v37, v35
	v_or_b32_e32 v28, v36, v34
	;; [unrolled: 1-line block ×4, first 2 shown]
	v_pk_mul_f32 v[28:29], s[12:13], v[28:29]
	v_pk_mul_f32 v[34:35], s[12:13], v[34:35]
	s_and_saveexec_b64 s[18:19], s[0:1]
; %bb.205:                              ;   in Loop: Header=BB204_128 Depth=1
	v_cmp_gt_i32_e64 s[2:3], s33, v47
	v_add_u32_e32 v8, -2, v43
	v_cndmask_b32_e64 v28, 0, v28, s[2:3]
	v_cmp_gt_i32_e64 s[2:3], s33, v8
	v_add_u32_e32 v8, -1, v43
	v_cndmask_b32_e64 v29, 0, v29, s[2:3]
	v_cmp_gt_i32_e64 s[2:3], s33, v8
	v_cndmask_b32_e64 v34, 0, v34, s[2:3]
	v_cmp_gt_i32_e64 s[2:3], s33, v43
	v_cndmask_b32_e64 v35, 0, v35, s[2:3]
; %bb.206:                              ;   in Loop: Header=BB204_128 Depth=1
	s_or_b64 exec, exec, s[18:19]
	s_waitcnt lgkmcnt(0)
	v_mul_f32_e32 v8, v3, v25
	v_fmac_f32_e32 v8, v2, v24
	v_fmac_f32_e32 v8, v4, v26
	v_fmac_f32_e32 v8, v5, v27
	v_add_f32_e32 v16, v16, v8
	v_mul_f32_e32 v8, v3, v31
	v_fmac_f32_e32 v8, v2, v30
	v_fmac_f32_e32 v8, v4, v32
	v_fmac_f32_e32 v8, v5, v33
	v_add_f32_e32 v17, v17, v8
	;; [unrolled: 5-line block ×3, first 2 shown]
	s_and_saveexec_b64 s[18:19], vcc
	s_cbranch_execz .LBB204_127
; %bb.207:                              ;   in Loop: Header=BB204_128 Depth=1
	v_add_co_u32_e64 v22, s[2:3], v22, v12
	v_addc_co_u32_e64 v23, s[2:3], 0, v23, s[2:3]
	global_load_dword v22, v[22:23], off
	v_pk_mov_b32 v[26:27], 0, 0
	v_pk_mov_b32 v[24:25], v[26:27], v[26:27] op_sel:[0,1]
	s_waitcnt vmcnt(0)
	v_cmp_ne_u16_sdwa s[2:3], v22, v9 src0_sel:BYTE_0 src1_sel:DWORD
	s_and_saveexec_b64 s[20:21], s[2:3]
	s_cbranch_execz .LBB204_213
; %bb.208:                              ;   in Loop: Header=BB204_128 Depth=1
	v_bfrev_b32_e32 v24, 1
	v_cmp_ne_u16_sdwa s[2:3], v22, s9 src0_sel:BYTE_0 src1_sel:DWORD
	v_mov_b32_e32 v25, 0
	s_and_saveexec_b64 s[22:23], s[2:3]
	s_cbranch_execz .LBB204_212
; %bb.209:                              ;   in Loop: Header=BB204_128 Depth=1
	v_and_b32_e32 v8, 0x7f, v22
	v_mov_b32_e32 v24, 0x7f800001
	v_cmp_ne_u32_e64 s[2:3], s30, v8
	v_mov_b32_e32 v25, 0
	s_and_saveexec_b64 s[28:29], s[2:3]
	s_cbranch_execz .LBB204_211
; %bb.210:                              ;   in Loop: Header=BB204_128 Depth=1
	v_and_b32_e32 v23, 7, v22
	v_ffbh_u32_e32 v24, v23
	v_min_u32_e32 v29, 32, v24
	v_subrev_u32_e32 v24, 28, v29
	v_lshlrev_b64 v[24:25], v24, v[22:23]
	v_lshrrev_b32_e32 v28, 3, v8
	v_sub_u32_e32 v25, 29, v29
	v_and_b32_e32 v24, 7, v24
	v_cmp_gt_u32_e64 s[2:3], 8, v8
	v_cndmask_b32_e64 v8, v28, v25, s[2:3]
	v_cndmask_b32_e64 v23, v23, v24, s[2:3]
	v_lshlrev_b32_e32 v23, 20, v23
	v_and_b32_sdwa v24, sext(v22), s11 dst_sel:DWORD dst_unused:UNUSED_PAD src0_sel:BYTE_0 src1_sel:DWORD
	v_lshl_add_u32 v8, v8, 23, v15
	v_or3_b32 v8, v24, v8, v23
	v_pk_mov_b32 v[24:25], v[8:9], v[8:9] op_sel:[0,1]
.LBB204_211:                            ;   in Loop: Header=BB204_128 Depth=1
	s_or_b64 exec, exec, s[28:29]
.LBB204_212:                            ;   in Loop: Header=BB204_128 Depth=1
	s_or_b64 exec, exec, s[22:23]
.LBB204_213:                            ;   in Loop: Header=BB204_128 Depth=1
	s_or_b64 exec, exec, s[20:21]
	v_cmp_ne_u16_sdwa s[2:3], v22, v9 src0_sel:BYTE_1 src1_sel:DWORD
	s_and_saveexec_b64 s[20:21], s[2:3]
	s_cbranch_execz .LBB204_219
; %bb.214:                              ;   in Loop: Header=BB204_128 Depth=1
	v_cmp_ne_u16_sdwa s[2:3], v22, s9 src0_sel:BYTE_1 src1_sel:DWORD
	v_pk_mov_b32 v[26:27], s[10:11], s[10:11] op_sel:[0,1]
	s_and_saveexec_b64 s[22:23], s[2:3]
	s_cbranch_execz .LBB204_218
; %bb.215:                              ;   in Loop: Header=BB204_128 Depth=1
	v_and_b32_sdwa v23, v22, s30 dst_sel:DWORD dst_unused:UNUSED_PAD src0_sel:BYTE_1 src1_sel:DWORD
	s_mov_b32 s16, s10
	v_cmp_ne_u32_e64 s[2:3], s30, v23
	v_pk_mov_b32 v[26:27], s[16:17], s[16:17] op_sel:[0,1]
	s_and_saveexec_b64 s[28:29], s[2:3]
	s_cbranch_execz .LBB204_217
; %bb.216:                              ;   in Loop: Header=BB204_128 Depth=1
	v_and_b32_sdwa v8, v22, v45 dst_sel:DWORD dst_unused:UNUSED_PAD src0_sel:BYTE_1 src1_sel:DWORD
	v_ffbh_u32_e32 v26, v8
	v_min_u32_e32 v29, 32, v26
	v_subrev_u32_e32 v26, 28, v29
	v_lshlrev_b64 v[26:27], v26, v[8:9]
	v_lshrrev_b32_e32 v28, 3, v23
	v_sub_u32_e32 v27, 29, v29
	v_cmp_gt_u32_e64 s[2:3], 8, v23
	v_and_b32_e32 v26, 7, v26
	v_cndmask_b32_e64 v23, v28, v27, s[2:3]
	v_cndmask_b32_e64 v8, v8, v26, s[2:3]
	v_lshlrev_b32_e32 v26, 16, v22
	v_lshl_add_u32 v23, v23, 23, v15
	v_and_or_b32 v23, v26, s11, v23
	v_lshlrev_b32_e32 v8, 20, v8
	v_or_b32_e32 v27, v23, v8
	v_mov_b32_e32 v26, v9
.LBB204_217:                            ;   in Loop: Header=BB204_128 Depth=1
	s_or_b64 exec, exec, s[28:29]
.LBB204_218:                            ;   in Loop: Header=BB204_128 Depth=1
	s_or_b64 exec, exec, s[22:23]
.LBB204_219:                            ;   in Loop: Header=BB204_128 Depth=1
	s_or_b64 exec, exec, s[20:21]
	v_lshrrev_b32_e32 v8, 16, v22
	v_pk_mov_b32 v[30:31], 0, 0
	v_cmp_ne_u16_sdwa s[2:3], v8, v9 src0_sel:BYTE_0 src1_sel:DWORD
	v_pk_mov_b32 v[28:29], v[30:31], v[30:31] op_sel:[0,1]
	s_and_saveexec_b64 s[20:21], s[2:3]
	s_cbranch_execz .LBB204_225
; %bb.220:                              ;   in Loop: Header=BB204_128 Depth=1
	v_bfrev_b32_e32 v28, 1
	v_cmp_ne_u16_sdwa s[2:3], v8, s9 src0_sel:BYTE_0 src1_sel:DWORD
	v_mov_b32_e32 v29, 0
	s_and_saveexec_b64 s[22:23], s[2:3]
	s_cbranch_execz .LBB204_224
; %bb.221:                              ;   in Loop: Header=BB204_128 Depth=1
	v_bfe_u32 v23, v22, 16, 7
	v_mov_b32_e32 v28, 0x7f800001
	v_cmp_ne_u32_e64 s[2:3], s30, v23
	v_mov_b32_e32 v29, 0
	s_and_saveexec_b64 s[28:29], s[2:3]
	s_cbranch_execz .LBB204_223
; %bb.222:                              ;   in Loop: Header=BB204_128 Depth=1
	v_and_b32_e32 v32, 7, v8
	v_ffbh_u32_e32 v28, v32
	v_min_u32_e32 v34, 32, v28
	v_subrev_u32_e32 v28, 28, v34
	v_lshlrev_b64 v[28:29], v28, v[8:9]
	v_lshrrev_b32_e32 v33, 3, v23
	v_sub_u32_e32 v29, 29, v34
	v_and_b32_e32 v28, 7, v28
	v_cmp_gt_u32_e64 s[2:3], 8, v23
	v_cndmask_b32_e64 v23, v33, v29, s[2:3]
	v_cndmask_b32_e64 v28, v32, v28, s[2:3]
	v_lshlrev_b32_e32 v28, 20, v28
	v_and_b32_sdwa v8, sext(v8), s11 dst_sel:DWORD dst_unused:UNUSED_PAD src0_sel:BYTE_0 src1_sel:DWORD
	v_lshl_add_u32 v23, v23, 23, v15
	v_or3_b32 v8, v8, v23, v28
	v_pk_mov_b32 v[28:29], v[8:9], v[8:9] op_sel:[0,1]
.LBB204_223:                            ;   in Loop: Header=BB204_128 Depth=1
	s_or_b64 exec, exec, s[28:29]
.LBB204_224:                            ;   in Loop: Header=BB204_128 Depth=1
	s_or_b64 exec, exec, s[22:23]
.LBB204_225:                            ;   in Loop: Header=BB204_128 Depth=1
	s_or_b64 exec, exec, s[20:21]
	v_cmp_lt_u32_e64 s[2:3], s31, v22
	s_and_saveexec_b64 s[20:21], s[2:3]
	s_cbranch_execz .LBB204_231
; %bb.226:                              ;   in Loop: Header=BB204_128 Depth=1
	v_cmp_ne_u32_sdwa s[2:3], v22, s9 src0_sel:BYTE_3 src1_sel:DWORD
	v_pk_mov_b32 v[30:31], s[10:11], s[10:11] op_sel:[0,1]
	s_and_saveexec_b64 s[22:23], s[2:3]
	s_cbranch_execz .LBB204_230
; %bb.227:                              ;   in Loop: Header=BB204_128 Depth=1
	v_bfe_u32 v23, v22, 24, 7
	s_mov_b32 s16, s10
	v_cmp_ne_u32_e64 s[2:3], s30, v23
	v_pk_mov_b32 v[30:31], s[16:17], s[16:17] op_sel:[0,1]
	s_and_saveexec_b64 s[28:29], s[2:3]
	s_cbranch_execz .LBB204_229
; %bb.228:                              ;   in Loop: Header=BB204_128 Depth=1
	v_and_b32_sdwa v8, v22, v45 dst_sel:DWORD dst_unused:UNUSED_PAD src0_sel:BYTE_3 src1_sel:DWORD
	v_ffbh_u32_e32 v30, v8
	v_min_u32_e32 v33, 32, v30
	v_subrev_u32_e32 v30, 28, v33
	v_lshlrev_b64 v[30:31], v30, v[8:9]
	v_lshrrev_b32_e32 v32, 3, v23
	v_sub_u32_e32 v31, 29, v33
	v_cmp_gt_u32_e64 s[2:3], 8, v23
	v_and_b32_e32 v30, 7, v30
	v_cndmask_b32_e64 v23, v32, v31, s[2:3]
	v_cndmask_b32_e64 v8, v8, v30, s[2:3]
	v_lshlrev_b32_sdwa v22, v46, v22 dst_sel:DWORD dst_unused:UNUSED_PAD src0_sel:DWORD src1_sel:BYTE_3
	v_lshl_add_u32 v23, v23, 23, v15
	v_and_or_b32 v22, v22, s11, v23
	v_lshlrev_b32_e32 v8, 20, v8
	v_or_b32_e32 v31, v22, v8
	v_mov_b32_e32 v30, v9
.LBB204_229:                            ;   in Loop: Header=BB204_128 Depth=1
	s_or_b64 exec, exec, s[28:29]
.LBB204_230:                            ;   in Loop: Header=BB204_128 Depth=1
	s_or_b64 exec, exec, s[22:23]
.LBB204_231:                            ;   in Loop: Header=BB204_128 Depth=1
	s_or_b64 exec, exec, s[20:21]
	v_or_b32_e32 v23, v27, v25
	v_or_b32_e32 v22, v26, v24
	;; [unrolled: 1-line block ×4, first 2 shown]
	v_pk_mul_f32 v[22:23], s[12:13], v[22:23]
	v_pk_mul_f32 v[24:25], s[12:13], v[24:25]
	s_and_saveexec_b64 s[2:3], s[0:1]
	s_cbranch_execz .LBB204_126
; %bb.232:                              ;   in Loop: Header=BB204_128 Depth=1
	v_cmp_gt_i32_e64 s[0:1], s33, v47
	v_add_u32_e32 v8, -2, v43
	v_cndmask_b32_e64 v22, 0, v22, s[0:1]
	v_cmp_gt_i32_e64 s[0:1], s33, v8
	v_add_u32_e32 v8, -1, v43
	v_cndmask_b32_e64 v23, 0, v23, s[0:1]
	v_cmp_gt_i32_e64 s[0:1], s33, v8
	v_cndmask_b32_e64 v24, 0, v24, s[0:1]
	v_cmp_gt_i32_e64 s[0:1], s33, v43
	v_cndmask_b32_e64 v25, 0, v25, s[0:1]
	s_branch .LBB204_126
.LBB204_233:
	s_or_b64 exec, exec, s[14:15]
.LBB204_234:
	s_or_b64 exec, exec, s[6:7]
	ds_bpermute_b32 v2, v7, v16
	ds_bpermute_b32 v3, v7, v17
	;; [unrolled: 1-line block ×4, first 2 shown]
	s_waitcnt lgkmcnt(0)
	s_barrier
	v_pk_add_f32 v[4:5], v[16:17], v[2:3]
	v_pk_add_f32 v[2:3], v[10:11], v[6:7]
	v_and_b32_e32 v6, 0x3c0, v0
	v_cmp_eq_u32_e32 vcc, 64, v6
	s_and_saveexec_b64 s[2:3], vcc
	s_cbranch_execz .LBB204_239
; %bb.235:
	v_cmp_eq_u32_e32 vcc, 0, v13
	s_and_saveexec_b64 s[0:1], vcc
	s_cbranch_execz .LBB204_237
; %bb.236:
	v_mov_b32_e32 v6, 0x1d0
	v_lshl_add_u32 v6, v42, 2, v6
	ds_write2_b32 v6, v4, v5 offset1:32
	ds_write_b32 v6, v2 offset:256
.LBB204_237:
	s_or_b64 exec, exec, s[0:1]
	v_or_b32_e32 v6, 0x60, v42
	s_movk_i32 s0, 0x70
	v_cmp_gt_u32_e64 s[0:1], s0, v6
	s_and_b64 s[0:1], vcc, s[0:1]
	s_and_b64 exec, exec, s[0:1]
	s_cbranch_execz .LBB204_239
; %bb.238:
	v_mov_b32_e32 v6, 0x1d0
	v_lshl_add_u32 v6, v42, 2, v6
	ds_write_b32 v6, v3 offset:384
.LBB204_239:
	s_or_b64 exec, exec, s[2:3]
	v_cmp_gt_u32_e32 vcc, 64, v0
	s_waitcnt lgkmcnt(0)
	s_barrier
	s_and_saveexec_b64 s[6:7], vcc
	s_cbranch_execz .LBB204_247
; %bb.240:
	v_cmp_eq_u32_e64 s[0:1], 0, v13
	s_and_saveexec_b64 s[2:3], s[0:1]
	s_cbranch_execnz .LBB204_253
; %bb.241:
	s_or_b64 exec, exec, s[2:3]
	s_and_saveexec_b64 s[2:3], s[0:1]
	s_cbranch_execnz .LBB204_254
.LBB204_242:
	s_or_b64 exec, exec, s[2:3]
	s_and_saveexec_b64 s[2:3], s[0:1]
	s_cbranch_execz .LBB204_244
.LBB204_243:
	v_mov_b32_e32 v0, 0x1d0
	v_lshl_add_u32 v0, v1, 2, v0
	ds_read_b32 v0, v0 offset:256
	s_waitcnt lgkmcnt(0)
	v_add_f32_e32 v2, v2, v0
.LBB204_244:
	s_or_b64 exec, exec, s[2:3]
	v_or_b32_e32 v0, 0x60, v1
	s_movk_i32 s2, 0x70
	v_cmp_gt_u32_e64 s[2:3], s2, v0
	s_and_b64 s[2:3], s[0:1], s[2:3]
	s_and_saveexec_b64 s[0:1], s[2:3]
	s_cbranch_execz .LBB204_246
; %bb.245:
	v_mov_b32_e32 v0, 0x1d0
	v_lshl_add_u32 v0, v1, 2, v0
	ds_read_b32 v0, v0 offset:384
	s_waitcnt lgkmcnt(0)
	v_add_f32_e32 v3, v3, v0
.LBB204_246:
	s_or_b64 exec, exec, s[0:1]
.LBB204_247:
	s_or_b64 exec, exec, s[6:7]
	s_barrier
	s_and_saveexec_b64 s[0:1], vcc
	s_cbranch_execz .LBB204_252
; %bb.248:
	s_mul_i32 s0, s4, 0x70
	s_ashr_i32 s1, s0, 31
	s_lshl_b64 s[0:1], s[0:1], 2
	s_add_u32 s2, s26, s0
	s_mul_i32 s0, s25, s24
	s_addc_u32 s3, s27, s1
	s_ashr_i32 s1, s0, 31
	s_lshl_b64 s[0:1], s[0:1], 2
	s_add_u32 s2, s2, s0
	s_mul_i32 s0, s8, 0x70
	s_addc_u32 s3, s3, s1
	s_ashr_i32 s1, s0, 31
	s_lshl_b64 s[0:1], s[0:1], 2
	s_add_u32 s2, s2, s0
	s_movk_i32 s5, 0x70
	s_addc_u32 s3, s3, s1
	v_cmp_eq_u32_e32 vcc, 0, v13
	v_lshlrev_b32_e32 v0, 2, v1
	s_and_saveexec_b64 s[0:1], vcc
	s_cbranch_execz .LBB204_250
; %bb.249:
	global_store_dword v0, v4, s[2:3]
	global_store_dword v0, v5, s[2:3] offset:128
	global_store_dword v0, v2, s[2:3] offset:256
.LBB204_250:
	s_or_b64 exec, exec, s[0:1]
	v_or_b32_e32 v1, 0x60, v1
	v_cmp_gt_u32_e64 s[0:1], s5, v1
	s_and_b64 s[0:1], vcc, s[0:1]
	s_and_b64 exec, exec, s[0:1]
	s_cbranch_execz .LBB204_252
; %bb.251:
	global_store_dword v0, v3, s[2:3] offset:384
.LBB204_252:
	s_endpgm
.LBB204_253:
	v_mov_b32_e32 v0, 0x1d0
	v_lshl_add_u32 v0, v1, 2, v0
	ds_read_b32 v0, v0
	s_waitcnt lgkmcnt(0)
	v_add_f32_e32 v4, v4, v0
	s_or_b64 exec, exec, s[2:3]
	s_and_saveexec_b64 s[2:3], s[0:1]
	s_cbranch_execz .LBB204_242
.LBB204_254:
	v_mov_b32_e32 v0, 0x1d0
	v_lshl_add_u32 v0, v1, 2, v0
	ds_read_b32 v0, v0 offset:128
	s_waitcnt lgkmcnt(0)
	v_add_f32_e32 v5, v5, v0
	s_or_b64 exec, exec, s[2:3]
	s_and_saveexec_b64 s[2:3], s[0:1]
	s_cbranch_execnz .LBB204_243
	s_branch .LBB204_244
	.section	.rodata,"a",@progbits
	.p2align	6, 0x0
	.amdhsa_kernel _ZN4vllm25paged_attention_v2_kernelIfhLi112ELi8ELi128ELNS_18Fp8KVCacheDataTypeE1ELb0ELi512EEEvPfS2_PT_PKS3_PKT0_S9_ifPKiSB_iPKfiiiSD_SD_iiiii
		.amdhsa_group_segment_fixed_size 464
		.amdhsa_private_segment_fixed_size 0
		.amdhsa_kernarg_size 400
		.amdhsa_user_sgpr_count 6
		.amdhsa_user_sgpr_private_segment_buffer 1
		.amdhsa_user_sgpr_dispatch_ptr 0
		.amdhsa_user_sgpr_queue_ptr 0
		.amdhsa_user_sgpr_kernarg_segment_ptr 1
		.amdhsa_user_sgpr_dispatch_id 0
		.amdhsa_user_sgpr_flat_scratch_init 0
		.amdhsa_user_sgpr_kernarg_preload_length 0
		.amdhsa_user_sgpr_kernarg_preload_offset 0
		.amdhsa_user_sgpr_private_segment_size 0
		.amdhsa_uses_dynamic_stack 0
		.amdhsa_system_sgpr_private_segment_wavefront_offset 0
		.amdhsa_system_sgpr_workgroup_id_x 1
		.amdhsa_system_sgpr_workgroup_id_y 1
		.amdhsa_system_sgpr_workgroup_id_z 1
		.amdhsa_system_sgpr_workgroup_info 0
		.amdhsa_system_vgpr_workitem_id 0
		.amdhsa_next_free_vgpr 58
		.amdhsa_next_free_sgpr 51
		.amdhsa_accum_offset 60
		.amdhsa_reserve_vcc 1
		.amdhsa_reserve_flat_scratch 0
		.amdhsa_float_round_mode_32 0
		.amdhsa_float_round_mode_16_64 0
		.amdhsa_float_denorm_mode_32 3
		.amdhsa_float_denorm_mode_16_64 3
		.amdhsa_dx10_clamp 1
		.amdhsa_ieee_mode 1
		.amdhsa_fp16_overflow 0
		.amdhsa_tg_split 0
		.amdhsa_exception_fp_ieee_invalid_op 0
		.amdhsa_exception_fp_denorm_src 0
		.amdhsa_exception_fp_ieee_div_zero 0
		.amdhsa_exception_fp_ieee_overflow 0
		.amdhsa_exception_fp_ieee_underflow 0
		.amdhsa_exception_fp_ieee_inexact 0
		.amdhsa_exception_int_div_zero 0
	.end_amdhsa_kernel
	.section	.text._ZN4vllm25paged_attention_v2_kernelIfhLi112ELi8ELi128ELNS_18Fp8KVCacheDataTypeE1ELb0ELi512EEEvPfS2_PT_PKS3_PKT0_S9_ifPKiSB_iPKfiiiSD_SD_iiiii,"axG",@progbits,_ZN4vllm25paged_attention_v2_kernelIfhLi112ELi8ELi128ELNS_18Fp8KVCacheDataTypeE1ELb0ELi512EEEvPfS2_PT_PKS3_PKT0_S9_ifPKiSB_iPKfiiiSD_SD_iiiii,comdat
.Lfunc_end204:
	.size	_ZN4vllm25paged_attention_v2_kernelIfhLi112ELi8ELi128ELNS_18Fp8KVCacheDataTypeE1ELb0ELi512EEEvPfS2_PT_PKS3_PKT0_S9_ifPKiSB_iPKfiiiSD_SD_iiiii, .Lfunc_end204-_ZN4vllm25paged_attention_v2_kernelIfhLi112ELi8ELi128ELNS_18Fp8KVCacheDataTypeE1ELb0ELi512EEEvPfS2_PT_PKS3_PKT0_S9_ifPKiSB_iPKfiiiSD_SD_iiiii
                                        ; -- End function
	.section	.AMDGPU.csdata,"",@progbits
; Kernel info:
; codeLenInByte = 10180
; NumSgprs: 55
; NumVgprs: 58
; NumAgprs: 0
; TotalNumVgprs: 58
; ScratchSize: 0
; MemoryBound: 0
; FloatMode: 240
; IeeeMode: 1
; LDSByteSize: 464 bytes/workgroup (compile time only)
; SGPRBlocks: 6
; VGPRBlocks: 7
; NumSGPRsForWavesPerEU: 55
; NumVGPRsForWavesPerEU: 58
; AccumOffset: 60
; Occupancy: 8
; WaveLimiterHint : 1
; COMPUTE_PGM_RSRC2:SCRATCH_EN: 0
; COMPUTE_PGM_RSRC2:USER_SGPR: 6
; COMPUTE_PGM_RSRC2:TRAP_HANDLER: 0
; COMPUTE_PGM_RSRC2:TGID_X_EN: 1
; COMPUTE_PGM_RSRC2:TGID_Y_EN: 1
; COMPUTE_PGM_RSRC2:TGID_Z_EN: 1
; COMPUTE_PGM_RSRC2:TIDIG_COMP_CNT: 0
; COMPUTE_PGM_RSRC3_GFX90A:ACCUM_OFFSET: 14
; COMPUTE_PGM_RSRC3_GFX90A:TG_SPLIT: 0
	.section	.text._ZN4vllm25paged_attention_v2_kernelIfhLi120ELi8ELi128ELNS_18Fp8KVCacheDataTypeE1ELb0ELi512EEEvPfS2_PT_PKS3_PKT0_S9_ifPKiSB_iPKfiiiSD_SD_iiiii,"axG",@progbits,_ZN4vllm25paged_attention_v2_kernelIfhLi120ELi8ELi128ELNS_18Fp8KVCacheDataTypeE1ELb0ELi512EEEvPfS2_PT_PKS3_PKT0_S9_ifPKiSB_iPKfiiiSD_SD_iiiii,comdat
	.protected	_ZN4vllm25paged_attention_v2_kernelIfhLi120ELi8ELi128ELNS_18Fp8KVCacheDataTypeE1ELb0ELi512EEEvPfS2_PT_PKS3_PKT0_S9_ifPKiSB_iPKfiiiSD_SD_iiiii ; -- Begin function _ZN4vllm25paged_attention_v2_kernelIfhLi120ELi8ELi128ELNS_18Fp8KVCacheDataTypeE1ELb0ELi512EEEvPfS2_PT_PKS3_PKT0_S9_ifPKiSB_iPKfiiiSD_SD_iiiii
	.globl	_ZN4vllm25paged_attention_v2_kernelIfhLi120ELi8ELi128ELNS_18Fp8KVCacheDataTypeE1ELb0ELi512EEEvPfS2_PT_PKS3_PKT0_S9_ifPKiSB_iPKfiiiSD_SD_iiiii
	.p2align	8
	.type	_ZN4vllm25paged_attention_v2_kernelIfhLi120ELi8ELi128ELNS_18Fp8KVCacheDataTypeE1ELb0ELi512EEEvPfS2_PT_PKS3_PKT0_S9_ifPKiSB_iPKfiiiSD_SD_iiiii,@function
_ZN4vllm25paged_attention_v2_kernelIfhLi120ELi8ELi128ELNS_18Fp8KVCacheDataTypeE1ELb0ELi512EEEvPfS2_PT_PKS3_PKT0_S9_ifPKiSB_iPKfiiiSD_SD_iiiii: ; @_ZN4vllm25paged_attention_v2_kernelIfhLi120ELi8ELi128ELNS_18Fp8KVCacheDataTypeE1ELb0ELi512EEEvPfS2_PT_PKS3_PKT0_S9_ifPKiSB_iPKfiiiSD_SD_iiiii
; %bb.0:
	s_load_dwordx2 s[0:1], s[4:5], 0x40
	s_mov_b32 s28, s7
	s_ashr_i32 s29, s7, 31
	s_lshl_b64 s[2:3], s[28:29], 2
	s_waitcnt lgkmcnt(0)
	s_add_u32 s0, s0, s2
	s_addc_u32 s1, s1, s3
	s_load_dword s33, s[0:1], 0x0
	s_lshl_b32 s29, s8, 9
	s_waitcnt lgkmcnt(0)
	s_cmp_ge_i32 s29, s33
	s_cbranch_scc1 .LBB205_258
; %bb.1:
	s_load_dword s9, s[4:5], 0x90
	s_load_dwordx2 s[10:11], s[4:5], 0x30
	s_waitcnt lgkmcnt(0)
	s_abs_i32 s2, s9
	s_abs_i32 s0, s10
	v_cvt_f32_u32_e32 v1, s0
	s_sub_i32 s3, 0, s0
	s_xor_b32 s1, s9, s10
	s_ashr_i32 s1, s1, 31
	v_rcp_iflag_f32_e32 v1, v1
	v_mul_f32_e32 v1, 0x4f7ffffe, v1
	v_cvt_u32_f32_e32 v1, v1
	v_readfirstlane_b32 s7, v1
	s_mul_i32 s3, s3, s7
	s_mul_hi_u32 s3, s7, s3
	s_add_i32 s7, s7, s3
	s_mul_hi_u32 s3, s2, s7
	s_mul_i32 s7, s3, s0
	s_sub_i32 s2, s2, s7
	s_add_i32 s10, s3, 1
	s_sub_i32 s7, s2, s0
	s_cmp_ge_u32 s2, s0
	s_cselect_b32 s3, s10, s3
	s_cselect_b32 s2, s7, s2
	s_add_i32 s7, s3, 1
	s_cmp_ge_u32 s2, s0
	s_cselect_b32 s0, s7, s3
	s_xor_b32 s0, s0, s1
	s_sub_i32 s12, s0, s1
	s_abs_i32 s2, s12
	v_cvt_f32_u32_e32 v1, s2
	s_load_dwordx2 s[0:1], s[4:5], 0x50
	s_sub_i32 s7, 0, s2
	s_abs_i32 s3, s6
	v_rcp_iflag_f32_e32 v1, v1
	s_mov_b32 s10, 0
	v_mul_f32_e32 v1, 0x4f7ffffe, v1
	v_cvt_u32_f32_e32 v1, v1
	v_readfirstlane_b32 s13, v1
	s_mul_i32 s7, s7, s13
	s_mul_hi_u32 s7, s13, s7
	s_add_i32 s13, s13, s7
	s_waitcnt lgkmcnt(0)
	s_cmp_eq_u64 s[0:1], 0
	s_mul_hi_u32 s16, s3, s13
	s_cbranch_scc1 .LBB205_3
; %bb.2:
	s_ashr_i32 s7, s6, 31
	s_lshl_b64 s[14:15], s[6:7], 2
	s_add_u32 s0, s0, s14
	s_addc_u32 s1, s1, s15
	s_load_dword s10, s[0:1], 0x0
.LBB205_3:
	s_ashr_i32 s18, s12, 31
	s_load_dwordx4 s[12:15], s[4:5], 0x58
	s_movk_i32 s0, 0x78
	s_ashr_i32 s17, s6, 31
	v_and_b32_e32 v2, 7, v0
	s_mul_i32 s24, s6, 0x78
	v_cmp_gt_u32_e32 vcc, s0, v0
	v_lshlrev_b32_e32 v27, 2, v0
	v_lshrrev_b32_e32 v1, 1, v0
	s_and_saveexec_b64 s[0:1], vcc
	s_cbranch_execz .LBB205_5
; %bb.4:
	s_load_dwordx2 s[20:21], s[4:5], 0x18
	s_waitcnt lgkmcnt(0)
	s_mul_i32 s22, s28, s12
	s_ashr_i32 s23, s22, 31
	s_lshl_b64 s[22:23], s[22:23], 2
	v_and_b32_e32 v4, 0x1fc, v1
	s_add_u32 s7, s20, s22
	s_addc_u32 s12, s21, s23
	s_ashr_i32 s25, s24, 31
	s_lshl_b64 s[20:21], s[24:25], 2
	s_add_u32 s20, s7, s20
	s_addc_u32 s21, s12, s21
	global_load_dword v3, v27, s[20:21]
	v_mad_u32_u24 v4, v2, 60, v4
	s_waitcnt vmcnt(0)
	ds_write_b32 v4, v3
.LBB205_5:
	s_or_b64 exec, exec, s[0:1]
	s_add_i32 s0, s33, 7
	s_ashr_i32 s1, s0, 31
	s_lshr_b32 s1, s1, 29
	s_add_i32 s0, s0, s1
	s_lshl_b32 s7, s8, 6
	s_mul_i32 s1, s16, s2
	s_ashr_i32 s45, s0, 3
	s_add_i32 s0, s7, 64
	s_sub_i32 s1, s3, s1
	s_min_i32 s44, s0, s45
	s_xor_b32 s0, s17, s18
	s_add_i32 s3, s16, 1
	s_waitcnt lgkmcnt(0)
	s_sub_i32 s12, s1, s2
	s_cmp_ge_u32 s1, s2
	s_cselect_b32 s3, s3, s16
	s_cselect_b32 s1, s12, s1
	s_add_i32 s12, s3, 1
	s_cmp_ge_u32 s1, s2
	s_load_dwordx2 s[30:31], s[4:5], 0x38
	s_load_dword s2, s[4:5], 0x48
	v_lshrrev_b32_e32 v28, 6, v0
	s_cselect_b32 s1, s12, s3
	s_xor_b32 s1, s1, s0
	v_or_b32_e32 v6, s7, v28
	s_waitcnt lgkmcnt(0)
	s_mul_i32 s34, s28, s2
	s_sub_i32 s12, s1, s0
	s_ashr_i32 s35, s34, 31
	v_cmp_gt_i32_e64 s[0:1], s44, v6
	v_cmp_le_i32_e32 vcc, s44, v6
	v_mbcnt_lo_u32_b32 v22, -1, 0
	s_barrier
	s_waitcnt lgkmcnt(0)
                                        ; implicit-def: $sgpr15
                                        ; implicit-def: $vgpr3
                                        ; implicit-def: $vgpr29
	s_and_saveexec_b64 s[2:3], vcc
	s_xor_b64 s[2:3], exec, s[2:3]
; %bb.6:
	v_mbcnt_hi_u32_b32 v3, -1, v22
	v_and_b32_e32 v2, 64, v3
	v_add_u32_e32 v29, 64, v2
	s_mov_b32 s15, 0xff7fffff
                                        ; implicit-def: $vgpr2
                                        ; implicit-def: $vgpr22
; %bb.7:
	s_or_saveexec_b64 s[38:39], s[2:3]
	s_load_dwordx4 s[20:23], s[4:5], 0x0
	s_load_dwordx2 s[26:27], s[4:5], 0x10
	s_load_dword s25, s[4:5], 0x98
	s_load_dwordx2 s[36:37], s[4:5], 0x28
	s_load_dwordx4 s[16:19], s[4:5], 0x68
	v_mov_b32_e32 v32, s15
	s_mul_i32 s12, s12, s14
	v_ashrrev_i32_e32 v7, 31, v6
	s_xor_b64 exec, exec, s[38:39]
	s_cbranch_execz .LBB205_103
; %bb.8:
	s_load_dwordx2 s[2:3], s[4:5], 0x20
	v_bfe_u32 v23, v0, 3, 3
	s_ashr_i32 s4, s12, 31
	v_lshlrev_b32_e32 v3, 4, v23
	s_mov_b32 s46, s13
	s_waitcnt lgkmcnt(0)
	s_add_u32 s2, s2, s12
	v_add_co_u32_e32 v4, vcc, s2, v3
	v_mul_u32_u24_e32 v3, 60, v2
	s_addc_u32 s3, s3, s4
	ds_read2_b32 v[8:9], v3 offset1:1
	ds_read2_b32 v[10:11], v3 offset0:2 offset1:3
	ds_read2_b32 v[12:13], v3 offset0:4 offset1:5
	;; [unrolled: 1-line block ×6, first 2 shown]
	ds_read_b32 v30, v3 offset:56
	v_mbcnt_hi_u32_b32 v3, -1, v22
	v_mov_b32_e32 v5, s3
	v_and_b32_e32 v22, 64, v3
	v_addc_co_u32_e32 v5, vcc, 0, v5, vcc
	v_add_u32_e32 v29, 64, v22
	v_xor_b32_e32 v22, 4, v3
	v_cmp_lt_i32_e32 vcc, v22, v29
	v_cndmask_b32_e32 v22, v3, v22, vcc
	v_lshlrev_b32_e32 v31, 2, v22
	v_xor_b32_e32 v22, 2, v3
	v_cmp_lt_i32_e32 vcc, v22, v29
	v_cndmask_b32_e32 v22, v3, v22, vcc
	v_lshlrev_b32_e32 v33, 2, v22
	;; [unrolled: 4-line block ×3, first 2 shown]
	v_lshlrev_b32_e32 v22, 3, v28
	s_load_dword s47, s[16:17], 0x0
	s_sub_i32 s48, 1, s33
	v_add3_u32 v35, s29, v22, v23
	v_lshlrev_b32_e32 v22, 2, v23
	s_lshl_b64 s[4:5], s[34:35], 2
	v_lshl_or_b32 v22, v28, 5, v22
	s_add_u32 s4, s30, s4
	v_add_u32_e32 v36, 0x1f0, v22
	v_lshlrev_b64 v[22:23], 2, v[6:7]
	s_addc_u32 s5, s31, s5
	v_mov_b32_e32 v24, s5
	v_add_co_u32_e64 v22, s[4:5], s4, v22
	v_cmp_eq_u32_e32 vcc, 0, v2
	v_cmp_neq_f32_e64 s[2:3], s10, 0
	v_addc_co_u32_e64 v23, s[4:5], v24, v23, s[4:5]
	s_mov_b64 s[14:15], 0
	v_mov_b32_e32 v32, 0xff7fffff
	s_movk_i32 s49, 0x80
	s_movk_i32 s50, 0x7f
	v_bfrev_b32_e32 v37, 60
	v_mov_b32_e32 v38, v6
	s_branch .LBB205_10
.LBB205_9:                              ;   in Loop: Header=BB205_10 Depth=1
	s_or_b64 exec, exec, s[16:17]
	v_add_u32_e32 v38, 2, v38
	v_cmp_le_i32_e64 s[4:5], s44, v38
	s_or_b64 s[14:15], s[4:5], s[14:15]
	v_add_co_u32_e64 v22, s[4:5], 8, v22
	v_add_u32_e32 v35, 16, v35
	v_add_u32_e32 v36, 64, v36
	v_addc_co_u32_e64 v23, s[4:5], 0, v23, s[4:5]
	s_andn2_b64 exec, exec, s[14:15]
	s_cbranch_execz .LBB205_102
.LBB205_10:                             ; =>This Inner Loop Header: Depth=1
	global_load_dword v24, v[22:23], off
	v_mov_b32_e32 v39, 0
	s_waitcnt vmcnt(0) lgkmcnt(0)
	v_mad_i64_i32 v[24:25], s[4:5], v24, s46, v[4:5]
	v_add_co_u32_e64 v24, s[4:5], v24, v2
	v_addc_co_u32_e64 v25, s[4:5], 0, v25, s[4:5]
	global_load_ubyte v40, v[24:25], off
	s_waitcnt vmcnt(0)
	v_cmp_ne_u16_e64 s[4:5], 0, v40
	s_and_saveexec_b64 s[16:17], s[4:5]
	s_cbranch_execz .LBB205_16
; %bb.11:                               ;   in Loop: Header=BB205_10 Depth=1
	v_cmp_ne_u16_e64 s[4:5], s49, v40
	v_bfrev_b32_e32 v39, 1
	s_and_saveexec_b64 s[40:41], s[4:5]
	s_cbranch_execz .LBB205_15
; %bb.12:                               ;   in Loop: Header=BB205_10 Depth=1
	v_and_b32_e32 v26, 0xffff, v40
	v_and_b32_e32 v41, 0x7f, v26
	v_cmp_ne_u32_e64 s[4:5], s50, v41
	v_mov_b32_e32 v39, 0x7f800001
	s_and_saveexec_b64 s[42:43], s[4:5]
	s_cbranch_execz .LBB205_14
; %bb.13:                               ;   in Loop: Header=BB205_10 Depth=1
	v_and_b32_e32 v39, 7, v26
	v_ffbh_u32_e32 v42, v39
	v_min_u32_e32 v45, 32, v42
	v_subrev_u32_e32 v42, 28, v45
	v_lshlrev_b64 v[42:43], v42, v[26:27]
	v_lshrrev_b32_e32 v44, 3, v41
	v_sub_u32_e32 v26, 29, v45
	v_and_b32_e32 v42, 7, v42
	v_cmp_gt_u32_e64 s[4:5], 8, v41
	v_cndmask_b32_e64 v26, v44, v26, s[4:5]
	v_cndmask_b32_e64 v39, v39, v42, s[4:5]
	v_lshlrev_b32_e32 v40, 24, v40
	v_lshlrev_b32_e32 v39, 20, v39
	v_and_b32_e32 v40, 0x80000000, v40
	v_lshl_add_u32 v26, v26, 23, v37
	v_or3_b32 v39, v40, v26, v39
.LBB205_14:                             ;   in Loop: Header=BB205_10 Depth=1
	s_or_b64 exec, exec, s[42:43]
.LBB205_15:                             ;   in Loop: Header=BB205_10 Depth=1
	s_or_b64 exec, exec, s[40:41]
.LBB205_16:                             ;   in Loop: Header=BB205_10 Depth=1
	s_or_b64 exec, exec, s[16:17]
	global_load_ubyte v41, v[24:25], off offset:8
	v_mov_b32_e32 v40, 0
	s_waitcnt vmcnt(0)
	v_cmp_ne_u16_e64 s[4:5], 0, v41
	s_and_saveexec_b64 s[16:17], s[4:5]
	s_cbranch_execz .LBB205_22
; %bb.17:                               ;   in Loop: Header=BB205_10 Depth=1
	v_cmp_ne_u16_e64 s[4:5], s49, v41
	v_bfrev_b32_e32 v40, 1
	s_and_saveexec_b64 s[40:41], s[4:5]
	s_cbranch_execz .LBB205_21
; %bb.18:                               ;   in Loop: Header=BB205_10 Depth=1
	v_and_b32_e32 v26, 0xffff, v41
	v_and_b32_e32 v42, 0x7f, v26
	v_cmp_ne_u32_e64 s[4:5], s50, v42
	v_mov_b32_e32 v40, 0x7f800001
	s_and_saveexec_b64 s[42:43], s[4:5]
	s_cbranch_execz .LBB205_20
; %bb.19:                               ;   in Loop: Header=BB205_10 Depth=1
	v_and_b32_e32 v40, 7, v26
	v_ffbh_u32_e32 v44, v40
	v_min_u32_e32 v46, 32, v44
	v_subrev_u32_e32 v44, 28, v46
	v_lshlrev_b64 v[44:45], v44, v[26:27]
	v_lshrrev_b32_e32 v43, 3, v42
	v_sub_u32_e32 v26, 29, v46
	v_and_b32_e32 v44, 7, v44
	v_cmp_gt_u32_e64 s[4:5], 8, v42
	v_cndmask_b32_e64 v26, v43, v26, s[4:5]
	v_cndmask_b32_e64 v40, v40, v44, s[4:5]
	v_lshlrev_b32_e32 v41, 24, v41
	v_lshlrev_b32_e32 v40, 20, v40
	v_and_b32_e32 v41, 0x80000000, v41
	v_lshl_add_u32 v26, v26, 23, v37
	v_or3_b32 v40, v41, v26, v40
.LBB205_20:                             ;   in Loop: Header=BB205_10 Depth=1
	s_or_b64 exec, exec, s[42:43]
.LBB205_21:                             ;   in Loop: Header=BB205_10 Depth=1
	s_or_b64 exec, exec, s[40:41]
.LBB205_22:                             ;   in Loop: Header=BB205_10 Depth=1
	s_or_b64 exec, exec, s[16:17]
	global_load_ubyte v43, v[24:25], off offset:128
	v_mov_b32_e32 v41, 0
	v_mov_b32_e32 v42, 0
	s_waitcnt vmcnt(0)
	v_cmp_ne_u16_e64 s[4:5], 0, v43
	s_and_saveexec_b64 s[16:17], s[4:5]
	s_cbranch_execz .LBB205_28
; %bb.23:                               ;   in Loop: Header=BB205_10 Depth=1
	v_cmp_ne_u16_e64 s[4:5], s49, v43
	v_bfrev_b32_e32 v42, 1
	s_and_saveexec_b64 s[40:41], s[4:5]
	s_cbranch_execz .LBB205_27
; %bb.24:                               ;   in Loop: Header=BB205_10 Depth=1
	v_and_b32_e32 v26, 0xffff, v43
	v_and_b32_e32 v44, 0x7f, v26
	v_cmp_ne_u32_e64 s[4:5], s50, v44
	v_mov_b32_e32 v42, 0x7f800001
	s_and_saveexec_b64 s[42:43], s[4:5]
	s_cbranch_execz .LBB205_26
; %bb.25:                               ;   in Loop: Header=BB205_10 Depth=1
	v_and_b32_e32 v42, 7, v26
	v_ffbh_u32_e32 v46, v42
	v_min_u32_e32 v48, 32, v46
	v_subrev_u32_e32 v46, 28, v48
	v_lshlrev_b64 v[46:47], v46, v[26:27]
	v_lshrrev_b32_e32 v45, 3, v44
	v_sub_u32_e32 v26, 29, v48
	v_and_b32_e32 v46, 7, v46
	v_cmp_gt_u32_e64 s[4:5], 8, v44
	v_cndmask_b32_e64 v26, v45, v26, s[4:5]
	v_cndmask_b32_e64 v42, v42, v46, s[4:5]
	v_lshlrev_b32_e32 v43, 24, v43
	v_lshlrev_b32_e32 v42, 20, v42
	v_and_b32_e32 v43, 0x80000000, v43
	v_lshl_add_u32 v26, v26, 23, v37
	v_or3_b32 v42, v43, v26, v42
.LBB205_26:                             ;   in Loop: Header=BB205_10 Depth=1
	s_or_b64 exec, exec, s[42:43]
.LBB205_27:                             ;   in Loop: Header=BB205_10 Depth=1
	s_or_b64 exec, exec, s[40:41]
.LBB205_28:                             ;   in Loop: Header=BB205_10 Depth=1
	s_or_b64 exec, exec, s[16:17]
	global_load_ubyte v43, v[24:25], off offset:136
	s_waitcnt vmcnt(0)
	v_cmp_ne_u16_e64 s[4:5], 0, v43
	s_and_saveexec_b64 s[16:17], s[4:5]
	s_cbranch_execz .LBB205_34
; %bb.29:                               ;   in Loop: Header=BB205_10 Depth=1
	v_cmp_ne_u16_e64 s[4:5], s49, v43
	v_bfrev_b32_e32 v41, 1
	s_and_saveexec_b64 s[40:41], s[4:5]
	s_cbranch_execz .LBB205_33
; %bb.30:                               ;   in Loop: Header=BB205_10 Depth=1
	v_and_b32_e32 v26, 0xffff, v43
	v_and_b32_e32 v44, 0x7f, v26
	v_cmp_ne_u32_e64 s[4:5], s50, v44
	v_mov_b32_e32 v41, 0x7f800001
	s_and_saveexec_b64 s[42:43], s[4:5]
	s_cbranch_execz .LBB205_32
; %bb.31:                               ;   in Loop: Header=BB205_10 Depth=1
	v_and_b32_e32 v41, 7, v26
	v_ffbh_u32_e32 v46, v41
	v_min_u32_e32 v48, 32, v46
	v_subrev_u32_e32 v46, 28, v48
	v_lshlrev_b64 v[46:47], v46, v[26:27]
	v_lshrrev_b32_e32 v45, 3, v44
	v_sub_u32_e32 v26, 29, v48
	v_and_b32_e32 v46, 7, v46
	v_cmp_gt_u32_e64 s[4:5], 8, v44
	v_cndmask_b32_e64 v26, v45, v26, s[4:5]
	v_cndmask_b32_e64 v41, v41, v46, s[4:5]
	v_lshlrev_b32_e32 v43, 24, v43
	v_lshlrev_b32_e32 v41, 20, v41
	v_and_b32_e32 v43, 0x80000000, v43
	v_lshl_add_u32 v26, v26, 23, v37
	v_or3_b32 v41, v43, v26, v41
.LBB205_32:                             ;   in Loop: Header=BB205_10 Depth=1
	s_or_b64 exec, exec, s[42:43]
.LBB205_33:                             ;   in Loop: Header=BB205_10 Depth=1
	s_or_b64 exec, exec, s[40:41]
.LBB205_34:                             ;   in Loop: Header=BB205_10 Depth=1
	s_or_b64 exec, exec, s[16:17]
	global_load_ubyte v45, v[24:25], off offset:256
	v_mov_b32_e32 v43, 0
	v_mov_b32_e32 v44, 0
	s_waitcnt vmcnt(0)
	v_cmp_ne_u16_e64 s[4:5], 0, v45
	s_and_saveexec_b64 s[16:17], s[4:5]
	s_cbranch_execz .LBB205_40
; %bb.35:                               ;   in Loop: Header=BB205_10 Depth=1
	v_cmp_ne_u16_e64 s[4:5], s49, v45
	v_bfrev_b32_e32 v44, 1
	s_and_saveexec_b64 s[40:41], s[4:5]
	s_cbranch_execz .LBB205_39
; %bb.36:                               ;   in Loop: Header=BB205_10 Depth=1
	v_and_b32_e32 v26, 0xffff, v45
	v_and_b32_e32 v46, 0x7f, v26
	v_cmp_ne_u32_e64 s[4:5], s50, v46
	v_mov_b32_e32 v44, 0x7f800001
	s_and_saveexec_b64 s[42:43], s[4:5]
	s_cbranch_execz .LBB205_38
; %bb.37:                               ;   in Loop: Header=BB205_10 Depth=1
	v_and_b32_e32 v44, 7, v26
	v_ffbh_u32_e32 v48, v44
	v_min_u32_e32 v50, 32, v48
	v_subrev_u32_e32 v48, 28, v50
	v_lshlrev_b64 v[48:49], v48, v[26:27]
	v_lshrrev_b32_e32 v47, 3, v46
	v_sub_u32_e32 v26, 29, v50
	v_and_b32_e32 v48, 7, v48
	v_cmp_gt_u32_e64 s[4:5], 8, v46
	v_cndmask_b32_e64 v26, v47, v26, s[4:5]
	v_cndmask_b32_e64 v44, v44, v48, s[4:5]
	v_lshlrev_b32_e32 v45, 24, v45
	v_lshlrev_b32_e32 v44, 20, v44
	v_and_b32_e32 v45, 0x80000000, v45
	v_lshl_add_u32 v26, v26, 23, v37
	v_or3_b32 v44, v45, v26, v44
.LBB205_38:                             ;   in Loop: Header=BB205_10 Depth=1
	s_or_b64 exec, exec, s[42:43]
.LBB205_39:                             ;   in Loop: Header=BB205_10 Depth=1
	s_or_b64 exec, exec, s[40:41]
.LBB205_40:                             ;   in Loop: Header=BB205_10 Depth=1
	s_or_b64 exec, exec, s[16:17]
	global_load_ubyte v45, v[24:25], off offset:264
	s_waitcnt vmcnt(0)
	v_cmp_ne_u16_e64 s[4:5], 0, v45
	s_and_saveexec_b64 s[16:17], s[4:5]
	s_cbranch_execz .LBB205_46
; %bb.41:                               ;   in Loop: Header=BB205_10 Depth=1
	v_cmp_ne_u16_e64 s[4:5], s49, v45
	v_bfrev_b32_e32 v43, 1
	s_and_saveexec_b64 s[40:41], s[4:5]
	s_cbranch_execz .LBB205_45
; %bb.42:                               ;   in Loop: Header=BB205_10 Depth=1
	v_and_b32_e32 v26, 0xffff, v45
	v_and_b32_e32 v46, 0x7f, v26
	v_cmp_ne_u32_e64 s[4:5], s50, v46
	v_mov_b32_e32 v43, 0x7f800001
	s_and_saveexec_b64 s[42:43], s[4:5]
	s_cbranch_execz .LBB205_44
; %bb.43:                               ;   in Loop: Header=BB205_10 Depth=1
	v_and_b32_e32 v43, 7, v26
	v_ffbh_u32_e32 v48, v43
	v_min_u32_e32 v50, 32, v48
	v_subrev_u32_e32 v48, 28, v50
	v_lshlrev_b64 v[48:49], v48, v[26:27]
	v_lshrrev_b32_e32 v47, 3, v46
	v_sub_u32_e32 v26, 29, v50
	v_and_b32_e32 v48, 7, v48
	v_cmp_gt_u32_e64 s[4:5], 8, v46
	v_cndmask_b32_e64 v26, v47, v26, s[4:5]
	v_cndmask_b32_e64 v43, v43, v48, s[4:5]
	v_lshlrev_b32_e32 v45, 24, v45
	v_lshlrev_b32_e32 v43, 20, v43
	v_and_b32_e32 v45, 0x80000000, v45
	v_lshl_add_u32 v26, v26, 23, v37
	v_or3_b32 v43, v45, v26, v43
.LBB205_44:                             ;   in Loop: Header=BB205_10 Depth=1
	s_or_b64 exec, exec, s[42:43]
.LBB205_45:                             ;   in Loop: Header=BB205_10 Depth=1
	s_or_b64 exec, exec, s[40:41]
.LBB205_46:                             ;   in Loop: Header=BB205_10 Depth=1
	s_or_b64 exec, exec, s[16:17]
	global_load_ubyte v47, v[24:25], off offset:384
	v_mov_b32_e32 v45, 0
	v_mov_b32_e32 v46, 0
	s_waitcnt vmcnt(0)
	v_cmp_ne_u16_e64 s[4:5], 0, v47
	s_and_saveexec_b64 s[16:17], s[4:5]
	s_cbranch_execz .LBB205_52
; %bb.47:                               ;   in Loop: Header=BB205_10 Depth=1
	v_cmp_ne_u16_e64 s[4:5], s49, v47
	v_bfrev_b32_e32 v46, 1
	s_and_saveexec_b64 s[40:41], s[4:5]
	s_cbranch_execz .LBB205_51
; %bb.48:                               ;   in Loop: Header=BB205_10 Depth=1
	v_and_b32_e32 v26, 0xffff, v47
	v_and_b32_e32 v48, 0x7f, v26
	v_cmp_ne_u32_e64 s[4:5], s50, v48
	v_mov_b32_e32 v46, 0x7f800001
	s_and_saveexec_b64 s[42:43], s[4:5]
	s_cbranch_execz .LBB205_50
; %bb.49:                               ;   in Loop: Header=BB205_10 Depth=1
	v_and_b32_e32 v46, 7, v26
	v_ffbh_u32_e32 v50, v46
	v_min_u32_e32 v52, 32, v50
	v_subrev_u32_e32 v50, 28, v52
	v_lshlrev_b64 v[50:51], v50, v[26:27]
	v_lshrrev_b32_e32 v49, 3, v48
	v_sub_u32_e32 v26, 29, v52
	v_and_b32_e32 v50, 7, v50
	v_cmp_gt_u32_e64 s[4:5], 8, v48
	v_cndmask_b32_e64 v26, v49, v26, s[4:5]
	v_cndmask_b32_e64 v46, v46, v50, s[4:5]
	v_lshlrev_b32_e32 v47, 24, v47
	v_lshlrev_b32_e32 v46, 20, v46
	v_and_b32_e32 v47, 0x80000000, v47
	v_lshl_add_u32 v26, v26, 23, v37
	v_or3_b32 v46, v47, v26, v46
.LBB205_50:                             ;   in Loop: Header=BB205_10 Depth=1
	s_or_b64 exec, exec, s[42:43]
.LBB205_51:                             ;   in Loop: Header=BB205_10 Depth=1
	s_or_b64 exec, exec, s[40:41]
.LBB205_52:                             ;   in Loop: Header=BB205_10 Depth=1
	s_or_b64 exec, exec, s[16:17]
	global_load_ubyte v47, v[24:25], off offset:392
	s_waitcnt vmcnt(0)
	v_cmp_ne_u16_e64 s[4:5], 0, v47
	s_and_saveexec_b64 s[16:17], s[4:5]
	s_cbranch_execz .LBB205_58
; %bb.53:                               ;   in Loop: Header=BB205_10 Depth=1
	v_cmp_ne_u16_e64 s[4:5], s49, v47
	v_bfrev_b32_e32 v45, 1
	s_and_saveexec_b64 s[40:41], s[4:5]
	s_cbranch_execz .LBB205_57
; %bb.54:                               ;   in Loop: Header=BB205_10 Depth=1
	v_and_b32_e32 v26, 0xffff, v47
	v_and_b32_e32 v48, 0x7f, v26
	v_cmp_ne_u32_e64 s[4:5], s50, v48
	v_mov_b32_e32 v45, 0x7f800001
	s_and_saveexec_b64 s[42:43], s[4:5]
	s_cbranch_execz .LBB205_56
; %bb.55:                               ;   in Loop: Header=BB205_10 Depth=1
	v_and_b32_e32 v45, 7, v26
	v_ffbh_u32_e32 v50, v45
	v_min_u32_e32 v52, 32, v50
	v_subrev_u32_e32 v50, 28, v52
	v_lshlrev_b64 v[50:51], v50, v[26:27]
	v_lshrrev_b32_e32 v49, 3, v48
	v_sub_u32_e32 v26, 29, v52
	v_and_b32_e32 v50, 7, v50
	v_cmp_gt_u32_e64 s[4:5], 8, v48
	v_cndmask_b32_e64 v26, v49, v26, s[4:5]
	v_cndmask_b32_e64 v45, v45, v50, s[4:5]
	v_lshlrev_b32_e32 v47, 24, v47
	v_lshlrev_b32_e32 v45, 20, v45
	v_and_b32_e32 v47, 0x80000000, v47
	v_lshl_add_u32 v26, v26, 23, v37
	v_or3_b32 v45, v47, v26, v45
.LBB205_56:                             ;   in Loop: Header=BB205_10 Depth=1
	s_or_b64 exec, exec, s[42:43]
.LBB205_57:                             ;   in Loop: Header=BB205_10 Depth=1
	s_or_b64 exec, exec, s[40:41]
.LBB205_58:                             ;   in Loop: Header=BB205_10 Depth=1
	s_or_b64 exec, exec, s[16:17]
	global_load_ubyte v49, v[24:25], off offset:512
	v_mov_b32_e32 v47, 0
	v_mov_b32_e32 v48, 0
	s_waitcnt vmcnt(0)
	v_cmp_ne_u16_e64 s[4:5], 0, v49
	s_and_saveexec_b64 s[16:17], s[4:5]
	s_cbranch_execz .LBB205_64
; %bb.59:                               ;   in Loop: Header=BB205_10 Depth=1
	v_cmp_ne_u16_e64 s[4:5], s49, v49
	v_bfrev_b32_e32 v48, 1
	s_and_saveexec_b64 s[40:41], s[4:5]
	s_cbranch_execz .LBB205_63
; %bb.60:                               ;   in Loop: Header=BB205_10 Depth=1
	v_and_b32_e32 v26, 0xffff, v49
	v_and_b32_e32 v50, 0x7f, v26
	v_cmp_ne_u32_e64 s[4:5], s50, v50
	v_mov_b32_e32 v48, 0x7f800001
	s_and_saveexec_b64 s[42:43], s[4:5]
	s_cbranch_execz .LBB205_62
; %bb.61:                               ;   in Loop: Header=BB205_10 Depth=1
	v_and_b32_e32 v48, 7, v26
	v_ffbh_u32_e32 v52, v48
	v_min_u32_e32 v54, 32, v52
	v_subrev_u32_e32 v52, 28, v54
	v_lshlrev_b64 v[52:53], v52, v[26:27]
	v_lshrrev_b32_e32 v51, 3, v50
	v_sub_u32_e32 v26, 29, v54
	v_and_b32_e32 v52, 7, v52
	v_cmp_gt_u32_e64 s[4:5], 8, v50
	v_cndmask_b32_e64 v26, v51, v26, s[4:5]
	v_cndmask_b32_e64 v48, v48, v52, s[4:5]
	v_lshlrev_b32_e32 v49, 24, v49
	v_lshlrev_b32_e32 v48, 20, v48
	v_and_b32_e32 v49, 0x80000000, v49
	v_lshl_add_u32 v26, v26, 23, v37
	v_or3_b32 v48, v49, v26, v48
.LBB205_62:                             ;   in Loop: Header=BB205_10 Depth=1
	s_or_b64 exec, exec, s[42:43]
.LBB205_63:                             ;   in Loop: Header=BB205_10 Depth=1
	s_or_b64 exec, exec, s[40:41]
.LBB205_64:                             ;   in Loop: Header=BB205_10 Depth=1
	s_or_b64 exec, exec, s[16:17]
	global_load_ubyte v49, v[24:25], off offset:520
	s_waitcnt vmcnt(0)
	v_cmp_ne_u16_e64 s[4:5], 0, v49
	s_and_saveexec_b64 s[16:17], s[4:5]
	s_cbranch_execz .LBB205_70
; %bb.65:                               ;   in Loop: Header=BB205_10 Depth=1
	v_cmp_ne_u16_e64 s[4:5], s49, v49
	v_bfrev_b32_e32 v47, 1
	s_and_saveexec_b64 s[40:41], s[4:5]
	s_cbranch_execz .LBB205_69
; %bb.66:                               ;   in Loop: Header=BB205_10 Depth=1
	v_and_b32_e32 v26, 0xffff, v49
	v_and_b32_e32 v50, 0x7f, v26
	v_cmp_ne_u32_e64 s[4:5], s50, v50
	v_mov_b32_e32 v47, 0x7f800001
	s_and_saveexec_b64 s[42:43], s[4:5]
	s_cbranch_execz .LBB205_68
; %bb.67:                               ;   in Loop: Header=BB205_10 Depth=1
	v_and_b32_e32 v47, 7, v26
	v_ffbh_u32_e32 v52, v47
	v_min_u32_e32 v54, 32, v52
	v_subrev_u32_e32 v52, 28, v54
	v_lshlrev_b64 v[52:53], v52, v[26:27]
	v_lshrrev_b32_e32 v51, 3, v50
	v_sub_u32_e32 v26, 29, v54
	v_and_b32_e32 v52, 7, v52
	v_cmp_gt_u32_e64 s[4:5], 8, v50
	v_cndmask_b32_e64 v26, v51, v26, s[4:5]
	v_cndmask_b32_e64 v47, v47, v52, s[4:5]
	v_lshlrev_b32_e32 v49, 24, v49
	v_lshlrev_b32_e32 v47, 20, v47
	v_and_b32_e32 v49, 0x80000000, v49
	v_lshl_add_u32 v26, v26, 23, v37
	v_or3_b32 v47, v49, v26, v47
.LBB205_68:                             ;   in Loop: Header=BB205_10 Depth=1
	s_or_b64 exec, exec, s[42:43]
.LBB205_69:                             ;   in Loop: Header=BB205_10 Depth=1
	s_or_b64 exec, exec, s[40:41]
.LBB205_70:                             ;   in Loop: Header=BB205_10 Depth=1
	s_or_b64 exec, exec, s[16:17]
	global_load_ubyte v51, v[24:25], off offset:640
	v_mov_b32_e32 v49, 0
	v_mov_b32_e32 v50, 0
	s_waitcnt vmcnt(0)
	v_cmp_ne_u16_e64 s[4:5], 0, v51
	s_and_saveexec_b64 s[16:17], s[4:5]
	s_cbranch_execz .LBB205_76
; %bb.71:                               ;   in Loop: Header=BB205_10 Depth=1
	v_cmp_ne_u16_e64 s[4:5], s49, v51
	v_bfrev_b32_e32 v50, 1
	s_and_saveexec_b64 s[40:41], s[4:5]
	s_cbranch_execz .LBB205_75
; %bb.72:                               ;   in Loop: Header=BB205_10 Depth=1
	v_and_b32_e32 v26, 0xffff, v51
	v_and_b32_e32 v52, 0x7f, v26
	v_cmp_ne_u32_e64 s[4:5], s50, v52
	v_mov_b32_e32 v50, 0x7f800001
	s_and_saveexec_b64 s[42:43], s[4:5]
	s_cbranch_execz .LBB205_74
; %bb.73:                               ;   in Loop: Header=BB205_10 Depth=1
	v_and_b32_e32 v50, 7, v26
	v_ffbh_u32_e32 v54, v50
	v_min_u32_e32 v56, 32, v54
	v_subrev_u32_e32 v54, 28, v56
	v_lshlrev_b64 v[54:55], v54, v[26:27]
	v_lshrrev_b32_e32 v53, 3, v52
	v_sub_u32_e32 v26, 29, v56
	v_and_b32_e32 v54, 7, v54
	v_cmp_gt_u32_e64 s[4:5], 8, v52
	v_cndmask_b32_e64 v26, v53, v26, s[4:5]
	v_cndmask_b32_e64 v50, v50, v54, s[4:5]
	v_lshlrev_b32_e32 v51, 24, v51
	v_lshlrev_b32_e32 v50, 20, v50
	v_and_b32_e32 v51, 0x80000000, v51
	v_lshl_add_u32 v26, v26, 23, v37
	v_or3_b32 v50, v51, v26, v50
.LBB205_74:                             ;   in Loop: Header=BB205_10 Depth=1
	s_or_b64 exec, exec, s[42:43]
.LBB205_75:                             ;   in Loop: Header=BB205_10 Depth=1
	s_or_b64 exec, exec, s[40:41]
.LBB205_76:                             ;   in Loop: Header=BB205_10 Depth=1
	s_or_b64 exec, exec, s[16:17]
	global_load_ubyte v51, v[24:25], off offset:648
	s_waitcnt vmcnt(0)
	v_cmp_ne_u16_e64 s[4:5], 0, v51
	s_and_saveexec_b64 s[16:17], s[4:5]
	s_cbranch_execz .LBB205_82
; %bb.77:                               ;   in Loop: Header=BB205_10 Depth=1
	v_cmp_ne_u16_e64 s[4:5], s49, v51
	v_bfrev_b32_e32 v49, 1
	s_and_saveexec_b64 s[40:41], s[4:5]
	s_cbranch_execz .LBB205_81
; %bb.78:                               ;   in Loop: Header=BB205_10 Depth=1
	v_and_b32_e32 v26, 0xffff, v51
	v_and_b32_e32 v52, 0x7f, v26
	v_cmp_ne_u32_e64 s[4:5], s50, v52
	v_mov_b32_e32 v49, 0x7f800001
	s_and_saveexec_b64 s[42:43], s[4:5]
	s_cbranch_execz .LBB205_80
; %bb.79:                               ;   in Loop: Header=BB205_10 Depth=1
	v_and_b32_e32 v49, 7, v26
	v_ffbh_u32_e32 v54, v49
	v_min_u32_e32 v56, 32, v54
	v_subrev_u32_e32 v54, 28, v56
	v_lshlrev_b64 v[54:55], v54, v[26:27]
	v_lshrrev_b32_e32 v53, 3, v52
	v_sub_u32_e32 v26, 29, v56
	v_and_b32_e32 v54, 7, v54
	v_cmp_gt_u32_e64 s[4:5], 8, v52
	v_cndmask_b32_e64 v26, v53, v26, s[4:5]
	v_cndmask_b32_e64 v49, v49, v54, s[4:5]
	v_lshlrev_b32_e32 v51, 24, v51
	v_lshlrev_b32_e32 v49, 20, v49
	v_and_b32_e32 v51, 0x80000000, v51
	v_lshl_add_u32 v26, v26, 23, v37
	v_or3_b32 v49, v51, v26, v49
.LBB205_80:                             ;   in Loop: Header=BB205_10 Depth=1
	s_or_b64 exec, exec, s[42:43]
.LBB205_81:                             ;   in Loop: Header=BB205_10 Depth=1
	s_or_b64 exec, exec, s[40:41]
.LBB205_82:                             ;   in Loop: Header=BB205_10 Depth=1
	s_or_b64 exec, exec, s[16:17]
	global_load_ubyte v53, v[24:25], off offset:768
	v_mov_b32_e32 v51, 0
	v_mov_b32_e32 v52, 0
	s_waitcnt vmcnt(0)
	v_cmp_ne_u16_e64 s[4:5], 0, v53
	s_and_saveexec_b64 s[16:17], s[4:5]
	s_cbranch_execz .LBB205_88
; %bb.83:                               ;   in Loop: Header=BB205_10 Depth=1
	v_cmp_ne_u16_e64 s[4:5], s49, v53
	v_bfrev_b32_e32 v52, 1
	s_and_saveexec_b64 s[40:41], s[4:5]
	s_cbranch_execz .LBB205_87
; %bb.84:                               ;   in Loop: Header=BB205_10 Depth=1
	v_and_b32_e32 v26, 0xffff, v53
	v_and_b32_e32 v54, 0x7f, v26
	v_cmp_ne_u32_e64 s[4:5], s50, v54
	v_mov_b32_e32 v52, 0x7f800001
	s_and_saveexec_b64 s[42:43], s[4:5]
	s_cbranch_execz .LBB205_86
; %bb.85:                               ;   in Loop: Header=BB205_10 Depth=1
	v_and_b32_e32 v52, 7, v26
	v_ffbh_u32_e32 v56, v52
	v_min_u32_e32 v58, 32, v56
	v_subrev_u32_e32 v56, 28, v58
	v_lshlrev_b64 v[56:57], v56, v[26:27]
	v_lshrrev_b32_e32 v55, 3, v54
	v_sub_u32_e32 v26, 29, v58
	v_and_b32_e32 v56, 7, v56
	v_cmp_gt_u32_e64 s[4:5], 8, v54
	v_cndmask_b32_e64 v26, v55, v26, s[4:5]
	v_cndmask_b32_e64 v52, v52, v56, s[4:5]
	v_lshlrev_b32_e32 v53, 24, v53
	v_lshlrev_b32_e32 v52, 20, v52
	v_and_b32_e32 v53, 0x80000000, v53
	v_lshl_add_u32 v26, v26, 23, v37
	v_or3_b32 v52, v53, v26, v52
.LBB205_86:                             ;   in Loop: Header=BB205_10 Depth=1
	s_or_b64 exec, exec, s[42:43]
.LBB205_87:                             ;   in Loop: Header=BB205_10 Depth=1
	s_or_b64 exec, exec, s[40:41]
.LBB205_88:                             ;   in Loop: Header=BB205_10 Depth=1
	s_or_b64 exec, exec, s[16:17]
	global_load_ubyte v53, v[24:25], off offset:776
	s_waitcnt vmcnt(0)
	v_cmp_ne_u16_e64 s[4:5], 0, v53
	s_and_saveexec_b64 s[16:17], s[4:5]
	s_cbranch_execz .LBB205_94
; %bb.89:                               ;   in Loop: Header=BB205_10 Depth=1
	v_cmp_ne_u16_e64 s[4:5], s49, v53
	v_bfrev_b32_e32 v51, 1
	s_and_saveexec_b64 s[40:41], s[4:5]
	s_cbranch_execz .LBB205_93
; %bb.90:                               ;   in Loop: Header=BB205_10 Depth=1
	v_and_b32_e32 v26, 0xffff, v53
	v_and_b32_e32 v54, 0x7f, v26
	v_cmp_ne_u32_e64 s[4:5], s50, v54
	v_mov_b32_e32 v51, 0x7f800001
	s_and_saveexec_b64 s[42:43], s[4:5]
	s_cbranch_execz .LBB205_92
; %bb.91:                               ;   in Loop: Header=BB205_10 Depth=1
	v_and_b32_e32 v51, 7, v26
	v_ffbh_u32_e32 v56, v51
	v_min_u32_e32 v58, 32, v56
	v_subrev_u32_e32 v56, 28, v58
	v_lshlrev_b64 v[56:57], v56, v[26:27]
	v_lshrrev_b32_e32 v55, 3, v54
	v_sub_u32_e32 v26, 29, v58
	v_and_b32_e32 v56, 7, v56
	v_cmp_gt_u32_e64 s[4:5], 8, v54
	v_cndmask_b32_e64 v26, v55, v26, s[4:5]
	v_cndmask_b32_e64 v51, v51, v56, s[4:5]
	v_lshlrev_b32_e32 v53, 24, v53
	v_lshlrev_b32_e32 v51, 20, v51
	v_and_b32_e32 v53, 0x80000000, v53
	v_lshl_add_u32 v26, v26, 23, v37
	v_or3_b32 v51, v53, v26, v51
.LBB205_92:                             ;   in Loop: Header=BB205_10 Depth=1
	s_or_b64 exec, exec, s[42:43]
.LBB205_93:                             ;   in Loop: Header=BB205_10 Depth=1
	s_or_b64 exec, exec, s[40:41]
.LBB205_94:                             ;   in Loop: Header=BB205_10 Depth=1
	s_or_b64 exec, exec, s[16:17]
	global_load_ubyte v26, v[24:25], off offset:896
	v_mov_b32_e32 v25, 0
	s_waitcnt vmcnt(0)
	v_cmp_ne_u16_e64 s[4:5], 0, v26
	s_and_saveexec_b64 s[16:17], s[4:5]
	s_cbranch_execz .LBB205_100
; %bb.95:                               ;   in Loop: Header=BB205_10 Depth=1
	v_cmp_ne_u16_e64 s[4:5], s49, v26
	v_bfrev_b32_e32 v25, 1
	s_and_saveexec_b64 s[40:41], s[4:5]
	s_cbranch_execz .LBB205_99
; %bb.96:                               ;   in Loop: Header=BB205_10 Depth=1
	v_and_b32_e32 v24, 0xffff, v26
	v_and_b32_e32 v53, 0x7f, v24
	v_cmp_ne_u32_e64 s[4:5], s50, v53
	v_mov_b32_e32 v25, 0x7f800001
	s_and_saveexec_b64 s[42:43], s[4:5]
	s_cbranch_execz .LBB205_98
; %bb.97:                               ;   in Loop: Header=BB205_10 Depth=1
	v_and_b32_e32 v54, 7, v24
	v_ffbh_u32_e32 v25, v54
	v_min_u32_e32 v56, 32, v25
	v_subrev_u32_e32 v25, 28, v56
	v_lshlrev_b64 v[24:25], v25, v[24:25]
	v_lshrrev_b32_e32 v55, 3, v53
	v_sub_u32_e32 v25, 29, v56
	v_and_b32_e32 v24, 7, v24
	v_cmp_gt_u32_e64 s[4:5], 8, v53
	v_cndmask_b32_e64 v25, v55, v25, s[4:5]
	v_cndmask_b32_e64 v24, v54, v24, s[4:5]
	v_lshlrev_b32_e32 v26, 24, v26
	v_lshlrev_b32_e32 v24, 20, v24
	v_and_b32_e32 v26, 0x80000000, v26
	v_lshl_add_u32 v25, v25, 23, v37
	v_or3_b32 v25, v26, v25, v24
.LBB205_98:                             ;   in Loop: Header=BB205_10 Depth=1
	s_or_b64 exec, exec, s[42:43]
.LBB205_99:                             ;   in Loop: Header=BB205_10 Depth=1
	s_or_b64 exec, exec, s[40:41]
.LBB205_100:                            ;   in Loop: Header=BB205_10 Depth=1
	s_or_b64 exec, exec, s[16:17]
	s_waitcnt lgkmcnt(0)
	v_mul_f32_e32 v40, s47, v40
	v_mul_f32_e32 v39, s47, v39
	;; [unrolled: 1-line block ×4, first 2 shown]
	v_fmac_f32_e32 v40, v8, v39
	v_mul_f32_e32 v41, s47, v41
	v_fmac_f32_e32 v40, v10, v42
	v_mul_f32_e32 v44, s47, v44
	;; [unrolled: 2-line block ×12, first 2 shown]
	v_fmac_f32_e32 v40, v21, v24
	v_fmac_f32_e32 v40, v30, v25
	ds_bpermute_b32 v24, v31, v40
	s_waitcnt lgkmcnt(0)
	v_add_f32_e32 v24, v40, v24
	ds_bpermute_b32 v25, v33, v24
	s_waitcnt lgkmcnt(0)
	v_add_f32_e32 v24, v24, v25
	ds_bpermute_b32 v25, v34, v24
	s_and_saveexec_b64 s[16:17], vcc
	s_cbranch_execz .LBB205_9
; %bb.101:                              ;   in Loop: Header=BB205_10 Depth=1
	v_add_u32_e32 v26, s48, v35
	v_cvt_f32_i32_e32 v26, v26
	s_waitcnt lgkmcnt(0)
	v_add_f32_e32 v24, v24, v25
	v_cmp_gt_i32_e64 s[4:5], s33, v35
	v_max_f32_e32 v25, v32, v32
	v_mul_f32_e32 v26, s10, v26
	v_cndmask_b32_e64 v26, 0, v26, s[2:3]
	v_fmac_f32_e32 v26, s11, v24
	v_cndmask_b32_e64 v24, 0, v26, s[4:5]
	ds_write_b32 v36, v24
	v_max_f32_e32 v24, v25, v26
	v_cndmask_b32_e64 v32, v32, v24, s[4:5]
	s_branch .LBB205_9
.LBB205_102:
	s_or_b64 exec, exec, s[14:15]
.LBB205_103:
	s_or_b64 exec, exec, s[38:39]
	v_xor_b32_e32 v2, 32, v3
	v_cmp_lt_i32_e32 vcc, v2, v29
	v_cndmask_b32_e32 v2, v3, v2, vcc
	v_lshlrev_b32_e32 v8, 2, v2
	ds_bpermute_b32 v2, v8, v32
	v_xor_b32_e32 v5, 16, v3
	v_max_f32_e32 v4, v32, v32
	v_cmp_lt_i32_e32 vcc, v5, v29
	v_xor_b32_e32 v9, 8, v3
	s_waitcnt lgkmcnt(0)
	v_max_f32_e32 v2, v2, v2
	v_max_f32_e32 v2, v4, v2
	v_cndmask_b32_e32 v4, v3, v5, vcc
	v_lshlrev_b32_e32 v11, 2, v4
	ds_bpermute_b32 v4, v11, v2
	v_cmp_lt_i32_e32 vcc, v9, v29
	s_waitcnt lgkmcnt(0)
	v_max_f32_e32 v4, v4, v4
	v_max_f32_e32 v5, v2, v4
	v_cndmask_b32_e32 v2, v3, v9, vcc
	v_lshlrev_b32_e32 v12, 2, v2
	ds_bpermute_b32 v9, v12, v5
	v_and_b32_e32 v4, 63, v0
	v_cmp_eq_u32_e32 vcc, 0, v4
	v_lshlrev_b32_e32 v2, 2, v28
	s_and_saveexec_b64 s[2:3], vcc
	s_cbranch_execz .LBB205_105
; %bb.104:
	s_waitcnt lgkmcnt(0)
	v_max_f32_e32 v9, v9, v9
	v_max_f32_e32 v5, v5, v5
	;; [unrolled: 1-line block ×3, first 2 shown]
	ds_write_b32 v2, v5 offset:480
.LBB205_105:
	s_or_b64 exec, exec, s[2:3]
	v_cmp_gt_u32_e64 s[2:3], 2, v4
	v_mov_b32_e32 v5, 0xff7fffff
	v_lshlrev_b32_e32 v10, 2, v4
	s_waitcnt lgkmcnt(0)
	s_barrier
	s_and_saveexec_b64 s[4:5], s[2:3]
	s_cbranch_execz .LBB205_107
; %bb.106:
	ds_read_b32 v5, v10 offset:480
.LBB205_107:
	s_or_b64 exec, exec, s[4:5]
	v_xor_b32_e32 v9, 1, v3
	v_cmp_lt_i32_e64 s[4:5], v9, v29
	v_cndmask_b32_e64 v9, v3, v9, s[4:5]
	v_lshlrev_b32_e32 v9, 2, v9
	s_waitcnt lgkmcnt(0)
	ds_bpermute_b32 v13, v9, v5
	v_max_f32_e32 v5, v5, v5
	s_sub_i32 s4, s44, s7
	s_lshl_b32 s4, s4, 3
	s_add_i32 s4, s4, s29
	s_waitcnt lgkmcnt(0)
	v_max_f32_e32 v13, v13, v13
	v_max_f32_e32 v5, v5, v13
	v_lshlrev_b32_e32 v13, 2, v3
	v_and_b32_e32 v13, 0xffffff00, v13
	ds_bpermute_b32 v5, v13, v5
	s_min_i32 s38, s4, s33
	s_sub_i32 s7, s38, s29
	v_cmp_gt_i32_e64 s[4:5], s7, v0
	v_mov_b32_e32 v14, 0
	s_and_saveexec_b64 s[14:15], s[4:5]
	s_cbranch_execz .LBB205_111
; %bb.108:
	v_mov_b32_e32 v14, 0x1f0
	v_lshl_add_u32 v15, v0, 2, v14
	s_mov_b64 s[16:17], 0
	v_mov_b32_e32 v14, 0
	v_mov_b32_e32 v16, v0
.LBB205_109:                            ; =>This Inner Loop Header: Depth=1
	ds_read_b32 v17, v15
	v_add_u32_e32 v16, 0x80, v16
	v_cmp_le_i32_e64 s[10:11], s7, v16
	s_or_b64 s[16:17], s[10:11], s[16:17]
	s_waitcnt lgkmcnt(0)
	v_sub_f32_e32 v17, v17, v5
	v_mul_f32_e32 v17, 0x3fb8aa3b, v17
	v_exp_f32_e32 v17, v17
	ds_write_b32 v15, v17
	v_add_f32_e32 v14, v14, v17
	v_add_u32_e32 v15, 0x200, v15
	s_andn2_b64 exec, exec, s[16:17]
	s_cbranch_execnz .LBB205_109
; %bb.110:
	s_or_b64 exec, exec, s[16:17]
.LBB205_111:
	s_or_b64 exec, exec, s[14:15]
	ds_bpermute_b32 v8, v8, v14
	s_waitcnt lgkmcnt(0)
	v_add_f32_e32 v8, v14, v8
	ds_bpermute_b32 v11, v11, v8
	s_waitcnt lgkmcnt(0)
	v_add_f32_e32 v8, v8, v11
	ds_bpermute_b32 v11, v12, v8
	v_xor_b32_e32 v12, 4, v3
	v_cmp_lt_i32_e64 s[10:11], v12, v29
	v_cndmask_b32_e64 v12, v3, v12, s[10:11]
	v_lshlrev_b32_e32 v12, 2, v12
	s_waitcnt lgkmcnt(0)
	v_add_f32_e32 v8, v8, v11
	ds_bpermute_b32 v11, v12, v8
	v_xor_b32_e32 v12, 2, v3
	v_cmp_lt_i32_e64 s[10:11], v12, v29
	v_cndmask_b32_e64 v3, v3, v12, s[10:11]
	v_lshlrev_b32_e32 v3, 2, v3
	s_waitcnt lgkmcnt(0)
	v_add_f32_e32 v8, v8, v11
	ds_bpermute_b32 v3, v3, v8
	s_waitcnt lgkmcnt(0)
	v_add_f32_e32 v3, v8, v3
	ds_bpermute_b32 v8, v9, v3
	s_waitcnt lgkmcnt(0)
	v_add_f32_e32 v3, v3, v8
	s_and_saveexec_b64 s[10:11], vcc
	s_cbranch_execz .LBB205_113
; %bb.112:
	ds_write_b32 v2, v3 offset:488
.LBB205_113:
	s_or_b64 exec, exec, s[10:11]
	s_waitcnt lgkmcnt(0)
	s_barrier
	s_and_saveexec_b64 s[10:11], s[2:3]
	s_cbranch_execz .LBB205_115
; %bb.114:
	ds_read_b32 v3, v10 offset:488
.LBB205_115:
	s_or_b64 exec, exec, s[10:11]
	s_waitcnt lgkmcnt(0)
	ds_bpermute_b32 v2, v9, v3
	s_waitcnt lgkmcnt(0)
	v_add_f32_e32 v2, v3, v2
	ds_bpermute_b32 v8, v13, v2
	s_and_saveexec_b64 s[2:3], s[4:5]
	s_cbranch_execz .LBB205_128
; %bb.116:
	s_waitcnt lgkmcnt(0)
	v_add_f32_e32 v2, 0x358637bd, v8
	v_div_scale_f32 v3, s[4:5], v2, v2, 1.0
	v_rcp_f32_e32 v10, v3
	v_div_scale_f32 v11, vcc, 1.0, v2, 1.0
	s_movk_i32 s4, 0x7f
	v_fma_f32 v12, -v3, v10, 1.0
	v_fmac_f32_e32 v10, v12, v10
	v_mul_f32_e32 v12, v11, v10
	v_fma_f32 v13, -v3, v12, v11
	v_fmac_f32_e32 v12, v13, v10
	v_fma_f32 v3, -v3, v12, v11
	v_div_fmas_f32 v3, v3, v10, v12
	v_div_fixup_f32 v2, v3, v2, 1.0
	v_xad_u32 v3, v0, -1, s38
	v_subrev_u32_e32 v10, s29, v3
	v_cmp_lt_u32_e32 vcc, s4, v10
	s_mov_b64 s[10:11], -1
	v_mov_b32_e32 v3, v0
	s_and_saveexec_b64 s[4:5], vcc
	s_cbranch_execz .LBB205_125
; %bb.117:
	v_lshrrev_b32_e32 v10, 7, v10
	v_add_u32_e32 v12, -1, v10
	v_lshrrev_b32_e32 v11, 1, v12
	v_mov_b32_e32 v3, v2
	v_add_u32_e32 v11, 1, v11
	v_cmp_lt_u32_e32 vcc, 13, v12
	v_mov_b32_e32 v14, 0
	s_and_saveexec_b64 s[10:11], vcc
	s_cbranch_execz .LBB205_121
; %bb.118:
	v_mov_b32_e32 v13, 0x1f0
	v_and_b32_e32 v12, -8, v11
	v_lshl_add_u32 v13, v0, 2, v13
	s_mov_b32 s16, 0
	s_mov_b64 s[14:15], 0
.LBB205_119:                            ; =>This Inner Loop Header: Depth=1
	ds_read2st64_b32 v[14:15], v13 offset1:2
	ds_read2st64_b32 v[16:17], v13 offset0:4 offset1:6
	ds_read2st64_b32 v[18:19], v13 offset0:8 offset1:10
	;; [unrolled: 1-line block ×3, first 2 shown]
	v_add_u32_e32 v12, -8, v12
	s_waitcnt lgkmcnt(3)
	v_pk_mul_f32 v[14:15], v[2:3], v[14:15]
	s_waitcnt lgkmcnt(2)
	v_pk_mul_f32 v[16:17], v[2:3], v[16:17]
	ds_write2st64_b32 v13, v14, v15 offset1:2
	ds_write2st64_b32 v13, v16, v17 offset0:4 offset1:6
	ds_read2st64_b32 v[16:17], v13 offset0:16 offset1:18
	s_waitcnt lgkmcnt(4)
	v_pk_mul_f32 v[14:15], v[2:3], v[18:19]
	ds_write2st64_b32 v13, v14, v15 offset0:8 offset1:10
	s_waitcnt lgkmcnt(4)
	v_pk_mul_f32 v[14:15], v[2:3], v[20:21]
	ds_write2st64_b32 v13, v14, v15 offset0:12 offset1:14
	ds_read2st64_b32 v[14:15], v13 offset0:20 offset1:22
	s_waitcnt lgkmcnt(3)
	v_pk_mul_f32 v[16:17], v[2:3], v[16:17]
	ds_read2st64_b32 v[18:19], v13 offset0:24 offset1:26
	ds_write2st64_b32 v13, v16, v17 offset0:16 offset1:18
	ds_read2st64_b32 v[16:17], v13 offset0:28 offset1:30
	s_waitcnt lgkmcnt(3)
	v_pk_mul_f32 v[14:15], v[2:3], v[14:15]
	ds_write2st64_b32 v13, v14, v15 offset0:20 offset1:22
	s_waitcnt lgkmcnt(3)
	v_pk_mul_f32 v[14:15], v[2:3], v[18:19]
	ds_write2st64_b32 v13, v14, v15 offset0:24 offset1:26
	s_waitcnt lgkmcnt(2)
	v_pk_mul_f32 v[14:15], v[2:3], v[16:17]
	s_add_i32 s16, s16, 16
	v_cmp_eq_u32_e32 vcc, 0, v12
	ds_write2st64_b32 v13, v14, v15 offset0:28 offset1:30
	v_add_u32_e32 v13, 0x2000, v13
	s_or_b64 s[14:15], vcc, s[14:15]
	v_mov_b32_e32 v14, s16
	s_andn2_b64 exec, exec, s[14:15]
	s_cbranch_execnz .LBB205_119
; %bb.120:
	s_or_b64 exec, exec, s[14:15]
.LBB205_121:
	s_or_b64 exec, exec, s[10:11]
	v_and_b32_e32 v11, 7, v11
	v_cmp_ne_u32_e32 vcc, 0, v11
	s_and_saveexec_b64 s[10:11], vcc
	s_cbranch_execz .LBB205_124
; %bb.122:
	v_lshlrev_b32_e32 v12, 9, v14
	s_movk_i32 s14, 0x1f0
	v_add3_u32 v12, v12, v27, s14
	s_mov_b64 s[14:15], 0
.LBB205_123:                            ; =>This Inner Loop Header: Depth=1
	ds_read2st64_b32 v[14:15], v12 offset1:2
	v_add_u32_e32 v11, -1, v11
	v_cmp_eq_u32_e32 vcc, 0, v11
	s_or_b64 s[14:15], vcc, s[14:15]
	s_waitcnt lgkmcnt(0)
	v_pk_mul_f32 v[14:15], v[2:3], v[14:15]
	ds_write2st64_b32 v12, v14, v15 offset1:2
	v_add_u32_e32 v12, 0x400, v12
	s_andn2_b64 exec, exec, s[14:15]
	s_cbranch_execnz .LBB205_123
.LBB205_124:
	s_or_b64 exec, exec, s[10:11]
	v_add_u32_e32 v10, 1, v10
	v_and_b32_e32 v11, 0x3fffffe, v10
	v_cmp_ne_u32_e32 vcc, v10, v11
	v_lshl_add_u32 v3, v11, 7, v0
	s_orn2_b64 s[10:11], vcc, exec
.LBB205_125:
	s_or_b64 exec, exec, s[4:5]
	s_and_b64 exec, exec, s[10:11]
	s_cbranch_execz .LBB205_128
; %bb.126:
	v_mov_b32_e32 v10, 0x1f0
	v_lshl_add_u32 v10, v3, 2, v10
	s_mov_b64 s[4:5], 0
.LBB205_127:                            ; =>This Inner Loop Header: Depth=1
	ds_read_b32 v11, v10
	v_add_u32_e32 v3, 0x80, v3
	v_cmp_le_i32_e32 vcc, s7, v3
	s_or_b64 s[4:5], vcc, s[4:5]
	s_waitcnt lgkmcnt(0)
	v_mul_f32_e32 v11, v2, v11
	ds_write_b32 v10, v11
	v_add_u32_e32 v10, 0x200, v10
	s_andn2_b64 exec, exec, s[4:5]
	s_cbranch_execnz .LBB205_127
.LBB205_128:
	s_or_b64 exec, exec, s[2:3]
	s_mul_i32 s2, s25, s28
	v_cmp_eq_u32_e32 vcc, 0, v0
	s_mul_i32 s4, s2, s9
	s_waitcnt lgkmcnt(0)
	s_barrier
	s_and_saveexec_b64 s[2:3], vcc
	s_cbranch_execz .LBB205_130
; %bb.129:
	s_ashr_i32 s5, s4, 31
	s_lshl_b64 s[10:11], s[4:5], 2
	s_add_u32 s5, s22, s10
	s_mul_i32 s6, s25, s6
	s_addc_u32 s9, s23, s11
	s_ashr_i32 s7, s6, 31
	s_lshl_b64 s[6:7], s[6:7], 2
	s_add_u32 s5, s5, s6
	s_addc_u32 s17, s9, s7
	s_ashr_i32 s9, s8, 31
	s_lshl_b64 s[14:15], s[8:9], 2
	s_add_u32 s16, s5, s14
	s_addc_u32 s17, s17, s15
	s_add_u32 s5, s20, s10
	s_addc_u32 s9, s21, s11
	;; [unrolled: 2-line block ×3, first 2 shown]
	s_add_u32 s6, s5, s14
	v_mov_b32_e32 v2, 0
	s_addc_u32 s7, s7, s15
	global_store_dword v2, v5, s[16:17]
	global_store_dword v2, v8, s[6:7]
.LBB205_130:
	s_or_b64 exec, exec, s[2:3]
	v_mov_b32_e32 v13, 0
	s_mov_b32 s10, 0
	v_lshrrev_b32_e32 v42, 1, v4
	v_and_b32_e32 v15, 1, v0
	v_mov_b32_e32 v12, v13
	v_mov_b32_e32 v17, v13
	;; [unrolled: 1-line block ×3, first 2 shown]
	s_and_saveexec_b64 s[6:7], s[0:1]
	s_cbranch_execz .LBB205_240
; %bb.131:
	s_ashr_i32 s0, s12, 31
	s_add_u32 s2, s36, s12
	v_and_b32_e32 v2, 4, v27
	s_addc_u32 s3, s37, s0
	v_or_b32_e32 v3, 0x60, v42
	s_movk_i32 s0, 0x78
	s_load_dword s12, s[18:19], 0x0
	v_cmp_gt_u32_e32 vcc, s0, v3
	v_lshl_or_b32 v14, v3, 3, v2
	v_lshl_add_u32 v3, v28, 3, s29
	s_add_i32 s45, s45, -1
	v_lshl_or_b32 v8, v42, 3, v2
	v_add3_u32 v43, v3, v2, 3
	v_lshlrev_b32_e32 v2, 4, v15
	s_lshl_b64 s[0:1], s[34:35], 2
	v_lshl_or_b32 v2, v28, 5, v2
	s_add_u32 s0, s30, s0
	v_add_u32_e32 v44, 0x1f0, v2
	v_lshlrev_b64 v[2:3], 2, v[6:7]
	s_addc_u32 s1, s31, s1
	v_mov_b32_e32 v11, 0
	v_mov_b32_e32 v4, s1
	v_add_co_u32_e64 v18, s[0:1], s0, v2
	s_mov_b32 s5, s13
	s_waitcnt lgkmcnt(0)
	s_mov_b32 s13, s12
	v_addc_co_u32_e64 v19, s[0:1], v4, v3, s[0:1]
	s_mov_b64 s[14:15], 0
	v_pk_mov_b32 v[20:21], s[2:3], s[2:3] op_sel:[0,1]
	s_movk_i32 s9, 0x80
	s_movk_i32 s30, 0x7f
	s_brev_b32 s11, 1
	s_mov_b32 s17, 0x7f800001
	s_mov_b32 s31, 0xffffff
	v_bfrev_b32_e32 v7, 60
	v_mov_b32_e32 v45, 7
	v_mov_b32_e32 v46, 24
	;; [unrolled: 1-line block ×6, first 2 shown]
	s_branch .LBB205_134
.LBB205_132:                            ;   in Loop: Header=BB205_134 Depth=1
	s_or_b64 exec, exec, s[2:3]
	v_mul_f32_e32 v3, v3, v23
	v_fmac_f32_e32 v3, v2, v22
	v_fmac_f32_e32 v3, v4, v24
	v_fmac_f32_e32 v3, v5, v25
	v_add_f32_e32 v13, v13, v3
.LBB205_133:                            ;   in Loop: Header=BB205_134 Depth=1
	s_or_b64 exec, exec, s[18:19]
	v_add_u32_e32 v6, 2, v6
	v_cmp_le_i32_e64 s[0:1], s44, v6
	s_or_b64 s[14:15], s[0:1], s[14:15]
	v_add_co_u32_e64 v18, s[0:1], 8, v18
	v_add_u32_e32 v43, 16, v43
	v_add_u32_e32 v44, 64, v44
	v_addc_co_u32_e64 v19, s[0:1], 0, v19, s[0:1]
	s_andn2_b64 exec, exec, s[14:15]
	s_cbranch_execz .LBB205_239
.LBB205_134:                            ; =>This Inner Loop Header: Depth=1
	global_load_dword v2, v[18:19], off
	v_pk_mov_b32 v[30:31], 0, 0
	v_pk_mov_b32 v[26:27], v[30:31], v[30:31] op_sel:[0,1]
	s_waitcnt vmcnt(0)
	v_mad_i64_i32 v[22:23], s[0:1], v2, s5, v[20:21]
	v_add_co_u32_e64 v28, s[0:1], v22, v8
	v_addc_co_u32_e64 v29, s[0:1], 0, v23, s[0:1]
	global_load_dword v24, v[28:29], off
	ds_read_b128 v[2:5], v44
	s_waitcnt vmcnt(0)
	v_cmp_ne_u16_sdwa s[0:1], v24, v11 src0_sel:BYTE_0 src1_sel:DWORD
	s_and_saveexec_b64 s[2:3], s[0:1]
	s_cbranch_execz .LBB205_140
; %bb.135:                              ;   in Loop: Header=BB205_134 Depth=1
	v_bfrev_b32_e32 v26, 1
	v_cmp_ne_u16_sdwa s[0:1], v24, s9 src0_sel:BYTE_0 src1_sel:DWORD
	v_mov_b32_e32 v27, 0
	s_and_saveexec_b64 s[18:19], s[0:1]
	s_cbranch_execz .LBB205_139
; %bb.136:                              ;   in Loop: Header=BB205_134 Depth=1
	v_and_b32_e32 v10, 0x7f, v24
	v_mov_b32_e32 v26, 0x7f800001
	v_cmp_ne_u32_e64 s[0:1], s30, v10
	v_mov_b32_e32 v27, 0
	s_and_saveexec_b64 s[20:21], s[0:1]
	s_cbranch_execz .LBB205_138
; %bb.137:                              ;   in Loop: Header=BB205_134 Depth=1
	v_and_b32_e32 v25, 7, v24
	v_ffbh_u32_e32 v26, v25
	v_min_u32_e32 v33, 32, v26
	v_subrev_u32_e32 v26, 28, v33
	v_lshlrev_b64 v[26:27], v26, v[24:25]
	v_lshrrev_b32_e32 v32, 3, v10
	v_sub_u32_e32 v27, 29, v33
	v_and_b32_e32 v26, 7, v26
	v_cmp_gt_u32_e64 s[0:1], 8, v10
	v_cndmask_b32_e64 v10, v32, v27, s[0:1]
	v_cndmask_b32_e64 v25, v25, v26, s[0:1]
	v_lshlrev_b32_e32 v25, 20, v25
	v_and_b32_sdwa v26, sext(v24), s11 dst_sel:DWORD dst_unused:UNUSED_PAD src0_sel:BYTE_0 src1_sel:DWORD
	v_lshl_add_u32 v10, v10, 23, v7
	v_or3_b32 v10, v26, v10, v25
	v_pk_mov_b32 v[26:27], v[10:11], v[10:11] op_sel:[0,1]
.LBB205_138:                            ;   in Loop: Header=BB205_134 Depth=1
	s_or_b64 exec, exec, s[20:21]
.LBB205_139:                            ;   in Loop: Header=BB205_134 Depth=1
	s_or_b64 exec, exec, s[18:19]
.LBB205_140:                            ;   in Loop: Header=BB205_134 Depth=1
	s_or_b64 exec, exec, s[2:3]
	v_cmp_ne_u16_sdwa s[0:1], v24, v11 src0_sel:BYTE_1 src1_sel:DWORD
	s_and_saveexec_b64 s[2:3], s[0:1]
	s_cbranch_execz .LBB205_146
; %bb.141:                              ;   in Loop: Header=BB205_134 Depth=1
	v_cmp_ne_u16_sdwa s[0:1], v24, s9 src0_sel:BYTE_1 src1_sel:DWORD
	v_pk_mov_b32 v[30:31], s[10:11], s[10:11] op_sel:[0,1]
	s_and_saveexec_b64 s[18:19], s[0:1]
	s_cbranch_execz .LBB205_145
; %bb.142:                              ;   in Loop: Header=BB205_134 Depth=1
	v_and_b32_sdwa v25, v24, s30 dst_sel:DWORD dst_unused:UNUSED_PAD src0_sel:BYTE_1 src1_sel:DWORD
	s_mov_b32 s16, s10
	v_cmp_ne_u32_e64 s[0:1], s30, v25
	v_pk_mov_b32 v[30:31], s[16:17], s[16:17] op_sel:[0,1]
	s_and_saveexec_b64 s[20:21], s[0:1]
	s_cbranch_execz .LBB205_144
; %bb.143:                              ;   in Loop: Header=BB205_134 Depth=1
	v_and_b32_sdwa v10, v24, v45 dst_sel:DWORD dst_unused:UNUSED_PAD src0_sel:BYTE_1 src1_sel:DWORD
	v_ffbh_u32_e32 v30, v10
	v_min_u32_e32 v33, 32, v30
	v_subrev_u32_e32 v30, 28, v33
	v_lshlrev_b64 v[30:31], v30, v[10:11]
	v_lshrrev_b32_e32 v32, 3, v25
	v_sub_u32_e32 v31, 29, v33
	v_cmp_gt_u32_e64 s[0:1], 8, v25
	v_and_b32_e32 v30, 7, v30
	v_cndmask_b32_e64 v25, v32, v31, s[0:1]
	v_cndmask_b32_e64 v10, v10, v30, s[0:1]
	v_lshlrev_b32_e32 v30, 16, v24
	v_lshl_add_u32 v25, v25, 23, v7
	v_and_or_b32 v25, v30, s11, v25
	v_lshlrev_b32_e32 v10, 20, v10
	v_or_b32_e32 v31, v25, v10
	v_mov_b32_e32 v30, v11
.LBB205_144:                            ;   in Loop: Header=BB205_134 Depth=1
	s_or_b64 exec, exec, s[20:21]
.LBB205_145:                            ;   in Loop: Header=BB205_134 Depth=1
	s_or_b64 exec, exec, s[18:19]
.LBB205_146:                            ;   in Loop: Header=BB205_134 Depth=1
	s_or_b64 exec, exec, s[2:3]
	v_lshrrev_b32_e32 v10, 16, v24
	v_pk_mov_b32 v[34:35], 0, 0
	v_cmp_ne_u16_sdwa s[0:1], v10, v11 src0_sel:BYTE_0 src1_sel:DWORD
	v_pk_mov_b32 v[32:33], v[34:35], v[34:35] op_sel:[0,1]
	s_and_saveexec_b64 s[2:3], s[0:1]
	s_cbranch_execz .LBB205_152
; %bb.147:                              ;   in Loop: Header=BB205_134 Depth=1
	v_bfrev_b32_e32 v32, 1
	v_cmp_ne_u16_sdwa s[0:1], v10, s9 src0_sel:BYTE_0 src1_sel:DWORD
	v_mov_b32_e32 v33, 0
	s_and_saveexec_b64 s[18:19], s[0:1]
	s_cbranch_execz .LBB205_151
; %bb.148:                              ;   in Loop: Header=BB205_134 Depth=1
	v_bfe_u32 v25, v24, 16, 7
	v_mov_b32_e32 v32, 0x7f800001
	v_cmp_ne_u32_e64 s[0:1], s30, v25
	v_mov_b32_e32 v33, 0
	s_and_saveexec_b64 s[20:21], s[0:1]
	s_cbranch_execz .LBB205_150
; %bb.149:                              ;   in Loop: Header=BB205_134 Depth=1
	v_and_b32_e32 v36, 7, v10
	v_ffbh_u32_e32 v32, v36
	v_min_u32_e32 v38, 32, v32
	v_subrev_u32_e32 v32, 28, v38
	v_lshlrev_b64 v[32:33], v32, v[10:11]
	v_lshrrev_b32_e32 v37, 3, v25
	v_sub_u32_e32 v33, 29, v38
	v_and_b32_e32 v32, 7, v32
	v_cmp_gt_u32_e64 s[0:1], 8, v25
	v_cndmask_b32_e64 v25, v37, v33, s[0:1]
	v_cndmask_b32_e64 v32, v36, v32, s[0:1]
	v_lshlrev_b32_e32 v32, 20, v32
	v_and_b32_sdwa v10, sext(v10), s11 dst_sel:DWORD dst_unused:UNUSED_PAD src0_sel:BYTE_0 src1_sel:DWORD
	v_lshl_add_u32 v25, v25, 23, v7
	v_or3_b32 v10, v10, v25, v32
	v_pk_mov_b32 v[32:33], v[10:11], v[10:11] op_sel:[0,1]
.LBB205_150:                            ;   in Loop: Header=BB205_134 Depth=1
	s_or_b64 exec, exec, s[20:21]
.LBB205_151:                            ;   in Loop: Header=BB205_134 Depth=1
	s_or_b64 exec, exec, s[18:19]
.LBB205_152:                            ;   in Loop: Header=BB205_134 Depth=1
	s_or_b64 exec, exec, s[2:3]
	v_cmp_lt_u32_e64 s[0:1], s31, v24
	s_and_saveexec_b64 s[2:3], s[0:1]
	s_cbranch_execz .LBB205_158
; %bb.153:                              ;   in Loop: Header=BB205_134 Depth=1
	v_cmp_ne_u32_sdwa s[0:1], v24, s9 src0_sel:BYTE_3 src1_sel:DWORD
	v_pk_mov_b32 v[34:35], s[10:11], s[10:11] op_sel:[0,1]
	s_and_saveexec_b64 s[18:19], s[0:1]
	s_cbranch_execz .LBB205_157
; %bb.154:                              ;   in Loop: Header=BB205_134 Depth=1
	v_bfe_u32 v25, v24, 24, 7
	s_mov_b32 s16, s10
	v_cmp_ne_u32_e64 s[0:1], s30, v25
	v_pk_mov_b32 v[34:35], s[16:17], s[16:17] op_sel:[0,1]
	s_and_saveexec_b64 s[20:21], s[0:1]
	s_cbranch_execz .LBB205_156
; %bb.155:                              ;   in Loop: Header=BB205_134 Depth=1
	v_and_b32_sdwa v10, v24, v45 dst_sel:DWORD dst_unused:UNUSED_PAD src0_sel:BYTE_3 src1_sel:DWORD
	v_ffbh_u32_e32 v34, v10
	v_min_u32_e32 v37, 32, v34
	v_subrev_u32_e32 v34, 28, v37
	v_lshlrev_b64 v[34:35], v34, v[10:11]
	v_lshrrev_b32_e32 v36, 3, v25
	v_sub_u32_e32 v35, 29, v37
	v_cmp_gt_u32_e64 s[0:1], 8, v25
	v_and_b32_e32 v34, 7, v34
	v_cndmask_b32_e64 v25, v36, v35, s[0:1]
	v_cndmask_b32_e64 v10, v10, v34, s[0:1]
	v_lshlrev_b32_sdwa v24, v46, v24 dst_sel:DWORD dst_unused:UNUSED_PAD src0_sel:DWORD src1_sel:BYTE_3
	v_lshl_add_u32 v25, v25, 23, v7
	v_and_or_b32 v24, v24, s11, v25
	v_lshlrev_b32_e32 v10, 20, v10
	v_or_b32_e32 v35, v24, v10
	v_mov_b32_e32 v34, v11
.LBB205_156:                            ;   in Loop: Header=BB205_134 Depth=1
	s_or_b64 exec, exec, s[20:21]
.LBB205_157:                            ;   in Loop: Header=BB205_134 Depth=1
	s_or_b64 exec, exec, s[18:19]
.LBB205_158:                            ;   in Loop: Header=BB205_134 Depth=1
	s_or_b64 exec, exec, s[2:3]
	v_or_b32_e32 v25, v31, v27
	v_or_b32_e32 v24, v30, v26
	;; [unrolled: 1-line block ×4, first 2 shown]
	v_add_u32_e32 v47, -3, v43
	v_cmp_eq_u32_e64 s[0:1], s45, v6
	v_pk_mul_f32 v[24:25], s[12:13], v[24:25]
	v_pk_mul_f32 v[26:27], s[12:13], v[26:27]
	s_and_saveexec_b64 s[18:19], s[0:1]
; %bb.159:                              ;   in Loop: Header=BB205_134 Depth=1
	v_cmp_gt_i32_e64 s[2:3], s33, v47
	v_add_u32_e32 v10, -2, v43
	v_cndmask_b32_e64 v24, 0, v24, s[2:3]
	v_cmp_gt_i32_e64 s[2:3], s33, v10
	v_add_u32_e32 v10, -1, v43
	v_cndmask_b32_e64 v25, 0, v25, s[2:3]
	v_cmp_gt_i32_e64 s[2:3], s33, v10
	v_cndmask_b32_e64 v26, 0, v26, s[2:3]
	v_cmp_gt_i32_e64 s[2:3], s33, v43
	v_cndmask_b32_e64 v27, 0, v27, s[2:3]
; %bb.160:                              ;   in Loop: Header=BB205_134 Depth=1
	s_or_b64 exec, exec, s[18:19]
	global_load_dword v30, v[28:29], off offset:256
	v_pk_mov_b32 v[34:35], 0, 0
	v_pk_mov_b32 v[32:33], v[34:35], v[34:35] op_sel:[0,1]
	s_waitcnt vmcnt(0)
	v_cmp_ne_u16_sdwa s[2:3], v30, v11 src0_sel:BYTE_0 src1_sel:DWORD
	s_and_saveexec_b64 s[18:19], s[2:3]
	s_cbranch_execz .LBB205_166
; %bb.161:                              ;   in Loop: Header=BB205_134 Depth=1
	v_bfrev_b32_e32 v32, 1
	v_cmp_ne_u16_sdwa s[2:3], v30, s9 src0_sel:BYTE_0 src1_sel:DWORD
	v_mov_b32_e32 v33, 0
	s_and_saveexec_b64 s[20:21], s[2:3]
	s_cbranch_execz .LBB205_165
; %bb.162:                              ;   in Loop: Header=BB205_134 Depth=1
	v_and_b32_e32 v10, 0x7f, v30
	v_mov_b32_e32 v32, 0x7f800001
	v_cmp_ne_u32_e64 s[2:3], s30, v10
	v_mov_b32_e32 v33, 0
	s_and_saveexec_b64 s[22:23], s[2:3]
	s_cbranch_execz .LBB205_164
; %bb.163:                              ;   in Loop: Header=BB205_134 Depth=1
	v_and_b32_e32 v31, 7, v30
	v_ffbh_u32_e32 v32, v31
	v_min_u32_e32 v37, 32, v32
	v_subrev_u32_e32 v32, 28, v37
	v_lshlrev_b64 v[32:33], v32, v[30:31]
	v_lshrrev_b32_e32 v36, 3, v10
	v_sub_u32_e32 v33, 29, v37
	v_and_b32_e32 v32, 7, v32
	v_cmp_gt_u32_e64 s[2:3], 8, v10
	v_cndmask_b32_e64 v10, v36, v33, s[2:3]
	v_cndmask_b32_e64 v31, v31, v32, s[2:3]
	v_lshlrev_b32_e32 v31, 20, v31
	v_and_b32_sdwa v32, sext(v30), s11 dst_sel:DWORD dst_unused:UNUSED_PAD src0_sel:BYTE_0 src1_sel:DWORD
	v_lshl_add_u32 v10, v10, 23, v7
	v_or3_b32 v10, v32, v10, v31
	v_pk_mov_b32 v[32:33], v[10:11], v[10:11] op_sel:[0,1]
.LBB205_164:                            ;   in Loop: Header=BB205_134 Depth=1
	s_or_b64 exec, exec, s[22:23]
.LBB205_165:                            ;   in Loop: Header=BB205_134 Depth=1
	s_or_b64 exec, exec, s[20:21]
.LBB205_166:                            ;   in Loop: Header=BB205_134 Depth=1
	s_or_b64 exec, exec, s[18:19]
	v_cmp_ne_u16_sdwa s[2:3], v30, v11 src0_sel:BYTE_1 src1_sel:DWORD
	s_and_saveexec_b64 s[18:19], s[2:3]
	s_cbranch_execz .LBB205_172
; %bb.167:                              ;   in Loop: Header=BB205_134 Depth=1
	v_cmp_ne_u16_sdwa s[2:3], v30, s9 src0_sel:BYTE_1 src1_sel:DWORD
	v_pk_mov_b32 v[34:35], s[10:11], s[10:11] op_sel:[0,1]
	s_and_saveexec_b64 s[20:21], s[2:3]
	s_cbranch_execz .LBB205_171
; %bb.168:                              ;   in Loop: Header=BB205_134 Depth=1
	v_and_b32_sdwa v31, v30, s30 dst_sel:DWORD dst_unused:UNUSED_PAD src0_sel:BYTE_1 src1_sel:DWORD
	s_mov_b32 s16, s10
	v_cmp_ne_u32_e64 s[2:3], s30, v31
	v_pk_mov_b32 v[34:35], s[16:17], s[16:17] op_sel:[0,1]
	s_and_saveexec_b64 s[22:23], s[2:3]
	s_cbranch_execz .LBB205_170
; %bb.169:                              ;   in Loop: Header=BB205_134 Depth=1
	v_and_b32_sdwa v10, v30, v45 dst_sel:DWORD dst_unused:UNUSED_PAD src0_sel:BYTE_1 src1_sel:DWORD
	v_ffbh_u32_e32 v34, v10
	v_min_u32_e32 v37, 32, v34
	v_subrev_u32_e32 v34, 28, v37
	v_lshlrev_b64 v[34:35], v34, v[10:11]
	v_lshrrev_b32_e32 v36, 3, v31
	v_sub_u32_e32 v35, 29, v37
	v_cmp_gt_u32_e64 s[2:3], 8, v31
	v_and_b32_e32 v34, 7, v34
	v_cndmask_b32_e64 v31, v36, v35, s[2:3]
	v_cndmask_b32_e64 v10, v10, v34, s[2:3]
	v_lshlrev_b32_e32 v34, 16, v30
	v_lshl_add_u32 v31, v31, 23, v7
	v_and_or_b32 v31, v34, s11, v31
	v_lshlrev_b32_e32 v10, 20, v10
	v_or_b32_e32 v35, v31, v10
	v_mov_b32_e32 v34, v11
.LBB205_170:                            ;   in Loop: Header=BB205_134 Depth=1
	s_or_b64 exec, exec, s[22:23]
.LBB205_171:                            ;   in Loop: Header=BB205_134 Depth=1
	s_or_b64 exec, exec, s[20:21]
.LBB205_172:                            ;   in Loop: Header=BB205_134 Depth=1
	s_or_b64 exec, exec, s[18:19]
	v_lshrrev_b32_e32 v10, 16, v30
	v_pk_mov_b32 v[38:39], 0, 0
	v_cmp_ne_u16_sdwa s[2:3], v10, v11 src0_sel:BYTE_0 src1_sel:DWORD
	v_pk_mov_b32 v[36:37], v[38:39], v[38:39] op_sel:[0,1]
	s_and_saveexec_b64 s[18:19], s[2:3]
	s_cbranch_execz .LBB205_178
; %bb.173:                              ;   in Loop: Header=BB205_134 Depth=1
	v_bfrev_b32_e32 v36, 1
	v_cmp_ne_u16_sdwa s[2:3], v10, s9 src0_sel:BYTE_0 src1_sel:DWORD
	v_mov_b32_e32 v37, 0
	s_and_saveexec_b64 s[20:21], s[2:3]
	s_cbranch_execz .LBB205_177
; %bb.174:                              ;   in Loop: Header=BB205_134 Depth=1
	v_bfe_u32 v31, v30, 16, 7
	v_mov_b32_e32 v36, 0x7f800001
	v_cmp_ne_u32_e64 s[2:3], s30, v31
	v_mov_b32_e32 v37, 0
	s_and_saveexec_b64 s[22:23], s[2:3]
	s_cbranch_execz .LBB205_176
; %bb.175:                              ;   in Loop: Header=BB205_134 Depth=1
	v_and_b32_e32 v40, 7, v10
	v_ffbh_u32_e32 v36, v40
	v_min_u32_e32 v48, 32, v36
	v_subrev_u32_e32 v36, 28, v48
	v_lshlrev_b64 v[36:37], v36, v[10:11]
	v_lshrrev_b32_e32 v41, 3, v31
	v_sub_u32_e32 v37, 29, v48
	v_and_b32_e32 v36, 7, v36
	v_cmp_gt_u32_e64 s[2:3], 8, v31
	v_cndmask_b32_e64 v31, v41, v37, s[2:3]
	v_cndmask_b32_e64 v36, v40, v36, s[2:3]
	v_lshlrev_b32_e32 v36, 20, v36
	v_and_b32_sdwa v10, sext(v10), s11 dst_sel:DWORD dst_unused:UNUSED_PAD src0_sel:BYTE_0 src1_sel:DWORD
	v_lshl_add_u32 v31, v31, 23, v7
	v_or3_b32 v10, v10, v31, v36
	v_pk_mov_b32 v[36:37], v[10:11], v[10:11] op_sel:[0,1]
.LBB205_176:                            ;   in Loop: Header=BB205_134 Depth=1
	s_or_b64 exec, exec, s[22:23]
.LBB205_177:                            ;   in Loop: Header=BB205_134 Depth=1
	s_or_b64 exec, exec, s[20:21]
.LBB205_178:                            ;   in Loop: Header=BB205_134 Depth=1
	s_or_b64 exec, exec, s[18:19]
	v_cmp_lt_u32_e64 s[2:3], s31, v30
	s_and_saveexec_b64 s[18:19], s[2:3]
	s_cbranch_execz .LBB205_184
; %bb.179:                              ;   in Loop: Header=BB205_134 Depth=1
	v_cmp_ne_u32_sdwa s[2:3], v30, s9 src0_sel:BYTE_3 src1_sel:DWORD
	v_pk_mov_b32 v[38:39], s[10:11], s[10:11] op_sel:[0,1]
	s_and_saveexec_b64 s[20:21], s[2:3]
	s_cbranch_execz .LBB205_183
; %bb.180:                              ;   in Loop: Header=BB205_134 Depth=1
	v_bfe_u32 v31, v30, 24, 7
	s_mov_b32 s16, s10
	v_cmp_ne_u32_e64 s[2:3], s30, v31
	v_pk_mov_b32 v[38:39], s[16:17], s[16:17] op_sel:[0,1]
	s_and_saveexec_b64 s[22:23], s[2:3]
	s_cbranch_execz .LBB205_182
; %bb.181:                              ;   in Loop: Header=BB205_134 Depth=1
	v_and_b32_sdwa v10, v30, v45 dst_sel:DWORD dst_unused:UNUSED_PAD src0_sel:BYTE_3 src1_sel:DWORD
	v_ffbh_u32_e32 v38, v10
	v_min_u32_e32 v41, 32, v38
	v_subrev_u32_e32 v38, 28, v41
	v_lshlrev_b64 v[38:39], v38, v[10:11]
	v_lshrrev_b32_e32 v40, 3, v31
	v_sub_u32_e32 v39, 29, v41
	v_cmp_gt_u32_e64 s[2:3], 8, v31
	v_and_b32_e32 v38, 7, v38
	v_cndmask_b32_e64 v31, v40, v39, s[2:3]
	v_cndmask_b32_e64 v10, v10, v38, s[2:3]
	v_lshlrev_b32_sdwa v30, v46, v30 dst_sel:DWORD dst_unused:UNUSED_PAD src0_sel:DWORD src1_sel:BYTE_3
	v_lshl_add_u32 v31, v31, 23, v7
	v_and_or_b32 v30, v30, s11, v31
	v_lshlrev_b32_e32 v10, 20, v10
	v_or_b32_e32 v39, v30, v10
	v_mov_b32_e32 v38, v11
.LBB205_182:                            ;   in Loop: Header=BB205_134 Depth=1
	s_or_b64 exec, exec, s[22:23]
.LBB205_183:                            ;   in Loop: Header=BB205_134 Depth=1
	s_or_b64 exec, exec, s[20:21]
.LBB205_184:                            ;   in Loop: Header=BB205_134 Depth=1
	s_or_b64 exec, exec, s[18:19]
	v_or_b32_e32 v31, v35, v33
	v_or_b32_e32 v30, v34, v32
	;; [unrolled: 1-line block ×4, first 2 shown]
	v_pk_mul_f32 v[30:31], s[12:13], v[30:31]
	v_pk_mul_f32 v[32:33], s[12:13], v[32:33]
	s_and_saveexec_b64 s[18:19], s[0:1]
; %bb.185:                              ;   in Loop: Header=BB205_134 Depth=1
	v_cmp_gt_i32_e64 s[2:3], s33, v47
	v_add_u32_e32 v10, -2, v43
	v_cndmask_b32_e64 v30, 0, v30, s[2:3]
	v_cmp_gt_i32_e64 s[2:3], s33, v10
	v_add_u32_e32 v10, -1, v43
	v_cndmask_b32_e64 v31, 0, v31, s[2:3]
	v_cmp_gt_i32_e64 s[2:3], s33, v10
	v_cndmask_b32_e64 v32, 0, v32, s[2:3]
	v_cmp_gt_i32_e64 s[2:3], s33, v43
	v_cndmask_b32_e64 v33, 0, v33, s[2:3]
; %bb.186:                              ;   in Loop: Header=BB205_134 Depth=1
	s_or_b64 exec, exec, s[18:19]
	global_load_dword v28, v[28:29], off offset:512
	v_pk_mov_b32 v[36:37], 0, 0
	v_pk_mov_b32 v[34:35], v[36:37], v[36:37] op_sel:[0,1]
	s_waitcnt vmcnt(0)
	v_cmp_ne_u16_sdwa s[2:3], v28, v11 src0_sel:BYTE_0 src1_sel:DWORD
	s_and_saveexec_b64 s[18:19], s[2:3]
	s_cbranch_execz .LBB205_192
; %bb.187:                              ;   in Loop: Header=BB205_134 Depth=1
	v_bfrev_b32_e32 v34, 1
	v_cmp_ne_u16_sdwa s[2:3], v28, s9 src0_sel:BYTE_0 src1_sel:DWORD
	v_mov_b32_e32 v35, 0
	s_and_saveexec_b64 s[20:21], s[2:3]
	s_cbranch_execz .LBB205_191
; %bb.188:                              ;   in Loop: Header=BB205_134 Depth=1
	v_and_b32_e32 v10, 0x7f, v28
	v_mov_b32_e32 v34, 0x7f800001
	v_cmp_ne_u32_e64 s[2:3], s30, v10
	v_mov_b32_e32 v35, 0
	s_and_saveexec_b64 s[22:23], s[2:3]
	s_cbranch_execz .LBB205_190
; %bb.189:                              ;   in Loop: Header=BB205_134 Depth=1
	v_and_b32_e32 v29, 7, v28
	v_ffbh_u32_e32 v34, v29
	v_min_u32_e32 v39, 32, v34
	v_subrev_u32_e32 v34, 28, v39
	v_lshlrev_b64 v[34:35], v34, v[28:29]
	v_lshrrev_b32_e32 v38, 3, v10
	v_sub_u32_e32 v35, 29, v39
	v_and_b32_e32 v34, 7, v34
	v_cmp_gt_u32_e64 s[2:3], 8, v10
	v_cndmask_b32_e64 v10, v38, v35, s[2:3]
	v_cndmask_b32_e64 v29, v29, v34, s[2:3]
	v_lshlrev_b32_e32 v29, 20, v29
	v_and_b32_sdwa v34, sext(v28), s11 dst_sel:DWORD dst_unused:UNUSED_PAD src0_sel:BYTE_0 src1_sel:DWORD
	v_lshl_add_u32 v10, v10, 23, v7
	v_or3_b32 v10, v34, v10, v29
	v_pk_mov_b32 v[34:35], v[10:11], v[10:11] op_sel:[0,1]
.LBB205_190:                            ;   in Loop: Header=BB205_134 Depth=1
	s_or_b64 exec, exec, s[22:23]
.LBB205_191:                            ;   in Loop: Header=BB205_134 Depth=1
	s_or_b64 exec, exec, s[20:21]
.LBB205_192:                            ;   in Loop: Header=BB205_134 Depth=1
	s_or_b64 exec, exec, s[18:19]
	v_cmp_ne_u16_sdwa s[2:3], v28, v11 src0_sel:BYTE_1 src1_sel:DWORD
	s_and_saveexec_b64 s[18:19], s[2:3]
	s_cbranch_execz .LBB205_198
; %bb.193:                              ;   in Loop: Header=BB205_134 Depth=1
	v_cmp_ne_u16_sdwa s[2:3], v28, s9 src0_sel:BYTE_1 src1_sel:DWORD
	v_pk_mov_b32 v[36:37], s[10:11], s[10:11] op_sel:[0,1]
	s_and_saveexec_b64 s[20:21], s[2:3]
	s_cbranch_execz .LBB205_197
; %bb.194:                              ;   in Loop: Header=BB205_134 Depth=1
	v_and_b32_sdwa v29, v28, s30 dst_sel:DWORD dst_unused:UNUSED_PAD src0_sel:BYTE_1 src1_sel:DWORD
	s_mov_b32 s16, s10
	v_cmp_ne_u32_e64 s[2:3], s30, v29
	v_pk_mov_b32 v[36:37], s[16:17], s[16:17] op_sel:[0,1]
	s_and_saveexec_b64 s[22:23], s[2:3]
	s_cbranch_execz .LBB205_196
; %bb.195:                              ;   in Loop: Header=BB205_134 Depth=1
	v_and_b32_sdwa v10, v28, v45 dst_sel:DWORD dst_unused:UNUSED_PAD src0_sel:BYTE_1 src1_sel:DWORD
	v_ffbh_u32_e32 v36, v10
	v_min_u32_e32 v39, 32, v36
	v_subrev_u32_e32 v36, 28, v39
	v_lshlrev_b64 v[36:37], v36, v[10:11]
	v_lshrrev_b32_e32 v38, 3, v29
	v_sub_u32_e32 v37, 29, v39
	v_cmp_gt_u32_e64 s[2:3], 8, v29
	v_and_b32_e32 v36, 7, v36
	v_cndmask_b32_e64 v29, v38, v37, s[2:3]
	v_cndmask_b32_e64 v10, v10, v36, s[2:3]
	v_lshlrev_b32_e32 v36, 16, v28
	v_lshl_add_u32 v29, v29, 23, v7
	v_and_or_b32 v29, v36, s11, v29
	v_lshlrev_b32_e32 v10, 20, v10
	v_or_b32_e32 v37, v29, v10
	v_mov_b32_e32 v36, v11
.LBB205_196:                            ;   in Loop: Header=BB205_134 Depth=1
	s_or_b64 exec, exec, s[22:23]
.LBB205_197:                            ;   in Loop: Header=BB205_134 Depth=1
	s_or_b64 exec, exec, s[20:21]
.LBB205_198:                            ;   in Loop: Header=BB205_134 Depth=1
	s_or_b64 exec, exec, s[18:19]
	v_lshrrev_b32_e32 v10, 16, v28
	v_pk_mov_b32 v[40:41], 0, 0
	v_cmp_ne_u16_sdwa s[2:3], v10, v11 src0_sel:BYTE_0 src1_sel:DWORD
	v_pk_mov_b32 v[38:39], v[40:41], v[40:41] op_sel:[0,1]
	s_and_saveexec_b64 s[18:19], s[2:3]
	s_cbranch_execz .LBB205_204
; %bb.199:                              ;   in Loop: Header=BB205_134 Depth=1
	v_bfrev_b32_e32 v38, 1
	v_cmp_ne_u16_sdwa s[2:3], v10, s9 src0_sel:BYTE_0 src1_sel:DWORD
	v_mov_b32_e32 v39, 0
	s_and_saveexec_b64 s[20:21], s[2:3]
	s_cbranch_execz .LBB205_203
; %bb.200:                              ;   in Loop: Header=BB205_134 Depth=1
	v_bfe_u32 v29, v28, 16, 7
	v_mov_b32_e32 v38, 0x7f800001
	v_cmp_ne_u32_e64 s[2:3], s30, v29
	v_mov_b32_e32 v39, 0
	s_and_saveexec_b64 s[22:23], s[2:3]
	s_cbranch_execz .LBB205_202
; %bb.201:                              ;   in Loop: Header=BB205_134 Depth=1
	v_and_b32_e32 v48, 7, v10
	v_ffbh_u32_e32 v38, v48
	v_min_u32_e32 v50, 32, v38
	v_subrev_u32_e32 v38, 28, v50
	v_lshlrev_b64 v[38:39], v38, v[10:11]
	v_lshrrev_b32_e32 v49, 3, v29
	v_sub_u32_e32 v39, 29, v50
	v_and_b32_e32 v38, 7, v38
	v_cmp_gt_u32_e64 s[2:3], 8, v29
	v_cndmask_b32_e64 v29, v49, v39, s[2:3]
	v_cndmask_b32_e64 v38, v48, v38, s[2:3]
	v_lshlrev_b32_e32 v38, 20, v38
	v_and_b32_sdwa v10, sext(v10), s11 dst_sel:DWORD dst_unused:UNUSED_PAD src0_sel:BYTE_0 src1_sel:DWORD
	v_lshl_add_u32 v29, v29, 23, v7
	v_or3_b32 v10, v10, v29, v38
	v_pk_mov_b32 v[38:39], v[10:11], v[10:11] op_sel:[0,1]
.LBB205_202:                            ;   in Loop: Header=BB205_134 Depth=1
	s_or_b64 exec, exec, s[22:23]
.LBB205_203:                            ;   in Loop: Header=BB205_134 Depth=1
	s_or_b64 exec, exec, s[20:21]
.LBB205_204:                            ;   in Loop: Header=BB205_134 Depth=1
	s_or_b64 exec, exec, s[18:19]
	v_cmp_lt_u32_e64 s[2:3], s31, v28
	s_and_saveexec_b64 s[18:19], s[2:3]
	s_cbranch_execz .LBB205_210
; %bb.205:                              ;   in Loop: Header=BB205_134 Depth=1
	v_cmp_ne_u32_sdwa s[2:3], v28, s9 src0_sel:BYTE_3 src1_sel:DWORD
	v_pk_mov_b32 v[40:41], s[10:11], s[10:11] op_sel:[0,1]
	s_and_saveexec_b64 s[20:21], s[2:3]
	s_cbranch_execz .LBB205_209
; %bb.206:                              ;   in Loop: Header=BB205_134 Depth=1
	v_bfe_u32 v29, v28, 24, 7
	s_mov_b32 s16, s10
	v_cmp_ne_u32_e64 s[2:3], s30, v29
	v_pk_mov_b32 v[40:41], s[16:17], s[16:17] op_sel:[0,1]
	s_and_saveexec_b64 s[22:23], s[2:3]
	s_cbranch_execz .LBB205_208
; %bb.207:                              ;   in Loop: Header=BB205_134 Depth=1
	v_and_b32_sdwa v10, v28, v45 dst_sel:DWORD dst_unused:UNUSED_PAD src0_sel:BYTE_3 src1_sel:DWORD
	v_ffbh_u32_e32 v40, v10
	v_min_u32_e32 v49, 32, v40
	v_subrev_u32_e32 v40, 28, v49
	v_lshlrev_b64 v[40:41], v40, v[10:11]
	v_lshrrev_b32_e32 v48, 3, v29
	v_sub_u32_e32 v41, 29, v49
	v_cmp_gt_u32_e64 s[2:3], 8, v29
	v_and_b32_e32 v40, 7, v40
	v_cndmask_b32_e64 v29, v48, v41, s[2:3]
	v_cndmask_b32_e64 v10, v10, v40, s[2:3]
	v_lshlrev_b32_sdwa v28, v46, v28 dst_sel:DWORD dst_unused:UNUSED_PAD src0_sel:DWORD src1_sel:BYTE_3
	v_lshl_add_u32 v29, v29, 23, v7
	v_and_or_b32 v28, v28, s11, v29
	v_lshlrev_b32_e32 v10, 20, v10
	v_or_b32_e32 v41, v28, v10
	v_mov_b32_e32 v40, v11
.LBB205_208:                            ;   in Loop: Header=BB205_134 Depth=1
	s_or_b64 exec, exec, s[22:23]
.LBB205_209:                            ;   in Loop: Header=BB205_134 Depth=1
	s_or_b64 exec, exec, s[20:21]
.LBB205_210:                            ;   in Loop: Header=BB205_134 Depth=1
	s_or_b64 exec, exec, s[18:19]
	v_or_b32_e32 v29, v37, v35
	v_or_b32_e32 v28, v36, v34
	;; [unrolled: 1-line block ×4, first 2 shown]
	v_pk_mul_f32 v[28:29], s[12:13], v[28:29]
	v_pk_mul_f32 v[34:35], s[12:13], v[34:35]
	s_and_saveexec_b64 s[18:19], s[0:1]
; %bb.211:                              ;   in Loop: Header=BB205_134 Depth=1
	v_cmp_gt_i32_e64 s[2:3], s33, v47
	v_add_u32_e32 v10, -2, v43
	v_cndmask_b32_e64 v28, 0, v28, s[2:3]
	v_cmp_gt_i32_e64 s[2:3], s33, v10
	v_add_u32_e32 v10, -1, v43
	v_cndmask_b32_e64 v29, 0, v29, s[2:3]
	v_cmp_gt_i32_e64 s[2:3], s33, v10
	v_cndmask_b32_e64 v34, 0, v34, s[2:3]
	v_cmp_gt_i32_e64 s[2:3], s33, v43
	v_cndmask_b32_e64 v35, 0, v35, s[2:3]
; %bb.212:                              ;   in Loop: Header=BB205_134 Depth=1
	s_or_b64 exec, exec, s[18:19]
	s_waitcnt lgkmcnt(0)
	v_mul_f32_e32 v10, v3, v25
	v_fmac_f32_e32 v10, v2, v24
	v_fmac_f32_e32 v10, v4, v26
	v_fmac_f32_e32 v10, v5, v27
	v_add_f32_e32 v16, v16, v10
	v_mul_f32_e32 v10, v3, v31
	v_fmac_f32_e32 v10, v2, v30
	v_fmac_f32_e32 v10, v4, v32
	v_fmac_f32_e32 v10, v5, v33
	v_add_f32_e32 v17, v17, v10
	v_mul_f32_e32 v10, v3, v29
	v_fmac_f32_e32 v10, v2, v28
	v_fmac_f32_e32 v10, v4, v34
	v_fmac_f32_e32 v10, v5, v35
	v_add_f32_e32 v12, v12, v10
	s_and_saveexec_b64 s[18:19], vcc
	s_cbranch_execz .LBB205_133
; %bb.213:                              ;   in Loop: Header=BB205_134 Depth=1
	v_add_co_u32_e64 v22, s[2:3], v22, v14
	v_addc_co_u32_e64 v23, s[2:3], 0, v23, s[2:3]
	global_load_dword v22, v[22:23], off
	v_pk_mov_b32 v[26:27], 0, 0
	v_pk_mov_b32 v[24:25], v[26:27], v[26:27] op_sel:[0,1]
	s_waitcnt vmcnt(0)
	v_cmp_ne_u16_sdwa s[2:3], v22, v11 src0_sel:BYTE_0 src1_sel:DWORD
	s_and_saveexec_b64 s[20:21], s[2:3]
	s_cbranch_execz .LBB205_219
; %bb.214:                              ;   in Loop: Header=BB205_134 Depth=1
	v_bfrev_b32_e32 v24, 1
	v_cmp_ne_u16_sdwa s[2:3], v22, s9 src0_sel:BYTE_0 src1_sel:DWORD
	v_mov_b32_e32 v25, 0
	s_and_saveexec_b64 s[22:23], s[2:3]
	s_cbranch_execz .LBB205_218
; %bb.215:                              ;   in Loop: Header=BB205_134 Depth=1
	v_and_b32_e32 v10, 0x7f, v22
	v_mov_b32_e32 v24, 0x7f800001
	v_cmp_ne_u32_e64 s[2:3], s30, v10
	v_mov_b32_e32 v25, 0
	s_and_saveexec_b64 s[28:29], s[2:3]
	s_cbranch_execz .LBB205_217
; %bb.216:                              ;   in Loop: Header=BB205_134 Depth=1
	v_and_b32_e32 v23, 7, v22
	v_ffbh_u32_e32 v24, v23
	v_min_u32_e32 v29, 32, v24
	v_subrev_u32_e32 v24, 28, v29
	v_lshlrev_b64 v[24:25], v24, v[22:23]
	v_lshrrev_b32_e32 v28, 3, v10
	v_sub_u32_e32 v25, 29, v29
	v_and_b32_e32 v24, 7, v24
	v_cmp_gt_u32_e64 s[2:3], 8, v10
	v_cndmask_b32_e64 v10, v28, v25, s[2:3]
	v_cndmask_b32_e64 v23, v23, v24, s[2:3]
	v_lshlrev_b32_e32 v23, 20, v23
	v_and_b32_sdwa v24, sext(v22), s11 dst_sel:DWORD dst_unused:UNUSED_PAD src0_sel:BYTE_0 src1_sel:DWORD
	v_lshl_add_u32 v10, v10, 23, v7
	v_or3_b32 v10, v24, v10, v23
	v_pk_mov_b32 v[24:25], v[10:11], v[10:11] op_sel:[0,1]
.LBB205_217:                            ;   in Loop: Header=BB205_134 Depth=1
	s_or_b64 exec, exec, s[28:29]
.LBB205_218:                            ;   in Loop: Header=BB205_134 Depth=1
	s_or_b64 exec, exec, s[22:23]
.LBB205_219:                            ;   in Loop: Header=BB205_134 Depth=1
	s_or_b64 exec, exec, s[20:21]
	v_cmp_ne_u16_sdwa s[2:3], v22, v11 src0_sel:BYTE_1 src1_sel:DWORD
	s_and_saveexec_b64 s[20:21], s[2:3]
	s_cbranch_execz .LBB205_225
; %bb.220:                              ;   in Loop: Header=BB205_134 Depth=1
	v_cmp_ne_u16_sdwa s[2:3], v22, s9 src0_sel:BYTE_1 src1_sel:DWORD
	v_pk_mov_b32 v[26:27], s[10:11], s[10:11] op_sel:[0,1]
	s_and_saveexec_b64 s[22:23], s[2:3]
	s_cbranch_execz .LBB205_224
; %bb.221:                              ;   in Loop: Header=BB205_134 Depth=1
	v_and_b32_sdwa v23, v22, s30 dst_sel:DWORD dst_unused:UNUSED_PAD src0_sel:BYTE_1 src1_sel:DWORD
	s_mov_b32 s16, s10
	v_cmp_ne_u32_e64 s[2:3], s30, v23
	v_pk_mov_b32 v[26:27], s[16:17], s[16:17] op_sel:[0,1]
	s_and_saveexec_b64 s[28:29], s[2:3]
	s_cbranch_execz .LBB205_223
; %bb.222:                              ;   in Loop: Header=BB205_134 Depth=1
	v_and_b32_sdwa v10, v22, v45 dst_sel:DWORD dst_unused:UNUSED_PAD src0_sel:BYTE_1 src1_sel:DWORD
	v_ffbh_u32_e32 v26, v10
	v_min_u32_e32 v29, 32, v26
	v_subrev_u32_e32 v26, 28, v29
	v_lshlrev_b64 v[26:27], v26, v[10:11]
	v_lshrrev_b32_e32 v28, 3, v23
	v_sub_u32_e32 v27, 29, v29
	v_cmp_gt_u32_e64 s[2:3], 8, v23
	v_and_b32_e32 v26, 7, v26
	v_cndmask_b32_e64 v23, v28, v27, s[2:3]
	v_cndmask_b32_e64 v10, v10, v26, s[2:3]
	v_lshlrev_b32_e32 v26, 16, v22
	v_lshl_add_u32 v23, v23, 23, v7
	v_and_or_b32 v23, v26, s11, v23
	v_lshlrev_b32_e32 v10, 20, v10
	v_or_b32_e32 v27, v23, v10
	v_mov_b32_e32 v26, v11
.LBB205_223:                            ;   in Loop: Header=BB205_134 Depth=1
	s_or_b64 exec, exec, s[28:29]
.LBB205_224:                            ;   in Loop: Header=BB205_134 Depth=1
	s_or_b64 exec, exec, s[22:23]
.LBB205_225:                            ;   in Loop: Header=BB205_134 Depth=1
	s_or_b64 exec, exec, s[20:21]
	v_lshrrev_b32_e32 v10, 16, v22
	v_pk_mov_b32 v[30:31], 0, 0
	v_cmp_ne_u16_sdwa s[2:3], v10, v11 src0_sel:BYTE_0 src1_sel:DWORD
	v_pk_mov_b32 v[28:29], v[30:31], v[30:31] op_sel:[0,1]
	s_and_saveexec_b64 s[20:21], s[2:3]
	s_cbranch_execz .LBB205_231
; %bb.226:                              ;   in Loop: Header=BB205_134 Depth=1
	v_bfrev_b32_e32 v28, 1
	v_cmp_ne_u16_sdwa s[2:3], v10, s9 src0_sel:BYTE_0 src1_sel:DWORD
	v_mov_b32_e32 v29, 0
	s_and_saveexec_b64 s[22:23], s[2:3]
	s_cbranch_execz .LBB205_230
; %bb.227:                              ;   in Loop: Header=BB205_134 Depth=1
	v_bfe_u32 v23, v22, 16, 7
	v_mov_b32_e32 v28, 0x7f800001
	v_cmp_ne_u32_e64 s[2:3], s30, v23
	v_mov_b32_e32 v29, 0
	s_and_saveexec_b64 s[28:29], s[2:3]
	s_cbranch_execz .LBB205_229
; %bb.228:                              ;   in Loop: Header=BB205_134 Depth=1
	v_and_b32_e32 v32, 7, v10
	v_ffbh_u32_e32 v28, v32
	v_min_u32_e32 v34, 32, v28
	v_subrev_u32_e32 v28, 28, v34
	v_lshlrev_b64 v[28:29], v28, v[10:11]
	v_lshrrev_b32_e32 v33, 3, v23
	v_sub_u32_e32 v29, 29, v34
	v_and_b32_e32 v28, 7, v28
	v_cmp_gt_u32_e64 s[2:3], 8, v23
	v_cndmask_b32_e64 v23, v33, v29, s[2:3]
	v_cndmask_b32_e64 v28, v32, v28, s[2:3]
	v_lshlrev_b32_e32 v28, 20, v28
	v_and_b32_sdwa v10, sext(v10), s11 dst_sel:DWORD dst_unused:UNUSED_PAD src0_sel:BYTE_0 src1_sel:DWORD
	v_lshl_add_u32 v23, v23, 23, v7
	v_or3_b32 v10, v10, v23, v28
	v_pk_mov_b32 v[28:29], v[10:11], v[10:11] op_sel:[0,1]
.LBB205_229:                            ;   in Loop: Header=BB205_134 Depth=1
	s_or_b64 exec, exec, s[28:29]
.LBB205_230:                            ;   in Loop: Header=BB205_134 Depth=1
	s_or_b64 exec, exec, s[22:23]
.LBB205_231:                            ;   in Loop: Header=BB205_134 Depth=1
	s_or_b64 exec, exec, s[20:21]
	v_cmp_lt_u32_e64 s[2:3], s31, v22
	s_and_saveexec_b64 s[20:21], s[2:3]
	s_cbranch_execz .LBB205_237
; %bb.232:                              ;   in Loop: Header=BB205_134 Depth=1
	v_cmp_ne_u32_sdwa s[2:3], v22, s9 src0_sel:BYTE_3 src1_sel:DWORD
	v_pk_mov_b32 v[30:31], s[10:11], s[10:11] op_sel:[0,1]
	s_and_saveexec_b64 s[22:23], s[2:3]
	s_cbranch_execz .LBB205_236
; %bb.233:                              ;   in Loop: Header=BB205_134 Depth=1
	v_bfe_u32 v23, v22, 24, 7
	s_mov_b32 s16, s10
	v_cmp_ne_u32_e64 s[2:3], s30, v23
	v_pk_mov_b32 v[30:31], s[16:17], s[16:17] op_sel:[0,1]
	s_and_saveexec_b64 s[28:29], s[2:3]
	s_cbranch_execz .LBB205_235
; %bb.234:                              ;   in Loop: Header=BB205_134 Depth=1
	v_and_b32_sdwa v10, v22, v45 dst_sel:DWORD dst_unused:UNUSED_PAD src0_sel:BYTE_3 src1_sel:DWORD
	v_ffbh_u32_e32 v30, v10
	v_min_u32_e32 v33, 32, v30
	v_subrev_u32_e32 v30, 28, v33
	v_lshlrev_b64 v[30:31], v30, v[10:11]
	v_lshrrev_b32_e32 v32, 3, v23
	v_sub_u32_e32 v31, 29, v33
	v_cmp_gt_u32_e64 s[2:3], 8, v23
	v_and_b32_e32 v30, 7, v30
	v_cndmask_b32_e64 v23, v32, v31, s[2:3]
	v_cndmask_b32_e64 v10, v10, v30, s[2:3]
	v_lshlrev_b32_sdwa v22, v46, v22 dst_sel:DWORD dst_unused:UNUSED_PAD src0_sel:DWORD src1_sel:BYTE_3
	v_lshl_add_u32 v23, v23, 23, v7
	v_and_or_b32 v22, v22, s11, v23
	v_lshlrev_b32_e32 v10, 20, v10
	v_or_b32_e32 v31, v22, v10
	v_mov_b32_e32 v30, v11
.LBB205_235:                            ;   in Loop: Header=BB205_134 Depth=1
	s_or_b64 exec, exec, s[28:29]
.LBB205_236:                            ;   in Loop: Header=BB205_134 Depth=1
	s_or_b64 exec, exec, s[22:23]
.LBB205_237:                            ;   in Loop: Header=BB205_134 Depth=1
	s_or_b64 exec, exec, s[20:21]
	v_or_b32_e32 v23, v27, v25
	v_or_b32_e32 v22, v26, v24
	;; [unrolled: 1-line block ×4, first 2 shown]
	v_pk_mul_f32 v[22:23], s[12:13], v[22:23]
	v_pk_mul_f32 v[24:25], s[12:13], v[24:25]
	s_and_saveexec_b64 s[2:3], s[0:1]
	s_cbranch_execz .LBB205_132
; %bb.238:                              ;   in Loop: Header=BB205_134 Depth=1
	v_cmp_gt_i32_e64 s[0:1], s33, v47
	v_add_u32_e32 v10, -2, v43
	v_cndmask_b32_e64 v22, 0, v22, s[0:1]
	v_cmp_gt_i32_e64 s[0:1], s33, v10
	v_add_u32_e32 v10, -1, v43
	v_cndmask_b32_e64 v23, 0, v23, s[0:1]
	v_cmp_gt_i32_e64 s[0:1], s33, v10
	v_cndmask_b32_e64 v24, 0, v24, s[0:1]
	v_cmp_gt_i32_e64 s[0:1], s33, v43
	v_cndmask_b32_e64 v25, 0, v25, s[0:1]
	s_branch .LBB205_132
.LBB205_239:
	s_or_b64 exec, exec, s[14:15]
.LBB205_240:
	s_or_b64 exec, exec, s[6:7]
	ds_bpermute_b32 v2, v9, v16
	ds_bpermute_b32 v3, v9, v17
	;; [unrolled: 1-line block ×4, first 2 shown]
	s_waitcnt lgkmcnt(0)
	s_barrier
	v_pk_add_f32 v[4:5], v[16:17], v[2:3]
	v_pk_add_f32 v[2:3], v[12:13], v[6:7]
	v_and_b32_e32 v6, 0x3c0, v0
	v_cmp_eq_u32_e32 vcc, 64, v6
	s_and_saveexec_b64 s[2:3], vcc
	s_cbranch_execz .LBB205_245
; %bb.241:
	v_cmp_eq_u32_e32 vcc, 0, v15
	s_and_saveexec_b64 s[0:1], vcc
	s_cbranch_execz .LBB205_243
; %bb.242:
	v_mov_b32_e32 v6, 0x1f0
	v_lshl_add_u32 v6, v42, 2, v6
	ds_write2_b32 v6, v4, v5 offset1:32
	ds_write_b32 v6, v2 offset:256
.LBB205_243:
	s_or_b64 exec, exec, s[0:1]
	v_or_b32_e32 v6, 0x60, v42
	s_movk_i32 s0, 0x78
	v_cmp_gt_u32_e64 s[0:1], s0, v6
	s_and_b64 s[0:1], vcc, s[0:1]
	s_and_b64 exec, exec, s[0:1]
	s_cbranch_execz .LBB205_245
; %bb.244:
	v_mov_b32_e32 v6, 0x1f0
	v_lshl_add_u32 v6, v42, 2, v6
	ds_write_b32 v6, v3 offset:384
.LBB205_245:
	s_or_b64 exec, exec, s[2:3]
	v_cmp_gt_u32_e32 vcc, 64, v0
	s_waitcnt lgkmcnt(0)
	s_barrier
	s_and_saveexec_b64 s[6:7], vcc
	s_cbranch_execz .LBB205_253
; %bb.246:
	v_cmp_eq_u32_e64 s[0:1], 0, v15
	s_and_saveexec_b64 s[2:3], s[0:1]
	s_cbranch_execnz .LBB205_259
; %bb.247:
	s_or_b64 exec, exec, s[2:3]
	s_and_saveexec_b64 s[2:3], s[0:1]
	s_cbranch_execnz .LBB205_260
.LBB205_248:
	s_or_b64 exec, exec, s[2:3]
	s_and_saveexec_b64 s[2:3], s[0:1]
	s_cbranch_execz .LBB205_250
.LBB205_249:
	v_mov_b32_e32 v0, 0x1f0
	v_lshl_add_u32 v0, v1, 2, v0
	ds_read_b32 v0, v0 offset:256
	s_waitcnt lgkmcnt(0)
	v_add_f32_e32 v2, v2, v0
.LBB205_250:
	s_or_b64 exec, exec, s[2:3]
	v_or_b32_e32 v0, 0x60, v1
	s_movk_i32 s2, 0x78
	v_cmp_gt_u32_e64 s[2:3], s2, v0
	s_and_b64 s[2:3], s[0:1], s[2:3]
	s_and_saveexec_b64 s[0:1], s[2:3]
	s_cbranch_execz .LBB205_252
; %bb.251:
	v_mov_b32_e32 v0, 0x1f0
	v_lshl_add_u32 v0, v1, 2, v0
	ds_read_b32 v0, v0 offset:384
	s_waitcnt lgkmcnt(0)
	v_add_f32_e32 v3, v3, v0
.LBB205_252:
	s_or_b64 exec, exec, s[0:1]
.LBB205_253:
	s_or_b64 exec, exec, s[6:7]
	s_barrier
	s_and_saveexec_b64 s[0:1], vcc
	s_cbranch_execz .LBB205_258
; %bb.254:
	s_mul_i32 s0, s4, 0x78
	s_ashr_i32 s1, s0, 31
	s_lshl_b64 s[0:1], s[0:1], 2
	s_add_u32 s2, s26, s0
	s_mul_i32 s0, s25, s24
	s_addc_u32 s3, s27, s1
	s_ashr_i32 s1, s0, 31
	s_lshl_b64 s[0:1], s[0:1], 2
	s_add_u32 s2, s2, s0
	s_mul_i32 s0, s8, 0x78
	s_addc_u32 s3, s3, s1
	s_ashr_i32 s1, s0, 31
	s_lshl_b64 s[0:1], s[0:1], 2
	s_add_u32 s2, s2, s0
	s_movk_i32 s5, 0x78
	s_addc_u32 s3, s3, s1
	v_cmp_eq_u32_e32 vcc, 0, v15
	v_lshlrev_b32_e32 v0, 2, v1
	s_and_saveexec_b64 s[0:1], vcc
	s_cbranch_execz .LBB205_256
; %bb.255:
	global_store_dword v0, v4, s[2:3]
	global_store_dword v0, v5, s[2:3] offset:128
	global_store_dword v0, v2, s[2:3] offset:256
.LBB205_256:
	s_or_b64 exec, exec, s[0:1]
	v_or_b32_e32 v1, 0x60, v1
	v_cmp_gt_u32_e64 s[0:1], s5, v1
	s_and_b64 s[0:1], vcc, s[0:1]
	s_and_b64 exec, exec, s[0:1]
	s_cbranch_execz .LBB205_258
; %bb.257:
	global_store_dword v0, v3, s[2:3] offset:384
.LBB205_258:
	s_endpgm
.LBB205_259:
	v_mov_b32_e32 v0, 0x1f0
	v_lshl_add_u32 v0, v1, 2, v0
	ds_read_b32 v0, v0
	s_waitcnt lgkmcnt(0)
	v_add_f32_e32 v4, v4, v0
	s_or_b64 exec, exec, s[2:3]
	s_and_saveexec_b64 s[2:3], s[0:1]
	s_cbranch_execz .LBB205_248
.LBB205_260:
	v_mov_b32_e32 v0, 0x1f0
	v_lshl_add_u32 v0, v1, 2, v0
	ds_read_b32 v0, v0 offset:128
	s_waitcnt lgkmcnt(0)
	v_add_f32_e32 v5, v5, v0
	s_or_b64 exec, exec, s[2:3]
	s_and_saveexec_b64 s[2:3], s[0:1]
	s_cbranch_execnz .LBB205_249
	s_branch .LBB205_250
	.section	.rodata,"a",@progbits
	.p2align	6, 0x0
	.amdhsa_kernel _ZN4vllm25paged_attention_v2_kernelIfhLi120ELi8ELi128ELNS_18Fp8KVCacheDataTypeE1ELb0ELi512EEEvPfS2_PT_PKS3_PKT0_S9_ifPKiSB_iPKfiiiSD_SD_iiiii
		.amdhsa_group_segment_fixed_size 496
		.amdhsa_private_segment_fixed_size 0
		.amdhsa_kernarg_size 400
		.amdhsa_user_sgpr_count 6
		.amdhsa_user_sgpr_private_segment_buffer 1
		.amdhsa_user_sgpr_dispatch_ptr 0
		.amdhsa_user_sgpr_queue_ptr 0
		.amdhsa_user_sgpr_kernarg_segment_ptr 1
		.amdhsa_user_sgpr_dispatch_id 0
		.amdhsa_user_sgpr_flat_scratch_init 0
		.amdhsa_user_sgpr_kernarg_preload_length 0
		.amdhsa_user_sgpr_kernarg_preload_offset 0
		.amdhsa_user_sgpr_private_segment_size 0
		.amdhsa_uses_dynamic_stack 0
		.amdhsa_system_sgpr_private_segment_wavefront_offset 0
		.amdhsa_system_sgpr_workgroup_id_x 1
		.amdhsa_system_sgpr_workgroup_id_y 1
		.amdhsa_system_sgpr_workgroup_id_z 1
		.amdhsa_system_sgpr_workgroup_info 0
		.amdhsa_system_vgpr_workitem_id 0
		.amdhsa_next_free_vgpr 59
		.amdhsa_next_free_sgpr 51
		.amdhsa_accum_offset 60
		.amdhsa_reserve_vcc 1
		.amdhsa_reserve_flat_scratch 0
		.amdhsa_float_round_mode_32 0
		.amdhsa_float_round_mode_16_64 0
		.amdhsa_float_denorm_mode_32 3
		.amdhsa_float_denorm_mode_16_64 3
		.amdhsa_dx10_clamp 1
		.amdhsa_ieee_mode 1
		.amdhsa_fp16_overflow 0
		.amdhsa_tg_split 0
		.amdhsa_exception_fp_ieee_invalid_op 0
		.amdhsa_exception_fp_denorm_src 0
		.amdhsa_exception_fp_ieee_div_zero 0
		.amdhsa_exception_fp_ieee_overflow 0
		.amdhsa_exception_fp_ieee_underflow 0
		.amdhsa_exception_fp_ieee_inexact 0
		.amdhsa_exception_int_div_zero 0
	.end_amdhsa_kernel
	.section	.text._ZN4vllm25paged_attention_v2_kernelIfhLi120ELi8ELi128ELNS_18Fp8KVCacheDataTypeE1ELb0ELi512EEEvPfS2_PT_PKS3_PKT0_S9_ifPKiSB_iPKfiiiSD_SD_iiiii,"axG",@progbits,_ZN4vllm25paged_attention_v2_kernelIfhLi120ELi8ELi128ELNS_18Fp8KVCacheDataTypeE1ELb0ELi512EEEvPfS2_PT_PKS3_PKT0_S9_ifPKiSB_iPKfiiiSD_SD_iiiii,comdat
.Lfunc_end205:
	.size	_ZN4vllm25paged_attention_v2_kernelIfhLi120ELi8ELi128ELNS_18Fp8KVCacheDataTypeE1ELb0ELi512EEEvPfS2_PT_PKS3_PKT0_S9_ifPKiSB_iPKfiiiSD_SD_iiiii, .Lfunc_end205-_ZN4vllm25paged_attention_v2_kernelIfhLi120ELi8ELi128ELNS_18Fp8KVCacheDataTypeE1ELb0ELi512EEEvPfS2_PT_PKS3_PKT0_S9_ifPKiSB_iPKfiiiSD_SD_iiiii
                                        ; -- End function
	.section	.AMDGPU.csdata,"",@progbits
; Kernel info:
; codeLenInByte = 10416
; NumSgprs: 55
; NumVgprs: 59
; NumAgprs: 0
; TotalNumVgprs: 59
; ScratchSize: 0
; MemoryBound: 0
; FloatMode: 240
; IeeeMode: 1
; LDSByteSize: 496 bytes/workgroup (compile time only)
; SGPRBlocks: 6
; VGPRBlocks: 7
; NumSGPRsForWavesPerEU: 55
; NumVGPRsForWavesPerEU: 59
; AccumOffset: 60
; Occupancy: 8
; WaveLimiterHint : 1
; COMPUTE_PGM_RSRC2:SCRATCH_EN: 0
; COMPUTE_PGM_RSRC2:USER_SGPR: 6
; COMPUTE_PGM_RSRC2:TRAP_HANDLER: 0
; COMPUTE_PGM_RSRC2:TGID_X_EN: 1
; COMPUTE_PGM_RSRC2:TGID_Y_EN: 1
; COMPUTE_PGM_RSRC2:TGID_Z_EN: 1
; COMPUTE_PGM_RSRC2:TIDIG_COMP_CNT: 0
; COMPUTE_PGM_RSRC3_GFX90A:ACCUM_OFFSET: 14
; COMPUTE_PGM_RSRC3_GFX90A:TG_SPLIT: 0
	.section	.text._ZN4vllm25paged_attention_v2_kernelIfhLi128ELi8ELi128ELNS_18Fp8KVCacheDataTypeE1ELb0ELi512EEEvPfS2_PT_PKS3_PKT0_S9_ifPKiSB_iPKfiiiSD_SD_iiiii,"axG",@progbits,_ZN4vllm25paged_attention_v2_kernelIfhLi128ELi8ELi128ELNS_18Fp8KVCacheDataTypeE1ELb0ELi512EEEvPfS2_PT_PKS3_PKT0_S9_ifPKiSB_iPKfiiiSD_SD_iiiii,comdat
	.protected	_ZN4vllm25paged_attention_v2_kernelIfhLi128ELi8ELi128ELNS_18Fp8KVCacheDataTypeE1ELb0ELi512EEEvPfS2_PT_PKS3_PKT0_S9_ifPKiSB_iPKfiiiSD_SD_iiiii ; -- Begin function _ZN4vllm25paged_attention_v2_kernelIfhLi128ELi8ELi128ELNS_18Fp8KVCacheDataTypeE1ELb0ELi512EEEvPfS2_PT_PKS3_PKT0_S9_ifPKiSB_iPKfiiiSD_SD_iiiii
	.globl	_ZN4vllm25paged_attention_v2_kernelIfhLi128ELi8ELi128ELNS_18Fp8KVCacheDataTypeE1ELb0ELi512EEEvPfS2_PT_PKS3_PKT0_S9_ifPKiSB_iPKfiiiSD_SD_iiiii
	.p2align	8
	.type	_ZN4vllm25paged_attention_v2_kernelIfhLi128ELi8ELi128ELNS_18Fp8KVCacheDataTypeE1ELb0ELi512EEEvPfS2_PT_PKS3_PKT0_S9_ifPKiSB_iPKfiiiSD_SD_iiiii,@function
_ZN4vllm25paged_attention_v2_kernelIfhLi128ELi8ELi128ELNS_18Fp8KVCacheDataTypeE1ELb0ELi512EEEvPfS2_PT_PKS3_PKT0_S9_ifPKiSB_iPKfiiiSD_SD_iiiii: ; @_ZN4vllm25paged_attention_v2_kernelIfhLi128ELi8ELi128ELNS_18Fp8KVCacheDataTypeE1ELb0ELi512EEEvPfS2_PT_PKS3_PKT0_S9_ifPKiSB_iPKfiiiSD_SD_iiiii
; %bb.0:
	s_load_dwordx2 s[0:1], s[4:5], 0x40
	s_mov_b32 s28, s7
	s_ashr_i32 s29, s7, 31
	s_lshl_b64 s[2:3], s[28:29], 2
	s_waitcnt lgkmcnt(0)
	s_add_u32 s0, s0, s2
	s_addc_u32 s1, s1, s3
	s_load_dword s29, s[0:1], 0x0
	s_lshl_b32 s44, s8, 9
	s_waitcnt lgkmcnt(0)
	s_cmp_ge_i32 s44, s29
	s_cbranch_scc1 .LBB206_255
; %bb.1:
	s_load_dword s9, s[4:5], 0x90
	s_load_dwordx2 s[10:11], s[4:5], 0x30
	s_mov_b32 s45, 0
	s_waitcnt lgkmcnt(0)
	s_abs_i32 s2, s9
	s_abs_i32 s0, s10
	v_cvt_f32_u32_e32 v1, s0
	s_sub_i32 s3, 0, s0
	s_xor_b32 s1, s9, s10
	s_ashr_i32 s1, s1, 31
	v_rcp_iflag_f32_e32 v1, v1
	v_mul_f32_e32 v1, 0x4f7ffffe, v1
	v_cvt_u32_f32_e32 v1, v1
	v_readfirstlane_b32 s7, v1
	s_mul_i32 s3, s3, s7
	s_mul_hi_u32 s3, s7, s3
	s_add_i32 s7, s7, s3
	s_mul_hi_u32 s3, s2, s7
	s_mul_i32 s7, s3, s0
	s_sub_i32 s2, s2, s7
	s_add_i32 s10, s3, 1
	s_sub_i32 s7, s2, s0
	s_cmp_ge_u32 s2, s0
	s_cselect_b32 s3, s10, s3
	s_cselect_b32 s2, s7, s2
	s_add_i32 s7, s3, 1
	s_cmp_ge_u32 s2, s0
	s_cselect_b32 s0, s7, s3
	s_xor_b32 s0, s0, s1
	s_sub_i32 s10, s0, s1
	s_abs_i32 s2, s10
	v_cvt_f32_u32_e32 v1, s2
	s_load_dwordx2 s[0:1], s[4:5], 0x50
	s_sub_i32 s7, 0, s2
	s_abs_i32 s3, s6
	v_rcp_iflag_f32_e32 v1, v1
	v_mul_f32_e32 v1, 0x4f7ffffe, v1
	v_cvt_u32_f32_e32 v1, v1
	v_readfirstlane_b32 s12, v1
	s_mul_i32 s7, s7, s12
	s_mul_hi_u32 s7, s12, s7
	s_add_i32 s12, s12, s7
	s_waitcnt lgkmcnt(0)
	s_cmp_eq_u64 s[0:1], 0
	s_mul_hi_u32 s16, s3, s12
	s_cbranch_scc1 .LBB206_3
; %bb.2:
	s_ashr_i32 s7, s6, 31
	s_lshl_b64 s[12:13], s[6:7], 2
	s_add_u32 s0, s0, s12
	s_addc_u32 s1, s1, s13
	s_load_dword s45, s[0:1], 0x0
.LBB206_3:
	s_load_dwordx4 s[12:15], s[4:5], 0x58
	s_movk_i32 s0, 0x80
	s_ashr_i32 s17, s6, 31
	s_ashr_i32 s18, s10, 31
	v_and_b32_e32 v20, 7, v0
	s_lshl_b32 s24, s6, 7
	v_cmp_gt_u32_e32 vcc, s0, v0
	v_lshlrev_b32_e32 v21, 2, v0
	v_lshrrev_b32_e32 v1, 1, v0
	s_and_saveexec_b64 s[0:1], vcc
	s_cbranch_execz .LBB206_5
; %bb.4:
	s_load_dwordx2 s[20:21], s[4:5], 0x18
	s_waitcnt lgkmcnt(0)
	s_mul_i32 s22, s28, s12
	s_ashr_i32 s23, s22, 31
	s_lshl_b64 s[22:23], s[22:23], 2
	v_and_b32_e32 v3, 0x1fc, v1
	s_add_u32 s7, s20, s22
	s_addc_u32 s10, s21, s23
	s_ashr_i32 s25, s24, 31
	s_lshl_b64 s[20:21], s[24:25], 2
	s_add_u32 s20, s7, s20
	s_addc_u32 s21, s10, s21
	global_load_dword v2, v21, s[20:21]
	v_lshl_add_u32 v3, v20, 6, v3
	s_waitcnt vmcnt(0)
	ds_write_b32 v3, v2
.LBB206_5:
	s_or_b64 exec, exec, s[0:1]
	s_add_i32 s0, s29, 7
	s_ashr_i32 s1, s0, 31
	s_lshr_b32 s1, s1, 29
	s_add_i32 s0, s0, s1
	s_lshl_b32 s10, s8, 6
	s_mul_i32 s1, s16, s2
	s_ashr_i32 s7, s0, 3
	s_add_i32 s0, s10, 64
	s_sub_i32 s1, s3, s1
	s_min_i32 s33, s0, s7
	s_xor_b32 s0, s17, s18
	s_add_i32 s3, s16, 1
	s_waitcnt lgkmcnt(0)
	s_sub_i32 s12, s1, s2
	s_cmp_ge_u32 s1, s2
	s_cselect_b32 s3, s3, s16
	s_cselect_b32 s1, s12, s1
	s_add_i32 s12, s3, 1
	s_cmp_ge_u32 s1, s2
	s_load_dwordx2 s[30:31], s[4:5], 0x38
	s_load_dword s2, s[4:5], 0x48
	v_lshrrev_b32_e32 v29, 6, v0
	s_cselect_b32 s1, s12, s3
	s_xor_b32 s1, s1, s0
	v_or_b32_e32 v18, s10, v29
	s_waitcnt lgkmcnt(0)
	s_mul_i32 s34, s28, s2
	s_sub_i32 s12, s1, s0
	s_ashr_i32 s35, s34, 31
	v_cmp_gt_i32_e64 s[0:1], s33, v18
	v_cmp_le_i32_e32 vcc, s33, v18
	v_mbcnt_lo_u32_b32 v24, -1, 0
	s_barrier
	s_waitcnt lgkmcnt(0)
                                        ; implicit-def: $sgpr15
                                        ; implicit-def: $vgpr30
                                        ; implicit-def: $vgpr31
	s_and_saveexec_b64 s[2:3], vcc
	s_xor_b64 s[2:3], exec, s[2:3]
; %bb.6:
	v_mbcnt_hi_u32_b32 v30, -1, v24
	v_and_b32_e32 v2, 64, v30
	v_add_u32_e32 v31, 64, v2
	s_mov_b32 s15, 0xff7fffff
                                        ; implicit-def: $vgpr20
                                        ; implicit-def: $vgpr24
; %bb.7:
	s_or_saveexec_b64 s[38:39], s[2:3]
	s_load_dwordx4 s[20:23], s[4:5], 0x0
	s_load_dwordx2 s[26:27], s[4:5], 0x10
	s_load_dword s25, s[4:5], 0x98
	s_load_dwordx2 s[36:37], s[4:5], 0x28
	s_load_dwordx4 s[16:19], s[4:5], 0x68
	v_mov_b32_e32 v33, s15
	s_mul_i32 s12, s12, s14
	v_ashrrev_i32_e32 v19, 31, v18
	s_xor_b64 exec, exec, s[38:39]
	s_cbranch_execz .LBB206_109
; %bb.8:
	s_load_dwordx2 s[2:3], s[4:5], 0x20
	s_ashr_i32 s4, s12, 31
	v_bfe_u32 v25, v0, 3, 3
	v_lshlrev_b32_e32 v2, 4, v25
	v_mbcnt_hi_u32_b32 v30, -1, v24
	s_waitcnt lgkmcnt(0)
	s_add_u32 s2, s2, s12
	s_addc_u32 s3, s3, s4
	v_mov_b32_e32 v3, s3
	v_add_co_u32_e32 v22, vcc, s2, v2
	v_and_b32_e32 v24, 64, v30
	v_addc_co_u32_e32 v23, vcc, 0, v3, vcc
	v_add_u32_e32 v31, 64, v24
	v_xor_b32_e32 v24, 4, v30
	v_cmp_lt_i32_e32 vcc, v24, v31
	v_cndmask_b32_e32 v24, v30, v24, vcc
	v_lshlrev_b32_e32 v32, 2, v24
	v_xor_b32_e32 v24, 2, v30
	v_cmp_lt_i32_e32 vcc, v24, v31
	v_cndmask_b32_e32 v24, v30, v24, vcc
	v_lshlrev_b32_e32 v34, 2, v24
	v_xor_b32_e32 v24, 1, v30
	v_lshlrev_b32_e32 v14, 6, v20
	v_cmp_lt_i32_e32 vcc, v24, v31
	ds_read_b128 v[2:5], v14
	ds_read_b128 v[6:9], v14 offset:16
	ds_read_b128 v[10:13], v14 offset:32
	;; [unrolled: 1-line block ×3, first 2 shown]
	v_cndmask_b32_e32 v24, v30, v24, vcc
	v_lshlrev_b32_e32 v35, 2, v24
	v_lshlrev_b32_e32 v24, 3, v29
	s_load_dword s47, s[16:17], 0x0
	s_sub_i32 s48, 1, s29
	v_add3_u32 v36, s44, v24, v25
	v_lshlrev_b32_e32 v24, 2, v25
	s_lshl_b64 s[4:5], s[34:35], 2
	v_lshl_or_b32 v24, v29, 5, v24
	s_add_u32 s4, s30, s4
	v_add_u32_e32 v37, 0x210, v24
	v_lshlrev_b64 v[24:25], 2, v[18:19]
	s_addc_u32 s5, s31, s5
	v_mov_b32_e32 v26, s5
	v_add_co_u32_e64 v24, s[4:5], s4, v24
	s_mov_b32 s46, s13
	v_cmp_eq_u32_e32 vcc, 0, v20
	v_cmp_neq_f32_e64 s[2:3], s45, 0
	v_addc_co_u32_e64 v25, s[4:5], v26, v25, s[4:5]
	s_mov_b64 s[14:15], 0
	v_mov_b32_e32 v33, 0xff7fffff
	s_movk_i32 s49, 0x80
	s_movk_i32 s50, 0x7f
	v_bfrev_b32_e32 v38, 60
	v_mov_b32_e32 v39, v18
	s_branch .LBB206_10
.LBB206_9:                              ;   in Loop: Header=BB206_10 Depth=1
	s_or_b64 exec, exec, s[16:17]
	v_add_u32_e32 v39, 2, v39
	v_cmp_le_i32_e64 s[4:5], s33, v39
	s_or_b64 s[14:15], s[4:5], s[14:15]
	v_add_co_u32_e64 v24, s[4:5], 8, v24
	v_add_u32_e32 v36, 16, v36
	v_add_u32_e32 v37, 64, v37
	v_addc_co_u32_e64 v25, s[4:5], 0, v25, s[4:5]
	s_andn2_b64 exec, exec, s[14:15]
	s_cbranch_execz .LBB206_108
.LBB206_10:                             ; =>This Inner Loop Header: Depth=1
	global_load_dword v26, v[24:25], off
	v_mov_b32_e32 v40, 0
	s_waitcnt vmcnt(0) lgkmcnt(0)
	v_mad_i64_i32 v[26:27], s[4:5], v26, s46, v[22:23]
	v_add_co_u32_e64 v26, s[4:5], v26, v20
	v_addc_co_u32_e64 v27, s[4:5], 0, v27, s[4:5]
	global_load_ubyte v41, v[26:27], off
	s_waitcnt vmcnt(0)
	v_cmp_ne_u16_e64 s[4:5], 0, v41
	s_and_saveexec_b64 s[16:17], s[4:5]
	s_cbranch_execz .LBB206_16
; %bb.11:                               ;   in Loop: Header=BB206_10 Depth=1
	v_cmp_ne_u16_e64 s[4:5], s49, v41
	v_bfrev_b32_e32 v40, 1
	s_and_saveexec_b64 s[40:41], s[4:5]
	s_cbranch_execz .LBB206_15
; %bb.12:                               ;   in Loop: Header=BB206_10 Depth=1
	v_and_b32_e32 v28, 0xffff, v41
	v_and_b32_e32 v42, 0x7f, v28
	v_cmp_ne_u32_e64 s[4:5], s50, v42
	v_mov_b32_e32 v40, 0x7f800001
	s_and_saveexec_b64 s[42:43], s[4:5]
	s_cbranch_execz .LBB206_14
; %bb.13:                               ;   in Loop: Header=BB206_10 Depth=1
	v_and_b32_e32 v40, 7, v28
	v_ffbh_u32_e32 v44, v40
	v_min_u32_e32 v46, 32, v44
	v_subrev_u32_e32 v44, 28, v46
	v_lshlrev_b64 v[44:45], v44, v[28:29]
	v_lshrrev_b32_e32 v43, 3, v42
	v_sub_u32_e32 v28, 29, v46
	v_and_b32_e32 v44, 7, v44
	v_cmp_gt_u32_e64 s[4:5], 8, v42
	v_cndmask_b32_e64 v28, v43, v28, s[4:5]
	v_cndmask_b32_e64 v40, v40, v44, s[4:5]
	v_lshlrev_b32_e32 v41, 24, v41
	v_lshlrev_b32_e32 v40, 20, v40
	v_and_b32_e32 v41, 0x80000000, v41
	v_lshl_add_u32 v28, v28, 23, v38
	v_or3_b32 v40, v41, v28, v40
.LBB206_14:                             ;   in Loop: Header=BB206_10 Depth=1
	s_or_b64 exec, exec, s[42:43]
.LBB206_15:                             ;   in Loop: Header=BB206_10 Depth=1
	s_or_b64 exec, exec, s[40:41]
.LBB206_16:                             ;   in Loop: Header=BB206_10 Depth=1
	s_or_b64 exec, exec, s[16:17]
	global_load_ubyte v42, v[26:27], off offset:8
	v_mov_b32_e32 v41, 0
	s_waitcnt vmcnt(0)
	v_cmp_ne_u16_e64 s[4:5], 0, v42
	s_and_saveexec_b64 s[16:17], s[4:5]
	s_cbranch_execz .LBB206_22
; %bb.17:                               ;   in Loop: Header=BB206_10 Depth=1
	v_cmp_ne_u16_e64 s[4:5], s49, v42
	v_bfrev_b32_e32 v41, 1
	s_and_saveexec_b64 s[40:41], s[4:5]
	s_cbranch_execz .LBB206_21
; %bb.18:                               ;   in Loop: Header=BB206_10 Depth=1
	v_and_b32_e32 v28, 0xffff, v42
	v_and_b32_e32 v43, 0x7f, v28
	v_cmp_ne_u32_e64 s[4:5], s50, v43
	v_mov_b32_e32 v41, 0x7f800001
	s_and_saveexec_b64 s[42:43], s[4:5]
	s_cbranch_execz .LBB206_20
; %bb.19:                               ;   in Loop: Header=BB206_10 Depth=1
	v_and_b32_e32 v41, 7, v28
	v_ffbh_u32_e32 v44, v41
	v_min_u32_e32 v47, 32, v44
	v_subrev_u32_e32 v44, 28, v47
	v_lshlrev_b64 v[44:45], v44, v[28:29]
	v_lshrrev_b32_e32 v46, 3, v43
	v_sub_u32_e32 v28, 29, v47
	v_and_b32_e32 v44, 7, v44
	v_cmp_gt_u32_e64 s[4:5], 8, v43
	v_cndmask_b32_e64 v28, v46, v28, s[4:5]
	v_cndmask_b32_e64 v41, v41, v44, s[4:5]
	v_lshlrev_b32_e32 v42, 24, v42
	v_lshlrev_b32_e32 v41, 20, v41
	v_and_b32_e32 v42, 0x80000000, v42
	v_lshl_add_u32 v28, v28, 23, v38
	v_or3_b32 v41, v42, v28, v41
.LBB206_20:                             ;   in Loop: Header=BB206_10 Depth=1
	s_or_b64 exec, exec, s[42:43]
.LBB206_21:                             ;   in Loop: Header=BB206_10 Depth=1
	s_or_b64 exec, exec, s[40:41]
.LBB206_22:                             ;   in Loop: Header=BB206_10 Depth=1
	s_or_b64 exec, exec, s[16:17]
	global_load_ubyte v44, v[26:27], off offset:128
	v_mov_b32_e32 v42, 0
	v_mov_b32_e32 v43, 0
	s_waitcnt vmcnt(0)
	v_cmp_ne_u16_e64 s[4:5], 0, v44
	s_and_saveexec_b64 s[16:17], s[4:5]
	s_cbranch_execz .LBB206_28
; %bb.23:                               ;   in Loop: Header=BB206_10 Depth=1
	v_cmp_ne_u16_e64 s[4:5], s49, v44
	v_bfrev_b32_e32 v43, 1
	s_and_saveexec_b64 s[40:41], s[4:5]
	s_cbranch_execz .LBB206_27
; %bb.24:                               ;   in Loop: Header=BB206_10 Depth=1
	v_and_b32_e32 v28, 0xffff, v44
	v_and_b32_e32 v45, 0x7f, v28
	v_cmp_ne_u32_e64 s[4:5], s50, v45
	v_mov_b32_e32 v43, 0x7f800001
	s_and_saveexec_b64 s[42:43], s[4:5]
	s_cbranch_execz .LBB206_26
; %bb.25:                               ;   in Loop: Header=BB206_10 Depth=1
	v_and_b32_e32 v43, 7, v28
	v_ffbh_u32_e32 v46, v43
	v_min_u32_e32 v49, 32, v46
	v_subrev_u32_e32 v46, 28, v49
	v_lshlrev_b64 v[46:47], v46, v[28:29]
	v_lshrrev_b32_e32 v48, 3, v45
	v_sub_u32_e32 v28, 29, v49
	v_and_b32_e32 v46, 7, v46
	v_cmp_gt_u32_e64 s[4:5], 8, v45
	v_cndmask_b32_e64 v28, v48, v28, s[4:5]
	v_cndmask_b32_e64 v43, v43, v46, s[4:5]
	v_lshlrev_b32_e32 v44, 24, v44
	v_lshlrev_b32_e32 v43, 20, v43
	v_and_b32_e32 v44, 0x80000000, v44
	v_lshl_add_u32 v28, v28, 23, v38
	v_or3_b32 v43, v44, v28, v43
.LBB206_26:                             ;   in Loop: Header=BB206_10 Depth=1
	s_or_b64 exec, exec, s[42:43]
.LBB206_27:                             ;   in Loop: Header=BB206_10 Depth=1
	s_or_b64 exec, exec, s[40:41]
.LBB206_28:                             ;   in Loop: Header=BB206_10 Depth=1
	s_or_b64 exec, exec, s[16:17]
	global_load_ubyte v44, v[26:27], off offset:136
	s_waitcnt vmcnt(0)
	v_cmp_ne_u16_e64 s[4:5], 0, v44
	s_and_saveexec_b64 s[16:17], s[4:5]
	s_cbranch_execz .LBB206_34
; %bb.29:                               ;   in Loop: Header=BB206_10 Depth=1
	v_cmp_ne_u16_e64 s[4:5], s49, v44
	v_bfrev_b32_e32 v42, 1
	s_and_saveexec_b64 s[40:41], s[4:5]
	s_cbranch_execz .LBB206_33
; %bb.30:                               ;   in Loop: Header=BB206_10 Depth=1
	v_and_b32_e32 v28, 0xffff, v44
	v_and_b32_e32 v45, 0x7f, v28
	v_cmp_ne_u32_e64 s[4:5], s50, v45
	v_mov_b32_e32 v42, 0x7f800001
	s_and_saveexec_b64 s[42:43], s[4:5]
	s_cbranch_execz .LBB206_32
; %bb.31:                               ;   in Loop: Header=BB206_10 Depth=1
	v_and_b32_e32 v42, 7, v28
	v_ffbh_u32_e32 v46, v42
	v_min_u32_e32 v49, 32, v46
	v_subrev_u32_e32 v46, 28, v49
	v_lshlrev_b64 v[46:47], v46, v[28:29]
	v_lshrrev_b32_e32 v48, 3, v45
	v_sub_u32_e32 v28, 29, v49
	v_and_b32_e32 v46, 7, v46
	v_cmp_gt_u32_e64 s[4:5], 8, v45
	v_cndmask_b32_e64 v28, v48, v28, s[4:5]
	v_cndmask_b32_e64 v42, v42, v46, s[4:5]
	v_lshlrev_b32_e32 v44, 24, v44
	v_lshlrev_b32_e32 v42, 20, v42
	v_and_b32_e32 v44, 0x80000000, v44
	v_lshl_add_u32 v28, v28, 23, v38
	v_or3_b32 v42, v44, v28, v42
.LBB206_32:                             ;   in Loop: Header=BB206_10 Depth=1
	s_or_b64 exec, exec, s[42:43]
.LBB206_33:                             ;   in Loop: Header=BB206_10 Depth=1
	s_or_b64 exec, exec, s[40:41]
.LBB206_34:                             ;   in Loop: Header=BB206_10 Depth=1
	s_or_b64 exec, exec, s[16:17]
	global_load_ubyte v46, v[26:27], off offset:256
	v_mov_b32_e32 v44, 0
	v_mov_b32_e32 v45, 0
	s_waitcnt vmcnt(0)
	v_cmp_ne_u16_e64 s[4:5], 0, v46
	s_and_saveexec_b64 s[16:17], s[4:5]
	s_cbranch_execz .LBB206_40
; %bb.35:                               ;   in Loop: Header=BB206_10 Depth=1
	v_cmp_ne_u16_e64 s[4:5], s49, v46
	v_bfrev_b32_e32 v45, 1
	s_and_saveexec_b64 s[40:41], s[4:5]
	s_cbranch_execz .LBB206_39
; %bb.36:                               ;   in Loop: Header=BB206_10 Depth=1
	v_and_b32_e32 v28, 0xffff, v46
	v_and_b32_e32 v47, 0x7f, v28
	v_cmp_ne_u32_e64 s[4:5], s50, v47
	v_mov_b32_e32 v45, 0x7f800001
	s_and_saveexec_b64 s[42:43], s[4:5]
	s_cbranch_execz .LBB206_38
; %bb.37:                               ;   in Loop: Header=BB206_10 Depth=1
	v_and_b32_e32 v45, 7, v28
	v_ffbh_u32_e32 v48, v45
	v_min_u32_e32 v51, 32, v48
	v_subrev_u32_e32 v48, 28, v51
	v_lshlrev_b64 v[48:49], v48, v[28:29]
	v_lshrrev_b32_e32 v50, 3, v47
	v_sub_u32_e32 v28, 29, v51
	v_and_b32_e32 v48, 7, v48
	v_cmp_gt_u32_e64 s[4:5], 8, v47
	v_cndmask_b32_e64 v28, v50, v28, s[4:5]
	v_cndmask_b32_e64 v45, v45, v48, s[4:5]
	v_lshlrev_b32_e32 v46, 24, v46
	v_lshlrev_b32_e32 v45, 20, v45
	v_and_b32_e32 v46, 0x80000000, v46
	v_lshl_add_u32 v28, v28, 23, v38
	v_or3_b32 v45, v46, v28, v45
.LBB206_38:                             ;   in Loop: Header=BB206_10 Depth=1
	s_or_b64 exec, exec, s[42:43]
.LBB206_39:                             ;   in Loop: Header=BB206_10 Depth=1
	s_or_b64 exec, exec, s[40:41]
.LBB206_40:                             ;   in Loop: Header=BB206_10 Depth=1
	s_or_b64 exec, exec, s[16:17]
	global_load_ubyte v46, v[26:27], off offset:264
	s_waitcnt vmcnt(0)
	v_cmp_ne_u16_e64 s[4:5], 0, v46
	s_and_saveexec_b64 s[16:17], s[4:5]
	s_cbranch_execz .LBB206_46
; %bb.41:                               ;   in Loop: Header=BB206_10 Depth=1
	v_cmp_ne_u16_e64 s[4:5], s49, v46
	v_bfrev_b32_e32 v44, 1
	s_and_saveexec_b64 s[40:41], s[4:5]
	s_cbranch_execz .LBB206_45
; %bb.42:                               ;   in Loop: Header=BB206_10 Depth=1
	v_and_b32_e32 v28, 0xffff, v46
	v_and_b32_e32 v47, 0x7f, v28
	v_cmp_ne_u32_e64 s[4:5], s50, v47
	v_mov_b32_e32 v44, 0x7f800001
	s_and_saveexec_b64 s[42:43], s[4:5]
	s_cbranch_execz .LBB206_44
; %bb.43:                               ;   in Loop: Header=BB206_10 Depth=1
	v_and_b32_e32 v44, 7, v28
	v_ffbh_u32_e32 v48, v44
	v_min_u32_e32 v51, 32, v48
	v_subrev_u32_e32 v48, 28, v51
	v_lshlrev_b64 v[48:49], v48, v[28:29]
	v_lshrrev_b32_e32 v50, 3, v47
	v_sub_u32_e32 v28, 29, v51
	v_and_b32_e32 v48, 7, v48
	v_cmp_gt_u32_e64 s[4:5], 8, v47
	v_cndmask_b32_e64 v28, v50, v28, s[4:5]
	v_cndmask_b32_e64 v44, v44, v48, s[4:5]
	v_lshlrev_b32_e32 v46, 24, v46
	v_lshlrev_b32_e32 v44, 20, v44
	v_and_b32_e32 v46, 0x80000000, v46
	v_lshl_add_u32 v28, v28, 23, v38
	v_or3_b32 v44, v46, v28, v44
.LBB206_44:                             ;   in Loop: Header=BB206_10 Depth=1
	s_or_b64 exec, exec, s[42:43]
.LBB206_45:                             ;   in Loop: Header=BB206_10 Depth=1
	s_or_b64 exec, exec, s[40:41]
.LBB206_46:                             ;   in Loop: Header=BB206_10 Depth=1
	s_or_b64 exec, exec, s[16:17]
	global_load_ubyte v48, v[26:27], off offset:384
	v_mov_b32_e32 v46, 0
	v_mov_b32_e32 v47, 0
	s_waitcnt vmcnt(0)
	v_cmp_ne_u16_e64 s[4:5], 0, v48
	s_and_saveexec_b64 s[16:17], s[4:5]
	s_cbranch_execz .LBB206_52
; %bb.47:                               ;   in Loop: Header=BB206_10 Depth=1
	v_cmp_ne_u16_e64 s[4:5], s49, v48
	v_bfrev_b32_e32 v47, 1
	s_and_saveexec_b64 s[40:41], s[4:5]
	s_cbranch_execz .LBB206_51
; %bb.48:                               ;   in Loop: Header=BB206_10 Depth=1
	v_and_b32_e32 v28, 0xffff, v48
	v_and_b32_e32 v49, 0x7f, v28
	v_cmp_ne_u32_e64 s[4:5], s50, v49
	v_mov_b32_e32 v47, 0x7f800001
	s_and_saveexec_b64 s[42:43], s[4:5]
	s_cbranch_execz .LBB206_50
; %bb.49:                               ;   in Loop: Header=BB206_10 Depth=1
	v_and_b32_e32 v47, 7, v28
	v_ffbh_u32_e32 v50, v47
	v_min_u32_e32 v53, 32, v50
	v_subrev_u32_e32 v50, 28, v53
	v_lshlrev_b64 v[50:51], v50, v[28:29]
	v_lshrrev_b32_e32 v52, 3, v49
	v_sub_u32_e32 v28, 29, v53
	v_and_b32_e32 v50, 7, v50
	v_cmp_gt_u32_e64 s[4:5], 8, v49
	v_cndmask_b32_e64 v28, v52, v28, s[4:5]
	v_cndmask_b32_e64 v47, v47, v50, s[4:5]
	v_lshlrev_b32_e32 v48, 24, v48
	v_lshlrev_b32_e32 v47, 20, v47
	v_and_b32_e32 v48, 0x80000000, v48
	v_lshl_add_u32 v28, v28, 23, v38
	v_or3_b32 v47, v48, v28, v47
.LBB206_50:                             ;   in Loop: Header=BB206_10 Depth=1
	s_or_b64 exec, exec, s[42:43]
.LBB206_51:                             ;   in Loop: Header=BB206_10 Depth=1
	s_or_b64 exec, exec, s[40:41]
.LBB206_52:                             ;   in Loop: Header=BB206_10 Depth=1
	s_or_b64 exec, exec, s[16:17]
	global_load_ubyte v48, v[26:27], off offset:392
	s_waitcnt vmcnt(0)
	v_cmp_ne_u16_e64 s[4:5], 0, v48
	s_and_saveexec_b64 s[16:17], s[4:5]
	s_cbranch_execz .LBB206_58
; %bb.53:                               ;   in Loop: Header=BB206_10 Depth=1
	v_cmp_ne_u16_e64 s[4:5], s49, v48
	v_bfrev_b32_e32 v46, 1
	s_and_saveexec_b64 s[40:41], s[4:5]
	s_cbranch_execz .LBB206_57
; %bb.54:                               ;   in Loop: Header=BB206_10 Depth=1
	v_and_b32_e32 v28, 0xffff, v48
	v_and_b32_e32 v49, 0x7f, v28
	v_cmp_ne_u32_e64 s[4:5], s50, v49
	v_mov_b32_e32 v46, 0x7f800001
	s_and_saveexec_b64 s[42:43], s[4:5]
	s_cbranch_execz .LBB206_56
; %bb.55:                               ;   in Loop: Header=BB206_10 Depth=1
	v_and_b32_e32 v46, 7, v28
	v_ffbh_u32_e32 v50, v46
	v_min_u32_e32 v53, 32, v50
	v_subrev_u32_e32 v50, 28, v53
	v_lshlrev_b64 v[50:51], v50, v[28:29]
	v_lshrrev_b32_e32 v52, 3, v49
	v_sub_u32_e32 v28, 29, v53
	v_and_b32_e32 v50, 7, v50
	v_cmp_gt_u32_e64 s[4:5], 8, v49
	v_cndmask_b32_e64 v28, v52, v28, s[4:5]
	v_cndmask_b32_e64 v46, v46, v50, s[4:5]
	v_lshlrev_b32_e32 v48, 24, v48
	v_lshlrev_b32_e32 v46, 20, v46
	v_and_b32_e32 v48, 0x80000000, v48
	v_lshl_add_u32 v28, v28, 23, v38
	v_or3_b32 v46, v48, v28, v46
.LBB206_56:                             ;   in Loop: Header=BB206_10 Depth=1
	s_or_b64 exec, exec, s[42:43]
.LBB206_57:                             ;   in Loop: Header=BB206_10 Depth=1
	s_or_b64 exec, exec, s[40:41]
.LBB206_58:                             ;   in Loop: Header=BB206_10 Depth=1
	s_or_b64 exec, exec, s[16:17]
	global_load_ubyte v50, v[26:27], off offset:512
	v_mov_b32_e32 v48, 0
	v_mov_b32_e32 v49, 0
	s_waitcnt vmcnt(0)
	v_cmp_ne_u16_e64 s[4:5], 0, v50
	s_and_saveexec_b64 s[16:17], s[4:5]
	s_cbranch_execz .LBB206_64
; %bb.59:                               ;   in Loop: Header=BB206_10 Depth=1
	v_cmp_ne_u16_e64 s[4:5], s49, v50
	v_bfrev_b32_e32 v49, 1
	s_and_saveexec_b64 s[40:41], s[4:5]
	s_cbranch_execz .LBB206_63
; %bb.60:                               ;   in Loop: Header=BB206_10 Depth=1
	v_and_b32_e32 v28, 0xffff, v50
	v_and_b32_e32 v51, 0x7f, v28
	v_cmp_ne_u32_e64 s[4:5], s50, v51
	v_mov_b32_e32 v49, 0x7f800001
	s_and_saveexec_b64 s[42:43], s[4:5]
	s_cbranch_execz .LBB206_62
; %bb.61:                               ;   in Loop: Header=BB206_10 Depth=1
	v_and_b32_e32 v49, 7, v28
	v_ffbh_u32_e32 v52, v49
	v_min_u32_e32 v55, 32, v52
	v_subrev_u32_e32 v52, 28, v55
	v_lshlrev_b64 v[52:53], v52, v[28:29]
	v_lshrrev_b32_e32 v54, 3, v51
	v_sub_u32_e32 v28, 29, v55
	v_and_b32_e32 v52, 7, v52
	v_cmp_gt_u32_e64 s[4:5], 8, v51
	v_cndmask_b32_e64 v28, v54, v28, s[4:5]
	v_cndmask_b32_e64 v49, v49, v52, s[4:5]
	v_lshlrev_b32_e32 v50, 24, v50
	v_lshlrev_b32_e32 v49, 20, v49
	v_and_b32_e32 v50, 0x80000000, v50
	v_lshl_add_u32 v28, v28, 23, v38
	v_or3_b32 v49, v50, v28, v49
.LBB206_62:                             ;   in Loop: Header=BB206_10 Depth=1
	s_or_b64 exec, exec, s[42:43]
.LBB206_63:                             ;   in Loop: Header=BB206_10 Depth=1
	s_or_b64 exec, exec, s[40:41]
.LBB206_64:                             ;   in Loop: Header=BB206_10 Depth=1
	s_or_b64 exec, exec, s[16:17]
	global_load_ubyte v50, v[26:27], off offset:520
	s_waitcnt vmcnt(0)
	v_cmp_ne_u16_e64 s[4:5], 0, v50
	s_and_saveexec_b64 s[16:17], s[4:5]
	s_cbranch_execz .LBB206_70
; %bb.65:                               ;   in Loop: Header=BB206_10 Depth=1
	v_cmp_ne_u16_e64 s[4:5], s49, v50
	v_bfrev_b32_e32 v48, 1
	s_and_saveexec_b64 s[40:41], s[4:5]
	s_cbranch_execz .LBB206_69
; %bb.66:                               ;   in Loop: Header=BB206_10 Depth=1
	v_and_b32_e32 v28, 0xffff, v50
	v_and_b32_e32 v51, 0x7f, v28
	v_cmp_ne_u32_e64 s[4:5], s50, v51
	v_mov_b32_e32 v48, 0x7f800001
	s_and_saveexec_b64 s[42:43], s[4:5]
	s_cbranch_execz .LBB206_68
; %bb.67:                               ;   in Loop: Header=BB206_10 Depth=1
	v_and_b32_e32 v48, 7, v28
	v_ffbh_u32_e32 v52, v48
	v_min_u32_e32 v55, 32, v52
	v_subrev_u32_e32 v52, 28, v55
	v_lshlrev_b64 v[52:53], v52, v[28:29]
	v_lshrrev_b32_e32 v54, 3, v51
	v_sub_u32_e32 v28, 29, v55
	v_and_b32_e32 v52, 7, v52
	v_cmp_gt_u32_e64 s[4:5], 8, v51
	v_cndmask_b32_e64 v28, v54, v28, s[4:5]
	v_cndmask_b32_e64 v48, v48, v52, s[4:5]
	v_lshlrev_b32_e32 v50, 24, v50
	v_lshlrev_b32_e32 v48, 20, v48
	v_and_b32_e32 v50, 0x80000000, v50
	v_lshl_add_u32 v28, v28, 23, v38
	v_or3_b32 v48, v50, v28, v48
.LBB206_68:                             ;   in Loop: Header=BB206_10 Depth=1
	s_or_b64 exec, exec, s[42:43]
.LBB206_69:                             ;   in Loop: Header=BB206_10 Depth=1
	s_or_b64 exec, exec, s[40:41]
.LBB206_70:                             ;   in Loop: Header=BB206_10 Depth=1
	s_or_b64 exec, exec, s[16:17]
	global_load_ubyte v52, v[26:27], off offset:640
	v_mov_b32_e32 v50, 0
	v_mov_b32_e32 v51, 0
	s_waitcnt vmcnt(0)
	v_cmp_ne_u16_e64 s[4:5], 0, v52
	s_and_saveexec_b64 s[16:17], s[4:5]
	s_cbranch_execz .LBB206_76
; %bb.71:                               ;   in Loop: Header=BB206_10 Depth=1
	v_cmp_ne_u16_e64 s[4:5], s49, v52
	v_bfrev_b32_e32 v51, 1
	s_and_saveexec_b64 s[40:41], s[4:5]
	s_cbranch_execz .LBB206_75
; %bb.72:                               ;   in Loop: Header=BB206_10 Depth=1
	v_and_b32_e32 v28, 0xffff, v52
	v_and_b32_e32 v53, 0x7f, v28
	v_cmp_ne_u32_e64 s[4:5], s50, v53
	v_mov_b32_e32 v51, 0x7f800001
	s_and_saveexec_b64 s[42:43], s[4:5]
	s_cbranch_execz .LBB206_74
; %bb.73:                               ;   in Loop: Header=BB206_10 Depth=1
	v_and_b32_e32 v51, 7, v28
	v_ffbh_u32_e32 v54, v51
	v_min_u32_e32 v57, 32, v54
	v_subrev_u32_e32 v54, 28, v57
	v_lshlrev_b64 v[54:55], v54, v[28:29]
	v_lshrrev_b32_e32 v56, 3, v53
	v_sub_u32_e32 v28, 29, v57
	v_and_b32_e32 v54, 7, v54
	v_cmp_gt_u32_e64 s[4:5], 8, v53
	v_cndmask_b32_e64 v28, v56, v28, s[4:5]
	v_cndmask_b32_e64 v51, v51, v54, s[4:5]
	v_lshlrev_b32_e32 v52, 24, v52
	v_lshlrev_b32_e32 v51, 20, v51
	v_and_b32_e32 v52, 0x80000000, v52
	v_lshl_add_u32 v28, v28, 23, v38
	v_or3_b32 v51, v52, v28, v51
.LBB206_74:                             ;   in Loop: Header=BB206_10 Depth=1
	s_or_b64 exec, exec, s[42:43]
.LBB206_75:                             ;   in Loop: Header=BB206_10 Depth=1
	s_or_b64 exec, exec, s[40:41]
.LBB206_76:                             ;   in Loop: Header=BB206_10 Depth=1
	s_or_b64 exec, exec, s[16:17]
	global_load_ubyte v52, v[26:27], off offset:648
	s_waitcnt vmcnt(0)
	v_cmp_ne_u16_e64 s[4:5], 0, v52
	s_and_saveexec_b64 s[16:17], s[4:5]
	s_cbranch_execz .LBB206_82
; %bb.77:                               ;   in Loop: Header=BB206_10 Depth=1
	v_cmp_ne_u16_e64 s[4:5], s49, v52
	v_bfrev_b32_e32 v50, 1
	s_and_saveexec_b64 s[40:41], s[4:5]
	s_cbranch_execz .LBB206_81
; %bb.78:                               ;   in Loop: Header=BB206_10 Depth=1
	v_and_b32_e32 v28, 0xffff, v52
	v_and_b32_e32 v53, 0x7f, v28
	v_cmp_ne_u32_e64 s[4:5], s50, v53
	v_mov_b32_e32 v50, 0x7f800001
	s_and_saveexec_b64 s[42:43], s[4:5]
	s_cbranch_execz .LBB206_80
; %bb.79:                               ;   in Loop: Header=BB206_10 Depth=1
	v_and_b32_e32 v50, 7, v28
	v_ffbh_u32_e32 v54, v50
	v_min_u32_e32 v57, 32, v54
	v_subrev_u32_e32 v54, 28, v57
	v_lshlrev_b64 v[54:55], v54, v[28:29]
	v_lshrrev_b32_e32 v56, 3, v53
	v_sub_u32_e32 v28, 29, v57
	v_and_b32_e32 v54, 7, v54
	v_cmp_gt_u32_e64 s[4:5], 8, v53
	v_cndmask_b32_e64 v28, v56, v28, s[4:5]
	v_cndmask_b32_e64 v50, v50, v54, s[4:5]
	v_lshlrev_b32_e32 v52, 24, v52
	v_lshlrev_b32_e32 v50, 20, v50
	v_and_b32_e32 v52, 0x80000000, v52
	v_lshl_add_u32 v28, v28, 23, v38
	v_or3_b32 v50, v52, v28, v50
.LBB206_80:                             ;   in Loop: Header=BB206_10 Depth=1
	s_or_b64 exec, exec, s[42:43]
.LBB206_81:                             ;   in Loop: Header=BB206_10 Depth=1
	s_or_b64 exec, exec, s[40:41]
.LBB206_82:                             ;   in Loop: Header=BB206_10 Depth=1
	s_or_b64 exec, exec, s[16:17]
	global_load_ubyte v54, v[26:27], off offset:768
	v_mov_b32_e32 v52, 0
	v_mov_b32_e32 v53, 0
	s_waitcnt vmcnt(0)
	v_cmp_ne_u16_e64 s[4:5], 0, v54
	s_and_saveexec_b64 s[16:17], s[4:5]
	s_cbranch_execz .LBB206_88
; %bb.83:                               ;   in Loop: Header=BB206_10 Depth=1
	v_cmp_ne_u16_e64 s[4:5], s49, v54
	v_bfrev_b32_e32 v53, 1
	s_and_saveexec_b64 s[40:41], s[4:5]
	s_cbranch_execz .LBB206_87
; %bb.84:                               ;   in Loop: Header=BB206_10 Depth=1
	v_and_b32_e32 v28, 0xffff, v54
	v_and_b32_e32 v55, 0x7f, v28
	v_cmp_ne_u32_e64 s[4:5], s50, v55
	v_mov_b32_e32 v53, 0x7f800001
	s_and_saveexec_b64 s[42:43], s[4:5]
	s_cbranch_execz .LBB206_86
; %bb.85:                               ;   in Loop: Header=BB206_10 Depth=1
	v_and_b32_e32 v53, 7, v28
	v_ffbh_u32_e32 v56, v53
	v_min_u32_e32 v59, 32, v56
	v_subrev_u32_e32 v56, 28, v59
	v_lshlrev_b64 v[56:57], v56, v[28:29]
	v_lshrrev_b32_e32 v58, 3, v55
	v_sub_u32_e32 v28, 29, v59
	v_and_b32_e32 v56, 7, v56
	v_cmp_gt_u32_e64 s[4:5], 8, v55
	v_cndmask_b32_e64 v28, v58, v28, s[4:5]
	v_cndmask_b32_e64 v53, v53, v56, s[4:5]
	v_lshlrev_b32_e32 v54, 24, v54
	v_lshlrev_b32_e32 v53, 20, v53
	v_and_b32_e32 v54, 0x80000000, v54
	v_lshl_add_u32 v28, v28, 23, v38
	v_or3_b32 v53, v54, v28, v53
.LBB206_86:                             ;   in Loop: Header=BB206_10 Depth=1
	s_or_b64 exec, exec, s[42:43]
.LBB206_87:                             ;   in Loop: Header=BB206_10 Depth=1
	s_or_b64 exec, exec, s[40:41]
.LBB206_88:                             ;   in Loop: Header=BB206_10 Depth=1
	s_or_b64 exec, exec, s[16:17]
	global_load_ubyte v54, v[26:27], off offset:776
	s_waitcnt vmcnt(0)
	v_cmp_ne_u16_e64 s[4:5], 0, v54
	s_and_saveexec_b64 s[16:17], s[4:5]
	s_cbranch_execz .LBB206_94
; %bb.89:                               ;   in Loop: Header=BB206_10 Depth=1
	v_cmp_ne_u16_e64 s[4:5], s49, v54
	v_bfrev_b32_e32 v52, 1
	s_and_saveexec_b64 s[40:41], s[4:5]
	s_cbranch_execz .LBB206_93
; %bb.90:                               ;   in Loop: Header=BB206_10 Depth=1
	v_and_b32_e32 v28, 0xffff, v54
	v_and_b32_e32 v55, 0x7f, v28
	v_cmp_ne_u32_e64 s[4:5], s50, v55
	v_mov_b32_e32 v52, 0x7f800001
	s_and_saveexec_b64 s[42:43], s[4:5]
	s_cbranch_execz .LBB206_92
; %bb.91:                               ;   in Loop: Header=BB206_10 Depth=1
	v_and_b32_e32 v52, 7, v28
	v_ffbh_u32_e32 v56, v52
	v_min_u32_e32 v59, 32, v56
	v_subrev_u32_e32 v56, 28, v59
	v_lshlrev_b64 v[56:57], v56, v[28:29]
	v_lshrrev_b32_e32 v58, 3, v55
	v_sub_u32_e32 v28, 29, v59
	v_and_b32_e32 v56, 7, v56
	v_cmp_gt_u32_e64 s[4:5], 8, v55
	v_cndmask_b32_e64 v28, v58, v28, s[4:5]
	v_cndmask_b32_e64 v52, v52, v56, s[4:5]
	v_lshlrev_b32_e32 v54, 24, v54
	v_lshlrev_b32_e32 v52, 20, v52
	v_and_b32_e32 v54, 0x80000000, v54
	v_lshl_add_u32 v28, v28, 23, v38
	v_or3_b32 v52, v54, v28, v52
.LBB206_92:                             ;   in Loop: Header=BB206_10 Depth=1
	s_or_b64 exec, exec, s[42:43]
.LBB206_93:                             ;   in Loop: Header=BB206_10 Depth=1
	s_or_b64 exec, exec, s[40:41]
.LBB206_94:                             ;   in Loop: Header=BB206_10 Depth=1
	s_or_b64 exec, exec, s[16:17]
	global_load_ubyte v56, v[26:27], off offset:896
	v_mov_b32_e32 v54, 0
	v_mov_b32_e32 v55, 0
	s_waitcnt vmcnt(0)
	v_cmp_ne_u16_e64 s[4:5], 0, v56
	s_and_saveexec_b64 s[16:17], s[4:5]
	s_cbranch_execz .LBB206_100
; %bb.95:                               ;   in Loop: Header=BB206_10 Depth=1
	v_cmp_ne_u16_e64 s[4:5], s49, v56
	v_bfrev_b32_e32 v55, 1
	s_and_saveexec_b64 s[40:41], s[4:5]
	s_cbranch_execz .LBB206_99
; %bb.96:                               ;   in Loop: Header=BB206_10 Depth=1
	v_and_b32_e32 v28, 0xffff, v56
	v_and_b32_e32 v57, 0x7f, v28
	v_cmp_ne_u32_e64 s[4:5], s50, v57
	v_mov_b32_e32 v55, 0x7f800001
	s_and_saveexec_b64 s[42:43], s[4:5]
	s_cbranch_execz .LBB206_98
; %bb.97:                               ;   in Loop: Header=BB206_10 Depth=1
	v_and_b32_e32 v55, 7, v28
	v_ffbh_u32_e32 v58, v55
	v_min_u32_e32 v61, 32, v58
	v_subrev_u32_e32 v58, 28, v61
	v_lshlrev_b64 v[58:59], v58, v[28:29]
	v_lshrrev_b32_e32 v60, 3, v57
	v_sub_u32_e32 v28, 29, v61
	v_and_b32_e32 v58, 7, v58
	v_cmp_gt_u32_e64 s[4:5], 8, v57
	v_cndmask_b32_e64 v28, v60, v28, s[4:5]
	v_cndmask_b32_e64 v55, v55, v58, s[4:5]
	v_lshlrev_b32_e32 v56, 24, v56
	v_lshlrev_b32_e32 v55, 20, v55
	v_and_b32_e32 v56, 0x80000000, v56
	v_lshl_add_u32 v28, v28, 23, v38
	v_or3_b32 v55, v56, v28, v55
.LBB206_98:                             ;   in Loop: Header=BB206_10 Depth=1
	s_or_b64 exec, exec, s[42:43]
.LBB206_99:                             ;   in Loop: Header=BB206_10 Depth=1
	s_or_b64 exec, exec, s[40:41]
.LBB206_100:                            ;   in Loop: Header=BB206_10 Depth=1
	s_or_b64 exec, exec, s[16:17]
	global_load_ubyte v27, v[26:27], off offset:904
	s_waitcnt vmcnt(0)
	v_cmp_ne_u16_e64 s[4:5], 0, v27
	s_and_saveexec_b64 s[16:17], s[4:5]
	s_cbranch_execz .LBB206_106
; %bb.101:                              ;   in Loop: Header=BB206_10 Depth=1
	v_cmp_ne_u16_e64 s[4:5], s49, v27
	v_bfrev_b32_e32 v54, 1
	s_and_saveexec_b64 s[40:41], s[4:5]
	s_cbranch_execz .LBB206_105
; %bb.102:                              ;   in Loop: Header=BB206_10 Depth=1
	v_and_b32_e32 v26, 0xffff, v27
	v_and_b32_e32 v28, 0x7f, v26
	v_cmp_ne_u32_e64 s[4:5], s50, v28
	v_mov_b32_e32 v54, 0x7f800001
	s_and_saveexec_b64 s[42:43], s[4:5]
	s_cbranch_execz .LBB206_104
; %bb.103:                              ;   in Loop: Header=BB206_10 Depth=1
	v_and_b32_e32 v54, 7, v26
	v_ffbh_u32_e32 v56, v54
	v_min_u32_e32 v59, 32, v56
	v_subrev_u32_e32 v56, 28, v59
	v_lshlrev_b64 v[56:57], v56, v[26:27]
	v_lshrrev_b32_e32 v58, 3, v28
	v_sub_u32_e32 v26, 29, v59
	v_and_b32_e32 v56, 7, v56
	v_cmp_gt_u32_e64 s[4:5], 8, v28
	v_cndmask_b32_e64 v26, v58, v26, s[4:5]
	v_cndmask_b32_e64 v28, v54, v56, s[4:5]
	v_lshlrev_b32_e32 v27, 24, v27
	v_lshlrev_b32_e32 v28, 20, v28
	v_and_b32_e32 v27, 0x80000000, v27
	v_lshl_add_u32 v26, v26, 23, v38
	v_or3_b32 v54, v27, v26, v28
.LBB206_104:                            ;   in Loop: Header=BB206_10 Depth=1
	s_or_b64 exec, exec, s[42:43]
.LBB206_105:                            ;   in Loop: Header=BB206_10 Depth=1
	s_or_b64 exec, exec, s[40:41]
.LBB206_106:                            ;   in Loop: Header=BB206_10 Depth=1
	s_or_b64 exec, exec, s[16:17]
	s_waitcnt lgkmcnt(0)
	v_mul_f32_e32 v41, s47, v41
	v_mul_f32_e32 v40, s47, v40
	;; [unrolled: 1-line block ×4, first 2 shown]
	v_fmac_f32_e32 v41, v2, v40
	v_mul_f32_e32 v42, s47, v42
	v_fmac_f32_e32 v41, v4, v43
	v_mul_f32_e32 v45, s47, v45
	;; [unrolled: 2-line block ×13, first 2 shown]
	v_fmac_f32_e32 v41, v16, v26
	v_fmac_f32_e32 v41, v17, v52
	ds_bpermute_b32 v26, v32, v41
	s_waitcnt lgkmcnt(0)
	v_add_f32_e32 v26, v41, v26
	ds_bpermute_b32 v27, v34, v26
	s_waitcnt lgkmcnt(0)
	v_add_f32_e32 v26, v26, v27
	ds_bpermute_b32 v27, v35, v26
	s_and_saveexec_b64 s[16:17], vcc
	s_cbranch_execz .LBB206_9
; %bb.107:                              ;   in Loop: Header=BB206_10 Depth=1
	v_add_u32_e32 v28, s48, v36
	v_cvt_f32_i32_e32 v28, v28
	s_waitcnt lgkmcnt(0)
	v_add_f32_e32 v26, v26, v27
	v_cmp_gt_i32_e64 s[4:5], s29, v36
	v_max_f32_e32 v27, v33, v33
	v_mul_f32_e32 v28, s45, v28
	v_cndmask_b32_e64 v28, 0, v28, s[2:3]
	v_fmac_f32_e32 v28, s11, v26
	v_cndmask_b32_e64 v26, 0, v28, s[4:5]
	ds_write_b32 v37, v26
	v_max_f32_e32 v26, v27, v28
	v_cndmask_b32_e64 v33, v33, v26, s[4:5]
	s_branch .LBB206_9
.LBB206_108:
	s_or_b64 exec, exec, s[14:15]
.LBB206_109:
	s_or_b64 exec, exec, s[38:39]
	v_xor_b32_e32 v2, 32, v30
	v_cmp_lt_i32_e32 vcc, v2, v31
	v_cndmask_b32_e32 v2, v30, v2, vcc
	v_lshlrev_b32_e32 v3, 2, v2
	ds_bpermute_b32 v2, v3, v33
	v_xor_b32_e32 v5, 16, v30
	v_max_f32_e32 v4, v33, v33
	v_cmp_lt_i32_e32 vcc, v5, v31
	v_and_b32_e32 v40, 63, v0
	s_waitcnt lgkmcnt(0)
	v_max_f32_e32 v2, v2, v2
	v_max_f32_e32 v2, v4, v2
	v_cndmask_b32_e32 v4, v30, v5, vcc
	v_lshlrev_b32_e32 v6, 2, v4
	ds_bpermute_b32 v4, v6, v2
	v_xor_b32_e32 v5, 8, v30
	v_cmp_lt_i32_e32 vcc, v5, v31
	s_waitcnt lgkmcnt(0)
	v_max_f32_e32 v4, v4, v4
	v_max_f32_e32 v4, v2, v4
	v_cndmask_b32_e32 v2, v30, v5, vcc
	v_lshlrev_b32_e32 v7, 2, v2
	ds_bpermute_b32 v5, v7, v4
	v_cmp_eq_u32_e32 vcc, 0, v40
	v_lshlrev_b32_e32 v2, 2, v29
	s_and_saveexec_b64 s[2:3], vcc
	s_cbranch_execz .LBB206_111
; %bb.110:
	s_waitcnt lgkmcnt(0)
	v_max_f32_e32 v5, v5, v5
	v_max_f32_e32 v4, v4, v4
	;; [unrolled: 1-line block ×3, first 2 shown]
	ds_write_b32 v2, v4 offset:512
.LBB206_111:
	s_or_b64 exec, exec, s[2:3]
	v_cmp_gt_u32_e64 s[2:3], 2, v40
	v_mov_b32_e32 v4, 0xff7fffff
	s_waitcnt lgkmcnt(0)
	v_lshlrev_b32_e32 v5, 2, v40
	s_barrier
	s_and_saveexec_b64 s[4:5], s[2:3]
	s_cbranch_execz .LBB206_113
; %bb.112:
	ds_read_b32 v4, v5 offset:512
.LBB206_113:
	s_or_b64 exec, exec, s[4:5]
	v_xor_b32_e32 v8, 1, v30
	v_cmp_lt_i32_e64 s[4:5], v8, v31
	v_cndmask_b32_e64 v8, v30, v8, s[4:5]
	v_lshlrev_b32_e32 v41, 2, v8
	s_waitcnt lgkmcnt(0)
	ds_bpermute_b32 v8, v41, v4
	v_max_f32_e32 v4, v4, v4
	s_sub_i32 s4, s33, s10
	s_lshl_b32 s4, s4, 3
	s_add_i32 s4, s4, s44
	s_waitcnt lgkmcnt(0)
	v_max_f32_e32 v8, v8, v8
	v_max_f32_e32 v4, v4, v8
	v_lshlrev_b32_e32 v8, 2, v30
	v_and_b32_e32 v8, 0xffffff00, v8
	ds_bpermute_b32 v4, v8, v4
	s_min_i32 s39, s4, s29
	s_sub_i32 s38, s39, s44
	v_cmp_gt_i32_e64 s[4:5], s38, v0
	v_mov_b32_e32 v9, 0
	s_and_saveexec_b64 s[14:15], s[4:5]
	s_cbranch_execz .LBB206_117
; %bb.114:
	v_mov_b32_e32 v9, 0x210
	v_lshl_add_u32 v10, v0, 2, v9
	s_mov_b64 s[16:17], 0
	v_mov_b32_e32 v9, 0
	v_mov_b32_e32 v11, v0
.LBB206_115:                            ; =>This Inner Loop Header: Depth=1
	ds_read_b32 v12, v10
	v_add_u32_e32 v11, 0x80, v11
	v_cmp_le_i32_e64 s[10:11], s38, v11
	s_or_b64 s[16:17], s[10:11], s[16:17]
	s_waitcnt lgkmcnt(0)
	v_sub_f32_e32 v12, v12, v4
	v_mul_f32_e32 v12, 0x3fb8aa3b, v12
	v_exp_f32_e32 v12, v12
	ds_write_b32 v10, v12
	v_add_f32_e32 v9, v9, v12
	v_add_u32_e32 v10, 0x200, v10
	s_andn2_b64 exec, exec, s[16:17]
	s_cbranch_execnz .LBB206_115
; %bb.116:
	s_or_b64 exec, exec, s[16:17]
.LBB206_117:
	s_or_b64 exec, exec, s[14:15]
	ds_bpermute_b32 v3, v3, v9
	s_waitcnt lgkmcnt(0)
	v_add_f32_e32 v3, v9, v3
	ds_bpermute_b32 v6, v6, v3
	s_waitcnt lgkmcnt(0)
	v_add_f32_e32 v3, v3, v6
	ds_bpermute_b32 v6, v7, v3
	v_xor_b32_e32 v7, 4, v30
	v_cmp_lt_i32_e64 s[10:11], v7, v31
	v_cndmask_b32_e64 v7, v30, v7, s[10:11]
	v_lshlrev_b32_e32 v7, 2, v7
	s_waitcnt lgkmcnt(0)
	v_add_f32_e32 v3, v3, v6
	ds_bpermute_b32 v6, v7, v3
	v_xor_b32_e32 v7, 2, v30
	v_cmp_lt_i32_e64 s[10:11], v7, v31
	v_cndmask_b32_e64 v7, v30, v7, s[10:11]
	s_waitcnt lgkmcnt(0)
	v_add_f32_e32 v3, v3, v6
	v_lshlrev_b32_e32 v6, 2, v7
	ds_bpermute_b32 v6, v6, v3
	s_waitcnt lgkmcnt(0)
	v_add_f32_e32 v3, v3, v6
	ds_bpermute_b32 v6, v41, v3
	s_waitcnt lgkmcnt(0)
	v_add_f32_e32 v3, v3, v6
	s_and_saveexec_b64 s[10:11], vcc
	s_cbranch_execz .LBB206_119
; %bb.118:
	ds_write_b32 v2, v3 offset:520
.LBB206_119:
	s_or_b64 exec, exec, s[10:11]
	s_waitcnt lgkmcnt(0)
	s_barrier
	s_and_saveexec_b64 s[10:11], s[2:3]
	s_cbranch_execz .LBB206_121
; %bb.120:
	ds_read_b32 v3, v5 offset:520
.LBB206_121:
	s_or_b64 exec, exec, s[10:11]
	s_waitcnt lgkmcnt(0)
	ds_bpermute_b32 v2, v41, v3
	s_waitcnt lgkmcnt(0)
	v_add_f32_e32 v2, v3, v2
	ds_bpermute_b32 v5, v8, v2
	s_and_saveexec_b64 s[2:3], s[4:5]
	s_cbranch_execz .LBB206_134
; %bb.122:
	s_waitcnt lgkmcnt(0)
	v_add_f32_e32 v2, 0x358637bd, v5
	v_div_scale_f32 v3, s[4:5], v2, v2, 1.0
	v_rcp_f32_e32 v6, v3
	v_div_scale_f32 v7, vcc, 1.0, v2, 1.0
	s_movk_i32 s4, 0x7f
	v_fma_f32 v8, -v3, v6, 1.0
	v_fmac_f32_e32 v6, v8, v6
	v_mul_f32_e32 v8, v7, v6
	v_fma_f32 v9, -v3, v8, v7
	v_fmac_f32_e32 v8, v9, v6
	v_fma_f32 v3, -v3, v8, v7
	v_div_fmas_f32 v3, v3, v6, v8
	v_div_fixup_f32 v2, v3, v2, 1.0
	v_xad_u32 v3, v0, -1, s39
	v_subrev_u32_e32 v6, s44, v3
	v_cmp_lt_u32_e32 vcc, s4, v6
	s_mov_b64 s[10:11], -1
	v_mov_b32_e32 v3, v0
	s_and_saveexec_b64 s[4:5], vcc
	s_cbranch_execz .LBB206_131
; %bb.123:
	v_lshrrev_b32_e32 v6, 7, v6
	v_add_u32_e32 v8, -1, v6
	v_lshrrev_b32_e32 v7, 1, v8
	v_mov_b32_e32 v3, v2
	v_add_u32_e32 v7, 1, v7
	v_cmp_lt_u32_e32 vcc, 13, v8
	v_mov_b32_e32 v10, 0
	s_and_saveexec_b64 s[10:11], vcc
	s_cbranch_execz .LBB206_127
; %bb.124:
	v_mov_b32_e32 v9, 0x210
	v_and_b32_e32 v8, -8, v7
	v_lshl_add_u32 v9, v0, 2, v9
	s_mov_b32 s16, 0
	s_mov_b64 s[14:15], 0
.LBB206_125:                            ; =>This Inner Loop Header: Depth=1
	ds_read2st64_b32 v[10:11], v9 offset1:2
	ds_read2st64_b32 v[12:13], v9 offset0:4 offset1:6
	ds_read2st64_b32 v[14:15], v9 offset0:8 offset1:10
	;; [unrolled: 1-line block ×3, first 2 shown]
	v_add_u32_e32 v8, -8, v8
	s_waitcnt lgkmcnt(3)
	v_pk_mul_f32 v[10:11], v[2:3], v[10:11]
	s_waitcnt lgkmcnt(2)
	v_pk_mul_f32 v[12:13], v[2:3], v[12:13]
	ds_write2st64_b32 v9, v10, v11 offset1:2
	ds_write2st64_b32 v9, v12, v13 offset0:4 offset1:6
	ds_read2st64_b32 v[12:13], v9 offset0:16 offset1:18
	s_waitcnt lgkmcnt(4)
	v_pk_mul_f32 v[10:11], v[2:3], v[14:15]
	ds_write2st64_b32 v9, v10, v11 offset0:8 offset1:10
	s_waitcnt lgkmcnt(4)
	v_pk_mul_f32 v[10:11], v[2:3], v[16:17]
	ds_write2st64_b32 v9, v10, v11 offset0:12 offset1:14
	ds_read2st64_b32 v[10:11], v9 offset0:20 offset1:22
	s_waitcnt lgkmcnt(3)
	v_pk_mul_f32 v[12:13], v[2:3], v[12:13]
	ds_read2st64_b32 v[14:15], v9 offset0:24 offset1:26
	ds_write2st64_b32 v9, v12, v13 offset0:16 offset1:18
	ds_read2st64_b32 v[12:13], v9 offset0:28 offset1:30
	s_waitcnt lgkmcnt(3)
	v_pk_mul_f32 v[10:11], v[2:3], v[10:11]
	ds_write2st64_b32 v9, v10, v11 offset0:20 offset1:22
	s_waitcnt lgkmcnt(3)
	v_pk_mul_f32 v[10:11], v[2:3], v[14:15]
	ds_write2st64_b32 v9, v10, v11 offset0:24 offset1:26
	s_waitcnt lgkmcnt(2)
	v_pk_mul_f32 v[10:11], v[2:3], v[12:13]
	s_add_i32 s16, s16, 16
	v_cmp_eq_u32_e32 vcc, 0, v8
	ds_write2st64_b32 v9, v10, v11 offset0:28 offset1:30
	v_add_u32_e32 v9, 0x2000, v9
	s_or_b64 s[14:15], vcc, s[14:15]
	v_mov_b32_e32 v10, s16
	s_andn2_b64 exec, exec, s[14:15]
	s_cbranch_execnz .LBB206_125
; %bb.126:
	s_or_b64 exec, exec, s[14:15]
.LBB206_127:
	s_or_b64 exec, exec, s[10:11]
	v_and_b32_e32 v7, 7, v7
	v_cmp_ne_u32_e32 vcc, 0, v7
	s_and_saveexec_b64 s[10:11], vcc
	s_cbranch_execz .LBB206_130
; %bb.128:
	v_lshlrev_b32_e32 v8, 9, v10
	s_movk_i32 s14, 0x210
	v_add3_u32 v8, v8, v21, s14
	s_mov_b64 s[14:15], 0
.LBB206_129:                            ; =>This Inner Loop Header: Depth=1
	ds_read2st64_b32 v[10:11], v8 offset1:2
	v_add_u32_e32 v7, -1, v7
	v_cmp_eq_u32_e32 vcc, 0, v7
	s_or_b64 s[14:15], vcc, s[14:15]
	s_waitcnt lgkmcnt(0)
	v_pk_mul_f32 v[10:11], v[2:3], v[10:11]
	ds_write2st64_b32 v8, v10, v11 offset1:2
	v_add_u32_e32 v8, 0x400, v8
	s_andn2_b64 exec, exec, s[14:15]
	s_cbranch_execnz .LBB206_129
.LBB206_130:
	s_or_b64 exec, exec, s[10:11]
	v_add_u32_e32 v6, 1, v6
	v_and_b32_e32 v7, 0x3fffffe, v6
	v_cmp_ne_u32_e32 vcc, v6, v7
	v_lshl_add_u32 v3, v7, 7, v0
	s_orn2_b64 s[10:11], vcc, exec
.LBB206_131:
	s_or_b64 exec, exec, s[4:5]
	s_and_b64 exec, exec, s[10:11]
	s_cbranch_execz .LBB206_134
; %bb.132:
	v_mov_b32_e32 v6, 0x210
	v_lshl_add_u32 v6, v3, 2, v6
	s_mov_b64 s[4:5], 0
.LBB206_133:                            ; =>This Inner Loop Header: Depth=1
	ds_read_b32 v7, v6
	v_add_u32_e32 v3, 0x80, v3
	v_cmp_le_i32_e32 vcc, s38, v3
	s_or_b64 s[4:5], vcc, s[4:5]
	s_waitcnt lgkmcnt(0)
	v_mul_f32_e32 v7, v2, v7
	ds_write_b32 v6, v7
	v_add_u32_e32 v6, 0x200, v6
	s_andn2_b64 exec, exec, s[4:5]
	s_cbranch_execnz .LBB206_133
.LBB206_134:
	s_or_b64 exec, exec, s[2:3]
	s_mul_i32 s2, s25, s28
	v_cmp_eq_u32_e32 vcc, 0, v0
	s_mul_i32 s2, s2, s9
	s_waitcnt lgkmcnt(0)
	s_barrier
	s_and_saveexec_b64 s[4:5], vcc
	s_cbranch_execz .LBB206_136
; %bb.135:
	s_ashr_i32 s3, s2, 31
	s_lshl_b64 s[10:11], s[2:3], 2
	s_add_u32 s3, s22, s10
	s_mul_i32 s14, s25, s6
	s_addc_u32 s9, s23, s11
	s_ashr_i32 s15, s14, 31
	s_lshl_b64 s[14:15], s[14:15], 2
	s_add_u32 s3, s3, s14
	s_addc_u32 s6, s9, s15
	s_ashr_i32 s9, s8, 31
	s_lshl_b64 s[16:17], s[8:9], 2
	s_add_u32 s22, s3, s16
	s_addc_u32 s23, s6, s17
	s_add_u32 s3, s20, s10
	s_addc_u32 s6, s21, s11
	;; [unrolled: 2-line block ×3, first 2 shown]
	s_add_u32 s10, s3, s16
	v_mov_b32_e32 v2, 0
	s_addc_u32 s11, s6, s17
	global_store_dword v2, v4, s[22:23]
	global_store_dword v2, v5, s[10:11]
.LBB206_136:
	s_or_b64 exec, exec, s[4:5]
	s_mov_b32 s6, 0
	v_mov_b32_e32 v9, 0
	v_and_b32_e32 v42, 1, v0
	v_mov_b32_e32 v8, 0
	v_mov_b32_e32 v13, 0
	;; [unrolled: 1-line block ×3, first 2 shown]
	s_and_saveexec_b64 s[4:5], s[0:1]
	s_cbranch_execz .LBB206_244
; %bb.137:
	s_ashr_i32 s0, s12, 31
	s_add_u32 s1, s36, s12
	v_and_b32_e32 v3, 0xfc, v21
	v_and_b32_e32 v2, 4, v21
	s_load_dword s10, s[18:19], 0x0
	s_addc_u32 s0, s37, s0
	v_add_co_u32_e32 v10, vcc, s1, v3
	v_lshl_add_u32 v3, v29, 3, s44
	s_add_i32 s9, s7, -1
	v_mov_b32_e32 v4, s0
	v_add3_u32 v43, v3, v2, 3
	v_lshlrev_b32_e32 v2, 4, v42
	s_lshl_b64 s[0:1], s[34:35], 2
	v_lshl_or_b32 v2, v29, 5, v2
	s_add_u32 s0, s30, s0
	v_addc_co_u32_e32 v11, vcc, 0, v4, vcc
	v_add_u32_e32 v44, 0x210, v2
	v_lshlrev_b64 v[2:3], 2, v[18:19]
	s_addc_u32 s1, s31, s1
	v_mov_b32_e32 v4, s1
	v_add_co_u32_e32 v14, vcc, s0, v2
	s_mov_b32 s3, s13
	s_waitcnt lgkmcnt(0)
	s_mov_b32 s11, s10
	v_mov_b32_e32 v7, 0
	v_addc_co_u32_e32 v15, vcc, v4, v3, vcc
	s_mov_b64 s[12:13], 0
	s_movk_i32 s22, 0x80
	s_movk_i32 s23, 0x7f
	s_brev_b32 s7, 1
	s_mov_b32 s15, 0x7f800001
	s_mov_b32 s28, 0xffffff
	v_bfrev_b32_e32 v19, 60
	v_mov_b32_e32 v45, 7
	v_mov_b32_e32 v46, 24
	;; [unrolled: 1-line block ×6, first 2 shown]
	s_branch .LBB206_139
.LBB206_138:                            ;   in Loop: Header=BB206_139 Depth=1
	s_or_b64 exec, exec, s[0:1]
	s_waitcnt lgkmcnt(0)
	v_mul_f32_e32 v6, v3, v17
	v_fmac_f32_e32 v6, v2, v16
	v_fmac_f32_e32 v6, v4, v20
	;; [unrolled: 1-line block ×3, first 2 shown]
	v_add_f32_e32 v12, v12, v6
	v_mul_f32_e32 v6, v3, v25
	v_fmac_f32_e32 v6, v2, v24
	v_fmac_f32_e32 v6, v4, v26
	v_fmac_f32_e32 v6, v5, v27
	v_add_f32_e32 v13, v13, v6
	v_mul_f32_e32 v6, v3, v29
	v_mul_f32_e32 v3, v3, v23
	v_fmac_f32_e32 v6, v2, v28
	v_fmac_f32_e32 v3, v2, v22
	v_add_u32_e32 v18, 2, v18
	v_fmac_f32_e32 v6, v4, v30
	v_fmac_f32_e32 v3, v4, v32
	v_cmp_le_i32_e32 vcc, s33, v18
	v_fmac_f32_e32 v6, v5, v31
	v_fmac_f32_e32 v3, v5, v33
	s_or_b64 s[12:13], vcc, s[12:13]
	v_add_co_u32_e32 v14, vcc, 8, v14
	v_add_f32_e32 v8, v8, v6
	v_add_f32_e32 v9, v9, v3
	v_add_u32_e32 v43, 16, v43
	v_add_u32_e32 v44, 64, v44
	v_addc_co_u32_e32 v15, vcc, 0, v15, vcc
	s_andn2_b64 exec, exec, s[12:13]
	s_cbranch_execz .LBB206_243
.LBB206_139:                            ; =>This Inner Loop Header: Depth=1
	global_load_dword v2, v[14:15], off
	v_pk_mov_b32 v[24:25], 0, 0
	v_pk_mov_b32 v[20:21], v[24:25], v[24:25] op_sel:[0,1]
	s_waitcnt vmcnt(0)
	v_mad_i64_i32 v[22:23], s[0:1], v2, s3, v[10:11]
	global_load_dword v16, v[22:23], off
	ds_read_b128 v[2:5], v44
	s_waitcnt vmcnt(0)
	v_cmp_ne_u16_sdwa s[16:17], v16, v7 src0_sel:BYTE_0 src1_sel:DWORD
	s_and_saveexec_b64 s[0:1], s[16:17]
	s_cbranch_execz .LBB206_145
; %bb.140:                              ;   in Loop: Header=BB206_139 Depth=1
	v_bfrev_b32_e32 v20, 1
	v_cmp_ne_u16_sdwa s[18:19], v16, s22 src0_sel:BYTE_0 src1_sel:DWORD
	v_mov_b32_e32 v21, 0
	s_and_saveexec_b64 s[16:17], s[18:19]
	s_cbranch_execz .LBB206_144
; %bb.141:                              ;   in Loop: Header=BB206_139 Depth=1
	v_and_b32_e32 v6, 0x7f, v16
	v_mov_b32_e32 v20, 0x7f800001
	v_cmp_ne_u32_e32 vcc, s23, v6
	v_mov_b32_e32 v21, 0
	s_and_saveexec_b64 s[18:19], vcc
	s_cbranch_execz .LBB206_143
; %bb.142:                              ;   in Loop: Header=BB206_139 Depth=1
	v_and_b32_e32 v17, 7, v16
	v_ffbh_u32_e32 v20, v17
	v_min_u32_e32 v27, 32, v20
	v_subrev_u32_e32 v20, 28, v27
	v_lshlrev_b64 v[20:21], v20, v[16:17]
	v_lshrrev_b32_e32 v26, 3, v6
	v_sub_u32_e32 v21, 29, v27
	v_and_b32_e32 v20, 7, v20
	v_cmp_gt_u32_e32 vcc, 8, v6
	v_cndmask_b32_e32 v6, v26, v21, vcc
	v_cndmask_b32_e32 v17, v17, v20, vcc
	v_lshlrev_b32_e32 v17, 20, v17
	v_and_b32_sdwa v20, sext(v16), s7 dst_sel:DWORD dst_unused:UNUSED_PAD src0_sel:BYTE_0 src1_sel:DWORD
	v_lshl_add_u32 v6, v6, 23, v19
	v_or3_b32 v6, v20, v6, v17
	v_pk_mov_b32 v[20:21], v[6:7], v[6:7] op_sel:[0,1]
.LBB206_143:                            ;   in Loop: Header=BB206_139 Depth=1
	s_or_b64 exec, exec, s[18:19]
.LBB206_144:                            ;   in Loop: Header=BB206_139 Depth=1
	s_or_b64 exec, exec, s[16:17]
.LBB206_145:                            ;   in Loop: Header=BB206_139 Depth=1
	s_or_b64 exec, exec, s[0:1]
	v_cmp_ne_u16_sdwa s[16:17], v16, v7 src0_sel:BYTE_1 src1_sel:DWORD
	s_and_saveexec_b64 s[0:1], s[16:17]
	s_cbranch_execz .LBB206_151
; %bb.146:                              ;   in Loop: Header=BB206_139 Depth=1
	v_cmp_ne_u16_sdwa s[18:19], v16, s22 src0_sel:BYTE_1 src1_sel:DWORD
	v_pk_mov_b32 v[24:25], s[6:7], s[6:7] op_sel:[0,1]
	s_and_saveexec_b64 s[16:17], s[18:19]
	s_cbranch_execz .LBB206_150
; %bb.147:                              ;   in Loop: Header=BB206_139 Depth=1
	v_and_b32_sdwa v17, v16, s23 dst_sel:DWORD dst_unused:UNUSED_PAD src0_sel:BYTE_1 src1_sel:DWORD
	s_mov_b32 s14, s6
	v_cmp_ne_u32_e32 vcc, s23, v17
	v_pk_mov_b32 v[24:25], s[14:15], s[14:15] op_sel:[0,1]
	s_and_saveexec_b64 s[18:19], vcc
	s_cbranch_execz .LBB206_149
; %bb.148:                              ;   in Loop: Header=BB206_139 Depth=1
	v_and_b32_sdwa v6, v16, v45 dst_sel:DWORD dst_unused:UNUSED_PAD src0_sel:BYTE_1 src1_sel:DWORD
	v_ffbh_u32_e32 v24, v6
	v_min_u32_e32 v27, 32, v24
	v_subrev_u32_e32 v24, 28, v27
	v_lshlrev_b64 v[24:25], v24, v[6:7]
	v_lshrrev_b32_e32 v26, 3, v17
	v_sub_u32_e32 v25, 29, v27
	v_cmp_gt_u32_e32 vcc, 8, v17
	v_and_b32_e32 v24, 7, v24
	v_cndmask_b32_e32 v17, v26, v25, vcc
	v_cndmask_b32_e32 v6, v6, v24, vcc
	v_lshlrev_b32_e32 v24, 16, v16
	v_lshl_add_u32 v17, v17, 23, v19
	v_and_or_b32 v17, v24, s7, v17
	v_lshlrev_b32_e32 v6, 20, v6
	v_or_b32_e32 v25, v17, v6
	v_mov_b32_e32 v24, v7
.LBB206_149:                            ;   in Loop: Header=BB206_139 Depth=1
	s_or_b64 exec, exec, s[18:19]
.LBB206_150:                            ;   in Loop: Header=BB206_139 Depth=1
	s_or_b64 exec, exec, s[16:17]
.LBB206_151:                            ;   in Loop: Header=BB206_139 Depth=1
	s_or_b64 exec, exec, s[0:1]
	v_lshrrev_b32_e32 v6, 16, v16
	v_pk_mov_b32 v[28:29], 0, 0
	v_cmp_ne_u16_sdwa s[16:17], v6, v7 src0_sel:BYTE_0 src1_sel:DWORD
	v_pk_mov_b32 v[26:27], v[28:29], v[28:29] op_sel:[0,1]
	s_and_saveexec_b64 s[0:1], s[16:17]
	s_cbranch_execz .LBB206_157
; %bb.152:                              ;   in Loop: Header=BB206_139 Depth=1
	v_bfrev_b32_e32 v26, 1
	v_cmp_ne_u16_sdwa s[18:19], v6, s22 src0_sel:BYTE_0 src1_sel:DWORD
	v_mov_b32_e32 v27, 0
	s_and_saveexec_b64 s[16:17], s[18:19]
	s_cbranch_execz .LBB206_156
; %bb.153:                              ;   in Loop: Header=BB206_139 Depth=1
	v_bfe_u32 v17, v16, 16, 7
	v_mov_b32_e32 v26, 0x7f800001
	v_cmp_ne_u32_e32 vcc, s23, v17
	v_mov_b32_e32 v27, 0
	s_and_saveexec_b64 s[18:19], vcc
	s_cbranch_execz .LBB206_155
; %bb.154:                              ;   in Loop: Header=BB206_139 Depth=1
	v_and_b32_e32 v30, 7, v6
	v_ffbh_u32_e32 v26, v30
	v_min_u32_e32 v32, 32, v26
	v_subrev_u32_e32 v26, 28, v32
	v_lshlrev_b64 v[26:27], v26, v[6:7]
	v_lshrrev_b32_e32 v31, 3, v17
	v_sub_u32_e32 v27, 29, v32
	v_and_b32_e32 v26, 7, v26
	v_cmp_gt_u32_e32 vcc, 8, v17
	v_cndmask_b32_e32 v17, v31, v27, vcc
	v_cndmask_b32_e32 v26, v30, v26, vcc
	v_lshlrev_b32_e32 v26, 20, v26
	v_and_b32_sdwa v6, sext(v6), s7 dst_sel:DWORD dst_unused:UNUSED_PAD src0_sel:BYTE_0 src1_sel:DWORD
	v_lshl_add_u32 v17, v17, 23, v19
	v_or3_b32 v6, v6, v17, v26
	v_pk_mov_b32 v[26:27], v[6:7], v[6:7] op_sel:[0,1]
.LBB206_155:                            ;   in Loop: Header=BB206_139 Depth=1
	s_or_b64 exec, exec, s[18:19]
.LBB206_156:                            ;   in Loop: Header=BB206_139 Depth=1
	s_or_b64 exec, exec, s[16:17]
.LBB206_157:                            ;   in Loop: Header=BB206_139 Depth=1
	s_or_b64 exec, exec, s[0:1]
	v_cmp_lt_u32_e32 vcc, s28, v16
	s_and_saveexec_b64 s[0:1], vcc
	s_cbranch_execz .LBB206_163
; %bb.158:                              ;   in Loop: Header=BB206_139 Depth=1
	v_cmp_ne_u32_sdwa s[18:19], v16, s22 src0_sel:BYTE_3 src1_sel:DWORD
	v_pk_mov_b32 v[28:29], s[6:7], s[6:7] op_sel:[0,1]
	s_and_saveexec_b64 s[16:17], s[18:19]
	s_cbranch_execz .LBB206_162
; %bb.159:                              ;   in Loop: Header=BB206_139 Depth=1
	v_bfe_u32 v17, v16, 24, 7
	s_mov_b32 s14, s6
	v_cmp_ne_u32_e32 vcc, s23, v17
	v_pk_mov_b32 v[28:29], s[14:15], s[14:15] op_sel:[0,1]
	s_and_saveexec_b64 s[18:19], vcc
	s_cbranch_execz .LBB206_161
; %bb.160:                              ;   in Loop: Header=BB206_139 Depth=1
	v_and_b32_sdwa v6, v16, v45 dst_sel:DWORD dst_unused:UNUSED_PAD src0_sel:BYTE_3 src1_sel:DWORD
	v_ffbh_u32_e32 v28, v6
	v_min_u32_e32 v31, 32, v28
	v_subrev_u32_e32 v28, 28, v31
	v_lshlrev_b64 v[28:29], v28, v[6:7]
	v_lshrrev_b32_e32 v30, 3, v17
	v_sub_u32_e32 v29, 29, v31
	v_cmp_gt_u32_e32 vcc, 8, v17
	v_and_b32_e32 v28, 7, v28
	v_cndmask_b32_e32 v17, v30, v29, vcc
	v_cndmask_b32_e32 v6, v6, v28, vcc
	v_lshlrev_b32_sdwa v16, v46, v16 dst_sel:DWORD dst_unused:UNUSED_PAD src0_sel:DWORD src1_sel:BYTE_3
	v_lshl_add_u32 v17, v17, 23, v19
	v_and_or_b32 v16, v16, s7, v17
	v_lshlrev_b32_e32 v6, 20, v6
	v_or_b32_e32 v29, v16, v6
	v_mov_b32_e32 v28, v7
.LBB206_161:                            ;   in Loop: Header=BB206_139 Depth=1
	s_or_b64 exec, exec, s[18:19]
.LBB206_162:                            ;   in Loop: Header=BB206_139 Depth=1
	s_or_b64 exec, exec, s[16:17]
.LBB206_163:                            ;   in Loop: Header=BB206_139 Depth=1
	s_or_b64 exec, exec, s[0:1]
	v_or_b32_e32 v17, v25, v21
	v_or_b32_e32 v16, v24, v20
	;; [unrolled: 1-line block ×4, first 2 shown]
	v_add_u32_e32 v47, -3, v43
	v_cmp_eq_u32_e32 vcc, s9, v18
	v_pk_mul_f32 v[16:17], s[10:11], v[16:17]
	v_pk_mul_f32 v[20:21], s[10:11], v[20:21]
	v_add_u32_e32 v49, -2, v43
	v_add_u32_e32 v48, -1, v43
	s_and_saveexec_b64 s[16:17], vcc
; %bb.164:                              ;   in Loop: Header=BB206_139 Depth=1
	v_cmp_gt_i32_e64 s[0:1], s29, v47
	v_cndmask_b32_e64 v16, 0, v16, s[0:1]
	v_cmp_gt_i32_e64 s[0:1], s29, v49
	v_cndmask_b32_e64 v17, 0, v17, s[0:1]
	;; [unrolled: 2-line block ×4, first 2 shown]
; %bb.165:                              ;   in Loop: Header=BB206_139 Depth=1
	s_or_b64 exec, exec, s[16:17]
	global_load_dword v24, v[22:23], off offset:256
	v_pk_mov_b32 v[28:29], 0, 0
	v_pk_mov_b32 v[26:27], v[28:29], v[28:29] op_sel:[0,1]
	s_waitcnt vmcnt(0)
	v_cmp_ne_u16_sdwa s[0:1], v24, v7 src0_sel:BYTE_0 src1_sel:DWORD
	s_and_saveexec_b64 s[16:17], s[0:1]
	s_cbranch_execz .LBB206_171
; %bb.166:                              ;   in Loop: Header=BB206_139 Depth=1
	v_bfrev_b32_e32 v26, 1
	v_cmp_ne_u16_sdwa s[0:1], v24, s22 src0_sel:BYTE_0 src1_sel:DWORD
	v_mov_b32_e32 v27, 0
	s_and_saveexec_b64 s[18:19], s[0:1]
	s_cbranch_execz .LBB206_170
; %bb.167:                              ;   in Loop: Header=BB206_139 Depth=1
	v_and_b32_e32 v6, 0x7f, v24
	v_mov_b32_e32 v26, 0x7f800001
	v_cmp_ne_u32_e64 s[0:1], s23, v6
	v_mov_b32_e32 v27, 0
	s_and_saveexec_b64 s[20:21], s[0:1]
	s_cbranch_execz .LBB206_169
; %bb.168:                              ;   in Loop: Header=BB206_139 Depth=1
	v_and_b32_e32 v25, 7, v24
	v_ffbh_u32_e32 v26, v25
	v_min_u32_e32 v31, 32, v26
	v_subrev_u32_e32 v26, 28, v31
	v_lshlrev_b64 v[26:27], v26, v[24:25]
	v_lshrrev_b32_e32 v30, 3, v6
	v_sub_u32_e32 v27, 29, v31
	v_and_b32_e32 v26, 7, v26
	v_cmp_gt_u32_e64 s[0:1], 8, v6
	v_cndmask_b32_e64 v6, v30, v27, s[0:1]
	v_cndmask_b32_e64 v25, v25, v26, s[0:1]
	v_lshlrev_b32_e32 v25, 20, v25
	v_and_b32_sdwa v26, sext(v24), s7 dst_sel:DWORD dst_unused:UNUSED_PAD src0_sel:BYTE_0 src1_sel:DWORD
	v_lshl_add_u32 v6, v6, 23, v19
	v_or3_b32 v6, v26, v6, v25
	v_pk_mov_b32 v[26:27], v[6:7], v[6:7] op_sel:[0,1]
.LBB206_169:                            ;   in Loop: Header=BB206_139 Depth=1
	s_or_b64 exec, exec, s[20:21]
.LBB206_170:                            ;   in Loop: Header=BB206_139 Depth=1
	s_or_b64 exec, exec, s[18:19]
.LBB206_171:                            ;   in Loop: Header=BB206_139 Depth=1
	s_or_b64 exec, exec, s[16:17]
	v_cmp_ne_u16_sdwa s[0:1], v24, v7 src0_sel:BYTE_1 src1_sel:DWORD
	s_and_saveexec_b64 s[16:17], s[0:1]
	s_cbranch_execz .LBB206_177
; %bb.172:                              ;   in Loop: Header=BB206_139 Depth=1
	v_cmp_ne_u16_sdwa s[0:1], v24, s22 src0_sel:BYTE_1 src1_sel:DWORD
	v_pk_mov_b32 v[28:29], s[6:7], s[6:7] op_sel:[0,1]
	s_and_saveexec_b64 s[18:19], s[0:1]
	s_cbranch_execz .LBB206_176
; %bb.173:                              ;   in Loop: Header=BB206_139 Depth=1
	v_and_b32_sdwa v25, v24, s23 dst_sel:DWORD dst_unused:UNUSED_PAD src0_sel:BYTE_1 src1_sel:DWORD
	s_mov_b32 s14, s6
	v_cmp_ne_u32_e64 s[0:1], s23, v25
	v_pk_mov_b32 v[28:29], s[14:15], s[14:15] op_sel:[0,1]
	s_and_saveexec_b64 s[20:21], s[0:1]
	s_cbranch_execz .LBB206_175
; %bb.174:                              ;   in Loop: Header=BB206_139 Depth=1
	v_and_b32_sdwa v6, v24, v45 dst_sel:DWORD dst_unused:UNUSED_PAD src0_sel:BYTE_1 src1_sel:DWORD
	v_ffbh_u32_e32 v28, v6
	v_min_u32_e32 v31, 32, v28
	v_subrev_u32_e32 v28, 28, v31
	v_lshlrev_b64 v[28:29], v28, v[6:7]
	v_lshrrev_b32_e32 v30, 3, v25
	v_sub_u32_e32 v29, 29, v31
	v_cmp_gt_u32_e64 s[0:1], 8, v25
	v_and_b32_e32 v28, 7, v28
	v_cndmask_b32_e64 v25, v30, v29, s[0:1]
	v_cndmask_b32_e64 v6, v6, v28, s[0:1]
	v_lshlrev_b32_e32 v28, 16, v24
	v_lshl_add_u32 v25, v25, 23, v19
	v_and_or_b32 v25, v28, s7, v25
	v_lshlrev_b32_e32 v6, 20, v6
	v_or_b32_e32 v29, v25, v6
	v_mov_b32_e32 v28, v7
.LBB206_175:                            ;   in Loop: Header=BB206_139 Depth=1
	s_or_b64 exec, exec, s[20:21]
.LBB206_176:                            ;   in Loop: Header=BB206_139 Depth=1
	s_or_b64 exec, exec, s[18:19]
.LBB206_177:                            ;   in Loop: Header=BB206_139 Depth=1
	s_or_b64 exec, exec, s[16:17]
	v_lshrrev_b32_e32 v6, 16, v24
	v_pk_mov_b32 v[32:33], 0, 0
	v_cmp_ne_u16_sdwa s[0:1], v6, v7 src0_sel:BYTE_0 src1_sel:DWORD
	v_pk_mov_b32 v[30:31], v[32:33], v[32:33] op_sel:[0,1]
	s_and_saveexec_b64 s[16:17], s[0:1]
	s_cbranch_execz .LBB206_183
; %bb.178:                              ;   in Loop: Header=BB206_139 Depth=1
	v_bfrev_b32_e32 v30, 1
	v_cmp_ne_u16_sdwa s[0:1], v6, s22 src0_sel:BYTE_0 src1_sel:DWORD
	v_mov_b32_e32 v31, 0
	s_and_saveexec_b64 s[18:19], s[0:1]
	s_cbranch_execz .LBB206_182
; %bb.179:                              ;   in Loop: Header=BB206_139 Depth=1
	v_bfe_u32 v25, v24, 16, 7
	v_mov_b32_e32 v30, 0x7f800001
	v_cmp_ne_u32_e64 s[0:1], s23, v25
	v_mov_b32_e32 v31, 0
	s_and_saveexec_b64 s[20:21], s[0:1]
	s_cbranch_execz .LBB206_181
; %bb.180:                              ;   in Loop: Header=BB206_139 Depth=1
	v_and_b32_e32 v34, 7, v6
	v_ffbh_u32_e32 v30, v34
	v_min_u32_e32 v36, 32, v30
	v_subrev_u32_e32 v30, 28, v36
	v_lshlrev_b64 v[30:31], v30, v[6:7]
	v_lshrrev_b32_e32 v35, 3, v25
	v_sub_u32_e32 v31, 29, v36
	v_and_b32_e32 v30, 7, v30
	v_cmp_gt_u32_e64 s[0:1], 8, v25
	v_cndmask_b32_e64 v25, v35, v31, s[0:1]
	v_cndmask_b32_e64 v30, v34, v30, s[0:1]
	v_lshlrev_b32_e32 v30, 20, v30
	v_and_b32_sdwa v6, sext(v6), s7 dst_sel:DWORD dst_unused:UNUSED_PAD src0_sel:BYTE_0 src1_sel:DWORD
	v_lshl_add_u32 v25, v25, 23, v19
	v_or3_b32 v6, v6, v25, v30
	v_pk_mov_b32 v[30:31], v[6:7], v[6:7] op_sel:[0,1]
.LBB206_181:                            ;   in Loop: Header=BB206_139 Depth=1
	s_or_b64 exec, exec, s[20:21]
.LBB206_182:                            ;   in Loop: Header=BB206_139 Depth=1
	s_or_b64 exec, exec, s[18:19]
.LBB206_183:                            ;   in Loop: Header=BB206_139 Depth=1
	s_or_b64 exec, exec, s[16:17]
	v_cmp_lt_u32_e64 s[0:1], s28, v24
	s_and_saveexec_b64 s[16:17], s[0:1]
	s_cbranch_execz .LBB206_189
; %bb.184:                              ;   in Loop: Header=BB206_139 Depth=1
	v_cmp_ne_u32_sdwa s[0:1], v24, s22 src0_sel:BYTE_3 src1_sel:DWORD
	v_pk_mov_b32 v[32:33], s[6:7], s[6:7] op_sel:[0,1]
	s_and_saveexec_b64 s[18:19], s[0:1]
	s_cbranch_execz .LBB206_188
; %bb.185:                              ;   in Loop: Header=BB206_139 Depth=1
	v_bfe_u32 v25, v24, 24, 7
	s_mov_b32 s14, s6
	v_cmp_ne_u32_e64 s[0:1], s23, v25
	v_pk_mov_b32 v[32:33], s[14:15], s[14:15] op_sel:[0,1]
	s_and_saveexec_b64 s[20:21], s[0:1]
	s_cbranch_execz .LBB206_187
; %bb.186:                              ;   in Loop: Header=BB206_139 Depth=1
	v_and_b32_sdwa v6, v24, v45 dst_sel:DWORD dst_unused:UNUSED_PAD src0_sel:BYTE_3 src1_sel:DWORD
	v_ffbh_u32_e32 v32, v6
	v_min_u32_e32 v35, 32, v32
	v_subrev_u32_e32 v32, 28, v35
	v_lshlrev_b64 v[32:33], v32, v[6:7]
	v_lshrrev_b32_e32 v34, 3, v25
	v_sub_u32_e32 v33, 29, v35
	v_cmp_gt_u32_e64 s[0:1], 8, v25
	v_and_b32_e32 v32, 7, v32
	v_cndmask_b32_e64 v25, v34, v33, s[0:1]
	v_cndmask_b32_e64 v6, v6, v32, s[0:1]
	v_lshlrev_b32_sdwa v24, v46, v24 dst_sel:DWORD dst_unused:UNUSED_PAD src0_sel:DWORD src1_sel:BYTE_3
	v_lshl_add_u32 v25, v25, 23, v19
	v_and_or_b32 v24, v24, s7, v25
	v_lshlrev_b32_e32 v6, 20, v6
	v_or_b32_e32 v33, v24, v6
	v_mov_b32_e32 v32, v7
.LBB206_187:                            ;   in Loop: Header=BB206_139 Depth=1
	s_or_b64 exec, exec, s[20:21]
.LBB206_188:                            ;   in Loop: Header=BB206_139 Depth=1
	s_or_b64 exec, exec, s[18:19]
.LBB206_189:                            ;   in Loop: Header=BB206_139 Depth=1
	s_or_b64 exec, exec, s[16:17]
	v_or_b32_e32 v25, v29, v27
	v_or_b32_e32 v24, v28, v26
	;; [unrolled: 1-line block ×4, first 2 shown]
	v_pk_mul_f32 v[24:25], s[10:11], v[24:25]
	v_pk_mul_f32 v[26:27], s[10:11], v[26:27]
	s_and_saveexec_b64 s[16:17], vcc
; %bb.190:                              ;   in Loop: Header=BB206_139 Depth=1
	v_cmp_gt_i32_e64 s[0:1], s29, v47
	v_cndmask_b32_e64 v24, 0, v24, s[0:1]
	v_cmp_gt_i32_e64 s[0:1], s29, v49
	v_cndmask_b32_e64 v25, 0, v25, s[0:1]
	;; [unrolled: 2-line block ×4, first 2 shown]
; %bb.191:                              ;   in Loop: Header=BB206_139 Depth=1
	s_or_b64 exec, exec, s[16:17]
	global_load_dword v28, v[22:23], off offset:512
	v_pk_mov_b32 v[32:33], 0, 0
	v_pk_mov_b32 v[30:31], v[32:33], v[32:33] op_sel:[0,1]
	s_waitcnt vmcnt(0)
	v_cmp_ne_u16_sdwa s[0:1], v28, v7 src0_sel:BYTE_0 src1_sel:DWORD
	s_and_saveexec_b64 s[16:17], s[0:1]
	s_cbranch_execz .LBB206_197
; %bb.192:                              ;   in Loop: Header=BB206_139 Depth=1
	v_bfrev_b32_e32 v30, 1
	v_cmp_ne_u16_sdwa s[0:1], v28, s22 src0_sel:BYTE_0 src1_sel:DWORD
	v_mov_b32_e32 v31, 0
	s_and_saveexec_b64 s[18:19], s[0:1]
	s_cbranch_execz .LBB206_196
; %bb.193:                              ;   in Loop: Header=BB206_139 Depth=1
	v_and_b32_e32 v6, 0x7f, v28
	v_mov_b32_e32 v30, 0x7f800001
	v_cmp_ne_u32_e64 s[0:1], s23, v6
	v_mov_b32_e32 v31, 0
	s_and_saveexec_b64 s[20:21], s[0:1]
	s_cbranch_execz .LBB206_195
; %bb.194:                              ;   in Loop: Header=BB206_139 Depth=1
	v_and_b32_e32 v29, 7, v28
	v_ffbh_u32_e32 v30, v29
	v_min_u32_e32 v35, 32, v30
	v_subrev_u32_e32 v30, 28, v35
	v_lshlrev_b64 v[30:31], v30, v[28:29]
	v_lshrrev_b32_e32 v34, 3, v6
	v_sub_u32_e32 v31, 29, v35
	v_and_b32_e32 v30, 7, v30
	v_cmp_gt_u32_e64 s[0:1], 8, v6
	v_cndmask_b32_e64 v6, v34, v31, s[0:1]
	v_cndmask_b32_e64 v29, v29, v30, s[0:1]
	v_lshlrev_b32_e32 v29, 20, v29
	v_and_b32_sdwa v30, sext(v28), s7 dst_sel:DWORD dst_unused:UNUSED_PAD src0_sel:BYTE_0 src1_sel:DWORD
	v_lshl_add_u32 v6, v6, 23, v19
	v_or3_b32 v6, v30, v6, v29
	v_pk_mov_b32 v[30:31], v[6:7], v[6:7] op_sel:[0,1]
.LBB206_195:                            ;   in Loop: Header=BB206_139 Depth=1
	s_or_b64 exec, exec, s[20:21]
.LBB206_196:                            ;   in Loop: Header=BB206_139 Depth=1
	s_or_b64 exec, exec, s[18:19]
.LBB206_197:                            ;   in Loop: Header=BB206_139 Depth=1
	s_or_b64 exec, exec, s[16:17]
	v_cmp_ne_u16_sdwa s[0:1], v28, v7 src0_sel:BYTE_1 src1_sel:DWORD
	s_and_saveexec_b64 s[16:17], s[0:1]
	s_cbranch_execz .LBB206_203
; %bb.198:                              ;   in Loop: Header=BB206_139 Depth=1
	v_cmp_ne_u16_sdwa s[0:1], v28, s22 src0_sel:BYTE_1 src1_sel:DWORD
	v_pk_mov_b32 v[32:33], s[6:7], s[6:7] op_sel:[0,1]
	s_and_saveexec_b64 s[18:19], s[0:1]
	s_cbranch_execz .LBB206_202
; %bb.199:                              ;   in Loop: Header=BB206_139 Depth=1
	v_and_b32_sdwa v29, v28, s23 dst_sel:DWORD dst_unused:UNUSED_PAD src0_sel:BYTE_1 src1_sel:DWORD
	s_mov_b32 s14, s6
	v_cmp_ne_u32_e64 s[0:1], s23, v29
	v_pk_mov_b32 v[32:33], s[14:15], s[14:15] op_sel:[0,1]
	s_and_saveexec_b64 s[20:21], s[0:1]
	s_cbranch_execz .LBB206_201
; %bb.200:                              ;   in Loop: Header=BB206_139 Depth=1
	v_and_b32_sdwa v6, v28, v45 dst_sel:DWORD dst_unused:UNUSED_PAD src0_sel:BYTE_1 src1_sel:DWORD
	v_ffbh_u32_e32 v32, v6
	v_min_u32_e32 v35, 32, v32
	v_subrev_u32_e32 v32, 28, v35
	v_lshlrev_b64 v[32:33], v32, v[6:7]
	v_lshrrev_b32_e32 v34, 3, v29
	v_sub_u32_e32 v33, 29, v35
	v_cmp_gt_u32_e64 s[0:1], 8, v29
	v_and_b32_e32 v32, 7, v32
	v_cndmask_b32_e64 v29, v34, v33, s[0:1]
	v_cndmask_b32_e64 v6, v6, v32, s[0:1]
	v_lshlrev_b32_e32 v32, 16, v28
	v_lshl_add_u32 v29, v29, 23, v19
	v_and_or_b32 v29, v32, s7, v29
	v_lshlrev_b32_e32 v6, 20, v6
	v_or_b32_e32 v33, v29, v6
	v_mov_b32_e32 v32, v7
.LBB206_201:                            ;   in Loop: Header=BB206_139 Depth=1
	s_or_b64 exec, exec, s[20:21]
.LBB206_202:                            ;   in Loop: Header=BB206_139 Depth=1
	s_or_b64 exec, exec, s[18:19]
.LBB206_203:                            ;   in Loop: Header=BB206_139 Depth=1
	s_or_b64 exec, exec, s[16:17]
	v_lshrrev_b32_e32 v6, 16, v28
	v_pk_mov_b32 v[36:37], 0, 0
	v_cmp_ne_u16_sdwa s[0:1], v6, v7 src0_sel:BYTE_0 src1_sel:DWORD
	v_pk_mov_b32 v[34:35], v[36:37], v[36:37] op_sel:[0,1]
	s_and_saveexec_b64 s[16:17], s[0:1]
	s_cbranch_execz .LBB206_209
; %bb.204:                              ;   in Loop: Header=BB206_139 Depth=1
	v_bfrev_b32_e32 v34, 1
	v_cmp_ne_u16_sdwa s[0:1], v6, s22 src0_sel:BYTE_0 src1_sel:DWORD
	v_mov_b32_e32 v35, 0
	s_and_saveexec_b64 s[18:19], s[0:1]
	s_cbranch_execz .LBB206_208
; %bb.205:                              ;   in Loop: Header=BB206_139 Depth=1
	v_bfe_u32 v29, v28, 16, 7
	v_mov_b32_e32 v34, 0x7f800001
	v_cmp_ne_u32_e64 s[0:1], s23, v29
	v_mov_b32_e32 v35, 0
	s_and_saveexec_b64 s[20:21], s[0:1]
	s_cbranch_execz .LBB206_207
; %bb.206:                              ;   in Loop: Header=BB206_139 Depth=1
	v_and_b32_e32 v38, 7, v6
	v_ffbh_u32_e32 v34, v38
	v_min_u32_e32 v50, 32, v34
	v_subrev_u32_e32 v34, 28, v50
	v_lshlrev_b64 v[34:35], v34, v[6:7]
	v_lshrrev_b32_e32 v39, 3, v29
	v_sub_u32_e32 v35, 29, v50
	v_and_b32_e32 v34, 7, v34
	v_cmp_gt_u32_e64 s[0:1], 8, v29
	v_cndmask_b32_e64 v29, v39, v35, s[0:1]
	v_cndmask_b32_e64 v34, v38, v34, s[0:1]
	v_lshlrev_b32_e32 v34, 20, v34
	v_and_b32_sdwa v6, sext(v6), s7 dst_sel:DWORD dst_unused:UNUSED_PAD src0_sel:BYTE_0 src1_sel:DWORD
	v_lshl_add_u32 v29, v29, 23, v19
	v_or3_b32 v6, v6, v29, v34
	v_pk_mov_b32 v[34:35], v[6:7], v[6:7] op_sel:[0,1]
.LBB206_207:                            ;   in Loop: Header=BB206_139 Depth=1
	s_or_b64 exec, exec, s[20:21]
.LBB206_208:                            ;   in Loop: Header=BB206_139 Depth=1
	s_or_b64 exec, exec, s[18:19]
.LBB206_209:                            ;   in Loop: Header=BB206_139 Depth=1
	s_or_b64 exec, exec, s[16:17]
	v_cmp_lt_u32_e64 s[0:1], s28, v28
	s_and_saveexec_b64 s[16:17], s[0:1]
	s_cbranch_execz .LBB206_215
; %bb.210:                              ;   in Loop: Header=BB206_139 Depth=1
	v_cmp_ne_u32_sdwa s[0:1], v28, s22 src0_sel:BYTE_3 src1_sel:DWORD
	v_pk_mov_b32 v[36:37], s[6:7], s[6:7] op_sel:[0,1]
	s_and_saveexec_b64 s[18:19], s[0:1]
	s_cbranch_execz .LBB206_214
; %bb.211:                              ;   in Loop: Header=BB206_139 Depth=1
	v_bfe_u32 v29, v28, 24, 7
	s_mov_b32 s14, s6
	v_cmp_ne_u32_e64 s[0:1], s23, v29
	v_pk_mov_b32 v[36:37], s[14:15], s[14:15] op_sel:[0,1]
	s_and_saveexec_b64 s[20:21], s[0:1]
	s_cbranch_execz .LBB206_213
; %bb.212:                              ;   in Loop: Header=BB206_139 Depth=1
	v_and_b32_sdwa v6, v28, v45 dst_sel:DWORD dst_unused:UNUSED_PAD src0_sel:BYTE_3 src1_sel:DWORD
	v_ffbh_u32_e32 v36, v6
	v_min_u32_e32 v39, 32, v36
	v_subrev_u32_e32 v36, 28, v39
	v_lshlrev_b64 v[36:37], v36, v[6:7]
	v_lshrrev_b32_e32 v38, 3, v29
	v_sub_u32_e32 v37, 29, v39
	v_cmp_gt_u32_e64 s[0:1], 8, v29
	v_and_b32_e32 v36, 7, v36
	v_cndmask_b32_e64 v29, v38, v37, s[0:1]
	v_cndmask_b32_e64 v6, v6, v36, s[0:1]
	v_lshlrev_b32_sdwa v28, v46, v28 dst_sel:DWORD dst_unused:UNUSED_PAD src0_sel:DWORD src1_sel:BYTE_3
	v_lshl_add_u32 v29, v29, 23, v19
	v_and_or_b32 v28, v28, s7, v29
	v_lshlrev_b32_e32 v6, 20, v6
	v_or_b32_e32 v37, v28, v6
	v_mov_b32_e32 v36, v7
.LBB206_213:                            ;   in Loop: Header=BB206_139 Depth=1
	s_or_b64 exec, exec, s[20:21]
.LBB206_214:                            ;   in Loop: Header=BB206_139 Depth=1
	s_or_b64 exec, exec, s[18:19]
.LBB206_215:                            ;   in Loop: Header=BB206_139 Depth=1
	s_or_b64 exec, exec, s[16:17]
	v_or_b32_e32 v29, v33, v31
	v_or_b32_e32 v28, v32, v30
	;; [unrolled: 1-line block ×4, first 2 shown]
	v_pk_mul_f32 v[28:29], s[10:11], v[28:29]
	v_pk_mul_f32 v[30:31], s[10:11], v[30:31]
	s_and_saveexec_b64 s[16:17], vcc
; %bb.216:                              ;   in Loop: Header=BB206_139 Depth=1
	v_cmp_gt_i32_e64 s[0:1], s29, v47
	v_cndmask_b32_e64 v28, 0, v28, s[0:1]
	v_cmp_gt_i32_e64 s[0:1], s29, v49
	v_cndmask_b32_e64 v29, 0, v29, s[0:1]
	;; [unrolled: 2-line block ×4, first 2 shown]
; %bb.217:                              ;   in Loop: Header=BB206_139 Depth=1
	s_or_b64 exec, exec, s[16:17]
	global_load_dword v22, v[22:23], off offset:768
	v_pk_mov_b32 v[34:35], 0, 0
	v_pk_mov_b32 v[32:33], v[34:35], v[34:35] op_sel:[0,1]
	s_waitcnt vmcnt(0)
	v_cmp_ne_u16_sdwa s[0:1], v22, v7 src0_sel:BYTE_0 src1_sel:DWORD
	s_and_saveexec_b64 s[16:17], s[0:1]
	s_cbranch_execz .LBB206_223
; %bb.218:                              ;   in Loop: Header=BB206_139 Depth=1
	v_bfrev_b32_e32 v32, 1
	v_cmp_ne_u16_sdwa s[0:1], v22, s22 src0_sel:BYTE_0 src1_sel:DWORD
	v_mov_b32_e32 v33, 0
	s_and_saveexec_b64 s[18:19], s[0:1]
	s_cbranch_execz .LBB206_222
; %bb.219:                              ;   in Loop: Header=BB206_139 Depth=1
	v_and_b32_e32 v6, 0x7f, v22
	v_mov_b32_e32 v32, 0x7f800001
	v_cmp_ne_u32_e64 s[0:1], s23, v6
	v_mov_b32_e32 v33, 0
	s_and_saveexec_b64 s[20:21], s[0:1]
	s_cbranch_execz .LBB206_221
; %bb.220:                              ;   in Loop: Header=BB206_139 Depth=1
	v_and_b32_e32 v23, 7, v22
	v_ffbh_u32_e32 v32, v23
	v_min_u32_e32 v37, 32, v32
	v_subrev_u32_e32 v32, 28, v37
	v_lshlrev_b64 v[32:33], v32, v[22:23]
	v_lshrrev_b32_e32 v36, 3, v6
	v_sub_u32_e32 v33, 29, v37
	v_and_b32_e32 v32, 7, v32
	v_cmp_gt_u32_e64 s[0:1], 8, v6
	v_cndmask_b32_e64 v6, v36, v33, s[0:1]
	v_cndmask_b32_e64 v23, v23, v32, s[0:1]
	v_lshlrev_b32_e32 v23, 20, v23
	v_and_b32_sdwa v32, sext(v22), s7 dst_sel:DWORD dst_unused:UNUSED_PAD src0_sel:BYTE_0 src1_sel:DWORD
	v_lshl_add_u32 v6, v6, 23, v19
	v_or3_b32 v6, v32, v6, v23
	v_pk_mov_b32 v[32:33], v[6:7], v[6:7] op_sel:[0,1]
.LBB206_221:                            ;   in Loop: Header=BB206_139 Depth=1
	s_or_b64 exec, exec, s[20:21]
.LBB206_222:                            ;   in Loop: Header=BB206_139 Depth=1
	s_or_b64 exec, exec, s[18:19]
.LBB206_223:                            ;   in Loop: Header=BB206_139 Depth=1
	s_or_b64 exec, exec, s[16:17]
	v_cmp_ne_u16_sdwa s[0:1], v22, v7 src0_sel:BYTE_1 src1_sel:DWORD
	s_and_saveexec_b64 s[16:17], s[0:1]
	s_cbranch_execz .LBB206_229
; %bb.224:                              ;   in Loop: Header=BB206_139 Depth=1
	v_cmp_ne_u16_sdwa s[0:1], v22, s22 src0_sel:BYTE_1 src1_sel:DWORD
	v_pk_mov_b32 v[34:35], s[6:7], s[6:7] op_sel:[0,1]
	s_and_saveexec_b64 s[18:19], s[0:1]
	s_cbranch_execz .LBB206_228
; %bb.225:                              ;   in Loop: Header=BB206_139 Depth=1
	v_and_b32_sdwa v23, v22, s23 dst_sel:DWORD dst_unused:UNUSED_PAD src0_sel:BYTE_1 src1_sel:DWORD
	s_mov_b32 s14, s6
	v_cmp_ne_u32_e64 s[0:1], s23, v23
	v_pk_mov_b32 v[34:35], s[14:15], s[14:15] op_sel:[0,1]
	s_and_saveexec_b64 s[20:21], s[0:1]
	s_cbranch_execz .LBB206_227
; %bb.226:                              ;   in Loop: Header=BB206_139 Depth=1
	v_and_b32_sdwa v6, v22, v45 dst_sel:DWORD dst_unused:UNUSED_PAD src0_sel:BYTE_1 src1_sel:DWORD
	v_ffbh_u32_e32 v34, v6
	v_min_u32_e32 v37, 32, v34
	v_subrev_u32_e32 v34, 28, v37
	v_lshlrev_b64 v[34:35], v34, v[6:7]
	v_lshrrev_b32_e32 v36, 3, v23
	v_sub_u32_e32 v35, 29, v37
	v_cmp_gt_u32_e64 s[0:1], 8, v23
	v_and_b32_e32 v34, 7, v34
	v_cndmask_b32_e64 v23, v36, v35, s[0:1]
	v_cndmask_b32_e64 v6, v6, v34, s[0:1]
	v_lshlrev_b32_e32 v34, 16, v22
	v_lshl_add_u32 v23, v23, 23, v19
	v_and_or_b32 v23, v34, s7, v23
	v_lshlrev_b32_e32 v6, 20, v6
	v_or_b32_e32 v35, v23, v6
	v_mov_b32_e32 v34, v7
.LBB206_227:                            ;   in Loop: Header=BB206_139 Depth=1
	s_or_b64 exec, exec, s[20:21]
.LBB206_228:                            ;   in Loop: Header=BB206_139 Depth=1
	s_or_b64 exec, exec, s[18:19]
.LBB206_229:                            ;   in Loop: Header=BB206_139 Depth=1
	s_or_b64 exec, exec, s[16:17]
	v_lshrrev_b32_e32 v6, 16, v22
	v_pk_mov_b32 v[38:39], 0, 0
	v_cmp_ne_u16_sdwa s[0:1], v6, v7 src0_sel:BYTE_0 src1_sel:DWORD
	v_pk_mov_b32 v[36:37], v[38:39], v[38:39] op_sel:[0,1]
	s_and_saveexec_b64 s[16:17], s[0:1]
	s_cbranch_execz .LBB206_235
; %bb.230:                              ;   in Loop: Header=BB206_139 Depth=1
	v_bfrev_b32_e32 v36, 1
	v_cmp_ne_u16_sdwa s[0:1], v6, s22 src0_sel:BYTE_0 src1_sel:DWORD
	v_mov_b32_e32 v37, 0
	s_and_saveexec_b64 s[18:19], s[0:1]
	s_cbranch_execz .LBB206_234
; %bb.231:                              ;   in Loop: Header=BB206_139 Depth=1
	v_bfe_u32 v23, v22, 16, 7
	v_mov_b32_e32 v36, 0x7f800001
	v_cmp_ne_u32_e64 s[0:1], s23, v23
	v_mov_b32_e32 v37, 0
	s_and_saveexec_b64 s[20:21], s[0:1]
	s_cbranch_execz .LBB206_233
; %bb.232:                              ;   in Loop: Header=BB206_139 Depth=1
	v_and_b32_e32 v50, 7, v6
	v_ffbh_u32_e32 v36, v50
	v_min_u32_e32 v52, 32, v36
	v_subrev_u32_e32 v36, 28, v52
	v_lshlrev_b64 v[36:37], v36, v[6:7]
	v_lshrrev_b32_e32 v51, 3, v23
	v_sub_u32_e32 v37, 29, v52
	v_and_b32_e32 v36, 7, v36
	v_cmp_gt_u32_e64 s[0:1], 8, v23
	v_cndmask_b32_e64 v23, v51, v37, s[0:1]
	v_cndmask_b32_e64 v36, v50, v36, s[0:1]
	v_lshlrev_b32_e32 v36, 20, v36
	v_and_b32_sdwa v6, sext(v6), s7 dst_sel:DWORD dst_unused:UNUSED_PAD src0_sel:BYTE_0 src1_sel:DWORD
	v_lshl_add_u32 v23, v23, 23, v19
	v_or3_b32 v6, v6, v23, v36
	v_pk_mov_b32 v[36:37], v[6:7], v[6:7] op_sel:[0,1]
.LBB206_233:                            ;   in Loop: Header=BB206_139 Depth=1
	s_or_b64 exec, exec, s[20:21]
.LBB206_234:                            ;   in Loop: Header=BB206_139 Depth=1
	s_or_b64 exec, exec, s[18:19]
.LBB206_235:                            ;   in Loop: Header=BB206_139 Depth=1
	s_or_b64 exec, exec, s[16:17]
	v_cmp_lt_u32_e64 s[0:1], s28, v22
	s_and_saveexec_b64 s[16:17], s[0:1]
	s_cbranch_execz .LBB206_241
; %bb.236:                              ;   in Loop: Header=BB206_139 Depth=1
	v_cmp_ne_u32_sdwa s[0:1], v22, s22 src0_sel:BYTE_3 src1_sel:DWORD
	v_pk_mov_b32 v[38:39], s[6:7], s[6:7] op_sel:[0,1]
	s_and_saveexec_b64 s[18:19], s[0:1]
	s_cbranch_execz .LBB206_240
; %bb.237:                              ;   in Loop: Header=BB206_139 Depth=1
	v_bfe_u32 v23, v22, 24, 7
	s_mov_b32 s14, s6
	v_cmp_ne_u32_e64 s[0:1], s23, v23
	v_pk_mov_b32 v[38:39], s[14:15], s[14:15] op_sel:[0,1]
	s_and_saveexec_b64 s[20:21], s[0:1]
	s_cbranch_execz .LBB206_239
; %bb.238:                              ;   in Loop: Header=BB206_139 Depth=1
	v_and_b32_sdwa v6, v22, v45 dst_sel:DWORD dst_unused:UNUSED_PAD src0_sel:BYTE_3 src1_sel:DWORD
	v_ffbh_u32_e32 v38, v6
	v_min_u32_e32 v51, 32, v38
	v_subrev_u32_e32 v38, 28, v51
	v_lshlrev_b64 v[38:39], v38, v[6:7]
	v_lshrrev_b32_e32 v50, 3, v23
	v_sub_u32_e32 v39, 29, v51
	v_cmp_gt_u32_e64 s[0:1], 8, v23
	v_and_b32_e32 v38, 7, v38
	v_cndmask_b32_e64 v23, v50, v39, s[0:1]
	v_cndmask_b32_e64 v6, v6, v38, s[0:1]
	v_lshlrev_b32_sdwa v22, v46, v22 dst_sel:DWORD dst_unused:UNUSED_PAD src0_sel:DWORD src1_sel:BYTE_3
	v_lshl_add_u32 v23, v23, 23, v19
	v_and_or_b32 v22, v22, s7, v23
	v_lshlrev_b32_e32 v6, 20, v6
	v_or_b32_e32 v39, v22, v6
	v_mov_b32_e32 v38, v7
.LBB206_239:                            ;   in Loop: Header=BB206_139 Depth=1
	s_or_b64 exec, exec, s[20:21]
.LBB206_240:                            ;   in Loop: Header=BB206_139 Depth=1
	s_or_b64 exec, exec, s[18:19]
.LBB206_241:                            ;   in Loop: Header=BB206_139 Depth=1
	s_or_b64 exec, exec, s[16:17]
	v_or_b32_e32 v23, v35, v33
	v_or_b32_e32 v22, v34, v32
	;; [unrolled: 1-line block ×4, first 2 shown]
	v_pk_mul_f32 v[22:23], s[10:11], v[22:23]
	v_pk_mul_f32 v[32:33], s[10:11], v[32:33]
	s_and_saveexec_b64 s[0:1], vcc
	s_cbranch_execz .LBB206_138
; %bb.242:                              ;   in Loop: Header=BB206_139 Depth=1
	v_cmp_gt_i32_e32 vcc, s29, v47
	v_cndmask_b32_e32 v22, 0, v22, vcc
	v_cmp_gt_i32_e32 vcc, s29, v49
	v_cndmask_b32_e32 v23, 0, v23, vcc
	;; [unrolled: 2-line block ×4, first 2 shown]
	s_branch .LBB206_138
.LBB206_243:
	s_or_b64 exec, exec, s[12:13]
.LBB206_244:
	s_or_b64 exec, exec, s[4:5]
	ds_bpermute_b32 v2, v41, v12
	ds_bpermute_b32 v3, v41, v13
	;; [unrolled: 1-line block ×4, first 2 shown]
	v_and_b32_e32 v6, 0x3c1, v0
	v_cmp_eq_u32_e32 vcc, 64, v6
	s_waitcnt lgkmcnt(2)
	v_pk_add_f32 v[2:3], v[12:13], v[2:3]
	s_waitcnt lgkmcnt(0)
	v_pk_add_f32 v[4:5], v[8:9], v[4:5]
	s_barrier
	s_and_saveexec_b64 s[0:1], vcc
	s_cbranch_execz .LBB206_246
; %bb.245:
	v_mov_b32_e32 v7, 0x210
	v_lshl_add_u32 v7, v40, 1, v7
	ds_write2_b32 v7, v2, v3 offset1:32
	ds_write2_b32 v7, v4, v5 offset0:64 offset1:96
.LBB206_246:
	s_or_b64 exec, exec, s[0:1]
	v_cmp_gt_u32_e32 vcc, 64, v0
	s_waitcnt lgkmcnt(0)
	s_barrier
	s_and_saveexec_b64 s[0:1], vcc
	s_cbranch_execz .LBB206_253
; %bb.247:
	v_cmp_eq_u32_e32 vcc, 0, v42
	s_and_saveexec_b64 s[4:5], vcc
	s_cbranch_execnz .LBB206_256
; %bb.248:
	s_or_b64 exec, exec, s[4:5]
	s_and_saveexec_b64 s[4:5], vcc
	s_cbranch_execnz .LBB206_257
.LBB206_249:
	s_or_b64 exec, exec, s[4:5]
	s_and_saveexec_b64 s[4:5], vcc
	s_cbranch_execnz .LBB206_258
.LBB206_250:
	s_or_b64 exec, exec, s[4:5]
	s_and_saveexec_b64 s[4:5], vcc
	s_cbranch_execz .LBB206_252
.LBB206_251:
	v_mov_b32_e32 v7, 0x210
	v_lshl_add_u32 v1, v1, 2, v7
	ds_read_b32 v1, v1 offset:384
	s_waitcnt lgkmcnt(0)
	v_add_f32_e32 v5, v5, v1
.LBB206_252:
	s_or_b64 exec, exec, s[4:5]
.LBB206_253:
	s_or_b64 exec, exec, s[0:1]
	v_cmp_eq_u32_e32 vcc, 0, v6
	s_barrier
	s_and_saveexec_b64 s[0:1], vcc
	s_cbranch_execz .LBB206_255
; %bb.254:
	s_lshl_b32 s0, s2, 7
	s_ashr_i32 s1, s0, 31
	s_lshl_b64 s[0:1], s[0:1], 2
	s_add_u32 s2, s26, s0
	s_mul_i32 s0, s25, s24
	s_addc_u32 s3, s27, s1
	s_ashr_i32 s1, s0, 31
	s_lshl_b64 s[0:1], s[0:1], 2
	s_add_u32 s2, s2, s0
	s_addc_u32 s3, s3, s1
	s_lshl_b32 s0, s8, 7
	s_ashr_i32 s1, s0, 31
	s_lshl_b64 s[0:1], s[0:1], 2
	s_add_u32 s0, s2, s0
	s_addc_u32 s1, s3, s1
	v_lshlrev_b32_e32 v0, 1, v0
	global_store_dword v0, v2, s[0:1]
	global_store_dword v0, v3, s[0:1] offset:128
	global_store_dword v0, v4, s[0:1] offset:256
	;; [unrolled: 1-line block ×3, first 2 shown]
.LBB206_255:
	s_endpgm
.LBB206_256:
	v_mov_b32_e32 v7, 0x210
	v_lshl_add_u32 v7, v1, 2, v7
	ds_read_b32 v7, v7
	s_waitcnt lgkmcnt(0)
	v_add_f32_e32 v2, v2, v7
	s_or_b64 exec, exec, s[4:5]
	s_and_saveexec_b64 s[4:5], vcc
	s_cbranch_execz .LBB206_249
.LBB206_257:
	v_mov_b32_e32 v7, 0x210
	v_lshl_add_u32 v7, v1, 2, v7
	ds_read_b32 v7, v7 offset:128
	s_waitcnt lgkmcnt(0)
	v_add_f32_e32 v3, v3, v7
	s_or_b64 exec, exec, s[4:5]
	s_and_saveexec_b64 s[4:5], vcc
	s_cbranch_execz .LBB206_250
.LBB206_258:
	v_mov_b32_e32 v7, 0x210
	v_lshl_add_u32 v7, v1, 2, v7
	ds_read_b32 v7, v7 offset:256
	s_waitcnt lgkmcnt(0)
	v_add_f32_e32 v4, v4, v7
	s_or_b64 exec, exec, s[4:5]
	s_and_saveexec_b64 s[4:5], vcc
	s_cbranch_execnz .LBB206_251
	s_branch .LBB206_252
	.section	.rodata,"a",@progbits
	.p2align	6, 0x0
	.amdhsa_kernel _ZN4vllm25paged_attention_v2_kernelIfhLi128ELi8ELi128ELNS_18Fp8KVCacheDataTypeE1ELb0ELi512EEEvPfS2_PT_PKS3_PKT0_S9_ifPKiSB_iPKfiiiSD_SD_iiiii
		.amdhsa_group_segment_fixed_size 528
		.amdhsa_private_segment_fixed_size 0
		.amdhsa_kernarg_size 400
		.amdhsa_user_sgpr_count 6
		.amdhsa_user_sgpr_private_segment_buffer 1
		.amdhsa_user_sgpr_dispatch_ptr 0
		.amdhsa_user_sgpr_queue_ptr 0
		.amdhsa_user_sgpr_kernarg_segment_ptr 1
		.amdhsa_user_sgpr_dispatch_id 0
		.amdhsa_user_sgpr_flat_scratch_init 0
		.amdhsa_user_sgpr_kernarg_preload_length 0
		.amdhsa_user_sgpr_kernarg_preload_offset 0
		.amdhsa_user_sgpr_private_segment_size 0
		.amdhsa_uses_dynamic_stack 0
		.amdhsa_system_sgpr_private_segment_wavefront_offset 0
		.amdhsa_system_sgpr_workgroup_id_x 1
		.amdhsa_system_sgpr_workgroup_id_y 1
		.amdhsa_system_sgpr_workgroup_id_z 1
		.amdhsa_system_sgpr_workgroup_info 0
		.amdhsa_system_vgpr_workitem_id 0
		.amdhsa_next_free_vgpr 62
		.amdhsa_next_free_sgpr 51
		.amdhsa_accum_offset 64
		.amdhsa_reserve_vcc 1
		.amdhsa_reserve_flat_scratch 0
		.amdhsa_float_round_mode_32 0
		.amdhsa_float_round_mode_16_64 0
		.amdhsa_float_denorm_mode_32 3
		.amdhsa_float_denorm_mode_16_64 3
		.amdhsa_dx10_clamp 1
		.amdhsa_ieee_mode 1
		.amdhsa_fp16_overflow 0
		.amdhsa_tg_split 0
		.amdhsa_exception_fp_ieee_invalid_op 0
		.amdhsa_exception_fp_denorm_src 0
		.amdhsa_exception_fp_ieee_div_zero 0
		.amdhsa_exception_fp_ieee_overflow 0
		.amdhsa_exception_fp_ieee_underflow 0
		.amdhsa_exception_fp_ieee_inexact 0
		.amdhsa_exception_int_div_zero 0
	.end_amdhsa_kernel
	.section	.text._ZN4vllm25paged_attention_v2_kernelIfhLi128ELi8ELi128ELNS_18Fp8KVCacheDataTypeE1ELb0ELi512EEEvPfS2_PT_PKS3_PKT0_S9_ifPKiSB_iPKfiiiSD_SD_iiiii,"axG",@progbits,_ZN4vllm25paged_attention_v2_kernelIfhLi128ELi8ELi128ELNS_18Fp8KVCacheDataTypeE1ELb0ELi512EEEvPfS2_PT_PKS3_PKT0_S9_ifPKiSB_iPKfiiiSD_SD_iiiii,comdat
.Lfunc_end206:
	.size	_ZN4vllm25paged_attention_v2_kernelIfhLi128ELi8ELi128ELNS_18Fp8KVCacheDataTypeE1ELb0ELi512EEEvPfS2_PT_PKS3_PKT0_S9_ifPKiSB_iPKfiiiSD_SD_iiiii, .Lfunc_end206-_ZN4vllm25paged_attention_v2_kernelIfhLi128ELi8ELi128ELNS_18Fp8KVCacheDataTypeE1ELb0ELi512EEEvPfS2_PT_PKS3_PKT0_S9_ifPKiSB_iPKfiiiSD_SD_iiiii
                                        ; -- End function
	.section	.AMDGPU.csdata,"",@progbits
; Kernel info:
; codeLenInByte = 10232
; NumSgprs: 55
; NumVgprs: 62
; NumAgprs: 0
; TotalNumVgprs: 62
; ScratchSize: 0
; MemoryBound: 0
; FloatMode: 240
; IeeeMode: 1
; LDSByteSize: 528 bytes/workgroup (compile time only)
; SGPRBlocks: 6
; VGPRBlocks: 7
; NumSGPRsForWavesPerEU: 55
; NumVGPRsForWavesPerEU: 62
; AccumOffset: 64
; Occupancy: 8
; WaveLimiterHint : 1
; COMPUTE_PGM_RSRC2:SCRATCH_EN: 0
; COMPUTE_PGM_RSRC2:USER_SGPR: 6
; COMPUTE_PGM_RSRC2:TRAP_HANDLER: 0
; COMPUTE_PGM_RSRC2:TGID_X_EN: 1
; COMPUTE_PGM_RSRC2:TGID_Y_EN: 1
; COMPUTE_PGM_RSRC2:TGID_Z_EN: 1
; COMPUTE_PGM_RSRC2:TIDIG_COMP_CNT: 0
; COMPUTE_PGM_RSRC3_GFX90A:ACCUM_OFFSET: 15
; COMPUTE_PGM_RSRC3_GFX90A:TG_SPLIT: 0
	.section	.text._ZN4vllm25paged_attention_v2_kernelIfhLi192ELi8ELi128ELNS_18Fp8KVCacheDataTypeE1ELb0ELi512EEEvPfS2_PT_PKS3_PKT0_S9_ifPKiSB_iPKfiiiSD_SD_iiiii,"axG",@progbits,_ZN4vllm25paged_attention_v2_kernelIfhLi192ELi8ELi128ELNS_18Fp8KVCacheDataTypeE1ELb0ELi512EEEvPfS2_PT_PKS3_PKT0_S9_ifPKiSB_iPKfiiiSD_SD_iiiii,comdat
	.protected	_ZN4vllm25paged_attention_v2_kernelIfhLi192ELi8ELi128ELNS_18Fp8KVCacheDataTypeE1ELb0ELi512EEEvPfS2_PT_PKS3_PKT0_S9_ifPKiSB_iPKfiiiSD_SD_iiiii ; -- Begin function _ZN4vllm25paged_attention_v2_kernelIfhLi192ELi8ELi128ELNS_18Fp8KVCacheDataTypeE1ELb0ELi512EEEvPfS2_PT_PKS3_PKT0_S9_ifPKiSB_iPKfiiiSD_SD_iiiii
	.globl	_ZN4vllm25paged_attention_v2_kernelIfhLi192ELi8ELi128ELNS_18Fp8KVCacheDataTypeE1ELb0ELi512EEEvPfS2_PT_PKS3_PKT0_S9_ifPKiSB_iPKfiiiSD_SD_iiiii
	.p2align	8
	.type	_ZN4vllm25paged_attention_v2_kernelIfhLi192ELi8ELi128ELNS_18Fp8KVCacheDataTypeE1ELb0ELi512EEEvPfS2_PT_PKS3_PKT0_S9_ifPKiSB_iPKfiiiSD_SD_iiiii,@function
_ZN4vllm25paged_attention_v2_kernelIfhLi192ELi8ELi128ELNS_18Fp8KVCacheDataTypeE1ELb0ELi512EEEvPfS2_PT_PKS3_PKT0_S9_ifPKiSB_iPKfiiiSD_SD_iiiii: ; @_ZN4vllm25paged_attention_v2_kernelIfhLi192ELi8ELi128ELNS_18Fp8KVCacheDataTypeE1ELb0ELi512EEEvPfS2_PT_PKS3_PKT0_S9_ifPKiSB_iPKfiiiSD_SD_iiiii
; %bb.0:
	s_load_dwordx2 s[0:1], s[4:5], 0x40
	s_mov_b32 s36, s7
	s_ashr_i32 s37, s7, 31
	s_lshl_b64 s[2:3], s[36:37], 2
	s_waitcnt lgkmcnt(0)
	s_add_u32 s0, s0, s2
	s_addc_u32 s1, s1, s3
	s_load_dword s37, s[0:1], 0x0
	s_lshl_b32 s44, s8, 9
	s_waitcnt lgkmcnt(0)
	s_cmp_ge_i32 s44, s37
	s_cbranch_scc1 .LBB207_358
; %bb.1:
	s_load_dword s9, s[4:5], 0x90
	s_load_dwordx2 s[10:11], s[4:5], 0x30
	s_waitcnt lgkmcnt(0)
	s_abs_i32 s2, s9
	s_abs_i32 s0, s10
	v_cvt_f32_u32_e32 v1, s0
	s_sub_i32 s3, 0, s0
	s_xor_b32 s1, s9, s10
	s_ashr_i32 s1, s1, 31
	v_rcp_iflag_f32_e32 v1, v1
	v_mul_f32_e32 v1, 0x4f7ffffe, v1
	v_cvt_u32_f32_e32 v1, v1
	v_readfirstlane_b32 s7, v1
	s_mul_i32 s3, s3, s7
	s_mul_hi_u32 s3, s7, s3
	s_add_i32 s7, s7, s3
	s_mul_hi_u32 s3, s2, s7
	s_mul_i32 s7, s3, s0
	s_sub_i32 s2, s2, s7
	s_add_i32 s10, s3, 1
	s_sub_i32 s7, s2, s0
	s_cmp_ge_u32 s2, s0
	s_cselect_b32 s3, s10, s3
	s_cselect_b32 s2, s7, s2
	s_add_i32 s7, s3, 1
	s_cmp_ge_u32 s2, s0
	s_cselect_b32 s0, s7, s3
	s_xor_b32 s0, s0, s1
	s_sub_i32 s26, s0, s1
	s_abs_i32 s24, s26
	v_cvt_f32_u32_e32 v1, s24
	s_load_dwordx2 s[0:1], s[4:5], 0x50
	s_sub_i32 s2, 0, s24
	s_abs_i32 s25, s6
	v_rcp_iflag_f32_e32 v1, v1
	s_mov_b32 s10, 0
	v_mul_f32_e32 v1, 0x4f7ffffe, v1
	v_cvt_u32_f32_e32 v1, v1
	v_readfirstlane_b32 s3, v1
	s_mul_i32 s2, s2, s3
	s_mul_hi_u32 s2, s3, s2
	s_add_i32 s2, s3, s2
	s_waitcnt lgkmcnt(0)
	s_cmp_eq_u64 s[0:1], 0
	s_cbranch_scc1 .LBB207_3
; %bb.2:
	s_ashr_i32 s7, s6, 31
	s_lshl_b64 s[12:13], s[6:7], 2
	s_add_u32 s0, s0, s12
	s_addc_u32 s1, s1, s13
	s_load_dword s10, s[0:1], 0x0
.LBB207_3:
	s_load_dwordx4 s[20:23], s[4:5], 0x0
	s_load_dwordx2 s[28:29], s[4:5], 0x10
	s_load_dwordx4 s[12:15], s[4:5], 0x20
	s_load_dwordx2 s[34:35], s[4:5], 0x38
	s_load_dword s33, s[4:5], 0x98
	s_load_dwordx4 s[16:19], s[4:5], 0x58
	s_movk_i32 s0, 0xc0
	s_mul_i32 s30, s6, 0xc0
	s_mul_hi_u32 s27, s25, s2
	v_and_b32_e32 v28, 7, v0
	s_ashr_i32 s31, s30, 31
	v_cmp_gt_u32_e32 vcc, s0, v0
	s_and_saveexec_b64 s[0:1], vcc
	s_cbranch_execz .LBB207_6
; %bb.4:
	s_load_dwordx2 s[2:3], s[4:5], 0x18
	s_waitcnt lgkmcnt(0)
	s_mul_i32 s38, s36, s16
	v_lshrrev_b32_e32 v2, 3, v0
	s_ashr_i32 s39, s38, 31
	v_lshlrev_b32_e32 v3, 2, v2
	s_movk_i32 s7, 0x60
	s_lshl_b64 s[38:39], s[38:39], 2
	s_lshl_b64 s[40:41], s[30:31], 2
	v_mad_u32_u24 v4, v28, s7, v3
	s_add_u32 s7, s38, s40
	s_addc_u32 s16, s39, s41
	v_lshlrev_b32_e32 v3, 2, v28
	s_add_u32 s2, s2, s7
	v_add_u32_e32 v1, -16, v2
	v_lshl_or_b32 v2, v2, 5, v3
	s_addc_u32 s3, s3, s16
	v_mov_b32_e32 v3, s3
	v_add_co_u32_e32 v2, vcc, s2, v2
	v_addc_co_u32_e32 v3, vcc, 0, v3, vcc
	s_mov_b64 s[2:3], 0
.LBB207_5:                              ; =>This Inner Loop Header: Depth=1
	global_load_dword v5, v[2:3], off
	v_add_co_u32_e32 v2, vcc, 0x200, v2
	v_add_u32_e32 v1, 16, v1
	v_addc_co_u32_e32 v3, vcc, 0, v3, vcc
	v_cmp_lt_u32_e32 vcc, 7, v1
	s_or_b64 s[2:3], vcc, s[2:3]
	s_waitcnt vmcnt(0)
	ds_write_b32 v4, v5
	v_add_u32_e32 v4, 64, v4
	s_andn2_b64 exec, exec, s[2:3]
	s_cbranch_execnz .LBB207_5
.LBB207_6:
	s_or_b64 exec, exec, s[0:1]
	s_add_i32 s2, s37, 7
	s_ashr_i32 s3, s2, 31
	s_ashr_i32 s0, s6, 31
	;; [unrolled: 1-line block ×3, first 2 shown]
	s_lshr_b32 s3, s3, 29
	s_add_i32 s2, s2, s3
	s_lshl_b32 s45, s8, 6
	s_xor_b32 s0, s0, s1
	s_mul_i32 s1, s27, s24
	s_ashr_i32 s7, s2, 3
	s_add_i32 s2, s45, 64
	s_sub_i32 s1, s25, s1
	s_min_i32 s31, s2, s7
	s_add_i32 s2, s27, 1
	s_sub_i32 s3, s1, s24
	s_cmp_ge_u32 s1, s24
	s_cselect_b32 s2, s2, s27
	s_cselect_b32 s1, s3, s1
	s_add_i32 s3, s2, 1
	s_cmp_ge_u32 s1, s24
	s_cselect_b32 s1, s3, s2
	s_load_dword s2, s[4:5], 0x48
	v_lshrrev_b32_e32 v29, 6, v0
	s_xor_b32 s1, s1, s0
	v_or_b32_e32 v26, s45, v29
	s_waitcnt lgkmcnt(0)
	s_sub_i32 s16, s1, s0
	s_mul_i32 s38, s36, s2
	s_ashr_i32 s39, s38, 31
	v_cmp_gt_i32_e64 s[0:1], s31, v26
	v_cmp_le_i32_e32 vcc, s31, v26
	v_mbcnt_lo_u32_b32 v1, -1, 0
	s_barrier
	s_waitcnt lgkmcnt(0)
                                        ; implicit-def: $sgpr19
                                        ; implicit-def: $vgpr37
                                        ; implicit-def: $vgpr38
	s_and_saveexec_b64 s[2:3], vcc
	s_xor_b64 s[2:3], exec, s[2:3]
; %bb.7:
	v_mbcnt_hi_u32_b32 v37, -1, v1
	v_and_b32_e32 v1, 64, v37
	v_add_u32_e32 v38, 64, v1
	s_mov_b32 s19, 0xff7fffff
                                        ; implicit-def: $vgpr28
                                        ; implicit-def: $vgpr1
; %bb.8:
	s_or_saveexec_b64 s[40:41], s[2:3]
	s_load_dwordx4 s[24:27], s[4:5], 0x68
	v_mov_b32_e32 v39, s19
	s_mul_i32 s16, s16, s18
	v_ashrrev_i32_e32 v27, 31, v26
	s_xor_b64 exec, exec, s[40:41]
	s_cbranch_execz .LBB207_158
; %bb.9:
	s_ashr_i32 s2, s16, 31
	v_bfe_u32 v32, v0, 3, 3
	s_add_u32 s3, s12, s16
	s_addc_u32 s2, s13, s2
	v_lshlrev_b32_e32 v2, 4, v32
	v_mbcnt_hi_u32_b32 v37, -1, v1
	v_mov_b32_e32 v3, s2
	v_add_co_u32_e32 v30, vcc, s3, v2
	v_and_b32_e32 v1, 64, v37
	v_addc_co_u32_e32 v31, vcc, 0, v3, vcc
	v_add_u32_e32 v38, 64, v1
	v_xor_b32_e32 v1, 4, v37
	v_cmp_lt_i32_e32 vcc, v1, v38
	v_xor_b32_e32 v33, 2, v37
	v_cndmask_b32_e32 v1, v37, v1, vcc
	v_cmp_lt_i32_e32 vcc, v33, v38
	v_mul_u32_u24_e32 v22, 0x60, v28
	v_cndmask_b32_e32 v33, v37, v33, vcc
	ds_read_b128 v[2:5], v22
	ds_read_b128 v[6:9], v22 offset:16
	ds_read_b128 v[10:13], v22 offset:32
	;; [unrolled: 1-line block ×5, first 2 shown]
	v_lshlrev_b32_e32 v40, 2, v33
	v_xor_b32_e32 v33, 1, v37
	v_cmp_lt_i32_e32 vcc, v33, v38
	v_cndmask_b32_e32 v33, v37, v33, vcc
	v_lshlrev_b32_e32 v41, 2, v33
	v_lshlrev_b32_e32 v33, 3, v29
	s_waitcnt lgkmcnt(0)
	s_load_dword s47, s[24:25], 0x0
	s_sub_i32 s48, 1, s37
	v_add3_u32 v42, s44, v33, v32
	v_lshlrev_b32_e32 v32, 2, v32
	s_lshl_b64 s[4:5], s[38:39], 2
	v_lshl_or_b32 v32, v29, 5, v32
	s_add_u32 s4, s34, s4
	v_add_u32_e32 v43, 0x310, v32
	v_lshlrev_b64 v[32:33], 2, v[26:27]
	s_addc_u32 s5, s35, s5
	v_mov_b32_e32 v34, s5
	v_add_co_u32_e64 v32, s[4:5], s4, v32
	s_mov_b32 s46, s17
	v_lshlrev_b32_e32 v1, 2, v1
	v_cmp_eq_u32_e32 vcc, 0, v28
	v_cmp_neq_f32_e64 s[2:3], s10, 0
	v_addc_co_u32_e64 v33, s[4:5], v34, v33, s[4:5]
	s_mov_b64 s[12:13], 0
	v_mov_b32_e32 v39, 0xff7fffff
	s_movk_i32 s49, 0x80
	s_movk_i32 s50, 0x7f
	v_bfrev_b32_e32 v44, 60
	v_mov_b32_e32 v45, v26
	s_branch .LBB207_11
.LBB207_10:                             ;   in Loop: Header=BB207_11 Depth=1
	s_or_b64 exec, exec, s[18:19]
	v_add_u32_e32 v45, 2, v45
	v_cmp_le_i32_e64 s[4:5], s31, v45
	s_or_b64 s[12:13], s[4:5], s[12:13]
	v_add_co_u32_e64 v32, s[4:5], 8, v32
	v_add_u32_e32 v42, 16, v42
	v_add_u32_e32 v43, 64, v43
	v_addc_co_u32_e64 v33, s[4:5], 0, v33, s[4:5]
	s_andn2_b64 exec, exec, s[12:13]
	s_cbranch_execz .LBB207_157
.LBB207_11:                             ; =>This Inner Loop Header: Depth=1
	global_load_dword v34, v[32:33], off
	v_mov_b32_e32 v46, 0
	s_waitcnt vmcnt(0) lgkmcnt(0)
	v_mad_i64_i32 v[34:35], s[4:5], v34, s46, v[30:31]
	v_add_co_u32_e64 v34, s[4:5], v34, v28
	v_addc_co_u32_e64 v35, s[4:5], 0, v35, s[4:5]
	global_load_ubyte v47, v[34:35], off
	s_waitcnt vmcnt(0)
	v_cmp_ne_u16_e64 s[4:5], 0, v47
	s_and_saveexec_b64 s[18:19], s[4:5]
	s_cbranch_execz .LBB207_17
; %bb.12:                               ;   in Loop: Header=BB207_11 Depth=1
	v_cmp_ne_u16_e64 s[4:5], s49, v47
	v_bfrev_b32_e32 v46, 1
	s_and_saveexec_b64 s[24:25], s[4:5]
	s_cbranch_execz .LBB207_16
; %bb.13:                               ;   in Loop: Header=BB207_11 Depth=1
	v_and_b32_e32 v36, 0xffff, v47
	v_and_b32_e32 v48, 0x7f, v36
	v_cmp_ne_u32_e64 s[4:5], s50, v48
	v_mov_b32_e32 v46, 0x7f800001
	s_and_saveexec_b64 s[42:43], s[4:5]
	s_cbranch_execz .LBB207_15
; %bb.14:                               ;   in Loop: Header=BB207_11 Depth=1
	v_and_b32_e32 v46, 7, v36
	v_ffbh_u32_e32 v50, v46
	v_min_u32_e32 v52, 32, v50
	v_subrev_u32_e32 v50, 28, v52
	v_lshlrev_b64 v[50:51], v50, v[36:37]
	v_lshrrev_b32_e32 v49, 3, v48
	v_sub_u32_e32 v36, 29, v52
	v_and_b32_e32 v50, 7, v50
	v_cmp_gt_u32_e64 s[4:5], 8, v48
	v_cndmask_b32_e64 v36, v49, v36, s[4:5]
	v_cndmask_b32_e64 v46, v46, v50, s[4:5]
	v_lshlrev_b32_e32 v47, 24, v47
	v_lshlrev_b32_e32 v46, 20, v46
	v_and_b32_e32 v47, 0x80000000, v47
	v_lshl_add_u32 v36, v36, 23, v44
	v_or3_b32 v46, v47, v36, v46
.LBB207_15:                             ;   in Loop: Header=BB207_11 Depth=1
	s_or_b64 exec, exec, s[42:43]
.LBB207_16:                             ;   in Loop: Header=BB207_11 Depth=1
	s_or_b64 exec, exec, s[24:25]
.LBB207_17:                             ;   in Loop: Header=BB207_11 Depth=1
	s_or_b64 exec, exec, s[18:19]
	global_load_ubyte v48, v[34:35], off offset:8
	v_mov_b32_e32 v47, 0
	s_waitcnt vmcnt(0)
	v_cmp_ne_u16_e64 s[4:5], 0, v48
	s_and_saveexec_b64 s[18:19], s[4:5]
	s_cbranch_execz .LBB207_23
; %bb.18:                               ;   in Loop: Header=BB207_11 Depth=1
	v_cmp_ne_u16_e64 s[4:5], s49, v48
	v_bfrev_b32_e32 v47, 1
	s_and_saveexec_b64 s[24:25], s[4:5]
	s_cbranch_execz .LBB207_22
; %bb.19:                               ;   in Loop: Header=BB207_11 Depth=1
	v_and_b32_e32 v36, 0xffff, v48
	v_and_b32_e32 v49, 0x7f, v36
	v_cmp_ne_u32_e64 s[4:5], s50, v49
	v_mov_b32_e32 v47, 0x7f800001
	s_and_saveexec_b64 s[42:43], s[4:5]
	s_cbranch_execz .LBB207_21
; %bb.20:                               ;   in Loop: Header=BB207_11 Depth=1
	v_and_b32_e32 v47, 7, v36
	v_ffbh_u32_e32 v50, v47
	v_min_u32_e32 v53, 32, v50
	v_subrev_u32_e32 v50, 28, v53
	v_lshlrev_b64 v[50:51], v50, v[36:37]
	v_lshrrev_b32_e32 v52, 3, v49
	v_sub_u32_e32 v36, 29, v53
	v_and_b32_e32 v50, 7, v50
	v_cmp_gt_u32_e64 s[4:5], 8, v49
	v_cndmask_b32_e64 v36, v52, v36, s[4:5]
	v_cndmask_b32_e64 v47, v47, v50, s[4:5]
	v_lshlrev_b32_e32 v48, 24, v48
	v_lshlrev_b32_e32 v47, 20, v47
	v_and_b32_e32 v48, 0x80000000, v48
	v_lshl_add_u32 v36, v36, 23, v44
	v_or3_b32 v47, v48, v36, v47
.LBB207_21:                             ;   in Loop: Header=BB207_11 Depth=1
	s_or_b64 exec, exec, s[42:43]
.LBB207_22:                             ;   in Loop: Header=BB207_11 Depth=1
	s_or_b64 exec, exec, s[24:25]
.LBB207_23:                             ;   in Loop: Header=BB207_11 Depth=1
	s_or_b64 exec, exec, s[18:19]
	global_load_ubyte v50, v[34:35], off offset:128
	v_mov_b32_e32 v48, 0
	v_mov_b32_e32 v49, 0
	s_waitcnt vmcnt(0)
	v_cmp_ne_u16_e64 s[4:5], 0, v50
	s_and_saveexec_b64 s[18:19], s[4:5]
	s_cbranch_execz .LBB207_29
; %bb.24:                               ;   in Loop: Header=BB207_11 Depth=1
	v_cmp_ne_u16_e64 s[4:5], s49, v50
	v_bfrev_b32_e32 v49, 1
	s_and_saveexec_b64 s[24:25], s[4:5]
	s_cbranch_execz .LBB207_28
; %bb.25:                               ;   in Loop: Header=BB207_11 Depth=1
	v_and_b32_e32 v36, 0xffff, v50
	v_and_b32_e32 v51, 0x7f, v36
	v_cmp_ne_u32_e64 s[4:5], s50, v51
	v_mov_b32_e32 v49, 0x7f800001
	s_and_saveexec_b64 s[42:43], s[4:5]
	s_cbranch_execz .LBB207_27
; %bb.26:                               ;   in Loop: Header=BB207_11 Depth=1
	v_and_b32_e32 v49, 7, v36
	v_ffbh_u32_e32 v52, v49
	v_min_u32_e32 v55, 32, v52
	v_subrev_u32_e32 v52, 28, v55
	v_lshlrev_b64 v[52:53], v52, v[36:37]
	v_lshrrev_b32_e32 v54, 3, v51
	v_sub_u32_e32 v36, 29, v55
	v_and_b32_e32 v52, 7, v52
	v_cmp_gt_u32_e64 s[4:5], 8, v51
	v_cndmask_b32_e64 v36, v54, v36, s[4:5]
	v_cndmask_b32_e64 v49, v49, v52, s[4:5]
	v_lshlrev_b32_e32 v50, 24, v50
	v_lshlrev_b32_e32 v49, 20, v49
	v_and_b32_e32 v50, 0x80000000, v50
	v_lshl_add_u32 v36, v36, 23, v44
	v_or3_b32 v49, v50, v36, v49
.LBB207_27:                             ;   in Loop: Header=BB207_11 Depth=1
	s_or_b64 exec, exec, s[42:43]
.LBB207_28:                             ;   in Loop: Header=BB207_11 Depth=1
	s_or_b64 exec, exec, s[24:25]
.LBB207_29:                             ;   in Loop: Header=BB207_11 Depth=1
	s_or_b64 exec, exec, s[18:19]
	global_load_ubyte v50, v[34:35], off offset:136
	s_waitcnt vmcnt(0)
	v_cmp_ne_u16_e64 s[4:5], 0, v50
	s_and_saveexec_b64 s[18:19], s[4:5]
	s_cbranch_execz .LBB207_35
; %bb.30:                               ;   in Loop: Header=BB207_11 Depth=1
	v_cmp_ne_u16_e64 s[4:5], s49, v50
	v_bfrev_b32_e32 v48, 1
	s_and_saveexec_b64 s[24:25], s[4:5]
	s_cbranch_execz .LBB207_34
; %bb.31:                               ;   in Loop: Header=BB207_11 Depth=1
	v_and_b32_e32 v36, 0xffff, v50
	v_and_b32_e32 v51, 0x7f, v36
	v_cmp_ne_u32_e64 s[4:5], s50, v51
	v_mov_b32_e32 v48, 0x7f800001
	s_and_saveexec_b64 s[42:43], s[4:5]
	s_cbranch_execz .LBB207_33
; %bb.32:                               ;   in Loop: Header=BB207_11 Depth=1
	v_and_b32_e32 v48, 7, v36
	v_ffbh_u32_e32 v52, v48
	v_min_u32_e32 v55, 32, v52
	v_subrev_u32_e32 v52, 28, v55
	v_lshlrev_b64 v[52:53], v52, v[36:37]
	v_lshrrev_b32_e32 v54, 3, v51
	v_sub_u32_e32 v36, 29, v55
	v_and_b32_e32 v52, 7, v52
	v_cmp_gt_u32_e64 s[4:5], 8, v51
	v_cndmask_b32_e64 v36, v54, v36, s[4:5]
	v_cndmask_b32_e64 v48, v48, v52, s[4:5]
	v_lshlrev_b32_e32 v50, 24, v50
	v_lshlrev_b32_e32 v48, 20, v48
	v_and_b32_e32 v50, 0x80000000, v50
	v_lshl_add_u32 v36, v36, 23, v44
	v_or3_b32 v48, v50, v36, v48
.LBB207_33:                             ;   in Loop: Header=BB207_11 Depth=1
	s_or_b64 exec, exec, s[42:43]
.LBB207_34:                             ;   in Loop: Header=BB207_11 Depth=1
	s_or_b64 exec, exec, s[24:25]
.LBB207_35:                             ;   in Loop: Header=BB207_11 Depth=1
	s_or_b64 exec, exec, s[18:19]
	global_load_ubyte v52, v[34:35], off offset:256
	v_mov_b32_e32 v50, 0
	v_mov_b32_e32 v51, 0
	s_waitcnt vmcnt(0)
	v_cmp_ne_u16_e64 s[4:5], 0, v52
	s_and_saveexec_b64 s[18:19], s[4:5]
	s_cbranch_execz .LBB207_41
; %bb.36:                               ;   in Loop: Header=BB207_11 Depth=1
	v_cmp_ne_u16_e64 s[4:5], s49, v52
	v_bfrev_b32_e32 v51, 1
	s_and_saveexec_b64 s[24:25], s[4:5]
	s_cbranch_execz .LBB207_40
; %bb.37:                               ;   in Loop: Header=BB207_11 Depth=1
	v_and_b32_e32 v36, 0xffff, v52
	v_and_b32_e32 v53, 0x7f, v36
	v_cmp_ne_u32_e64 s[4:5], s50, v53
	v_mov_b32_e32 v51, 0x7f800001
	s_and_saveexec_b64 s[42:43], s[4:5]
	s_cbranch_execz .LBB207_39
; %bb.38:                               ;   in Loop: Header=BB207_11 Depth=1
	v_and_b32_e32 v51, 7, v36
	v_ffbh_u32_e32 v54, v51
	v_min_u32_e32 v57, 32, v54
	v_subrev_u32_e32 v54, 28, v57
	v_lshlrev_b64 v[54:55], v54, v[36:37]
	v_lshrrev_b32_e32 v56, 3, v53
	v_sub_u32_e32 v36, 29, v57
	v_and_b32_e32 v54, 7, v54
	v_cmp_gt_u32_e64 s[4:5], 8, v53
	v_cndmask_b32_e64 v36, v56, v36, s[4:5]
	v_cndmask_b32_e64 v51, v51, v54, s[4:5]
	v_lshlrev_b32_e32 v52, 24, v52
	v_lshlrev_b32_e32 v51, 20, v51
	v_and_b32_e32 v52, 0x80000000, v52
	v_lshl_add_u32 v36, v36, 23, v44
	v_or3_b32 v51, v52, v36, v51
.LBB207_39:                             ;   in Loop: Header=BB207_11 Depth=1
	s_or_b64 exec, exec, s[42:43]
.LBB207_40:                             ;   in Loop: Header=BB207_11 Depth=1
	s_or_b64 exec, exec, s[24:25]
.LBB207_41:                             ;   in Loop: Header=BB207_11 Depth=1
	s_or_b64 exec, exec, s[18:19]
	global_load_ubyte v52, v[34:35], off offset:264
	s_waitcnt vmcnt(0)
	v_cmp_ne_u16_e64 s[4:5], 0, v52
	s_and_saveexec_b64 s[18:19], s[4:5]
	s_cbranch_execz .LBB207_47
; %bb.42:                               ;   in Loop: Header=BB207_11 Depth=1
	v_cmp_ne_u16_e64 s[4:5], s49, v52
	v_bfrev_b32_e32 v50, 1
	s_and_saveexec_b64 s[24:25], s[4:5]
	s_cbranch_execz .LBB207_46
; %bb.43:                               ;   in Loop: Header=BB207_11 Depth=1
	v_and_b32_e32 v36, 0xffff, v52
	v_and_b32_e32 v53, 0x7f, v36
	v_cmp_ne_u32_e64 s[4:5], s50, v53
	v_mov_b32_e32 v50, 0x7f800001
	s_and_saveexec_b64 s[42:43], s[4:5]
	s_cbranch_execz .LBB207_45
; %bb.44:                               ;   in Loop: Header=BB207_11 Depth=1
	v_and_b32_e32 v50, 7, v36
	v_ffbh_u32_e32 v54, v50
	v_min_u32_e32 v57, 32, v54
	v_subrev_u32_e32 v54, 28, v57
	v_lshlrev_b64 v[54:55], v54, v[36:37]
	v_lshrrev_b32_e32 v56, 3, v53
	v_sub_u32_e32 v36, 29, v57
	v_and_b32_e32 v54, 7, v54
	v_cmp_gt_u32_e64 s[4:5], 8, v53
	v_cndmask_b32_e64 v36, v56, v36, s[4:5]
	v_cndmask_b32_e64 v50, v50, v54, s[4:5]
	v_lshlrev_b32_e32 v52, 24, v52
	v_lshlrev_b32_e32 v50, 20, v50
	v_and_b32_e32 v52, 0x80000000, v52
	v_lshl_add_u32 v36, v36, 23, v44
	v_or3_b32 v50, v52, v36, v50
.LBB207_45:                             ;   in Loop: Header=BB207_11 Depth=1
	s_or_b64 exec, exec, s[42:43]
.LBB207_46:                             ;   in Loop: Header=BB207_11 Depth=1
	s_or_b64 exec, exec, s[24:25]
.LBB207_47:                             ;   in Loop: Header=BB207_11 Depth=1
	s_or_b64 exec, exec, s[18:19]
	global_load_ubyte v54, v[34:35], off offset:384
	v_mov_b32_e32 v52, 0
	v_mov_b32_e32 v53, 0
	s_waitcnt vmcnt(0)
	v_cmp_ne_u16_e64 s[4:5], 0, v54
	s_and_saveexec_b64 s[18:19], s[4:5]
	s_cbranch_execz .LBB207_53
; %bb.48:                               ;   in Loop: Header=BB207_11 Depth=1
	v_cmp_ne_u16_e64 s[4:5], s49, v54
	v_bfrev_b32_e32 v53, 1
	s_and_saveexec_b64 s[24:25], s[4:5]
	s_cbranch_execz .LBB207_52
; %bb.49:                               ;   in Loop: Header=BB207_11 Depth=1
	v_and_b32_e32 v36, 0xffff, v54
	v_and_b32_e32 v55, 0x7f, v36
	v_cmp_ne_u32_e64 s[4:5], s50, v55
	v_mov_b32_e32 v53, 0x7f800001
	s_and_saveexec_b64 s[42:43], s[4:5]
	s_cbranch_execz .LBB207_51
; %bb.50:                               ;   in Loop: Header=BB207_11 Depth=1
	v_and_b32_e32 v53, 7, v36
	v_ffbh_u32_e32 v56, v53
	v_min_u32_e32 v59, 32, v56
	v_subrev_u32_e32 v56, 28, v59
	v_lshlrev_b64 v[56:57], v56, v[36:37]
	v_lshrrev_b32_e32 v58, 3, v55
	v_sub_u32_e32 v36, 29, v59
	v_and_b32_e32 v56, 7, v56
	v_cmp_gt_u32_e64 s[4:5], 8, v55
	v_cndmask_b32_e64 v36, v58, v36, s[4:5]
	v_cndmask_b32_e64 v53, v53, v56, s[4:5]
	v_lshlrev_b32_e32 v54, 24, v54
	v_lshlrev_b32_e32 v53, 20, v53
	v_and_b32_e32 v54, 0x80000000, v54
	v_lshl_add_u32 v36, v36, 23, v44
	v_or3_b32 v53, v54, v36, v53
.LBB207_51:                             ;   in Loop: Header=BB207_11 Depth=1
	s_or_b64 exec, exec, s[42:43]
.LBB207_52:                             ;   in Loop: Header=BB207_11 Depth=1
	s_or_b64 exec, exec, s[24:25]
.LBB207_53:                             ;   in Loop: Header=BB207_11 Depth=1
	s_or_b64 exec, exec, s[18:19]
	global_load_ubyte v54, v[34:35], off offset:392
	s_waitcnt vmcnt(0)
	v_cmp_ne_u16_e64 s[4:5], 0, v54
	s_and_saveexec_b64 s[18:19], s[4:5]
	s_cbranch_execz .LBB207_59
; %bb.54:                               ;   in Loop: Header=BB207_11 Depth=1
	v_cmp_ne_u16_e64 s[4:5], s49, v54
	v_bfrev_b32_e32 v52, 1
	s_and_saveexec_b64 s[24:25], s[4:5]
	s_cbranch_execz .LBB207_58
; %bb.55:                               ;   in Loop: Header=BB207_11 Depth=1
	v_and_b32_e32 v36, 0xffff, v54
	v_and_b32_e32 v55, 0x7f, v36
	v_cmp_ne_u32_e64 s[4:5], s50, v55
	v_mov_b32_e32 v52, 0x7f800001
	s_and_saveexec_b64 s[42:43], s[4:5]
	s_cbranch_execz .LBB207_57
; %bb.56:                               ;   in Loop: Header=BB207_11 Depth=1
	v_and_b32_e32 v52, 7, v36
	v_ffbh_u32_e32 v56, v52
	v_min_u32_e32 v59, 32, v56
	v_subrev_u32_e32 v56, 28, v59
	v_lshlrev_b64 v[56:57], v56, v[36:37]
	v_lshrrev_b32_e32 v58, 3, v55
	v_sub_u32_e32 v36, 29, v59
	v_and_b32_e32 v56, 7, v56
	v_cmp_gt_u32_e64 s[4:5], 8, v55
	v_cndmask_b32_e64 v36, v58, v36, s[4:5]
	v_cndmask_b32_e64 v52, v52, v56, s[4:5]
	v_lshlrev_b32_e32 v54, 24, v54
	v_lshlrev_b32_e32 v52, 20, v52
	v_and_b32_e32 v54, 0x80000000, v54
	v_lshl_add_u32 v36, v36, 23, v44
	v_or3_b32 v52, v54, v36, v52
.LBB207_57:                             ;   in Loop: Header=BB207_11 Depth=1
	s_or_b64 exec, exec, s[42:43]
.LBB207_58:                             ;   in Loop: Header=BB207_11 Depth=1
	s_or_b64 exec, exec, s[24:25]
.LBB207_59:                             ;   in Loop: Header=BB207_11 Depth=1
	s_or_b64 exec, exec, s[18:19]
	global_load_ubyte v56, v[34:35], off offset:512
	v_mov_b32_e32 v54, 0
	v_mov_b32_e32 v55, 0
	s_waitcnt vmcnt(0)
	v_cmp_ne_u16_e64 s[4:5], 0, v56
	s_and_saveexec_b64 s[18:19], s[4:5]
	s_cbranch_execz .LBB207_65
; %bb.60:                               ;   in Loop: Header=BB207_11 Depth=1
	v_cmp_ne_u16_e64 s[4:5], s49, v56
	v_bfrev_b32_e32 v55, 1
	s_and_saveexec_b64 s[24:25], s[4:5]
	s_cbranch_execz .LBB207_64
; %bb.61:                               ;   in Loop: Header=BB207_11 Depth=1
	v_and_b32_e32 v36, 0xffff, v56
	v_and_b32_e32 v57, 0x7f, v36
	v_cmp_ne_u32_e64 s[4:5], s50, v57
	v_mov_b32_e32 v55, 0x7f800001
	s_and_saveexec_b64 s[42:43], s[4:5]
	s_cbranch_execz .LBB207_63
; %bb.62:                               ;   in Loop: Header=BB207_11 Depth=1
	v_and_b32_e32 v55, 7, v36
	v_ffbh_u32_e32 v58, v55
	v_min_u32_e32 v61, 32, v58
	v_subrev_u32_e32 v58, 28, v61
	v_lshlrev_b64 v[58:59], v58, v[36:37]
	v_lshrrev_b32_e32 v60, 3, v57
	v_sub_u32_e32 v36, 29, v61
	v_and_b32_e32 v58, 7, v58
	v_cmp_gt_u32_e64 s[4:5], 8, v57
	v_cndmask_b32_e64 v36, v60, v36, s[4:5]
	v_cndmask_b32_e64 v55, v55, v58, s[4:5]
	v_lshlrev_b32_e32 v56, 24, v56
	v_lshlrev_b32_e32 v55, 20, v55
	v_and_b32_e32 v56, 0x80000000, v56
	v_lshl_add_u32 v36, v36, 23, v44
	v_or3_b32 v55, v56, v36, v55
.LBB207_63:                             ;   in Loop: Header=BB207_11 Depth=1
	s_or_b64 exec, exec, s[42:43]
.LBB207_64:                             ;   in Loop: Header=BB207_11 Depth=1
	s_or_b64 exec, exec, s[24:25]
.LBB207_65:                             ;   in Loop: Header=BB207_11 Depth=1
	s_or_b64 exec, exec, s[18:19]
	global_load_ubyte v56, v[34:35], off offset:520
	s_waitcnt vmcnt(0)
	v_cmp_ne_u16_e64 s[4:5], 0, v56
	s_and_saveexec_b64 s[18:19], s[4:5]
	s_cbranch_execz .LBB207_71
; %bb.66:                               ;   in Loop: Header=BB207_11 Depth=1
	v_cmp_ne_u16_e64 s[4:5], s49, v56
	v_bfrev_b32_e32 v54, 1
	s_and_saveexec_b64 s[24:25], s[4:5]
	s_cbranch_execz .LBB207_70
; %bb.67:                               ;   in Loop: Header=BB207_11 Depth=1
	v_and_b32_e32 v36, 0xffff, v56
	v_and_b32_e32 v57, 0x7f, v36
	v_cmp_ne_u32_e64 s[4:5], s50, v57
	v_mov_b32_e32 v54, 0x7f800001
	s_and_saveexec_b64 s[42:43], s[4:5]
	s_cbranch_execz .LBB207_69
; %bb.68:                               ;   in Loop: Header=BB207_11 Depth=1
	v_and_b32_e32 v54, 7, v36
	v_ffbh_u32_e32 v58, v54
	v_min_u32_e32 v61, 32, v58
	v_subrev_u32_e32 v58, 28, v61
	v_lshlrev_b64 v[58:59], v58, v[36:37]
	v_lshrrev_b32_e32 v60, 3, v57
	v_sub_u32_e32 v36, 29, v61
	v_and_b32_e32 v58, 7, v58
	v_cmp_gt_u32_e64 s[4:5], 8, v57
	v_cndmask_b32_e64 v36, v60, v36, s[4:5]
	v_cndmask_b32_e64 v54, v54, v58, s[4:5]
	v_lshlrev_b32_e32 v56, 24, v56
	v_lshlrev_b32_e32 v54, 20, v54
	v_and_b32_e32 v56, 0x80000000, v56
	v_lshl_add_u32 v36, v36, 23, v44
	v_or3_b32 v54, v56, v36, v54
.LBB207_69:                             ;   in Loop: Header=BB207_11 Depth=1
	s_or_b64 exec, exec, s[42:43]
.LBB207_70:                             ;   in Loop: Header=BB207_11 Depth=1
	s_or_b64 exec, exec, s[24:25]
.LBB207_71:                             ;   in Loop: Header=BB207_11 Depth=1
	s_or_b64 exec, exec, s[18:19]
	global_load_ubyte v58, v[34:35], off offset:640
	v_mov_b32_e32 v56, 0
	v_mov_b32_e32 v57, 0
	s_waitcnt vmcnt(0)
	v_cmp_ne_u16_e64 s[4:5], 0, v58
	s_and_saveexec_b64 s[18:19], s[4:5]
	s_cbranch_execz .LBB207_77
; %bb.72:                               ;   in Loop: Header=BB207_11 Depth=1
	v_cmp_ne_u16_e64 s[4:5], s49, v58
	v_bfrev_b32_e32 v57, 1
	s_and_saveexec_b64 s[24:25], s[4:5]
	s_cbranch_execz .LBB207_76
; %bb.73:                               ;   in Loop: Header=BB207_11 Depth=1
	v_and_b32_e32 v36, 0xffff, v58
	v_and_b32_e32 v59, 0x7f, v36
	v_cmp_ne_u32_e64 s[4:5], s50, v59
	v_mov_b32_e32 v57, 0x7f800001
	s_and_saveexec_b64 s[42:43], s[4:5]
	s_cbranch_execz .LBB207_75
; %bb.74:                               ;   in Loop: Header=BB207_11 Depth=1
	v_and_b32_e32 v57, 7, v36
	v_ffbh_u32_e32 v60, v57
	v_min_u32_e32 v63, 32, v60
	v_subrev_u32_e32 v60, 28, v63
	v_lshlrev_b64 v[60:61], v60, v[36:37]
	v_lshrrev_b32_e32 v62, 3, v59
	v_sub_u32_e32 v36, 29, v63
	v_and_b32_e32 v60, 7, v60
	v_cmp_gt_u32_e64 s[4:5], 8, v59
	v_cndmask_b32_e64 v36, v62, v36, s[4:5]
	v_cndmask_b32_e64 v57, v57, v60, s[4:5]
	v_lshlrev_b32_e32 v58, 24, v58
	v_lshlrev_b32_e32 v57, 20, v57
	v_and_b32_e32 v58, 0x80000000, v58
	v_lshl_add_u32 v36, v36, 23, v44
	v_or3_b32 v57, v58, v36, v57
.LBB207_75:                             ;   in Loop: Header=BB207_11 Depth=1
	s_or_b64 exec, exec, s[42:43]
.LBB207_76:                             ;   in Loop: Header=BB207_11 Depth=1
	s_or_b64 exec, exec, s[24:25]
.LBB207_77:                             ;   in Loop: Header=BB207_11 Depth=1
	s_or_b64 exec, exec, s[18:19]
	global_load_ubyte v58, v[34:35], off offset:648
	s_waitcnt vmcnt(0)
	v_cmp_ne_u16_e64 s[4:5], 0, v58
	s_and_saveexec_b64 s[18:19], s[4:5]
	s_cbranch_execz .LBB207_83
; %bb.78:                               ;   in Loop: Header=BB207_11 Depth=1
	v_cmp_ne_u16_e64 s[4:5], s49, v58
	v_bfrev_b32_e32 v56, 1
	s_and_saveexec_b64 s[24:25], s[4:5]
	s_cbranch_execz .LBB207_82
; %bb.79:                               ;   in Loop: Header=BB207_11 Depth=1
	v_and_b32_e32 v36, 0xffff, v58
	v_and_b32_e32 v59, 0x7f, v36
	v_cmp_ne_u32_e64 s[4:5], s50, v59
	v_mov_b32_e32 v56, 0x7f800001
	s_and_saveexec_b64 s[42:43], s[4:5]
	s_cbranch_execz .LBB207_81
; %bb.80:                               ;   in Loop: Header=BB207_11 Depth=1
	v_and_b32_e32 v56, 7, v36
	v_ffbh_u32_e32 v60, v56
	v_min_u32_e32 v63, 32, v60
	v_subrev_u32_e32 v60, 28, v63
	v_lshlrev_b64 v[60:61], v60, v[36:37]
	v_lshrrev_b32_e32 v62, 3, v59
	v_sub_u32_e32 v36, 29, v63
	v_and_b32_e32 v60, 7, v60
	v_cmp_gt_u32_e64 s[4:5], 8, v59
	v_cndmask_b32_e64 v36, v62, v36, s[4:5]
	v_cndmask_b32_e64 v56, v56, v60, s[4:5]
	v_lshlrev_b32_e32 v58, 24, v58
	v_lshlrev_b32_e32 v56, 20, v56
	v_and_b32_e32 v58, 0x80000000, v58
	v_lshl_add_u32 v36, v36, 23, v44
	v_or3_b32 v56, v58, v36, v56
.LBB207_81:                             ;   in Loop: Header=BB207_11 Depth=1
	s_or_b64 exec, exec, s[42:43]
.LBB207_82:                             ;   in Loop: Header=BB207_11 Depth=1
	s_or_b64 exec, exec, s[24:25]
.LBB207_83:                             ;   in Loop: Header=BB207_11 Depth=1
	s_or_b64 exec, exec, s[18:19]
	global_load_ubyte v60, v[34:35], off offset:768
	v_mov_b32_e32 v58, 0
	v_mov_b32_e32 v59, 0
	s_waitcnt vmcnt(0)
	v_cmp_ne_u16_e64 s[4:5], 0, v60
	s_and_saveexec_b64 s[18:19], s[4:5]
	s_cbranch_execz .LBB207_89
; %bb.84:                               ;   in Loop: Header=BB207_11 Depth=1
	v_cmp_ne_u16_e64 s[4:5], s49, v60
	v_bfrev_b32_e32 v59, 1
	s_and_saveexec_b64 s[24:25], s[4:5]
	s_cbranch_execz .LBB207_88
; %bb.85:                               ;   in Loop: Header=BB207_11 Depth=1
	v_and_b32_e32 v36, 0xffff, v60
	v_and_b32_e32 v61, 0x7f, v36
	v_cmp_ne_u32_e64 s[4:5], s50, v61
	v_mov_b32_e32 v59, 0x7f800001
	s_and_saveexec_b64 s[42:43], s[4:5]
	s_cbranch_execz .LBB207_87
; %bb.86:                               ;   in Loop: Header=BB207_11 Depth=1
	v_and_b32_e32 v59, 7, v36
	v_ffbh_u32_e32 v62, v59
	v_min_u32_e32 v65, 32, v62
	v_subrev_u32_e32 v62, 28, v65
	v_lshlrev_b64 v[62:63], v62, v[36:37]
	v_lshrrev_b32_e32 v64, 3, v61
	v_sub_u32_e32 v36, 29, v65
	v_and_b32_e32 v62, 7, v62
	v_cmp_gt_u32_e64 s[4:5], 8, v61
	v_cndmask_b32_e64 v36, v64, v36, s[4:5]
	v_cndmask_b32_e64 v59, v59, v62, s[4:5]
	v_lshlrev_b32_e32 v60, 24, v60
	v_lshlrev_b32_e32 v59, 20, v59
	v_and_b32_e32 v60, 0x80000000, v60
	v_lshl_add_u32 v36, v36, 23, v44
	v_or3_b32 v59, v60, v36, v59
.LBB207_87:                             ;   in Loop: Header=BB207_11 Depth=1
	s_or_b64 exec, exec, s[42:43]
.LBB207_88:                             ;   in Loop: Header=BB207_11 Depth=1
	s_or_b64 exec, exec, s[24:25]
.LBB207_89:                             ;   in Loop: Header=BB207_11 Depth=1
	s_or_b64 exec, exec, s[18:19]
	global_load_ubyte v60, v[34:35], off offset:776
	s_waitcnt vmcnt(0)
	v_cmp_ne_u16_e64 s[4:5], 0, v60
	s_and_saveexec_b64 s[18:19], s[4:5]
	s_cbranch_execz .LBB207_95
; %bb.90:                               ;   in Loop: Header=BB207_11 Depth=1
	v_cmp_ne_u16_e64 s[4:5], s49, v60
	v_bfrev_b32_e32 v58, 1
	s_and_saveexec_b64 s[24:25], s[4:5]
	s_cbranch_execz .LBB207_94
; %bb.91:                               ;   in Loop: Header=BB207_11 Depth=1
	v_and_b32_e32 v36, 0xffff, v60
	v_and_b32_e32 v61, 0x7f, v36
	v_cmp_ne_u32_e64 s[4:5], s50, v61
	v_mov_b32_e32 v58, 0x7f800001
	s_and_saveexec_b64 s[42:43], s[4:5]
	s_cbranch_execz .LBB207_93
; %bb.92:                               ;   in Loop: Header=BB207_11 Depth=1
	v_and_b32_e32 v58, 7, v36
	v_ffbh_u32_e32 v62, v58
	v_min_u32_e32 v65, 32, v62
	v_subrev_u32_e32 v62, 28, v65
	v_lshlrev_b64 v[62:63], v62, v[36:37]
	v_lshrrev_b32_e32 v64, 3, v61
	v_sub_u32_e32 v36, 29, v65
	v_and_b32_e32 v62, 7, v62
	v_cmp_gt_u32_e64 s[4:5], 8, v61
	v_cndmask_b32_e64 v36, v64, v36, s[4:5]
	v_cndmask_b32_e64 v58, v58, v62, s[4:5]
	v_lshlrev_b32_e32 v60, 24, v60
	v_lshlrev_b32_e32 v58, 20, v58
	v_and_b32_e32 v60, 0x80000000, v60
	v_lshl_add_u32 v36, v36, 23, v44
	v_or3_b32 v58, v60, v36, v58
.LBB207_93:                             ;   in Loop: Header=BB207_11 Depth=1
	s_or_b64 exec, exec, s[42:43]
.LBB207_94:                             ;   in Loop: Header=BB207_11 Depth=1
	s_or_b64 exec, exec, s[24:25]
.LBB207_95:                             ;   in Loop: Header=BB207_11 Depth=1
	s_or_b64 exec, exec, s[18:19]
	global_load_ubyte v62, v[34:35], off offset:896
	v_mov_b32_e32 v60, 0
	v_mov_b32_e32 v61, 0
	s_waitcnt vmcnt(0)
	v_cmp_ne_u16_e64 s[4:5], 0, v62
	s_and_saveexec_b64 s[18:19], s[4:5]
	s_cbranch_execz .LBB207_101
; %bb.96:                               ;   in Loop: Header=BB207_11 Depth=1
	v_cmp_ne_u16_e64 s[4:5], s49, v62
	v_bfrev_b32_e32 v61, 1
	s_and_saveexec_b64 s[24:25], s[4:5]
	s_cbranch_execz .LBB207_100
; %bb.97:                               ;   in Loop: Header=BB207_11 Depth=1
	v_and_b32_e32 v36, 0xffff, v62
	v_and_b32_e32 v63, 0x7f, v36
	v_cmp_ne_u32_e64 s[4:5], s50, v63
	v_mov_b32_e32 v61, 0x7f800001
	s_and_saveexec_b64 s[42:43], s[4:5]
	s_cbranch_execz .LBB207_99
; %bb.98:                               ;   in Loop: Header=BB207_11 Depth=1
	v_and_b32_e32 v61, 7, v36
	v_ffbh_u32_e32 v64, v61
	v_min_u32_e32 v67, 32, v64
	v_subrev_u32_e32 v64, 28, v67
	v_lshlrev_b64 v[64:65], v64, v[36:37]
	v_lshrrev_b32_e32 v66, 3, v63
	v_sub_u32_e32 v36, 29, v67
	v_and_b32_e32 v64, 7, v64
	v_cmp_gt_u32_e64 s[4:5], 8, v63
	v_cndmask_b32_e64 v36, v66, v36, s[4:5]
	v_cndmask_b32_e64 v61, v61, v64, s[4:5]
	v_lshlrev_b32_e32 v62, 24, v62
	v_lshlrev_b32_e32 v61, 20, v61
	v_and_b32_e32 v62, 0x80000000, v62
	v_lshl_add_u32 v36, v36, 23, v44
	v_or3_b32 v61, v62, v36, v61
.LBB207_99:                             ;   in Loop: Header=BB207_11 Depth=1
	s_or_b64 exec, exec, s[42:43]
.LBB207_100:                            ;   in Loop: Header=BB207_11 Depth=1
	s_or_b64 exec, exec, s[24:25]
.LBB207_101:                            ;   in Loop: Header=BB207_11 Depth=1
	s_or_b64 exec, exec, s[18:19]
	global_load_ubyte v62, v[34:35], off offset:904
	s_waitcnt vmcnt(0)
	v_cmp_ne_u16_e64 s[4:5], 0, v62
	s_and_saveexec_b64 s[18:19], s[4:5]
	s_cbranch_execz .LBB207_107
; %bb.102:                              ;   in Loop: Header=BB207_11 Depth=1
	v_cmp_ne_u16_e64 s[4:5], s49, v62
	v_bfrev_b32_e32 v60, 1
	s_and_saveexec_b64 s[24:25], s[4:5]
	s_cbranch_execz .LBB207_106
; %bb.103:                              ;   in Loop: Header=BB207_11 Depth=1
	v_and_b32_e32 v36, 0xffff, v62
	v_and_b32_e32 v63, 0x7f, v36
	v_cmp_ne_u32_e64 s[4:5], s50, v63
	v_mov_b32_e32 v60, 0x7f800001
	s_and_saveexec_b64 s[42:43], s[4:5]
	s_cbranch_execz .LBB207_105
; %bb.104:                              ;   in Loop: Header=BB207_11 Depth=1
	v_and_b32_e32 v60, 7, v36
	v_ffbh_u32_e32 v64, v60
	v_min_u32_e32 v67, 32, v64
	v_subrev_u32_e32 v64, 28, v67
	v_lshlrev_b64 v[64:65], v64, v[36:37]
	v_lshrrev_b32_e32 v66, 3, v63
	v_sub_u32_e32 v36, 29, v67
	v_and_b32_e32 v64, 7, v64
	v_cmp_gt_u32_e64 s[4:5], 8, v63
	v_cndmask_b32_e64 v36, v66, v36, s[4:5]
	v_cndmask_b32_e64 v60, v60, v64, s[4:5]
	v_lshlrev_b32_e32 v62, 24, v62
	v_lshlrev_b32_e32 v60, 20, v60
	v_and_b32_e32 v62, 0x80000000, v62
	v_lshl_add_u32 v36, v36, 23, v44
	v_or3_b32 v60, v62, v36, v60
.LBB207_105:                            ;   in Loop: Header=BB207_11 Depth=1
	s_or_b64 exec, exec, s[42:43]
.LBB207_106:                            ;   in Loop: Header=BB207_11 Depth=1
	s_or_b64 exec, exec, s[24:25]
.LBB207_107:                            ;   in Loop: Header=BB207_11 Depth=1
	s_or_b64 exec, exec, s[18:19]
	global_load_ubyte v64, v[34:35], off offset:1024
	v_mov_b32_e32 v62, 0
	v_mov_b32_e32 v63, 0
	s_waitcnt vmcnt(0)
	v_cmp_ne_u16_e64 s[4:5], 0, v64
	s_and_saveexec_b64 s[18:19], s[4:5]
	s_cbranch_execz .LBB207_113
; %bb.108:                              ;   in Loop: Header=BB207_11 Depth=1
	v_cmp_ne_u16_e64 s[4:5], s49, v64
	v_bfrev_b32_e32 v63, 1
	s_and_saveexec_b64 s[24:25], s[4:5]
	s_cbranch_execz .LBB207_112
; %bb.109:                              ;   in Loop: Header=BB207_11 Depth=1
	v_and_b32_e32 v36, 0xffff, v64
	v_and_b32_e32 v65, 0x7f, v36
	v_cmp_ne_u32_e64 s[4:5], s50, v65
	v_mov_b32_e32 v63, 0x7f800001
	s_and_saveexec_b64 s[42:43], s[4:5]
	s_cbranch_execz .LBB207_111
; %bb.110:                              ;   in Loop: Header=BB207_11 Depth=1
	v_and_b32_e32 v63, 7, v36
	v_ffbh_u32_e32 v66, v63
	v_min_u32_e32 v69, 32, v66
	v_subrev_u32_e32 v66, 28, v69
	v_lshlrev_b64 v[66:67], v66, v[36:37]
	v_lshrrev_b32_e32 v68, 3, v65
	v_sub_u32_e32 v36, 29, v69
	v_and_b32_e32 v66, 7, v66
	v_cmp_gt_u32_e64 s[4:5], 8, v65
	v_cndmask_b32_e64 v36, v68, v36, s[4:5]
	v_cndmask_b32_e64 v63, v63, v66, s[4:5]
	v_lshlrev_b32_e32 v64, 24, v64
	v_lshlrev_b32_e32 v63, 20, v63
	v_and_b32_e32 v64, 0x80000000, v64
	v_lshl_add_u32 v36, v36, 23, v44
	v_or3_b32 v63, v64, v36, v63
.LBB207_111:                            ;   in Loop: Header=BB207_11 Depth=1
	s_or_b64 exec, exec, s[42:43]
.LBB207_112:                            ;   in Loop: Header=BB207_11 Depth=1
	s_or_b64 exec, exec, s[24:25]
.LBB207_113:                            ;   in Loop: Header=BB207_11 Depth=1
	s_or_b64 exec, exec, s[18:19]
	global_load_ubyte v64, v[34:35], off offset:1032
	s_waitcnt vmcnt(0)
	v_cmp_ne_u16_e64 s[4:5], 0, v64
	s_and_saveexec_b64 s[18:19], s[4:5]
	s_cbranch_execz .LBB207_119
; %bb.114:                              ;   in Loop: Header=BB207_11 Depth=1
	v_cmp_ne_u16_e64 s[4:5], s49, v64
	v_bfrev_b32_e32 v62, 1
	s_and_saveexec_b64 s[24:25], s[4:5]
	s_cbranch_execz .LBB207_118
; %bb.115:                              ;   in Loop: Header=BB207_11 Depth=1
	v_and_b32_e32 v36, 0xffff, v64
	v_and_b32_e32 v65, 0x7f, v36
	v_cmp_ne_u32_e64 s[4:5], s50, v65
	v_mov_b32_e32 v62, 0x7f800001
	s_and_saveexec_b64 s[42:43], s[4:5]
	s_cbranch_execz .LBB207_117
; %bb.116:                              ;   in Loop: Header=BB207_11 Depth=1
	v_and_b32_e32 v62, 7, v36
	v_ffbh_u32_e32 v66, v62
	v_min_u32_e32 v69, 32, v66
	v_subrev_u32_e32 v66, 28, v69
	v_lshlrev_b64 v[66:67], v66, v[36:37]
	v_lshrrev_b32_e32 v68, 3, v65
	v_sub_u32_e32 v36, 29, v69
	v_and_b32_e32 v66, 7, v66
	v_cmp_gt_u32_e64 s[4:5], 8, v65
	v_cndmask_b32_e64 v36, v68, v36, s[4:5]
	v_cndmask_b32_e64 v62, v62, v66, s[4:5]
	v_lshlrev_b32_e32 v64, 24, v64
	v_lshlrev_b32_e32 v62, 20, v62
	v_and_b32_e32 v64, 0x80000000, v64
	v_lshl_add_u32 v36, v36, 23, v44
	v_or3_b32 v62, v64, v36, v62
.LBB207_117:                            ;   in Loop: Header=BB207_11 Depth=1
	s_or_b64 exec, exec, s[42:43]
.LBB207_118:                            ;   in Loop: Header=BB207_11 Depth=1
	s_or_b64 exec, exec, s[24:25]
.LBB207_119:                            ;   in Loop: Header=BB207_11 Depth=1
	s_or_b64 exec, exec, s[18:19]
	global_load_ubyte v66, v[34:35], off offset:1152
	v_mov_b32_e32 v64, 0
	v_mov_b32_e32 v65, 0
	s_waitcnt vmcnt(0)
	v_cmp_ne_u16_e64 s[4:5], 0, v66
	s_and_saveexec_b64 s[18:19], s[4:5]
	s_cbranch_execz .LBB207_125
; %bb.120:                              ;   in Loop: Header=BB207_11 Depth=1
	v_cmp_ne_u16_e64 s[4:5], s49, v66
	v_bfrev_b32_e32 v65, 1
	s_and_saveexec_b64 s[24:25], s[4:5]
	s_cbranch_execz .LBB207_124
; %bb.121:                              ;   in Loop: Header=BB207_11 Depth=1
	v_and_b32_e32 v36, 0xffff, v66
	v_and_b32_e32 v67, 0x7f, v36
	v_cmp_ne_u32_e64 s[4:5], s50, v67
	v_mov_b32_e32 v65, 0x7f800001
	s_and_saveexec_b64 s[42:43], s[4:5]
	s_cbranch_execz .LBB207_123
; %bb.122:                              ;   in Loop: Header=BB207_11 Depth=1
	v_and_b32_e32 v65, 7, v36
	v_ffbh_u32_e32 v68, v65
	v_min_u32_e32 v71, 32, v68
	v_subrev_u32_e32 v68, 28, v71
	v_lshlrev_b64 v[68:69], v68, v[36:37]
	v_lshrrev_b32_e32 v70, 3, v67
	v_sub_u32_e32 v36, 29, v71
	v_and_b32_e32 v68, 7, v68
	v_cmp_gt_u32_e64 s[4:5], 8, v67
	v_cndmask_b32_e64 v36, v70, v36, s[4:5]
	v_cndmask_b32_e64 v65, v65, v68, s[4:5]
	v_lshlrev_b32_e32 v66, 24, v66
	v_lshlrev_b32_e32 v65, 20, v65
	v_and_b32_e32 v66, 0x80000000, v66
	v_lshl_add_u32 v36, v36, 23, v44
	v_or3_b32 v65, v66, v36, v65
.LBB207_123:                            ;   in Loop: Header=BB207_11 Depth=1
	s_or_b64 exec, exec, s[42:43]
.LBB207_124:                            ;   in Loop: Header=BB207_11 Depth=1
	s_or_b64 exec, exec, s[24:25]
.LBB207_125:                            ;   in Loop: Header=BB207_11 Depth=1
	s_or_b64 exec, exec, s[18:19]
	global_load_ubyte v66, v[34:35], off offset:1160
	s_waitcnt vmcnt(0)
	v_cmp_ne_u16_e64 s[4:5], 0, v66
	s_and_saveexec_b64 s[18:19], s[4:5]
	s_cbranch_execz .LBB207_131
; %bb.126:                              ;   in Loop: Header=BB207_11 Depth=1
	v_cmp_ne_u16_e64 s[4:5], s49, v66
	v_bfrev_b32_e32 v64, 1
	s_and_saveexec_b64 s[24:25], s[4:5]
	s_cbranch_execz .LBB207_130
; %bb.127:                              ;   in Loop: Header=BB207_11 Depth=1
	v_and_b32_e32 v36, 0xffff, v66
	v_and_b32_e32 v67, 0x7f, v36
	v_cmp_ne_u32_e64 s[4:5], s50, v67
	v_mov_b32_e32 v64, 0x7f800001
	s_and_saveexec_b64 s[42:43], s[4:5]
	s_cbranch_execz .LBB207_129
; %bb.128:                              ;   in Loop: Header=BB207_11 Depth=1
	v_and_b32_e32 v64, 7, v36
	v_ffbh_u32_e32 v68, v64
	v_min_u32_e32 v71, 32, v68
	v_subrev_u32_e32 v68, 28, v71
	v_lshlrev_b64 v[68:69], v68, v[36:37]
	v_lshrrev_b32_e32 v70, 3, v67
	v_sub_u32_e32 v36, 29, v71
	v_and_b32_e32 v68, 7, v68
	v_cmp_gt_u32_e64 s[4:5], 8, v67
	v_cndmask_b32_e64 v36, v70, v36, s[4:5]
	v_cndmask_b32_e64 v64, v64, v68, s[4:5]
	v_lshlrev_b32_e32 v66, 24, v66
	v_lshlrev_b32_e32 v64, 20, v64
	v_and_b32_e32 v66, 0x80000000, v66
	v_lshl_add_u32 v36, v36, 23, v44
	v_or3_b32 v64, v66, v36, v64
.LBB207_129:                            ;   in Loop: Header=BB207_11 Depth=1
	s_or_b64 exec, exec, s[42:43]
.LBB207_130:                            ;   in Loop: Header=BB207_11 Depth=1
	s_or_b64 exec, exec, s[24:25]
.LBB207_131:                            ;   in Loop: Header=BB207_11 Depth=1
	s_or_b64 exec, exec, s[18:19]
	global_load_ubyte v68, v[34:35], off offset:1280
	v_mov_b32_e32 v66, 0
	v_mov_b32_e32 v67, 0
	s_waitcnt vmcnt(0)
	v_cmp_ne_u16_e64 s[4:5], 0, v68
	s_and_saveexec_b64 s[18:19], s[4:5]
	s_cbranch_execz .LBB207_137
; %bb.132:                              ;   in Loop: Header=BB207_11 Depth=1
	v_cmp_ne_u16_e64 s[4:5], s49, v68
	v_bfrev_b32_e32 v67, 1
	s_and_saveexec_b64 s[24:25], s[4:5]
	s_cbranch_execz .LBB207_136
; %bb.133:                              ;   in Loop: Header=BB207_11 Depth=1
	v_and_b32_e32 v36, 0xffff, v68
	v_and_b32_e32 v69, 0x7f, v36
	v_cmp_ne_u32_e64 s[4:5], s50, v69
	v_mov_b32_e32 v67, 0x7f800001
	s_and_saveexec_b64 s[42:43], s[4:5]
	s_cbranch_execz .LBB207_135
; %bb.134:                              ;   in Loop: Header=BB207_11 Depth=1
	v_and_b32_e32 v67, 7, v36
	v_ffbh_u32_e32 v70, v67
	v_min_u32_e32 v73, 32, v70
	v_subrev_u32_e32 v70, 28, v73
	v_lshlrev_b64 v[70:71], v70, v[36:37]
	v_lshrrev_b32_e32 v72, 3, v69
	v_sub_u32_e32 v36, 29, v73
	v_and_b32_e32 v70, 7, v70
	v_cmp_gt_u32_e64 s[4:5], 8, v69
	v_cndmask_b32_e64 v36, v72, v36, s[4:5]
	v_cndmask_b32_e64 v67, v67, v70, s[4:5]
	v_lshlrev_b32_e32 v68, 24, v68
	v_lshlrev_b32_e32 v67, 20, v67
	v_and_b32_e32 v68, 0x80000000, v68
	v_lshl_add_u32 v36, v36, 23, v44
	v_or3_b32 v67, v68, v36, v67
.LBB207_135:                            ;   in Loop: Header=BB207_11 Depth=1
	s_or_b64 exec, exec, s[42:43]
.LBB207_136:                            ;   in Loop: Header=BB207_11 Depth=1
	s_or_b64 exec, exec, s[24:25]
.LBB207_137:                            ;   in Loop: Header=BB207_11 Depth=1
	s_or_b64 exec, exec, s[18:19]
	global_load_ubyte v68, v[34:35], off offset:1288
	s_waitcnt vmcnt(0)
	v_cmp_ne_u16_e64 s[4:5], 0, v68
	s_and_saveexec_b64 s[18:19], s[4:5]
	s_cbranch_execz .LBB207_143
; %bb.138:                              ;   in Loop: Header=BB207_11 Depth=1
	v_cmp_ne_u16_e64 s[4:5], s49, v68
	v_bfrev_b32_e32 v66, 1
	s_and_saveexec_b64 s[24:25], s[4:5]
	s_cbranch_execz .LBB207_142
; %bb.139:                              ;   in Loop: Header=BB207_11 Depth=1
	v_and_b32_e32 v36, 0xffff, v68
	v_and_b32_e32 v69, 0x7f, v36
	v_cmp_ne_u32_e64 s[4:5], s50, v69
	v_mov_b32_e32 v66, 0x7f800001
	s_and_saveexec_b64 s[42:43], s[4:5]
	s_cbranch_execz .LBB207_141
; %bb.140:                              ;   in Loop: Header=BB207_11 Depth=1
	v_and_b32_e32 v66, 7, v36
	v_ffbh_u32_e32 v70, v66
	v_min_u32_e32 v73, 32, v70
	v_subrev_u32_e32 v70, 28, v73
	v_lshlrev_b64 v[70:71], v70, v[36:37]
	v_lshrrev_b32_e32 v72, 3, v69
	v_sub_u32_e32 v36, 29, v73
	v_and_b32_e32 v70, 7, v70
	v_cmp_gt_u32_e64 s[4:5], 8, v69
	v_cndmask_b32_e64 v36, v72, v36, s[4:5]
	v_cndmask_b32_e64 v66, v66, v70, s[4:5]
	v_lshlrev_b32_e32 v68, 24, v68
	v_lshlrev_b32_e32 v66, 20, v66
	v_and_b32_e32 v68, 0x80000000, v68
	v_lshl_add_u32 v36, v36, 23, v44
	v_or3_b32 v66, v68, v36, v66
.LBB207_141:                            ;   in Loop: Header=BB207_11 Depth=1
	s_or_b64 exec, exec, s[42:43]
.LBB207_142:                            ;   in Loop: Header=BB207_11 Depth=1
	s_or_b64 exec, exec, s[24:25]
.LBB207_143:                            ;   in Loop: Header=BB207_11 Depth=1
	s_or_b64 exec, exec, s[18:19]
	global_load_ubyte v70, v[34:35], off offset:1408
	v_mov_b32_e32 v68, 0
	v_mov_b32_e32 v69, 0
	s_waitcnt vmcnt(0)
	v_cmp_ne_u16_e64 s[4:5], 0, v70
	s_and_saveexec_b64 s[18:19], s[4:5]
	s_cbranch_execz .LBB207_149
; %bb.144:                              ;   in Loop: Header=BB207_11 Depth=1
	v_cmp_ne_u16_e64 s[4:5], s49, v70
	v_bfrev_b32_e32 v69, 1
	s_and_saveexec_b64 s[24:25], s[4:5]
	s_cbranch_execz .LBB207_148
; %bb.145:                              ;   in Loop: Header=BB207_11 Depth=1
	v_and_b32_e32 v36, 0xffff, v70
	v_and_b32_e32 v71, 0x7f, v36
	v_cmp_ne_u32_e64 s[4:5], s50, v71
	v_mov_b32_e32 v69, 0x7f800001
	s_and_saveexec_b64 s[42:43], s[4:5]
	s_cbranch_execz .LBB207_147
; %bb.146:                              ;   in Loop: Header=BB207_11 Depth=1
	v_and_b32_e32 v69, 7, v36
	v_ffbh_u32_e32 v72, v69
	v_min_u32_e32 v75, 32, v72
	v_subrev_u32_e32 v72, 28, v75
	v_lshlrev_b64 v[72:73], v72, v[36:37]
	v_lshrrev_b32_e32 v74, 3, v71
	v_sub_u32_e32 v36, 29, v75
	v_and_b32_e32 v72, 7, v72
	v_cmp_gt_u32_e64 s[4:5], 8, v71
	v_cndmask_b32_e64 v36, v74, v36, s[4:5]
	v_cndmask_b32_e64 v69, v69, v72, s[4:5]
	v_lshlrev_b32_e32 v70, 24, v70
	v_lshlrev_b32_e32 v69, 20, v69
	v_and_b32_e32 v70, 0x80000000, v70
	v_lshl_add_u32 v36, v36, 23, v44
	v_or3_b32 v69, v70, v36, v69
.LBB207_147:                            ;   in Loop: Header=BB207_11 Depth=1
	s_or_b64 exec, exec, s[42:43]
.LBB207_148:                            ;   in Loop: Header=BB207_11 Depth=1
	s_or_b64 exec, exec, s[24:25]
.LBB207_149:                            ;   in Loop: Header=BB207_11 Depth=1
	s_or_b64 exec, exec, s[18:19]
	global_load_ubyte v35, v[34:35], off offset:1416
	s_waitcnt vmcnt(0)
	v_cmp_ne_u16_e64 s[4:5], 0, v35
	s_and_saveexec_b64 s[18:19], s[4:5]
	s_cbranch_execz .LBB207_155
; %bb.150:                              ;   in Loop: Header=BB207_11 Depth=1
	v_cmp_ne_u16_e64 s[4:5], s49, v35
	v_bfrev_b32_e32 v68, 1
	s_and_saveexec_b64 s[24:25], s[4:5]
	s_cbranch_execz .LBB207_154
; %bb.151:                              ;   in Loop: Header=BB207_11 Depth=1
	v_and_b32_e32 v34, 0xffff, v35
	v_and_b32_e32 v36, 0x7f, v34
	v_cmp_ne_u32_e64 s[4:5], s50, v36
	v_mov_b32_e32 v68, 0x7f800001
	s_and_saveexec_b64 s[42:43], s[4:5]
	s_cbranch_execz .LBB207_153
; %bb.152:                              ;   in Loop: Header=BB207_11 Depth=1
	v_and_b32_e32 v68, 7, v34
	v_ffbh_u32_e32 v70, v68
	v_min_u32_e32 v73, 32, v70
	v_subrev_u32_e32 v70, 28, v73
	v_lshlrev_b64 v[70:71], v70, v[34:35]
	v_lshrrev_b32_e32 v72, 3, v36
	v_sub_u32_e32 v34, 29, v73
	v_and_b32_e32 v70, 7, v70
	v_cmp_gt_u32_e64 s[4:5], 8, v36
	v_cndmask_b32_e64 v34, v72, v34, s[4:5]
	v_cndmask_b32_e64 v36, v68, v70, s[4:5]
	v_lshlrev_b32_e32 v35, 24, v35
	v_lshlrev_b32_e32 v36, 20, v36
	v_and_b32_e32 v35, 0x80000000, v35
	v_lshl_add_u32 v34, v34, 23, v44
	v_or3_b32 v68, v35, v34, v36
.LBB207_153:                            ;   in Loop: Header=BB207_11 Depth=1
	s_or_b64 exec, exec, s[42:43]
.LBB207_154:                            ;   in Loop: Header=BB207_11 Depth=1
	s_or_b64 exec, exec, s[24:25]
.LBB207_155:                            ;   in Loop: Header=BB207_11 Depth=1
	s_or_b64 exec, exec, s[18:19]
	s_waitcnt lgkmcnt(0)
	v_mul_f32_e32 v47, s47, v47
	v_mul_f32_e32 v46, s47, v46
	;; [unrolled: 1-line block ×4, first 2 shown]
	v_fmac_f32_e32 v47, v2, v46
	v_mul_f32_e32 v48, s47, v48
	v_fmac_f32_e32 v47, v4, v49
	v_mul_f32_e32 v51, s47, v51
	;; [unrolled: 2-line block ×21, first 2 shown]
	v_fmac_f32_e32 v47, v24, v34
	v_fmac_f32_e32 v47, v25, v66
	ds_bpermute_b32 v34, v1, v47
	s_waitcnt lgkmcnt(0)
	v_add_f32_e32 v34, v47, v34
	ds_bpermute_b32 v35, v40, v34
	s_waitcnt lgkmcnt(0)
	v_add_f32_e32 v34, v34, v35
	ds_bpermute_b32 v35, v41, v34
	s_and_saveexec_b64 s[18:19], vcc
	s_cbranch_execz .LBB207_10
; %bb.156:                              ;   in Loop: Header=BB207_11 Depth=1
	v_add_u32_e32 v36, s48, v42
	v_cvt_f32_i32_e32 v36, v36
	s_waitcnt lgkmcnt(0)
	v_add_f32_e32 v34, v34, v35
	v_cmp_gt_i32_e64 s[4:5], s37, v42
	v_max_f32_e32 v35, v39, v39
	v_mul_f32_e32 v36, s10, v36
	v_cndmask_b32_e64 v36, 0, v36, s[2:3]
	v_fmac_f32_e32 v36, s11, v34
	v_cndmask_b32_e64 v34, 0, v36, s[4:5]
	ds_write_b32 v43, v34
	v_max_f32_e32 v34, v35, v36
	v_cndmask_b32_e64 v39, v39, v34, s[4:5]
	s_branch .LBB207_10
.LBB207_157:
	s_or_b64 exec, exec, s[12:13]
.LBB207_158:
	s_or_b64 exec, exec, s[40:41]
	v_xor_b32_e32 v1, 32, v37
	v_cmp_lt_i32_e32 vcc, v1, v38
	v_cndmask_b32_e32 v1, v37, v1, vcc
	v_lshlrev_b32_e32 v3, 2, v1
	ds_bpermute_b32 v1, v3, v39
	v_xor_b32_e32 v4, 16, v37
	v_max_f32_e32 v2, v39, v39
	v_cmp_lt_i32_e32 vcc, v4, v38
	v_xor_b32_e32 v5, 8, v37
	s_waitcnt lgkmcnt(0)
	v_max_f32_e32 v1, v1, v1
	v_max_f32_e32 v1, v2, v1
	v_cndmask_b32_e32 v2, v37, v4, vcc
	v_lshlrev_b32_e32 v6, 2, v2
	ds_bpermute_b32 v2, v6, v1
	v_cmp_lt_i32_e32 vcc, v5, v38
	s_waitcnt lgkmcnt(0)
	v_max_f32_e32 v2, v2, v2
	v_max_f32_e32 v4, v1, v2
	v_cndmask_b32_e32 v1, v37, v5, vcc
	v_lshlrev_b32_e32 v7, 2, v1
	ds_bpermute_b32 v5, v7, v4
	v_and_b32_e32 v1, 63, v0
	v_cmp_eq_u32_e32 vcc, 0, v1
	v_lshlrev_b32_e32 v2, 2, v29
	s_and_saveexec_b64 s[2:3], vcc
	s_cbranch_execz .LBB207_160
; %bb.159:
	s_waitcnt lgkmcnt(0)
	v_max_f32_e32 v5, v5, v5
	v_max_f32_e32 v4, v4, v4
	;; [unrolled: 1-line block ×3, first 2 shown]
	ds_write_b32 v2, v4 offset:768
.LBB207_160:
	s_or_b64 exec, exec, s[2:3]
	v_cmp_gt_u32_e64 s[2:3], 2, v1
	v_mov_b32_e32 v4, 0xff7fffff
	s_waitcnt lgkmcnt(0)
	v_lshlrev_b32_e32 v5, 2, v1
	s_barrier
	s_and_saveexec_b64 s[4:5], s[2:3]
	s_cbranch_execz .LBB207_162
; %bb.161:
	ds_read_b32 v4, v5 offset:768
.LBB207_162:
	s_or_b64 exec, exec, s[4:5]
	v_xor_b32_e32 v8, 1, v37
	v_cmp_lt_i32_e64 s[4:5], v8, v38
	v_cndmask_b32_e64 v8, v37, v8, s[4:5]
	v_lshlrev_b32_e32 v50, 2, v8
	s_waitcnt lgkmcnt(0)
	ds_bpermute_b32 v8, v50, v4
	v_max_f32_e32 v4, v4, v4
	s_sub_i32 s4, s31, s45
	s_lshl_b32 s4, s4, 3
	s_add_i32 s4, s4, s44
	s_waitcnt lgkmcnt(0)
	v_max_f32_e32 v8, v8, v8
	v_max_f32_e32 v4, v4, v8
	v_lshlrev_b32_e32 v8, 2, v37
	v_and_b32_e32 v8, 0xffffff00, v8
	ds_bpermute_b32 v4, v8, v4
	s_min_i32 s25, s4, s37
	s_sub_i32 s24, s25, s44
	v_cmp_gt_i32_e64 s[4:5], s24, v0
	v_mov_b32_e32 v9, 0
	s_and_saveexec_b64 s[12:13], s[4:5]
	s_cbranch_execz .LBB207_166
; %bb.163:
	v_mov_b32_e32 v9, 0x310
	v_lshl_add_u32 v10, v0, 2, v9
	s_mov_b64 s[18:19], 0
	v_mov_b32_e32 v9, 0
	v_mov_b32_e32 v11, v0
.LBB207_164:                            ; =>This Inner Loop Header: Depth=1
	ds_read_b32 v12, v10
	v_add_u32_e32 v11, 0x80, v11
	v_cmp_le_i32_e64 s[10:11], s24, v11
	s_or_b64 s[18:19], s[10:11], s[18:19]
	s_waitcnt lgkmcnt(0)
	v_sub_f32_e32 v12, v12, v4
	v_mul_f32_e32 v12, 0x3fb8aa3b, v12
	v_exp_f32_e32 v12, v12
	ds_write_b32 v10, v12
	v_add_f32_e32 v9, v9, v12
	v_add_u32_e32 v10, 0x200, v10
	s_andn2_b64 exec, exec, s[18:19]
	s_cbranch_execnz .LBB207_164
; %bb.165:
	s_or_b64 exec, exec, s[18:19]
.LBB207_166:
	s_or_b64 exec, exec, s[12:13]
	ds_bpermute_b32 v3, v3, v9
	s_waitcnt lgkmcnt(0)
	v_add_f32_e32 v3, v9, v3
	ds_bpermute_b32 v6, v6, v3
	s_waitcnt lgkmcnt(0)
	v_add_f32_e32 v3, v3, v6
	ds_bpermute_b32 v6, v7, v3
	v_xor_b32_e32 v7, 4, v37
	v_cmp_lt_i32_e64 s[10:11], v7, v38
	v_cndmask_b32_e64 v7, v37, v7, s[10:11]
	v_lshlrev_b32_e32 v7, 2, v7
	s_waitcnt lgkmcnt(0)
	v_add_f32_e32 v3, v3, v6
	ds_bpermute_b32 v6, v7, v3
	v_xor_b32_e32 v7, 2, v37
	v_cmp_lt_i32_e64 s[10:11], v7, v38
	v_cndmask_b32_e64 v7, v37, v7, s[10:11]
	s_waitcnt lgkmcnt(0)
	v_add_f32_e32 v3, v3, v6
	v_lshlrev_b32_e32 v6, 2, v7
	ds_bpermute_b32 v6, v6, v3
	s_waitcnt lgkmcnt(0)
	v_add_f32_e32 v3, v3, v6
	ds_bpermute_b32 v6, v50, v3
	s_waitcnt lgkmcnt(0)
	v_add_f32_e32 v3, v3, v6
	s_and_saveexec_b64 s[10:11], vcc
	s_cbranch_execz .LBB207_168
; %bb.167:
	ds_write_b32 v2, v3 offset:776
.LBB207_168:
	s_or_b64 exec, exec, s[10:11]
	s_waitcnt lgkmcnt(0)
	s_barrier
	s_and_saveexec_b64 s[10:11], s[2:3]
	s_cbranch_execz .LBB207_170
; %bb.169:
	ds_read_b32 v3, v5 offset:776
.LBB207_170:
	s_or_b64 exec, exec, s[10:11]
	s_waitcnt lgkmcnt(0)
	ds_bpermute_b32 v2, v50, v3
	s_waitcnt lgkmcnt(0)
	v_add_f32_e32 v2, v3, v2
	ds_bpermute_b32 v5, v8, v2
	s_and_saveexec_b64 s[2:3], s[4:5]
	s_cbranch_execz .LBB207_183
; %bb.171:
	s_waitcnt lgkmcnt(0)
	v_add_f32_e32 v2, 0x358637bd, v5
	v_div_scale_f32 v3, s[4:5], v2, v2, 1.0
	v_rcp_f32_e32 v6, v3
	v_div_scale_f32 v7, vcc, 1.0, v2, 1.0
	s_movk_i32 s4, 0x7f
	v_fma_f32 v8, -v3, v6, 1.0
	v_fmac_f32_e32 v6, v8, v6
	v_mul_f32_e32 v8, v7, v6
	v_fma_f32 v9, -v3, v8, v7
	v_fmac_f32_e32 v8, v9, v6
	v_fma_f32 v3, -v3, v8, v7
	v_div_fmas_f32 v3, v3, v6, v8
	v_div_fixup_f32 v2, v3, v2, 1.0
	v_xad_u32 v3, v0, -1, s25
	v_subrev_u32_e32 v6, s44, v3
	v_cmp_lt_u32_e32 vcc, s4, v6
	s_mov_b64 s[10:11], -1
	v_mov_b32_e32 v3, v0
	s_and_saveexec_b64 s[4:5], vcc
	s_cbranch_execz .LBB207_180
; %bb.172:
	v_lshrrev_b32_e32 v6, 7, v6
	v_add_u32_e32 v8, -1, v6
	v_lshrrev_b32_e32 v7, 1, v8
	v_mov_b32_e32 v3, v2
	v_add_u32_e32 v7, 1, v7
	v_cmp_lt_u32_e32 vcc, 13, v8
	v_mov_b32_e32 v10, 0
	s_and_saveexec_b64 s[10:11], vcc
	s_cbranch_execz .LBB207_176
; %bb.173:
	v_mov_b32_e32 v9, 0x310
	v_and_b32_e32 v8, -8, v7
	v_lshl_add_u32 v9, v0, 2, v9
	s_mov_b32 s18, 0
	s_mov_b64 s[12:13], 0
.LBB207_174:                            ; =>This Inner Loop Header: Depth=1
	ds_read2st64_b32 v[10:11], v9 offset1:2
	ds_read2st64_b32 v[12:13], v9 offset0:4 offset1:6
	ds_read2st64_b32 v[14:15], v9 offset0:8 offset1:10
	;; [unrolled: 1-line block ×3, first 2 shown]
	v_add_u32_e32 v8, -8, v8
	s_waitcnt lgkmcnt(3)
	v_pk_mul_f32 v[10:11], v[2:3], v[10:11]
	s_waitcnt lgkmcnt(2)
	v_pk_mul_f32 v[12:13], v[2:3], v[12:13]
	ds_write2st64_b32 v9, v10, v11 offset1:2
	ds_write2st64_b32 v9, v12, v13 offset0:4 offset1:6
	ds_read2st64_b32 v[12:13], v9 offset0:16 offset1:18
	s_waitcnt lgkmcnt(4)
	v_pk_mul_f32 v[10:11], v[2:3], v[14:15]
	ds_write2st64_b32 v9, v10, v11 offset0:8 offset1:10
	s_waitcnt lgkmcnt(4)
	v_pk_mul_f32 v[10:11], v[2:3], v[16:17]
	ds_write2st64_b32 v9, v10, v11 offset0:12 offset1:14
	ds_read2st64_b32 v[10:11], v9 offset0:20 offset1:22
	s_waitcnt lgkmcnt(3)
	v_pk_mul_f32 v[12:13], v[2:3], v[12:13]
	ds_read2st64_b32 v[14:15], v9 offset0:24 offset1:26
	ds_write2st64_b32 v9, v12, v13 offset0:16 offset1:18
	ds_read2st64_b32 v[12:13], v9 offset0:28 offset1:30
	s_waitcnt lgkmcnt(3)
	v_pk_mul_f32 v[10:11], v[2:3], v[10:11]
	ds_write2st64_b32 v9, v10, v11 offset0:20 offset1:22
	s_waitcnt lgkmcnt(3)
	v_pk_mul_f32 v[10:11], v[2:3], v[14:15]
	ds_write2st64_b32 v9, v10, v11 offset0:24 offset1:26
	s_waitcnt lgkmcnt(2)
	v_pk_mul_f32 v[10:11], v[2:3], v[12:13]
	s_add_i32 s18, s18, 16
	v_cmp_eq_u32_e32 vcc, 0, v8
	ds_write2st64_b32 v9, v10, v11 offset0:28 offset1:30
	v_add_u32_e32 v9, 0x2000, v9
	s_or_b64 s[12:13], vcc, s[12:13]
	v_mov_b32_e32 v10, s18
	s_andn2_b64 exec, exec, s[12:13]
	s_cbranch_execnz .LBB207_174
; %bb.175:
	s_or_b64 exec, exec, s[12:13]
.LBB207_176:
	s_or_b64 exec, exec, s[10:11]
	v_and_b32_e32 v7, 7, v7
	v_cmp_ne_u32_e32 vcc, 0, v7
	s_and_saveexec_b64 s[10:11], vcc
	s_cbranch_execz .LBB207_179
; %bb.177:
	v_lshlrev_b32_e32 v8, 9, v10
	v_lshlrev_b32_e32 v9, 2, v0
	s_movk_i32 s12, 0x310
	v_add3_u32 v8, v8, v9, s12
	s_mov_b64 s[12:13], 0
.LBB207_178:                            ; =>This Inner Loop Header: Depth=1
	ds_read2st64_b32 v[10:11], v8 offset1:2
	v_add_u32_e32 v7, -1, v7
	v_cmp_eq_u32_e32 vcc, 0, v7
	s_or_b64 s[12:13], vcc, s[12:13]
	s_waitcnt lgkmcnt(0)
	v_pk_mul_f32 v[10:11], v[2:3], v[10:11]
	ds_write2st64_b32 v8, v10, v11 offset1:2
	v_add_u32_e32 v8, 0x400, v8
	s_andn2_b64 exec, exec, s[12:13]
	s_cbranch_execnz .LBB207_178
.LBB207_179:
	s_or_b64 exec, exec, s[10:11]
	v_add_u32_e32 v6, 1, v6
	v_and_b32_e32 v7, 0x3fffffe, v6
	v_cmp_ne_u32_e32 vcc, v6, v7
	v_lshl_add_u32 v3, v7, 7, v0
	s_orn2_b64 s[10:11], vcc, exec
.LBB207_180:
	s_or_b64 exec, exec, s[4:5]
	s_and_b64 exec, exec, s[10:11]
	s_cbranch_execz .LBB207_183
; %bb.181:
	v_mov_b32_e32 v6, 0x310
	v_lshl_add_u32 v6, v3, 2, v6
	s_mov_b64 s[4:5], 0
.LBB207_182:                            ; =>This Inner Loop Header: Depth=1
	ds_read_b32 v7, v6
	v_add_u32_e32 v3, 0x80, v3
	v_cmp_le_i32_e32 vcc, s24, v3
	s_or_b64 s[4:5], vcc, s[4:5]
	s_waitcnt lgkmcnt(0)
	v_mul_f32_e32 v7, v2, v7
	ds_write_b32 v6, v7
	v_add_u32_e32 v6, 0x200, v6
	s_andn2_b64 exec, exec, s[4:5]
	s_cbranch_execnz .LBB207_182
.LBB207_183:
	s_or_b64 exec, exec, s[2:3]
	s_mul_i32 s2, s33, s36
	v_cmp_eq_u32_e32 vcc, 0, v0
	s_mul_i32 s2, s2, s9
	s_waitcnt lgkmcnt(0)
	s_barrier
	s_and_saveexec_b64 s[4:5], vcc
	s_cbranch_execz .LBB207_185
; %bb.184:
	s_ashr_i32 s3, s2, 31
	s_lshl_b64 s[10:11], s[2:3], 2
	s_add_u32 s3, s22, s10
	s_mul_i32 s12, s33, s6
	s_addc_u32 s9, s23, s11
	s_ashr_i32 s13, s12, 31
	s_lshl_b64 s[12:13], s[12:13], 2
	s_add_u32 s3, s3, s12
	s_addc_u32 s6, s9, s13
	s_ashr_i32 s9, s8, 31
	s_lshl_b64 s[18:19], s[8:9], 2
	s_add_u32 s22, s3, s18
	s_addc_u32 s23, s6, s19
	s_add_u32 s3, s20, s10
	s_addc_u32 s6, s21, s11
	;; [unrolled: 2-line block ×3, first 2 shown]
	s_add_u32 s10, s3, s18
	v_mov_b32_e32 v2, 0
	s_addc_u32 s11, s6, s19
	global_store_dword v2, v4, s[22:23]
	global_store_dword v2, v5, s[10:11]
.LBB207_185:
	s_or_b64 exec, exec, s[4:5]
	s_mov_b32 s6, 0
	v_mov_b32_e32 v7, 0
	v_and_b32_e32 v51, 1, v0
	v_mov_b32_e32 v6, 0
	v_mov_b32_e32 v9, 0
	;; [unrolled: 1-line block ×5, first 2 shown]
	s_and_saveexec_b64 s[4:5], s[0:1]
	s_cbranch_execz .LBB207_345
; %bb.186:
	v_lshlrev_b32_e32 v2, 2, v0
	s_ashr_i32 s0, s16, 31
	v_and_b32_e32 v3, 4, v2
	s_add_u32 s1, s14, s16
	v_and_b32_e32 v2, 0xfc, v2
	s_load_dword s10, s[26:27], 0x0
	s_addc_u32 s0, s15, s0
	v_add_co_u32_e32 v14, vcc, s1, v2
	v_lshl_add_u32 v2, v29, 3, s44
	s_add_i32 s9, s7, -1
	v_mov_b32_e32 v4, s0
	v_add3_u32 v52, v2, v3, 3
	v_lshlrev_b32_e32 v2, 4, v51
	s_lshl_b64 s[0:1], s[38:39], 2
	v_lshl_or_b32 v2, v29, 5, v2
	s_add_u32 s0, s34, s0
	v_addc_co_u32_e32 v15, vcc, 0, v4, vcc
	v_add_u32_e32 v53, 0x310, v2
	v_lshlrev_b64 v[2:3], 2, v[26:27]
	s_addc_u32 s1, s35, s1
	v_mov_b32_e32 v4, s1
	v_add_co_u32_e32 v16, vcc, s0, v2
	s_mov_b32 s3, s17
	s_waitcnt lgkmcnt(0)
	s_mov_b32 s11, s10
	v_mov_b32_e32 v13, 0
	v_addc_co_u32_e32 v17, vcc, v4, v3, vcc
	s_mov_b64 s[12:13], 0
	s_movk_i32 s22, 0x80
	s_movk_i32 s23, 0x7f
	s_brev_b32 s7, 1
	s_mov_b32 s15, 0x7f800001
	s_mov_b32 s24, 0xffffff
	v_bfrev_b32_e32 v27, 60
	v_mov_b32_e32 v54, 7
	v_mov_b32_e32 v55, 24
	;; [unrolled: 1-line block ×8, first 2 shown]
	s_branch .LBB207_188
.LBB207_187:                            ;   in Loop: Header=BB207_188 Depth=1
	s_or_b64 exec, exec, s[0:1]
	s_waitcnt lgkmcnt(0)
	v_mul_f32_e32 v12, v3, v19
	v_fmac_f32_e32 v12, v2, v18
	v_fmac_f32_e32 v12, v4, v20
	v_fmac_f32_e32 v12, v5, v21
	v_add_f32_e32 v10, v10, v12
	v_mul_f32_e32 v12, v3, v25
	v_fmac_f32_e32 v12, v2, v24
	v_fmac_f32_e32 v12, v4, v28
	v_fmac_f32_e32 v12, v5, v29
	v_add_f32_e32 v11, v11, v12
	;; [unrolled: 5-line block ×4, first 2 shown]
	v_mul_f32_e32 v12, v3, v39
	v_mul_f32_e32 v3, v3, v23
	v_fmac_f32_e32 v12, v2, v38
	v_fmac_f32_e32 v3, v2, v22
	v_add_u32_e32 v26, 2, v26
	v_fmac_f32_e32 v12, v4, v40
	v_fmac_f32_e32 v3, v4, v42
	v_cmp_le_i32_e32 vcc, s31, v26
	v_fmac_f32_e32 v12, v5, v41
	v_fmac_f32_e32 v3, v5, v43
	s_or_b64 s[12:13], vcc, s[12:13]
	v_add_co_u32_e32 v16, vcc, 8, v16
	v_add_f32_e32 v6, v6, v12
	v_add_f32_e32 v7, v7, v3
	v_add_u32_e32 v52, 16, v52
	v_add_u32_e32 v53, 64, v53
	v_addc_co_u32_e32 v17, vcc, 0, v17, vcc
	s_andn2_b64 exec, exec, s[12:13]
	s_cbranch_execz .LBB207_344
.LBB207_188:                            ; =>This Inner Loop Header: Depth=1
	global_load_dword v2, v[16:17], off
	v_pk_mov_b32 v[24:25], 0, 0
	v_pk_mov_b32 v[20:21], v[24:25], v[24:25] op_sel:[0,1]
	s_waitcnt vmcnt(0)
	v_mad_i64_i32 v[22:23], s[0:1], v2, s3, v[14:15]
	global_load_dword v18, v[22:23], off
	ds_read_b128 v[2:5], v53
	s_waitcnt vmcnt(0)
	v_cmp_ne_u16_sdwa s[16:17], v18, v13 src0_sel:BYTE_0 src1_sel:DWORD
	s_and_saveexec_b64 s[0:1], s[16:17]
	s_cbranch_execz .LBB207_194
; %bb.189:                              ;   in Loop: Header=BB207_188 Depth=1
	v_bfrev_b32_e32 v20, 1
	v_cmp_ne_u16_sdwa s[18:19], v18, s22 src0_sel:BYTE_0 src1_sel:DWORD
	v_mov_b32_e32 v21, 0
	s_and_saveexec_b64 s[16:17], s[18:19]
	s_cbranch_execz .LBB207_193
; %bb.190:                              ;   in Loop: Header=BB207_188 Depth=1
	v_and_b32_e32 v12, 0x7f, v18
	v_mov_b32_e32 v20, 0x7f800001
	v_cmp_ne_u32_e32 vcc, s23, v12
	v_mov_b32_e32 v21, 0
	s_and_saveexec_b64 s[18:19], vcc
	s_cbranch_execz .LBB207_192
; %bb.191:                              ;   in Loop: Header=BB207_188 Depth=1
	v_and_b32_e32 v19, 7, v18
	v_ffbh_u32_e32 v20, v19
	v_min_u32_e32 v29, 32, v20
	v_subrev_u32_e32 v20, 28, v29
	v_lshlrev_b64 v[20:21], v20, v[18:19]
	v_lshrrev_b32_e32 v28, 3, v12
	v_sub_u32_e32 v21, 29, v29
	v_and_b32_e32 v20, 7, v20
	v_cmp_gt_u32_e32 vcc, 8, v12
	v_cndmask_b32_e32 v12, v28, v21, vcc
	v_cndmask_b32_e32 v19, v19, v20, vcc
	v_lshlrev_b32_e32 v19, 20, v19
	v_and_b32_sdwa v20, sext(v18), s7 dst_sel:DWORD dst_unused:UNUSED_PAD src0_sel:BYTE_0 src1_sel:DWORD
	v_lshl_add_u32 v12, v12, 23, v27
	v_or3_b32 v12, v20, v12, v19
	v_pk_mov_b32 v[20:21], v[12:13], v[12:13] op_sel:[0,1]
.LBB207_192:                            ;   in Loop: Header=BB207_188 Depth=1
	s_or_b64 exec, exec, s[18:19]
.LBB207_193:                            ;   in Loop: Header=BB207_188 Depth=1
	s_or_b64 exec, exec, s[16:17]
.LBB207_194:                            ;   in Loop: Header=BB207_188 Depth=1
	s_or_b64 exec, exec, s[0:1]
	v_cmp_ne_u16_sdwa s[16:17], v18, v13 src0_sel:BYTE_1 src1_sel:DWORD
	s_and_saveexec_b64 s[0:1], s[16:17]
	s_cbranch_execz .LBB207_200
; %bb.195:                              ;   in Loop: Header=BB207_188 Depth=1
	v_cmp_ne_u16_sdwa s[18:19], v18, s22 src0_sel:BYTE_1 src1_sel:DWORD
	v_pk_mov_b32 v[24:25], s[6:7], s[6:7] op_sel:[0,1]
	s_and_saveexec_b64 s[16:17], s[18:19]
	s_cbranch_execz .LBB207_199
; %bb.196:                              ;   in Loop: Header=BB207_188 Depth=1
	v_and_b32_sdwa v19, v18, s23 dst_sel:DWORD dst_unused:UNUSED_PAD src0_sel:BYTE_1 src1_sel:DWORD
	s_mov_b32 s14, s6
	v_cmp_ne_u32_e32 vcc, s23, v19
	v_pk_mov_b32 v[24:25], s[14:15], s[14:15] op_sel:[0,1]
	s_and_saveexec_b64 s[18:19], vcc
	s_cbranch_execz .LBB207_198
; %bb.197:                              ;   in Loop: Header=BB207_188 Depth=1
	v_and_b32_sdwa v12, v18, v54 dst_sel:DWORD dst_unused:UNUSED_PAD src0_sel:BYTE_1 src1_sel:DWORD
	v_ffbh_u32_e32 v24, v12
	v_min_u32_e32 v29, 32, v24
	v_subrev_u32_e32 v24, 28, v29
	v_lshlrev_b64 v[24:25], v24, v[12:13]
	v_lshrrev_b32_e32 v28, 3, v19
	v_sub_u32_e32 v25, 29, v29
	v_cmp_gt_u32_e32 vcc, 8, v19
	v_and_b32_e32 v24, 7, v24
	v_cndmask_b32_e32 v19, v28, v25, vcc
	v_cndmask_b32_e32 v12, v12, v24, vcc
	v_lshlrev_b32_e32 v24, 16, v18
	v_lshl_add_u32 v19, v19, 23, v27
	v_and_or_b32 v19, v24, s7, v19
	v_lshlrev_b32_e32 v12, 20, v12
	v_or_b32_e32 v25, v19, v12
	v_mov_b32_e32 v24, v13
.LBB207_198:                            ;   in Loop: Header=BB207_188 Depth=1
	s_or_b64 exec, exec, s[18:19]
.LBB207_199:                            ;   in Loop: Header=BB207_188 Depth=1
	s_or_b64 exec, exec, s[16:17]
.LBB207_200:                            ;   in Loop: Header=BB207_188 Depth=1
	s_or_b64 exec, exec, s[0:1]
	v_lshrrev_b32_e32 v12, 16, v18
	v_pk_mov_b32 v[30:31], 0, 0
	v_cmp_ne_u16_sdwa s[16:17], v12, v13 src0_sel:BYTE_0 src1_sel:DWORD
	v_pk_mov_b32 v[28:29], v[30:31], v[30:31] op_sel:[0,1]
	s_and_saveexec_b64 s[0:1], s[16:17]
	s_cbranch_execz .LBB207_206
; %bb.201:                              ;   in Loop: Header=BB207_188 Depth=1
	v_bfrev_b32_e32 v28, 1
	v_cmp_ne_u16_sdwa s[18:19], v12, s22 src0_sel:BYTE_0 src1_sel:DWORD
	v_mov_b32_e32 v29, 0
	s_and_saveexec_b64 s[16:17], s[18:19]
	s_cbranch_execz .LBB207_205
; %bb.202:                              ;   in Loop: Header=BB207_188 Depth=1
	v_bfe_u32 v19, v18, 16, 7
	v_mov_b32_e32 v28, 0x7f800001
	v_cmp_ne_u32_e32 vcc, s23, v19
	v_mov_b32_e32 v29, 0
	s_and_saveexec_b64 s[18:19], vcc
	s_cbranch_execz .LBB207_204
; %bb.203:                              ;   in Loop: Header=BB207_188 Depth=1
	v_and_b32_e32 v32, 7, v12
	v_ffbh_u32_e32 v28, v32
	v_min_u32_e32 v34, 32, v28
	v_subrev_u32_e32 v28, 28, v34
	v_lshlrev_b64 v[28:29], v28, v[12:13]
	v_lshrrev_b32_e32 v33, 3, v19
	v_sub_u32_e32 v29, 29, v34
	v_and_b32_e32 v28, 7, v28
	v_cmp_gt_u32_e32 vcc, 8, v19
	v_cndmask_b32_e32 v19, v33, v29, vcc
	v_cndmask_b32_e32 v28, v32, v28, vcc
	v_lshlrev_b32_e32 v28, 20, v28
	v_and_b32_sdwa v12, sext(v12), s7 dst_sel:DWORD dst_unused:UNUSED_PAD src0_sel:BYTE_0 src1_sel:DWORD
	v_lshl_add_u32 v19, v19, 23, v27
	v_or3_b32 v12, v12, v19, v28
	v_pk_mov_b32 v[28:29], v[12:13], v[12:13] op_sel:[0,1]
.LBB207_204:                            ;   in Loop: Header=BB207_188 Depth=1
	s_or_b64 exec, exec, s[18:19]
.LBB207_205:                            ;   in Loop: Header=BB207_188 Depth=1
	s_or_b64 exec, exec, s[16:17]
.LBB207_206:                            ;   in Loop: Header=BB207_188 Depth=1
	s_or_b64 exec, exec, s[0:1]
	v_cmp_lt_u32_e32 vcc, s24, v18
	s_and_saveexec_b64 s[0:1], vcc
	s_cbranch_execz .LBB207_212
; %bb.207:                              ;   in Loop: Header=BB207_188 Depth=1
	v_cmp_ne_u32_sdwa s[18:19], v18, s22 src0_sel:BYTE_3 src1_sel:DWORD
	v_pk_mov_b32 v[30:31], s[6:7], s[6:7] op_sel:[0,1]
	s_and_saveexec_b64 s[16:17], s[18:19]
	s_cbranch_execz .LBB207_211
; %bb.208:                              ;   in Loop: Header=BB207_188 Depth=1
	v_bfe_u32 v19, v18, 24, 7
	s_mov_b32 s14, s6
	v_cmp_ne_u32_e32 vcc, s23, v19
	v_pk_mov_b32 v[30:31], s[14:15], s[14:15] op_sel:[0,1]
	s_and_saveexec_b64 s[18:19], vcc
	s_cbranch_execz .LBB207_210
; %bb.209:                              ;   in Loop: Header=BB207_188 Depth=1
	v_and_b32_sdwa v12, v18, v54 dst_sel:DWORD dst_unused:UNUSED_PAD src0_sel:BYTE_3 src1_sel:DWORD
	v_ffbh_u32_e32 v30, v12
	v_min_u32_e32 v33, 32, v30
	v_subrev_u32_e32 v30, 28, v33
	v_lshlrev_b64 v[30:31], v30, v[12:13]
	v_lshrrev_b32_e32 v32, 3, v19
	v_sub_u32_e32 v31, 29, v33
	v_cmp_gt_u32_e32 vcc, 8, v19
	v_and_b32_e32 v30, 7, v30
	v_cndmask_b32_e32 v19, v32, v31, vcc
	v_cndmask_b32_e32 v12, v12, v30, vcc
	v_lshlrev_b32_sdwa v18, v55, v18 dst_sel:DWORD dst_unused:UNUSED_PAD src0_sel:DWORD src1_sel:BYTE_3
	v_lshl_add_u32 v19, v19, 23, v27
	v_and_or_b32 v18, v18, s7, v19
	v_lshlrev_b32_e32 v12, 20, v12
	v_or_b32_e32 v31, v18, v12
	v_mov_b32_e32 v30, v13
.LBB207_210:                            ;   in Loop: Header=BB207_188 Depth=1
	s_or_b64 exec, exec, s[18:19]
.LBB207_211:                            ;   in Loop: Header=BB207_188 Depth=1
	s_or_b64 exec, exec, s[16:17]
.LBB207_212:                            ;   in Loop: Header=BB207_188 Depth=1
	s_or_b64 exec, exec, s[0:1]
	v_or_b32_e32 v19, v25, v21
	v_or_b32_e32 v18, v24, v20
	;; [unrolled: 1-line block ×4, first 2 shown]
	v_add_u32_e32 v56, -3, v52
	v_cmp_eq_u32_e32 vcc, s9, v26
	v_pk_mul_f32 v[18:19], s[10:11], v[18:19]
	v_pk_mul_f32 v[20:21], s[10:11], v[20:21]
	v_add_u32_e32 v58, -2, v52
	v_add_u32_e32 v57, -1, v52
	s_and_saveexec_b64 s[16:17], vcc
; %bb.213:                              ;   in Loop: Header=BB207_188 Depth=1
	v_cmp_gt_i32_e64 s[0:1], s37, v56
	v_cndmask_b32_e64 v18, 0, v18, s[0:1]
	v_cmp_gt_i32_e64 s[0:1], s37, v58
	v_cndmask_b32_e64 v19, 0, v19, s[0:1]
	v_cmp_gt_i32_e64 s[0:1], s37, v57
	v_cndmask_b32_e64 v20, 0, v20, s[0:1]
	v_cmp_gt_i32_e64 s[0:1], s37, v52
	v_cndmask_b32_e64 v21, 0, v21, s[0:1]
; %bb.214:                              ;   in Loop: Header=BB207_188 Depth=1
	s_or_b64 exec, exec, s[16:17]
	global_load_dword v24, v[22:23], off offset:256
	v_pk_mov_b32 v[30:31], 0, 0
	v_pk_mov_b32 v[28:29], v[30:31], v[30:31] op_sel:[0,1]
	s_waitcnt vmcnt(0)
	v_cmp_ne_u16_sdwa s[0:1], v24, v13 src0_sel:BYTE_0 src1_sel:DWORD
	s_and_saveexec_b64 s[16:17], s[0:1]
	s_cbranch_execz .LBB207_220
; %bb.215:                              ;   in Loop: Header=BB207_188 Depth=1
	v_bfrev_b32_e32 v28, 1
	v_cmp_ne_u16_sdwa s[0:1], v24, s22 src0_sel:BYTE_0 src1_sel:DWORD
	v_mov_b32_e32 v29, 0
	s_and_saveexec_b64 s[18:19], s[0:1]
	s_cbranch_execz .LBB207_219
; %bb.216:                              ;   in Loop: Header=BB207_188 Depth=1
	v_and_b32_e32 v12, 0x7f, v24
	v_mov_b32_e32 v28, 0x7f800001
	v_cmp_ne_u32_e64 s[0:1], s23, v12
	v_mov_b32_e32 v29, 0
	s_and_saveexec_b64 s[20:21], s[0:1]
	s_cbranch_execz .LBB207_218
; %bb.217:                              ;   in Loop: Header=BB207_188 Depth=1
	v_and_b32_e32 v25, 7, v24
	v_ffbh_u32_e32 v28, v25
	v_min_u32_e32 v33, 32, v28
	v_subrev_u32_e32 v28, 28, v33
	v_lshlrev_b64 v[28:29], v28, v[24:25]
	v_lshrrev_b32_e32 v32, 3, v12
	v_sub_u32_e32 v29, 29, v33
	v_and_b32_e32 v28, 7, v28
	v_cmp_gt_u32_e64 s[0:1], 8, v12
	v_cndmask_b32_e64 v12, v32, v29, s[0:1]
	v_cndmask_b32_e64 v25, v25, v28, s[0:1]
	v_lshlrev_b32_e32 v25, 20, v25
	v_and_b32_sdwa v28, sext(v24), s7 dst_sel:DWORD dst_unused:UNUSED_PAD src0_sel:BYTE_0 src1_sel:DWORD
	v_lshl_add_u32 v12, v12, 23, v27
	v_or3_b32 v12, v28, v12, v25
	v_pk_mov_b32 v[28:29], v[12:13], v[12:13] op_sel:[0,1]
.LBB207_218:                            ;   in Loop: Header=BB207_188 Depth=1
	s_or_b64 exec, exec, s[20:21]
.LBB207_219:                            ;   in Loop: Header=BB207_188 Depth=1
	s_or_b64 exec, exec, s[18:19]
.LBB207_220:                            ;   in Loop: Header=BB207_188 Depth=1
	s_or_b64 exec, exec, s[16:17]
	v_cmp_ne_u16_sdwa s[0:1], v24, v13 src0_sel:BYTE_1 src1_sel:DWORD
	s_and_saveexec_b64 s[16:17], s[0:1]
	s_cbranch_execz .LBB207_226
; %bb.221:                              ;   in Loop: Header=BB207_188 Depth=1
	v_cmp_ne_u16_sdwa s[0:1], v24, s22 src0_sel:BYTE_1 src1_sel:DWORD
	v_pk_mov_b32 v[30:31], s[6:7], s[6:7] op_sel:[0,1]
	s_and_saveexec_b64 s[18:19], s[0:1]
	s_cbranch_execz .LBB207_225
; %bb.222:                              ;   in Loop: Header=BB207_188 Depth=1
	v_and_b32_sdwa v25, v24, s23 dst_sel:DWORD dst_unused:UNUSED_PAD src0_sel:BYTE_1 src1_sel:DWORD
	s_mov_b32 s14, s6
	v_cmp_ne_u32_e64 s[0:1], s23, v25
	v_pk_mov_b32 v[30:31], s[14:15], s[14:15] op_sel:[0,1]
	s_and_saveexec_b64 s[20:21], s[0:1]
	s_cbranch_execz .LBB207_224
; %bb.223:                              ;   in Loop: Header=BB207_188 Depth=1
	v_and_b32_sdwa v12, v24, v54 dst_sel:DWORD dst_unused:UNUSED_PAD src0_sel:BYTE_1 src1_sel:DWORD
	v_ffbh_u32_e32 v30, v12
	v_min_u32_e32 v33, 32, v30
	v_subrev_u32_e32 v30, 28, v33
	v_lshlrev_b64 v[30:31], v30, v[12:13]
	v_lshrrev_b32_e32 v32, 3, v25
	v_sub_u32_e32 v31, 29, v33
	v_cmp_gt_u32_e64 s[0:1], 8, v25
	v_and_b32_e32 v30, 7, v30
	v_cndmask_b32_e64 v25, v32, v31, s[0:1]
	v_cndmask_b32_e64 v12, v12, v30, s[0:1]
	v_lshlrev_b32_e32 v30, 16, v24
	v_lshl_add_u32 v25, v25, 23, v27
	v_and_or_b32 v25, v30, s7, v25
	v_lshlrev_b32_e32 v12, 20, v12
	v_or_b32_e32 v31, v25, v12
	v_mov_b32_e32 v30, v13
.LBB207_224:                            ;   in Loop: Header=BB207_188 Depth=1
	s_or_b64 exec, exec, s[20:21]
.LBB207_225:                            ;   in Loop: Header=BB207_188 Depth=1
	s_or_b64 exec, exec, s[18:19]
.LBB207_226:                            ;   in Loop: Header=BB207_188 Depth=1
	s_or_b64 exec, exec, s[16:17]
	v_lshrrev_b32_e32 v12, 16, v24
	v_pk_mov_b32 v[34:35], 0, 0
	v_cmp_ne_u16_sdwa s[0:1], v12, v13 src0_sel:BYTE_0 src1_sel:DWORD
	v_pk_mov_b32 v[32:33], v[34:35], v[34:35] op_sel:[0,1]
	s_and_saveexec_b64 s[16:17], s[0:1]
	s_cbranch_execz .LBB207_232
; %bb.227:                              ;   in Loop: Header=BB207_188 Depth=1
	v_bfrev_b32_e32 v32, 1
	v_cmp_ne_u16_sdwa s[0:1], v12, s22 src0_sel:BYTE_0 src1_sel:DWORD
	v_mov_b32_e32 v33, 0
	s_and_saveexec_b64 s[18:19], s[0:1]
	s_cbranch_execz .LBB207_231
; %bb.228:                              ;   in Loop: Header=BB207_188 Depth=1
	v_bfe_u32 v25, v24, 16, 7
	v_mov_b32_e32 v32, 0x7f800001
	v_cmp_ne_u32_e64 s[0:1], s23, v25
	v_mov_b32_e32 v33, 0
	s_and_saveexec_b64 s[20:21], s[0:1]
	s_cbranch_execz .LBB207_230
; %bb.229:                              ;   in Loop: Header=BB207_188 Depth=1
	v_and_b32_e32 v36, 7, v12
	v_ffbh_u32_e32 v32, v36
	v_min_u32_e32 v38, 32, v32
	v_subrev_u32_e32 v32, 28, v38
	v_lshlrev_b64 v[32:33], v32, v[12:13]
	v_lshrrev_b32_e32 v37, 3, v25
	v_sub_u32_e32 v33, 29, v38
	v_and_b32_e32 v32, 7, v32
	v_cmp_gt_u32_e64 s[0:1], 8, v25
	v_cndmask_b32_e64 v25, v37, v33, s[0:1]
	v_cndmask_b32_e64 v32, v36, v32, s[0:1]
	v_lshlrev_b32_e32 v32, 20, v32
	v_and_b32_sdwa v12, sext(v12), s7 dst_sel:DWORD dst_unused:UNUSED_PAD src0_sel:BYTE_0 src1_sel:DWORD
	v_lshl_add_u32 v25, v25, 23, v27
	v_or3_b32 v12, v12, v25, v32
	v_pk_mov_b32 v[32:33], v[12:13], v[12:13] op_sel:[0,1]
.LBB207_230:                            ;   in Loop: Header=BB207_188 Depth=1
	s_or_b64 exec, exec, s[20:21]
.LBB207_231:                            ;   in Loop: Header=BB207_188 Depth=1
	s_or_b64 exec, exec, s[18:19]
.LBB207_232:                            ;   in Loop: Header=BB207_188 Depth=1
	s_or_b64 exec, exec, s[16:17]
	v_cmp_lt_u32_e64 s[0:1], s24, v24
	s_and_saveexec_b64 s[16:17], s[0:1]
	s_cbranch_execz .LBB207_238
; %bb.233:                              ;   in Loop: Header=BB207_188 Depth=1
	v_cmp_ne_u32_sdwa s[0:1], v24, s22 src0_sel:BYTE_3 src1_sel:DWORD
	v_pk_mov_b32 v[34:35], s[6:7], s[6:7] op_sel:[0,1]
	s_and_saveexec_b64 s[18:19], s[0:1]
	s_cbranch_execz .LBB207_237
; %bb.234:                              ;   in Loop: Header=BB207_188 Depth=1
	v_bfe_u32 v25, v24, 24, 7
	s_mov_b32 s14, s6
	v_cmp_ne_u32_e64 s[0:1], s23, v25
	v_pk_mov_b32 v[34:35], s[14:15], s[14:15] op_sel:[0,1]
	s_and_saveexec_b64 s[20:21], s[0:1]
	s_cbranch_execz .LBB207_236
; %bb.235:                              ;   in Loop: Header=BB207_188 Depth=1
	v_and_b32_sdwa v12, v24, v54 dst_sel:DWORD dst_unused:UNUSED_PAD src0_sel:BYTE_3 src1_sel:DWORD
	v_ffbh_u32_e32 v34, v12
	v_min_u32_e32 v37, 32, v34
	v_subrev_u32_e32 v34, 28, v37
	v_lshlrev_b64 v[34:35], v34, v[12:13]
	v_lshrrev_b32_e32 v36, 3, v25
	v_sub_u32_e32 v35, 29, v37
	v_cmp_gt_u32_e64 s[0:1], 8, v25
	v_and_b32_e32 v34, 7, v34
	v_cndmask_b32_e64 v25, v36, v35, s[0:1]
	v_cndmask_b32_e64 v12, v12, v34, s[0:1]
	v_lshlrev_b32_sdwa v24, v55, v24 dst_sel:DWORD dst_unused:UNUSED_PAD src0_sel:DWORD src1_sel:BYTE_3
	v_lshl_add_u32 v25, v25, 23, v27
	v_and_or_b32 v24, v24, s7, v25
	v_lshlrev_b32_e32 v12, 20, v12
	v_or_b32_e32 v35, v24, v12
	v_mov_b32_e32 v34, v13
.LBB207_236:                            ;   in Loop: Header=BB207_188 Depth=1
	s_or_b64 exec, exec, s[20:21]
.LBB207_237:                            ;   in Loop: Header=BB207_188 Depth=1
	s_or_b64 exec, exec, s[18:19]
.LBB207_238:                            ;   in Loop: Header=BB207_188 Depth=1
	s_or_b64 exec, exec, s[16:17]
	v_or_b32_e32 v25, v31, v29
	v_or_b32_e32 v24, v30, v28
	;; [unrolled: 1-line block ×4, first 2 shown]
	v_pk_mul_f32 v[24:25], s[10:11], v[24:25]
	v_pk_mul_f32 v[28:29], s[10:11], v[28:29]
	s_and_saveexec_b64 s[16:17], vcc
; %bb.239:                              ;   in Loop: Header=BB207_188 Depth=1
	v_cmp_gt_i32_e64 s[0:1], s37, v56
	v_cndmask_b32_e64 v24, 0, v24, s[0:1]
	v_cmp_gt_i32_e64 s[0:1], s37, v58
	v_cndmask_b32_e64 v25, 0, v25, s[0:1]
	;; [unrolled: 2-line block ×4, first 2 shown]
; %bb.240:                              ;   in Loop: Header=BB207_188 Depth=1
	s_or_b64 exec, exec, s[16:17]
	global_load_dword v30, v[22:23], off offset:512
	v_pk_mov_b32 v[34:35], 0, 0
	v_pk_mov_b32 v[32:33], v[34:35], v[34:35] op_sel:[0,1]
	s_waitcnt vmcnt(0)
	v_cmp_ne_u16_sdwa s[0:1], v30, v13 src0_sel:BYTE_0 src1_sel:DWORD
	s_and_saveexec_b64 s[16:17], s[0:1]
	s_cbranch_execz .LBB207_246
; %bb.241:                              ;   in Loop: Header=BB207_188 Depth=1
	v_bfrev_b32_e32 v32, 1
	v_cmp_ne_u16_sdwa s[0:1], v30, s22 src0_sel:BYTE_0 src1_sel:DWORD
	v_mov_b32_e32 v33, 0
	s_and_saveexec_b64 s[18:19], s[0:1]
	s_cbranch_execz .LBB207_245
; %bb.242:                              ;   in Loop: Header=BB207_188 Depth=1
	v_and_b32_e32 v12, 0x7f, v30
	v_mov_b32_e32 v32, 0x7f800001
	v_cmp_ne_u32_e64 s[0:1], s23, v12
	v_mov_b32_e32 v33, 0
	s_and_saveexec_b64 s[20:21], s[0:1]
	s_cbranch_execz .LBB207_244
; %bb.243:                              ;   in Loop: Header=BB207_188 Depth=1
	v_and_b32_e32 v31, 7, v30
	v_ffbh_u32_e32 v32, v31
	v_min_u32_e32 v37, 32, v32
	v_subrev_u32_e32 v32, 28, v37
	v_lshlrev_b64 v[32:33], v32, v[30:31]
	v_lshrrev_b32_e32 v36, 3, v12
	v_sub_u32_e32 v33, 29, v37
	v_and_b32_e32 v32, 7, v32
	v_cmp_gt_u32_e64 s[0:1], 8, v12
	v_cndmask_b32_e64 v12, v36, v33, s[0:1]
	v_cndmask_b32_e64 v31, v31, v32, s[0:1]
	v_lshlrev_b32_e32 v31, 20, v31
	v_and_b32_sdwa v32, sext(v30), s7 dst_sel:DWORD dst_unused:UNUSED_PAD src0_sel:BYTE_0 src1_sel:DWORD
	v_lshl_add_u32 v12, v12, 23, v27
	v_or3_b32 v12, v32, v12, v31
	v_pk_mov_b32 v[32:33], v[12:13], v[12:13] op_sel:[0,1]
.LBB207_244:                            ;   in Loop: Header=BB207_188 Depth=1
	s_or_b64 exec, exec, s[20:21]
.LBB207_245:                            ;   in Loop: Header=BB207_188 Depth=1
	s_or_b64 exec, exec, s[18:19]
.LBB207_246:                            ;   in Loop: Header=BB207_188 Depth=1
	s_or_b64 exec, exec, s[16:17]
	v_cmp_ne_u16_sdwa s[0:1], v30, v13 src0_sel:BYTE_1 src1_sel:DWORD
	s_and_saveexec_b64 s[16:17], s[0:1]
	s_cbranch_execz .LBB207_252
; %bb.247:                              ;   in Loop: Header=BB207_188 Depth=1
	v_cmp_ne_u16_sdwa s[0:1], v30, s22 src0_sel:BYTE_1 src1_sel:DWORD
	v_pk_mov_b32 v[34:35], s[6:7], s[6:7] op_sel:[0,1]
	s_and_saveexec_b64 s[18:19], s[0:1]
	s_cbranch_execz .LBB207_251
; %bb.248:                              ;   in Loop: Header=BB207_188 Depth=1
	v_and_b32_sdwa v31, v30, s23 dst_sel:DWORD dst_unused:UNUSED_PAD src0_sel:BYTE_1 src1_sel:DWORD
	s_mov_b32 s14, s6
	v_cmp_ne_u32_e64 s[0:1], s23, v31
	v_pk_mov_b32 v[34:35], s[14:15], s[14:15] op_sel:[0,1]
	s_and_saveexec_b64 s[20:21], s[0:1]
	s_cbranch_execz .LBB207_250
; %bb.249:                              ;   in Loop: Header=BB207_188 Depth=1
	v_and_b32_sdwa v12, v30, v54 dst_sel:DWORD dst_unused:UNUSED_PAD src0_sel:BYTE_1 src1_sel:DWORD
	v_ffbh_u32_e32 v34, v12
	v_min_u32_e32 v37, 32, v34
	v_subrev_u32_e32 v34, 28, v37
	v_lshlrev_b64 v[34:35], v34, v[12:13]
	v_lshrrev_b32_e32 v36, 3, v31
	v_sub_u32_e32 v35, 29, v37
	v_cmp_gt_u32_e64 s[0:1], 8, v31
	v_and_b32_e32 v34, 7, v34
	v_cndmask_b32_e64 v31, v36, v35, s[0:1]
	v_cndmask_b32_e64 v12, v12, v34, s[0:1]
	v_lshlrev_b32_e32 v34, 16, v30
	v_lshl_add_u32 v31, v31, 23, v27
	v_and_or_b32 v31, v34, s7, v31
	v_lshlrev_b32_e32 v12, 20, v12
	v_or_b32_e32 v35, v31, v12
	v_mov_b32_e32 v34, v13
.LBB207_250:                            ;   in Loop: Header=BB207_188 Depth=1
	s_or_b64 exec, exec, s[20:21]
.LBB207_251:                            ;   in Loop: Header=BB207_188 Depth=1
	s_or_b64 exec, exec, s[18:19]
.LBB207_252:                            ;   in Loop: Header=BB207_188 Depth=1
	s_or_b64 exec, exec, s[16:17]
	v_lshrrev_b32_e32 v12, 16, v30
	v_pk_mov_b32 v[38:39], 0, 0
	v_cmp_ne_u16_sdwa s[0:1], v12, v13 src0_sel:BYTE_0 src1_sel:DWORD
	v_pk_mov_b32 v[36:37], v[38:39], v[38:39] op_sel:[0,1]
	s_and_saveexec_b64 s[16:17], s[0:1]
	s_cbranch_execz .LBB207_258
; %bb.253:                              ;   in Loop: Header=BB207_188 Depth=1
	v_bfrev_b32_e32 v36, 1
	v_cmp_ne_u16_sdwa s[0:1], v12, s22 src0_sel:BYTE_0 src1_sel:DWORD
	v_mov_b32_e32 v37, 0
	s_and_saveexec_b64 s[18:19], s[0:1]
	s_cbranch_execz .LBB207_257
; %bb.254:                              ;   in Loop: Header=BB207_188 Depth=1
	v_bfe_u32 v31, v30, 16, 7
	v_mov_b32_e32 v36, 0x7f800001
	v_cmp_ne_u32_e64 s[0:1], s23, v31
	v_mov_b32_e32 v37, 0
	s_and_saveexec_b64 s[20:21], s[0:1]
	s_cbranch_execz .LBB207_256
; %bb.255:                              ;   in Loop: Header=BB207_188 Depth=1
	v_and_b32_e32 v40, 7, v12
	v_ffbh_u32_e32 v36, v40
	v_min_u32_e32 v42, 32, v36
	v_subrev_u32_e32 v36, 28, v42
	v_lshlrev_b64 v[36:37], v36, v[12:13]
	v_lshrrev_b32_e32 v41, 3, v31
	v_sub_u32_e32 v37, 29, v42
	v_and_b32_e32 v36, 7, v36
	v_cmp_gt_u32_e64 s[0:1], 8, v31
	v_cndmask_b32_e64 v31, v41, v37, s[0:1]
	v_cndmask_b32_e64 v36, v40, v36, s[0:1]
	v_lshlrev_b32_e32 v36, 20, v36
	v_and_b32_sdwa v12, sext(v12), s7 dst_sel:DWORD dst_unused:UNUSED_PAD src0_sel:BYTE_0 src1_sel:DWORD
	v_lshl_add_u32 v31, v31, 23, v27
	v_or3_b32 v12, v12, v31, v36
	v_pk_mov_b32 v[36:37], v[12:13], v[12:13] op_sel:[0,1]
.LBB207_256:                            ;   in Loop: Header=BB207_188 Depth=1
	s_or_b64 exec, exec, s[20:21]
.LBB207_257:                            ;   in Loop: Header=BB207_188 Depth=1
	s_or_b64 exec, exec, s[18:19]
.LBB207_258:                            ;   in Loop: Header=BB207_188 Depth=1
	s_or_b64 exec, exec, s[16:17]
	v_cmp_lt_u32_e64 s[0:1], s24, v30
	s_and_saveexec_b64 s[16:17], s[0:1]
	s_cbranch_execz .LBB207_264
; %bb.259:                              ;   in Loop: Header=BB207_188 Depth=1
	v_cmp_ne_u32_sdwa s[0:1], v30, s22 src0_sel:BYTE_3 src1_sel:DWORD
	v_pk_mov_b32 v[38:39], s[6:7], s[6:7] op_sel:[0,1]
	s_and_saveexec_b64 s[18:19], s[0:1]
	s_cbranch_execz .LBB207_263
; %bb.260:                              ;   in Loop: Header=BB207_188 Depth=1
	v_bfe_u32 v31, v30, 24, 7
	s_mov_b32 s14, s6
	v_cmp_ne_u32_e64 s[0:1], s23, v31
	v_pk_mov_b32 v[38:39], s[14:15], s[14:15] op_sel:[0,1]
	s_and_saveexec_b64 s[20:21], s[0:1]
	s_cbranch_execz .LBB207_262
; %bb.261:                              ;   in Loop: Header=BB207_188 Depth=1
	v_and_b32_sdwa v12, v30, v54 dst_sel:DWORD dst_unused:UNUSED_PAD src0_sel:BYTE_3 src1_sel:DWORD
	v_ffbh_u32_e32 v38, v12
	v_min_u32_e32 v41, 32, v38
	v_subrev_u32_e32 v38, 28, v41
	v_lshlrev_b64 v[38:39], v38, v[12:13]
	v_lshrrev_b32_e32 v40, 3, v31
	v_sub_u32_e32 v39, 29, v41
	v_cmp_gt_u32_e64 s[0:1], 8, v31
	v_and_b32_e32 v38, 7, v38
	v_cndmask_b32_e64 v31, v40, v39, s[0:1]
	v_cndmask_b32_e64 v12, v12, v38, s[0:1]
	v_lshlrev_b32_sdwa v30, v55, v30 dst_sel:DWORD dst_unused:UNUSED_PAD src0_sel:DWORD src1_sel:BYTE_3
	v_lshl_add_u32 v31, v31, 23, v27
	v_and_or_b32 v30, v30, s7, v31
	v_lshlrev_b32_e32 v12, 20, v12
	v_or_b32_e32 v39, v30, v12
	v_mov_b32_e32 v38, v13
.LBB207_262:                            ;   in Loop: Header=BB207_188 Depth=1
	s_or_b64 exec, exec, s[20:21]
.LBB207_263:                            ;   in Loop: Header=BB207_188 Depth=1
	s_or_b64 exec, exec, s[18:19]
.LBB207_264:                            ;   in Loop: Header=BB207_188 Depth=1
	s_or_b64 exec, exec, s[16:17]
	v_or_b32_e32 v31, v35, v33
	v_or_b32_e32 v30, v34, v32
	;; [unrolled: 1-line block ×4, first 2 shown]
	v_pk_mul_f32 v[30:31], s[10:11], v[30:31]
	v_pk_mul_f32 v[32:33], s[10:11], v[32:33]
	s_and_saveexec_b64 s[16:17], vcc
; %bb.265:                              ;   in Loop: Header=BB207_188 Depth=1
	v_cmp_gt_i32_e64 s[0:1], s37, v56
	v_cndmask_b32_e64 v30, 0, v30, s[0:1]
	v_cmp_gt_i32_e64 s[0:1], s37, v58
	v_cndmask_b32_e64 v31, 0, v31, s[0:1]
	;; [unrolled: 2-line block ×4, first 2 shown]
; %bb.266:                              ;   in Loop: Header=BB207_188 Depth=1
	s_or_b64 exec, exec, s[16:17]
	global_load_dword v34, v[22:23], off offset:768
	v_pk_mov_b32 v[38:39], 0, 0
	v_pk_mov_b32 v[36:37], v[38:39], v[38:39] op_sel:[0,1]
	s_waitcnt vmcnt(0)
	v_cmp_ne_u16_sdwa s[0:1], v34, v13 src0_sel:BYTE_0 src1_sel:DWORD
	s_and_saveexec_b64 s[16:17], s[0:1]
	s_cbranch_execz .LBB207_272
; %bb.267:                              ;   in Loop: Header=BB207_188 Depth=1
	v_bfrev_b32_e32 v36, 1
	v_cmp_ne_u16_sdwa s[0:1], v34, s22 src0_sel:BYTE_0 src1_sel:DWORD
	v_mov_b32_e32 v37, 0
	s_and_saveexec_b64 s[18:19], s[0:1]
	s_cbranch_execz .LBB207_271
; %bb.268:                              ;   in Loop: Header=BB207_188 Depth=1
	v_and_b32_e32 v12, 0x7f, v34
	v_mov_b32_e32 v36, 0x7f800001
	v_cmp_ne_u32_e64 s[0:1], s23, v12
	v_mov_b32_e32 v37, 0
	s_and_saveexec_b64 s[20:21], s[0:1]
	s_cbranch_execz .LBB207_270
; %bb.269:                              ;   in Loop: Header=BB207_188 Depth=1
	v_and_b32_e32 v35, 7, v34
	v_ffbh_u32_e32 v36, v35
	v_min_u32_e32 v41, 32, v36
	v_subrev_u32_e32 v36, 28, v41
	v_lshlrev_b64 v[36:37], v36, v[34:35]
	v_lshrrev_b32_e32 v40, 3, v12
	v_sub_u32_e32 v37, 29, v41
	v_and_b32_e32 v36, 7, v36
	v_cmp_gt_u32_e64 s[0:1], 8, v12
	v_cndmask_b32_e64 v12, v40, v37, s[0:1]
	v_cndmask_b32_e64 v35, v35, v36, s[0:1]
	v_lshlrev_b32_e32 v35, 20, v35
	v_and_b32_sdwa v36, sext(v34), s7 dst_sel:DWORD dst_unused:UNUSED_PAD src0_sel:BYTE_0 src1_sel:DWORD
	v_lshl_add_u32 v12, v12, 23, v27
	v_or3_b32 v12, v36, v12, v35
	v_pk_mov_b32 v[36:37], v[12:13], v[12:13] op_sel:[0,1]
.LBB207_270:                            ;   in Loop: Header=BB207_188 Depth=1
	s_or_b64 exec, exec, s[20:21]
.LBB207_271:                            ;   in Loop: Header=BB207_188 Depth=1
	s_or_b64 exec, exec, s[18:19]
.LBB207_272:                            ;   in Loop: Header=BB207_188 Depth=1
	s_or_b64 exec, exec, s[16:17]
	v_cmp_ne_u16_sdwa s[0:1], v34, v13 src0_sel:BYTE_1 src1_sel:DWORD
	s_and_saveexec_b64 s[16:17], s[0:1]
	s_cbranch_execz .LBB207_278
; %bb.273:                              ;   in Loop: Header=BB207_188 Depth=1
	v_cmp_ne_u16_sdwa s[0:1], v34, s22 src0_sel:BYTE_1 src1_sel:DWORD
	v_pk_mov_b32 v[38:39], s[6:7], s[6:7] op_sel:[0,1]
	s_and_saveexec_b64 s[18:19], s[0:1]
	s_cbranch_execz .LBB207_277
; %bb.274:                              ;   in Loop: Header=BB207_188 Depth=1
	v_and_b32_sdwa v35, v34, s23 dst_sel:DWORD dst_unused:UNUSED_PAD src0_sel:BYTE_1 src1_sel:DWORD
	s_mov_b32 s14, s6
	v_cmp_ne_u32_e64 s[0:1], s23, v35
	v_pk_mov_b32 v[38:39], s[14:15], s[14:15] op_sel:[0,1]
	s_and_saveexec_b64 s[20:21], s[0:1]
	s_cbranch_execz .LBB207_276
; %bb.275:                              ;   in Loop: Header=BB207_188 Depth=1
	v_and_b32_sdwa v12, v34, v54 dst_sel:DWORD dst_unused:UNUSED_PAD src0_sel:BYTE_1 src1_sel:DWORD
	v_ffbh_u32_e32 v38, v12
	v_min_u32_e32 v41, 32, v38
	v_subrev_u32_e32 v38, 28, v41
	v_lshlrev_b64 v[38:39], v38, v[12:13]
	v_lshrrev_b32_e32 v40, 3, v35
	v_sub_u32_e32 v39, 29, v41
	v_cmp_gt_u32_e64 s[0:1], 8, v35
	v_and_b32_e32 v38, 7, v38
	v_cndmask_b32_e64 v35, v40, v39, s[0:1]
	v_cndmask_b32_e64 v12, v12, v38, s[0:1]
	v_lshlrev_b32_e32 v38, 16, v34
	v_lshl_add_u32 v35, v35, 23, v27
	v_and_or_b32 v35, v38, s7, v35
	v_lshlrev_b32_e32 v12, 20, v12
	v_or_b32_e32 v39, v35, v12
	v_mov_b32_e32 v38, v13
.LBB207_276:                            ;   in Loop: Header=BB207_188 Depth=1
	s_or_b64 exec, exec, s[20:21]
.LBB207_277:                            ;   in Loop: Header=BB207_188 Depth=1
	s_or_b64 exec, exec, s[18:19]
.LBB207_278:                            ;   in Loop: Header=BB207_188 Depth=1
	s_or_b64 exec, exec, s[16:17]
	v_lshrrev_b32_e32 v12, 16, v34
	v_pk_mov_b32 v[42:43], 0, 0
	v_cmp_ne_u16_sdwa s[0:1], v12, v13 src0_sel:BYTE_0 src1_sel:DWORD
	v_pk_mov_b32 v[40:41], v[42:43], v[42:43] op_sel:[0,1]
	s_and_saveexec_b64 s[16:17], s[0:1]
	s_cbranch_execz .LBB207_284
; %bb.279:                              ;   in Loop: Header=BB207_188 Depth=1
	v_bfrev_b32_e32 v40, 1
	v_cmp_ne_u16_sdwa s[0:1], v12, s22 src0_sel:BYTE_0 src1_sel:DWORD
	v_mov_b32_e32 v41, 0
	s_and_saveexec_b64 s[18:19], s[0:1]
	s_cbranch_execz .LBB207_283
; %bb.280:                              ;   in Loop: Header=BB207_188 Depth=1
	v_bfe_u32 v35, v34, 16, 7
	v_mov_b32_e32 v40, 0x7f800001
	v_cmp_ne_u32_e64 s[0:1], s23, v35
	v_mov_b32_e32 v41, 0
	s_and_saveexec_b64 s[20:21], s[0:1]
	s_cbranch_execz .LBB207_282
; %bb.281:                              ;   in Loop: Header=BB207_188 Depth=1
	v_and_b32_e32 v44, 7, v12
	v_ffbh_u32_e32 v40, v44
	v_min_u32_e32 v46, 32, v40
	v_subrev_u32_e32 v40, 28, v46
	v_lshlrev_b64 v[40:41], v40, v[12:13]
	v_lshrrev_b32_e32 v45, 3, v35
	v_sub_u32_e32 v41, 29, v46
	v_and_b32_e32 v40, 7, v40
	v_cmp_gt_u32_e64 s[0:1], 8, v35
	v_cndmask_b32_e64 v35, v45, v41, s[0:1]
	v_cndmask_b32_e64 v40, v44, v40, s[0:1]
	v_lshlrev_b32_e32 v40, 20, v40
	v_and_b32_sdwa v12, sext(v12), s7 dst_sel:DWORD dst_unused:UNUSED_PAD src0_sel:BYTE_0 src1_sel:DWORD
	v_lshl_add_u32 v35, v35, 23, v27
	v_or3_b32 v12, v12, v35, v40
	v_pk_mov_b32 v[40:41], v[12:13], v[12:13] op_sel:[0,1]
.LBB207_282:                            ;   in Loop: Header=BB207_188 Depth=1
	s_or_b64 exec, exec, s[20:21]
.LBB207_283:                            ;   in Loop: Header=BB207_188 Depth=1
	s_or_b64 exec, exec, s[18:19]
.LBB207_284:                            ;   in Loop: Header=BB207_188 Depth=1
	s_or_b64 exec, exec, s[16:17]
	v_cmp_lt_u32_e64 s[0:1], s24, v34
	s_and_saveexec_b64 s[16:17], s[0:1]
	s_cbranch_execz .LBB207_290
; %bb.285:                              ;   in Loop: Header=BB207_188 Depth=1
	v_cmp_ne_u32_sdwa s[0:1], v34, s22 src0_sel:BYTE_3 src1_sel:DWORD
	v_pk_mov_b32 v[42:43], s[6:7], s[6:7] op_sel:[0,1]
	s_and_saveexec_b64 s[18:19], s[0:1]
	s_cbranch_execz .LBB207_289
; %bb.286:                              ;   in Loop: Header=BB207_188 Depth=1
	v_bfe_u32 v35, v34, 24, 7
	s_mov_b32 s14, s6
	v_cmp_ne_u32_e64 s[0:1], s23, v35
	v_pk_mov_b32 v[42:43], s[14:15], s[14:15] op_sel:[0,1]
	s_and_saveexec_b64 s[20:21], s[0:1]
	s_cbranch_execz .LBB207_288
; %bb.287:                              ;   in Loop: Header=BB207_188 Depth=1
	v_and_b32_sdwa v12, v34, v54 dst_sel:DWORD dst_unused:UNUSED_PAD src0_sel:BYTE_3 src1_sel:DWORD
	v_ffbh_u32_e32 v42, v12
	v_min_u32_e32 v45, 32, v42
	v_subrev_u32_e32 v42, 28, v45
	v_lshlrev_b64 v[42:43], v42, v[12:13]
	v_lshrrev_b32_e32 v44, 3, v35
	v_sub_u32_e32 v43, 29, v45
	v_cmp_gt_u32_e64 s[0:1], 8, v35
	v_and_b32_e32 v42, 7, v42
	v_cndmask_b32_e64 v35, v44, v43, s[0:1]
	v_cndmask_b32_e64 v12, v12, v42, s[0:1]
	v_lshlrev_b32_sdwa v34, v55, v34 dst_sel:DWORD dst_unused:UNUSED_PAD src0_sel:DWORD src1_sel:BYTE_3
	v_lshl_add_u32 v35, v35, 23, v27
	v_and_or_b32 v34, v34, s7, v35
	v_lshlrev_b32_e32 v12, 20, v12
	v_or_b32_e32 v43, v34, v12
	v_mov_b32_e32 v42, v13
.LBB207_288:                            ;   in Loop: Header=BB207_188 Depth=1
	s_or_b64 exec, exec, s[20:21]
.LBB207_289:                            ;   in Loop: Header=BB207_188 Depth=1
	s_or_b64 exec, exec, s[18:19]
.LBB207_290:                            ;   in Loop: Header=BB207_188 Depth=1
	s_or_b64 exec, exec, s[16:17]
	v_or_b32_e32 v35, v39, v37
	v_or_b32_e32 v34, v38, v36
	;; [unrolled: 1-line block ×4, first 2 shown]
	v_pk_mul_f32 v[34:35], s[10:11], v[34:35]
	v_pk_mul_f32 v[36:37], s[10:11], v[36:37]
	s_and_saveexec_b64 s[16:17], vcc
; %bb.291:                              ;   in Loop: Header=BB207_188 Depth=1
	v_cmp_gt_i32_e64 s[0:1], s37, v56
	v_cndmask_b32_e64 v34, 0, v34, s[0:1]
	v_cmp_gt_i32_e64 s[0:1], s37, v58
	v_cndmask_b32_e64 v35, 0, v35, s[0:1]
	;; [unrolled: 2-line block ×4, first 2 shown]
; %bb.292:                              ;   in Loop: Header=BB207_188 Depth=1
	s_or_b64 exec, exec, s[16:17]
	global_load_dword v38, v[22:23], off offset:1024
	v_pk_mov_b32 v[42:43], 0, 0
	v_pk_mov_b32 v[40:41], v[42:43], v[42:43] op_sel:[0,1]
	s_waitcnt vmcnt(0)
	v_cmp_ne_u16_sdwa s[0:1], v38, v13 src0_sel:BYTE_0 src1_sel:DWORD
	s_and_saveexec_b64 s[16:17], s[0:1]
	s_cbranch_execz .LBB207_298
; %bb.293:                              ;   in Loop: Header=BB207_188 Depth=1
	v_bfrev_b32_e32 v40, 1
	v_cmp_ne_u16_sdwa s[0:1], v38, s22 src0_sel:BYTE_0 src1_sel:DWORD
	v_mov_b32_e32 v41, 0
	s_and_saveexec_b64 s[18:19], s[0:1]
	s_cbranch_execz .LBB207_297
; %bb.294:                              ;   in Loop: Header=BB207_188 Depth=1
	v_and_b32_e32 v12, 0x7f, v38
	v_mov_b32_e32 v40, 0x7f800001
	v_cmp_ne_u32_e64 s[0:1], s23, v12
	v_mov_b32_e32 v41, 0
	s_and_saveexec_b64 s[20:21], s[0:1]
	s_cbranch_execz .LBB207_296
; %bb.295:                              ;   in Loop: Header=BB207_188 Depth=1
	v_and_b32_e32 v39, 7, v38
	v_ffbh_u32_e32 v40, v39
	v_min_u32_e32 v45, 32, v40
	v_subrev_u32_e32 v40, 28, v45
	v_lshlrev_b64 v[40:41], v40, v[38:39]
	v_lshrrev_b32_e32 v44, 3, v12
	v_sub_u32_e32 v41, 29, v45
	v_and_b32_e32 v40, 7, v40
	v_cmp_gt_u32_e64 s[0:1], 8, v12
	v_cndmask_b32_e64 v12, v44, v41, s[0:1]
	v_cndmask_b32_e64 v39, v39, v40, s[0:1]
	v_lshlrev_b32_e32 v39, 20, v39
	v_and_b32_sdwa v40, sext(v38), s7 dst_sel:DWORD dst_unused:UNUSED_PAD src0_sel:BYTE_0 src1_sel:DWORD
	v_lshl_add_u32 v12, v12, 23, v27
	v_or3_b32 v12, v40, v12, v39
	v_pk_mov_b32 v[40:41], v[12:13], v[12:13] op_sel:[0,1]
.LBB207_296:                            ;   in Loop: Header=BB207_188 Depth=1
	s_or_b64 exec, exec, s[20:21]
.LBB207_297:                            ;   in Loop: Header=BB207_188 Depth=1
	s_or_b64 exec, exec, s[18:19]
.LBB207_298:                            ;   in Loop: Header=BB207_188 Depth=1
	s_or_b64 exec, exec, s[16:17]
	v_cmp_ne_u16_sdwa s[0:1], v38, v13 src0_sel:BYTE_1 src1_sel:DWORD
	s_and_saveexec_b64 s[16:17], s[0:1]
	s_cbranch_execz .LBB207_304
; %bb.299:                              ;   in Loop: Header=BB207_188 Depth=1
	v_cmp_ne_u16_sdwa s[0:1], v38, s22 src0_sel:BYTE_1 src1_sel:DWORD
	v_pk_mov_b32 v[42:43], s[6:7], s[6:7] op_sel:[0,1]
	s_and_saveexec_b64 s[18:19], s[0:1]
	s_cbranch_execz .LBB207_303
; %bb.300:                              ;   in Loop: Header=BB207_188 Depth=1
	v_and_b32_sdwa v39, v38, s23 dst_sel:DWORD dst_unused:UNUSED_PAD src0_sel:BYTE_1 src1_sel:DWORD
	s_mov_b32 s14, s6
	v_cmp_ne_u32_e64 s[0:1], s23, v39
	v_pk_mov_b32 v[42:43], s[14:15], s[14:15] op_sel:[0,1]
	s_and_saveexec_b64 s[20:21], s[0:1]
	s_cbranch_execz .LBB207_302
; %bb.301:                              ;   in Loop: Header=BB207_188 Depth=1
	v_and_b32_sdwa v12, v38, v54 dst_sel:DWORD dst_unused:UNUSED_PAD src0_sel:BYTE_1 src1_sel:DWORD
	v_ffbh_u32_e32 v42, v12
	v_min_u32_e32 v45, 32, v42
	v_subrev_u32_e32 v42, 28, v45
	v_lshlrev_b64 v[42:43], v42, v[12:13]
	v_lshrrev_b32_e32 v44, 3, v39
	v_sub_u32_e32 v43, 29, v45
	v_cmp_gt_u32_e64 s[0:1], 8, v39
	v_and_b32_e32 v42, 7, v42
	v_cndmask_b32_e64 v39, v44, v43, s[0:1]
	v_cndmask_b32_e64 v12, v12, v42, s[0:1]
	v_lshlrev_b32_e32 v42, 16, v38
	v_lshl_add_u32 v39, v39, 23, v27
	v_and_or_b32 v39, v42, s7, v39
	v_lshlrev_b32_e32 v12, 20, v12
	v_or_b32_e32 v43, v39, v12
	v_mov_b32_e32 v42, v13
.LBB207_302:                            ;   in Loop: Header=BB207_188 Depth=1
	s_or_b64 exec, exec, s[20:21]
.LBB207_303:                            ;   in Loop: Header=BB207_188 Depth=1
	s_or_b64 exec, exec, s[18:19]
.LBB207_304:                            ;   in Loop: Header=BB207_188 Depth=1
	s_or_b64 exec, exec, s[16:17]
	v_lshrrev_b32_e32 v12, 16, v38
	v_pk_mov_b32 v[46:47], 0, 0
	v_cmp_ne_u16_sdwa s[0:1], v12, v13 src0_sel:BYTE_0 src1_sel:DWORD
	v_pk_mov_b32 v[44:45], v[46:47], v[46:47] op_sel:[0,1]
	s_and_saveexec_b64 s[16:17], s[0:1]
	s_cbranch_execz .LBB207_310
; %bb.305:                              ;   in Loop: Header=BB207_188 Depth=1
	v_bfrev_b32_e32 v44, 1
	v_cmp_ne_u16_sdwa s[0:1], v12, s22 src0_sel:BYTE_0 src1_sel:DWORD
	v_mov_b32_e32 v45, 0
	s_and_saveexec_b64 s[18:19], s[0:1]
	s_cbranch_execz .LBB207_309
; %bb.306:                              ;   in Loop: Header=BB207_188 Depth=1
	v_bfe_u32 v39, v38, 16, 7
	v_mov_b32_e32 v44, 0x7f800001
	v_cmp_ne_u32_e64 s[0:1], s23, v39
	v_mov_b32_e32 v45, 0
	s_and_saveexec_b64 s[20:21], s[0:1]
	s_cbranch_execz .LBB207_308
; %bb.307:                              ;   in Loop: Header=BB207_188 Depth=1
	v_and_b32_e32 v48, 7, v12
	v_ffbh_u32_e32 v44, v48
	v_min_u32_e32 v59, 32, v44
	v_subrev_u32_e32 v44, 28, v59
	v_lshlrev_b64 v[44:45], v44, v[12:13]
	v_lshrrev_b32_e32 v49, 3, v39
	v_sub_u32_e32 v45, 29, v59
	v_and_b32_e32 v44, 7, v44
	v_cmp_gt_u32_e64 s[0:1], 8, v39
	v_cndmask_b32_e64 v39, v49, v45, s[0:1]
	v_cndmask_b32_e64 v44, v48, v44, s[0:1]
	v_lshlrev_b32_e32 v44, 20, v44
	v_and_b32_sdwa v12, sext(v12), s7 dst_sel:DWORD dst_unused:UNUSED_PAD src0_sel:BYTE_0 src1_sel:DWORD
	v_lshl_add_u32 v39, v39, 23, v27
	v_or3_b32 v12, v12, v39, v44
	v_pk_mov_b32 v[44:45], v[12:13], v[12:13] op_sel:[0,1]
.LBB207_308:                            ;   in Loop: Header=BB207_188 Depth=1
	s_or_b64 exec, exec, s[20:21]
.LBB207_309:                            ;   in Loop: Header=BB207_188 Depth=1
	s_or_b64 exec, exec, s[18:19]
.LBB207_310:                            ;   in Loop: Header=BB207_188 Depth=1
	s_or_b64 exec, exec, s[16:17]
	v_cmp_lt_u32_e64 s[0:1], s24, v38
	s_and_saveexec_b64 s[16:17], s[0:1]
	s_cbranch_execz .LBB207_316
; %bb.311:                              ;   in Loop: Header=BB207_188 Depth=1
	v_cmp_ne_u32_sdwa s[0:1], v38, s22 src0_sel:BYTE_3 src1_sel:DWORD
	v_pk_mov_b32 v[46:47], s[6:7], s[6:7] op_sel:[0,1]
	s_and_saveexec_b64 s[18:19], s[0:1]
	s_cbranch_execz .LBB207_315
; %bb.312:                              ;   in Loop: Header=BB207_188 Depth=1
	v_bfe_u32 v39, v38, 24, 7
	s_mov_b32 s14, s6
	v_cmp_ne_u32_e64 s[0:1], s23, v39
	v_pk_mov_b32 v[46:47], s[14:15], s[14:15] op_sel:[0,1]
	s_and_saveexec_b64 s[20:21], s[0:1]
	s_cbranch_execz .LBB207_314
; %bb.313:                              ;   in Loop: Header=BB207_188 Depth=1
	v_and_b32_sdwa v12, v38, v54 dst_sel:DWORD dst_unused:UNUSED_PAD src0_sel:BYTE_3 src1_sel:DWORD
	v_ffbh_u32_e32 v46, v12
	v_min_u32_e32 v49, 32, v46
	v_subrev_u32_e32 v46, 28, v49
	v_lshlrev_b64 v[46:47], v46, v[12:13]
	v_lshrrev_b32_e32 v48, 3, v39
	v_sub_u32_e32 v47, 29, v49
	v_cmp_gt_u32_e64 s[0:1], 8, v39
	v_and_b32_e32 v46, 7, v46
	v_cndmask_b32_e64 v39, v48, v47, s[0:1]
	v_cndmask_b32_e64 v12, v12, v46, s[0:1]
	v_lshlrev_b32_sdwa v38, v55, v38 dst_sel:DWORD dst_unused:UNUSED_PAD src0_sel:DWORD src1_sel:BYTE_3
	v_lshl_add_u32 v39, v39, 23, v27
	v_and_or_b32 v38, v38, s7, v39
	v_lshlrev_b32_e32 v12, 20, v12
	v_or_b32_e32 v47, v38, v12
	v_mov_b32_e32 v46, v13
.LBB207_314:                            ;   in Loop: Header=BB207_188 Depth=1
	s_or_b64 exec, exec, s[20:21]
.LBB207_315:                            ;   in Loop: Header=BB207_188 Depth=1
	s_or_b64 exec, exec, s[18:19]
.LBB207_316:                            ;   in Loop: Header=BB207_188 Depth=1
	s_or_b64 exec, exec, s[16:17]
	v_or_b32_e32 v39, v43, v41
	v_or_b32_e32 v38, v42, v40
	;; [unrolled: 1-line block ×4, first 2 shown]
	v_pk_mul_f32 v[38:39], s[10:11], v[38:39]
	v_pk_mul_f32 v[40:41], s[10:11], v[40:41]
	s_and_saveexec_b64 s[16:17], vcc
; %bb.317:                              ;   in Loop: Header=BB207_188 Depth=1
	v_cmp_gt_i32_e64 s[0:1], s37, v56
	v_cndmask_b32_e64 v38, 0, v38, s[0:1]
	v_cmp_gt_i32_e64 s[0:1], s37, v58
	v_cndmask_b32_e64 v39, 0, v39, s[0:1]
	;; [unrolled: 2-line block ×4, first 2 shown]
; %bb.318:                              ;   in Loop: Header=BB207_188 Depth=1
	s_or_b64 exec, exec, s[16:17]
	global_load_dword v22, v[22:23], off offset:1280
	v_pk_mov_b32 v[44:45], 0, 0
	v_pk_mov_b32 v[42:43], v[44:45], v[44:45] op_sel:[0,1]
	s_waitcnt vmcnt(0)
	v_cmp_ne_u16_sdwa s[0:1], v22, v13 src0_sel:BYTE_0 src1_sel:DWORD
	s_and_saveexec_b64 s[16:17], s[0:1]
	s_cbranch_execz .LBB207_324
; %bb.319:                              ;   in Loop: Header=BB207_188 Depth=1
	v_bfrev_b32_e32 v42, 1
	v_cmp_ne_u16_sdwa s[0:1], v22, s22 src0_sel:BYTE_0 src1_sel:DWORD
	v_mov_b32_e32 v43, 0
	s_and_saveexec_b64 s[18:19], s[0:1]
	s_cbranch_execz .LBB207_323
; %bb.320:                              ;   in Loop: Header=BB207_188 Depth=1
	v_and_b32_e32 v12, 0x7f, v22
	v_mov_b32_e32 v42, 0x7f800001
	v_cmp_ne_u32_e64 s[0:1], s23, v12
	v_mov_b32_e32 v43, 0
	s_and_saveexec_b64 s[20:21], s[0:1]
	s_cbranch_execz .LBB207_322
; %bb.321:                              ;   in Loop: Header=BB207_188 Depth=1
	v_and_b32_e32 v23, 7, v22
	v_ffbh_u32_e32 v42, v23
	v_min_u32_e32 v47, 32, v42
	v_subrev_u32_e32 v42, 28, v47
	v_lshlrev_b64 v[42:43], v42, v[22:23]
	v_lshrrev_b32_e32 v46, 3, v12
	v_sub_u32_e32 v43, 29, v47
	v_and_b32_e32 v42, 7, v42
	v_cmp_gt_u32_e64 s[0:1], 8, v12
	v_cndmask_b32_e64 v12, v46, v43, s[0:1]
	v_cndmask_b32_e64 v23, v23, v42, s[0:1]
	v_lshlrev_b32_e32 v23, 20, v23
	v_and_b32_sdwa v42, sext(v22), s7 dst_sel:DWORD dst_unused:UNUSED_PAD src0_sel:BYTE_0 src1_sel:DWORD
	v_lshl_add_u32 v12, v12, 23, v27
	v_or3_b32 v12, v42, v12, v23
	v_pk_mov_b32 v[42:43], v[12:13], v[12:13] op_sel:[0,1]
.LBB207_322:                            ;   in Loop: Header=BB207_188 Depth=1
	s_or_b64 exec, exec, s[20:21]
.LBB207_323:                            ;   in Loop: Header=BB207_188 Depth=1
	s_or_b64 exec, exec, s[18:19]
.LBB207_324:                            ;   in Loop: Header=BB207_188 Depth=1
	s_or_b64 exec, exec, s[16:17]
	v_cmp_ne_u16_sdwa s[0:1], v22, v13 src0_sel:BYTE_1 src1_sel:DWORD
	s_and_saveexec_b64 s[16:17], s[0:1]
	s_cbranch_execz .LBB207_330
; %bb.325:                              ;   in Loop: Header=BB207_188 Depth=1
	v_cmp_ne_u16_sdwa s[0:1], v22, s22 src0_sel:BYTE_1 src1_sel:DWORD
	v_pk_mov_b32 v[44:45], s[6:7], s[6:7] op_sel:[0,1]
	s_and_saveexec_b64 s[18:19], s[0:1]
	s_cbranch_execz .LBB207_329
; %bb.326:                              ;   in Loop: Header=BB207_188 Depth=1
	v_and_b32_sdwa v23, v22, s23 dst_sel:DWORD dst_unused:UNUSED_PAD src0_sel:BYTE_1 src1_sel:DWORD
	s_mov_b32 s14, s6
	v_cmp_ne_u32_e64 s[0:1], s23, v23
	v_pk_mov_b32 v[44:45], s[14:15], s[14:15] op_sel:[0,1]
	s_and_saveexec_b64 s[20:21], s[0:1]
	s_cbranch_execz .LBB207_328
; %bb.327:                              ;   in Loop: Header=BB207_188 Depth=1
	v_and_b32_sdwa v12, v22, v54 dst_sel:DWORD dst_unused:UNUSED_PAD src0_sel:BYTE_1 src1_sel:DWORD
	v_ffbh_u32_e32 v44, v12
	v_min_u32_e32 v47, 32, v44
	v_subrev_u32_e32 v44, 28, v47
	v_lshlrev_b64 v[44:45], v44, v[12:13]
	v_lshrrev_b32_e32 v46, 3, v23
	v_sub_u32_e32 v45, 29, v47
	v_cmp_gt_u32_e64 s[0:1], 8, v23
	v_and_b32_e32 v44, 7, v44
	v_cndmask_b32_e64 v23, v46, v45, s[0:1]
	v_cndmask_b32_e64 v12, v12, v44, s[0:1]
	v_lshlrev_b32_e32 v44, 16, v22
	v_lshl_add_u32 v23, v23, 23, v27
	v_and_or_b32 v23, v44, s7, v23
	v_lshlrev_b32_e32 v12, 20, v12
	v_or_b32_e32 v45, v23, v12
	v_mov_b32_e32 v44, v13
.LBB207_328:                            ;   in Loop: Header=BB207_188 Depth=1
	s_or_b64 exec, exec, s[20:21]
.LBB207_329:                            ;   in Loop: Header=BB207_188 Depth=1
	s_or_b64 exec, exec, s[18:19]
.LBB207_330:                            ;   in Loop: Header=BB207_188 Depth=1
	s_or_b64 exec, exec, s[16:17]
	v_lshrrev_b32_e32 v12, 16, v22
	v_pk_mov_b32 v[48:49], 0, 0
	v_cmp_ne_u16_sdwa s[0:1], v12, v13 src0_sel:BYTE_0 src1_sel:DWORD
	v_pk_mov_b32 v[46:47], v[48:49], v[48:49] op_sel:[0,1]
	s_and_saveexec_b64 s[16:17], s[0:1]
	s_cbranch_execz .LBB207_336
; %bb.331:                              ;   in Loop: Header=BB207_188 Depth=1
	v_bfrev_b32_e32 v46, 1
	v_cmp_ne_u16_sdwa s[0:1], v12, s22 src0_sel:BYTE_0 src1_sel:DWORD
	v_mov_b32_e32 v47, 0
	s_and_saveexec_b64 s[18:19], s[0:1]
	s_cbranch_execz .LBB207_335
; %bb.332:                              ;   in Loop: Header=BB207_188 Depth=1
	v_bfe_u32 v23, v22, 16, 7
	v_mov_b32_e32 v46, 0x7f800001
	v_cmp_ne_u32_e64 s[0:1], s23, v23
	v_mov_b32_e32 v47, 0
	s_and_saveexec_b64 s[20:21], s[0:1]
	s_cbranch_execz .LBB207_334
; %bb.333:                              ;   in Loop: Header=BB207_188 Depth=1
	v_and_b32_e32 v59, 7, v12
	v_ffbh_u32_e32 v46, v59
	v_min_u32_e32 v61, 32, v46
	v_subrev_u32_e32 v46, 28, v61
	v_lshlrev_b64 v[46:47], v46, v[12:13]
	v_lshrrev_b32_e32 v60, 3, v23
	v_sub_u32_e32 v47, 29, v61
	v_and_b32_e32 v46, 7, v46
	v_cmp_gt_u32_e64 s[0:1], 8, v23
	v_cndmask_b32_e64 v23, v60, v47, s[0:1]
	v_cndmask_b32_e64 v46, v59, v46, s[0:1]
	v_lshlrev_b32_e32 v46, 20, v46
	v_and_b32_sdwa v12, sext(v12), s7 dst_sel:DWORD dst_unused:UNUSED_PAD src0_sel:BYTE_0 src1_sel:DWORD
	v_lshl_add_u32 v23, v23, 23, v27
	v_or3_b32 v12, v12, v23, v46
	v_pk_mov_b32 v[46:47], v[12:13], v[12:13] op_sel:[0,1]
.LBB207_334:                            ;   in Loop: Header=BB207_188 Depth=1
	s_or_b64 exec, exec, s[20:21]
.LBB207_335:                            ;   in Loop: Header=BB207_188 Depth=1
	s_or_b64 exec, exec, s[18:19]
.LBB207_336:                            ;   in Loop: Header=BB207_188 Depth=1
	s_or_b64 exec, exec, s[16:17]
	v_cmp_lt_u32_e64 s[0:1], s24, v22
	s_and_saveexec_b64 s[16:17], s[0:1]
	s_cbranch_execz .LBB207_342
; %bb.337:                              ;   in Loop: Header=BB207_188 Depth=1
	v_cmp_ne_u32_sdwa s[0:1], v22, s22 src0_sel:BYTE_3 src1_sel:DWORD
	v_pk_mov_b32 v[48:49], s[6:7], s[6:7] op_sel:[0,1]
	s_and_saveexec_b64 s[18:19], s[0:1]
	s_cbranch_execz .LBB207_341
; %bb.338:                              ;   in Loop: Header=BB207_188 Depth=1
	v_bfe_u32 v23, v22, 24, 7
	s_mov_b32 s14, s6
	v_cmp_ne_u32_e64 s[0:1], s23, v23
	v_pk_mov_b32 v[48:49], s[14:15], s[14:15] op_sel:[0,1]
	s_and_saveexec_b64 s[20:21], s[0:1]
	s_cbranch_execz .LBB207_340
; %bb.339:                              ;   in Loop: Header=BB207_188 Depth=1
	v_and_b32_sdwa v12, v22, v54 dst_sel:DWORD dst_unused:UNUSED_PAD src0_sel:BYTE_3 src1_sel:DWORD
	v_ffbh_u32_e32 v48, v12
	v_min_u32_e32 v60, 32, v48
	v_subrev_u32_e32 v48, 28, v60
	v_lshlrev_b64 v[48:49], v48, v[12:13]
	v_lshrrev_b32_e32 v59, 3, v23
	v_sub_u32_e32 v49, 29, v60
	v_cmp_gt_u32_e64 s[0:1], 8, v23
	v_and_b32_e32 v48, 7, v48
	v_cndmask_b32_e64 v23, v59, v49, s[0:1]
	v_cndmask_b32_e64 v12, v12, v48, s[0:1]
	v_lshlrev_b32_sdwa v22, v55, v22 dst_sel:DWORD dst_unused:UNUSED_PAD src0_sel:DWORD src1_sel:BYTE_3
	v_lshl_add_u32 v23, v23, 23, v27
	v_and_or_b32 v22, v22, s7, v23
	v_lshlrev_b32_e32 v12, 20, v12
	v_or_b32_e32 v49, v22, v12
	v_mov_b32_e32 v48, v13
.LBB207_340:                            ;   in Loop: Header=BB207_188 Depth=1
	s_or_b64 exec, exec, s[20:21]
.LBB207_341:                            ;   in Loop: Header=BB207_188 Depth=1
	s_or_b64 exec, exec, s[18:19]
.LBB207_342:                            ;   in Loop: Header=BB207_188 Depth=1
	s_or_b64 exec, exec, s[16:17]
	v_or_b32_e32 v23, v45, v43
	v_or_b32_e32 v22, v44, v42
	;; [unrolled: 1-line block ×4, first 2 shown]
	v_pk_mul_f32 v[22:23], s[10:11], v[22:23]
	v_pk_mul_f32 v[42:43], s[10:11], v[42:43]
	s_and_saveexec_b64 s[0:1], vcc
	s_cbranch_execz .LBB207_187
; %bb.343:                              ;   in Loop: Header=BB207_188 Depth=1
	v_cmp_gt_i32_e32 vcc, s37, v56
	v_cndmask_b32_e32 v22, 0, v22, vcc
	v_cmp_gt_i32_e32 vcc, s37, v58
	v_cndmask_b32_e32 v23, 0, v23, vcc
	;; [unrolled: 2-line block ×4, first 2 shown]
	s_branch .LBB207_187
.LBB207_344:
	s_or_b64 exec, exec, s[12:13]
.LBB207_345:
	s_or_b64 exec, exec, s[4:5]
	ds_bpermute_b32 v2, v50, v10
	ds_bpermute_b32 v3, v50, v11
	;; [unrolled: 1-line block ×6, first 2 shown]
	s_waitcnt lgkmcnt(4)
	v_pk_add_f32 v[4:5], v[10:11], v[2:3]
	s_waitcnt lgkmcnt(0)
	v_pk_add_f32 v[2:3], v[8:9], v[12:13]
	v_and_b32_e32 v8, 0x3c1, v0
	v_pk_add_f32 v[6:7], v[6:7], v[14:15]
	v_cmp_eq_u32_e32 vcc, 64, v8
	s_barrier
	s_and_saveexec_b64 s[0:1], vcc
	s_cbranch_execz .LBB207_347
; %bb.346:
	v_mov_b32_e32 v9, 0x310
	v_lshl_add_u32 v1, v1, 1, v9
	ds_write2_b32 v1, v4, v5 offset1:32
	ds_write2_b32 v1, v2, v3 offset0:64 offset1:96
	ds_write2_b32 v1, v6, v7 offset0:128 offset1:160
.LBB207_347:
	s_or_b64 exec, exec, s[0:1]
	v_cmp_gt_u32_e32 vcc, 64, v0
	s_waitcnt lgkmcnt(0)
	s_barrier
	s_and_saveexec_b64 s[0:1], vcc
	s_cbranch_execz .LBB207_356
; %bb.348:
	v_cmp_eq_u32_e32 vcc, 0, v51
	v_lshrrev_b32_e32 v1, 1, v0
	s_and_saveexec_b64 s[4:5], vcc
	s_cbranch_execnz .LBB207_359
; %bb.349:
	s_or_b64 exec, exec, s[4:5]
	s_and_saveexec_b64 s[4:5], vcc
	s_cbranch_execnz .LBB207_360
.LBB207_350:
	s_or_b64 exec, exec, s[4:5]
	s_and_saveexec_b64 s[4:5], vcc
	s_cbranch_execnz .LBB207_361
.LBB207_351:
	s_or_b64 exec, exec, s[4:5]
	s_and_saveexec_b64 s[4:5], vcc
	s_cbranch_execnz .LBB207_362
.LBB207_352:
	s_or_b64 exec, exec, s[4:5]
	s_and_saveexec_b64 s[4:5], vcc
	s_cbranch_execnz .LBB207_363
.LBB207_353:
	s_or_b64 exec, exec, s[4:5]
	s_and_saveexec_b64 s[4:5], vcc
	s_cbranch_execz .LBB207_355
.LBB207_354:
	v_mov_b32_e32 v9, 0x310
	v_lshl_add_u32 v1, v1, 2, v9
	ds_read_b32 v1, v1 offset:640
	s_waitcnt lgkmcnt(0)
	v_add_f32_e32 v7, v7, v1
.LBB207_355:
	s_or_b64 exec, exec, s[4:5]
.LBB207_356:
	s_or_b64 exec, exec, s[0:1]
	v_cmp_eq_u32_e32 vcc, 0, v8
	s_barrier
	s_and_saveexec_b64 s[0:1], vcc
	s_cbranch_execz .LBB207_358
; %bb.357:
	s_mul_i32 s0, s2, 0xc0
	s_ashr_i32 s1, s0, 31
	s_lshl_b64 s[0:1], s[0:1], 2
	s_add_u32 s2, s28, s0
	s_mul_i32 s0, s33, s30
	s_addc_u32 s3, s29, s1
	s_ashr_i32 s1, s0, 31
	s_lshl_b64 s[0:1], s[0:1], 2
	s_add_u32 s2, s2, s0
	s_mul_i32 s0, s8, 0xc0
	s_addc_u32 s3, s3, s1
	s_ashr_i32 s1, s0, 31
	s_lshl_b64 s[0:1], s[0:1], 2
	s_add_u32 s0, s2, s0
	s_addc_u32 s1, s3, s1
	v_lshlrev_b32_e32 v0, 1, v0
	global_store_dword v0, v4, s[0:1]
	global_store_dword v0, v5, s[0:1] offset:128
	global_store_dword v0, v2, s[0:1] offset:256
	;; [unrolled: 1-line block ×5, first 2 shown]
.LBB207_358:
	s_endpgm
.LBB207_359:
	v_mov_b32_e32 v9, 0x310
	v_lshl_add_u32 v9, v1, 2, v9
	ds_read_b32 v9, v9
	s_waitcnt lgkmcnt(0)
	v_add_f32_e32 v4, v4, v9
	s_or_b64 exec, exec, s[4:5]
	s_and_saveexec_b64 s[4:5], vcc
	s_cbranch_execz .LBB207_350
.LBB207_360:
	v_mov_b32_e32 v9, 0x310
	v_lshl_add_u32 v9, v1, 2, v9
	ds_read_b32 v9, v9 offset:128
	s_waitcnt lgkmcnt(0)
	v_add_f32_e32 v5, v5, v9
	s_or_b64 exec, exec, s[4:5]
	s_and_saveexec_b64 s[4:5], vcc
	s_cbranch_execz .LBB207_351
.LBB207_361:
	v_mov_b32_e32 v9, 0x310
	v_lshl_add_u32 v9, v1, 2, v9
	ds_read_b32 v9, v9 offset:256
	s_waitcnt lgkmcnt(0)
	v_add_f32_e32 v2, v2, v9
	s_or_b64 exec, exec, s[4:5]
	s_and_saveexec_b64 s[4:5], vcc
	s_cbranch_execz .LBB207_352
.LBB207_362:
	v_mov_b32_e32 v9, 0x310
	v_lshl_add_u32 v9, v1, 2, v9
	ds_read_b32 v9, v9 offset:384
	s_waitcnt lgkmcnt(0)
	v_add_f32_e32 v3, v3, v9
	s_or_b64 exec, exec, s[4:5]
	s_and_saveexec_b64 s[4:5], vcc
	s_cbranch_execz .LBB207_353
.LBB207_363:
	v_mov_b32_e32 v9, 0x310
	v_lshl_add_u32 v9, v1, 2, v9
	ds_read_b32 v9, v9 offset:512
	s_waitcnt lgkmcnt(0)
	v_add_f32_e32 v6, v6, v9
	s_or_b64 exec, exec, s[4:5]
	s_and_saveexec_b64 s[4:5], vcc
	s_cbranch_execnz .LBB207_354
	s_branch .LBB207_355
	.section	.rodata,"a",@progbits
	.p2align	6, 0x0
	.amdhsa_kernel _ZN4vllm25paged_attention_v2_kernelIfhLi192ELi8ELi128ELNS_18Fp8KVCacheDataTypeE1ELb0ELi512EEEvPfS2_PT_PKS3_PKT0_S9_ifPKiSB_iPKfiiiSD_SD_iiiii
		.amdhsa_group_segment_fixed_size 784
		.amdhsa_private_segment_fixed_size 0
		.amdhsa_kernarg_size 400
		.amdhsa_user_sgpr_count 6
		.amdhsa_user_sgpr_private_segment_buffer 1
		.amdhsa_user_sgpr_dispatch_ptr 0
		.amdhsa_user_sgpr_queue_ptr 0
		.amdhsa_user_sgpr_kernarg_segment_ptr 1
		.amdhsa_user_sgpr_dispatch_id 0
		.amdhsa_user_sgpr_flat_scratch_init 0
		.amdhsa_user_sgpr_kernarg_preload_length 0
		.amdhsa_user_sgpr_kernarg_preload_offset 0
		.amdhsa_user_sgpr_private_segment_size 0
		.amdhsa_uses_dynamic_stack 0
		.amdhsa_system_sgpr_private_segment_wavefront_offset 0
		.amdhsa_system_sgpr_workgroup_id_x 1
		.amdhsa_system_sgpr_workgroup_id_y 1
		.amdhsa_system_sgpr_workgroup_id_z 1
		.amdhsa_system_sgpr_workgroup_info 0
		.amdhsa_system_vgpr_workitem_id 0
		.amdhsa_next_free_vgpr 76
		.amdhsa_next_free_sgpr 51
		.amdhsa_accum_offset 76
		.amdhsa_reserve_vcc 1
		.amdhsa_reserve_flat_scratch 0
		.amdhsa_float_round_mode_32 0
		.amdhsa_float_round_mode_16_64 0
		.amdhsa_float_denorm_mode_32 3
		.amdhsa_float_denorm_mode_16_64 3
		.amdhsa_dx10_clamp 1
		.amdhsa_ieee_mode 1
		.amdhsa_fp16_overflow 0
		.amdhsa_tg_split 0
		.amdhsa_exception_fp_ieee_invalid_op 0
		.amdhsa_exception_fp_denorm_src 0
		.amdhsa_exception_fp_ieee_div_zero 0
		.amdhsa_exception_fp_ieee_overflow 0
		.amdhsa_exception_fp_ieee_underflow 0
		.amdhsa_exception_fp_ieee_inexact 0
		.amdhsa_exception_int_div_zero 0
	.end_amdhsa_kernel
	.section	.text._ZN4vllm25paged_attention_v2_kernelIfhLi192ELi8ELi128ELNS_18Fp8KVCacheDataTypeE1ELb0ELi512EEEvPfS2_PT_PKS3_PKT0_S9_ifPKiSB_iPKfiiiSD_SD_iiiii,"axG",@progbits,_ZN4vllm25paged_attention_v2_kernelIfhLi192ELi8ELi128ELNS_18Fp8KVCacheDataTypeE1ELb0ELi512EEEvPfS2_PT_PKS3_PKT0_S9_ifPKiSB_iPKfiiiSD_SD_iiiii,comdat
.Lfunc_end207:
	.size	_ZN4vllm25paged_attention_v2_kernelIfhLi192ELi8ELi128ELNS_18Fp8KVCacheDataTypeE1ELb0ELi512EEEvPfS2_PT_PKS3_PKT0_S9_ifPKiSB_iPKfiiiSD_SD_iiiii, .Lfunc_end207-_ZN4vllm25paged_attention_v2_kernelIfhLi192ELi8ELi128ELNS_18Fp8KVCacheDataTypeE1ELb0ELi512EEEvPfS2_PT_PKS3_PKT0_S9_ifPKiSB_iPKfiiiSD_SD_iiiii
                                        ; -- End function
	.section	.AMDGPU.csdata,"",@progbits
; Kernel info:
; codeLenInByte = 13960
; NumSgprs: 55
; NumVgprs: 76
; NumAgprs: 0
; TotalNumVgprs: 76
; ScratchSize: 0
; MemoryBound: 0
; FloatMode: 240
; IeeeMode: 1
; LDSByteSize: 784 bytes/workgroup (compile time only)
; SGPRBlocks: 6
; VGPRBlocks: 9
; NumSGPRsForWavesPerEU: 55
; NumVGPRsForWavesPerEU: 76
; AccumOffset: 76
; Occupancy: 6
; WaveLimiterHint : 1
; COMPUTE_PGM_RSRC2:SCRATCH_EN: 0
; COMPUTE_PGM_RSRC2:USER_SGPR: 6
; COMPUTE_PGM_RSRC2:TRAP_HANDLER: 0
; COMPUTE_PGM_RSRC2:TGID_X_EN: 1
; COMPUTE_PGM_RSRC2:TGID_Y_EN: 1
; COMPUTE_PGM_RSRC2:TGID_Z_EN: 1
; COMPUTE_PGM_RSRC2:TIDIG_COMP_CNT: 0
; COMPUTE_PGM_RSRC3_GFX90A:ACCUM_OFFSET: 18
; COMPUTE_PGM_RSRC3_GFX90A:TG_SPLIT: 0
	.section	.text._ZN4vllm25paged_attention_v2_kernelIfhLi256ELi8ELi128ELNS_18Fp8KVCacheDataTypeE1ELb0ELi512EEEvPfS2_PT_PKS3_PKT0_S9_ifPKiSB_iPKfiiiSD_SD_iiiii,"axG",@progbits,_ZN4vllm25paged_attention_v2_kernelIfhLi256ELi8ELi128ELNS_18Fp8KVCacheDataTypeE1ELb0ELi512EEEvPfS2_PT_PKS3_PKT0_S9_ifPKiSB_iPKfiiiSD_SD_iiiii,comdat
	.protected	_ZN4vllm25paged_attention_v2_kernelIfhLi256ELi8ELi128ELNS_18Fp8KVCacheDataTypeE1ELb0ELi512EEEvPfS2_PT_PKS3_PKT0_S9_ifPKiSB_iPKfiiiSD_SD_iiiii ; -- Begin function _ZN4vllm25paged_attention_v2_kernelIfhLi256ELi8ELi128ELNS_18Fp8KVCacheDataTypeE1ELb0ELi512EEEvPfS2_PT_PKS3_PKT0_S9_ifPKiSB_iPKfiiiSD_SD_iiiii
	.globl	_ZN4vllm25paged_attention_v2_kernelIfhLi256ELi8ELi128ELNS_18Fp8KVCacheDataTypeE1ELb0ELi512EEEvPfS2_PT_PKS3_PKT0_S9_ifPKiSB_iPKfiiiSD_SD_iiiii
	.p2align	8
	.type	_ZN4vllm25paged_attention_v2_kernelIfhLi256ELi8ELi128ELNS_18Fp8KVCacheDataTypeE1ELb0ELi512EEEvPfS2_PT_PKS3_PKT0_S9_ifPKiSB_iPKfiiiSD_SD_iiiii,@function
_ZN4vllm25paged_attention_v2_kernelIfhLi256ELi8ELi128ELNS_18Fp8KVCacheDataTypeE1ELb0ELi512EEEvPfS2_PT_PKS3_PKT0_S9_ifPKiSB_iPKfiiiSD_SD_iiiii: ; @_ZN4vllm25paged_attention_v2_kernelIfhLi256ELi8ELi128ELNS_18Fp8KVCacheDataTypeE1ELb0ELi512EEEvPfS2_PT_PKS3_PKT0_S9_ifPKiSB_iPKfiiiSD_SD_iiiii
; %bb.0:
	s_load_dwordx2 s[0:1], s[4:5], 0x40
	s_mov_b32 s36, s7
	s_ashr_i32 s37, s7, 31
	s_lshl_b64 s[2:3], s[36:37], 2
	s_waitcnt lgkmcnt(0)
	s_add_u32 s0, s0, s2
	s_addc_u32 s1, s1, s3
	s_load_dword s37, s[0:1], 0x0
	s_lshl_b32 s44, s8, 9
	s_waitcnt lgkmcnt(0)
	s_cmp_ge_i32 s44, s37
	s_cbranch_scc1 .LBB208_460
; %bb.1:
	s_load_dword s9, s[4:5], 0x90
	s_load_dwordx2 s[10:11], s[4:5], 0x30
	s_waitcnt lgkmcnt(0)
	s_abs_i32 s2, s9
	s_abs_i32 s0, s10
	v_cvt_f32_u32_e32 v1, s0
	s_sub_i32 s3, 0, s0
	s_xor_b32 s1, s9, s10
	s_ashr_i32 s1, s1, 31
	v_rcp_iflag_f32_e32 v1, v1
	v_mul_f32_e32 v1, 0x4f7ffffe, v1
	v_cvt_u32_f32_e32 v1, v1
	v_readfirstlane_b32 s7, v1
	s_mul_i32 s3, s3, s7
	s_mul_hi_u32 s3, s7, s3
	s_add_i32 s7, s7, s3
	s_mul_hi_u32 s3, s2, s7
	s_mul_i32 s7, s3, s0
	s_sub_i32 s2, s2, s7
	s_add_i32 s10, s3, 1
	s_sub_i32 s7, s2, s0
	s_cmp_ge_u32 s2, s0
	s_cselect_b32 s3, s10, s3
	s_cselect_b32 s2, s7, s2
	s_add_i32 s7, s3, 1
	s_cmp_ge_u32 s2, s0
	s_cselect_b32 s0, s7, s3
	s_xor_b32 s0, s0, s1
	s_sub_i32 s38, s0, s1
	s_abs_i32 s26, s38
	v_cvt_f32_u32_e32 v1, s26
	s_load_dwordx2 s[0:1], s[4:5], 0x50
	s_sub_i32 s2, 0, s26
	s_abs_i32 s27, s6
	v_rcp_iflag_f32_e32 v1, v1
	s_mov_b32 s10, 0
	v_mul_f32_e32 v1, 0x4f7ffffe, v1
	v_cvt_u32_f32_e32 v1, v1
	v_readfirstlane_b32 s3, v1
	s_mul_i32 s2, s2, s3
	s_mul_hi_u32 s2, s3, s2
	s_add_i32 s2, s3, s2
	s_waitcnt lgkmcnt(0)
	s_cmp_eq_u64 s[0:1], 0
	s_cbranch_scc1 .LBB208_3
; %bb.2:
	s_ashr_i32 s7, s6, 31
	s_lshl_b64 s[12:13], s[6:7], 2
	s_add_u32 s0, s0, s12
	s_addc_u32 s1, s1, s13
	s_load_dword s10, s[0:1], 0x0
.LBB208_3:
	s_load_dwordx4 s[20:23], s[4:5], 0x0
	s_load_dwordx2 s[28:29], s[4:5], 0x10
	s_load_dwordx4 s[12:15], s[4:5], 0x20
	s_load_dwordx2 s[34:35], s[4:5], 0x38
	s_load_dword s33, s[4:5], 0x98
	s_load_dwordx4 s[16:19], s[4:5], 0x58
	s_lshl_b32 s30, s6, 8
	s_movk_i32 s0, 0x100
	s_mul_hi_u32 s39, s27, s2
	v_and_b32_e32 v36, 7, v0
	s_ashr_i32 s31, s30, 31
	v_cmp_gt_u32_e32 vcc, s0, v0
	s_and_saveexec_b64 s[2:3], vcc
	s_cbranch_execz .LBB208_6
; %bb.4:
	s_load_dwordx2 s[0:1], s[4:5], 0x18
	s_waitcnt lgkmcnt(0)
	s_mul_i32 s24, s36, s16
	s_ashr_i32 s25, s24, 31
	s_lshl_b64 s[24:25], s[24:25], 2
	s_lshl_b64 s[40:41], s[30:31], 2
	v_lshrrev_b32_e32 v2, 3, v0
	s_add_u32 s7, s24, s40
	v_lshlrev_b32_e32 v3, 2, v2
	s_addc_u32 s16, s25, s41
	v_lshl_add_u32 v4, v36, 7, v3
	v_lshlrev_b32_e32 v3, 2, v36
	s_add_u32 s0, s0, s7
	v_add_u32_e32 v1, -16, v2
	v_lshl_or_b32 v2, v2, 5, v3
	s_addc_u32 s1, s1, s16
	v_mov_b32_e32 v3, s1
	v_add_co_u32_e32 v2, vcc, s0, v2
	v_addc_co_u32_e32 v3, vcc, 0, v3, vcc
	s_mov_b64 s[24:25], 0
.LBB208_5:                              ; =>This Inner Loop Header: Depth=1
	global_load_dword v5, v[2:3], off
	v_add_co_u32_e64 v1, s[0:1], 16, v1
	s_xor_b64 s[0:1], s[0:1], -1
	v_add_co_u32_e32 v2, vcc, 0x200, v2
	s_and_b64 s[0:1], exec, s[0:1]
	v_addc_co_u32_e32 v3, vcc, 0, v3, vcc
	s_or_b64 s[24:25], s[0:1], s[24:25]
	s_waitcnt vmcnt(0)
	ds_write_b32 v4, v5
	v_add_u32_e32 v4, 64, v4
	s_andn2_b64 exec, exec, s[24:25]
	s_cbranch_execnz .LBB208_5
.LBB208_6:
	s_or_b64 exec, exec, s[2:3]
	s_add_i32 s2, s37, 7
	s_ashr_i32 s3, s2, 31
	s_ashr_i32 s0, s6, 31
	;; [unrolled: 1-line block ×3, first 2 shown]
	s_lshr_b32 s3, s3, 29
	s_add_i32 s2, s2, s3
	s_lshl_b32 s45, s8, 6
	s_xor_b32 s0, s0, s1
	s_mul_i32 s1, s39, s26
	s_ashr_i32 s7, s2, 3
	s_add_i32 s2, s45, 64
	s_sub_i32 s1, s27, s1
	s_min_i32 s31, s2, s7
	s_add_i32 s2, s39, 1
	s_sub_i32 s3, s1, s26
	s_cmp_ge_u32 s1, s26
	s_cselect_b32 s2, s2, s39
	s_cselect_b32 s1, s3, s1
	s_add_i32 s3, s2, 1
	s_cmp_ge_u32 s1, s26
	s_cselect_b32 s1, s3, s2
	s_load_dword s2, s[4:5], 0x48
	v_lshrrev_b32_e32 v37, 6, v0
	s_xor_b32 s1, s1, s0
	v_or_b32_e32 v34, s45, v37
	s_waitcnt lgkmcnt(0)
	s_sub_i32 s16, s1, s0
	s_mul_i32 s38, s36, s2
	s_ashr_i32 s39, s38, 31
	v_cmp_gt_i32_e64 s[0:1], s31, v34
	v_cmp_le_i32_e32 vcc, s31, v34
	v_mbcnt_lo_u32_b32 v1, -1, 0
	s_barrier
	s_waitcnt lgkmcnt(0)
                                        ; implicit-def: $sgpr19
                                        ; implicit-def: $vgpr45
                                        ; implicit-def: $vgpr46
	s_and_saveexec_b64 s[2:3], vcc
	s_xor_b64 s[2:3], exec, s[2:3]
; %bb.7:
	v_mbcnt_hi_u32_b32 v45, -1, v1
	v_and_b32_e32 v1, 64, v45
	v_add_u32_e32 v46, 64, v1
	s_mov_b32 s19, 0xff7fffff
                                        ; implicit-def: $vgpr36
                                        ; implicit-def: $vgpr1
; %bb.8:
	s_or_saveexec_b64 s[40:41], s[2:3]
	s_load_dwordx4 s[24:27], s[4:5], 0x68
	v_mov_b32_e32 v47, s19
	s_mul_i32 s16, s16, s18
	v_ashrrev_i32_e32 v35, 31, v34
	s_xor_b64 exec, exec, s[40:41]
	s_cbranch_execz .LBB208_206
; %bb.9:
	s_ashr_i32 s2, s16, 31
	v_bfe_u32 v40, v0, 3, 3
	s_add_u32 s3, s12, s16
	s_addc_u32 s2, s13, s2
	v_lshlrev_b32_e32 v2, 4, v40
	v_mbcnt_hi_u32_b32 v45, -1, v1
	v_mov_b32_e32 v3, s2
	v_add_co_u32_e32 v38, vcc, s3, v2
	v_and_b32_e32 v1, 64, v45
	v_addc_co_u32_e32 v39, vcc, 0, v3, vcc
	v_add_u32_e32 v46, 64, v1
	v_xor_b32_e32 v1, 4, v45
	v_lshlrev_b32_e32 v30, 7, v36
	v_cmp_lt_i32_e32 vcc, v1, v46
	v_xor_b32_e32 v41, 2, v45
	ds_read_b128 v[2:5], v30
	ds_read_b128 v[6:9], v30 offset:16
	ds_read_b128 v[10:13], v30 offset:32
	;; [unrolled: 1-line block ×7, first 2 shown]
	v_cndmask_b32_e32 v1, v45, v1, vcc
	v_cmp_lt_i32_e32 vcc, v41, v46
	v_cndmask_b32_e32 v41, v45, v41, vcc
	v_lshlrev_b32_e32 v48, 2, v41
	v_xor_b32_e32 v41, 1, v45
	v_cmp_lt_i32_e32 vcc, v41, v46
	v_cndmask_b32_e32 v41, v45, v41, vcc
	v_lshlrev_b32_e32 v49, 2, v41
	v_lshlrev_b32_e32 v41, 3, v37
	s_waitcnt lgkmcnt(0)
	s_load_dword s47, s[24:25], 0x0
	s_sub_i32 s48, 1, s37
	v_add3_u32 v50, s44, v41, v40
	v_lshlrev_b32_e32 v40, 2, v40
	s_lshl_b64 s[4:5], s[38:39], 2
	v_lshl_or_b32 v40, v37, 5, v40
	s_add_u32 s4, s34, s4
	v_add_u32_e32 v51, 0x410, v40
	v_lshlrev_b64 v[40:41], 2, v[34:35]
	s_addc_u32 s5, s35, s5
	v_mov_b32_e32 v42, s5
	v_add_co_u32_e64 v40, s[4:5], s4, v40
	s_mov_b32 s46, s17
	v_lshlrev_b32_e32 v1, 2, v1
	v_cmp_eq_u32_e32 vcc, 0, v36
	v_cmp_neq_f32_e64 s[2:3], s10, 0
	v_addc_co_u32_e64 v41, s[4:5], v42, v41, s[4:5]
	s_mov_b64 s[12:13], 0
	v_mov_b32_e32 v47, 0xff7fffff
	s_movk_i32 s49, 0x80
	s_movk_i32 s50, 0x7f
	v_bfrev_b32_e32 v52, 60
	v_mov_b32_e32 v53, v34
	s_branch .LBB208_11
.LBB208_10:                             ;   in Loop: Header=BB208_11 Depth=1
	s_or_b64 exec, exec, s[18:19]
	v_add_u32_e32 v53, 2, v53
	v_cmp_le_i32_e64 s[4:5], s31, v53
	s_or_b64 s[12:13], s[4:5], s[12:13]
	v_add_co_u32_e64 v40, s[4:5], 8, v40
	v_add_u32_e32 v50, 16, v50
	v_add_u32_e32 v51, 64, v51
	v_addc_co_u32_e64 v41, s[4:5], 0, v41, s[4:5]
	s_andn2_b64 exec, exec, s[12:13]
	s_cbranch_execz .LBB208_205
.LBB208_11:                             ; =>This Inner Loop Header: Depth=1
	global_load_dword v42, v[40:41], off
	v_mov_b32_e32 v54, 0
	s_waitcnt vmcnt(0) lgkmcnt(0)
	v_mad_i64_i32 v[42:43], s[4:5], v42, s46, v[38:39]
	v_add_co_u32_e64 v42, s[4:5], v42, v36
	v_addc_co_u32_e64 v43, s[4:5], 0, v43, s[4:5]
	global_load_ubyte v55, v[42:43], off
	s_waitcnt vmcnt(0)
	v_cmp_ne_u16_e64 s[4:5], 0, v55
	s_and_saveexec_b64 s[18:19], s[4:5]
	s_cbranch_execz .LBB208_17
; %bb.12:                               ;   in Loop: Header=BB208_11 Depth=1
	v_cmp_ne_u16_e64 s[4:5], s49, v55
	v_bfrev_b32_e32 v54, 1
	s_and_saveexec_b64 s[24:25], s[4:5]
	s_cbranch_execz .LBB208_16
; %bb.13:                               ;   in Loop: Header=BB208_11 Depth=1
	v_and_b32_e32 v44, 0xffff, v55
	v_and_b32_e32 v56, 0x7f, v44
	v_cmp_ne_u32_e64 s[4:5], s50, v56
	v_mov_b32_e32 v54, 0x7f800001
	s_and_saveexec_b64 s[42:43], s[4:5]
	s_cbranch_execz .LBB208_15
; %bb.14:                               ;   in Loop: Header=BB208_11 Depth=1
	v_and_b32_e32 v54, 7, v44
	v_ffbh_u32_e32 v58, v54
	v_min_u32_e32 v60, 32, v58
	v_subrev_u32_e32 v58, 28, v60
	v_lshlrev_b64 v[58:59], v58, v[44:45]
	v_lshrrev_b32_e32 v57, 3, v56
	v_sub_u32_e32 v44, 29, v60
	v_and_b32_e32 v58, 7, v58
	v_cmp_gt_u32_e64 s[4:5], 8, v56
	v_cndmask_b32_e64 v44, v57, v44, s[4:5]
	v_cndmask_b32_e64 v54, v54, v58, s[4:5]
	v_lshlrev_b32_e32 v55, 24, v55
	v_lshlrev_b32_e32 v54, 20, v54
	v_and_b32_e32 v55, 0x80000000, v55
	v_lshl_add_u32 v44, v44, 23, v52
	v_or3_b32 v54, v55, v44, v54
.LBB208_15:                             ;   in Loop: Header=BB208_11 Depth=1
	s_or_b64 exec, exec, s[42:43]
.LBB208_16:                             ;   in Loop: Header=BB208_11 Depth=1
	s_or_b64 exec, exec, s[24:25]
.LBB208_17:                             ;   in Loop: Header=BB208_11 Depth=1
	s_or_b64 exec, exec, s[18:19]
	global_load_ubyte v56, v[42:43], off offset:8
	v_mov_b32_e32 v55, 0
	s_waitcnt vmcnt(0)
	v_cmp_ne_u16_e64 s[4:5], 0, v56
	s_and_saveexec_b64 s[18:19], s[4:5]
	s_cbranch_execz .LBB208_23
; %bb.18:                               ;   in Loop: Header=BB208_11 Depth=1
	v_cmp_ne_u16_e64 s[4:5], s49, v56
	v_bfrev_b32_e32 v55, 1
	s_and_saveexec_b64 s[24:25], s[4:5]
	s_cbranch_execz .LBB208_22
; %bb.19:                               ;   in Loop: Header=BB208_11 Depth=1
	v_and_b32_e32 v44, 0xffff, v56
	v_and_b32_e32 v57, 0x7f, v44
	v_cmp_ne_u32_e64 s[4:5], s50, v57
	v_mov_b32_e32 v55, 0x7f800001
	s_and_saveexec_b64 s[42:43], s[4:5]
	s_cbranch_execz .LBB208_21
; %bb.20:                               ;   in Loop: Header=BB208_11 Depth=1
	v_and_b32_e32 v55, 7, v44
	v_ffbh_u32_e32 v58, v55
	v_min_u32_e32 v61, 32, v58
	v_subrev_u32_e32 v58, 28, v61
	v_lshlrev_b64 v[58:59], v58, v[44:45]
	v_lshrrev_b32_e32 v60, 3, v57
	v_sub_u32_e32 v44, 29, v61
	v_and_b32_e32 v58, 7, v58
	v_cmp_gt_u32_e64 s[4:5], 8, v57
	v_cndmask_b32_e64 v44, v60, v44, s[4:5]
	v_cndmask_b32_e64 v55, v55, v58, s[4:5]
	v_lshlrev_b32_e32 v56, 24, v56
	v_lshlrev_b32_e32 v55, 20, v55
	v_and_b32_e32 v56, 0x80000000, v56
	v_lshl_add_u32 v44, v44, 23, v52
	v_or3_b32 v55, v56, v44, v55
.LBB208_21:                             ;   in Loop: Header=BB208_11 Depth=1
	s_or_b64 exec, exec, s[42:43]
.LBB208_22:                             ;   in Loop: Header=BB208_11 Depth=1
	s_or_b64 exec, exec, s[24:25]
.LBB208_23:                             ;   in Loop: Header=BB208_11 Depth=1
	s_or_b64 exec, exec, s[18:19]
	global_load_ubyte v58, v[42:43], off offset:128
	v_mov_b32_e32 v56, 0
	v_mov_b32_e32 v57, 0
	s_waitcnt vmcnt(0)
	v_cmp_ne_u16_e64 s[4:5], 0, v58
	s_and_saveexec_b64 s[18:19], s[4:5]
	s_cbranch_execz .LBB208_29
; %bb.24:                               ;   in Loop: Header=BB208_11 Depth=1
	v_cmp_ne_u16_e64 s[4:5], s49, v58
	v_bfrev_b32_e32 v57, 1
	s_and_saveexec_b64 s[24:25], s[4:5]
	s_cbranch_execz .LBB208_28
; %bb.25:                               ;   in Loop: Header=BB208_11 Depth=1
	v_and_b32_e32 v44, 0xffff, v58
	v_and_b32_e32 v59, 0x7f, v44
	v_cmp_ne_u32_e64 s[4:5], s50, v59
	v_mov_b32_e32 v57, 0x7f800001
	s_and_saveexec_b64 s[42:43], s[4:5]
	s_cbranch_execz .LBB208_27
; %bb.26:                               ;   in Loop: Header=BB208_11 Depth=1
	v_and_b32_e32 v57, 7, v44
	v_ffbh_u32_e32 v60, v57
	v_min_u32_e32 v63, 32, v60
	v_subrev_u32_e32 v60, 28, v63
	v_lshlrev_b64 v[60:61], v60, v[44:45]
	v_lshrrev_b32_e32 v62, 3, v59
	v_sub_u32_e32 v44, 29, v63
	v_and_b32_e32 v60, 7, v60
	v_cmp_gt_u32_e64 s[4:5], 8, v59
	v_cndmask_b32_e64 v44, v62, v44, s[4:5]
	v_cndmask_b32_e64 v57, v57, v60, s[4:5]
	v_lshlrev_b32_e32 v58, 24, v58
	v_lshlrev_b32_e32 v57, 20, v57
	v_and_b32_e32 v58, 0x80000000, v58
	v_lshl_add_u32 v44, v44, 23, v52
	v_or3_b32 v57, v58, v44, v57
.LBB208_27:                             ;   in Loop: Header=BB208_11 Depth=1
	s_or_b64 exec, exec, s[42:43]
.LBB208_28:                             ;   in Loop: Header=BB208_11 Depth=1
	s_or_b64 exec, exec, s[24:25]
.LBB208_29:                             ;   in Loop: Header=BB208_11 Depth=1
	s_or_b64 exec, exec, s[18:19]
	global_load_ubyte v58, v[42:43], off offset:136
	s_waitcnt vmcnt(0)
	v_cmp_ne_u16_e64 s[4:5], 0, v58
	s_and_saveexec_b64 s[18:19], s[4:5]
	s_cbranch_execz .LBB208_35
; %bb.30:                               ;   in Loop: Header=BB208_11 Depth=1
	v_cmp_ne_u16_e64 s[4:5], s49, v58
	v_bfrev_b32_e32 v56, 1
	s_and_saveexec_b64 s[24:25], s[4:5]
	s_cbranch_execz .LBB208_34
; %bb.31:                               ;   in Loop: Header=BB208_11 Depth=1
	v_and_b32_e32 v44, 0xffff, v58
	v_and_b32_e32 v59, 0x7f, v44
	v_cmp_ne_u32_e64 s[4:5], s50, v59
	v_mov_b32_e32 v56, 0x7f800001
	s_and_saveexec_b64 s[42:43], s[4:5]
	s_cbranch_execz .LBB208_33
; %bb.32:                               ;   in Loop: Header=BB208_11 Depth=1
	v_and_b32_e32 v56, 7, v44
	v_ffbh_u32_e32 v60, v56
	v_min_u32_e32 v63, 32, v60
	v_subrev_u32_e32 v60, 28, v63
	v_lshlrev_b64 v[60:61], v60, v[44:45]
	v_lshrrev_b32_e32 v62, 3, v59
	v_sub_u32_e32 v44, 29, v63
	v_and_b32_e32 v60, 7, v60
	v_cmp_gt_u32_e64 s[4:5], 8, v59
	v_cndmask_b32_e64 v44, v62, v44, s[4:5]
	v_cndmask_b32_e64 v56, v56, v60, s[4:5]
	v_lshlrev_b32_e32 v58, 24, v58
	v_lshlrev_b32_e32 v56, 20, v56
	v_and_b32_e32 v58, 0x80000000, v58
	v_lshl_add_u32 v44, v44, 23, v52
	v_or3_b32 v56, v58, v44, v56
.LBB208_33:                             ;   in Loop: Header=BB208_11 Depth=1
	s_or_b64 exec, exec, s[42:43]
.LBB208_34:                             ;   in Loop: Header=BB208_11 Depth=1
	s_or_b64 exec, exec, s[24:25]
.LBB208_35:                             ;   in Loop: Header=BB208_11 Depth=1
	s_or_b64 exec, exec, s[18:19]
	global_load_ubyte v60, v[42:43], off offset:256
	v_mov_b32_e32 v58, 0
	v_mov_b32_e32 v59, 0
	s_waitcnt vmcnt(0)
	v_cmp_ne_u16_e64 s[4:5], 0, v60
	s_and_saveexec_b64 s[18:19], s[4:5]
	s_cbranch_execz .LBB208_41
; %bb.36:                               ;   in Loop: Header=BB208_11 Depth=1
	v_cmp_ne_u16_e64 s[4:5], s49, v60
	v_bfrev_b32_e32 v59, 1
	s_and_saveexec_b64 s[24:25], s[4:5]
	s_cbranch_execz .LBB208_40
; %bb.37:                               ;   in Loop: Header=BB208_11 Depth=1
	v_and_b32_e32 v44, 0xffff, v60
	v_and_b32_e32 v61, 0x7f, v44
	v_cmp_ne_u32_e64 s[4:5], s50, v61
	v_mov_b32_e32 v59, 0x7f800001
	s_and_saveexec_b64 s[42:43], s[4:5]
	s_cbranch_execz .LBB208_39
; %bb.38:                               ;   in Loop: Header=BB208_11 Depth=1
	v_and_b32_e32 v59, 7, v44
	v_ffbh_u32_e32 v62, v59
	v_min_u32_e32 v65, 32, v62
	v_subrev_u32_e32 v62, 28, v65
	v_lshlrev_b64 v[62:63], v62, v[44:45]
	v_lshrrev_b32_e32 v64, 3, v61
	v_sub_u32_e32 v44, 29, v65
	v_and_b32_e32 v62, 7, v62
	v_cmp_gt_u32_e64 s[4:5], 8, v61
	v_cndmask_b32_e64 v44, v64, v44, s[4:5]
	v_cndmask_b32_e64 v59, v59, v62, s[4:5]
	v_lshlrev_b32_e32 v60, 24, v60
	v_lshlrev_b32_e32 v59, 20, v59
	v_and_b32_e32 v60, 0x80000000, v60
	v_lshl_add_u32 v44, v44, 23, v52
	v_or3_b32 v59, v60, v44, v59
.LBB208_39:                             ;   in Loop: Header=BB208_11 Depth=1
	s_or_b64 exec, exec, s[42:43]
.LBB208_40:                             ;   in Loop: Header=BB208_11 Depth=1
	s_or_b64 exec, exec, s[24:25]
.LBB208_41:                             ;   in Loop: Header=BB208_11 Depth=1
	s_or_b64 exec, exec, s[18:19]
	global_load_ubyte v60, v[42:43], off offset:264
	s_waitcnt vmcnt(0)
	v_cmp_ne_u16_e64 s[4:5], 0, v60
	s_and_saveexec_b64 s[18:19], s[4:5]
	s_cbranch_execz .LBB208_47
; %bb.42:                               ;   in Loop: Header=BB208_11 Depth=1
	v_cmp_ne_u16_e64 s[4:5], s49, v60
	v_bfrev_b32_e32 v58, 1
	s_and_saveexec_b64 s[24:25], s[4:5]
	s_cbranch_execz .LBB208_46
; %bb.43:                               ;   in Loop: Header=BB208_11 Depth=1
	v_and_b32_e32 v44, 0xffff, v60
	v_and_b32_e32 v61, 0x7f, v44
	v_cmp_ne_u32_e64 s[4:5], s50, v61
	v_mov_b32_e32 v58, 0x7f800001
	s_and_saveexec_b64 s[42:43], s[4:5]
	s_cbranch_execz .LBB208_45
; %bb.44:                               ;   in Loop: Header=BB208_11 Depth=1
	v_and_b32_e32 v58, 7, v44
	v_ffbh_u32_e32 v62, v58
	v_min_u32_e32 v65, 32, v62
	v_subrev_u32_e32 v62, 28, v65
	v_lshlrev_b64 v[62:63], v62, v[44:45]
	v_lshrrev_b32_e32 v64, 3, v61
	v_sub_u32_e32 v44, 29, v65
	v_and_b32_e32 v62, 7, v62
	v_cmp_gt_u32_e64 s[4:5], 8, v61
	v_cndmask_b32_e64 v44, v64, v44, s[4:5]
	v_cndmask_b32_e64 v58, v58, v62, s[4:5]
	v_lshlrev_b32_e32 v60, 24, v60
	v_lshlrev_b32_e32 v58, 20, v58
	v_and_b32_e32 v60, 0x80000000, v60
	v_lshl_add_u32 v44, v44, 23, v52
	v_or3_b32 v58, v60, v44, v58
.LBB208_45:                             ;   in Loop: Header=BB208_11 Depth=1
	s_or_b64 exec, exec, s[42:43]
.LBB208_46:                             ;   in Loop: Header=BB208_11 Depth=1
	s_or_b64 exec, exec, s[24:25]
.LBB208_47:                             ;   in Loop: Header=BB208_11 Depth=1
	s_or_b64 exec, exec, s[18:19]
	global_load_ubyte v62, v[42:43], off offset:384
	v_mov_b32_e32 v60, 0
	v_mov_b32_e32 v61, 0
	s_waitcnt vmcnt(0)
	v_cmp_ne_u16_e64 s[4:5], 0, v62
	s_and_saveexec_b64 s[18:19], s[4:5]
	s_cbranch_execz .LBB208_53
; %bb.48:                               ;   in Loop: Header=BB208_11 Depth=1
	v_cmp_ne_u16_e64 s[4:5], s49, v62
	v_bfrev_b32_e32 v61, 1
	s_and_saveexec_b64 s[24:25], s[4:5]
	s_cbranch_execz .LBB208_52
; %bb.49:                               ;   in Loop: Header=BB208_11 Depth=1
	v_and_b32_e32 v44, 0xffff, v62
	v_and_b32_e32 v63, 0x7f, v44
	v_cmp_ne_u32_e64 s[4:5], s50, v63
	v_mov_b32_e32 v61, 0x7f800001
	s_and_saveexec_b64 s[42:43], s[4:5]
	s_cbranch_execz .LBB208_51
; %bb.50:                               ;   in Loop: Header=BB208_11 Depth=1
	v_and_b32_e32 v61, 7, v44
	v_ffbh_u32_e32 v64, v61
	v_min_u32_e32 v67, 32, v64
	v_subrev_u32_e32 v64, 28, v67
	v_lshlrev_b64 v[64:65], v64, v[44:45]
	v_lshrrev_b32_e32 v66, 3, v63
	v_sub_u32_e32 v44, 29, v67
	v_and_b32_e32 v64, 7, v64
	v_cmp_gt_u32_e64 s[4:5], 8, v63
	v_cndmask_b32_e64 v44, v66, v44, s[4:5]
	v_cndmask_b32_e64 v61, v61, v64, s[4:5]
	v_lshlrev_b32_e32 v62, 24, v62
	v_lshlrev_b32_e32 v61, 20, v61
	v_and_b32_e32 v62, 0x80000000, v62
	v_lshl_add_u32 v44, v44, 23, v52
	v_or3_b32 v61, v62, v44, v61
.LBB208_51:                             ;   in Loop: Header=BB208_11 Depth=1
	s_or_b64 exec, exec, s[42:43]
.LBB208_52:                             ;   in Loop: Header=BB208_11 Depth=1
	s_or_b64 exec, exec, s[24:25]
.LBB208_53:                             ;   in Loop: Header=BB208_11 Depth=1
	s_or_b64 exec, exec, s[18:19]
	global_load_ubyte v62, v[42:43], off offset:392
	s_waitcnt vmcnt(0)
	v_cmp_ne_u16_e64 s[4:5], 0, v62
	s_and_saveexec_b64 s[18:19], s[4:5]
	s_cbranch_execz .LBB208_59
; %bb.54:                               ;   in Loop: Header=BB208_11 Depth=1
	v_cmp_ne_u16_e64 s[4:5], s49, v62
	v_bfrev_b32_e32 v60, 1
	s_and_saveexec_b64 s[24:25], s[4:5]
	s_cbranch_execz .LBB208_58
; %bb.55:                               ;   in Loop: Header=BB208_11 Depth=1
	v_and_b32_e32 v44, 0xffff, v62
	v_and_b32_e32 v63, 0x7f, v44
	v_cmp_ne_u32_e64 s[4:5], s50, v63
	v_mov_b32_e32 v60, 0x7f800001
	s_and_saveexec_b64 s[42:43], s[4:5]
	s_cbranch_execz .LBB208_57
; %bb.56:                               ;   in Loop: Header=BB208_11 Depth=1
	v_and_b32_e32 v60, 7, v44
	v_ffbh_u32_e32 v64, v60
	v_min_u32_e32 v67, 32, v64
	v_subrev_u32_e32 v64, 28, v67
	v_lshlrev_b64 v[64:65], v64, v[44:45]
	v_lshrrev_b32_e32 v66, 3, v63
	v_sub_u32_e32 v44, 29, v67
	v_and_b32_e32 v64, 7, v64
	v_cmp_gt_u32_e64 s[4:5], 8, v63
	v_cndmask_b32_e64 v44, v66, v44, s[4:5]
	v_cndmask_b32_e64 v60, v60, v64, s[4:5]
	v_lshlrev_b32_e32 v62, 24, v62
	v_lshlrev_b32_e32 v60, 20, v60
	v_and_b32_e32 v62, 0x80000000, v62
	v_lshl_add_u32 v44, v44, 23, v52
	v_or3_b32 v60, v62, v44, v60
.LBB208_57:                             ;   in Loop: Header=BB208_11 Depth=1
	s_or_b64 exec, exec, s[42:43]
.LBB208_58:                             ;   in Loop: Header=BB208_11 Depth=1
	s_or_b64 exec, exec, s[24:25]
.LBB208_59:                             ;   in Loop: Header=BB208_11 Depth=1
	s_or_b64 exec, exec, s[18:19]
	global_load_ubyte v64, v[42:43], off offset:512
	v_mov_b32_e32 v62, 0
	v_mov_b32_e32 v63, 0
	s_waitcnt vmcnt(0)
	v_cmp_ne_u16_e64 s[4:5], 0, v64
	s_and_saveexec_b64 s[18:19], s[4:5]
	s_cbranch_execz .LBB208_65
; %bb.60:                               ;   in Loop: Header=BB208_11 Depth=1
	v_cmp_ne_u16_e64 s[4:5], s49, v64
	v_bfrev_b32_e32 v63, 1
	s_and_saveexec_b64 s[24:25], s[4:5]
	s_cbranch_execz .LBB208_64
; %bb.61:                               ;   in Loop: Header=BB208_11 Depth=1
	v_and_b32_e32 v44, 0xffff, v64
	v_and_b32_e32 v65, 0x7f, v44
	v_cmp_ne_u32_e64 s[4:5], s50, v65
	v_mov_b32_e32 v63, 0x7f800001
	s_and_saveexec_b64 s[42:43], s[4:5]
	s_cbranch_execz .LBB208_63
; %bb.62:                               ;   in Loop: Header=BB208_11 Depth=1
	v_and_b32_e32 v63, 7, v44
	v_ffbh_u32_e32 v66, v63
	v_min_u32_e32 v69, 32, v66
	v_subrev_u32_e32 v66, 28, v69
	v_lshlrev_b64 v[66:67], v66, v[44:45]
	v_lshrrev_b32_e32 v68, 3, v65
	v_sub_u32_e32 v44, 29, v69
	v_and_b32_e32 v66, 7, v66
	v_cmp_gt_u32_e64 s[4:5], 8, v65
	v_cndmask_b32_e64 v44, v68, v44, s[4:5]
	v_cndmask_b32_e64 v63, v63, v66, s[4:5]
	v_lshlrev_b32_e32 v64, 24, v64
	v_lshlrev_b32_e32 v63, 20, v63
	v_and_b32_e32 v64, 0x80000000, v64
	v_lshl_add_u32 v44, v44, 23, v52
	v_or3_b32 v63, v64, v44, v63
.LBB208_63:                             ;   in Loop: Header=BB208_11 Depth=1
	s_or_b64 exec, exec, s[42:43]
.LBB208_64:                             ;   in Loop: Header=BB208_11 Depth=1
	s_or_b64 exec, exec, s[24:25]
.LBB208_65:                             ;   in Loop: Header=BB208_11 Depth=1
	s_or_b64 exec, exec, s[18:19]
	global_load_ubyte v64, v[42:43], off offset:520
	s_waitcnt vmcnt(0)
	v_cmp_ne_u16_e64 s[4:5], 0, v64
	s_and_saveexec_b64 s[18:19], s[4:5]
	s_cbranch_execz .LBB208_71
; %bb.66:                               ;   in Loop: Header=BB208_11 Depth=1
	v_cmp_ne_u16_e64 s[4:5], s49, v64
	v_bfrev_b32_e32 v62, 1
	s_and_saveexec_b64 s[24:25], s[4:5]
	s_cbranch_execz .LBB208_70
; %bb.67:                               ;   in Loop: Header=BB208_11 Depth=1
	v_and_b32_e32 v44, 0xffff, v64
	v_and_b32_e32 v65, 0x7f, v44
	v_cmp_ne_u32_e64 s[4:5], s50, v65
	v_mov_b32_e32 v62, 0x7f800001
	s_and_saveexec_b64 s[42:43], s[4:5]
	s_cbranch_execz .LBB208_69
; %bb.68:                               ;   in Loop: Header=BB208_11 Depth=1
	v_and_b32_e32 v62, 7, v44
	v_ffbh_u32_e32 v66, v62
	v_min_u32_e32 v69, 32, v66
	v_subrev_u32_e32 v66, 28, v69
	v_lshlrev_b64 v[66:67], v66, v[44:45]
	v_lshrrev_b32_e32 v68, 3, v65
	v_sub_u32_e32 v44, 29, v69
	v_and_b32_e32 v66, 7, v66
	v_cmp_gt_u32_e64 s[4:5], 8, v65
	v_cndmask_b32_e64 v44, v68, v44, s[4:5]
	v_cndmask_b32_e64 v62, v62, v66, s[4:5]
	v_lshlrev_b32_e32 v64, 24, v64
	v_lshlrev_b32_e32 v62, 20, v62
	v_and_b32_e32 v64, 0x80000000, v64
	v_lshl_add_u32 v44, v44, 23, v52
	v_or3_b32 v62, v64, v44, v62
.LBB208_69:                             ;   in Loop: Header=BB208_11 Depth=1
	s_or_b64 exec, exec, s[42:43]
.LBB208_70:                             ;   in Loop: Header=BB208_11 Depth=1
	s_or_b64 exec, exec, s[24:25]
.LBB208_71:                             ;   in Loop: Header=BB208_11 Depth=1
	s_or_b64 exec, exec, s[18:19]
	global_load_ubyte v66, v[42:43], off offset:640
	v_mov_b32_e32 v64, 0
	v_mov_b32_e32 v65, 0
	s_waitcnt vmcnt(0)
	v_cmp_ne_u16_e64 s[4:5], 0, v66
	s_and_saveexec_b64 s[18:19], s[4:5]
	s_cbranch_execz .LBB208_77
; %bb.72:                               ;   in Loop: Header=BB208_11 Depth=1
	v_cmp_ne_u16_e64 s[4:5], s49, v66
	v_bfrev_b32_e32 v65, 1
	s_and_saveexec_b64 s[24:25], s[4:5]
	s_cbranch_execz .LBB208_76
; %bb.73:                               ;   in Loop: Header=BB208_11 Depth=1
	v_and_b32_e32 v44, 0xffff, v66
	v_and_b32_e32 v67, 0x7f, v44
	v_cmp_ne_u32_e64 s[4:5], s50, v67
	v_mov_b32_e32 v65, 0x7f800001
	s_and_saveexec_b64 s[42:43], s[4:5]
	s_cbranch_execz .LBB208_75
; %bb.74:                               ;   in Loop: Header=BB208_11 Depth=1
	v_and_b32_e32 v65, 7, v44
	v_ffbh_u32_e32 v68, v65
	v_min_u32_e32 v71, 32, v68
	v_subrev_u32_e32 v68, 28, v71
	v_lshlrev_b64 v[68:69], v68, v[44:45]
	v_lshrrev_b32_e32 v70, 3, v67
	v_sub_u32_e32 v44, 29, v71
	v_and_b32_e32 v68, 7, v68
	v_cmp_gt_u32_e64 s[4:5], 8, v67
	v_cndmask_b32_e64 v44, v70, v44, s[4:5]
	v_cndmask_b32_e64 v65, v65, v68, s[4:5]
	v_lshlrev_b32_e32 v66, 24, v66
	v_lshlrev_b32_e32 v65, 20, v65
	v_and_b32_e32 v66, 0x80000000, v66
	v_lshl_add_u32 v44, v44, 23, v52
	v_or3_b32 v65, v66, v44, v65
.LBB208_75:                             ;   in Loop: Header=BB208_11 Depth=1
	s_or_b64 exec, exec, s[42:43]
.LBB208_76:                             ;   in Loop: Header=BB208_11 Depth=1
	s_or_b64 exec, exec, s[24:25]
.LBB208_77:                             ;   in Loop: Header=BB208_11 Depth=1
	s_or_b64 exec, exec, s[18:19]
	global_load_ubyte v66, v[42:43], off offset:648
	s_waitcnt vmcnt(0)
	v_cmp_ne_u16_e64 s[4:5], 0, v66
	s_and_saveexec_b64 s[18:19], s[4:5]
	s_cbranch_execz .LBB208_83
; %bb.78:                               ;   in Loop: Header=BB208_11 Depth=1
	v_cmp_ne_u16_e64 s[4:5], s49, v66
	v_bfrev_b32_e32 v64, 1
	s_and_saveexec_b64 s[24:25], s[4:5]
	s_cbranch_execz .LBB208_82
; %bb.79:                               ;   in Loop: Header=BB208_11 Depth=1
	v_and_b32_e32 v44, 0xffff, v66
	v_and_b32_e32 v67, 0x7f, v44
	v_cmp_ne_u32_e64 s[4:5], s50, v67
	v_mov_b32_e32 v64, 0x7f800001
	s_and_saveexec_b64 s[42:43], s[4:5]
	s_cbranch_execz .LBB208_81
; %bb.80:                               ;   in Loop: Header=BB208_11 Depth=1
	v_and_b32_e32 v64, 7, v44
	v_ffbh_u32_e32 v68, v64
	v_min_u32_e32 v71, 32, v68
	v_subrev_u32_e32 v68, 28, v71
	v_lshlrev_b64 v[68:69], v68, v[44:45]
	v_lshrrev_b32_e32 v70, 3, v67
	v_sub_u32_e32 v44, 29, v71
	v_and_b32_e32 v68, 7, v68
	v_cmp_gt_u32_e64 s[4:5], 8, v67
	v_cndmask_b32_e64 v44, v70, v44, s[4:5]
	v_cndmask_b32_e64 v64, v64, v68, s[4:5]
	v_lshlrev_b32_e32 v66, 24, v66
	v_lshlrev_b32_e32 v64, 20, v64
	v_and_b32_e32 v66, 0x80000000, v66
	v_lshl_add_u32 v44, v44, 23, v52
	v_or3_b32 v64, v66, v44, v64
.LBB208_81:                             ;   in Loop: Header=BB208_11 Depth=1
	s_or_b64 exec, exec, s[42:43]
.LBB208_82:                             ;   in Loop: Header=BB208_11 Depth=1
	s_or_b64 exec, exec, s[24:25]
.LBB208_83:                             ;   in Loop: Header=BB208_11 Depth=1
	s_or_b64 exec, exec, s[18:19]
	global_load_ubyte v68, v[42:43], off offset:768
	v_mov_b32_e32 v66, 0
	v_mov_b32_e32 v67, 0
	s_waitcnt vmcnt(0)
	v_cmp_ne_u16_e64 s[4:5], 0, v68
	s_and_saveexec_b64 s[18:19], s[4:5]
	s_cbranch_execz .LBB208_89
; %bb.84:                               ;   in Loop: Header=BB208_11 Depth=1
	v_cmp_ne_u16_e64 s[4:5], s49, v68
	v_bfrev_b32_e32 v67, 1
	s_and_saveexec_b64 s[24:25], s[4:5]
	s_cbranch_execz .LBB208_88
; %bb.85:                               ;   in Loop: Header=BB208_11 Depth=1
	v_and_b32_e32 v44, 0xffff, v68
	v_and_b32_e32 v69, 0x7f, v44
	v_cmp_ne_u32_e64 s[4:5], s50, v69
	v_mov_b32_e32 v67, 0x7f800001
	s_and_saveexec_b64 s[42:43], s[4:5]
	s_cbranch_execz .LBB208_87
; %bb.86:                               ;   in Loop: Header=BB208_11 Depth=1
	v_and_b32_e32 v67, 7, v44
	v_ffbh_u32_e32 v70, v67
	v_min_u32_e32 v73, 32, v70
	v_subrev_u32_e32 v70, 28, v73
	v_lshlrev_b64 v[70:71], v70, v[44:45]
	v_lshrrev_b32_e32 v72, 3, v69
	v_sub_u32_e32 v44, 29, v73
	v_and_b32_e32 v70, 7, v70
	v_cmp_gt_u32_e64 s[4:5], 8, v69
	v_cndmask_b32_e64 v44, v72, v44, s[4:5]
	v_cndmask_b32_e64 v67, v67, v70, s[4:5]
	v_lshlrev_b32_e32 v68, 24, v68
	v_lshlrev_b32_e32 v67, 20, v67
	v_and_b32_e32 v68, 0x80000000, v68
	v_lshl_add_u32 v44, v44, 23, v52
	v_or3_b32 v67, v68, v44, v67
.LBB208_87:                             ;   in Loop: Header=BB208_11 Depth=1
	s_or_b64 exec, exec, s[42:43]
.LBB208_88:                             ;   in Loop: Header=BB208_11 Depth=1
	s_or_b64 exec, exec, s[24:25]
.LBB208_89:                             ;   in Loop: Header=BB208_11 Depth=1
	s_or_b64 exec, exec, s[18:19]
	global_load_ubyte v68, v[42:43], off offset:776
	s_waitcnt vmcnt(0)
	v_cmp_ne_u16_e64 s[4:5], 0, v68
	s_and_saveexec_b64 s[18:19], s[4:5]
	s_cbranch_execz .LBB208_95
; %bb.90:                               ;   in Loop: Header=BB208_11 Depth=1
	v_cmp_ne_u16_e64 s[4:5], s49, v68
	v_bfrev_b32_e32 v66, 1
	s_and_saveexec_b64 s[24:25], s[4:5]
	s_cbranch_execz .LBB208_94
; %bb.91:                               ;   in Loop: Header=BB208_11 Depth=1
	v_and_b32_e32 v44, 0xffff, v68
	v_and_b32_e32 v69, 0x7f, v44
	v_cmp_ne_u32_e64 s[4:5], s50, v69
	v_mov_b32_e32 v66, 0x7f800001
	s_and_saveexec_b64 s[42:43], s[4:5]
	s_cbranch_execz .LBB208_93
; %bb.92:                               ;   in Loop: Header=BB208_11 Depth=1
	v_and_b32_e32 v66, 7, v44
	v_ffbh_u32_e32 v70, v66
	v_min_u32_e32 v73, 32, v70
	v_subrev_u32_e32 v70, 28, v73
	v_lshlrev_b64 v[70:71], v70, v[44:45]
	v_lshrrev_b32_e32 v72, 3, v69
	v_sub_u32_e32 v44, 29, v73
	v_and_b32_e32 v70, 7, v70
	v_cmp_gt_u32_e64 s[4:5], 8, v69
	v_cndmask_b32_e64 v44, v72, v44, s[4:5]
	v_cndmask_b32_e64 v66, v66, v70, s[4:5]
	v_lshlrev_b32_e32 v68, 24, v68
	v_lshlrev_b32_e32 v66, 20, v66
	v_and_b32_e32 v68, 0x80000000, v68
	v_lshl_add_u32 v44, v44, 23, v52
	v_or3_b32 v66, v68, v44, v66
.LBB208_93:                             ;   in Loop: Header=BB208_11 Depth=1
	s_or_b64 exec, exec, s[42:43]
.LBB208_94:                             ;   in Loop: Header=BB208_11 Depth=1
	s_or_b64 exec, exec, s[24:25]
.LBB208_95:                             ;   in Loop: Header=BB208_11 Depth=1
	s_or_b64 exec, exec, s[18:19]
	global_load_ubyte v70, v[42:43], off offset:896
	v_mov_b32_e32 v68, 0
	v_mov_b32_e32 v69, 0
	s_waitcnt vmcnt(0)
	v_cmp_ne_u16_e64 s[4:5], 0, v70
	s_and_saveexec_b64 s[18:19], s[4:5]
	s_cbranch_execz .LBB208_101
; %bb.96:                               ;   in Loop: Header=BB208_11 Depth=1
	v_cmp_ne_u16_e64 s[4:5], s49, v70
	v_bfrev_b32_e32 v69, 1
	s_and_saveexec_b64 s[24:25], s[4:5]
	s_cbranch_execz .LBB208_100
; %bb.97:                               ;   in Loop: Header=BB208_11 Depth=1
	v_and_b32_e32 v44, 0xffff, v70
	v_and_b32_e32 v71, 0x7f, v44
	v_cmp_ne_u32_e64 s[4:5], s50, v71
	v_mov_b32_e32 v69, 0x7f800001
	s_and_saveexec_b64 s[42:43], s[4:5]
	s_cbranch_execz .LBB208_99
; %bb.98:                               ;   in Loop: Header=BB208_11 Depth=1
	v_and_b32_e32 v69, 7, v44
	v_ffbh_u32_e32 v72, v69
	v_min_u32_e32 v75, 32, v72
	v_subrev_u32_e32 v72, 28, v75
	v_lshlrev_b64 v[72:73], v72, v[44:45]
	v_lshrrev_b32_e32 v74, 3, v71
	v_sub_u32_e32 v44, 29, v75
	v_and_b32_e32 v72, 7, v72
	v_cmp_gt_u32_e64 s[4:5], 8, v71
	v_cndmask_b32_e64 v44, v74, v44, s[4:5]
	v_cndmask_b32_e64 v69, v69, v72, s[4:5]
	v_lshlrev_b32_e32 v70, 24, v70
	v_lshlrev_b32_e32 v69, 20, v69
	v_and_b32_e32 v70, 0x80000000, v70
	v_lshl_add_u32 v44, v44, 23, v52
	v_or3_b32 v69, v70, v44, v69
.LBB208_99:                             ;   in Loop: Header=BB208_11 Depth=1
	s_or_b64 exec, exec, s[42:43]
.LBB208_100:                            ;   in Loop: Header=BB208_11 Depth=1
	s_or_b64 exec, exec, s[24:25]
.LBB208_101:                            ;   in Loop: Header=BB208_11 Depth=1
	s_or_b64 exec, exec, s[18:19]
	global_load_ubyte v70, v[42:43], off offset:904
	s_waitcnt vmcnt(0)
	v_cmp_ne_u16_e64 s[4:5], 0, v70
	s_and_saveexec_b64 s[18:19], s[4:5]
	s_cbranch_execz .LBB208_107
; %bb.102:                              ;   in Loop: Header=BB208_11 Depth=1
	v_cmp_ne_u16_e64 s[4:5], s49, v70
	v_bfrev_b32_e32 v68, 1
	s_and_saveexec_b64 s[24:25], s[4:5]
	s_cbranch_execz .LBB208_106
; %bb.103:                              ;   in Loop: Header=BB208_11 Depth=1
	v_and_b32_e32 v44, 0xffff, v70
	v_and_b32_e32 v71, 0x7f, v44
	v_cmp_ne_u32_e64 s[4:5], s50, v71
	v_mov_b32_e32 v68, 0x7f800001
	s_and_saveexec_b64 s[42:43], s[4:5]
	s_cbranch_execz .LBB208_105
; %bb.104:                              ;   in Loop: Header=BB208_11 Depth=1
	v_and_b32_e32 v68, 7, v44
	v_ffbh_u32_e32 v72, v68
	v_min_u32_e32 v75, 32, v72
	v_subrev_u32_e32 v72, 28, v75
	v_lshlrev_b64 v[72:73], v72, v[44:45]
	v_lshrrev_b32_e32 v74, 3, v71
	v_sub_u32_e32 v44, 29, v75
	v_and_b32_e32 v72, 7, v72
	v_cmp_gt_u32_e64 s[4:5], 8, v71
	v_cndmask_b32_e64 v44, v74, v44, s[4:5]
	v_cndmask_b32_e64 v68, v68, v72, s[4:5]
	v_lshlrev_b32_e32 v70, 24, v70
	v_lshlrev_b32_e32 v68, 20, v68
	v_and_b32_e32 v70, 0x80000000, v70
	v_lshl_add_u32 v44, v44, 23, v52
	v_or3_b32 v68, v70, v44, v68
.LBB208_105:                            ;   in Loop: Header=BB208_11 Depth=1
	s_or_b64 exec, exec, s[42:43]
.LBB208_106:                            ;   in Loop: Header=BB208_11 Depth=1
	s_or_b64 exec, exec, s[24:25]
.LBB208_107:                            ;   in Loop: Header=BB208_11 Depth=1
	s_or_b64 exec, exec, s[18:19]
	global_load_ubyte v72, v[42:43], off offset:1024
	v_mov_b32_e32 v70, 0
	v_mov_b32_e32 v71, 0
	s_waitcnt vmcnt(0)
	v_cmp_ne_u16_e64 s[4:5], 0, v72
	s_and_saveexec_b64 s[18:19], s[4:5]
	s_cbranch_execz .LBB208_113
; %bb.108:                              ;   in Loop: Header=BB208_11 Depth=1
	v_cmp_ne_u16_e64 s[4:5], s49, v72
	v_bfrev_b32_e32 v71, 1
	s_and_saveexec_b64 s[24:25], s[4:5]
	s_cbranch_execz .LBB208_112
; %bb.109:                              ;   in Loop: Header=BB208_11 Depth=1
	v_and_b32_e32 v44, 0xffff, v72
	v_and_b32_e32 v73, 0x7f, v44
	v_cmp_ne_u32_e64 s[4:5], s50, v73
	v_mov_b32_e32 v71, 0x7f800001
	s_and_saveexec_b64 s[42:43], s[4:5]
	s_cbranch_execz .LBB208_111
; %bb.110:                              ;   in Loop: Header=BB208_11 Depth=1
	v_and_b32_e32 v71, 7, v44
	v_ffbh_u32_e32 v74, v71
	v_min_u32_e32 v77, 32, v74
	v_subrev_u32_e32 v74, 28, v77
	v_lshlrev_b64 v[74:75], v74, v[44:45]
	v_lshrrev_b32_e32 v76, 3, v73
	v_sub_u32_e32 v44, 29, v77
	v_and_b32_e32 v74, 7, v74
	v_cmp_gt_u32_e64 s[4:5], 8, v73
	v_cndmask_b32_e64 v44, v76, v44, s[4:5]
	v_cndmask_b32_e64 v71, v71, v74, s[4:5]
	v_lshlrev_b32_e32 v72, 24, v72
	v_lshlrev_b32_e32 v71, 20, v71
	v_and_b32_e32 v72, 0x80000000, v72
	v_lshl_add_u32 v44, v44, 23, v52
	v_or3_b32 v71, v72, v44, v71
.LBB208_111:                            ;   in Loop: Header=BB208_11 Depth=1
	s_or_b64 exec, exec, s[42:43]
.LBB208_112:                            ;   in Loop: Header=BB208_11 Depth=1
	s_or_b64 exec, exec, s[24:25]
.LBB208_113:                            ;   in Loop: Header=BB208_11 Depth=1
	s_or_b64 exec, exec, s[18:19]
	global_load_ubyte v72, v[42:43], off offset:1032
	s_waitcnt vmcnt(0)
	v_cmp_ne_u16_e64 s[4:5], 0, v72
	s_and_saveexec_b64 s[18:19], s[4:5]
	s_cbranch_execz .LBB208_119
; %bb.114:                              ;   in Loop: Header=BB208_11 Depth=1
	v_cmp_ne_u16_e64 s[4:5], s49, v72
	v_bfrev_b32_e32 v70, 1
	s_and_saveexec_b64 s[24:25], s[4:5]
	s_cbranch_execz .LBB208_118
; %bb.115:                              ;   in Loop: Header=BB208_11 Depth=1
	v_and_b32_e32 v44, 0xffff, v72
	v_and_b32_e32 v73, 0x7f, v44
	v_cmp_ne_u32_e64 s[4:5], s50, v73
	v_mov_b32_e32 v70, 0x7f800001
	s_and_saveexec_b64 s[42:43], s[4:5]
	s_cbranch_execz .LBB208_117
; %bb.116:                              ;   in Loop: Header=BB208_11 Depth=1
	v_and_b32_e32 v70, 7, v44
	v_ffbh_u32_e32 v74, v70
	v_min_u32_e32 v77, 32, v74
	v_subrev_u32_e32 v74, 28, v77
	v_lshlrev_b64 v[74:75], v74, v[44:45]
	v_lshrrev_b32_e32 v76, 3, v73
	v_sub_u32_e32 v44, 29, v77
	v_and_b32_e32 v74, 7, v74
	v_cmp_gt_u32_e64 s[4:5], 8, v73
	v_cndmask_b32_e64 v44, v76, v44, s[4:5]
	v_cndmask_b32_e64 v70, v70, v74, s[4:5]
	v_lshlrev_b32_e32 v72, 24, v72
	v_lshlrev_b32_e32 v70, 20, v70
	v_and_b32_e32 v72, 0x80000000, v72
	v_lshl_add_u32 v44, v44, 23, v52
	v_or3_b32 v70, v72, v44, v70
.LBB208_117:                            ;   in Loop: Header=BB208_11 Depth=1
	s_or_b64 exec, exec, s[42:43]
.LBB208_118:                            ;   in Loop: Header=BB208_11 Depth=1
	s_or_b64 exec, exec, s[24:25]
.LBB208_119:                            ;   in Loop: Header=BB208_11 Depth=1
	s_or_b64 exec, exec, s[18:19]
	global_load_ubyte v74, v[42:43], off offset:1152
	v_mov_b32_e32 v72, 0
	v_mov_b32_e32 v73, 0
	s_waitcnt vmcnt(0)
	v_cmp_ne_u16_e64 s[4:5], 0, v74
	s_and_saveexec_b64 s[18:19], s[4:5]
	s_cbranch_execz .LBB208_125
; %bb.120:                              ;   in Loop: Header=BB208_11 Depth=1
	v_cmp_ne_u16_e64 s[4:5], s49, v74
	v_bfrev_b32_e32 v73, 1
	s_and_saveexec_b64 s[24:25], s[4:5]
	s_cbranch_execz .LBB208_124
; %bb.121:                              ;   in Loop: Header=BB208_11 Depth=1
	v_and_b32_e32 v44, 0xffff, v74
	v_and_b32_e32 v75, 0x7f, v44
	v_cmp_ne_u32_e64 s[4:5], s50, v75
	v_mov_b32_e32 v73, 0x7f800001
	s_and_saveexec_b64 s[42:43], s[4:5]
	s_cbranch_execz .LBB208_123
; %bb.122:                              ;   in Loop: Header=BB208_11 Depth=1
	v_and_b32_e32 v73, 7, v44
	v_ffbh_u32_e32 v76, v73
	v_min_u32_e32 v79, 32, v76
	v_subrev_u32_e32 v76, 28, v79
	v_lshlrev_b64 v[76:77], v76, v[44:45]
	v_lshrrev_b32_e32 v78, 3, v75
	v_sub_u32_e32 v44, 29, v79
	v_and_b32_e32 v76, 7, v76
	v_cmp_gt_u32_e64 s[4:5], 8, v75
	v_cndmask_b32_e64 v44, v78, v44, s[4:5]
	v_cndmask_b32_e64 v73, v73, v76, s[4:5]
	v_lshlrev_b32_e32 v74, 24, v74
	v_lshlrev_b32_e32 v73, 20, v73
	v_and_b32_e32 v74, 0x80000000, v74
	v_lshl_add_u32 v44, v44, 23, v52
	v_or3_b32 v73, v74, v44, v73
.LBB208_123:                            ;   in Loop: Header=BB208_11 Depth=1
	s_or_b64 exec, exec, s[42:43]
.LBB208_124:                            ;   in Loop: Header=BB208_11 Depth=1
	s_or_b64 exec, exec, s[24:25]
.LBB208_125:                            ;   in Loop: Header=BB208_11 Depth=1
	s_or_b64 exec, exec, s[18:19]
	global_load_ubyte v74, v[42:43], off offset:1160
	s_waitcnt vmcnt(0)
	v_cmp_ne_u16_e64 s[4:5], 0, v74
	s_and_saveexec_b64 s[18:19], s[4:5]
	s_cbranch_execz .LBB208_131
; %bb.126:                              ;   in Loop: Header=BB208_11 Depth=1
	v_cmp_ne_u16_e64 s[4:5], s49, v74
	v_bfrev_b32_e32 v72, 1
	s_and_saveexec_b64 s[24:25], s[4:5]
	s_cbranch_execz .LBB208_130
; %bb.127:                              ;   in Loop: Header=BB208_11 Depth=1
	v_and_b32_e32 v44, 0xffff, v74
	v_and_b32_e32 v75, 0x7f, v44
	v_cmp_ne_u32_e64 s[4:5], s50, v75
	v_mov_b32_e32 v72, 0x7f800001
	s_and_saveexec_b64 s[42:43], s[4:5]
	s_cbranch_execz .LBB208_129
; %bb.128:                              ;   in Loop: Header=BB208_11 Depth=1
	v_and_b32_e32 v72, 7, v44
	v_ffbh_u32_e32 v76, v72
	v_min_u32_e32 v79, 32, v76
	v_subrev_u32_e32 v76, 28, v79
	v_lshlrev_b64 v[76:77], v76, v[44:45]
	v_lshrrev_b32_e32 v78, 3, v75
	v_sub_u32_e32 v44, 29, v79
	v_and_b32_e32 v76, 7, v76
	v_cmp_gt_u32_e64 s[4:5], 8, v75
	v_cndmask_b32_e64 v44, v78, v44, s[4:5]
	v_cndmask_b32_e64 v72, v72, v76, s[4:5]
	v_lshlrev_b32_e32 v74, 24, v74
	v_lshlrev_b32_e32 v72, 20, v72
	v_and_b32_e32 v74, 0x80000000, v74
	v_lshl_add_u32 v44, v44, 23, v52
	v_or3_b32 v72, v74, v44, v72
.LBB208_129:                            ;   in Loop: Header=BB208_11 Depth=1
	s_or_b64 exec, exec, s[42:43]
.LBB208_130:                            ;   in Loop: Header=BB208_11 Depth=1
	s_or_b64 exec, exec, s[24:25]
.LBB208_131:                            ;   in Loop: Header=BB208_11 Depth=1
	s_or_b64 exec, exec, s[18:19]
	global_load_ubyte v76, v[42:43], off offset:1280
	v_mov_b32_e32 v74, 0
	v_mov_b32_e32 v75, 0
	s_waitcnt vmcnt(0)
	v_cmp_ne_u16_e64 s[4:5], 0, v76
	s_and_saveexec_b64 s[18:19], s[4:5]
	s_cbranch_execz .LBB208_137
; %bb.132:                              ;   in Loop: Header=BB208_11 Depth=1
	v_cmp_ne_u16_e64 s[4:5], s49, v76
	v_bfrev_b32_e32 v75, 1
	s_and_saveexec_b64 s[24:25], s[4:5]
	s_cbranch_execz .LBB208_136
; %bb.133:                              ;   in Loop: Header=BB208_11 Depth=1
	v_and_b32_e32 v44, 0xffff, v76
	v_and_b32_e32 v77, 0x7f, v44
	v_cmp_ne_u32_e64 s[4:5], s50, v77
	v_mov_b32_e32 v75, 0x7f800001
	s_and_saveexec_b64 s[42:43], s[4:5]
	s_cbranch_execz .LBB208_135
; %bb.134:                              ;   in Loop: Header=BB208_11 Depth=1
	v_and_b32_e32 v75, 7, v44
	v_ffbh_u32_e32 v78, v75
	v_min_u32_e32 v81, 32, v78
	v_subrev_u32_e32 v78, 28, v81
	v_lshlrev_b64 v[78:79], v78, v[44:45]
	v_lshrrev_b32_e32 v80, 3, v77
	v_sub_u32_e32 v44, 29, v81
	v_and_b32_e32 v78, 7, v78
	v_cmp_gt_u32_e64 s[4:5], 8, v77
	v_cndmask_b32_e64 v44, v80, v44, s[4:5]
	v_cndmask_b32_e64 v75, v75, v78, s[4:5]
	v_lshlrev_b32_e32 v76, 24, v76
	v_lshlrev_b32_e32 v75, 20, v75
	v_and_b32_e32 v76, 0x80000000, v76
	v_lshl_add_u32 v44, v44, 23, v52
	v_or3_b32 v75, v76, v44, v75
.LBB208_135:                            ;   in Loop: Header=BB208_11 Depth=1
	s_or_b64 exec, exec, s[42:43]
.LBB208_136:                            ;   in Loop: Header=BB208_11 Depth=1
	s_or_b64 exec, exec, s[24:25]
.LBB208_137:                            ;   in Loop: Header=BB208_11 Depth=1
	s_or_b64 exec, exec, s[18:19]
	global_load_ubyte v76, v[42:43], off offset:1288
	s_waitcnt vmcnt(0)
	v_cmp_ne_u16_e64 s[4:5], 0, v76
	s_and_saveexec_b64 s[18:19], s[4:5]
	s_cbranch_execz .LBB208_143
; %bb.138:                              ;   in Loop: Header=BB208_11 Depth=1
	v_cmp_ne_u16_e64 s[4:5], s49, v76
	v_bfrev_b32_e32 v74, 1
	s_and_saveexec_b64 s[24:25], s[4:5]
	s_cbranch_execz .LBB208_142
; %bb.139:                              ;   in Loop: Header=BB208_11 Depth=1
	v_and_b32_e32 v44, 0xffff, v76
	v_and_b32_e32 v77, 0x7f, v44
	v_cmp_ne_u32_e64 s[4:5], s50, v77
	v_mov_b32_e32 v74, 0x7f800001
	s_and_saveexec_b64 s[42:43], s[4:5]
	s_cbranch_execz .LBB208_141
; %bb.140:                              ;   in Loop: Header=BB208_11 Depth=1
	v_and_b32_e32 v74, 7, v44
	v_ffbh_u32_e32 v78, v74
	v_min_u32_e32 v81, 32, v78
	v_subrev_u32_e32 v78, 28, v81
	v_lshlrev_b64 v[78:79], v78, v[44:45]
	v_lshrrev_b32_e32 v80, 3, v77
	v_sub_u32_e32 v44, 29, v81
	v_and_b32_e32 v78, 7, v78
	v_cmp_gt_u32_e64 s[4:5], 8, v77
	v_cndmask_b32_e64 v44, v80, v44, s[4:5]
	v_cndmask_b32_e64 v74, v74, v78, s[4:5]
	v_lshlrev_b32_e32 v76, 24, v76
	v_lshlrev_b32_e32 v74, 20, v74
	v_and_b32_e32 v76, 0x80000000, v76
	v_lshl_add_u32 v44, v44, 23, v52
	v_or3_b32 v74, v76, v44, v74
.LBB208_141:                            ;   in Loop: Header=BB208_11 Depth=1
	s_or_b64 exec, exec, s[42:43]
.LBB208_142:                            ;   in Loop: Header=BB208_11 Depth=1
	s_or_b64 exec, exec, s[24:25]
.LBB208_143:                            ;   in Loop: Header=BB208_11 Depth=1
	s_or_b64 exec, exec, s[18:19]
	global_load_ubyte v78, v[42:43], off offset:1408
	v_mov_b32_e32 v76, 0
	v_mov_b32_e32 v77, 0
	s_waitcnt vmcnt(0)
	v_cmp_ne_u16_e64 s[4:5], 0, v78
	s_and_saveexec_b64 s[18:19], s[4:5]
	s_cbranch_execz .LBB208_149
; %bb.144:                              ;   in Loop: Header=BB208_11 Depth=1
	v_cmp_ne_u16_e64 s[4:5], s49, v78
	v_bfrev_b32_e32 v77, 1
	s_and_saveexec_b64 s[24:25], s[4:5]
	s_cbranch_execz .LBB208_148
; %bb.145:                              ;   in Loop: Header=BB208_11 Depth=1
	v_and_b32_e32 v44, 0xffff, v78
	v_and_b32_e32 v79, 0x7f, v44
	v_cmp_ne_u32_e64 s[4:5], s50, v79
	v_mov_b32_e32 v77, 0x7f800001
	s_and_saveexec_b64 s[42:43], s[4:5]
	s_cbranch_execz .LBB208_147
; %bb.146:                              ;   in Loop: Header=BB208_11 Depth=1
	v_and_b32_e32 v77, 7, v44
	v_ffbh_u32_e32 v80, v77
	v_min_u32_e32 v83, 32, v80
	v_subrev_u32_e32 v80, 28, v83
	v_lshlrev_b64 v[80:81], v80, v[44:45]
	v_lshrrev_b32_e32 v82, 3, v79
	v_sub_u32_e32 v44, 29, v83
	v_and_b32_e32 v80, 7, v80
	v_cmp_gt_u32_e64 s[4:5], 8, v79
	v_cndmask_b32_e64 v44, v82, v44, s[4:5]
	v_cndmask_b32_e64 v77, v77, v80, s[4:5]
	v_lshlrev_b32_e32 v78, 24, v78
	v_lshlrev_b32_e32 v77, 20, v77
	v_and_b32_e32 v78, 0x80000000, v78
	v_lshl_add_u32 v44, v44, 23, v52
	v_or3_b32 v77, v78, v44, v77
.LBB208_147:                            ;   in Loop: Header=BB208_11 Depth=1
	s_or_b64 exec, exec, s[42:43]
.LBB208_148:                            ;   in Loop: Header=BB208_11 Depth=1
	s_or_b64 exec, exec, s[24:25]
.LBB208_149:                            ;   in Loop: Header=BB208_11 Depth=1
	s_or_b64 exec, exec, s[18:19]
	global_load_ubyte v78, v[42:43], off offset:1416
	s_waitcnt vmcnt(0)
	v_cmp_ne_u16_e64 s[4:5], 0, v78
	s_and_saveexec_b64 s[18:19], s[4:5]
	s_cbranch_execz .LBB208_155
; %bb.150:                              ;   in Loop: Header=BB208_11 Depth=1
	v_cmp_ne_u16_e64 s[4:5], s49, v78
	v_bfrev_b32_e32 v76, 1
	s_and_saveexec_b64 s[24:25], s[4:5]
	s_cbranch_execz .LBB208_154
; %bb.151:                              ;   in Loop: Header=BB208_11 Depth=1
	v_and_b32_e32 v44, 0xffff, v78
	v_and_b32_e32 v79, 0x7f, v44
	v_cmp_ne_u32_e64 s[4:5], s50, v79
	v_mov_b32_e32 v76, 0x7f800001
	s_and_saveexec_b64 s[42:43], s[4:5]
	s_cbranch_execz .LBB208_153
; %bb.152:                              ;   in Loop: Header=BB208_11 Depth=1
	v_and_b32_e32 v76, 7, v44
	v_ffbh_u32_e32 v80, v76
	v_min_u32_e32 v83, 32, v80
	v_subrev_u32_e32 v80, 28, v83
	v_lshlrev_b64 v[80:81], v80, v[44:45]
	v_lshrrev_b32_e32 v82, 3, v79
	v_sub_u32_e32 v44, 29, v83
	v_and_b32_e32 v80, 7, v80
	v_cmp_gt_u32_e64 s[4:5], 8, v79
	v_cndmask_b32_e64 v44, v82, v44, s[4:5]
	v_cndmask_b32_e64 v76, v76, v80, s[4:5]
	v_lshlrev_b32_e32 v78, 24, v78
	v_lshlrev_b32_e32 v76, 20, v76
	v_and_b32_e32 v78, 0x80000000, v78
	v_lshl_add_u32 v44, v44, 23, v52
	v_or3_b32 v76, v78, v44, v76
.LBB208_153:                            ;   in Loop: Header=BB208_11 Depth=1
	s_or_b64 exec, exec, s[42:43]
.LBB208_154:                            ;   in Loop: Header=BB208_11 Depth=1
	s_or_b64 exec, exec, s[24:25]
.LBB208_155:                            ;   in Loop: Header=BB208_11 Depth=1
	s_or_b64 exec, exec, s[18:19]
	global_load_ubyte v80, v[42:43], off offset:1536
	v_mov_b32_e32 v78, 0
	v_mov_b32_e32 v79, 0
	s_waitcnt vmcnt(0)
	v_cmp_ne_u16_e64 s[4:5], 0, v80
	s_and_saveexec_b64 s[18:19], s[4:5]
	s_cbranch_execz .LBB208_161
; %bb.156:                              ;   in Loop: Header=BB208_11 Depth=1
	v_cmp_ne_u16_e64 s[4:5], s49, v80
	v_bfrev_b32_e32 v79, 1
	s_and_saveexec_b64 s[24:25], s[4:5]
	s_cbranch_execz .LBB208_160
; %bb.157:                              ;   in Loop: Header=BB208_11 Depth=1
	v_and_b32_e32 v44, 0xffff, v80
	v_and_b32_e32 v81, 0x7f, v44
	v_cmp_ne_u32_e64 s[4:5], s50, v81
	v_mov_b32_e32 v79, 0x7f800001
	s_and_saveexec_b64 s[42:43], s[4:5]
	s_cbranch_execz .LBB208_159
; %bb.158:                              ;   in Loop: Header=BB208_11 Depth=1
	v_and_b32_e32 v79, 7, v44
	v_ffbh_u32_e32 v82, v79
	v_min_u32_e32 v85, 32, v82
	v_subrev_u32_e32 v82, 28, v85
	v_lshlrev_b64 v[82:83], v82, v[44:45]
	v_lshrrev_b32_e32 v84, 3, v81
	v_sub_u32_e32 v44, 29, v85
	v_and_b32_e32 v82, 7, v82
	v_cmp_gt_u32_e64 s[4:5], 8, v81
	v_cndmask_b32_e64 v44, v84, v44, s[4:5]
	v_cndmask_b32_e64 v79, v79, v82, s[4:5]
	v_lshlrev_b32_e32 v80, 24, v80
	v_lshlrev_b32_e32 v79, 20, v79
	v_and_b32_e32 v80, 0x80000000, v80
	v_lshl_add_u32 v44, v44, 23, v52
	v_or3_b32 v79, v80, v44, v79
.LBB208_159:                            ;   in Loop: Header=BB208_11 Depth=1
	s_or_b64 exec, exec, s[42:43]
.LBB208_160:                            ;   in Loop: Header=BB208_11 Depth=1
	s_or_b64 exec, exec, s[24:25]
.LBB208_161:                            ;   in Loop: Header=BB208_11 Depth=1
	s_or_b64 exec, exec, s[18:19]
	global_load_ubyte v80, v[42:43], off offset:1544
	s_waitcnt vmcnt(0)
	v_cmp_ne_u16_e64 s[4:5], 0, v80
	s_and_saveexec_b64 s[18:19], s[4:5]
	s_cbranch_execz .LBB208_167
; %bb.162:                              ;   in Loop: Header=BB208_11 Depth=1
	v_cmp_ne_u16_e64 s[4:5], s49, v80
	v_bfrev_b32_e32 v78, 1
	s_and_saveexec_b64 s[24:25], s[4:5]
	s_cbranch_execz .LBB208_166
; %bb.163:                              ;   in Loop: Header=BB208_11 Depth=1
	v_and_b32_e32 v44, 0xffff, v80
	v_and_b32_e32 v81, 0x7f, v44
	v_cmp_ne_u32_e64 s[4:5], s50, v81
	v_mov_b32_e32 v78, 0x7f800001
	s_and_saveexec_b64 s[42:43], s[4:5]
	s_cbranch_execz .LBB208_165
; %bb.164:                              ;   in Loop: Header=BB208_11 Depth=1
	v_and_b32_e32 v78, 7, v44
	v_ffbh_u32_e32 v82, v78
	v_min_u32_e32 v85, 32, v82
	v_subrev_u32_e32 v82, 28, v85
	v_lshlrev_b64 v[82:83], v82, v[44:45]
	v_lshrrev_b32_e32 v84, 3, v81
	v_sub_u32_e32 v44, 29, v85
	v_and_b32_e32 v82, 7, v82
	v_cmp_gt_u32_e64 s[4:5], 8, v81
	v_cndmask_b32_e64 v44, v84, v44, s[4:5]
	v_cndmask_b32_e64 v78, v78, v82, s[4:5]
	v_lshlrev_b32_e32 v80, 24, v80
	v_lshlrev_b32_e32 v78, 20, v78
	v_and_b32_e32 v80, 0x80000000, v80
	v_lshl_add_u32 v44, v44, 23, v52
	v_or3_b32 v78, v80, v44, v78
.LBB208_165:                            ;   in Loop: Header=BB208_11 Depth=1
	s_or_b64 exec, exec, s[42:43]
.LBB208_166:                            ;   in Loop: Header=BB208_11 Depth=1
	s_or_b64 exec, exec, s[24:25]
.LBB208_167:                            ;   in Loop: Header=BB208_11 Depth=1
	s_or_b64 exec, exec, s[18:19]
	global_load_ubyte v82, v[42:43], off offset:1664
	v_mov_b32_e32 v80, 0
	v_mov_b32_e32 v81, 0
	s_waitcnt vmcnt(0)
	v_cmp_ne_u16_e64 s[4:5], 0, v82
	s_and_saveexec_b64 s[18:19], s[4:5]
	s_cbranch_execz .LBB208_173
; %bb.168:                              ;   in Loop: Header=BB208_11 Depth=1
	v_cmp_ne_u16_e64 s[4:5], s49, v82
	v_bfrev_b32_e32 v81, 1
	s_and_saveexec_b64 s[24:25], s[4:5]
	s_cbranch_execz .LBB208_172
; %bb.169:                              ;   in Loop: Header=BB208_11 Depth=1
	v_and_b32_e32 v44, 0xffff, v82
	v_and_b32_e32 v83, 0x7f, v44
	v_cmp_ne_u32_e64 s[4:5], s50, v83
	v_mov_b32_e32 v81, 0x7f800001
	s_and_saveexec_b64 s[42:43], s[4:5]
	s_cbranch_execz .LBB208_171
; %bb.170:                              ;   in Loop: Header=BB208_11 Depth=1
	v_and_b32_e32 v81, 7, v44
	v_ffbh_u32_e32 v84, v81
	v_min_u32_e32 v87, 32, v84
	v_subrev_u32_e32 v84, 28, v87
	v_lshlrev_b64 v[84:85], v84, v[44:45]
	v_lshrrev_b32_e32 v86, 3, v83
	v_sub_u32_e32 v44, 29, v87
	v_and_b32_e32 v84, 7, v84
	v_cmp_gt_u32_e64 s[4:5], 8, v83
	v_cndmask_b32_e64 v44, v86, v44, s[4:5]
	v_cndmask_b32_e64 v81, v81, v84, s[4:5]
	v_lshlrev_b32_e32 v82, 24, v82
	v_lshlrev_b32_e32 v81, 20, v81
	v_and_b32_e32 v82, 0x80000000, v82
	v_lshl_add_u32 v44, v44, 23, v52
	v_or3_b32 v81, v82, v44, v81
.LBB208_171:                            ;   in Loop: Header=BB208_11 Depth=1
	s_or_b64 exec, exec, s[42:43]
.LBB208_172:                            ;   in Loop: Header=BB208_11 Depth=1
	s_or_b64 exec, exec, s[24:25]
.LBB208_173:                            ;   in Loop: Header=BB208_11 Depth=1
	s_or_b64 exec, exec, s[18:19]
	global_load_ubyte v82, v[42:43], off offset:1672
	s_waitcnt vmcnt(0)
	v_cmp_ne_u16_e64 s[4:5], 0, v82
	s_and_saveexec_b64 s[18:19], s[4:5]
	s_cbranch_execz .LBB208_179
; %bb.174:                              ;   in Loop: Header=BB208_11 Depth=1
	v_cmp_ne_u16_e64 s[4:5], s49, v82
	v_bfrev_b32_e32 v80, 1
	s_and_saveexec_b64 s[24:25], s[4:5]
	s_cbranch_execz .LBB208_178
; %bb.175:                              ;   in Loop: Header=BB208_11 Depth=1
	v_and_b32_e32 v44, 0xffff, v82
	v_and_b32_e32 v83, 0x7f, v44
	v_cmp_ne_u32_e64 s[4:5], s50, v83
	v_mov_b32_e32 v80, 0x7f800001
	s_and_saveexec_b64 s[42:43], s[4:5]
	s_cbranch_execz .LBB208_177
; %bb.176:                              ;   in Loop: Header=BB208_11 Depth=1
	v_and_b32_e32 v80, 7, v44
	v_ffbh_u32_e32 v84, v80
	v_min_u32_e32 v87, 32, v84
	v_subrev_u32_e32 v84, 28, v87
	v_lshlrev_b64 v[84:85], v84, v[44:45]
	v_lshrrev_b32_e32 v86, 3, v83
	v_sub_u32_e32 v44, 29, v87
	v_and_b32_e32 v84, 7, v84
	v_cmp_gt_u32_e64 s[4:5], 8, v83
	v_cndmask_b32_e64 v44, v86, v44, s[4:5]
	v_cndmask_b32_e64 v80, v80, v84, s[4:5]
	v_lshlrev_b32_e32 v82, 24, v82
	v_lshlrev_b32_e32 v80, 20, v80
	v_and_b32_e32 v82, 0x80000000, v82
	v_lshl_add_u32 v44, v44, 23, v52
	v_or3_b32 v80, v82, v44, v80
.LBB208_177:                            ;   in Loop: Header=BB208_11 Depth=1
	s_or_b64 exec, exec, s[42:43]
.LBB208_178:                            ;   in Loop: Header=BB208_11 Depth=1
	s_or_b64 exec, exec, s[24:25]
.LBB208_179:                            ;   in Loop: Header=BB208_11 Depth=1
	s_or_b64 exec, exec, s[18:19]
	global_load_ubyte v84, v[42:43], off offset:1792
	v_mov_b32_e32 v82, 0
	v_mov_b32_e32 v83, 0
	s_waitcnt vmcnt(0)
	v_cmp_ne_u16_e64 s[4:5], 0, v84
	s_and_saveexec_b64 s[18:19], s[4:5]
	s_cbranch_execz .LBB208_185
; %bb.180:                              ;   in Loop: Header=BB208_11 Depth=1
	v_cmp_ne_u16_e64 s[4:5], s49, v84
	v_bfrev_b32_e32 v83, 1
	s_and_saveexec_b64 s[24:25], s[4:5]
	s_cbranch_execz .LBB208_184
; %bb.181:                              ;   in Loop: Header=BB208_11 Depth=1
	v_and_b32_e32 v44, 0xffff, v84
	v_and_b32_e32 v85, 0x7f, v44
	v_cmp_ne_u32_e64 s[4:5], s50, v85
	v_mov_b32_e32 v83, 0x7f800001
	s_and_saveexec_b64 s[42:43], s[4:5]
	s_cbranch_execz .LBB208_183
; %bb.182:                              ;   in Loop: Header=BB208_11 Depth=1
	v_and_b32_e32 v83, 7, v44
	v_ffbh_u32_e32 v86, v83
	v_min_u32_e32 v89, 32, v86
	v_subrev_u32_e32 v86, 28, v89
	v_lshlrev_b64 v[86:87], v86, v[44:45]
	v_lshrrev_b32_e32 v88, 3, v85
	v_sub_u32_e32 v44, 29, v89
	v_and_b32_e32 v86, 7, v86
	v_cmp_gt_u32_e64 s[4:5], 8, v85
	v_cndmask_b32_e64 v44, v88, v44, s[4:5]
	v_cndmask_b32_e64 v83, v83, v86, s[4:5]
	v_lshlrev_b32_e32 v84, 24, v84
	v_lshlrev_b32_e32 v83, 20, v83
	v_and_b32_e32 v84, 0x80000000, v84
	v_lshl_add_u32 v44, v44, 23, v52
	v_or3_b32 v83, v84, v44, v83
.LBB208_183:                            ;   in Loop: Header=BB208_11 Depth=1
	s_or_b64 exec, exec, s[42:43]
.LBB208_184:                            ;   in Loop: Header=BB208_11 Depth=1
	s_or_b64 exec, exec, s[24:25]
.LBB208_185:                            ;   in Loop: Header=BB208_11 Depth=1
	s_or_b64 exec, exec, s[18:19]
	global_load_ubyte v84, v[42:43], off offset:1800
	s_waitcnt vmcnt(0)
	v_cmp_ne_u16_e64 s[4:5], 0, v84
	s_and_saveexec_b64 s[18:19], s[4:5]
	s_cbranch_execz .LBB208_191
; %bb.186:                              ;   in Loop: Header=BB208_11 Depth=1
	v_cmp_ne_u16_e64 s[4:5], s49, v84
	v_bfrev_b32_e32 v82, 1
	s_and_saveexec_b64 s[24:25], s[4:5]
	s_cbranch_execz .LBB208_190
; %bb.187:                              ;   in Loop: Header=BB208_11 Depth=1
	v_and_b32_e32 v44, 0xffff, v84
	v_and_b32_e32 v85, 0x7f, v44
	v_cmp_ne_u32_e64 s[4:5], s50, v85
	v_mov_b32_e32 v82, 0x7f800001
	s_and_saveexec_b64 s[42:43], s[4:5]
	s_cbranch_execz .LBB208_189
; %bb.188:                              ;   in Loop: Header=BB208_11 Depth=1
	v_and_b32_e32 v82, 7, v44
	v_ffbh_u32_e32 v86, v82
	v_min_u32_e32 v89, 32, v86
	v_subrev_u32_e32 v86, 28, v89
	v_lshlrev_b64 v[86:87], v86, v[44:45]
	v_lshrrev_b32_e32 v88, 3, v85
	v_sub_u32_e32 v44, 29, v89
	v_and_b32_e32 v86, 7, v86
	v_cmp_gt_u32_e64 s[4:5], 8, v85
	v_cndmask_b32_e64 v44, v88, v44, s[4:5]
	v_cndmask_b32_e64 v82, v82, v86, s[4:5]
	v_lshlrev_b32_e32 v84, 24, v84
	v_lshlrev_b32_e32 v82, 20, v82
	v_and_b32_e32 v84, 0x80000000, v84
	v_lshl_add_u32 v44, v44, 23, v52
	v_or3_b32 v82, v84, v44, v82
.LBB208_189:                            ;   in Loop: Header=BB208_11 Depth=1
	s_or_b64 exec, exec, s[42:43]
.LBB208_190:                            ;   in Loop: Header=BB208_11 Depth=1
	s_or_b64 exec, exec, s[24:25]
.LBB208_191:                            ;   in Loop: Header=BB208_11 Depth=1
	s_or_b64 exec, exec, s[18:19]
	global_load_ubyte v86, v[42:43], off offset:1920
	v_mov_b32_e32 v84, 0
	v_mov_b32_e32 v85, 0
	s_waitcnt vmcnt(0)
	v_cmp_ne_u16_e64 s[4:5], 0, v86
	s_and_saveexec_b64 s[18:19], s[4:5]
	s_cbranch_execz .LBB208_197
; %bb.192:                              ;   in Loop: Header=BB208_11 Depth=1
	v_cmp_ne_u16_e64 s[4:5], s49, v86
	v_bfrev_b32_e32 v85, 1
	s_and_saveexec_b64 s[24:25], s[4:5]
	s_cbranch_execz .LBB208_196
; %bb.193:                              ;   in Loop: Header=BB208_11 Depth=1
	v_and_b32_e32 v44, 0xffff, v86
	v_and_b32_e32 v87, 0x7f, v44
	v_cmp_ne_u32_e64 s[4:5], s50, v87
	v_mov_b32_e32 v85, 0x7f800001
	s_and_saveexec_b64 s[42:43], s[4:5]
	s_cbranch_execz .LBB208_195
; %bb.194:                              ;   in Loop: Header=BB208_11 Depth=1
	v_and_b32_e32 v85, 7, v44
	v_ffbh_u32_e32 v88, v85
	v_min_u32_e32 v91, 32, v88
	v_subrev_u32_e32 v88, 28, v91
	v_lshlrev_b64 v[88:89], v88, v[44:45]
	v_lshrrev_b32_e32 v90, 3, v87
	v_sub_u32_e32 v44, 29, v91
	v_and_b32_e32 v88, 7, v88
	v_cmp_gt_u32_e64 s[4:5], 8, v87
	v_cndmask_b32_e64 v44, v90, v44, s[4:5]
	v_cndmask_b32_e64 v85, v85, v88, s[4:5]
	v_lshlrev_b32_e32 v86, 24, v86
	v_lshlrev_b32_e32 v85, 20, v85
	v_and_b32_e32 v86, 0x80000000, v86
	v_lshl_add_u32 v44, v44, 23, v52
	v_or3_b32 v85, v86, v44, v85
.LBB208_195:                            ;   in Loop: Header=BB208_11 Depth=1
	s_or_b64 exec, exec, s[42:43]
.LBB208_196:                            ;   in Loop: Header=BB208_11 Depth=1
	s_or_b64 exec, exec, s[24:25]
.LBB208_197:                            ;   in Loop: Header=BB208_11 Depth=1
	s_or_b64 exec, exec, s[18:19]
	global_load_ubyte v43, v[42:43], off offset:1928
	s_waitcnt vmcnt(0)
	v_cmp_ne_u16_e64 s[4:5], 0, v43
	s_and_saveexec_b64 s[18:19], s[4:5]
	s_cbranch_execz .LBB208_203
; %bb.198:                              ;   in Loop: Header=BB208_11 Depth=1
	v_cmp_ne_u16_e64 s[4:5], s49, v43
	v_bfrev_b32_e32 v84, 1
	s_and_saveexec_b64 s[24:25], s[4:5]
	s_cbranch_execz .LBB208_202
; %bb.199:                              ;   in Loop: Header=BB208_11 Depth=1
	v_and_b32_e32 v42, 0xffff, v43
	v_and_b32_e32 v44, 0x7f, v42
	v_cmp_ne_u32_e64 s[4:5], s50, v44
	v_mov_b32_e32 v84, 0x7f800001
	s_and_saveexec_b64 s[42:43], s[4:5]
	s_cbranch_execz .LBB208_201
; %bb.200:                              ;   in Loop: Header=BB208_11 Depth=1
	v_and_b32_e32 v84, 7, v42
	v_ffbh_u32_e32 v86, v84
	v_min_u32_e32 v89, 32, v86
	v_subrev_u32_e32 v86, 28, v89
	v_lshlrev_b64 v[86:87], v86, v[42:43]
	v_lshrrev_b32_e32 v88, 3, v44
	v_sub_u32_e32 v42, 29, v89
	v_and_b32_e32 v86, 7, v86
	v_cmp_gt_u32_e64 s[4:5], 8, v44
	v_cndmask_b32_e64 v42, v88, v42, s[4:5]
	v_cndmask_b32_e64 v44, v84, v86, s[4:5]
	v_lshlrev_b32_e32 v43, 24, v43
	v_lshlrev_b32_e32 v44, 20, v44
	v_and_b32_e32 v43, 0x80000000, v43
	v_lshl_add_u32 v42, v42, 23, v52
	v_or3_b32 v84, v43, v42, v44
.LBB208_201:                            ;   in Loop: Header=BB208_11 Depth=1
	s_or_b64 exec, exec, s[42:43]
.LBB208_202:                            ;   in Loop: Header=BB208_11 Depth=1
	s_or_b64 exec, exec, s[24:25]
.LBB208_203:                            ;   in Loop: Header=BB208_11 Depth=1
	s_or_b64 exec, exec, s[18:19]
	s_waitcnt lgkmcnt(0)
	v_mul_f32_e32 v55, s47, v55
	v_mul_f32_e32 v54, s47, v54
	;; [unrolled: 1-line block ×4, first 2 shown]
	v_fmac_f32_e32 v55, v2, v54
	v_mul_f32_e32 v56, s47, v56
	v_fmac_f32_e32 v55, v4, v57
	v_mul_f32_e32 v59, s47, v59
	;; [unrolled: 2-line block ×29, first 2 shown]
	v_fmac_f32_e32 v55, v32, v42
	v_fmac_f32_e32 v55, v33, v82
	ds_bpermute_b32 v42, v1, v55
	s_waitcnt lgkmcnt(0)
	v_add_f32_e32 v42, v55, v42
	ds_bpermute_b32 v43, v48, v42
	s_waitcnt lgkmcnt(0)
	v_add_f32_e32 v42, v42, v43
	ds_bpermute_b32 v43, v49, v42
	s_and_saveexec_b64 s[18:19], vcc
	s_cbranch_execz .LBB208_10
; %bb.204:                              ;   in Loop: Header=BB208_11 Depth=1
	v_add_u32_e32 v44, s48, v50
	v_cvt_f32_i32_e32 v44, v44
	s_waitcnt lgkmcnt(0)
	v_add_f32_e32 v42, v42, v43
	v_cmp_gt_i32_e64 s[4:5], s37, v50
	v_max_f32_e32 v43, v47, v47
	v_mul_f32_e32 v44, s10, v44
	v_cndmask_b32_e64 v44, 0, v44, s[2:3]
	v_fmac_f32_e32 v44, s11, v42
	v_cndmask_b32_e64 v42, 0, v44, s[4:5]
	ds_write_b32 v51, v42
	v_max_f32_e32 v42, v43, v44
	v_cndmask_b32_e64 v47, v47, v42, s[4:5]
	s_branch .LBB208_10
.LBB208_205:
	s_or_b64 exec, exec, s[12:13]
.LBB208_206:
	s_or_b64 exec, exec, s[40:41]
	v_xor_b32_e32 v1, 32, v45
	v_cmp_lt_i32_e32 vcc, v1, v46
	v_cndmask_b32_e32 v1, v45, v1, vcc
	v_lshlrev_b32_e32 v3, 2, v1
	ds_bpermute_b32 v1, v3, v47
	v_xor_b32_e32 v4, 16, v45
	v_max_f32_e32 v2, v47, v47
	v_cmp_lt_i32_e32 vcc, v4, v46
	v_xor_b32_e32 v5, 8, v45
	s_waitcnt lgkmcnt(0)
	v_max_f32_e32 v1, v1, v1
	v_max_f32_e32 v1, v2, v1
	v_cndmask_b32_e32 v2, v45, v4, vcc
	v_lshlrev_b32_e32 v6, 2, v2
	ds_bpermute_b32 v2, v6, v1
	v_cmp_lt_i32_e32 vcc, v5, v46
	s_waitcnt lgkmcnt(0)
	v_max_f32_e32 v2, v2, v2
	v_max_f32_e32 v4, v1, v2
	v_cndmask_b32_e32 v1, v45, v5, vcc
	v_lshlrev_b32_e32 v7, 2, v1
	ds_bpermute_b32 v5, v7, v4
	v_and_b32_e32 v1, 63, v0
	v_cmp_eq_u32_e32 vcc, 0, v1
	v_lshlrev_b32_e32 v2, 2, v37
	s_and_saveexec_b64 s[2:3], vcc
	s_cbranch_execz .LBB208_208
; %bb.207:
	s_waitcnt lgkmcnt(0)
	v_max_f32_e32 v5, v5, v5
	v_max_f32_e32 v4, v4, v4
	;; [unrolled: 1-line block ×3, first 2 shown]
	ds_write_b32 v2, v4 offset:1024
.LBB208_208:
	s_or_b64 exec, exec, s[2:3]
	v_cmp_gt_u32_e64 s[2:3], 2, v1
	v_mov_b32_e32 v4, 0xff7fffff
	s_waitcnt lgkmcnt(0)
	v_lshlrev_b32_e32 v5, 2, v1
	s_barrier
	s_and_saveexec_b64 s[4:5], s[2:3]
	s_cbranch_execz .LBB208_210
; %bb.209:
	ds_read_b32 v4, v5 offset:1024
.LBB208_210:
	s_or_b64 exec, exec, s[4:5]
	v_xor_b32_e32 v8, 1, v45
	v_cmp_lt_i32_e64 s[4:5], v8, v46
	v_cndmask_b32_e64 v8, v45, v8, s[4:5]
	v_lshlrev_b32_e32 v60, 2, v8
	s_waitcnt lgkmcnt(0)
	ds_bpermute_b32 v8, v60, v4
	v_max_f32_e32 v4, v4, v4
	s_sub_i32 s4, s31, s45
	s_lshl_b32 s4, s4, 3
	s_add_i32 s4, s4, s44
	s_waitcnt lgkmcnt(0)
	v_max_f32_e32 v8, v8, v8
	v_max_f32_e32 v4, v4, v8
	v_lshlrev_b32_e32 v8, 2, v45
	v_and_b32_e32 v8, 0xffffff00, v8
	ds_bpermute_b32 v4, v8, v4
	s_min_i32 s25, s4, s37
	s_sub_i32 s24, s25, s44
	v_cmp_gt_i32_e64 s[4:5], s24, v0
	v_mov_b32_e32 v9, 0
	s_and_saveexec_b64 s[12:13], s[4:5]
	s_cbranch_execz .LBB208_214
; %bb.211:
	v_mov_b32_e32 v9, 0x410
	v_lshl_add_u32 v10, v0, 2, v9
	s_mov_b64 s[18:19], 0
	v_mov_b32_e32 v9, 0
	v_mov_b32_e32 v11, v0
.LBB208_212:                            ; =>This Inner Loop Header: Depth=1
	ds_read_b32 v12, v10
	v_add_u32_e32 v11, 0x80, v11
	v_cmp_le_i32_e64 s[10:11], s24, v11
	s_or_b64 s[18:19], s[10:11], s[18:19]
	s_waitcnt lgkmcnt(0)
	v_sub_f32_e32 v12, v12, v4
	v_mul_f32_e32 v12, 0x3fb8aa3b, v12
	v_exp_f32_e32 v12, v12
	ds_write_b32 v10, v12
	v_add_f32_e32 v9, v9, v12
	v_add_u32_e32 v10, 0x200, v10
	s_andn2_b64 exec, exec, s[18:19]
	s_cbranch_execnz .LBB208_212
; %bb.213:
	s_or_b64 exec, exec, s[18:19]
.LBB208_214:
	s_or_b64 exec, exec, s[12:13]
	ds_bpermute_b32 v3, v3, v9
	s_waitcnt lgkmcnt(0)
	v_add_f32_e32 v3, v9, v3
	ds_bpermute_b32 v6, v6, v3
	s_waitcnt lgkmcnt(0)
	v_add_f32_e32 v3, v3, v6
	ds_bpermute_b32 v6, v7, v3
	v_xor_b32_e32 v7, 4, v45
	v_cmp_lt_i32_e64 s[10:11], v7, v46
	v_cndmask_b32_e64 v7, v45, v7, s[10:11]
	v_lshlrev_b32_e32 v7, 2, v7
	s_waitcnt lgkmcnt(0)
	v_add_f32_e32 v3, v3, v6
	ds_bpermute_b32 v6, v7, v3
	v_xor_b32_e32 v7, 2, v45
	v_cmp_lt_i32_e64 s[10:11], v7, v46
	v_cndmask_b32_e64 v7, v45, v7, s[10:11]
	s_waitcnt lgkmcnt(0)
	v_add_f32_e32 v3, v3, v6
	v_lshlrev_b32_e32 v6, 2, v7
	ds_bpermute_b32 v6, v6, v3
	s_waitcnt lgkmcnt(0)
	v_add_f32_e32 v3, v3, v6
	ds_bpermute_b32 v6, v60, v3
	s_waitcnt lgkmcnt(0)
	v_add_f32_e32 v3, v3, v6
	s_and_saveexec_b64 s[10:11], vcc
	s_cbranch_execz .LBB208_216
; %bb.215:
	ds_write_b32 v2, v3 offset:1032
.LBB208_216:
	s_or_b64 exec, exec, s[10:11]
	s_waitcnt lgkmcnt(0)
	s_barrier
	s_and_saveexec_b64 s[10:11], s[2:3]
	s_cbranch_execz .LBB208_218
; %bb.217:
	ds_read_b32 v3, v5 offset:1032
.LBB208_218:
	s_or_b64 exec, exec, s[10:11]
	s_waitcnt lgkmcnt(0)
	ds_bpermute_b32 v2, v60, v3
	s_waitcnt lgkmcnt(0)
	v_add_f32_e32 v2, v3, v2
	ds_bpermute_b32 v5, v8, v2
	s_and_saveexec_b64 s[2:3], s[4:5]
	s_cbranch_execz .LBB208_231
; %bb.219:
	s_waitcnt lgkmcnt(0)
	v_add_f32_e32 v2, 0x358637bd, v5
	v_div_scale_f32 v3, s[4:5], v2, v2, 1.0
	v_rcp_f32_e32 v6, v3
	v_div_scale_f32 v7, vcc, 1.0, v2, 1.0
	s_movk_i32 s4, 0x7f
	v_fma_f32 v8, -v3, v6, 1.0
	v_fmac_f32_e32 v6, v8, v6
	v_mul_f32_e32 v8, v7, v6
	v_fma_f32 v9, -v3, v8, v7
	v_fmac_f32_e32 v8, v9, v6
	v_fma_f32 v3, -v3, v8, v7
	v_div_fmas_f32 v3, v3, v6, v8
	v_div_fixup_f32 v2, v3, v2, 1.0
	v_xad_u32 v3, v0, -1, s25
	v_subrev_u32_e32 v6, s44, v3
	v_cmp_lt_u32_e32 vcc, s4, v6
	s_mov_b64 s[10:11], -1
	v_mov_b32_e32 v3, v0
	s_and_saveexec_b64 s[4:5], vcc
	s_cbranch_execz .LBB208_228
; %bb.220:
	v_lshrrev_b32_e32 v6, 7, v6
	v_add_u32_e32 v8, -1, v6
	v_lshrrev_b32_e32 v7, 1, v8
	v_mov_b32_e32 v3, v2
	v_add_u32_e32 v7, 1, v7
	v_cmp_lt_u32_e32 vcc, 13, v8
	v_mov_b32_e32 v10, 0
	s_and_saveexec_b64 s[10:11], vcc
	s_cbranch_execz .LBB208_224
; %bb.221:
	v_mov_b32_e32 v9, 0x410
	v_and_b32_e32 v8, -8, v7
	v_lshl_add_u32 v9, v0, 2, v9
	s_mov_b32 s18, 0
	s_mov_b64 s[12:13], 0
.LBB208_222:                            ; =>This Inner Loop Header: Depth=1
	ds_read2st64_b32 v[10:11], v9 offset1:2
	ds_read2st64_b32 v[12:13], v9 offset0:4 offset1:6
	ds_read2st64_b32 v[14:15], v9 offset0:8 offset1:10
	;; [unrolled: 1-line block ×3, first 2 shown]
	v_add_u32_e32 v8, -8, v8
	s_waitcnt lgkmcnt(3)
	v_pk_mul_f32 v[10:11], v[2:3], v[10:11]
	s_waitcnt lgkmcnt(2)
	v_pk_mul_f32 v[12:13], v[2:3], v[12:13]
	ds_write2st64_b32 v9, v10, v11 offset1:2
	ds_write2st64_b32 v9, v12, v13 offset0:4 offset1:6
	ds_read2st64_b32 v[12:13], v9 offset0:16 offset1:18
	s_waitcnt lgkmcnt(4)
	v_pk_mul_f32 v[10:11], v[2:3], v[14:15]
	ds_write2st64_b32 v9, v10, v11 offset0:8 offset1:10
	s_waitcnt lgkmcnt(4)
	v_pk_mul_f32 v[10:11], v[2:3], v[16:17]
	ds_write2st64_b32 v9, v10, v11 offset0:12 offset1:14
	ds_read2st64_b32 v[10:11], v9 offset0:20 offset1:22
	s_waitcnt lgkmcnt(3)
	v_pk_mul_f32 v[12:13], v[2:3], v[12:13]
	ds_read2st64_b32 v[14:15], v9 offset0:24 offset1:26
	ds_write2st64_b32 v9, v12, v13 offset0:16 offset1:18
	ds_read2st64_b32 v[12:13], v9 offset0:28 offset1:30
	s_waitcnt lgkmcnt(3)
	v_pk_mul_f32 v[10:11], v[2:3], v[10:11]
	ds_write2st64_b32 v9, v10, v11 offset0:20 offset1:22
	s_waitcnt lgkmcnt(3)
	v_pk_mul_f32 v[10:11], v[2:3], v[14:15]
	ds_write2st64_b32 v9, v10, v11 offset0:24 offset1:26
	s_waitcnt lgkmcnt(2)
	v_pk_mul_f32 v[10:11], v[2:3], v[12:13]
	s_add_i32 s18, s18, 16
	v_cmp_eq_u32_e32 vcc, 0, v8
	ds_write2st64_b32 v9, v10, v11 offset0:28 offset1:30
	v_add_u32_e32 v9, 0x2000, v9
	s_or_b64 s[12:13], vcc, s[12:13]
	v_mov_b32_e32 v10, s18
	s_andn2_b64 exec, exec, s[12:13]
	s_cbranch_execnz .LBB208_222
; %bb.223:
	s_or_b64 exec, exec, s[12:13]
.LBB208_224:
	s_or_b64 exec, exec, s[10:11]
	v_and_b32_e32 v7, 7, v7
	v_cmp_ne_u32_e32 vcc, 0, v7
	s_and_saveexec_b64 s[10:11], vcc
	s_cbranch_execz .LBB208_227
; %bb.225:
	v_lshlrev_b32_e32 v8, 9, v10
	v_lshlrev_b32_e32 v9, 2, v0
	s_movk_i32 s12, 0x410
	v_add3_u32 v8, v8, v9, s12
	s_mov_b64 s[12:13], 0
.LBB208_226:                            ; =>This Inner Loop Header: Depth=1
	ds_read2st64_b32 v[10:11], v8 offset1:2
	v_add_u32_e32 v7, -1, v7
	v_cmp_eq_u32_e32 vcc, 0, v7
	s_or_b64 s[12:13], vcc, s[12:13]
	s_waitcnt lgkmcnt(0)
	v_pk_mul_f32 v[10:11], v[2:3], v[10:11]
	ds_write2st64_b32 v8, v10, v11 offset1:2
	v_add_u32_e32 v8, 0x400, v8
	s_andn2_b64 exec, exec, s[12:13]
	s_cbranch_execnz .LBB208_226
.LBB208_227:
	s_or_b64 exec, exec, s[10:11]
	v_add_u32_e32 v6, 1, v6
	v_and_b32_e32 v7, 0x3fffffe, v6
	v_cmp_ne_u32_e32 vcc, v6, v7
	v_lshl_add_u32 v3, v7, 7, v0
	s_orn2_b64 s[10:11], vcc, exec
.LBB208_228:
	s_or_b64 exec, exec, s[4:5]
	s_and_b64 exec, exec, s[10:11]
	s_cbranch_execz .LBB208_231
; %bb.229:
	v_mov_b32_e32 v6, 0x410
	v_lshl_add_u32 v6, v3, 2, v6
	s_mov_b64 s[4:5], 0
.LBB208_230:                            ; =>This Inner Loop Header: Depth=1
	ds_read_b32 v7, v6
	v_add_u32_e32 v3, 0x80, v3
	v_cmp_le_i32_e32 vcc, s24, v3
	s_or_b64 s[4:5], vcc, s[4:5]
	s_waitcnt lgkmcnt(0)
	v_mul_f32_e32 v7, v2, v7
	ds_write_b32 v6, v7
	v_add_u32_e32 v6, 0x200, v6
	s_andn2_b64 exec, exec, s[4:5]
	s_cbranch_execnz .LBB208_230
.LBB208_231:
	s_or_b64 exec, exec, s[2:3]
	s_mul_i32 s2, s33, s36
	v_cmp_eq_u32_e32 vcc, 0, v0
	s_mul_i32 s2, s2, s9
	s_waitcnt lgkmcnt(0)
	s_barrier
	s_and_saveexec_b64 s[4:5], vcc
	s_cbranch_execz .LBB208_233
; %bb.232:
	s_ashr_i32 s3, s2, 31
	s_lshl_b64 s[10:11], s[2:3], 2
	s_add_u32 s3, s22, s10
	s_mul_i32 s12, s33, s6
	s_addc_u32 s9, s23, s11
	s_ashr_i32 s13, s12, 31
	s_lshl_b64 s[12:13], s[12:13], 2
	s_add_u32 s3, s3, s12
	s_addc_u32 s6, s9, s13
	s_ashr_i32 s9, s8, 31
	s_lshl_b64 s[18:19], s[8:9], 2
	s_add_u32 s22, s3, s18
	s_addc_u32 s23, s6, s19
	s_add_u32 s3, s20, s10
	s_addc_u32 s6, s21, s11
	;; [unrolled: 2-line block ×3, first 2 shown]
	s_add_u32 s10, s3, s18
	v_mov_b32_e32 v2, 0
	s_addc_u32 s11, s6, s19
	global_store_dword v2, v4, s[22:23]
	global_store_dword v2, v5, s[10:11]
.LBB208_233:
	s_or_b64 exec, exec, s[4:5]
	s_mov_b32 s6, 0
	v_mov_b32_e32 v7, 0
	v_and_b32_e32 v61, 1, v0
	v_mov_b32_e32 v6, 0
	v_mov_b32_e32 v9, 0
	;; [unrolled: 1-line block ×7, first 2 shown]
	s_and_saveexec_b64 s[4:5], s[0:1]
	s_cbranch_execz .LBB208_445
; %bb.234:
	v_lshlrev_b32_e32 v2, 2, v0
	s_ashr_i32 s0, s16, 31
	v_and_b32_e32 v3, 4, v2
	s_add_u32 s1, s14, s16
	v_and_b32_e32 v2, 0xfc, v2
	s_load_dword s10, s[26:27], 0x0
	s_addc_u32 s0, s15, s0
	v_add_co_u32_e32 v16, vcc, s1, v2
	v_lshl_add_u32 v2, v37, 3, s44
	s_add_i32 s9, s7, -1
	v_mov_b32_e32 v4, s0
	v_add3_u32 v62, v2, v3, 3
	v_lshlrev_b32_e32 v2, 4, v61
	s_lshl_b64 s[0:1], s[38:39], 2
	v_lshl_or_b32 v2, v37, 5, v2
	s_add_u32 s0, s34, s0
	v_addc_co_u32_e32 v17, vcc, 0, v4, vcc
	v_add_u32_e32 v63, 0x410, v2
	v_lshlrev_b64 v[2:3], 2, v[34:35]
	s_addc_u32 s1, s35, s1
	v_mov_b32_e32 v4, s1
	v_add_co_u32_e32 v18, vcc, s0, v2
	s_mov_b32 s3, s17
	s_waitcnt lgkmcnt(0)
	s_mov_b32 s11, s10
	v_mov_b32_e32 v15, 0
	v_addc_co_u32_e32 v19, vcc, v4, v3, vcc
	s_mov_b64 s[12:13], 0
	s_movk_i32 s22, 0x80
	s_movk_i32 s23, 0x7f
	s_brev_b32 s7, 1
	s_mov_b32 s15, 0x7f800001
	s_mov_b32 s24, 0xffffff
	v_bfrev_b32_e32 v35, 60
	v_mov_b32_e32 v64, 7
	v_mov_b32_e32 v65, 24
	;; [unrolled: 1-line block ×10, first 2 shown]
	s_branch .LBB208_236
.LBB208_235:                            ;   in Loop: Header=BB208_236 Depth=1
	s_or_b64 exec, exec, s[0:1]
	s_waitcnt lgkmcnt(0)
	v_mul_f32_e32 v14, v3, v21
	v_fmac_f32_e32 v14, v2, v20
	v_fmac_f32_e32 v14, v4, v22
	v_fmac_f32_e32 v14, v5, v23
	v_add_f32_e32 v12, v12, v14
	v_mul_f32_e32 v14, v3, v27
	v_fmac_f32_e32 v14, v2, v26
	v_fmac_f32_e32 v14, v4, v28
	v_fmac_f32_e32 v14, v5, v29
	v_add_f32_e32 v13, v13, v14
	;; [unrolled: 5-line block ×6, first 2 shown]
	v_mul_f32_e32 v14, v3, v49
	v_mul_f32_e32 v3, v3, v25
	v_fmac_f32_e32 v14, v2, v48
	v_fmac_f32_e32 v3, v2, v24
	v_add_u32_e32 v34, 2, v34
	v_fmac_f32_e32 v14, v4, v50
	v_fmac_f32_e32 v3, v4, v52
	v_cmp_le_i32_e32 vcc, s31, v34
	v_fmac_f32_e32 v14, v5, v51
	v_fmac_f32_e32 v3, v5, v53
	s_or_b64 s[12:13], vcc, s[12:13]
	v_add_co_u32_e32 v18, vcc, 8, v18
	v_add_f32_e32 v6, v6, v14
	v_add_f32_e32 v7, v7, v3
	v_add_u32_e32 v62, 16, v62
	v_add_u32_e32 v63, 64, v63
	v_addc_co_u32_e32 v19, vcc, 0, v19, vcc
	s_andn2_b64 exec, exec, s[12:13]
	s_cbranch_execz .LBB208_444
.LBB208_236:                            ; =>This Inner Loop Header: Depth=1
	global_load_dword v2, v[18:19], off
	v_pk_mov_b32 v[26:27], 0, 0
	v_pk_mov_b32 v[22:23], v[26:27], v[26:27] op_sel:[0,1]
	s_waitcnt vmcnt(0)
	v_mad_i64_i32 v[24:25], s[0:1], v2, s3, v[16:17]
	global_load_dword v20, v[24:25], off
	ds_read_b128 v[2:5], v63
	s_waitcnt vmcnt(0)
	v_cmp_ne_u16_sdwa s[16:17], v20, v15 src0_sel:BYTE_0 src1_sel:DWORD
	s_and_saveexec_b64 s[0:1], s[16:17]
	s_cbranch_execz .LBB208_242
; %bb.237:                              ;   in Loop: Header=BB208_236 Depth=1
	v_bfrev_b32_e32 v22, 1
	v_cmp_ne_u16_sdwa s[18:19], v20, s22 src0_sel:BYTE_0 src1_sel:DWORD
	v_mov_b32_e32 v23, 0
	s_and_saveexec_b64 s[16:17], s[18:19]
	s_cbranch_execz .LBB208_241
; %bb.238:                              ;   in Loop: Header=BB208_236 Depth=1
	v_and_b32_e32 v14, 0x7f, v20
	v_mov_b32_e32 v22, 0x7f800001
	v_cmp_ne_u32_e32 vcc, s23, v14
	v_mov_b32_e32 v23, 0
	s_and_saveexec_b64 s[18:19], vcc
	s_cbranch_execz .LBB208_240
; %bb.239:                              ;   in Loop: Header=BB208_236 Depth=1
	v_and_b32_e32 v21, 7, v20
	v_ffbh_u32_e32 v22, v21
	v_min_u32_e32 v29, 32, v22
	v_subrev_u32_e32 v22, 28, v29
	v_lshlrev_b64 v[22:23], v22, v[20:21]
	v_lshrrev_b32_e32 v28, 3, v14
	v_sub_u32_e32 v23, 29, v29
	v_and_b32_e32 v22, 7, v22
	v_cmp_gt_u32_e32 vcc, 8, v14
	v_cndmask_b32_e32 v14, v28, v23, vcc
	v_cndmask_b32_e32 v21, v21, v22, vcc
	v_lshlrev_b32_e32 v21, 20, v21
	v_and_b32_sdwa v22, sext(v20), s7 dst_sel:DWORD dst_unused:UNUSED_PAD src0_sel:BYTE_0 src1_sel:DWORD
	v_lshl_add_u32 v14, v14, 23, v35
	v_or3_b32 v14, v22, v14, v21
	v_pk_mov_b32 v[22:23], v[14:15], v[14:15] op_sel:[0,1]
.LBB208_240:                            ;   in Loop: Header=BB208_236 Depth=1
	s_or_b64 exec, exec, s[18:19]
.LBB208_241:                            ;   in Loop: Header=BB208_236 Depth=1
	s_or_b64 exec, exec, s[16:17]
.LBB208_242:                            ;   in Loop: Header=BB208_236 Depth=1
	s_or_b64 exec, exec, s[0:1]
	v_cmp_ne_u16_sdwa s[16:17], v20, v15 src0_sel:BYTE_1 src1_sel:DWORD
	s_and_saveexec_b64 s[0:1], s[16:17]
	s_cbranch_execz .LBB208_248
; %bb.243:                              ;   in Loop: Header=BB208_236 Depth=1
	v_cmp_ne_u16_sdwa s[18:19], v20, s22 src0_sel:BYTE_1 src1_sel:DWORD
	v_pk_mov_b32 v[26:27], s[6:7], s[6:7] op_sel:[0,1]
	s_and_saveexec_b64 s[16:17], s[18:19]
	s_cbranch_execz .LBB208_247
; %bb.244:                              ;   in Loop: Header=BB208_236 Depth=1
	v_and_b32_sdwa v21, v20, s23 dst_sel:DWORD dst_unused:UNUSED_PAD src0_sel:BYTE_1 src1_sel:DWORD
	s_mov_b32 s14, s6
	v_cmp_ne_u32_e32 vcc, s23, v21
	v_pk_mov_b32 v[26:27], s[14:15], s[14:15] op_sel:[0,1]
	s_and_saveexec_b64 s[18:19], vcc
	s_cbranch_execz .LBB208_246
; %bb.245:                              ;   in Loop: Header=BB208_236 Depth=1
	v_and_b32_sdwa v14, v20, v64 dst_sel:DWORD dst_unused:UNUSED_PAD src0_sel:BYTE_1 src1_sel:DWORD
	v_ffbh_u32_e32 v26, v14
	v_min_u32_e32 v29, 32, v26
	v_subrev_u32_e32 v26, 28, v29
	v_lshlrev_b64 v[26:27], v26, v[14:15]
	v_lshrrev_b32_e32 v28, 3, v21
	v_sub_u32_e32 v27, 29, v29
	v_cmp_gt_u32_e32 vcc, 8, v21
	v_and_b32_e32 v26, 7, v26
	v_cndmask_b32_e32 v21, v28, v27, vcc
	v_cndmask_b32_e32 v14, v14, v26, vcc
	v_lshlrev_b32_e32 v26, 16, v20
	v_lshl_add_u32 v21, v21, 23, v35
	v_and_or_b32 v21, v26, s7, v21
	v_lshlrev_b32_e32 v14, 20, v14
	v_or_b32_e32 v27, v21, v14
	v_mov_b32_e32 v26, v15
.LBB208_246:                            ;   in Loop: Header=BB208_236 Depth=1
	s_or_b64 exec, exec, s[18:19]
.LBB208_247:                            ;   in Loop: Header=BB208_236 Depth=1
	s_or_b64 exec, exec, s[16:17]
.LBB208_248:                            ;   in Loop: Header=BB208_236 Depth=1
	s_or_b64 exec, exec, s[0:1]
	v_lshrrev_b32_e32 v14, 16, v20
	v_pk_mov_b32 v[30:31], 0, 0
	v_cmp_ne_u16_sdwa s[16:17], v14, v15 src0_sel:BYTE_0 src1_sel:DWORD
	v_pk_mov_b32 v[28:29], v[30:31], v[30:31] op_sel:[0,1]
	s_and_saveexec_b64 s[0:1], s[16:17]
	s_cbranch_execz .LBB208_254
; %bb.249:                              ;   in Loop: Header=BB208_236 Depth=1
	v_bfrev_b32_e32 v28, 1
	v_cmp_ne_u16_sdwa s[18:19], v14, s22 src0_sel:BYTE_0 src1_sel:DWORD
	v_mov_b32_e32 v29, 0
	s_and_saveexec_b64 s[16:17], s[18:19]
	s_cbranch_execz .LBB208_253
; %bb.250:                              ;   in Loop: Header=BB208_236 Depth=1
	v_bfe_u32 v21, v20, 16, 7
	v_mov_b32_e32 v28, 0x7f800001
	v_cmp_ne_u32_e32 vcc, s23, v21
	v_mov_b32_e32 v29, 0
	s_and_saveexec_b64 s[18:19], vcc
	s_cbranch_execz .LBB208_252
; %bb.251:                              ;   in Loop: Header=BB208_236 Depth=1
	v_and_b32_e32 v32, 7, v14
	v_ffbh_u32_e32 v28, v32
	v_min_u32_e32 v36, 32, v28
	v_subrev_u32_e32 v28, 28, v36
	v_lshlrev_b64 v[28:29], v28, v[14:15]
	v_lshrrev_b32_e32 v33, 3, v21
	v_sub_u32_e32 v29, 29, v36
	v_and_b32_e32 v28, 7, v28
	v_cmp_gt_u32_e32 vcc, 8, v21
	v_cndmask_b32_e32 v21, v33, v29, vcc
	v_cndmask_b32_e32 v28, v32, v28, vcc
	v_lshlrev_b32_e32 v28, 20, v28
	v_and_b32_sdwa v14, sext(v14), s7 dst_sel:DWORD dst_unused:UNUSED_PAD src0_sel:BYTE_0 src1_sel:DWORD
	v_lshl_add_u32 v21, v21, 23, v35
	v_or3_b32 v14, v14, v21, v28
	v_pk_mov_b32 v[28:29], v[14:15], v[14:15] op_sel:[0,1]
.LBB208_252:                            ;   in Loop: Header=BB208_236 Depth=1
	s_or_b64 exec, exec, s[18:19]
.LBB208_253:                            ;   in Loop: Header=BB208_236 Depth=1
	s_or_b64 exec, exec, s[16:17]
.LBB208_254:                            ;   in Loop: Header=BB208_236 Depth=1
	s_or_b64 exec, exec, s[0:1]
	v_cmp_lt_u32_e32 vcc, s24, v20
	s_and_saveexec_b64 s[0:1], vcc
	s_cbranch_execz .LBB208_260
; %bb.255:                              ;   in Loop: Header=BB208_236 Depth=1
	v_cmp_ne_u32_sdwa s[18:19], v20, s22 src0_sel:BYTE_3 src1_sel:DWORD
	v_pk_mov_b32 v[30:31], s[6:7], s[6:7] op_sel:[0,1]
	s_and_saveexec_b64 s[16:17], s[18:19]
	s_cbranch_execz .LBB208_259
; %bb.256:                              ;   in Loop: Header=BB208_236 Depth=1
	v_bfe_u32 v21, v20, 24, 7
	s_mov_b32 s14, s6
	v_cmp_ne_u32_e32 vcc, s23, v21
	v_pk_mov_b32 v[30:31], s[14:15], s[14:15] op_sel:[0,1]
	s_and_saveexec_b64 s[18:19], vcc
	s_cbranch_execz .LBB208_258
; %bb.257:                              ;   in Loop: Header=BB208_236 Depth=1
	v_and_b32_sdwa v14, v20, v64 dst_sel:DWORD dst_unused:UNUSED_PAD src0_sel:BYTE_3 src1_sel:DWORD
	v_ffbh_u32_e32 v30, v14
	v_min_u32_e32 v33, 32, v30
	v_subrev_u32_e32 v30, 28, v33
	v_lshlrev_b64 v[30:31], v30, v[14:15]
	v_lshrrev_b32_e32 v32, 3, v21
	v_sub_u32_e32 v31, 29, v33
	v_cmp_gt_u32_e32 vcc, 8, v21
	v_and_b32_e32 v30, 7, v30
	v_cndmask_b32_e32 v21, v32, v31, vcc
	v_cndmask_b32_e32 v14, v14, v30, vcc
	v_lshlrev_b32_sdwa v20, v65, v20 dst_sel:DWORD dst_unused:UNUSED_PAD src0_sel:DWORD src1_sel:BYTE_3
	v_lshl_add_u32 v21, v21, 23, v35
	v_and_or_b32 v20, v20, s7, v21
	v_lshlrev_b32_e32 v14, 20, v14
	v_or_b32_e32 v31, v20, v14
	v_mov_b32_e32 v30, v15
.LBB208_258:                            ;   in Loop: Header=BB208_236 Depth=1
	s_or_b64 exec, exec, s[18:19]
.LBB208_259:                            ;   in Loop: Header=BB208_236 Depth=1
	s_or_b64 exec, exec, s[16:17]
.LBB208_260:                            ;   in Loop: Header=BB208_236 Depth=1
	s_or_b64 exec, exec, s[0:1]
	v_or_b32_e32 v21, v27, v23
	v_or_b32_e32 v20, v26, v22
	;; [unrolled: 1-line block ×4, first 2 shown]
	v_add_u32_e32 v66, -3, v62
	v_cmp_eq_u32_e32 vcc, s9, v34
	v_pk_mul_f32 v[20:21], s[10:11], v[20:21]
	v_pk_mul_f32 v[22:23], s[10:11], v[22:23]
	v_add_u32_e32 v68, -2, v62
	v_add_u32_e32 v67, -1, v62
	s_and_saveexec_b64 s[16:17], vcc
; %bb.261:                              ;   in Loop: Header=BB208_236 Depth=1
	v_cmp_gt_i32_e64 s[0:1], s37, v66
	v_cndmask_b32_e64 v20, 0, v20, s[0:1]
	v_cmp_gt_i32_e64 s[0:1], s37, v68
	v_cndmask_b32_e64 v21, 0, v21, s[0:1]
	;; [unrolled: 2-line block ×4, first 2 shown]
; %bb.262:                              ;   in Loop: Header=BB208_236 Depth=1
	s_or_b64 exec, exec, s[16:17]
	global_load_dword v26, v[24:25], off offset:256
	v_pk_mov_b32 v[30:31], 0, 0
	v_pk_mov_b32 v[28:29], v[30:31], v[30:31] op_sel:[0,1]
	s_waitcnt vmcnt(0)
	v_cmp_ne_u16_sdwa s[0:1], v26, v15 src0_sel:BYTE_0 src1_sel:DWORD
	s_and_saveexec_b64 s[16:17], s[0:1]
	s_cbranch_execz .LBB208_268
; %bb.263:                              ;   in Loop: Header=BB208_236 Depth=1
	v_bfrev_b32_e32 v28, 1
	v_cmp_ne_u16_sdwa s[0:1], v26, s22 src0_sel:BYTE_0 src1_sel:DWORD
	v_mov_b32_e32 v29, 0
	s_and_saveexec_b64 s[18:19], s[0:1]
	s_cbranch_execz .LBB208_267
; %bb.264:                              ;   in Loop: Header=BB208_236 Depth=1
	v_and_b32_e32 v14, 0x7f, v26
	v_mov_b32_e32 v28, 0x7f800001
	v_cmp_ne_u32_e64 s[0:1], s23, v14
	v_mov_b32_e32 v29, 0
	s_and_saveexec_b64 s[20:21], s[0:1]
	s_cbranch_execz .LBB208_266
; %bb.265:                              ;   in Loop: Header=BB208_236 Depth=1
	v_and_b32_e32 v27, 7, v26
	v_ffbh_u32_e32 v28, v27
	v_min_u32_e32 v33, 32, v28
	v_subrev_u32_e32 v28, 28, v33
	v_lshlrev_b64 v[28:29], v28, v[26:27]
	v_lshrrev_b32_e32 v32, 3, v14
	v_sub_u32_e32 v29, 29, v33
	v_and_b32_e32 v28, 7, v28
	v_cmp_gt_u32_e64 s[0:1], 8, v14
	v_cndmask_b32_e64 v14, v32, v29, s[0:1]
	v_cndmask_b32_e64 v27, v27, v28, s[0:1]
	v_lshlrev_b32_e32 v27, 20, v27
	v_and_b32_sdwa v28, sext(v26), s7 dst_sel:DWORD dst_unused:UNUSED_PAD src0_sel:BYTE_0 src1_sel:DWORD
	v_lshl_add_u32 v14, v14, 23, v35
	v_or3_b32 v14, v28, v14, v27
	v_pk_mov_b32 v[28:29], v[14:15], v[14:15] op_sel:[0,1]
.LBB208_266:                            ;   in Loop: Header=BB208_236 Depth=1
	s_or_b64 exec, exec, s[20:21]
.LBB208_267:                            ;   in Loop: Header=BB208_236 Depth=1
	s_or_b64 exec, exec, s[18:19]
.LBB208_268:                            ;   in Loop: Header=BB208_236 Depth=1
	s_or_b64 exec, exec, s[16:17]
	v_cmp_ne_u16_sdwa s[0:1], v26, v15 src0_sel:BYTE_1 src1_sel:DWORD
	s_and_saveexec_b64 s[16:17], s[0:1]
	s_cbranch_execz .LBB208_274
; %bb.269:                              ;   in Loop: Header=BB208_236 Depth=1
	v_cmp_ne_u16_sdwa s[0:1], v26, s22 src0_sel:BYTE_1 src1_sel:DWORD
	v_pk_mov_b32 v[30:31], s[6:7], s[6:7] op_sel:[0,1]
	s_and_saveexec_b64 s[18:19], s[0:1]
	s_cbranch_execz .LBB208_273
; %bb.270:                              ;   in Loop: Header=BB208_236 Depth=1
	v_and_b32_sdwa v27, v26, s23 dst_sel:DWORD dst_unused:UNUSED_PAD src0_sel:BYTE_1 src1_sel:DWORD
	s_mov_b32 s14, s6
	v_cmp_ne_u32_e64 s[0:1], s23, v27
	v_pk_mov_b32 v[30:31], s[14:15], s[14:15] op_sel:[0,1]
	s_and_saveexec_b64 s[20:21], s[0:1]
	s_cbranch_execz .LBB208_272
; %bb.271:                              ;   in Loop: Header=BB208_236 Depth=1
	v_and_b32_sdwa v14, v26, v64 dst_sel:DWORD dst_unused:UNUSED_PAD src0_sel:BYTE_1 src1_sel:DWORD
	v_ffbh_u32_e32 v30, v14
	v_min_u32_e32 v33, 32, v30
	v_subrev_u32_e32 v30, 28, v33
	v_lshlrev_b64 v[30:31], v30, v[14:15]
	v_lshrrev_b32_e32 v32, 3, v27
	v_sub_u32_e32 v31, 29, v33
	v_cmp_gt_u32_e64 s[0:1], 8, v27
	v_and_b32_e32 v30, 7, v30
	v_cndmask_b32_e64 v27, v32, v31, s[0:1]
	v_cndmask_b32_e64 v14, v14, v30, s[0:1]
	v_lshlrev_b32_e32 v30, 16, v26
	v_lshl_add_u32 v27, v27, 23, v35
	v_and_or_b32 v27, v30, s7, v27
	v_lshlrev_b32_e32 v14, 20, v14
	v_or_b32_e32 v31, v27, v14
	v_mov_b32_e32 v30, v15
.LBB208_272:                            ;   in Loop: Header=BB208_236 Depth=1
	s_or_b64 exec, exec, s[20:21]
.LBB208_273:                            ;   in Loop: Header=BB208_236 Depth=1
	s_or_b64 exec, exec, s[18:19]
.LBB208_274:                            ;   in Loop: Header=BB208_236 Depth=1
	s_or_b64 exec, exec, s[16:17]
	v_lshrrev_b32_e32 v14, 16, v26
	v_pk_mov_b32 v[36:37], 0, 0
	v_cmp_ne_u16_sdwa s[0:1], v14, v15 src0_sel:BYTE_0 src1_sel:DWORD
	v_pk_mov_b32 v[32:33], v[36:37], v[36:37] op_sel:[0,1]
	s_and_saveexec_b64 s[16:17], s[0:1]
	s_cbranch_execz .LBB208_280
; %bb.275:                              ;   in Loop: Header=BB208_236 Depth=1
	v_bfrev_b32_e32 v32, 1
	v_cmp_ne_u16_sdwa s[0:1], v14, s22 src0_sel:BYTE_0 src1_sel:DWORD
	v_mov_b32_e32 v33, 0
	s_and_saveexec_b64 s[18:19], s[0:1]
	s_cbranch_execz .LBB208_279
; %bb.276:                              ;   in Loop: Header=BB208_236 Depth=1
	v_bfe_u32 v27, v26, 16, 7
	v_mov_b32_e32 v32, 0x7f800001
	v_cmp_ne_u32_e64 s[0:1], s23, v27
	v_mov_b32_e32 v33, 0
	s_and_saveexec_b64 s[20:21], s[0:1]
	s_cbranch_execz .LBB208_278
; %bb.277:                              ;   in Loop: Header=BB208_236 Depth=1
	v_and_b32_e32 v38, 7, v14
	v_ffbh_u32_e32 v32, v38
	v_min_u32_e32 v40, 32, v32
	v_subrev_u32_e32 v32, 28, v40
	v_lshlrev_b64 v[32:33], v32, v[14:15]
	v_lshrrev_b32_e32 v39, 3, v27
	v_sub_u32_e32 v33, 29, v40
	v_and_b32_e32 v32, 7, v32
	v_cmp_gt_u32_e64 s[0:1], 8, v27
	v_cndmask_b32_e64 v27, v39, v33, s[0:1]
	v_cndmask_b32_e64 v32, v38, v32, s[0:1]
	v_lshlrev_b32_e32 v32, 20, v32
	v_and_b32_sdwa v14, sext(v14), s7 dst_sel:DWORD dst_unused:UNUSED_PAD src0_sel:BYTE_0 src1_sel:DWORD
	v_lshl_add_u32 v27, v27, 23, v35
	v_or3_b32 v14, v14, v27, v32
	v_pk_mov_b32 v[32:33], v[14:15], v[14:15] op_sel:[0,1]
.LBB208_278:                            ;   in Loop: Header=BB208_236 Depth=1
	s_or_b64 exec, exec, s[20:21]
.LBB208_279:                            ;   in Loop: Header=BB208_236 Depth=1
	s_or_b64 exec, exec, s[18:19]
.LBB208_280:                            ;   in Loop: Header=BB208_236 Depth=1
	s_or_b64 exec, exec, s[16:17]
	v_cmp_lt_u32_e64 s[0:1], s24, v26
	s_and_saveexec_b64 s[16:17], s[0:1]
	s_cbranch_execz .LBB208_286
; %bb.281:                              ;   in Loop: Header=BB208_236 Depth=1
	v_cmp_ne_u32_sdwa s[0:1], v26, s22 src0_sel:BYTE_3 src1_sel:DWORD
	v_pk_mov_b32 v[36:37], s[6:7], s[6:7] op_sel:[0,1]
	s_and_saveexec_b64 s[18:19], s[0:1]
	s_cbranch_execz .LBB208_285
; %bb.282:                              ;   in Loop: Header=BB208_236 Depth=1
	v_bfe_u32 v27, v26, 24, 7
	s_mov_b32 s14, s6
	v_cmp_ne_u32_e64 s[0:1], s23, v27
	v_pk_mov_b32 v[36:37], s[14:15], s[14:15] op_sel:[0,1]
	s_and_saveexec_b64 s[20:21], s[0:1]
	s_cbranch_execz .LBB208_284
; %bb.283:                              ;   in Loop: Header=BB208_236 Depth=1
	v_and_b32_sdwa v14, v26, v64 dst_sel:DWORD dst_unused:UNUSED_PAD src0_sel:BYTE_3 src1_sel:DWORD
	v_ffbh_u32_e32 v36, v14
	v_min_u32_e32 v39, 32, v36
	v_subrev_u32_e32 v36, 28, v39
	v_lshlrev_b64 v[36:37], v36, v[14:15]
	v_lshrrev_b32_e32 v38, 3, v27
	v_sub_u32_e32 v37, 29, v39
	v_cmp_gt_u32_e64 s[0:1], 8, v27
	v_and_b32_e32 v36, 7, v36
	v_cndmask_b32_e64 v27, v38, v37, s[0:1]
	v_cndmask_b32_e64 v14, v14, v36, s[0:1]
	v_lshlrev_b32_sdwa v26, v65, v26 dst_sel:DWORD dst_unused:UNUSED_PAD src0_sel:DWORD src1_sel:BYTE_3
	v_lshl_add_u32 v27, v27, 23, v35
	v_and_or_b32 v26, v26, s7, v27
	v_lshlrev_b32_e32 v14, 20, v14
	v_or_b32_e32 v37, v26, v14
	v_mov_b32_e32 v36, v15
.LBB208_284:                            ;   in Loop: Header=BB208_236 Depth=1
	s_or_b64 exec, exec, s[20:21]
.LBB208_285:                            ;   in Loop: Header=BB208_236 Depth=1
	s_or_b64 exec, exec, s[18:19]
.LBB208_286:                            ;   in Loop: Header=BB208_236 Depth=1
	s_or_b64 exec, exec, s[16:17]
	v_or_b32_e32 v27, v31, v29
	v_or_b32_e32 v26, v30, v28
	;; [unrolled: 1-line block ×4, first 2 shown]
	v_pk_mul_f32 v[26:27], s[10:11], v[26:27]
	v_pk_mul_f32 v[28:29], s[10:11], v[28:29]
	s_and_saveexec_b64 s[16:17], vcc
; %bb.287:                              ;   in Loop: Header=BB208_236 Depth=1
	v_cmp_gt_i32_e64 s[0:1], s37, v66
	v_cndmask_b32_e64 v26, 0, v26, s[0:1]
	v_cmp_gt_i32_e64 s[0:1], s37, v68
	v_cndmask_b32_e64 v27, 0, v27, s[0:1]
	;; [unrolled: 2-line block ×4, first 2 shown]
; %bb.288:                              ;   in Loop: Header=BB208_236 Depth=1
	s_or_b64 exec, exec, s[16:17]
	global_load_dword v30, v[24:25], off offset:512
	v_pk_mov_b32 v[36:37], 0, 0
	v_pk_mov_b32 v[32:33], v[36:37], v[36:37] op_sel:[0,1]
	s_waitcnt vmcnt(0)
	v_cmp_ne_u16_sdwa s[0:1], v30, v15 src0_sel:BYTE_0 src1_sel:DWORD
	s_and_saveexec_b64 s[16:17], s[0:1]
	s_cbranch_execz .LBB208_294
; %bb.289:                              ;   in Loop: Header=BB208_236 Depth=1
	v_bfrev_b32_e32 v32, 1
	v_cmp_ne_u16_sdwa s[0:1], v30, s22 src0_sel:BYTE_0 src1_sel:DWORD
	v_mov_b32_e32 v33, 0
	s_and_saveexec_b64 s[18:19], s[0:1]
	s_cbranch_execz .LBB208_293
; %bb.290:                              ;   in Loop: Header=BB208_236 Depth=1
	v_and_b32_e32 v14, 0x7f, v30
	v_mov_b32_e32 v32, 0x7f800001
	v_cmp_ne_u32_e64 s[0:1], s23, v14
	v_mov_b32_e32 v33, 0
	s_and_saveexec_b64 s[20:21], s[0:1]
	s_cbranch_execz .LBB208_292
; %bb.291:                              ;   in Loop: Header=BB208_236 Depth=1
	v_and_b32_e32 v31, 7, v30
	v_ffbh_u32_e32 v32, v31
	v_min_u32_e32 v39, 32, v32
	v_subrev_u32_e32 v32, 28, v39
	v_lshlrev_b64 v[32:33], v32, v[30:31]
	v_lshrrev_b32_e32 v38, 3, v14
	v_sub_u32_e32 v33, 29, v39
	v_and_b32_e32 v32, 7, v32
	v_cmp_gt_u32_e64 s[0:1], 8, v14
	v_cndmask_b32_e64 v14, v38, v33, s[0:1]
	v_cndmask_b32_e64 v31, v31, v32, s[0:1]
	v_lshlrev_b32_e32 v31, 20, v31
	v_and_b32_sdwa v32, sext(v30), s7 dst_sel:DWORD dst_unused:UNUSED_PAD src0_sel:BYTE_0 src1_sel:DWORD
	v_lshl_add_u32 v14, v14, 23, v35
	v_or3_b32 v14, v32, v14, v31
	v_pk_mov_b32 v[32:33], v[14:15], v[14:15] op_sel:[0,1]
.LBB208_292:                            ;   in Loop: Header=BB208_236 Depth=1
	s_or_b64 exec, exec, s[20:21]
.LBB208_293:                            ;   in Loop: Header=BB208_236 Depth=1
	s_or_b64 exec, exec, s[18:19]
.LBB208_294:                            ;   in Loop: Header=BB208_236 Depth=1
	s_or_b64 exec, exec, s[16:17]
	v_cmp_ne_u16_sdwa s[0:1], v30, v15 src0_sel:BYTE_1 src1_sel:DWORD
	s_and_saveexec_b64 s[16:17], s[0:1]
	s_cbranch_execz .LBB208_300
; %bb.295:                              ;   in Loop: Header=BB208_236 Depth=1
	v_cmp_ne_u16_sdwa s[0:1], v30, s22 src0_sel:BYTE_1 src1_sel:DWORD
	v_pk_mov_b32 v[36:37], s[6:7], s[6:7] op_sel:[0,1]
	s_and_saveexec_b64 s[18:19], s[0:1]
	s_cbranch_execz .LBB208_299
; %bb.296:                              ;   in Loop: Header=BB208_236 Depth=1
	v_and_b32_sdwa v31, v30, s23 dst_sel:DWORD dst_unused:UNUSED_PAD src0_sel:BYTE_1 src1_sel:DWORD
	s_mov_b32 s14, s6
	v_cmp_ne_u32_e64 s[0:1], s23, v31
	v_pk_mov_b32 v[36:37], s[14:15], s[14:15] op_sel:[0,1]
	s_and_saveexec_b64 s[20:21], s[0:1]
	s_cbranch_execz .LBB208_298
; %bb.297:                              ;   in Loop: Header=BB208_236 Depth=1
	v_and_b32_sdwa v14, v30, v64 dst_sel:DWORD dst_unused:UNUSED_PAD src0_sel:BYTE_1 src1_sel:DWORD
	v_ffbh_u32_e32 v36, v14
	v_min_u32_e32 v39, 32, v36
	v_subrev_u32_e32 v36, 28, v39
	v_lshlrev_b64 v[36:37], v36, v[14:15]
	v_lshrrev_b32_e32 v38, 3, v31
	v_sub_u32_e32 v37, 29, v39
	v_cmp_gt_u32_e64 s[0:1], 8, v31
	v_and_b32_e32 v36, 7, v36
	v_cndmask_b32_e64 v31, v38, v37, s[0:1]
	v_cndmask_b32_e64 v14, v14, v36, s[0:1]
	v_lshlrev_b32_e32 v36, 16, v30
	v_lshl_add_u32 v31, v31, 23, v35
	v_and_or_b32 v31, v36, s7, v31
	v_lshlrev_b32_e32 v14, 20, v14
	v_or_b32_e32 v37, v31, v14
	v_mov_b32_e32 v36, v15
.LBB208_298:                            ;   in Loop: Header=BB208_236 Depth=1
	s_or_b64 exec, exec, s[20:21]
.LBB208_299:                            ;   in Loop: Header=BB208_236 Depth=1
	s_or_b64 exec, exec, s[18:19]
.LBB208_300:                            ;   in Loop: Header=BB208_236 Depth=1
	s_or_b64 exec, exec, s[16:17]
	v_lshrrev_b32_e32 v14, 16, v30
	v_pk_mov_b32 v[40:41], 0, 0
	v_cmp_ne_u16_sdwa s[0:1], v14, v15 src0_sel:BYTE_0 src1_sel:DWORD
	v_pk_mov_b32 v[38:39], v[40:41], v[40:41] op_sel:[0,1]
	s_and_saveexec_b64 s[16:17], s[0:1]
	s_cbranch_execz .LBB208_306
; %bb.301:                              ;   in Loop: Header=BB208_236 Depth=1
	v_bfrev_b32_e32 v38, 1
	v_cmp_ne_u16_sdwa s[0:1], v14, s22 src0_sel:BYTE_0 src1_sel:DWORD
	v_mov_b32_e32 v39, 0
	s_and_saveexec_b64 s[18:19], s[0:1]
	s_cbranch_execz .LBB208_305
; %bb.302:                              ;   in Loop: Header=BB208_236 Depth=1
	v_bfe_u32 v31, v30, 16, 7
	v_mov_b32_e32 v38, 0x7f800001
	v_cmp_ne_u32_e64 s[0:1], s23, v31
	v_mov_b32_e32 v39, 0
	s_and_saveexec_b64 s[20:21], s[0:1]
	s_cbranch_execz .LBB208_304
; %bb.303:                              ;   in Loop: Header=BB208_236 Depth=1
	v_and_b32_e32 v42, 7, v14
	v_ffbh_u32_e32 v38, v42
	v_min_u32_e32 v44, 32, v38
	v_subrev_u32_e32 v38, 28, v44
	v_lshlrev_b64 v[38:39], v38, v[14:15]
	v_lshrrev_b32_e32 v43, 3, v31
	v_sub_u32_e32 v39, 29, v44
	v_and_b32_e32 v38, 7, v38
	v_cmp_gt_u32_e64 s[0:1], 8, v31
	v_cndmask_b32_e64 v31, v43, v39, s[0:1]
	v_cndmask_b32_e64 v38, v42, v38, s[0:1]
	v_lshlrev_b32_e32 v38, 20, v38
	v_and_b32_sdwa v14, sext(v14), s7 dst_sel:DWORD dst_unused:UNUSED_PAD src0_sel:BYTE_0 src1_sel:DWORD
	v_lshl_add_u32 v31, v31, 23, v35
	v_or3_b32 v14, v14, v31, v38
	v_pk_mov_b32 v[38:39], v[14:15], v[14:15] op_sel:[0,1]
.LBB208_304:                            ;   in Loop: Header=BB208_236 Depth=1
	s_or_b64 exec, exec, s[20:21]
.LBB208_305:                            ;   in Loop: Header=BB208_236 Depth=1
	s_or_b64 exec, exec, s[18:19]
.LBB208_306:                            ;   in Loop: Header=BB208_236 Depth=1
	s_or_b64 exec, exec, s[16:17]
	v_cmp_lt_u32_e64 s[0:1], s24, v30
	s_and_saveexec_b64 s[16:17], s[0:1]
	s_cbranch_execz .LBB208_312
; %bb.307:                              ;   in Loop: Header=BB208_236 Depth=1
	v_cmp_ne_u32_sdwa s[0:1], v30, s22 src0_sel:BYTE_3 src1_sel:DWORD
	v_pk_mov_b32 v[40:41], s[6:7], s[6:7] op_sel:[0,1]
	s_and_saveexec_b64 s[18:19], s[0:1]
	s_cbranch_execz .LBB208_311
; %bb.308:                              ;   in Loop: Header=BB208_236 Depth=1
	v_bfe_u32 v31, v30, 24, 7
	s_mov_b32 s14, s6
	v_cmp_ne_u32_e64 s[0:1], s23, v31
	v_pk_mov_b32 v[40:41], s[14:15], s[14:15] op_sel:[0,1]
	s_and_saveexec_b64 s[20:21], s[0:1]
	s_cbranch_execz .LBB208_310
; %bb.309:                              ;   in Loop: Header=BB208_236 Depth=1
	v_and_b32_sdwa v14, v30, v64 dst_sel:DWORD dst_unused:UNUSED_PAD src0_sel:BYTE_3 src1_sel:DWORD
	v_ffbh_u32_e32 v40, v14
	v_min_u32_e32 v43, 32, v40
	v_subrev_u32_e32 v40, 28, v43
	v_lshlrev_b64 v[40:41], v40, v[14:15]
	v_lshrrev_b32_e32 v42, 3, v31
	v_sub_u32_e32 v41, 29, v43
	v_cmp_gt_u32_e64 s[0:1], 8, v31
	v_and_b32_e32 v40, 7, v40
	v_cndmask_b32_e64 v31, v42, v41, s[0:1]
	v_cndmask_b32_e64 v14, v14, v40, s[0:1]
	v_lshlrev_b32_sdwa v30, v65, v30 dst_sel:DWORD dst_unused:UNUSED_PAD src0_sel:DWORD src1_sel:BYTE_3
	v_lshl_add_u32 v31, v31, 23, v35
	v_and_or_b32 v30, v30, s7, v31
	v_lshlrev_b32_e32 v14, 20, v14
	v_or_b32_e32 v41, v30, v14
	v_mov_b32_e32 v40, v15
.LBB208_310:                            ;   in Loop: Header=BB208_236 Depth=1
	s_or_b64 exec, exec, s[20:21]
.LBB208_311:                            ;   in Loop: Header=BB208_236 Depth=1
	s_or_b64 exec, exec, s[18:19]
.LBB208_312:                            ;   in Loop: Header=BB208_236 Depth=1
	s_or_b64 exec, exec, s[16:17]
	v_or_b32_e32 v31, v37, v33
	v_or_b32_e32 v30, v36, v32
	;; [unrolled: 1-line block ×4, first 2 shown]
	v_pk_mul_f32 v[30:31], s[10:11], v[30:31]
	v_pk_mul_f32 v[32:33], s[10:11], v[32:33]
	s_and_saveexec_b64 s[16:17], vcc
; %bb.313:                              ;   in Loop: Header=BB208_236 Depth=1
	v_cmp_gt_i32_e64 s[0:1], s37, v66
	v_cndmask_b32_e64 v30, 0, v30, s[0:1]
	v_cmp_gt_i32_e64 s[0:1], s37, v68
	v_cndmask_b32_e64 v31, 0, v31, s[0:1]
	;; [unrolled: 2-line block ×4, first 2 shown]
; %bb.314:                              ;   in Loop: Header=BB208_236 Depth=1
	s_or_b64 exec, exec, s[16:17]
	global_load_dword v36, v[24:25], off offset:768
	v_pk_mov_b32 v[40:41], 0, 0
	v_pk_mov_b32 v[38:39], v[40:41], v[40:41] op_sel:[0,1]
	s_waitcnt vmcnt(0)
	v_cmp_ne_u16_sdwa s[0:1], v36, v15 src0_sel:BYTE_0 src1_sel:DWORD
	s_and_saveexec_b64 s[16:17], s[0:1]
	s_cbranch_execz .LBB208_320
; %bb.315:                              ;   in Loop: Header=BB208_236 Depth=1
	v_bfrev_b32_e32 v38, 1
	v_cmp_ne_u16_sdwa s[0:1], v36, s22 src0_sel:BYTE_0 src1_sel:DWORD
	v_mov_b32_e32 v39, 0
	s_and_saveexec_b64 s[18:19], s[0:1]
	s_cbranch_execz .LBB208_319
; %bb.316:                              ;   in Loop: Header=BB208_236 Depth=1
	v_and_b32_e32 v14, 0x7f, v36
	v_mov_b32_e32 v38, 0x7f800001
	v_cmp_ne_u32_e64 s[0:1], s23, v14
	v_mov_b32_e32 v39, 0
	s_and_saveexec_b64 s[20:21], s[0:1]
	s_cbranch_execz .LBB208_318
; %bb.317:                              ;   in Loop: Header=BB208_236 Depth=1
	v_and_b32_e32 v37, 7, v36
	v_ffbh_u32_e32 v38, v37
	v_min_u32_e32 v43, 32, v38
	v_subrev_u32_e32 v38, 28, v43
	v_lshlrev_b64 v[38:39], v38, v[36:37]
	v_lshrrev_b32_e32 v42, 3, v14
	v_sub_u32_e32 v39, 29, v43
	v_and_b32_e32 v38, 7, v38
	v_cmp_gt_u32_e64 s[0:1], 8, v14
	v_cndmask_b32_e64 v14, v42, v39, s[0:1]
	v_cndmask_b32_e64 v37, v37, v38, s[0:1]
	v_lshlrev_b32_e32 v37, 20, v37
	v_and_b32_sdwa v38, sext(v36), s7 dst_sel:DWORD dst_unused:UNUSED_PAD src0_sel:BYTE_0 src1_sel:DWORD
	v_lshl_add_u32 v14, v14, 23, v35
	v_or3_b32 v14, v38, v14, v37
	v_pk_mov_b32 v[38:39], v[14:15], v[14:15] op_sel:[0,1]
.LBB208_318:                            ;   in Loop: Header=BB208_236 Depth=1
	s_or_b64 exec, exec, s[20:21]
.LBB208_319:                            ;   in Loop: Header=BB208_236 Depth=1
	s_or_b64 exec, exec, s[18:19]
.LBB208_320:                            ;   in Loop: Header=BB208_236 Depth=1
	s_or_b64 exec, exec, s[16:17]
	v_cmp_ne_u16_sdwa s[0:1], v36, v15 src0_sel:BYTE_1 src1_sel:DWORD
	s_and_saveexec_b64 s[16:17], s[0:1]
	s_cbranch_execz .LBB208_326
; %bb.321:                              ;   in Loop: Header=BB208_236 Depth=1
	v_cmp_ne_u16_sdwa s[0:1], v36, s22 src0_sel:BYTE_1 src1_sel:DWORD
	v_pk_mov_b32 v[40:41], s[6:7], s[6:7] op_sel:[0,1]
	s_and_saveexec_b64 s[18:19], s[0:1]
	s_cbranch_execz .LBB208_325
; %bb.322:                              ;   in Loop: Header=BB208_236 Depth=1
	v_and_b32_sdwa v37, v36, s23 dst_sel:DWORD dst_unused:UNUSED_PAD src0_sel:BYTE_1 src1_sel:DWORD
	s_mov_b32 s14, s6
	v_cmp_ne_u32_e64 s[0:1], s23, v37
	v_pk_mov_b32 v[40:41], s[14:15], s[14:15] op_sel:[0,1]
	s_and_saveexec_b64 s[20:21], s[0:1]
	s_cbranch_execz .LBB208_324
; %bb.323:                              ;   in Loop: Header=BB208_236 Depth=1
	v_and_b32_sdwa v14, v36, v64 dst_sel:DWORD dst_unused:UNUSED_PAD src0_sel:BYTE_1 src1_sel:DWORD
	v_ffbh_u32_e32 v40, v14
	v_min_u32_e32 v43, 32, v40
	v_subrev_u32_e32 v40, 28, v43
	v_lshlrev_b64 v[40:41], v40, v[14:15]
	v_lshrrev_b32_e32 v42, 3, v37
	v_sub_u32_e32 v41, 29, v43
	v_cmp_gt_u32_e64 s[0:1], 8, v37
	v_and_b32_e32 v40, 7, v40
	v_cndmask_b32_e64 v37, v42, v41, s[0:1]
	v_cndmask_b32_e64 v14, v14, v40, s[0:1]
	v_lshlrev_b32_e32 v40, 16, v36
	v_lshl_add_u32 v37, v37, 23, v35
	v_and_or_b32 v37, v40, s7, v37
	v_lshlrev_b32_e32 v14, 20, v14
	v_or_b32_e32 v41, v37, v14
	v_mov_b32_e32 v40, v15
.LBB208_324:                            ;   in Loop: Header=BB208_236 Depth=1
	s_or_b64 exec, exec, s[20:21]
.LBB208_325:                            ;   in Loop: Header=BB208_236 Depth=1
	s_or_b64 exec, exec, s[18:19]
.LBB208_326:                            ;   in Loop: Header=BB208_236 Depth=1
	s_or_b64 exec, exec, s[16:17]
	v_lshrrev_b32_e32 v14, 16, v36
	v_pk_mov_b32 v[44:45], 0, 0
	v_cmp_ne_u16_sdwa s[0:1], v14, v15 src0_sel:BYTE_0 src1_sel:DWORD
	v_pk_mov_b32 v[42:43], v[44:45], v[44:45] op_sel:[0,1]
	s_and_saveexec_b64 s[16:17], s[0:1]
	s_cbranch_execz .LBB208_332
; %bb.327:                              ;   in Loop: Header=BB208_236 Depth=1
	v_bfrev_b32_e32 v42, 1
	v_cmp_ne_u16_sdwa s[0:1], v14, s22 src0_sel:BYTE_0 src1_sel:DWORD
	v_mov_b32_e32 v43, 0
	s_and_saveexec_b64 s[18:19], s[0:1]
	s_cbranch_execz .LBB208_331
; %bb.328:                              ;   in Loop: Header=BB208_236 Depth=1
	v_bfe_u32 v37, v36, 16, 7
	v_mov_b32_e32 v42, 0x7f800001
	v_cmp_ne_u32_e64 s[0:1], s23, v37
	v_mov_b32_e32 v43, 0
	s_and_saveexec_b64 s[20:21], s[0:1]
	s_cbranch_execz .LBB208_330
; %bb.329:                              ;   in Loop: Header=BB208_236 Depth=1
	v_and_b32_e32 v46, 7, v14
	v_ffbh_u32_e32 v42, v46
	v_min_u32_e32 v48, 32, v42
	v_subrev_u32_e32 v42, 28, v48
	v_lshlrev_b64 v[42:43], v42, v[14:15]
	v_lshrrev_b32_e32 v47, 3, v37
	v_sub_u32_e32 v43, 29, v48
	v_and_b32_e32 v42, 7, v42
	v_cmp_gt_u32_e64 s[0:1], 8, v37
	v_cndmask_b32_e64 v37, v47, v43, s[0:1]
	v_cndmask_b32_e64 v42, v46, v42, s[0:1]
	v_lshlrev_b32_e32 v42, 20, v42
	v_and_b32_sdwa v14, sext(v14), s7 dst_sel:DWORD dst_unused:UNUSED_PAD src0_sel:BYTE_0 src1_sel:DWORD
	v_lshl_add_u32 v37, v37, 23, v35
	v_or3_b32 v14, v14, v37, v42
	v_pk_mov_b32 v[42:43], v[14:15], v[14:15] op_sel:[0,1]
.LBB208_330:                            ;   in Loop: Header=BB208_236 Depth=1
	s_or_b64 exec, exec, s[20:21]
.LBB208_331:                            ;   in Loop: Header=BB208_236 Depth=1
	s_or_b64 exec, exec, s[18:19]
.LBB208_332:                            ;   in Loop: Header=BB208_236 Depth=1
	s_or_b64 exec, exec, s[16:17]
	v_cmp_lt_u32_e64 s[0:1], s24, v36
	s_and_saveexec_b64 s[16:17], s[0:1]
	s_cbranch_execz .LBB208_338
; %bb.333:                              ;   in Loop: Header=BB208_236 Depth=1
	v_cmp_ne_u32_sdwa s[0:1], v36, s22 src0_sel:BYTE_3 src1_sel:DWORD
	v_pk_mov_b32 v[44:45], s[6:7], s[6:7] op_sel:[0,1]
	s_and_saveexec_b64 s[18:19], s[0:1]
	s_cbranch_execz .LBB208_337
; %bb.334:                              ;   in Loop: Header=BB208_236 Depth=1
	v_bfe_u32 v37, v36, 24, 7
	s_mov_b32 s14, s6
	v_cmp_ne_u32_e64 s[0:1], s23, v37
	v_pk_mov_b32 v[44:45], s[14:15], s[14:15] op_sel:[0,1]
	s_and_saveexec_b64 s[20:21], s[0:1]
	s_cbranch_execz .LBB208_336
; %bb.335:                              ;   in Loop: Header=BB208_236 Depth=1
	v_and_b32_sdwa v14, v36, v64 dst_sel:DWORD dst_unused:UNUSED_PAD src0_sel:BYTE_3 src1_sel:DWORD
	v_ffbh_u32_e32 v44, v14
	v_min_u32_e32 v47, 32, v44
	v_subrev_u32_e32 v44, 28, v47
	v_lshlrev_b64 v[44:45], v44, v[14:15]
	v_lshrrev_b32_e32 v46, 3, v37
	v_sub_u32_e32 v45, 29, v47
	v_cmp_gt_u32_e64 s[0:1], 8, v37
	v_and_b32_e32 v44, 7, v44
	v_cndmask_b32_e64 v37, v46, v45, s[0:1]
	v_cndmask_b32_e64 v14, v14, v44, s[0:1]
	v_lshlrev_b32_sdwa v36, v65, v36 dst_sel:DWORD dst_unused:UNUSED_PAD src0_sel:DWORD src1_sel:BYTE_3
	v_lshl_add_u32 v37, v37, 23, v35
	v_and_or_b32 v36, v36, s7, v37
	v_lshlrev_b32_e32 v14, 20, v14
	v_or_b32_e32 v45, v36, v14
	v_mov_b32_e32 v44, v15
.LBB208_336:                            ;   in Loop: Header=BB208_236 Depth=1
	s_or_b64 exec, exec, s[20:21]
.LBB208_337:                            ;   in Loop: Header=BB208_236 Depth=1
	s_or_b64 exec, exec, s[18:19]
.LBB208_338:                            ;   in Loop: Header=BB208_236 Depth=1
	s_or_b64 exec, exec, s[16:17]
	v_or_b32_e32 v37, v41, v39
	v_or_b32_e32 v36, v40, v38
	;; [unrolled: 1-line block ×4, first 2 shown]
	v_pk_mul_f32 v[36:37], s[10:11], v[36:37]
	v_pk_mul_f32 v[38:39], s[10:11], v[38:39]
	s_and_saveexec_b64 s[16:17], vcc
; %bb.339:                              ;   in Loop: Header=BB208_236 Depth=1
	v_cmp_gt_i32_e64 s[0:1], s37, v66
	v_cndmask_b32_e64 v36, 0, v36, s[0:1]
	v_cmp_gt_i32_e64 s[0:1], s37, v68
	v_cndmask_b32_e64 v37, 0, v37, s[0:1]
	;; [unrolled: 2-line block ×4, first 2 shown]
; %bb.340:                              ;   in Loop: Header=BB208_236 Depth=1
	s_or_b64 exec, exec, s[16:17]
	global_load_dword v40, v[24:25], off offset:1024
	v_pk_mov_b32 v[44:45], 0, 0
	v_pk_mov_b32 v[42:43], v[44:45], v[44:45] op_sel:[0,1]
	s_waitcnt vmcnt(0)
	v_cmp_ne_u16_sdwa s[0:1], v40, v15 src0_sel:BYTE_0 src1_sel:DWORD
	s_and_saveexec_b64 s[16:17], s[0:1]
	s_cbranch_execz .LBB208_346
; %bb.341:                              ;   in Loop: Header=BB208_236 Depth=1
	v_bfrev_b32_e32 v42, 1
	v_cmp_ne_u16_sdwa s[0:1], v40, s22 src0_sel:BYTE_0 src1_sel:DWORD
	v_mov_b32_e32 v43, 0
	s_and_saveexec_b64 s[18:19], s[0:1]
	s_cbranch_execz .LBB208_345
; %bb.342:                              ;   in Loop: Header=BB208_236 Depth=1
	v_and_b32_e32 v14, 0x7f, v40
	v_mov_b32_e32 v42, 0x7f800001
	v_cmp_ne_u32_e64 s[0:1], s23, v14
	v_mov_b32_e32 v43, 0
	s_and_saveexec_b64 s[20:21], s[0:1]
	s_cbranch_execz .LBB208_344
; %bb.343:                              ;   in Loop: Header=BB208_236 Depth=1
	v_and_b32_e32 v41, 7, v40
	v_ffbh_u32_e32 v42, v41
	v_min_u32_e32 v47, 32, v42
	v_subrev_u32_e32 v42, 28, v47
	v_lshlrev_b64 v[42:43], v42, v[40:41]
	v_lshrrev_b32_e32 v46, 3, v14
	v_sub_u32_e32 v43, 29, v47
	v_and_b32_e32 v42, 7, v42
	v_cmp_gt_u32_e64 s[0:1], 8, v14
	v_cndmask_b32_e64 v14, v46, v43, s[0:1]
	v_cndmask_b32_e64 v41, v41, v42, s[0:1]
	v_lshlrev_b32_e32 v41, 20, v41
	v_and_b32_sdwa v42, sext(v40), s7 dst_sel:DWORD dst_unused:UNUSED_PAD src0_sel:BYTE_0 src1_sel:DWORD
	v_lshl_add_u32 v14, v14, 23, v35
	v_or3_b32 v14, v42, v14, v41
	v_pk_mov_b32 v[42:43], v[14:15], v[14:15] op_sel:[0,1]
.LBB208_344:                            ;   in Loop: Header=BB208_236 Depth=1
	s_or_b64 exec, exec, s[20:21]
.LBB208_345:                            ;   in Loop: Header=BB208_236 Depth=1
	s_or_b64 exec, exec, s[18:19]
.LBB208_346:                            ;   in Loop: Header=BB208_236 Depth=1
	s_or_b64 exec, exec, s[16:17]
	v_cmp_ne_u16_sdwa s[0:1], v40, v15 src0_sel:BYTE_1 src1_sel:DWORD
	s_and_saveexec_b64 s[16:17], s[0:1]
	s_cbranch_execz .LBB208_352
; %bb.347:                              ;   in Loop: Header=BB208_236 Depth=1
	v_cmp_ne_u16_sdwa s[0:1], v40, s22 src0_sel:BYTE_1 src1_sel:DWORD
	v_pk_mov_b32 v[44:45], s[6:7], s[6:7] op_sel:[0,1]
	s_and_saveexec_b64 s[18:19], s[0:1]
	s_cbranch_execz .LBB208_351
; %bb.348:                              ;   in Loop: Header=BB208_236 Depth=1
	v_and_b32_sdwa v41, v40, s23 dst_sel:DWORD dst_unused:UNUSED_PAD src0_sel:BYTE_1 src1_sel:DWORD
	s_mov_b32 s14, s6
	v_cmp_ne_u32_e64 s[0:1], s23, v41
	v_pk_mov_b32 v[44:45], s[14:15], s[14:15] op_sel:[0,1]
	s_and_saveexec_b64 s[20:21], s[0:1]
	s_cbranch_execz .LBB208_350
; %bb.349:                              ;   in Loop: Header=BB208_236 Depth=1
	v_and_b32_sdwa v14, v40, v64 dst_sel:DWORD dst_unused:UNUSED_PAD src0_sel:BYTE_1 src1_sel:DWORD
	v_ffbh_u32_e32 v44, v14
	v_min_u32_e32 v47, 32, v44
	v_subrev_u32_e32 v44, 28, v47
	v_lshlrev_b64 v[44:45], v44, v[14:15]
	v_lshrrev_b32_e32 v46, 3, v41
	v_sub_u32_e32 v45, 29, v47
	v_cmp_gt_u32_e64 s[0:1], 8, v41
	v_and_b32_e32 v44, 7, v44
	v_cndmask_b32_e64 v41, v46, v45, s[0:1]
	v_cndmask_b32_e64 v14, v14, v44, s[0:1]
	v_lshlrev_b32_e32 v44, 16, v40
	v_lshl_add_u32 v41, v41, 23, v35
	v_and_or_b32 v41, v44, s7, v41
	v_lshlrev_b32_e32 v14, 20, v14
	v_or_b32_e32 v45, v41, v14
	v_mov_b32_e32 v44, v15
.LBB208_350:                            ;   in Loop: Header=BB208_236 Depth=1
	s_or_b64 exec, exec, s[20:21]
.LBB208_351:                            ;   in Loop: Header=BB208_236 Depth=1
	s_or_b64 exec, exec, s[18:19]
.LBB208_352:                            ;   in Loop: Header=BB208_236 Depth=1
	s_or_b64 exec, exec, s[16:17]
	v_lshrrev_b32_e32 v14, 16, v40
	v_pk_mov_b32 v[48:49], 0, 0
	v_cmp_ne_u16_sdwa s[0:1], v14, v15 src0_sel:BYTE_0 src1_sel:DWORD
	v_pk_mov_b32 v[46:47], v[48:49], v[48:49] op_sel:[0,1]
	s_and_saveexec_b64 s[16:17], s[0:1]
	s_cbranch_execz .LBB208_358
; %bb.353:                              ;   in Loop: Header=BB208_236 Depth=1
	v_bfrev_b32_e32 v46, 1
	v_cmp_ne_u16_sdwa s[0:1], v14, s22 src0_sel:BYTE_0 src1_sel:DWORD
	v_mov_b32_e32 v47, 0
	s_and_saveexec_b64 s[18:19], s[0:1]
	s_cbranch_execz .LBB208_357
; %bb.354:                              ;   in Loop: Header=BB208_236 Depth=1
	v_bfe_u32 v41, v40, 16, 7
	v_mov_b32_e32 v46, 0x7f800001
	v_cmp_ne_u32_e64 s[0:1], s23, v41
	v_mov_b32_e32 v47, 0
	s_and_saveexec_b64 s[20:21], s[0:1]
	s_cbranch_execz .LBB208_356
; %bb.355:                              ;   in Loop: Header=BB208_236 Depth=1
	v_and_b32_e32 v50, 7, v14
	v_ffbh_u32_e32 v46, v50
	v_min_u32_e32 v52, 32, v46
	v_subrev_u32_e32 v46, 28, v52
	v_lshlrev_b64 v[46:47], v46, v[14:15]
	v_lshrrev_b32_e32 v51, 3, v41
	v_sub_u32_e32 v47, 29, v52
	v_and_b32_e32 v46, 7, v46
	v_cmp_gt_u32_e64 s[0:1], 8, v41
	v_cndmask_b32_e64 v41, v51, v47, s[0:1]
	v_cndmask_b32_e64 v46, v50, v46, s[0:1]
	v_lshlrev_b32_e32 v46, 20, v46
	v_and_b32_sdwa v14, sext(v14), s7 dst_sel:DWORD dst_unused:UNUSED_PAD src0_sel:BYTE_0 src1_sel:DWORD
	v_lshl_add_u32 v41, v41, 23, v35
	v_or3_b32 v14, v14, v41, v46
	v_pk_mov_b32 v[46:47], v[14:15], v[14:15] op_sel:[0,1]
.LBB208_356:                            ;   in Loop: Header=BB208_236 Depth=1
	s_or_b64 exec, exec, s[20:21]
.LBB208_357:                            ;   in Loop: Header=BB208_236 Depth=1
	s_or_b64 exec, exec, s[18:19]
.LBB208_358:                            ;   in Loop: Header=BB208_236 Depth=1
	s_or_b64 exec, exec, s[16:17]
	v_cmp_lt_u32_e64 s[0:1], s24, v40
	s_and_saveexec_b64 s[16:17], s[0:1]
	s_cbranch_execz .LBB208_364
; %bb.359:                              ;   in Loop: Header=BB208_236 Depth=1
	v_cmp_ne_u32_sdwa s[0:1], v40, s22 src0_sel:BYTE_3 src1_sel:DWORD
	v_pk_mov_b32 v[48:49], s[6:7], s[6:7] op_sel:[0,1]
	s_and_saveexec_b64 s[18:19], s[0:1]
	s_cbranch_execz .LBB208_363
; %bb.360:                              ;   in Loop: Header=BB208_236 Depth=1
	v_bfe_u32 v41, v40, 24, 7
	s_mov_b32 s14, s6
	v_cmp_ne_u32_e64 s[0:1], s23, v41
	v_pk_mov_b32 v[48:49], s[14:15], s[14:15] op_sel:[0,1]
	s_and_saveexec_b64 s[20:21], s[0:1]
	s_cbranch_execz .LBB208_362
; %bb.361:                              ;   in Loop: Header=BB208_236 Depth=1
	v_and_b32_sdwa v14, v40, v64 dst_sel:DWORD dst_unused:UNUSED_PAD src0_sel:BYTE_3 src1_sel:DWORD
	v_ffbh_u32_e32 v48, v14
	v_min_u32_e32 v51, 32, v48
	v_subrev_u32_e32 v48, 28, v51
	v_lshlrev_b64 v[48:49], v48, v[14:15]
	v_lshrrev_b32_e32 v50, 3, v41
	v_sub_u32_e32 v49, 29, v51
	v_cmp_gt_u32_e64 s[0:1], 8, v41
	v_and_b32_e32 v48, 7, v48
	v_cndmask_b32_e64 v41, v50, v49, s[0:1]
	v_cndmask_b32_e64 v14, v14, v48, s[0:1]
	v_lshlrev_b32_sdwa v40, v65, v40 dst_sel:DWORD dst_unused:UNUSED_PAD src0_sel:DWORD src1_sel:BYTE_3
	v_lshl_add_u32 v41, v41, 23, v35
	v_and_or_b32 v40, v40, s7, v41
	v_lshlrev_b32_e32 v14, 20, v14
	v_or_b32_e32 v49, v40, v14
	v_mov_b32_e32 v48, v15
.LBB208_362:                            ;   in Loop: Header=BB208_236 Depth=1
	s_or_b64 exec, exec, s[20:21]
.LBB208_363:                            ;   in Loop: Header=BB208_236 Depth=1
	s_or_b64 exec, exec, s[18:19]
.LBB208_364:                            ;   in Loop: Header=BB208_236 Depth=1
	s_or_b64 exec, exec, s[16:17]
	v_or_b32_e32 v41, v45, v43
	v_or_b32_e32 v40, v44, v42
	;; [unrolled: 1-line block ×4, first 2 shown]
	v_pk_mul_f32 v[40:41], s[10:11], v[40:41]
	v_pk_mul_f32 v[42:43], s[10:11], v[42:43]
	s_and_saveexec_b64 s[16:17], vcc
; %bb.365:                              ;   in Loop: Header=BB208_236 Depth=1
	v_cmp_gt_i32_e64 s[0:1], s37, v66
	v_cndmask_b32_e64 v40, 0, v40, s[0:1]
	v_cmp_gt_i32_e64 s[0:1], s37, v68
	v_cndmask_b32_e64 v41, 0, v41, s[0:1]
	;; [unrolled: 2-line block ×4, first 2 shown]
; %bb.366:                              ;   in Loop: Header=BB208_236 Depth=1
	s_or_b64 exec, exec, s[16:17]
	global_load_dword v44, v[24:25], off offset:1280
	v_pk_mov_b32 v[48:49], 0, 0
	v_pk_mov_b32 v[46:47], v[48:49], v[48:49] op_sel:[0,1]
	s_waitcnt vmcnt(0)
	v_cmp_ne_u16_sdwa s[0:1], v44, v15 src0_sel:BYTE_0 src1_sel:DWORD
	s_and_saveexec_b64 s[16:17], s[0:1]
	s_cbranch_execz .LBB208_372
; %bb.367:                              ;   in Loop: Header=BB208_236 Depth=1
	v_bfrev_b32_e32 v46, 1
	v_cmp_ne_u16_sdwa s[0:1], v44, s22 src0_sel:BYTE_0 src1_sel:DWORD
	v_mov_b32_e32 v47, 0
	s_and_saveexec_b64 s[18:19], s[0:1]
	s_cbranch_execz .LBB208_371
; %bb.368:                              ;   in Loop: Header=BB208_236 Depth=1
	v_and_b32_e32 v14, 0x7f, v44
	v_mov_b32_e32 v46, 0x7f800001
	v_cmp_ne_u32_e64 s[0:1], s23, v14
	v_mov_b32_e32 v47, 0
	s_and_saveexec_b64 s[20:21], s[0:1]
	s_cbranch_execz .LBB208_370
; %bb.369:                              ;   in Loop: Header=BB208_236 Depth=1
	v_and_b32_e32 v45, 7, v44
	v_ffbh_u32_e32 v46, v45
	v_min_u32_e32 v51, 32, v46
	v_subrev_u32_e32 v46, 28, v51
	v_lshlrev_b64 v[46:47], v46, v[44:45]
	v_lshrrev_b32_e32 v50, 3, v14
	v_sub_u32_e32 v47, 29, v51
	v_and_b32_e32 v46, 7, v46
	v_cmp_gt_u32_e64 s[0:1], 8, v14
	v_cndmask_b32_e64 v14, v50, v47, s[0:1]
	v_cndmask_b32_e64 v45, v45, v46, s[0:1]
	v_lshlrev_b32_e32 v45, 20, v45
	v_and_b32_sdwa v46, sext(v44), s7 dst_sel:DWORD dst_unused:UNUSED_PAD src0_sel:BYTE_0 src1_sel:DWORD
	v_lshl_add_u32 v14, v14, 23, v35
	v_or3_b32 v14, v46, v14, v45
	v_pk_mov_b32 v[46:47], v[14:15], v[14:15] op_sel:[0,1]
.LBB208_370:                            ;   in Loop: Header=BB208_236 Depth=1
	s_or_b64 exec, exec, s[20:21]
.LBB208_371:                            ;   in Loop: Header=BB208_236 Depth=1
	s_or_b64 exec, exec, s[18:19]
.LBB208_372:                            ;   in Loop: Header=BB208_236 Depth=1
	s_or_b64 exec, exec, s[16:17]
	v_cmp_ne_u16_sdwa s[0:1], v44, v15 src0_sel:BYTE_1 src1_sel:DWORD
	s_and_saveexec_b64 s[16:17], s[0:1]
	s_cbranch_execz .LBB208_378
; %bb.373:                              ;   in Loop: Header=BB208_236 Depth=1
	v_cmp_ne_u16_sdwa s[0:1], v44, s22 src0_sel:BYTE_1 src1_sel:DWORD
	v_pk_mov_b32 v[48:49], s[6:7], s[6:7] op_sel:[0,1]
	s_and_saveexec_b64 s[18:19], s[0:1]
	s_cbranch_execz .LBB208_377
; %bb.374:                              ;   in Loop: Header=BB208_236 Depth=1
	v_and_b32_sdwa v45, v44, s23 dst_sel:DWORD dst_unused:UNUSED_PAD src0_sel:BYTE_1 src1_sel:DWORD
	s_mov_b32 s14, s6
	v_cmp_ne_u32_e64 s[0:1], s23, v45
	v_pk_mov_b32 v[48:49], s[14:15], s[14:15] op_sel:[0,1]
	s_and_saveexec_b64 s[20:21], s[0:1]
	s_cbranch_execz .LBB208_376
; %bb.375:                              ;   in Loop: Header=BB208_236 Depth=1
	v_and_b32_sdwa v14, v44, v64 dst_sel:DWORD dst_unused:UNUSED_PAD src0_sel:BYTE_1 src1_sel:DWORD
	v_ffbh_u32_e32 v48, v14
	v_min_u32_e32 v51, 32, v48
	v_subrev_u32_e32 v48, 28, v51
	v_lshlrev_b64 v[48:49], v48, v[14:15]
	v_lshrrev_b32_e32 v50, 3, v45
	v_sub_u32_e32 v49, 29, v51
	v_cmp_gt_u32_e64 s[0:1], 8, v45
	v_and_b32_e32 v48, 7, v48
	v_cndmask_b32_e64 v45, v50, v49, s[0:1]
	v_cndmask_b32_e64 v14, v14, v48, s[0:1]
	v_lshlrev_b32_e32 v48, 16, v44
	v_lshl_add_u32 v45, v45, 23, v35
	v_and_or_b32 v45, v48, s7, v45
	v_lshlrev_b32_e32 v14, 20, v14
	v_or_b32_e32 v49, v45, v14
	v_mov_b32_e32 v48, v15
.LBB208_376:                            ;   in Loop: Header=BB208_236 Depth=1
	s_or_b64 exec, exec, s[20:21]
.LBB208_377:                            ;   in Loop: Header=BB208_236 Depth=1
	s_or_b64 exec, exec, s[18:19]
.LBB208_378:                            ;   in Loop: Header=BB208_236 Depth=1
	s_or_b64 exec, exec, s[16:17]
	v_lshrrev_b32_e32 v14, 16, v44
	v_pk_mov_b32 v[52:53], 0, 0
	v_cmp_ne_u16_sdwa s[0:1], v14, v15 src0_sel:BYTE_0 src1_sel:DWORD
	v_pk_mov_b32 v[50:51], v[52:53], v[52:53] op_sel:[0,1]
	s_and_saveexec_b64 s[16:17], s[0:1]
	s_cbranch_execz .LBB208_384
; %bb.379:                              ;   in Loop: Header=BB208_236 Depth=1
	v_bfrev_b32_e32 v50, 1
	v_cmp_ne_u16_sdwa s[0:1], v14, s22 src0_sel:BYTE_0 src1_sel:DWORD
	v_mov_b32_e32 v51, 0
	s_and_saveexec_b64 s[18:19], s[0:1]
	s_cbranch_execz .LBB208_383
; %bb.380:                              ;   in Loop: Header=BB208_236 Depth=1
	v_bfe_u32 v45, v44, 16, 7
	v_mov_b32_e32 v50, 0x7f800001
	v_cmp_ne_u32_e64 s[0:1], s23, v45
	v_mov_b32_e32 v51, 0
	s_and_saveexec_b64 s[20:21], s[0:1]
	s_cbranch_execz .LBB208_382
; %bb.381:                              ;   in Loop: Header=BB208_236 Depth=1
	v_and_b32_e32 v54, 7, v14
	v_ffbh_u32_e32 v50, v54
	v_min_u32_e32 v56, 32, v50
	v_subrev_u32_e32 v50, 28, v56
	v_lshlrev_b64 v[50:51], v50, v[14:15]
	v_lshrrev_b32_e32 v55, 3, v45
	v_sub_u32_e32 v51, 29, v56
	v_and_b32_e32 v50, 7, v50
	v_cmp_gt_u32_e64 s[0:1], 8, v45
	v_cndmask_b32_e64 v45, v55, v51, s[0:1]
	v_cndmask_b32_e64 v50, v54, v50, s[0:1]
	v_lshlrev_b32_e32 v50, 20, v50
	v_and_b32_sdwa v14, sext(v14), s7 dst_sel:DWORD dst_unused:UNUSED_PAD src0_sel:BYTE_0 src1_sel:DWORD
	v_lshl_add_u32 v45, v45, 23, v35
	v_or3_b32 v14, v14, v45, v50
	v_pk_mov_b32 v[50:51], v[14:15], v[14:15] op_sel:[0,1]
.LBB208_382:                            ;   in Loop: Header=BB208_236 Depth=1
	s_or_b64 exec, exec, s[20:21]
.LBB208_383:                            ;   in Loop: Header=BB208_236 Depth=1
	s_or_b64 exec, exec, s[18:19]
.LBB208_384:                            ;   in Loop: Header=BB208_236 Depth=1
	s_or_b64 exec, exec, s[16:17]
	v_cmp_lt_u32_e64 s[0:1], s24, v44
	s_and_saveexec_b64 s[16:17], s[0:1]
	s_cbranch_execz .LBB208_390
; %bb.385:                              ;   in Loop: Header=BB208_236 Depth=1
	v_cmp_ne_u32_sdwa s[0:1], v44, s22 src0_sel:BYTE_3 src1_sel:DWORD
	v_pk_mov_b32 v[52:53], s[6:7], s[6:7] op_sel:[0,1]
	s_and_saveexec_b64 s[18:19], s[0:1]
	s_cbranch_execz .LBB208_389
; %bb.386:                              ;   in Loop: Header=BB208_236 Depth=1
	v_bfe_u32 v45, v44, 24, 7
	s_mov_b32 s14, s6
	v_cmp_ne_u32_e64 s[0:1], s23, v45
	v_pk_mov_b32 v[52:53], s[14:15], s[14:15] op_sel:[0,1]
	s_and_saveexec_b64 s[20:21], s[0:1]
	s_cbranch_execz .LBB208_388
; %bb.387:                              ;   in Loop: Header=BB208_236 Depth=1
	v_and_b32_sdwa v14, v44, v64 dst_sel:DWORD dst_unused:UNUSED_PAD src0_sel:BYTE_3 src1_sel:DWORD
	v_ffbh_u32_e32 v52, v14
	v_min_u32_e32 v55, 32, v52
	v_subrev_u32_e32 v52, 28, v55
	v_lshlrev_b64 v[52:53], v52, v[14:15]
	v_lshrrev_b32_e32 v54, 3, v45
	v_sub_u32_e32 v53, 29, v55
	v_cmp_gt_u32_e64 s[0:1], 8, v45
	v_and_b32_e32 v52, 7, v52
	v_cndmask_b32_e64 v45, v54, v53, s[0:1]
	v_cndmask_b32_e64 v14, v14, v52, s[0:1]
	v_lshlrev_b32_sdwa v44, v65, v44 dst_sel:DWORD dst_unused:UNUSED_PAD src0_sel:DWORD src1_sel:BYTE_3
	v_lshl_add_u32 v45, v45, 23, v35
	v_and_or_b32 v44, v44, s7, v45
	v_lshlrev_b32_e32 v14, 20, v14
	v_or_b32_e32 v53, v44, v14
	v_mov_b32_e32 v52, v15
.LBB208_388:                            ;   in Loop: Header=BB208_236 Depth=1
	s_or_b64 exec, exec, s[20:21]
.LBB208_389:                            ;   in Loop: Header=BB208_236 Depth=1
	s_or_b64 exec, exec, s[18:19]
.LBB208_390:                            ;   in Loop: Header=BB208_236 Depth=1
	s_or_b64 exec, exec, s[16:17]
	v_or_b32_e32 v45, v49, v47
	v_or_b32_e32 v44, v48, v46
	;; [unrolled: 1-line block ×4, first 2 shown]
	v_pk_mul_f32 v[44:45], s[10:11], v[44:45]
	v_pk_mul_f32 v[46:47], s[10:11], v[46:47]
	s_and_saveexec_b64 s[16:17], vcc
; %bb.391:                              ;   in Loop: Header=BB208_236 Depth=1
	v_cmp_gt_i32_e64 s[0:1], s37, v66
	v_cndmask_b32_e64 v44, 0, v44, s[0:1]
	v_cmp_gt_i32_e64 s[0:1], s37, v68
	v_cndmask_b32_e64 v45, 0, v45, s[0:1]
	;; [unrolled: 2-line block ×4, first 2 shown]
; %bb.392:                              ;   in Loop: Header=BB208_236 Depth=1
	s_or_b64 exec, exec, s[16:17]
	global_load_dword v48, v[24:25], off offset:1536
	v_pk_mov_b32 v[52:53], 0, 0
	v_pk_mov_b32 v[50:51], v[52:53], v[52:53] op_sel:[0,1]
	s_waitcnt vmcnt(0)
	v_cmp_ne_u16_sdwa s[0:1], v48, v15 src0_sel:BYTE_0 src1_sel:DWORD
	s_and_saveexec_b64 s[16:17], s[0:1]
	s_cbranch_execz .LBB208_398
; %bb.393:                              ;   in Loop: Header=BB208_236 Depth=1
	v_bfrev_b32_e32 v50, 1
	v_cmp_ne_u16_sdwa s[0:1], v48, s22 src0_sel:BYTE_0 src1_sel:DWORD
	v_mov_b32_e32 v51, 0
	s_and_saveexec_b64 s[18:19], s[0:1]
	s_cbranch_execz .LBB208_397
; %bb.394:                              ;   in Loop: Header=BB208_236 Depth=1
	v_and_b32_e32 v14, 0x7f, v48
	v_mov_b32_e32 v50, 0x7f800001
	v_cmp_ne_u32_e64 s[0:1], s23, v14
	v_mov_b32_e32 v51, 0
	s_and_saveexec_b64 s[20:21], s[0:1]
	s_cbranch_execz .LBB208_396
; %bb.395:                              ;   in Loop: Header=BB208_236 Depth=1
	v_and_b32_e32 v49, 7, v48
	v_ffbh_u32_e32 v50, v49
	v_min_u32_e32 v55, 32, v50
	v_subrev_u32_e32 v50, 28, v55
	v_lshlrev_b64 v[50:51], v50, v[48:49]
	v_lshrrev_b32_e32 v54, 3, v14
	v_sub_u32_e32 v51, 29, v55
	v_and_b32_e32 v50, 7, v50
	v_cmp_gt_u32_e64 s[0:1], 8, v14
	v_cndmask_b32_e64 v14, v54, v51, s[0:1]
	v_cndmask_b32_e64 v49, v49, v50, s[0:1]
	v_lshlrev_b32_e32 v49, 20, v49
	v_and_b32_sdwa v50, sext(v48), s7 dst_sel:DWORD dst_unused:UNUSED_PAD src0_sel:BYTE_0 src1_sel:DWORD
	v_lshl_add_u32 v14, v14, 23, v35
	v_or3_b32 v14, v50, v14, v49
	v_pk_mov_b32 v[50:51], v[14:15], v[14:15] op_sel:[0,1]
.LBB208_396:                            ;   in Loop: Header=BB208_236 Depth=1
	s_or_b64 exec, exec, s[20:21]
.LBB208_397:                            ;   in Loop: Header=BB208_236 Depth=1
	s_or_b64 exec, exec, s[18:19]
.LBB208_398:                            ;   in Loop: Header=BB208_236 Depth=1
	s_or_b64 exec, exec, s[16:17]
	v_cmp_ne_u16_sdwa s[0:1], v48, v15 src0_sel:BYTE_1 src1_sel:DWORD
	s_and_saveexec_b64 s[16:17], s[0:1]
	s_cbranch_execz .LBB208_404
; %bb.399:                              ;   in Loop: Header=BB208_236 Depth=1
	v_cmp_ne_u16_sdwa s[0:1], v48, s22 src0_sel:BYTE_1 src1_sel:DWORD
	v_pk_mov_b32 v[52:53], s[6:7], s[6:7] op_sel:[0,1]
	s_and_saveexec_b64 s[18:19], s[0:1]
	s_cbranch_execz .LBB208_403
; %bb.400:                              ;   in Loop: Header=BB208_236 Depth=1
	v_and_b32_sdwa v49, v48, s23 dst_sel:DWORD dst_unused:UNUSED_PAD src0_sel:BYTE_1 src1_sel:DWORD
	s_mov_b32 s14, s6
	v_cmp_ne_u32_e64 s[0:1], s23, v49
	v_pk_mov_b32 v[52:53], s[14:15], s[14:15] op_sel:[0,1]
	s_and_saveexec_b64 s[20:21], s[0:1]
	s_cbranch_execz .LBB208_402
; %bb.401:                              ;   in Loop: Header=BB208_236 Depth=1
	v_and_b32_sdwa v14, v48, v64 dst_sel:DWORD dst_unused:UNUSED_PAD src0_sel:BYTE_1 src1_sel:DWORD
	v_ffbh_u32_e32 v52, v14
	v_min_u32_e32 v55, 32, v52
	v_subrev_u32_e32 v52, 28, v55
	v_lshlrev_b64 v[52:53], v52, v[14:15]
	v_lshrrev_b32_e32 v54, 3, v49
	v_sub_u32_e32 v53, 29, v55
	v_cmp_gt_u32_e64 s[0:1], 8, v49
	v_and_b32_e32 v52, 7, v52
	v_cndmask_b32_e64 v49, v54, v53, s[0:1]
	v_cndmask_b32_e64 v14, v14, v52, s[0:1]
	v_lshlrev_b32_e32 v52, 16, v48
	v_lshl_add_u32 v49, v49, 23, v35
	v_and_or_b32 v49, v52, s7, v49
	v_lshlrev_b32_e32 v14, 20, v14
	v_or_b32_e32 v53, v49, v14
	v_mov_b32_e32 v52, v15
.LBB208_402:                            ;   in Loop: Header=BB208_236 Depth=1
	s_or_b64 exec, exec, s[20:21]
.LBB208_403:                            ;   in Loop: Header=BB208_236 Depth=1
	s_or_b64 exec, exec, s[18:19]
.LBB208_404:                            ;   in Loop: Header=BB208_236 Depth=1
	s_or_b64 exec, exec, s[16:17]
	v_lshrrev_b32_e32 v14, 16, v48
	v_pk_mov_b32 v[56:57], 0, 0
	v_cmp_ne_u16_sdwa s[0:1], v14, v15 src0_sel:BYTE_0 src1_sel:DWORD
	v_pk_mov_b32 v[54:55], v[56:57], v[56:57] op_sel:[0,1]
	s_and_saveexec_b64 s[16:17], s[0:1]
	s_cbranch_execz .LBB208_410
; %bb.405:                              ;   in Loop: Header=BB208_236 Depth=1
	v_bfrev_b32_e32 v54, 1
	v_cmp_ne_u16_sdwa s[0:1], v14, s22 src0_sel:BYTE_0 src1_sel:DWORD
	v_mov_b32_e32 v55, 0
	s_and_saveexec_b64 s[18:19], s[0:1]
	s_cbranch_execz .LBB208_409
; %bb.406:                              ;   in Loop: Header=BB208_236 Depth=1
	v_bfe_u32 v49, v48, 16, 7
	v_mov_b32_e32 v54, 0x7f800001
	v_cmp_ne_u32_e64 s[0:1], s23, v49
	v_mov_b32_e32 v55, 0
	s_and_saveexec_b64 s[20:21], s[0:1]
	s_cbranch_execz .LBB208_408
; %bb.407:                              ;   in Loop: Header=BB208_236 Depth=1
	v_and_b32_e32 v58, 7, v14
	v_ffbh_u32_e32 v54, v58
	v_min_u32_e32 v69, 32, v54
	v_subrev_u32_e32 v54, 28, v69
	v_lshlrev_b64 v[54:55], v54, v[14:15]
	v_lshrrev_b32_e32 v59, 3, v49
	v_sub_u32_e32 v55, 29, v69
	v_and_b32_e32 v54, 7, v54
	v_cmp_gt_u32_e64 s[0:1], 8, v49
	v_cndmask_b32_e64 v49, v59, v55, s[0:1]
	v_cndmask_b32_e64 v54, v58, v54, s[0:1]
	v_lshlrev_b32_e32 v54, 20, v54
	v_and_b32_sdwa v14, sext(v14), s7 dst_sel:DWORD dst_unused:UNUSED_PAD src0_sel:BYTE_0 src1_sel:DWORD
	v_lshl_add_u32 v49, v49, 23, v35
	v_or3_b32 v14, v14, v49, v54
	v_pk_mov_b32 v[54:55], v[14:15], v[14:15] op_sel:[0,1]
.LBB208_408:                            ;   in Loop: Header=BB208_236 Depth=1
	s_or_b64 exec, exec, s[20:21]
.LBB208_409:                            ;   in Loop: Header=BB208_236 Depth=1
	s_or_b64 exec, exec, s[18:19]
.LBB208_410:                            ;   in Loop: Header=BB208_236 Depth=1
	s_or_b64 exec, exec, s[16:17]
	v_cmp_lt_u32_e64 s[0:1], s24, v48
	s_and_saveexec_b64 s[16:17], s[0:1]
	s_cbranch_execz .LBB208_416
; %bb.411:                              ;   in Loop: Header=BB208_236 Depth=1
	v_cmp_ne_u32_sdwa s[0:1], v48, s22 src0_sel:BYTE_3 src1_sel:DWORD
	v_pk_mov_b32 v[56:57], s[6:7], s[6:7] op_sel:[0,1]
	s_and_saveexec_b64 s[18:19], s[0:1]
	s_cbranch_execz .LBB208_415
; %bb.412:                              ;   in Loop: Header=BB208_236 Depth=1
	v_bfe_u32 v49, v48, 24, 7
	s_mov_b32 s14, s6
	v_cmp_ne_u32_e64 s[0:1], s23, v49
	v_pk_mov_b32 v[56:57], s[14:15], s[14:15] op_sel:[0,1]
	s_and_saveexec_b64 s[20:21], s[0:1]
	s_cbranch_execz .LBB208_414
; %bb.413:                              ;   in Loop: Header=BB208_236 Depth=1
	v_and_b32_sdwa v14, v48, v64 dst_sel:DWORD dst_unused:UNUSED_PAD src0_sel:BYTE_3 src1_sel:DWORD
	v_ffbh_u32_e32 v56, v14
	v_min_u32_e32 v59, 32, v56
	v_subrev_u32_e32 v56, 28, v59
	v_lshlrev_b64 v[56:57], v56, v[14:15]
	v_lshrrev_b32_e32 v58, 3, v49
	v_sub_u32_e32 v57, 29, v59
	v_cmp_gt_u32_e64 s[0:1], 8, v49
	v_and_b32_e32 v56, 7, v56
	v_cndmask_b32_e64 v49, v58, v57, s[0:1]
	v_cndmask_b32_e64 v14, v14, v56, s[0:1]
	v_lshlrev_b32_sdwa v48, v65, v48 dst_sel:DWORD dst_unused:UNUSED_PAD src0_sel:DWORD src1_sel:BYTE_3
	v_lshl_add_u32 v49, v49, 23, v35
	v_and_or_b32 v48, v48, s7, v49
	v_lshlrev_b32_e32 v14, 20, v14
	v_or_b32_e32 v57, v48, v14
	v_mov_b32_e32 v56, v15
.LBB208_414:                            ;   in Loop: Header=BB208_236 Depth=1
	s_or_b64 exec, exec, s[20:21]
.LBB208_415:                            ;   in Loop: Header=BB208_236 Depth=1
	s_or_b64 exec, exec, s[18:19]
.LBB208_416:                            ;   in Loop: Header=BB208_236 Depth=1
	s_or_b64 exec, exec, s[16:17]
	v_or_b32_e32 v49, v53, v51
	v_or_b32_e32 v48, v52, v50
	;; [unrolled: 1-line block ×4, first 2 shown]
	v_pk_mul_f32 v[48:49], s[10:11], v[48:49]
	v_pk_mul_f32 v[50:51], s[10:11], v[50:51]
	s_and_saveexec_b64 s[16:17], vcc
; %bb.417:                              ;   in Loop: Header=BB208_236 Depth=1
	v_cmp_gt_i32_e64 s[0:1], s37, v66
	v_cndmask_b32_e64 v48, 0, v48, s[0:1]
	v_cmp_gt_i32_e64 s[0:1], s37, v68
	v_cndmask_b32_e64 v49, 0, v49, s[0:1]
	;; [unrolled: 2-line block ×4, first 2 shown]
; %bb.418:                              ;   in Loop: Header=BB208_236 Depth=1
	s_or_b64 exec, exec, s[16:17]
	global_load_dword v24, v[24:25], off offset:1792
	v_pk_mov_b32 v[54:55], 0, 0
	v_pk_mov_b32 v[52:53], v[54:55], v[54:55] op_sel:[0,1]
	s_waitcnt vmcnt(0)
	v_cmp_ne_u16_sdwa s[0:1], v24, v15 src0_sel:BYTE_0 src1_sel:DWORD
	s_and_saveexec_b64 s[16:17], s[0:1]
	s_cbranch_execz .LBB208_424
; %bb.419:                              ;   in Loop: Header=BB208_236 Depth=1
	v_bfrev_b32_e32 v52, 1
	v_cmp_ne_u16_sdwa s[0:1], v24, s22 src0_sel:BYTE_0 src1_sel:DWORD
	v_mov_b32_e32 v53, 0
	s_and_saveexec_b64 s[18:19], s[0:1]
	s_cbranch_execz .LBB208_423
; %bb.420:                              ;   in Loop: Header=BB208_236 Depth=1
	v_and_b32_e32 v14, 0x7f, v24
	v_mov_b32_e32 v52, 0x7f800001
	v_cmp_ne_u32_e64 s[0:1], s23, v14
	v_mov_b32_e32 v53, 0
	s_and_saveexec_b64 s[20:21], s[0:1]
	s_cbranch_execz .LBB208_422
; %bb.421:                              ;   in Loop: Header=BB208_236 Depth=1
	v_and_b32_e32 v25, 7, v24
	v_ffbh_u32_e32 v52, v25
	v_min_u32_e32 v57, 32, v52
	v_subrev_u32_e32 v52, 28, v57
	v_lshlrev_b64 v[52:53], v52, v[24:25]
	v_lshrrev_b32_e32 v56, 3, v14
	v_sub_u32_e32 v53, 29, v57
	v_and_b32_e32 v52, 7, v52
	v_cmp_gt_u32_e64 s[0:1], 8, v14
	v_cndmask_b32_e64 v14, v56, v53, s[0:1]
	v_cndmask_b32_e64 v25, v25, v52, s[0:1]
	v_lshlrev_b32_e32 v25, 20, v25
	v_and_b32_sdwa v52, sext(v24), s7 dst_sel:DWORD dst_unused:UNUSED_PAD src0_sel:BYTE_0 src1_sel:DWORD
	v_lshl_add_u32 v14, v14, 23, v35
	v_or3_b32 v14, v52, v14, v25
	v_pk_mov_b32 v[52:53], v[14:15], v[14:15] op_sel:[0,1]
.LBB208_422:                            ;   in Loop: Header=BB208_236 Depth=1
	s_or_b64 exec, exec, s[20:21]
.LBB208_423:                            ;   in Loop: Header=BB208_236 Depth=1
	s_or_b64 exec, exec, s[18:19]
.LBB208_424:                            ;   in Loop: Header=BB208_236 Depth=1
	s_or_b64 exec, exec, s[16:17]
	v_cmp_ne_u16_sdwa s[0:1], v24, v15 src0_sel:BYTE_1 src1_sel:DWORD
	s_and_saveexec_b64 s[16:17], s[0:1]
	s_cbranch_execz .LBB208_430
; %bb.425:                              ;   in Loop: Header=BB208_236 Depth=1
	v_cmp_ne_u16_sdwa s[0:1], v24, s22 src0_sel:BYTE_1 src1_sel:DWORD
	v_pk_mov_b32 v[54:55], s[6:7], s[6:7] op_sel:[0,1]
	s_and_saveexec_b64 s[18:19], s[0:1]
	s_cbranch_execz .LBB208_429
; %bb.426:                              ;   in Loop: Header=BB208_236 Depth=1
	v_and_b32_sdwa v25, v24, s23 dst_sel:DWORD dst_unused:UNUSED_PAD src0_sel:BYTE_1 src1_sel:DWORD
	s_mov_b32 s14, s6
	v_cmp_ne_u32_e64 s[0:1], s23, v25
	v_pk_mov_b32 v[54:55], s[14:15], s[14:15] op_sel:[0,1]
	s_and_saveexec_b64 s[20:21], s[0:1]
	s_cbranch_execz .LBB208_428
; %bb.427:                              ;   in Loop: Header=BB208_236 Depth=1
	v_and_b32_sdwa v14, v24, v64 dst_sel:DWORD dst_unused:UNUSED_PAD src0_sel:BYTE_1 src1_sel:DWORD
	v_ffbh_u32_e32 v54, v14
	v_min_u32_e32 v57, 32, v54
	v_subrev_u32_e32 v54, 28, v57
	v_lshlrev_b64 v[54:55], v54, v[14:15]
	v_lshrrev_b32_e32 v56, 3, v25
	v_sub_u32_e32 v55, 29, v57
	v_cmp_gt_u32_e64 s[0:1], 8, v25
	v_and_b32_e32 v54, 7, v54
	v_cndmask_b32_e64 v25, v56, v55, s[0:1]
	v_cndmask_b32_e64 v14, v14, v54, s[0:1]
	v_lshlrev_b32_e32 v54, 16, v24
	v_lshl_add_u32 v25, v25, 23, v35
	v_and_or_b32 v25, v54, s7, v25
	v_lshlrev_b32_e32 v14, 20, v14
	v_or_b32_e32 v55, v25, v14
	v_mov_b32_e32 v54, v15
.LBB208_428:                            ;   in Loop: Header=BB208_236 Depth=1
	s_or_b64 exec, exec, s[20:21]
.LBB208_429:                            ;   in Loop: Header=BB208_236 Depth=1
	s_or_b64 exec, exec, s[18:19]
.LBB208_430:                            ;   in Loop: Header=BB208_236 Depth=1
	s_or_b64 exec, exec, s[16:17]
	v_lshrrev_b32_e32 v14, 16, v24
	v_pk_mov_b32 v[58:59], 0, 0
	v_cmp_ne_u16_sdwa s[0:1], v14, v15 src0_sel:BYTE_0 src1_sel:DWORD
	v_pk_mov_b32 v[56:57], v[58:59], v[58:59] op_sel:[0,1]
	s_and_saveexec_b64 s[16:17], s[0:1]
	s_cbranch_execz .LBB208_436
; %bb.431:                              ;   in Loop: Header=BB208_236 Depth=1
	v_bfrev_b32_e32 v56, 1
	v_cmp_ne_u16_sdwa s[0:1], v14, s22 src0_sel:BYTE_0 src1_sel:DWORD
	v_mov_b32_e32 v57, 0
	s_and_saveexec_b64 s[18:19], s[0:1]
	s_cbranch_execz .LBB208_435
; %bb.432:                              ;   in Loop: Header=BB208_236 Depth=1
	v_bfe_u32 v25, v24, 16, 7
	v_mov_b32_e32 v56, 0x7f800001
	v_cmp_ne_u32_e64 s[0:1], s23, v25
	v_mov_b32_e32 v57, 0
	s_and_saveexec_b64 s[20:21], s[0:1]
	s_cbranch_execz .LBB208_434
; %bb.433:                              ;   in Loop: Header=BB208_236 Depth=1
	v_and_b32_e32 v69, 7, v14
	v_ffbh_u32_e32 v56, v69
	v_min_u32_e32 v71, 32, v56
	v_subrev_u32_e32 v56, 28, v71
	v_lshlrev_b64 v[56:57], v56, v[14:15]
	v_lshrrev_b32_e32 v70, 3, v25
	v_sub_u32_e32 v57, 29, v71
	v_and_b32_e32 v56, 7, v56
	v_cmp_gt_u32_e64 s[0:1], 8, v25
	v_cndmask_b32_e64 v25, v70, v57, s[0:1]
	v_cndmask_b32_e64 v56, v69, v56, s[0:1]
	v_lshlrev_b32_e32 v56, 20, v56
	v_and_b32_sdwa v14, sext(v14), s7 dst_sel:DWORD dst_unused:UNUSED_PAD src0_sel:BYTE_0 src1_sel:DWORD
	v_lshl_add_u32 v25, v25, 23, v35
	v_or3_b32 v14, v14, v25, v56
	v_pk_mov_b32 v[56:57], v[14:15], v[14:15] op_sel:[0,1]
.LBB208_434:                            ;   in Loop: Header=BB208_236 Depth=1
	s_or_b64 exec, exec, s[20:21]
.LBB208_435:                            ;   in Loop: Header=BB208_236 Depth=1
	s_or_b64 exec, exec, s[18:19]
.LBB208_436:                            ;   in Loop: Header=BB208_236 Depth=1
	s_or_b64 exec, exec, s[16:17]
	v_cmp_lt_u32_e64 s[0:1], s24, v24
	s_and_saveexec_b64 s[16:17], s[0:1]
	s_cbranch_execz .LBB208_442
; %bb.437:                              ;   in Loop: Header=BB208_236 Depth=1
	v_cmp_ne_u32_sdwa s[0:1], v24, s22 src0_sel:BYTE_3 src1_sel:DWORD
	v_pk_mov_b32 v[58:59], s[6:7], s[6:7] op_sel:[0,1]
	s_and_saveexec_b64 s[18:19], s[0:1]
	s_cbranch_execz .LBB208_441
; %bb.438:                              ;   in Loop: Header=BB208_236 Depth=1
	v_bfe_u32 v25, v24, 24, 7
	s_mov_b32 s14, s6
	v_cmp_ne_u32_e64 s[0:1], s23, v25
	v_pk_mov_b32 v[58:59], s[14:15], s[14:15] op_sel:[0,1]
	s_and_saveexec_b64 s[20:21], s[0:1]
	s_cbranch_execz .LBB208_440
; %bb.439:                              ;   in Loop: Header=BB208_236 Depth=1
	v_and_b32_sdwa v14, v24, v64 dst_sel:DWORD dst_unused:UNUSED_PAD src0_sel:BYTE_3 src1_sel:DWORD
	v_ffbh_u32_e32 v58, v14
	v_min_u32_e32 v70, 32, v58
	v_subrev_u32_e32 v58, 28, v70
	v_lshlrev_b64 v[58:59], v58, v[14:15]
	v_lshrrev_b32_e32 v69, 3, v25
	v_sub_u32_e32 v59, 29, v70
	v_cmp_gt_u32_e64 s[0:1], 8, v25
	v_and_b32_e32 v58, 7, v58
	v_cndmask_b32_e64 v25, v69, v59, s[0:1]
	v_cndmask_b32_e64 v14, v14, v58, s[0:1]
	v_lshlrev_b32_sdwa v24, v65, v24 dst_sel:DWORD dst_unused:UNUSED_PAD src0_sel:DWORD src1_sel:BYTE_3
	v_lshl_add_u32 v25, v25, 23, v35
	v_and_or_b32 v24, v24, s7, v25
	v_lshlrev_b32_e32 v14, 20, v14
	v_or_b32_e32 v59, v24, v14
	v_mov_b32_e32 v58, v15
.LBB208_440:                            ;   in Loop: Header=BB208_236 Depth=1
	s_or_b64 exec, exec, s[20:21]
.LBB208_441:                            ;   in Loop: Header=BB208_236 Depth=1
	s_or_b64 exec, exec, s[18:19]
.LBB208_442:                            ;   in Loop: Header=BB208_236 Depth=1
	s_or_b64 exec, exec, s[16:17]
	v_or_b32_e32 v25, v55, v53
	v_or_b32_e32 v24, v54, v52
	;; [unrolled: 1-line block ×4, first 2 shown]
	v_pk_mul_f32 v[24:25], s[10:11], v[24:25]
	v_pk_mul_f32 v[52:53], s[10:11], v[52:53]
	s_and_saveexec_b64 s[0:1], vcc
	s_cbranch_execz .LBB208_235
; %bb.443:                              ;   in Loop: Header=BB208_236 Depth=1
	v_cmp_gt_i32_e32 vcc, s37, v66
	v_cndmask_b32_e32 v24, 0, v24, vcc
	v_cmp_gt_i32_e32 vcc, s37, v68
	v_cndmask_b32_e32 v25, 0, v25, vcc
	;; [unrolled: 2-line block ×4, first 2 shown]
	s_branch .LBB208_235
.LBB208_444:
	s_or_b64 exec, exec, s[12:13]
.LBB208_445:
	s_or_b64 exec, exec, s[4:5]
	ds_bpermute_b32 v2, v60, v12
	ds_bpermute_b32 v3, v60, v13
	;; [unrolled: 1-line block ×8, first 2 shown]
	s_waitcnt lgkmcnt(6)
	v_pk_add_f32 v[12:13], v[12:13], v[2:3]
	s_waitcnt lgkmcnt(4)
	v_pk_add_f32 v[2:3], v[8:9], v[14:15]
	v_and_b32_e32 v8, 0x3c1, v0
	s_waitcnt lgkmcnt(2)
	v_pk_add_f32 v[4:5], v[10:11], v[4:5]
	s_waitcnt lgkmcnt(0)
	v_pk_add_f32 v[6:7], v[6:7], v[16:17]
	v_cmp_eq_u32_e32 vcc, 64, v8
	s_barrier
	s_and_saveexec_b64 s[0:1], vcc
	s_cbranch_execz .LBB208_447
; %bb.446:
	v_mov_b32_e32 v9, 0x410
	v_lshl_add_u32 v1, v1, 1, v9
	ds_write2_b32 v1, v12, v13 offset1:32
	ds_write2_b32 v1, v4, v5 offset0:64 offset1:96
	ds_write2_b32 v1, v2, v3 offset0:128 offset1:160
	;; [unrolled: 1-line block ×3, first 2 shown]
.LBB208_447:
	s_or_b64 exec, exec, s[0:1]
	v_cmp_gt_u32_e32 vcc, 64, v0
	s_waitcnt lgkmcnt(0)
	s_barrier
	s_and_saveexec_b64 s[0:1], vcc
	s_cbranch_execz .LBB208_458
; %bb.448:
	v_cmp_eq_u32_e32 vcc, 0, v61
	v_lshrrev_b32_e32 v1, 1, v0
	s_and_saveexec_b64 s[4:5], vcc
	s_cbranch_execnz .LBB208_461
; %bb.449:
	s_or_b64 exec, exec, s[4:5]
	s_and_saveexec_b64 s[4:5], vcc
	s_cbranch_execnz .LBB208_462
.LBB208_450:
	s_or_b64 exec, exec, s[4:5]
	s_and_saveexec_b64 s[4:5], vcc
	s_cbranch_execnz .LBB208_463
.LBB208_451:
	s_or_b64 exec, exec, s[4:5]
	s_and_saveexec_b64 s[4:5], vcc
	s_cbranch_execnz .LBB208_464
.LBB208_452:
	s_or_b64 exec, exec, s[4:5]
	s_and_saveexec_b64 s[4:5], vcc
	s_cbranch_execnz .LBB208_465
.LBB208_453:
	s_or_b64 exec, exec, s[4:5]
	s_and_saveexec_b64 s[4:5], vcc
	s_cbranch_execnz .LBB208_466
.LBB208_454:
	s_or_b64 exec, exec, s[4:5]
	s_and_saveexec_b64 s[4:5], vcc
	s_cbranch_execnz .LBB208_467
.LBB208_455:
	s_or_b64 exec, exec, s[4:5]
	s_and_saveexec_b64 s[4:5], vcc
	s_cbranch_execz .LBB208_457
.LBB208_456:
	v_mov_b32_e32 v9, 0x410
	v_lshl_add_u32 v1, v1, 2, v9
	ds_read_b32 v1, v1 offset:896
	s_waitcnt lgkmcnt(0)
	v_add_f32_e32 v7, v7, v1
.LBB208_457:
	s_or_b64 exec, exec, s[4:5]
.LBB208_458:
	s_or_b64 exec, exec, s[0:1]
	v_cmp_eq_u32_e32 vcc, 0, v8
	s_barrier
	s_and_saveexec_b64 s[0:1], vcc
	s_cbranch_execz .LBB208_460
; %bb.459:
	s_lshl_b32 s0, s2, 8
	s_ashr_i32 s1, s0, 31
	s_lshl_b64 s[0:1], s[0:1], 2
	s_add_u32 s2, s28, s0
	s_mul_i32 s0, s33, s30
	s_addc_u32 s3, s29, s1
	s_ashr_i32 s1, s0, 31
	s_lshl_b64 s[0:1], s[0:1], 2
	s_add_u32 s2, s2, s0
	s_addc_u32 s3, s3, s1
	s_lshl_b32 s0, s8, 8
	s_ashr_i32 s1, s0, 31
	s_lshl_b64 s[0:1], s[0:1], 2
	s_add_u32 s0, s2, s0
	s_addc_u32 s1, s3, s1
	v_lshlrev_b32_e32 v0, 1, v0
	global_store_dword v0, v12, s[0:1]
	global_store_dword v0, v13, s[0:1] offset:128
	global_store_dword v0, v4, s[0:1] offset:256
	;; [unrolled: 1-line block ×7, first 2 shown]
.LBB208_460:
	s_endpgm
.LBB208_461:
	v_mov_b32_e32 v9, 0x410
	v_lshl_add_u32 v9, v1, 2, v9
	ds_read_b32 v9, v9
	s_waitcnt lgkmcnt(0)
	v_add_f32_e32 v12, v12, v9
	s_or_b64 exec, exec, s[4:5]
	s_and_saveexec_b64 s[4:5], vcc
	s_cbranch_execz .LBB208_450
.LBB208_462:
	v_mov_b32_e32 v9, 0x410
	v_lshl_add_u32 v9, v1, 2, v9
	ds_read_b32 v9, v9 offset:128
	s_waitcnt lgkmcnt(0)
	v_add_f32_e32 v13, v13, v9
	s_or_b64 exec, exec, s[4:5]
	s_and_saveexec_b64 s[4:5], vcc
	s_cbranch_execz .LBB208_451
.LBB208_463:
	v_mov_b32_e32 v9, 0x410
	v_lshl_add_u32 v9, v1, 2, v9
	ds_read_b32 v9, v9 offset:256
	s_waitcnt lgkmcnt(0)
	v_add_f32_e32 v4, v4, v9
	s_or_b64 exec, exec, s[4:5]
	s_and_saveexec_b64 s[4:5], vcc
	s_cbranch_execz .LBB208_452
.LBB208_464:
	v_mov_b32_e32 v9, 0x410
	v_lshl_add_u32 v9, v1, 2, v9
	ds_read_b32 v9, v9 offset:384
	s_waitcnt lgkmcnt(0)
	v_add_f32_e32 v5, v5, v9
	s_or_b64 exec, exec, s[4:5]
	s_and_saveexec_b64 s[4:5], vcc
	s_cbranch_execz .LBB208_453
.LBB208_465:
	v_mov_b32_e32 v9, 0x410
	v_lshl_add_u32 v9, v1, 2, v9
	ds_read_b32 v9, v9 offset:512
	s_waitcnt lgkmcnt(0)
	v_add_f32_e32 v2, v2, v9
	s_or_b64 exec, exec, s[4:5]
	s_and_saveexec_b64 s[4:5], vcc
	s_cbranch_execz .LBB208_454
.LBB208_466:
	v_mov_b32_e32 v9, 0x410
	v_lshl_add_u32 v9, v1, 2, v9
	ds_read_b32 v9, v9 offset:640
	s_waitcnt lgkmcnt(0)
	v_add_f32_e32 v3, v3, v9
	s_or_b64 exec, exec, s[4:5]
	s_and_saveexec_b64 s[4:5], vcc
	s_cbranch_execz .LBB208_455
.LBB208_467:
	v_mov_b32_e32 v9, 0x410
	v_lshl_add_u32 v9, v1, 2, v9
	ds_read_b32 v9, v9 offset:768
	s_waitcnt lgkmcnt(0)
	v_add_f32_e32 v6, v6, v9
	s_or_b64 exec, exec, s[4:5]
	s_and_saveexec_b64 s[4:5], vcc
	s_cbranch_execnz .LBB208_456
	s_branch .LBB208_457
	.section	.rodata,"a",@progbits
	.p2align	6, 0x0
	.amdhsa_kernel _ZN4vllm25paged_attention_v2_kernelIfhLi256ELi8ELi128ELNS_18Fp8KVCacheDataTypeE1ELb0ELi512EEEvPfS2_PT_PKS3_PKT0_S9_ifPKiSB_iPKfiiiSD_SD_iiiii
		.amdhsa_group_segment_fixed_size 1040
		.amdhsa_private_segment_fixed_size 0
		.amdhsa_kernarg_size 400
		.amdhsa_user_sgpr_count 6
		.amdhsa_user_sgpr_private_segment_buffer 1
		.amdhsa_user_sgpr_dispatch_ptr 0
		.amdhsa_user_sgpr_queue_ptr 0
		.amdhsa_user_sgpr_kernarg_segment_ptr 1
		.amdhsa_user_sgpr_dispatch_id 0
		.amdhsa_user_sgpr_flat_scratch_init 0
		.amdhsa_user_sgpr_kernarg_preload_length 0
		.amdhsa_user_sgpr_kernarg_preload_offset 0
		.amdhsa_user_sgpr_private_segment_size 0
		.amdhsa_uses_dynamic_stack 0
		.amdhsa_system_sgpr_private_segment_wavefront_offset 0
		.amdhsa_system_sgpr_workgroup_id_x 1
		.amdhsa_system_sgpr_workgroup_id_y 1
		.amdhsa_system_sgpr_workgroup_id_z 1
		.amdhsa_system_sgpr_workgroup_info 0
		.amdhsa_system_vgpr_workitem_id 0
		.amdhsa_next_free_vgpr 92
		.amdhsa_next_free_sgpr 51
		.amdhsa_accum_offset 92
		.amdhsa_reserve_vcc 1
		.amdhsa_reserve_flat_scratch 0
		.amdhsa_float_round_mode_32 0
		.amdhsa_float_round_mode_16_64 0
		.amdhsa_float_denorm_mode_32 3
		.amdhsa_float_denorm_mode_16_64 3
		.amdhsa_dx10_clamp 1
		.amdhsa_ieee_mode 1
		.amdhsa_fp16_overflow 0
		.amdhsa_tg_split 0
		.amdhsa_exception_fp_ieee_invalid_op 0
		.amdhsa_exception_fp_denorm_src 0
		.amdhsa_exception_fp_ieee_div_zero 0
		.amdhsa_exception_fp_ieee_overflow 0
		.amdhsa_exception_fp_ieee_underflow 0
		.amdhsa_exception_fp_ieee_inexact 0
		.amdhsa_exception_int_div_zero 0
	.end_amdhsa_kernel
	.section	.text._ZN4vllm25paged_attention_v2_kernelIfhLi256ELi8ELi128ELNS_18Fp8KVCacheDataTypeE1ELb0ELi512EEEvPfS2_PT_PKS3_PKT0_S9_ifPKiSB_iPKfiiiSD_SD_iiiii,"axG",@progbits,_ZN4vllm25paged_attention_v2_kernelIfhLi256ELi8ELi128ELNS_18Fp8KVCacheDataTypeE1ELb0ELi512EEEvPfS2_PT_PKS3_PKT0_S9_ifPKiSB_iPKfiiiSD_SD_iiiii,comdat
.Lfunc_end208:
	.size	_ZN4vllm25paged_attention_v2_kernelIfhLi256ELi8ELi128ELNS_18Fp8KVCacheDataTypeE1ELb0ELi512EEEvPfS2_PT_PKS3_PKT0_S9_ifPKiSB_iPKfiiiSD_SD_iiiii, .Lfunc_end208-_ZN4vllm25paged_attention_v2_kernelIfhLi256ELi8ELi128ELNS_18Fp8KVCacheDataTypeE1ELb0ELi512EEEvPfS2_PT_PKS3_PKT0_S9_ifPKiSB_iPKfiiiSD_SD_iiiii
                                        ; -- End function
	.section	.AMDGPU.csdata,"",@progbits
; Kernel info:
; codeLenInByte = 17604
; NumSgprs: 55
; NumVgprs: 92
; NumAgprs: 0
; TotalNumVgprs: 92
; ScratchSize: 0
; MemoryBound: 0
; FloatMode: 240
; IeeeMode: 1
; LDSByteSize: 1040 bytes/workgroup (compile time only)
; SGPRBlocks: 6
; VGPRBlocks: 11
; NumSGPRsForWavesPerEU: 55
; NumVGPRsForWavesPerEU: 92
; AccumOffset: 92
; Occupancy: 5
; WaveLimiterHint : 1
; COMPUTE_PGM_RSRC2:SCRATCH_EN: 0
; COMPUTE_PGM_RSRC2:USER_SGPR: 6
; COMPUTE_PGM_RSRC2:TRAP_HANDLER: 0
; COMPUTE_PGM_RSRC2:TGID_X_EN: 1
; COMPUTE_PGM_RSRC2:TGID_Y_EN: 1
; COMPUTE_PGM_RSRC2:TGID_Z_EN: 1
; COMPUTE_PGM_RSRC2:TIDIG_COMP_CNT: 0
; COMPUTE_PGM_RSRC3_GFX90A:ACCUM_OFFSET: 22
; COMPUTE_PGM_RSRC3_GFX90A:TG_SPLIT: 0
	.section	.text._ZN4vllm25paged_attention_v2_kernelIfhLi32ELi16ELi128ELNS_18Fp8KVCacheDataTypeE1ELb1ELi512EEEvPfS2_PT_PKS3_PKT0_S9_ifPKiSB_iPKfiiiSD_SD_iiiii,"axG",@progbits,_ZN4vllm25paged_attention_v2_kernelIfhLi32ELi16ELi128ELNS_18Fp8KVCacheDataTypeE1ELb1ELi512EEEvPfS2_PT_PKS3_PKT0_S9_ifPKiSB_iPKfiiiSD_SD_iiiii,comdat
	.protected	_ZN4vllm25paged_attention_v2_kernelIfhLi32ELi16ELi128ELNS_18Fp8KVCacheDataTypeE1ELb1ELi512EEEvPfS2_PT_PKS3_PKT0_S9_ifPKiSB_iPKfiiiSD_SD_iiiii ; -- Begin function _ZN4vllm25paged_attention_v2_kernelIfhLi32ELi16ELi128ELNS_18Fp8KVCacheDataTypeE1ELb1ELi512EEEvPfS2_PT_PKS3_PKT0_S9_ifPKiSB_iPKfiiiSD_SD_iiiii
	.globl	_ZN4vllm25paged_attention_v2_kernelIfhLi32ELi16ELi128ELNS_18Fp8KVCacheDataTypeE1ELb1ELi512EEEvPfS2_PT_PKS3_PKT0_S9_ifPKiSB_iPKfiiiSD_SD_iiiii
	.p2align	8
	.type	_ZN4vllm25paged_attention_v2_kernelIfhLi32ELi16ELi128ELNS_18Fp8KVCacheDataTypeE1ELb1ELi512EEEvPfS2_PT_PKS3_PKT0_S9_ifPKiSB_iPKfiiiSD_SD_iiiii,@function
_ZN4vllm25paged_attention_v2_kernelIfhLi32ELi16ELi128ELNS_18Fp8KVCacheDataTypeE1ELb1ELi512EEEvPfS2_PT_PKS3_PKT0_S9_ifPKiSB_iPKfiiiSD_SD_iiiii: ; @_ZN4vllm25paged_attention_v2_kernelIfhLi32ELi16ELi128ELNS_18Fp8KVCacheDataTypeE1ELb1ELi512EEEvPfS2_PT_PKS3_PKT0_S9_ifPKiSB_iPKfiiiSD_SD_iiiii
; %bb.0:
	s_load_dwordx2 s[0:1], s[4:5], 0x40
	s_mov_b32 s34, s7
	s_ashr_i32 s35, s7, 31
	s_lshl_b64 s[2:3], s[34:35], 2
	s_waitcnt lgkmcnt(0)
	s_add_u32 s0, s0, s2
	s_addc_u32 s1, s1, s3
	s_load_dword s33, s[0:1], 0x0
	s_lshl_b32 s55, s8, 9
	s_waitcnt lgkmcnt(0)
	s_cmp_ge_i32 s55, s33
	s_cbranch_scc1 .LBB209_163
; %bb.1:
	s_load_dword s9, s[4:5], 0x90
	s_load_dwordx2 s[42:43], s[4:5], 0x30
	s_mov_b32 s56, 0
	s_waitcnt lgkmcnt(0)
	s_abs_i32 s2, s9
	s_abs_i32 s0, s42
	v_cvt_f32_u32_e32 v1, s0
	s_sub_i32 s3, 0, s0
	s_xor_b32 s1, s9, s42
	s_ashr_i32 s1, s1, 31
	v_rcp_iflag_f32_e32 v1, v1
	v_mul_f32_e32 v1, 0x4f7ffffe, v1
	v_cvt_u32_f32_e32 v1, v1
	v_readfirstlane_b32 s7, v1
	s_mul_i32 s3, s3, s7
	s_mul_hi_u32 s3, s7, s3
	s_add_i32 s7, s7, s3
	s_mul_hi_u32 s3, s2, s7
	s_mul_i32 s7, s3, s0
	s_sub_i32 s2, s2, s7
	s_add_i32 s10, s3, 1
	s_sub_i32 s7, s2, s0
	s_cmp_ge_u32 s2, s0
	s_cselect_b32 s3, s10, s3
	s_cselect_b32 s2, s7, s2
	s_add_i32 s7, s3, 1
	s_cmp_ge_u32 s2, s0
	s_cselect_b32 s0, s7, s3
	s_xor_b32 s0, s0, s1
	s_sub_i32 s11, s0, s1
	s_abs_i32 s2, s11
	v_cvt_f32_u32_e32 v1, s2
	s_load_dwordx2 s[0:1], s[4:5], 0x50
	s_sub_i32 s7, 0, s2
	s_abs_i32 s3, s6
	v_rcp_iflag_f32_e32 v1, v1
	v_mul_f32_e32 v1, 0x4f7ffffe, v1
	v_cvt_u32_f32_e32 v1, v1
	v_readfirstlane_b32 s10, v1
	s_mul_i32 s7, s7, s10
	s_mul_hi_u32 s7, s10, s7
	s_add_i32 s10, s10, s7
	s_waitcnt lgkmcnt(0)
	s_cmp_eq_u64 s[0:1], 0
	s_mul_hi_u32 s10, s3, s10
	s_cbranch_scc1 .LBB209_3
; %bb.2:
	s_ashr_i32 s7, s6, 31
	s_lshl_b64 s[12:13], s[6:7], 2
	s_add_u32 s0, s0, s12
	s_addc_u32 s1, s1, s13
	s_load_dword s56, s[0:1], 0x0
.LBB209_3:
	s_load_dwordx4 s[16:19], s[4:5], 0x58
	v_lshrrev_b32_e32 v11, 2, v0
	s_ashr_i32 s7, s6, 31
	s_ashr_i32 s11, s11, 31
	v_and_b32_e32 v10, 3, v0
	s_lshl_b32 s28, s6, 5
	v_cmp_gt_u32_e32 vcc, 32, v0
	v_lshlrev_b32_e32 v21, 2, v0
	v_lshlrev_b32_e32 v1, 2, v11
	s_and_saveexec_b64 s[0:1], vcc
	s_cbranch_execz .LBB209_5
; %bb.4:
	s_load_dwordx2 s[12:13], s[4:5], 0x18
	s_waitcnt lgkmcnt(0)
	s_mul_i32 s14, s34, s16
	s_ashr_i32 s15, s14, 31
	s_lshl_b64 s[14:15], s[14:15], 2
	v_lshl_add_u32 v3, v10, 5, v1
	s_add_u32 s14, s12, s14
	s_addc_u32 s15, s13, s15
	s_ashr_i32 s29, s28, 31
	s_lshl_b64 s[12:13], s[28:29], 2
	s_add_u32 s12, s14, s12
	s_addc_u32 s13, s15, s13
	global_load_dword v2, v21, s[12:13]
	s_waitcnt vmcnt(0)
	ds_write_b32 v3, v2
.LBB209_5:
	s_or_b64 exec, exec, s[0:1]
	s_mul_i32 s1, s10, s2
	s_sub_i32 s1, s3, s1
	s_xor_b32 s0, s7, s11
	s_add_i32 s3, s10, 1
	s_sub_i32 s7, s1, s2
	s_load_dwordx4 s[20:23], s[4:5], 0x78
	s_cmp_ge_u32 s1, s2
	s_cselect_b32 s3, s3, s10
	s_load_dword s10, s[4:5], 0x88
	s_cselect_b32 s1, s7, s1
	s_add_i32 s7, s3, 1
	s_cmp_ge_u32 s1, s2
	s_cselect_b32 s1, s7, s3
	s_waitcnt lgkmcnt(0)
	s_abs_i32 s35, s23
	v_cvt_f32_u32_e32 v2, s35
	s_xor_b32 s1, s1, s0
	s_sub_i32 s2, s1, s0
	s_sub_i32 s0, 0, s35
	v_rcp_iflag_f32_e32 v2, v2
	s_add_i32 s11, s33, -1
	s_abs_i32 s3, s11
	v_mul_f32_e32 v2, 0x4f7ffffe, v2
	v_cvt_u32_f32_e32 v2, v2
	s_barrier
	v_readfirstlane_b32 s52, v2
	s_mul_i32 s0, s0, s52
	s_mul_hi_u32 s0, s52, s0
	s_add_i32 s52, s52, s0
	s_cmp_lt_i32 s10, 0
	s_mul_hi_u32 s7, s3, s52
	s_cbranch_scc0 .LBB209_7
; %bb.6:
	s_mul_i32 s0, s20, s42
	s_add_i32 s0, s2, s0
	s_mul_i32 s0, s0, s10
	s_sub_i32 s42, 1, s0
	s_mov_b64 s[0:1], 0
	s_branch .LBB209_8
.LBB209_7:
	s_mov_b64 s[0:1], -1
                                        ; implicit-def: $sgpr42
.LBB209_8:
	s_load_dwordx2 s[36:37], s[4:5], 0x38
	s_ashr_i32 s11, s11, 31
	s_andn2_b64 vcc, exec, s[0:1]
	s_ashr_i32 s53, s23, 31
	s_cbranch_vccnz .LBB209_10
; %bb.9:
	s_mul_i32 s0, s9, s20
	s_add_i32 s0, s0, s6
	s_mul_i32 s0, s0, s10
	s_add_i32 s42, s0, 1
.LBB209_10:
	s_load_dwordx2 s[40:41], s[4:5], 0x28
	s_load_dword s0, s[4:5], 0x48
	s_load_dwordx4 s[24:27], s[4:5], 0x0
	s_load_dwordx2 s[30:31], s[4:5], 0x10
	s_load_dword s29, s[4:5], 0x98
	s_load_dwordx4 s[12:15], s[4:5], 0x68
	s_mul_i32 s1, s7, s35
	s_waitcnt lgkmcnt(0)
	s_mul_i32 s38, s34, s0
	s_sub_i32 s1, s3, s1
	s_ashr_i32 s39, s38, 31
	s_xor_b32 s0, s11, s53
	s_add_i32 s3, s7, 1
	s_sub_i32 s10, s1, s35
	s_cmp_ge_u32 s1, s35
	s_cselect_b32 s3, s3, s7
	s_cselect_b32 s1, s10, s1
	s_add_i32 s7, s3, 1
	s_cmp_ge_u32 s1, s35
	s_cselect_b32 s1, s7, s3
	s_xor_b32 s1, s1, s0
	s_sub_i32 s20, s1, s0
	s_add_i32 s0, s33, 15
	s_ashr_i32 s1, s0, 31
	s_lshr_b32 s1, s1, 28
	s_add_i32 s0, s0, s1
	s_lshl_b32 s16, s8, 5
	s_ashr_i32 s7, s0, 4
	s_add_i32 s0, s16, 32
	v_lshrrev_b32_e32 v22, 6, v0
	s_min_i32 s54, s0, s7
	v_or_b32_e32 v12, s16, v22
	v_cmp_gt_i32_e64 s[0:1], s54, v12
	v_mov_b32_e32 v26, 0xff7fffff
	s_mul_i32 s23, s2, s18
	v_ashrrev_i32_e32 v13, 31, v12
	v_lshl_add_u32 v34, v22, 4, s55
	v_mbcnt_lo_u32_b32 v23, -1, 0
	s_and_saveexec_b64 s[18:19], s[0:1]
	s_cbranch_execz .LBB209_68
; %bb.11:
	s_load_dwordx2 s[4:5], s[4:5], 0x20
	s_sub_i32 s57, s20, s21
	s_ashr_i32 s10, s23, 31
	v_bfe_u32 v24, v0, 2, 4
	v_lshlrev_b32_e32 v3, 4, v24
	s_waitcnt lgkmcnt(0)
	s_add_u32 s4, s4, s23
	s_addc_u32 s5, s5, s10
	s_abs_i32 s58, s22
	v_cvt_f32_u32_e32 v2, s58
	s_sub_i32 s10, 0, s58
	v_add_co_u32_e32 v14, vcc, s4, v3
	v_rcp_iflag_f32_e32 v2, v2
	v_mov_b32_e32 v4, s5
	v_addc_co_u32_e32 v15, vcc, 0, v4, vcc
	v_mul_f32_e32 v2, 0x4f7ffffe, v2
	v_cvt_u32_f32_e32 v2, v2
	v_cmp_eq_u32_e64 s[2:3], 0, v10
	s_mov_b32 s59, s17
	v_lshlrev_b32_e32 v25, 5, v10
	v_mul_lo_u32 v3, s10, v2
	v_mul_hi_u32 v3, v2, v3
	s_lshl_b64 s[10:11], s[38:39], 2
	v_add_u32_e32 v27, v2, v3
	v_lshlrev_b64 v[2:3], 2, v[12:13]
	s_add_u32 s10, s36, s10
	v_add_co_u32_e32 v16, vcc, s10, v2
	v_lshlrev_b32_e32 v2, 2, v24
	s_addc_u32 s11, s37, s11
	v_lshl_or_b32 v2, v22, 6, v2
	v_mov_b32_e32 v4, s11
	v_add_u32_e32 v29, 0x90, v2
	v_subrev_u32_e32 v2, s33, v24
	v_cmp_neq_f32_e64 s[4:5], s56, 0
	v_addc_co_u32_e32 v17, vcc, v4, v3, vcc
	v_lshl_add_u32 v28, v22, 4, s55
	v_add_u32_e32 v30, 1, v2
	s_mov_b64 s[44:45], 0
	v_mov_b32_e32 v31, 0xff7fffff
	s_movk_i32 s60, 0x80
	s_movk_i32 s61, 0x7f
	v_bfrev_b32_e32 v32, 60
	v_mbcnt_hi_u32_b32 v33, -1, v23
	v_mov_b32_e32 v26, 0xff7fffff
	v_mov_b32_e32 v35, v12
	s_branch .LBB209_14
.LBB209_12:                             ;   in Loop: Header=BB209_14 Depth=1
	s_or_b64 exec, exec, s[46:47]
.LBB209_13:                             ;   in Loop: Header=BB209_14 Depth=1
	s_or_b64 exec, exec, s[10:11]
	v_add_co_u32_e32 v16, vcc, 8, v16
	v_add_u32_e32 v35, 2, v35
	v_addc_co_u32_e32 v17, vcc, 0, v17, vcc
	v_cmp_le_i32_e32 vcc, s54, v35
	v_add_u32_e32 v28, 32, v28
	s_or_b64 s[44:45], vcc, s[44:45]
	v_add_u32_e32 v29, 0x80, v29
	s_andn2_b64 exec, exec, s[44:45]
	s_cbranch_execz .LBB209_67
.LBB209_14:                             ; =>This Inner Loop Header: Depth=1
	s_waitcnt lgkmcnt(0)
	v_sub_u32_e32 v3, 0, v28
	v_max_i32_e32 v3, v28, v3
	v_mul_hi_u32 v4, v3, s52
	v_mul_lo_u32 v5, v4, s35
	v_sub_u32_e32 v3, v3, v5
	v_add_u32_e32 v5, 1, v4
	v_cmp_le_u32_e32 vcc, s35, v3
	v_cndmask_b32_e32 v4, v4, v5, vcc
	v_subrev_u32_e32 v5, s35, v3
	v_cndmask_b32_e32 v3, v3, v5, vcc
	v_ashrrev_i32_e32 v2, 31, v28
	v_add_u32_e32 v5, 1, v4
	v_cmp_le_u32_e32 vcc, s35, v3
	v_xor_b32_e32 v2, s53, v2
	v_cndmask_b32_e32 v3, v4, v5, vcc
	v_xor_b32_e32 v3, v3, v2
	v_sub_u32_e32 v2, v3, v2
	v_add_u32_e32 v3, s42, v2
	v_sub_u32_e32 v5, 0, v3
	v_ashrrev_i32_e32 v4, 31, v3
	v_max_i32_e32 v3, v3, v5
	v_mul_hi_u32 v5, v3, v27
	v_mul_lo_u32 v5, v5, s58
	v_sub_u32_e32 v3, v3, v5
	v_subrev_u32_e32 v5, s58, v3
	v_cmp_le_u32_e32 vcc, s58, v3
	v_cndmask_b32_e32 v3, v3, v5, vcc
	v_subrev_u32_e32 v5, s58, v3
	v_cmp_le_u32_e32 vcc, s58, v3
	v_cndmask_b32_e32 v3, v3, v5, vcc
	v_xor_b32_e32 v3, v3, v4
	v_sub_u32_e32 v3, v3, v4
	v_cmp_ne_u32_e32 vcc, 0, v3
	v_cmp_ge_i32_e64 s[10:11], s57, v2
	s_and_b64 s[10:11], vcc, s[10:11]
	s_and_b64 s[48:49], s[2:3], s[10:11]
	s_and_saveexec_b64 s[46:47], s[48:49]
	s_cbranch_execz .LBB209_16
; %bb.15:                               ;   in Loop: Header=BB209_14 Depth=1
	ds_write_b32 v29, v31
.LBB209_16:                             ;   in Loop: Header=BB209_14 Depth=1
	s_or_b64 exec, exec, s[46:47]
	s_xor_b64 s[46:47], s[10:11], -1
	s_and_saveexec_b64 s[10:11], s[46:47]
	s_cbranch_execz .LBB209_13
; %bb.17:                               ;   in Loop: Header=BB209_14 Depth=1
	global_load_dword v2, v[16:17], off
	v_mov_b32_e32 v36, 0
	v_mov_b32_e32 v37, 0
	s_waitcnt vmcnt(0)
	v_mad_i64_i32 v[2:3], s[46:47], v2, s59, v[14:15]
	v_add_co_u32_e32 v18, vcc, v2, v10
	v_addc_co_u32_e32 v19, vcc, 0, v3, vcc
	global_load_ubyte v38, v[18:19], off
	ds_read_b128 v[6:9], v25
	ds_read_b128 v[2:5], v25 offset:16
	s_load_dword s62, s[12:13], 0x0
	s_waitcnt vmcnt(0)
	v_cmp_ne_u16_e32 vcc, 0, v38
	s_and_saveexec_b64 s[46:47], vcc
	s_cbranch_execz .LBB209_23
; %bb.18:                               ;   in Loop: Header=BB209_14 Depth=1
	v_cmp_ne_u16_e32 vcc, s60, v38
	v_bfrev_b32_e32 v37, 1
	s_and_saveexec_b64 s[48:49], vcc
	s_cbranch_execz .LBB209_22
; %bb.19:                               ;   in Loop: Header=BB209_14 Depth=1
	v_and_b32_e32 v20, 0xffff, v38
	v_and_b32_e32 v39, 0x7f, v20
	v_cmp_ne_u32_e32 vcc, s61, v39
	v_mov_b32_e32 v37, 0x7f800001
	s_and_saveexec_b64 s[50:51], vcc
	s_cbranch_execz .LBB209_21
; %bb.20:                               ;   in Loop: Header=BB209_14 Depth=1
	v_and_b32_e32 v37, 7, v20
	v_ffbh_u32_e32 v40, v37
	v_min_u32_e32 v43, 32, v40
	v_subrev_u32_e32 v40, 28, v43
	v_lshlrev_b64 v[40:41], v40, v[20:21]
	v_lshrrev_b32_e32 v42, 3, v39
	v_sub_u32_e32 v20, 29, v43
	v_and_b32_e32 v40, 7, v40
	v_cmp_gt_u32_e32 vcc, 8, v39
	v_cndmask_b32_e32 v20, v42, v20, vcc
	v_cndmask_b32_e32 v37, v37, v40, vcc
	v_lshlrev_b32_e32 v38, 24, v38
	v_lshlrev_b32_e32 v37, 20, v37
	v_and_b32_e32 v38, 0x80000000, v38
	v_lshl_add_u32 v20, v20, 23, v32
	v_or3_b32 v37, v38, v20, v37
.LBB209_21:                             ;   in Loop: Header=BB209_14 Depth=1
	s_or_b64 exec, exec, s[50:51]
.LBB209_22:                             ;   in Loop: Header=BB209_14 Depth=1
	s_or_b64 exec, exec, s[48:49]
.LBB209_23:                             ;   in Loop: Header=BB209_14 Depth=1
	s_or_b64 exec, exec, s[46:47]
	global_load_ubyte v38, v[18:19], off offset:4
	s_waitcnt vmcnt(0)
	v_cmp_ne_u16_e32 vcc, 0, v38
	s_and_saveexec_b64 s[46:47], vcc
	s_cbranch_execz .LBB209_29
; %bb.24:                               ;   in Loop: Header=BB209_14 Depth=1
	v_cmp_ne_u16_e32 vcc, s60, v38
	v_bfrev_b32_e32 v36, 1
	s_and_saveexec_b64 s[48:49], vcc
	s_cbranch_execz .LBB209_28
; %bb.25:                               ;   in Loop: Header=BB209_14 Depth=1
	v_and_b32_e32 v20, 0xffff, v38
	v_and_b32_e32 v39, 0x7f, v20
	v_cmp_ne_u32_e32 vcc, s61, v39
	v_mov_b32_e32 v36, 0x7f800001
	s_and_saveexec_b64 s[50:51], vcc
	s_cbranch_execz .LBB209_27
; %bb.26:                               ;   in Loop: Header=BB209_14 Depth=1
	v_and_b32_e32 v36, 7, v20
	v_ffbh_u32_e32 v40, v36
	v_min_u32_e32 v43, 32, v40
	v_subrev_u32_e32 v40, 28, v43
	v_lshlrev_b64 v[40:41], v40, v[20:21]
	v_lshrrev_b32_e32 v42, 3, v39
	v_sub_u32_e32 v20, 29, v43
	v_and_b32_e32 v40, 7, v40
	v_cmp_gt_u32_e32 vcc, 8, v39
	v_cndmask_b32_e32 v20, v42, v20, vcc
	v_cndmask_b32_e32 v36, v36, v40, vcc
	v_lshlrev_b32_e32 v38, 24, v38
	v_lshlrev_b32_e32 v36, 20, v36
	v_and_b32_e32 v38, 0x80000000, v38
	v_lshl_add_u32 v20, v20, 23, v32
	v_or3_b32 v36, v38, v20, v36
.LBB209_27:                             ;   in Loop: Header=BB209_14 Depth=1
	s_or_b64 exec, exec, s[50:51]
.LBB209_28:                             ;   in Loop: Header=BB209_14 Depth=1
	s_or_b64 exec, exec, s[48:49]
.LBB209_29:                             ;   in Loop: Header=BB209_14 Depth=1
	s_or_b64 exec, exec, s[46:47]
	global_load_ubyte v40, v[18:19], off offset:8
	v_mov_b32_e32 v38, 0
	v_mov_b32_e32 v39, 0
	s_waitcnt vmcnt(0)
	v_cmp_ne_u16_e32 vcc, 0, v40
	s_and_saveexec_b64 s[46:47], vcc
	s_cbranch_execz .LBB209_35
; %bb.30:                               ;   in Loop: Header=BB209_14 Depth=1
	v_cmp_ne_u16_e32 vcc, s60, v40
	v_bfrev_b32_e32 v39, 1
	s_and_saveexec_b64 s[48:49], vcc
	s_cbranch_execz .LBB209_34
; %bb.31:                               ;   in Loop: Header=BB209_14 Depth=1
	v_and_b32_e32 v20, 0xffff, v40
	v_and_b32_e32 v41, 0x7f, v20
	v_cmp_ne_u32_e32 vcc, s61, v41
	v_mov_b32_e32 v39, 0x7f800001
	s_and_saveexec_b64 s[50:51], vcc
	s_cbranch_execz .LBB209_33
; %bb.32:                               ;   in Loop: Header=BB209_14 Depth=1
	v_and_b32_e32 v39, 7, v20
	v_ffbh_u32_e32 v42, v39
	v_min_u32_e32 v45, 32, v42
	v_subrev_u32_e32 v42, 28, v45
	v_lshlrev_b64 v[42:43], v42, v[20:21]
	v_lshrrev_b32_e32 v44, 3, v41
	v_sub_u32_e32 v20, 29, v45
	v_and_b32_e32 v42, 7, v42
	v_cmp_gt_u32_e32 vcc, 8, v41
	v_cndmask_b32_e32 v20, v44, v20, vcc
	v_cndmask_b32_e32 v39, v39, v42, vcc
	v_lshlrev_b32_e32 v40, 24, v40
	v_lshlrev_b32_e32 v39, 20, v39
	v_and_b32_e32 v40, 0x80000000, v40
	v_lshl_add_u32 v20, v20, 23, v32
	v_or3_b32 v39, v40, v20, v39
.LBB209_33:                             ;   in Loop: Header=BB209_14 Depth=1
	s_or_b64 exec, exec, s[50:51]
.LBB209_34:                             ;   in Loop: Header=BB209_14 Depth=1
	s_or_b64 exec, exec, s[48:49]
.LBB209_35:                             ;   in Loop: Header=BB209_14 Depth=1
	s_or_b64 exec, exec, s[46:47]
	global_load_ubyte v40, v[18:19], off offset:12
	s_waitcnt vmcnt(0)
	v_cmp_ne_u16_e32 vcc, 0, v40
	s_and_saveexec_b64 s[46:47], vcc
	s_cbranch_execz .LBB209_41
; %bb.36:                               ;   in Loop: Header=BB209_14 Depth=1
	v_cmp_ne_u16_e32 vcc, s60, v40
	v_bfrev_b32_e32 v38, 1
	s_and_saveexec_b64 s[48:49], vcc
	s_cbranch_execz .LBB209_40
; %bb.37:                               ;   in Loop: Header=BB209_14 Depth=1
	v_and_b32_e32 v20, 0xffff, v40
	v_and_b32_e32 v41, 0x7f, v20
	v_cmp_ne_u32_e32 vcc, s61, v41
	v_mov_b32_e32 v38, 0x7f800001
	s_and_saveexec_b64 s[50:51], vcc
	s_cbranch_execz .LBB209_39
; %bb.38:                               ;   in Loop: Header=BB209_14 Depth=1
	v_and_b32_e32 v38, 7, v20
	v_ffbh_u32_e32 v42, v38
	v_min_u32_e32 v45, 32, v42
	v_subrev_u32_e32 v42, 28, v45
	v_lshlrev_b64 v[42:43], v42, v[20:21]
	v_lshrrev_b32_e32 v44, 3, v41
	v_sub_u32_e32 v20, 29, v45
	v_and_b32_e32 v42, 7, v42
	v_cmp_gt_u32_e32 vcc, 8, v41
	v_cndmask_b32_e32 v20, v44, v20, vcc
	v_cndmask_b32_e32 v38, v38, v42, vcc
	v_lshlrev_b32_e32 v40, 24, v40
	v_lshlrev_b32_e32 v38, 20, v38
	v_and_b32_e32 v40, 0x80000000, v40
	v_lshl_add_u32 v20, v20, 23, v32
	v_or3_b32 v38, v40, v20, v38
.LBB209_39:                             ;   in Loop: Header=BB209_14 Depth=1
	s_or_b64 exec, exec, s[50:51]
.LBB209_40:                             ;   in Loop: Header=BB209_14 Depth=1
	s_or_b64 exec, exec, s[48:49]
.LBB209_41:                             ;   in Loop: Header=BB209_14 Depth=1
	s_or_b64 exec, exec, s[46:47]
	global_load_ubyte v42, v[18:19], off offset:256
	v_mov_b32_e32 v40, 0
	v_mov_b32_e32 v41, 0
	s_waitcnt vmcnt(0)
	v_cmp_ne_u16_e32 vcc, 0, v42
	s_and_saveexec_b64 s[46:47], vcc
	s_cbranch_execz .LBB209_47
; %bb.42:                               ;   in Loop: Header=BB209_14 Depth=1
	v_cmp_ne_u16_e32 vcc, s60, v42
	v_bfrev_b32_e32 v41, 1
	s_and_saveexec_b64 s[48:49], vcc
	s_cbranch_execz .LBB209_46
; %bb.43:                               ;   in Loop: Header=BB209_14 Depth=1
	v_and_b32_e32 v20, 0xffff, v42
	v_and_b32_e32 v43, 0x7f, v20
	v_cmp_ne_u32_e32 vcc, s61, v43
	v_mov_b32_e32 v41, 0x7f800001
	s_and_saveexec_b64 s[50:51], vcc
	s_cbranch_execz .LBB209_45
; %bb.44:                               ;   in Loop: Header=BB209_14 Depth=1
	v_and_b32_e32 v41, 7, v20
	v_ffbh_u32_e32 v44, v41
	v_min_u32_e32 v47, 32, v44
	v_subrev_u32_e32 v44, 28, v47
	v_lshlrev_b64 v[44:45], v44, v[20:21]
	v_lshrrev_b32_e32 v46, 3, v43
	v_sub_u32_e32 v20, 29, v47
	v_and_b32_e32 v44, 7, v44
	v_cmp_gt_u32_e32 vcc, 8, v43
	v_cndmask_b32_e32 v20, v46, v20, vcc
	v_cndmask_b32_e32 v41, v41, v44, vcc
	v_lshlrev_b32_e32 v42, 24, v42
	v_lshlrev_b32_e32 v41, 20, v41
	v_and_b32_e32 v42, 0x80000000, v42
	v_lshl_add_u32 v20, v20, 23, v32
	v_or3_b32 v41, v42, v20, v41
.LBB209_45:                             ;   in Loop: Header=BB209_14 Depth=1
	s_or_b64 exec, exec, s[50:51]
.LBB209_46:                             ;   in Loop: Header=BB209_14 Depth=1
	s_or_b64 exec, exec, s[48:49]
.LBB209_47:                             ;   in Loop: Header=BB209_14 Depth=1
	s_or_b64 exec, exec, s[46:47]
	global_load_ubyte v42, v[18:19], off offset:260
	s_waitcnt vmcnt(0)
	v_cmp_ne_u16_e32 vcc, 0, v42
	s_and_saveexec_b64 s[46:47], vcc
	s_cbranch_execz .LBB209_53
; %bb.48:                               ;   in Loop: Header=BB209_14 Depth=1
	v_cmp_ne_u16_e32 vcc, s60, v42
	v_bfrev_b32_e32 v40, 1
	s_and_saveexec_b64 s[48:49], vcc
	s_cbranch_execz .LBB209_52
; %bb.49:                               ;   in Loop: Header=BB209_14 Depth=1
	v_and_b32_e32 v20, 0xffff, v42
	v_and_b32_e32 v43, 0x7f, v20
	v_cmp_ne_u32_e32 vcc, s61, v43
	v_mov_b32_e32 v40, 0x7f800001
	s_and_saveexec_b64 s[50:51], vcc
	s_cbranch_execz .LBB209_51
; %bb.50:                               ;   in Loop: Header=BB209_14 Depth=1
	v_and_b32_e32 v40, 7, v20
	v_ffbh_u32_e32 v44, v40
	v_min_u32_e32 v47, 32, v44
	v_subrev_u32_e32 v44, 28, v47
	v_lshlrev_b64 v[44:45], v44, v[20:21]
	v_lshrrev_b32_e32 v46, 3, v43
	v_sub_u32_e32 v20, 29, v47
	v_and_b32_e32 v44, 7, v44
	v_cmp_gt_u32_e32 vcc, 8, v43
	v_cndmask_b32_e32 v20, v46, v20, vcc
	v_cndmask_b32_e32 v40, v40, v44, vcc
	v_lshlrev_b32_e32 v42, 24, v42
	v_lshlrev_b32_e32 v40, 20, v40
	v_and_b32_e32 v42, 0x80000000, v42
	v_lshl_add_u32 v20, v20, 23, v32
	v_or3_b32 v40, v42, v20, v40
.LBB209_51:                             ;   in Loop: Header=BB209_14 Depth=1
	s_or_b64 exec, exec, s[50:51]
.LBB209_52:                             ;   in Loop: Header=BB209_14 Depth=1
	s_or_b64 exec, exec, s[48:49]
.LBB209_53:                             ;   in Loop: Header=BB209_14 Depth=1
	s_or_b64 exec, exec, s[46:47]
	v_add_co_u32_e32 v18, vcc, 0x100, v18
	v_addc_co_u32_e32 v19, vcc, 0, v19, vcc
	global_load_ubyte v44, v[18:19], off offset:8
	v_mov_b32_e32 v42, 0
	v_mov_b32_e32 v43, 0
	s_waitcnt vmcnt(0)
	v_cmp_ne_u16_e32 vcc, 0, v44
	s_and_saveexec_b64 s[46:47], vcc
	s_cbranch_execz .LBB209_59
; %bb.54:                               ;   in Loop: Header=BB209_14 Depth=1
	v_cmp_ne_u16_e32 vcc, s60, v44
	v_bfrev_b32_e32 v43, 1
	s_and_saveexec_b64 s[48:49], vcc
	s_cbranch_execz .LBB209_58
; %bb.55:                               ;   in Loop: Header=BB209_14 Depth=1
	v_and_b32_e32 v20, 0xffff, v44
	v_and_b32_e32 v45, 0x7f, v20
	v_cmp_ne_u32_e32 vcc, s61, v45
	v_mov_b32_e32 v43, 0x7f800001
	s_and_saveexec_b64 s[50:51], vcc
	s_cbranch_execz .LBB209_57
; %bb.56:                               ;   in Loop: Header=BB209_14 Depth=1
	v_and_b32_e32 v43, 7, v20
	v_ffbh_u32_e32 v46, v43
	v_min_u32_e32 v49, 32, v46
	v_subrev_u32_e32 v46, 28, v49
	v_lshlrev_b64 v[46:47], v46, v[20:21]
	v_lshrrev_b32_e32 v48, 3, v45
	v_sub_u32_e32 v20, 29, v49
	v_and_b32_e32 v46, 7, v46
	v_cmp_gt_u32_e32 vcc, 8, v45
	v_cndmask_b32_e32 v20, v48, v20, vcc
	v_cndmask_b32_e32 v43, v43, v46, vcc
	v_lshlrev_b32_e32 v44, 24, v44
	v_lshlrev_b32_e32 v43, 20, v43
	v_and_b32_e32 v44, 0x80000000, v44
	v_lshl_add_u32 v20, v20, 23, v32
	v_or3_b32 v43, v44, v20, v43
.LBB209_57:                             ;   in Loop: Header=BB209_14 Depth=1
	s_or_b64 exec, exec, s[50:51]
.LBB209_58:                             ;   in Loop: Header=BB209_14 Depth=1
	s_or_b64 exec, exec, s[48:49]
.LBB209_59:                             ;   in Loop: Header=BB209_14 Depth=1
	s_or_b64 exec, exec, s[46:47]
	global_load_ubyte v19, v[18:19], off offset:12
	s_waitcnt vmcnt(0)
	v_cmp_ne_u16_e32 vcc, 0, v19
	s_and_saveexec_b64 s[46:47], vcc
	s_cbranch_execz .LBB209_65
; %bb.60:                               ;   in Loop: Header=BB209_14 Depth=1
	v_cmp_ne_u16_e32 vcc, s60, v19
	v_bfrev_b32_e32 v42, 1
	s_and_saveexec_b64 s[48:49], vcc
	s_cbranch_execz .LBB209_64
; %bb.61:                               ;   in Loop: Header=BB209_14 Depth=1
	v_and_b32_e32 v18, 0xffff, v19
	v_and_b32_e32 v20, 0x7f, v18
	v_cmp_ne_u32_e32 vcc, s61, v20
	v_mov_b32_e32 v42, 0x7f800001
	s_and_saveexec_b64 s[50:51], vcc
	s_cbranch_execz .LBB209_63
; %bb.62:                               ;   in Loop: Header=BB209_14 Depth=1
	v_and_b32_e32 v42, 7, v18
	v_ffbh_u32_e32 v44, v42
	v_min_u32_e32 v47, 32, v44
	v_subrev_u32_e32 v44, 28, v47
	v_lshlrev_b64 v[44:45], v44, v[18:19]
	v_lshrrev_b32_e32 v46, 3, v20
	v_sub_u32_e32 v18, 29, v47
	v_and_b32_e32 v44, 7, v44
	v_cmp_gt_u32_e32 vcc, 8, v20
	v_cndmask_b32_e32 v18, v46, v18, vcc
	v_cndmask_b32_e32 v20, v42, v44, vcc
	v_lshlrev_b32_e32 v19, 24, v19
	v_lshlrev_b32_e32 v20, 20, v20
	v_and_b32_e32 v19, 0x80000000, v19
	v_lshl_add_u32 v18, v18, 23, v32
	v_or3_b32 v42, v19, v18, v20
.LBB209_63:                             ;   in Loop: Header=BB209_14 Depth=1
	s_or_b64 exec, exec, s[50:51]
.LBB209_64:                             ;   in Loop: Header=BB209_14 Depth=1
	s_or_b64 exec, exec, s[48:49]
.LBB209_65:                             ;   in Loop: Header=BB209_14 Depth=1
	s_or_b64 exec, exec, s[46:47]
	s_waitcnt lgkmcnt(0)
	v_mul_f32_e32 v36, s62, v36
	v_mul_f32_e32 v37, s62, v37
	;; [unrolled: 1-line block ×4, first 2 shown]
	v_fmac_f32_e32 v7, v6, v37
	v_mul_f32_e32 v38, s62, v38
	v_fmac_f32_e32 v7, v8, v39
	v_mul_f32_e32 v19, s62, v40
	v_mul_f32_e32 v20, s62, v41
	v_and_b32_e32 v40, 64, v33
	v_fmac_f32_e32 v7, v9, v38
	v_add_u32_e32 v40, 64, v40
	v_xor_b32_e32 v41, 2, v33
	v_fmac_f32_e32 v7, v2, v20
	v_mul_f32_e32 v18, s62, v43
	v_cmp_lt_i32_e32 vcc, v41, v40
	v_fmac_f32_e32 v7, v3, v19
	v_cndmask_b32_e32 v41, v33, v41, vcc
	v_mul_f32_e32 v42, s62, v42
	v_fmac_f32_e32 v7, v4, v18
	v_lshlrev_b32_e32 v41, 2, v41
	v_fmac_f32_e32 v7, v5, v42
	ds_bpermute_b32 v2, v41, v7
	v_xor_b32_e32 v3, 1, v33
	v_cmp_lt_i32_e32 vcc, v3, v40
	v_cndmask_b32_e32 v3, v33, v3, vcc
	v_lshlrev_b32_e32 v3, 2, v3
	s_waitcnt lgkmcnt(0)
	v_add_f32_e32 v2, v7, v2
	ds_bpermute_b32 v3, v3, v2
	s_and_saveexec_b64 s[46:47], s[2:3]
	s_cbranch_execz .LBB209_12
; %bb.66:                               ;   in Loop: Header=BB209_14 Depth=1
	v_add_u32_e32 v4, v30, v28
	v_cvt_f32_i32_e32 v4, v4
	s_waitcnt lgkmcnt(0)
	v_add_f32_e32 v2, v2, v3
	v_add_u32_e32 v5, v24, v28
	v_cmp_gt_i32_e32 vcc, s33, v5
	v_mul_f32_e32 v3, s56, v4
	v_cndmask_b32_e64 v3, 0, v3, s[4:5]
	v_fmac_f32_e32 v3, s43, v2
	v_cndmask_b32_e32 v2, 0, v3, vcc
	ds_write_b32 v29, v2
	v_max_f32_e32 v2, v26, v26
	v_max_f32_e32 v2, v2, v3
	v_cndmask_b32_e32 v26, v26, v2, vcc
	s_branch .LBB209_12
.LBB209_67:
	s_or_b64 exec, exec, s[44:45]
.LBB209_68:
	s_or_b64 exec, exec, s[18:19]
	v_mbcnt_hi_u32_b32 v2, -1, v23
	s_waitcnt lgkmcnt(0)
	v_and_b32_e32 v3, 64, v2
	v_add_u32_e32 v3, 64, v3
	v_xor_b32_e32 v4, 32, v2
	v_cmp_lt_i32_e32 vcc, v4, v3
	v_cndmask_b32_e32 v4, v2, v4, vcc
	v_lshlrev_b32_e32 v5, 2, v4
	ds_bpermute_b32 v4, v5, v26
	v_xor_b32_e32 v7, 16, v2
	v_max_f32_e32 v6, v26, v26
	v_cmp_lt_i32_e32 vcc, v7, v3
	v_xor_b32_e32 v8, 8, v2
	s_waitcnt lgkmcnt(0)
	v_max_f32_e32 v4, v4, v4
	v_max_f32_e32 v4, v6, v4
	v_cndmask_b32_e32 v6, v2, v7, vcc
	v_lshlrev_b32_e32 v6, 2, v6
	ds_bpermute_b32 v7, v6, v4
	v_cmp_lt_i32_e32 vcc, v8, v3
	v_and_b32_e32 v35, 63, v0
	s_waitcnt lgkmcnt(0)
	v_max_f32_e32 v7, v7, v7
	v_max_f32_e32 v4, v4, v7
	v_cndmask_b32_e32 v7, v2, v8, vcc
	v_lshlrev_b32_e32 v9, 2, v7
	ds_bpermute_b32 v7, v9, v4
	v_xor_b32_e32 v8, 4, v2
	v_cmp_lt_i32_e32 vcc, v8, v3
	s_waitcnt lgkmcnt(0)
	v_max_f32_e32 v7, v7, v7
	v_max_f32_e32 v4, v4, v7
	v_cndmask_b32_e32 v7, v2, v8, vcc
	v_lshlrev_b32_e32 v14, 2, v7
	ds_bpermute_b32 v8, v14, v4
	v_cmp_eq_u32_e32 vcc, 0, v35
	v_lshlrev_b32_e32 v7, 2, v22
	s_and_saveexec_b64 s[2:3], vcc
	s_cbranch_execz .LBB209_70
; %bb.69:
	s_waitcnt lgkmcnt(0)
	v_max_f32_e32 v8, v8, v8
	v_max_f32_e32 v4, v4, v4
	;; [unrolled: 1-line block ×3, first 2 shown]
	ds_write_b32 v7, v4 offset:128
.LBB209_70:
	s_or_b64 exec, exec, s[2:3]
	v_cmp_gt_u32_e64 s[2:3], 2, v35
	v_mov_b32_e32 v4, 0xff7fffff
	s_waitcnt lgkmcnt(0)
	v_lshlrev_b32_e32 v8, 2, v35
	s_barrier
	s_and_saveexec_b64 s[4:5], s[2:3]
	s_cbranch_execz .LBB209_72
; %bb.71:
	ds_read_b32 v4, v8 offset:128
.LBB209_72:
	s_or_b64 exec, exec, s[4:5]
	v_xor_b32_e32 v15, 1, v2
	v_cmp_lt_i32_e64 s[4:5], v15, v3
	v_cndmask_b32_e64 v15, v2, v15, s[4:5]
	v_lshlrev_b32_e32 v36, 2, v15
	s_waitcnt lgkmcnt(0)
	ds_bpermute_b32 v15, v36, v4
	v_max_f32_e32 v4, v4, v4
	s_sub_i32 s4, s54, s16
	s_lshl_b32 s4, s4, 4
	s_add_i32 s4, s4, s55
	s_waitcnt lgkmcnt(0)
	v_max_f32_e32 v15, v15, v15
	v_max_f32_e32 v4, v4, v15
	v_lshlrev_b32_e32 v15, 2, v2
	v_and_b32_e32 v15, 0x100, v15
	ds_bpermute_b32 v4, v15, v4
	s_min_i32 s44, s4, s33
	s_sub_i32 s43, s44, s55
	v_cmp_gt_i32_e64 s[4:5], s43, v0
	v_mov_b32_e32 v16, 0
	s_and_saveexec_b64 s[12:13], s[4:5]
	s_cbranch_execz .LBB209_76
; %bb.73:
	v_mov_b32_e32 v16, 0x90
	v_lshl_add_u32 v17, v0, 2, v16
	s_mov_b64 s[18:19], 0
	v_mov_b32_e32 v16, 0
	v_mov_b32_e32 v18, v0
.LBB209_74:                             ; =>This Inner Loop Header: Depth=1
	ds_read_b32 v19, v17
	v_add_u32_e32 v18, 0x80, v18
	v_cmp_le_i32_e64 s[10:11], s43, v18
	s_or_b64 s[18:19], s[10:11], s[18:19]
	s_waitcnt lgkmcnt(0)
	v_sub_f32_e32 v19, v19, v4
	v_mul_f32_e32 v19, 0x3fb8aa3b, v19
	v_exp_f32_e32 v19, v19
	ds_write_b32 v17, v19
	v_add_f32_e32 v16, v16, v19
	v_add_u32_e32 v17, 0x200, v17
	s_andn2_b64 exec, exec, s[18:19]
	s_cbranch_execnz .LBB209_74
; %bb.75:
	s_or_b64 exec, exec, s[18:19]
.LBB209_76:
	s_or_b64 exec, exec, s[12:13]
	ds_bpermute_b32 v5, v5, v16
	s_waitcnt lgkmcnt(0)
	v_add_f32_e32 v5, v16, v5
	ds_bpermute_b32 v6, v6, v5
	s_waitcnt lgkmcnt(0)
	v_add_f32_e32 v5, v5, v6
	ds_bpermute_b32 v6, v9, v5
	v_xor_b32_e32 v9, 2, v2
	v_cmp_lt_i32_e64 s[10:11], v9, v3
	v_cndmask_b32_e64 v2, v2, v9, s[10:11]
	v_lshlrev_b32_e32 v37, 2, v2
	s_waitcnt lgkmcnt(0)
	v_add_f32_e32 v5, v5, v6
	ds_bpermute_b32 v6, v14, v5
	s_waitcnt lgkmcnt(0)
	v_add_f32_e32 v3, v5, v6
	ds_bpermute_b32 v2, v37, v3
	;; [unrolled: 3-line block ×3, first 2 shown]
	s_waitcnt lgkmcnt(0)
	v_add_f32_e32 v2, v2, v3
	s_and_saveexec_b64 s[10:11], vcc
	s_cbranch_execz .LBB209_78
; %bb.77:
	ds_write_b32 v7, v2 offset:136
.LBB209_78:
	s_or_b64 exec, exec, s[10:11]
	s_waitcnt lgkmcnt(0)
	s_barrier
	s_and_saveexec_b64 s[10:11], s[2:3]
	s_cbranch_execz .LBB209_80
; %bb.79:
	ds_read_b32 v2, v8 offset:136
.LBB209_80:
	s_or_b64 exec, exec, s[10:11]
	s_waitcnt lgkmcnt(0)
	ds_bpermute_b32 v3, v36, v2
	s_waitcnt lgkmcnt(0)
	v_add_f32_e32 v2, v2, v3
	ds_bpermute_b32 v5, v15, v2
	s_and_saveexec_b64 s[2:3], s[4:5]
	s_cbranch_execz .LBB209_93
; %bb.81:
	s_waitcnt lgkmcnt(0)
	v_add_f32_e32 v2, 0x358637bd, v5
	v_div_scale_f32 v3, s[4:5], v2, v2, 1.0
	v_rcp_f32_e32 v6, v3
	v_div_scale_f32 v7, vcc, 1.0, v2, 1.0
	s_movk_i32 s4, 0x7f
	v_fma_f32 v8, -v3, v6, 1.0
	v_fmac_f32_e32 v6, v8, v6
	v_mul_f32_e32 v8, v7, v6
	v_fma_f32 v9, -v3, v8, v7
	v_fmac_f32_e32 v8, v9, v6
	v_fma_f32 v3, -v3, v8, v7
	v_div_fmas_f32 v3, v3, v6, v8
	v_div_fixup_f32 v2, v3, v2, 1.0
	v_xad_u32 v3, v0, -1, s44
	v_subrev_u32_e32 v6, s55, v3
	v_cmp_lt_u32_e32 vcc, s4, v6
	s_mov_b64 s[10:11], -1
	v_mov_b32_e32 v3, v0
	s_and_saveexec_b64 s[4:5], vcc
	s_cbranch_execz .LBB209_90
; %bb.82:
	v_lshrrev_b32_e32 v6, 7, v6
	v_add_u32_e32 v8, -1, v6
	v_lshrrev_b32_e32 v7, 1, v8
	v_mov_b32_e32 v3, v2
	v_add_u32_e32 v7, 1, v7
	v_cmp_lt_u32_e32 vcc, 13, v8
	v_mov_b32_e32 v14, 0
	s_and_saveexec_b64 s[10:11], vcc
	s_cbranch_execz .LBB209_86
; %bb.83:
	v_mov_b32_e32 v9, 0x90
	v_and_b32_e32 v8, -8, v7
	v_lshl_add_u32 v9, v0, 2, v9
	s_mov_b32 s18, 0
	s_mov_b64 s[12:13], 0
.LBB209_84:                             ; =>This Inner Loop Header: Depth=1
	ds_read2st64_b32 v[14:15], v9 offset1:2
	ds_read2st64_b32 v[16:17], v9 offset0:4 offset1:6
	ds_read2st64_b32 v[18:19], v9 offset0:8 offset1:10
	;; [unrolled: 1-line block ×3, first 2 shown]
	v_add_u32_e32 v8, -8, v8
	s_waitcnt lgkmcnt(3)
	v_pk_mul_f32 v[14:15], v[2:3], v[14:15]
	s_waitcnt lgkmcnt(2)
	v_pk_mul_f32 v[16:17], v[2:3], v[16:17]
	ds_write2st64_b32 v9, v14, v15 offset1:2
	ds_write2st64_b32 v9, v16, v17 offset0:4 offset1:6
	ds_read2st64_b32 v[16:17], v9 offset0:16 offset1:18
	s_waitcnt lgkmcnt(4)
	v_pk_mul_f32 v[14:15], v[2:3], v[18:19]
	ds_write2st64_b32 v9, v14, v15 offset0:8 offset1:10
	s_waitcnt lgkmcnt(4)
	v_pk_mul_f32 v[14:15], v[2:3], v[24:25]
	ds_write2st64_b32 v9, v14, v15 offset0:12 offset1:14
	ds_read2st64_b32 v[14:15], v9 offset0:20 offset1:22
	s_waitcnt lgkmcnt(3)
	v_pk_mul_f32 v[16:17], v[2:3], v[16:17]
	ds_read2st64_b32 v[18:19], v9 offset0:24 offset1:26
	ds_write2st64_b32 v9, v16, v17 offset0:16 offset1:18
	ds_read2st64_b32 v[16:17], v9 offset0:28 offset1:30
	s_waitcnt lgkmcnt(3)
	v_pk_mul_f32 v[14:15], v[2:3], v[14:15]
	ds_write2st64_b32 v9, v14, v15 offset0:20 offset1:22
	s_waitcnt lgkmcnt(3)
	v_pk_mul_f32 v[14:15], v[2:3], v[18:19]
	ds_write2st64_b32 v9, v14, v15 offset0:24 offset1:26
	s_waitcnt lgkmcnt(2)
	v_pk_mul_f32 v[14:15], v[2:3], v[16:17]
	s_add_i32 s18, s18, 16
	v_cmp_eq_u32_e32 vcc, 0, v8
	ds_write2st64_b32 v9, v14, v15 offset0:28 offset1:30
	v_add_u32_e32 v9, 0x2000, v9
	s_or_b64 s[12:13], vcc, s[12:13]
	v_mov_b32_e32 v14, s18
	s_andn2_b64 exec, exec, s[12:13]
	s_cbranch_execnz .LBB209_84
; %bb.85:
	s_or_b64 exec, exec, s[12:13]
.LBB209_86:
	s_or_b64 exec, exec, s[10:11]
	v_and_b32_e32 v7, 7, v7
	v_cmp_ne_u32_e32 vcc, 0, v7
	s_and_saveexec_b64 s[10:11], vcc
	s_cbranch_execz .LBB209_89
; %bb.87:
	v_lshlrev_b32_e32 v8, 9, v14
	s_movk_i32 s12, 0x90
	v_add3_u32 v8, v8, v21, s12
	s_mov_b64 s[12:13], 0
.LBB209_88:                             ; =>This Inner Loop Header: Depth=1
	ds_read2st64_b32 v[14:15], v8 offset1:2
	v_add_u32_e32 v7, -1, v7
	v_cmp_eq_u32_e32 vcc, 0, v7
	s_or_b64 s[12:13], vcc, s[12:13]
	s_waitcnt lgkmcnt(0)
	v_pk_mul_f32 v[14:15], v[2:3], v[14:15]
	ds_write2st64_b32 v8, v14, v15 offset1:2
	v_add_u32_e32 v8, 0x400, v8
	s_andn2_b64 exec, exec, s[12:13]
	s_cbranch_execnz .LBB209_88
.LBB209_89:
	s_or_b64 exec, exec, s[10:11]
	v_add_u32_e32 v6, 1, v6
	v_and_b32_e32 v7, 0x3fffffe, v6
	v_cmp_ne_u32_e32 vcc, v6, v7
	v_lshl_add_u32 v3, v7, 7, v0
	s_orn2_b64 s[10:11], vcc, exec
.LBB209_90:
	s_or_b64 exec, exec, s[4:5]
	s_and_b64 exec, exec, s[10:11]
	s_cbranch_execz .LBB209_93
; %bb.91:
	v_mov_b32_e32 v6, 0x90
	v_lshl_add_u32 v6, v3, 2, v6
	s_mov_b64 s[4:5], 0
.LBB209_92:                             ; =>This Inner Loop Header: Depth=1
	ds_read_b32 v7, v6
	v_add_u32_e32 v3, 0x80, v3
	v_cmp_le_i32_e32 vcc, s43, v3
	s_or_b64 s[4:5], vcc, s[4:5]
	s_waitcnt lgkmcnt(0)
	v_mul_f32_e32 v7, v2, v7
	ds_write_b32 v6, v7
	v_add_u32_e32 v6, 0x200, v6
	s_andn2_b64 exec, exec, s[4:5]
	s_cbranch_execnz .LBB209_92
.LBB209_93:
	s_or_b64 exec, exec, s[2:3]
	s_mul_i32 s2, s29, s34
	v_cmp_eq_u32_e32 vcc, 0, v0
	s_mul_i32 s2, s2, s9
	s_waitcnt lgkmcnt(0)
	s_barrier
	s_and_saveexec_b64 s[4:5], vcc
	s_cbranch_execz .LBB209_95
; %bb.94:
	s_ashr_i32 s3, s2, 31
	s_lshl_b64 s[10:11], s[2:3], 2
	s_add_u32 s3, s26, s10
	s_mul_i32 s12, s29, s6
	s_addc_u32 s9, s27, s11
	s_ashr_i32 s13, s12, 31
	s_lshl_b64 s[12:13], s[12:13], 2
	s_add_u32 s3, s3, s12
	s_addc_u32 s6, s9, s13
	s_ashr_i32 s9, s8, 31
	s_lshl_b64 s[8:9], s[8:9], 2
	s_add_u32 s18, s3, s8
	s_addc_u32 s19, s6, s9
	s_add_u32 s3, s24, s10
	s_addc_u32 s6, s25, s11
	;; [unrolled: 2-line block ×3, first 2 shown]
	s_add_u32 s8, s3, s8
	v_mov_b32_e32 v2, 0
	s_addc_u32 s9, s6, s9
	global_store_dword v2, v4, s[18:19]
	global_store_dword v2, v5, s[8:9]
.LBB209_95:
	s_or_b64 exec, exec, s[4:5]
	s_mov_b32 s6, 0
	v_mov_b32_e32 v9, 0
	v_mov_b32_e32 v8, 0
	s_and_saveexec_b64 s[4:5], s[0:1]
	s_cbranch_execz .LBB209_153
; %bb.96:
	s_sub_i32 s3, s20, s21
	s_ashr_i32 s0, s23, 31
	s_add_u32 s1, s40, s23
	s_addc_u32 s0, s41, s0
	s_abs_i32 s26, s22
	v_cvt_f32_u32_e32 v2, s26
	s_add_i32 s27, s7, -1
	s_sub_i32 s7, 0, s26
	v_and_b32_e32 v3, 0xfc, v21
	v_rcp_iflag_f32_e32 v2, v2
	v_mov_b32_e32 v4, s0
	v_add_co_u32_e32 v6, vcc, s1, v3
	v_mul_f32_e32 v2, 0x4f7ffffe, v2
	v_cvt_u32_f32_e32 v2, v2
	s_lshl_b64 s[0:1], s[38:39], 2
	v_addc_co_u32_e32 v7, vcc, 0, v4, vcc
	v_mul_lo_u32 v5, s7, v2
	v_mul_hi_u32 v5, v2, v5
	v_add_u32_e32 v39, v2, v5
	v_lshlrev_b64 v[2:3], 2, v[12:13]
	s_add_u32 s0, s36, s0
	s_addc_u32 s1, s37, s1
	v_add_co_u32_e32 v14, vcc, s0, v2
	v_lshlrev_b32_e32 v2, 4, v10
	v_mov_b32_e32 v4, s1
	v_lshl_or_b32 v2, v22, 6, v2
	v_and_b32_e32 v38, 12, v21
	v_addc_co_u32_e32 v15, vcc, v4, v3, vcc
	v_add_u32_e32 v13, 0x90, v2
	s_mov_b64 s[8:9], 0
	v_mov_b32_e32 v16, 0
	s_movk_i32 s34, 0x80
	s_movk_i32 s36, 0x7f
	v_mov_b32_e32 v19, 0
	s_brev_b32 s7, 1
	s_mov_b32 s11, 0x7f800001
	s_mov_b32 s37, 0xffffff
	v_bfrev_b32_e32 v40, 60
	v_mov_b32_e32 v41, 7
	v_mov_b32_e32 v42, 24
	;; [unrolled: 1-line block ×4, first 2 shown]
	s_branch .LBB209_99
.LBB209_97:                             ;   in Loop: Header=BB209_99 Depth=1
	s_or_b64 exec, exec, s[0:1]
	v_mul_f32_e32 v17, v3, v21
	v_mul_f32_e32 v3, v3, v25
	v_fmac_f32_e32 v17, v2, v20
	v_fmac_f32_e32 v3, v2, v24
	;; [unrolled: 1-line block ×6, first 2 shown]
	v_add_f32_e32 v8, v8, v17
	v_add_f32_e32 v9, v9, v3
.LBB209_98:                             ;   in Loop: Header=BB209_99 Depth=1
	s_or_b64 exec, exec, s[12:13]
	v_add_co_u32_e32 v14, vcc, 8, v14
	v_add_u32_e32 v12, 2, v12
	v_addc_co_u32_e32 v15, vcc, 0, v15, vcc
	v_cmp_le_i32_e32 vcc, s54, v12
	v_add_u32_e32 v34, 32, v34
	s_or_b64 s[8:9], vcc, s[8:9]
	v_add_u32_e32 v13, 0x80, v13
	s_andn2_b64 exec, exec, s[8:9]
	s_cbranch_execz .LBB209_152
.LBB209_99:                             ; =>This Inner Loop Header: Depth=1
	v_sub_u32_e32 v3, 0, v34
	v_max_i32_e32 v3, v34, v3
	v_mul_hi_u32 v4, v3, s52
	v_mul_lo_u32 v5, v4, s35
	v_sub_u32_e32 v3, v3, v5
	v_add_u32_e32 v5, 1, v4
	v_cmp_le_u32_e32 vcc, s35, v3
	v_cndmask_b32_e32 v4, v4, v5, vcc
	v_subrev_u32_e32 v5, s35, v3
	v_cndmask_b32_e32 v3, v3, v5, vcc
	v_ashrrev_i32_e32 v2, 31, v34
	v_add_u32_e32 v5, 1, v4
	v_cmp_le_u32_e32 vcc, s35, v3
	v_xor_b32_e32 v2, s53, v2
	v_cndmask_b32_e32 v3, v4, v5, vcc
	v_xor_b32_e32 v3, v3, v2
	v_sub_u32_e32 v2, v3, v2
	v_add_u32_e32 v3, s42, v2
	v_sub_u32_e32 v5, 0, v3
	v_ashrrev_i32_e32 v4, 31, v3
	v_max_i32_e32 v3, v3, v5
	v_mul_hi_u32 v5, v3, v39
	v_mul_lo_u32 v5, v5, s26
	v_sub_u32_e32 v3, v3, v5
	v_subrev_u32_e32 v5, s26, v3
	v_cmp_le_u32_e32 vcc, s26, v3
	v_cndmask_b32_e32 v3, v3, v5, vcc
	v_subrev_u32_e32 v5, s26, v3
	v_cmp_le_u32_e32 vcc, s26, v3
	v_cndmask_b32_e32 v3, v3, v5, vcc
	v_xor_b32_e32 v3, v3, v4
	v_sub_u32_e32 v3, v3, v4
	v_cmp_eq_u32_e32 vcc, 0, v3
	v_cmp_lt_i32_e64 s[0:1], s3, v2
	s_or_b64 s[0:1], vcc, s[0:1]
	s_and_saveexec_b64 s[12:13], s[0:1]
	s_cbranch_execz .LBB209_98
; %bb.100:                              ;   in Loop: Header=BB209_99 Depth=1
	global_load_dword v2, v[14:15], off
	s_load_dword s18, s[14:15], 0x0
	v_pk_mov_b32 v[26:27], 0, 0
	v_pk_mov_b32 v[22:23], v[26:27], v[26:27] op_sel:[0,1]
	s_waitcnt vmcnt(0)
	v_mad_i64_i32 v[24:25], s[0:1], v2, s17, v[6:7]
	global_load_dword v20, v[24:25], off
	ds_read_b128 v[2:5], v13
	s_waitcnt vmcnt(0)
	v_cmp_ne_u16_sdwa s[20:21], v20, v16 src0_sel:BYTE_0 src1_sel:DWORD
	s_and_saveexec_b64 s[0:1], s[20:21]
	s_cbranch_execz .LBB209_106
; %bb.101:                              ;   in Loop: Header=BB209_99 Depth=1
	v_bfrev_b32_e32 v22, 1
	v_cmp_ne_u16_sdwa s[22:23], v20, s34 src0_sel:BYTE_0 src1_sel:DWORD
	v_mov_b32_e32 v23, 0
	s_and_saveexec_b64 s[20:21], s[22:23]
	s_cbranch_execz .LBB209_105
; %bb.102:                              ;   in Loop: Header=BB209_99 Depth=1
	v_and_b32_e32 v17, 0x7f, v20
	v_mov_b32_e32 v22, 0x7f800001
	v_cmp_ne_u32_e32 vcc, s36, v17
	v_mov_b32_e32 v23, 0
	s_and_saveexec_b64 s[22:23], vcc
	s_cbranch_execz .LBB209_104
; %bb.103:                              ;   in Loop: Header=BB209_99 Depth=1
	v_and_b32_e32 v18, 7, v20
	v_ffbh_u32_e32 v22, v18
	v_min_u32_e32 v28, 32, v22
	v_lshrrev_b32_e32 v21, 3, v17
	v_subrev_u32_e32 v22, 28, v28
	v_lshlrev_b64 v[22:23], v22, v[20:21]
	v_sub_u32_e32 v23, 29, v28
	v_and_b32_e32 v22, 7, v22
	v_cmp_gt_u32_e32 vcc, 8, v17
	v_cndmask_b32_e32 v17, v21, v23, vcc
	v_cndmask_b32_e32 v18, v18, v22, vcc
	v_lshlrev_b32_e32 v18, 20, v18
	v_and_b32_sdwa v21, sext(v20), s7 dst_sel:DWORD dst_unused:UNUSED_PAD src0_sel:BYTE_0 src1_sel:DWORD
	v_lshl_add_u32 v17, v17, 23, v40
	v_or3_b32 v18, v21, v17, v18
	v_pk_mov_b32 v[22:23], v[18:19], v[18:19] op_sel:[0,1]
.LBB209_104:                            ;   in Loop: Header=BB209_99 Depth=1
	s_or_b64 exec, exec, s[22:23]
.LBB209_105:                            ;   in Loop: Header=BB209_99 Depth=1
	s_or_b64 exec, exec, s[20:21]
.LBB209_106:                            ;   in Loop: Header=BB209_99 Depth=1
	s_or_b64 exec, exec, s[0:1]
	v_cmp_ne_u16_sdwa s[20:21], v20, v16 src0_sel:BYTE_1 src1_sel:DWORD
	s_and_saveexec_b64 s[0:1], s[20:21]
	s_cbranch_execz .LBB209_112
; %bb.107:                              ;   in Loop: Header=BB209_99 Depth=1
	v_cmp_ne_u16_sdwa s[22:23], v20, s34 src0_sel:BYTE_1 src1_sel:DWORD
	v_pk_mov_b32 v[26:27], s[6:7], s[6:7] op_sel:[0,1]
	s_and_saveexec_b64 s[20:21], s[22:23]
	s_cbranch_execz .LBB209_111
; %bb.108:                              ;   in Loop: Header=BB209_99 Depth=1
	v_and_b32_sdwa v17, v20, s36 dst_sel:DWORD dst_unused:UNUSED_PAD src0_sel:BYTE_1 src1_sel:DWORD
	s_mov_b32 s10, s6
	v_cmp_ne_u32_e32 vcc, s36, v17
	v_pk_mov_b32 v[26:27], s[10:11], s[10:11] op_sel:[0,1]
	s_and_saveexec_b64 s[22:23], vcc
	s_cbranch_execz .LBB209_110
; %bb.109:                              ;   in Loop: Header=BB209_99 Depth=1
	v_and_b32_sdwa v18, v20, v41 dst_sel:DWORD dst_unused:UNUSED_PAD src0_sel:BYTE_1 src1_sel:DWORD
	v_ffbh_u32_e32 v26, v18
	v_min_u32_e32 v28, 32, v26
	v_subrev_u32_e32 v26, 28, v28
	v_lshlrev_b64 v[26:27], v26, v[18:19]
	v_lshrrev_b32_e32 v21, 3, v17
	v_sub_u32_e32 v27, 29, v28
	v_cmp_gt_u32_e32 vcc, 8, v17
	v_and_b32_e32 v26, 7, v26
	v_cndmask_b32_e32 v17, v21, v27, vcc
	v_cndmask_b32_e32 v18, v18, v26, vcc
	v_lshlrev_b32_e32 v21, 16, v20
	v_lshl_add_u32 v17, v17, 23, v40
	v_and_or_b32 v17, v21, s7, v17
	v_lshlrev_b32_e32 v18, 20, v18
	v_or_b32_e32 v17, v17, v18
	v_pk_mov_b32 v[26:27], v[16:17], v[16:17] op_sel:[0,1]
.LBB209_110:                            ;   in Loop: Header=BB209_99 Depth=1
	s_or_b64 exec, exec, s[22:23]
.LBB209_111:                            ;   in Loop: Header=BB209_99 Depth=1
	s_or_b64 exec, exec, s[20:21]
.LBB209_112:                            ;   in Loop: Header=BB209_99 Depth=1
	s_or_b64 exec, exec, s[0:1]
	v_lshrrev_b32_e32 v18, 16, v20
	v_pk_mov_b32 v[30:31], 0, 0
	v_cmp_ne_u16_sdwa s[20:21], v18, v16 src0_sel:BYTE_0 src1_sel:DWORD
	v_pk_mov_b32 v[28:29], v[30:31], v[30:31] op_sel:[0,1]
	s_and_saveexec_b64 s[0:1], s[20:21]
	s_cbranch_execz .LBB209_118
; %bb.113:                              ;   in Loop: Header=BB209_99 Depth=1
	v_bfrev_b32_e32 v28, 1
	v_cmp_ne_u16_sdwa s[22:23], v18, s34 src0_sel:BYTE_0 src1_sel:DWORD
	v_mov_b32_e32 v29, 0
	s_and_saveexec_b64 s[20:21], s[22:23]
	s_cbranch_execz .LBB209_117
; %bb.114:                              ;   in Loop: Header=BB209_99 Depth=1
	v_bfe_u32 v17, v20, 16, 7
	v_mov_b32_e32 v28, 0x7f800001
	v_cmp_ne_u32_e32 vcc, s36, v17
	v_mov_b32_e32 v29, 0
	s_and_saveexec_b64 s[22:23], vcc
	s_cbranch_execz .LBB209_116
; %bb.115:                              ;   in Loop: Header=BB209_99 Depth=1
	v_and_b32_e32 v21, 7, v18
	v_ffbh_u32_e32 v28, v21
	v_min_u32_e32 v33, 32, v28
	v_subrev_u32_e32 v28, 28, v33
	v_lshlrev_b64 v[28:29], v28, v[18:19]
	v_lshrrev_b32_e32 v32, 3, v17
	v_sub_u32_e32 v29, 29, v33
	v_and_b32_e32 v28, 7, v28
	v_cmp_gt_u32_e32 vcc, 8, v17
	v_cndmask_b32_e32 v17, v32, v29, vcc
	v_cndmask_b32_e32 v21, v21, v28, vcc
	v_lshlrev_b32_e32 v21, 20, v21
	v_and_b32_sdwa v18, sext(v18), s7 dst_sel:DWORD dst_unused:UNUSED_PAD src0_sel:BYTE_0 src1_sel:DWORD
	v_lshl_add_u32 v17, v17, 23, v40
	v_or3_b32 v18, v18, v17, v21
	v_pk_mov_b32 v[28:29], v[18:19], v[18:19] op_sel:[0,1]
.LBB209_116:                            ;   in Loop: Header=BB209_99 Depth=1
	s_or_b64 exec, exec, s[22:23]
.LBB209_117:                            ;   in Loop: Header=BB209_99 Depth=1
	s_or_b64 exec, exec, s[20:21]
.LBB209_118:                            ;   in Loop: Header=BB209_99 Depth=1
	s_or_b64 exec, exec, s[0:1]
	v_cmp_lt_u32_e32 vcc, s37, v20
	s_and_saveexec_b64 s[0:1], vcc
	s_cbranch_execz .LBB209_124
; %bb.119:                              ;   in Loop: Header=BB209_99 Depth=1
	v_cmp_ne_u32_sdwa s[22:23], v20, s34 src0_sel:BYTE_3 src1_sel:DWORD
	v_pk_mov_b32 v[30:31], s[6:7], s[6:7] op_sel:[0,1]
	s_and_saveexec_b64 s[20:21], s[22:23]
	s_cbranch_execz .LBB209_123
; %bb.120:                              ;   in Loop: Header=BB209_99 Depth=1
	v_bfe_u32 v17, v20, 24, 7
	s_mov_b32 s10, s6
	v_cmp_ne_u32_e32 vcc, s36, v17
	v_pk_mov_b32 v[30:31], s[10:11], s[10:11] op_sel:[0,1]
	s_and_saveexec_b64 s[22:23], vcc
	s_cbranch_execz .LBB209_122
; %bb.121:                              ;   in Loop: Header=BB209_99 Depth=1
	v_and_b32_sdwa v18, v20, v41 dst_sel:DWORD dst_unused:UNUSED_PAD src0_sel:BYTE_3 src1_sel:DWORD
	v_ffbh_u32_e32 v30, v18
	v_min_u32_e32 v32, 32, v30
	v_subrev_u32_e32 v30, 28, v32
	v_lshlrev_b64 v[30:31], v30, v[18:19]
	v_lshrrev_b32_e32 v21, 3, v17
	v_sub_u32_e32 v31, 29, v32
	v_cmp_gt_u32_e32 vcc, 8, v17
	v_and_b32_e32 v30, 7, v30
	v_cndmask_b32_e32 v17, v21, v31, vcc
	v_cndmask_b32_e32 v18, v18, v30, vcc
	v_lshlrev_b32_sdwa v20, v42, v20 dst_sel:DWORD dst_unused:UNUSED_PAD src0_sel:DWORD src1_sel:BYTE_3
	v_lshl_add_u32 v17, v17, 23, v40
	v_and_or_b32 v17, v20, s7, v17
	v_lshlrev_b32_e32 v18, 20, v18
	v_or_b32_e32 v17, v17, v18
	v_pk_mov_b32 v[30:31], v[16:17], v[16:17] op_sel:[0,1]
.LBB209_122:                            ;   in Loop: Header=BB209_99 Depth=1
	s_or_b64 exec, exec, s[22:23]
.LBB209_123:                            ;   in Loop: Header=BB209_99 Depth=1
	s_or_b64 exec, exec, s[20:21]
.LBB209_124:                            ;   in Loop: Header=BB209_99 Depth=1
	s_or_b64 exec, exec, s[0:1]
	v_add_u32_e32 v43, v38, v34
	v_or_b32_e32 v21, v27, v23
	v_or_b32_e32 v20, v26, v22
	;; [unrolled: 1-line block ×4, first 2 shown]
	v_cmp_eq_u32_e32 vcc, s27, v12
	s_waitcnt lgkmcnt(0)
	v_pk_mul_f32 v[20:21], s[18:19], v[20:21] op_sel_hi:[0,1]
	v_pk_mul_f32 v[22:23], s[18:19], v[22:23] op_sel_hi:[0,1]
	v_add_u32_e32 v46, 1, v43
	v_add_u32_e32 v45, 2, v43
	;; [unrolled: 1-line block ×3, first 2 shown]
	s_and_saveexec_b64 s[20:21], vcc
; %bb.125:                              ;   in Loop: Header=BB209_99 Depth=1
	v_cmp_gt_i32_e64 s[0:1], s33, v43
	v_cndmask_b32_e64 v20, 0, v20, s[0:1]
	v_cmp_gt_i32_e64 s[0:1], s33, v46
	v_cndmask_b32_e64 v21, 0, v21, s[0:1]
	;; [unrolled: 2-line block ×4, first 2 shown]
; %bb.126:                              ;   in Loop: Header=BB209_99 Depth=1
	s_or_b64 exec, exec, s[20:21]
	global_load_dword v24, v[24:25], off offset:256
	v_pk_mov_b32 v[28:29], 0, 0
	v_pk_mov_b32 v[26:27], v[28:29], v[28:29] op_sel:[0,1]
	s_waitcnt vmcnt(0)
	v_cmp_ne_u16_sdwa s[0:1], v24, v16 src0_sel:BYTE_0 src1_sel:DWORD
	s_and_saveexec_b64 s[20:21], s[0:1]
	s_cbranch_execz .LBB209_132
; %bb.127:                              ;   in Loop: Header=BB209_99 Depth=1
	v_bfrev_b32_e32 v26, 1
	v_cmp_ne_u16_sdwa s[0:1], v24, s34 src0_sel:BYTE_0 src1_sel:DWORD
	v_mov_b32_e32 v27, 0
	s_and_saveexec_b64 s[22:23], s[0:1]
	s_cbranch_execz .LBB209_131
; %bb.128:                              ;   in Loop: Header=BB209_99 Depth=1
	v_and_b32_e32 v17, 0x7f, v24
	v_mov_b32_e32 v26, 0x7f800001
	v_cmp_ne_u32_e64 s[0:1], s36, v17
	v_mov_b32_e32 v27, 0
	s_and_saveexec_b64 s[24:25], s[0:1]
	s_cbranch_execz .LBB209_130
; %bb.129:                              ;   in Loop: Header=BB209_99 Depth=1
	v_and_b32_e32 v18, 7, v24
	v_ffbh_u32_e32 v26, v18
	v_min_u32_e32 v30, 32, v26
	v_lshrrev_b32_e32 v25, 3, v17
	v_subrev_u32_e32 v26, 28, v30
	v_lshlrev_b64 v[26:27], v26, v[24:25]
	v_sub_u32_e32 v27, 29, v30
	v_and_b32_e32 v26, 7, v26
	v_cmp_gt_u32_e64 s[0:1], 8, v17
	v_cndmask_b32_e64 v17, v25, v27, s[0:1]
	v_cndmask_b32_e64 v18, v18, v26, s[0:1]
	v_lshlrev_b32_e32 v18, 20, v18
	v_and_b32_sdwa v25, sext(v24), s7 dst_sel:DWORD dst_unused:UNUSED_PAD src0_sel:BYTE_0 src1_sel:DWORD
	v_lshl_add_u32 v17, v17, 23, v40
	v_or3_b32 v18, v25, v17, v18
	v_pk_mov_b32 v[26:27], v[18:19], v[18:19] op_sel:[0,1]
.LBB209_130:                            ;   in Loop: Header=BB209_99 Depth=1
	s_or_b64 exec, exec, s[24:25]
.LBB209_131:                            ;   in Loop: Header=BB209_99 Depth=1
	s_or_b64 exec, exec, s[22:23]
.LBB209_132:                            ;   in Loop: Header=BB209_99 Depth=1
	s_or_b64 exec, exec, s[20:21]
	v_cmp_ne_u16_sdwa s[0:1], v24, v16 src0_sel:BYTE_1 src1_sel:DWORD
	s_and_saveexec_b64 s[20:21], s[0:1]
	s_cbranch_execz .LBB209_138
; %bb.133:                              ;   in Loop: Header=BB209_99 Depth=1
	v_cmp_ne_u16_sdwa s[0:1], v24, s34 src0_sel:BYTE_1 src1_sel:DWORD
	v_pk_mov_b32 v[28:29], s[6:7], s[6:7] op_sel:[0,1]
	s_and_saveexec_b64 s[22:23], s[0:1]
	s_cbranch_execz .LBB209_137
; %bb.134:                              ;   in Loop: Header=BB209_99 Depth=1
	v_and_b32_sdwa v17, v24, s36 dst_sel:DWORD dst_unused:UNUSED_PAD src0_sel:BYTE_1 src1_sel:DWORD
	s_mov_b32 s10, s6
	v_cmp_ne_u32_e64 s[0:1], s36, v17
	v_pk_mov_b32 v[28:29], s[10:11], s[10:11] op_sel:[0,1]
	s_and_saveexec_b64 s[24:25], s[0:1]
	s_cbranch_execz .LBB209_136
; %bb.135:                              ;   in Loop: Header=BB209_99 Depth=1
	v_and_b32_sdwa v18, v24, v41 dst_sel:DWORD dst_unused:UNUSED_PAD src0_sel:BYTE_1 src1_sel:DWORD
	v_ffbh_u32_e32 v28, v18
	v_min_u32_e32 v30, 32, v28
	v_subrev_u32_e32 v28, 28, v30
	v_lshlrev_b64 v[28:29], v28, v[18:19]
	v_lshrrev_b32_e32 v25, 3, v17
	v_sub_u32_e32 v29, 29, v30
	v_cmp_gt_u32_e64 s[0:1], 8, v17
	v_and_b32_e32 v28, 7, v28
	v_cndmask_b32_e64 v17, v25, v29, s[0:1]
	v_cndmask_b32_e64 v18, v18, v28, s[0:1]
	v_lshlrev_b32_e32 v25, 16, v24
	v_lshl_add_u32 v17, v17, 23, v40
	v_and_or_b32 v17, v25, s7, v17
	v_lshlrev_b32_e32 v18, 20, v18
	v_or_b32_e32 v17, v17, v18
	v_pk_mov_b32 v[28:29], v[16:17], v[16:17] op_sel:[0,1]
.LBB209_136:                            ;   in Loop: Header=BB209_99 Depth=1
	s_or_b64 exec, exec, s[24:25]
.LBB209_137:                            ;   in Loop: Header=BB209_99 Depth=1
	s_or_b64 exec, exec, s[22:23]
.LBB209_138:                            ;   in Loop: Header=BB209_99 Depth=1
	s_or_b64 exec, exec, s[20:21]
	v_lshrrev_b32_e32 v18, 16, v24
	v_pk_mov_b32 v[32:33], 0, 0
	v_cmp_ne_u16_sdwa s[0:1], v18, v16 src0_sel:BYTE_0 src1_sel:DWORD
	v_pk_mov_b32 v[30:31], v[32:33], v[32:33] op_sel:[0,1]
	s_and_saveexec_b64 s[20:21], s[0:1]
	s_cbranch_execz .LBB209_144
; %bb.139:                              ;   in Loop: Header=BB209_99 Depth=1
	v_bfrev_b32_e32 v30, 1
	v_cmp_ne_u16_sdwa s[0:1], v18, s34 src0_sel:BYTE_0 src1_sel:DWORD
	v_mov_b32_e32 v31, 0
	s_and_saveexec_b64 s[22:23], s[0:1]
	s_cbranch_execz .LBB209_143
; %bb.140:                              ;   in Loop: Header=BB209_99 Depth=1
	v_bfe_u32 v17, v24, 16, 7
	v_mov_b32_e32 v30, 0x7f800001
	v_cmp_ne_u32_e64 s[0:1], s36, v17
	v_mov_b32_e32 v31, 0
	s_and_saveexec_b64 s[24:25], s[0:1]
	s_cbranch_execz .LBB209_142
; %bb.141:                              ;   in Loop: Header=BB209_99 Depth=1
	v_and_b32_e32 v25, 7, v18
	v_ffbh_u32_e32 v30, v25
	v_min_u32_e32 v48, 32, v30
	v_subrev_u32_e32 v30, 28, v48
	v_lshlrev_b64 v[30:31], v30, v[18:19]
	v_lshrrev_b32_e32 v47, 3, v17
	v_sub_u32_e32 v31, 29, v48
	v_and_b32_e32 v30, 7, v30
	v_cmp_gt_u32_e64 s[0:1], 8, v17
	v_cndmask_b32_e64 v17, v47, v31, s[0:1]
	v_cndmask_b32_e64 v25, v25, v30, s[0:1]
	v_lshlrev_b32_e32 v25, 20, v25
	v_and_b32_sdwa v18, sext(v18), s7 dst_sel:DWORD dst_unused:UNUSED_PAD src0_sel:BYTE_0 src1_sel:DWORD
	v_lshl_add_u32 v17, v17, 23, v40
	v_or3_b32 v18, v18, v17, v25
	v_pk_mov_b32 v[30:31], v[18:19], v[18:19] op_sel:[0,1]
.LBB209_142:                            ;   in Loop: Header=BB209_99 Depth=1
	s_or_b64 exec, exec, s[24:25]
.LBB209_143:                            ;   in Loop: Header=BB209_99 Depth=1
	s_or_b64 exec, exec, s[22:23]
.LBB209_144:                            ;   in Loop: Header=BB209_99 Depth=1
	s_or_b64 exec, exec, s[20:21]
	v_cmp_lt_u32_e64 s[0:1], s37, v24
	s_and_saveexec_b64 s[20:21], s[0:1]
	s_cbranch_execz .LBB209_150
; %bb.145:                              ;   in Loop: Header=BB209_99 Depth=1
	v_cmp_ne_u32_sdwa s[0:1], v24, s34 src0_sel:BYTE_3 src1_sel:DWORD
	v_pk_mov_b32 v[32:33], s[6:7], s[6:7] op_sel:[0,1]
	s_and_saveexec_b64 s[22:23], s[0:1]
	s_cbranch_execz .LBB209_149
; %bb.146:                              ;   in Loop: Header=BB209_99 Depth=1
	v_bfe_u32 v17, v24, 24, 7
	s_mov_b32 s10, s6
	v_cmp_ne_u32_e64 s[0:1], s36, v17
	v_pk_mov_b32 v[32:33], s[10:11], s[10:11] op_sel:[0,1]
	s_and_saveexec_b64 s[24:25], s[0:1]
	s_cbranch_execz .LBB209_148
; %bb.147:                              ;   in Loop: Header=BB209_99 Depth=1
	v_and_b32_sdwa v18, v24, v41 dst_sel:DWORD dst_unused:UNUSED_PAD src0_sel:BYTE_3 src1_sel:DWORD
	v_ffbh_u32_e32 v32, v18
	v_min_u32_e32 v47, 32, v32
	v_subrev_u32_e32 v32, 28, v47
	v_lshlrev_b64 v[32:33], v32, v[18:19]
	v_lshrrev_b32_e32 v25, 3, v17
	v_sub_u32_e32 v33, 29, v47
	v_cmp_gt_u32_e64 s[0:1], 8, v17
	v_and_b32_e32 v32, 7, v32
	v_cndmask_b32_e64 v17, v25, v33, s[0:1]
	v_cndmask_b32_e64 v18, v18, v32, s[0:1]
	v_lshlrev_b32_sdwa v24, v42, v24 dst_sel:DWORD dst_unused:UNUSED_PAD src0_sel:DWORD src1_sel:BYTE_3
	v_lshl_add_u32 v17, v17, 23, v40
	v_and_or_b32 v17, v24, s7, v17
	v_lshlrev_b32_e32 v18, 20, v18
	v_or_b32_e32 v17, v17, v18
	v_pk_mov_b32 v[32:33], v[16:17], v[16:17] op_sel:[0,1]
.LBB209_148:                            ;   in Loop: Header=BB209_99 Depth=1
	s_or_b64 exec, exec, s[24:25]
.LBB209_149:                            ;   in Loop: Header=BB209_99 Depth=1
	s_or_b64 exec, exec, s[22:23]
.LBB209_150:                            ;   in Loop: Header=BB209_99 Depth=1
	s_or_b64 exec, exec, s[20:21]
	s_mov_b32 s19, s18
	v_or_b32_e32 v25, v29, v27
	v_or_b32_e32 v24, v28, v26
	;; [unrolled: 1-line block ×4, first 2 shown]
	v_pk_mul_f32 v[24:25], s[18:19], v[24:25]
	v_pk_mul_f32 v[26:27], s[18:19], v[26:27]
	s_and_saveexec_b64 s[0:1], vcc
	s_cbranch_execz .LBB209_97
; %bb.151:                              ;   in Loop: Header=BB209_99 Depth=1
	v_cmp_gt_i32_e32 vcc, s33, v43
	v_cndmask_b32_e32 v24, 0, v24, vcc
	v_cmp_gt_i32_e32 vcc, s33, v46
	v_cndmask_b32_e32 v25, 0, v25, vcc
	;; [unrolled: 2-line block ×4, first 2 shown]
	s_branch .LBB209_97
.LBB209_152:
	s_or_b64 exec, exec, s[8:9]
.LBB209_153:
	s_or_b64 exec, exec, s[4:5]
	ds_bpermute_b32 v2, v37, v8
	ds_bpermute_b32 v3, v37, v9
	v_and_b32_e32 v4, 0x3c3, v0
	v_cmp_eq_u32_e32 vcc, 64, v4
	s_waitcnt lgkmcnt(0)
	s_barrier
	v_pk_add_f32 v[2:3], v[8:9], v[2:3]
	ds_bpermute_b32 v6, v36, v2
	ds_bpermute_b32 v7, v36, v3
	s_waitcnt lgkmcnt(0)
	v_pk_add_f32 v[2:3], v[2:3], v[6:7]
	s_and_saveexec_b64 s[0:1], vcc
	s_cbranch_execz .LBB209_155
; %bb.154:
	v_add_u32_e32 v6, 0x90, v35
	v_add_u32_e32 v5, 0x90, v0
	ds_write_b32 v6, v2
	ds_write_b32 v5, v3
.LBB209_155:
	s_or_b64 exec, exec, s[0:1]
	v_cmp_gt_u32_e32 vcc, 64, v0
	s_waitcnt lgkmcnt(0)
	s_barrier
	s_and_saveexec_b64 s[0:1], vcc
	s_cbranch_execz .LBB209_161
; %bb.156:
	v_cmp_eq_u32_e32 vcc, 0, v10
	s_and_saveexec_b64 s[4:5], vcc
	s_cbranch_execz .LBB209_158
; %bb.157:
	v_mov_b32_e32 v0, 0x90
	v_lshl_add_u32 v0, v11, 2, v0
	ds_read_b32 v0, v0
	s_waitcnt lgkmcnt(0)
	v_add_f32_e32 v2, v2, v0
.LBB209_158:
	s_or_b64 exec, exec, s[4:5]
	s_and_saveexec_b64 s[4:5], vcc
	s_cbranch_execz .LBB209_160
; %bb.159:
	v_mov_b32_e32 v0, 0x90
	v_lshl_add_u32 v0, v11, 2, v0
	ds_read_b32 v0, v0 offset:64
	s_waitcnt lgkmcnt(0)
	v_add_f32_e32 v3, v3, v0
.LBB209_160:
	s_or_b64 exec, exec, s[4:5]
.LBB209_161:
	s_or_b64 exec, exec, s[0:1]
	v_cmp_eq_u32_e32 vcc, 0, v4
	s_barrier
	s_and_saveexec_b64 s[0:1], vcc
	s_cbranch_execz .LBB209_163
; %bb.162:
	s_lshl_b32 s0, s2, 5
	s_ashr_i32 s1, s0, 31
	s_lshl_b64 s[0:1], s[0:1], 2
	s_add_u32 s2, s30, s0
	s_mul_i32 s0, s29, s28
	s_addc_u32 s3, s31, s1
	s_ashr_i32 s1, s0, 31
	s_lshl_b64 s[0:1], s[0:1], 2
	s_add_u32 s2, s2, s0
	s_addc_u32 s3, s3, s1
	s_ashr_i32 s17, s16, 31
	s_lshl_b64 s[0:1], s[16:17], 2
	s_add_u32 s0, s2, s0
	s_addc_u32 s1, s3, s1
	global_store_dword v1, v2, s[0:1]
	global_store_dword v1, v3, s[0:1] offset:64
.LBB209_163:
	s_endpgm
	.section	.rodata,"a",@progbits
	.p2align	6, 0x0
	.amdhsa_kernel _ZN4vllm25paged_attention_v2_kernelIfhLi32ELi16ELi128ELNS_18Fp8KVCacheDataTypeE1ELb1ELi512EEEvPfS2_PT_PKS3_PKT0_S9_ifPKiSB_iPKfiiiSD_SD_iiiii
		.amdhsa_group_segment_fixed_size 144
		.amdhsa_private_segment_fixed_size 0
		.amdhsa_kernarg_size 400
		.amdhsa_user_sgpr_count 6
		.amdhsa_user_sgpr_private_segment_buffer 1
		.amdhsa_user_sgpr_dispatch_ptr 0
		.amdhsa_user_sgpr_queue_ptr 0
		.amdhsa_user_sgpr_kernarg_segment_ptr 1
		.amdhsa_user_sgpr_dispatch_id 0
		.amdhsa_user_sgpr_flat_scratch_init 0
		.amdhsa_user_sgpr_kernarg_preload_length 0
		.amdhsa_user_sgpr_kernarg_preload_offset 0
		.amdhsa_user_sgpr_private_segment_size 0
		.amdhsa_uses_dynamic_stack 0
		.amdhsa_system_sgpr_private_segment_wavefront_offset 0
		.amdhsa_system_sgpr_workgroup_id_x 1
		.amdhsa_system_sgpr_workgroup_id_y 1
		.amdhsa_system_sgpr_workgroup_id_z 1
		.amdhsa_system_sgpr_workgroup_info 0
		.amdhsa_system_vgpr_workitem_id 0
		.amdhsa_next_free_vgpr 50
		.amdhsa_next_free_sgpr 63
		.amdhsa_accum_offset 52
		.amdhsa_reserve_vcc 1
		.amdhsa_reserve_flat_scratch 0
		.amdhsa_float_round_mode_32 0
		.amdhsa_float_round_mode_16_64 0
		.amdhsa_float_denorm_mode_32 3
		.amdhsa_float_denorm_mode_16_64 3
		.amdhsa_dx10_clamp 1
		.amdhsa_ieee_mode 1
		.amdhsa_fp16_overflow 0
		.amdhsa_tg_split 0
		.amdhsa_exception_fp_ieee_invalid_op 0
		.amdhsa_exception_fp_denorm_src 0
		.amdhsa_exception_fp_ieee_div_zero 0
		.amdhsa_exception_fp_ieee_overflow 0
		.amdhsa_exception_fp_ieee_underflow 0
		.amdhsa_exception_fp_ieee_inexact 0
		.amdhsa_exception_int_div_zero 0
	.end_amdhsa_kernel
	.section	.text._ZN4vllm25paged_attention_v2_kernelIfhLi32ELi16ELi128ELNS_18Fp8KVCacheDataTypeE1ELb1ELi512EEEvPfS2_PT_PKS3_PKT0_S9_ifPKiSB_iPKfiiiSD_SD_iiiii,"axG",@progbits,_ZN4vllm25paged_attention_v2_kernelIfhLi32ELi16ELi128ELNS_18Fp8KVCacheDataTypeE1ELb1ELi512EEEvPfS2_PT_PKS3_PKT0_S9_ifPKiSB_iPKfiiiSD_SD_iiiii,comdat
.Lfunc_end209:
	.size	_ZN4vllm25paged_attention_v2_kernelIfhLi32ELi16ELi128ELNS_18Fp8KVCacheDataTypeE1ELb1ELi512EEEvPfS2_PT_PKS3_PKT0_S9_ifPKiSB_iPKfiiiSD_SD_iiiii, .Lfunc_end209-_ZN4vllm25paged_attention_v2_kernelIfhLi32ELi16ELi128ELNS_18Fp8KVCacheDataTypeE1ELb1ELi512EEEvPfS2_PT_PKS3_PKT0_S9_ifPKiSB_iPKfiiiSD_SD_iiiii
                                        ; -- End function
	.section	.AMDGPU.csdata,"",@progbits
; Kernel info:
; codeLenInByte = 7024
; NumSgprs: 67
; NumVgprs: 50
; NumAgprs: 0
; TotalNumVgprs: 50
; ScratchSize: 0
; MemoryBound: 0
; FloatMode: 240
; IeeeMode: 1
; LDSByteSize: 144 bytes/workgroup (compile time only)
; SGPRBlocks: 8
; VGPRBlocks: 6
; NumSGPRsForWavesPerEU: 67
; NumVGPRsForWavesPerEU: 50
; AccumOffset: 52
; Occupancy: 8
; WaveLimiterHint : 1
; COMPUTE_PGM_RSRC2:SCRATCH_EN: 0
; COMPUTE_PGM_RSRC2:USER_SGPR: 6
; COMPUTE_PGM_RSRC2:TRAP_HANDLER: 0
; COMPUTE_PGM_RSRC2:TGID_X_EN: 1
; COMPUTE_PGM_RSRC2:TGID_Y_EN: 1
; COMPUTE_PGM_RSRC2:TGID_Z_EN: 1
; COMPUTE_PGM_RSRC2:TIDIG_COMP_CNT: 0
; COMPUTE_PGM_RSRC3_GFX90A:ACCUM_OFFSET: 12
; COMPUTE_PGM_RSRC3_GFX90A:TG_SPLIT: 0
	.section	.text._ZN4vllm25paged_attention_v2_kernelIfhLi64ELi16ELi128ELNS_18Fp8KVCacheDataTypeE1ELb1ELi512EEEvPfS2_PT_PKS3_PKT0_S9_ifPKiSB_iPKfiiiSD_SD_iiiii,"axG",@progbits,_ZN4vllm25paged_attention_v2_kernelIfhLi64ELi16ELi128ELNS_18Fp8KVCacheDataTypeE1ELb1ELi512EEEvPfS2_PT_PKS3_PKT0_S9_ifPKiSB_iPKfiiiSD_SD_iiiii,comdat
	.protected	_ZN4vllm25paged_attention_v2_kernelIfhLi64ELi16ELi128ELNS_18Fp8KVCacheDataTypeE1ELb1ELi512EEEvPfS2_PT_PKS3_PKT0_S9_ifPKiSB_iPKfiiiSD_SD_iiiii ; -- Begin function _ZN4vllm25paged_attention_v2_kernelIfhLi64ELi16ELi128ELNS_18Fp8KVCacheDataTypeE1ELb1ELi512EEEvPfS2_PT_PKS3_PKT0_S9_ifPKiSB_iPKfiiiSD_SD_iiiii
	.globl	_ZN4vllm25paged_attention_v2_kernelIfhLi64ELi16ELi128ELNS_18Fp8KVCacheDataTypeE1ELb1ELi512EEEvPfS2_PT_PKS3_PKT0_S9_ifPKiSB_iPKfiiiSD_SD_iiiii
	.p2align	8
	.type	_ZN4vllm25paged_attention_v2_kernelIfhLi64ELi16ELi128ELNS_18Fp8KVCacheDataTypeE1ELb1ELi512EEEvPfS2_PT_PKS3_PKT0_S9_ifPKiSB_iPKfiiiSD_SD_iiiii,@function
_ZN4vllm25paged_attention_v2_kernelIfhLi64ELi16ELi128ELNS_18Fp8KVCacheDataTypeE1ELb1ELi512EEEvPfS2_PT_PKS3_PKT0_S9_ifPKiSB_iPKfiiiSD_SD_iiiii: ; @_ZN4vllm25paged_attention_v2_kernelIfhLi64ELi16ELi128ELNS_18Fp8KVCacheDataTypeE1ELb1ELi512EEEvPfS2_PT_PKS3_PKT0_S9_ifPKiSB_iPKfiiiSD_SD_iiiii
; %bb.0:
	s_load_dwordx2 s[0:1], s[4:5], 0x40
	s_mov_b32 s36, s7
	s_ashr_i32 s37, s7, 31
	s_lshl_b64 s[2:3], s[36:37], 2
	s_waitcnt lgkmcnt(0)
	s_add_u32 s0, s0, s2
	s_addc_u32 s1, s1, s3
	s_load_dword s33, s[0:1], 0x0
	s_lshl_b32 s57, s8, 9
	s_waitcnt lgkmcnt(0)
	s_cmp_ge_i32 s57, s33
	s_cbranch_scc1 .LBB210_264
; %bb.1:
	s_load_dword s9, s[4:5], 0x90
	s_load_dwordx2 s[44:45], s[4:5], 0x30
	s_mov_b32 s58, 0
	s_waitcnt lgkmcnt(0)
	s_abs_i32 s2, s9
	s_abs_i32 s0, s44
	v_cvt_f32_u32_e32 v1, s0
	s_sub_i32 s3, 0, s0
	s_xor_b32 s1, s9, s44
	s_ashr_i32 s1, s1, 31
	v_rcp_iflag_f32_e32 v1, v1
	v_mul_f32_e32 v1, 0x4f7ffffe, v1
	v_cvt_u32_f32_e32 v1, v1
	v_readfirstlane_b32 s7, v1
	s_mul_i32 s3, s3, s7
	s_mul_hi_u32 s3, s7, s3
	s_add_i32 s7, s7, s3
	s_mul_hi_u32 s3, s2, s7
	s_mul_i32 s7, s3, s0
	s_sub_i32 s2, s2, s7
	s_add_i32 s10, s3, 1
	s_sub_i32 s7, s2, s0
	s_cmp_ge_u32 s2, s0
	s_cselect_b32 s3, s10, s3
	s_cselect_b32 s2, s7, s2
	s_add_i32 s7, s3, 1
	s_cmp_ge_u32 s2, s0
	s_cselect_b32 s0, s7, s3
	s_xor_b32 s0, s0, s1
	s_sub_i32 s2, s0, s1
	s_abs_i32 s10, s2
	v_cvt_f32_u32_e32 v1, s10
	s_load_dwordx2 s[0:1], s[4:5], 0x50
	s_sub_i32 s3, 0, s10
	s_abs_i32 s11, s6
	v_rcp_iflag_f32_e32 v1, v1
	v_mul_f32_e32 v1, 0x4f7ffffe, v1
	v_cvt_u32_f32_e32 v1, v1
	v_readfirstlane_b32 s7, v1
	s_mul_i32 s3, s3, s7
	s_mul_hi_u32 s3, s7, s3
	s_add_i32 s7, s7, s3
	s_waitcnt lgkmcnt(0)
	s_cmp_eq_u64 s[0:1], 0
	s_mul_hi_u32 s12, s11, s7
	s_cbranch_scc1 .LBB210_3
; %bb.2:
	s_ashr_i32 s7, s6, 31
	s_lshl_b64 s[14:15], s[6:7], 2
	s_add_u32 s0, s0, s14
	s_addc_u32 s1, s1, s15
	s_load_dword s58, s[0:1], 0x0
.LBB210_3:
	s_load_dwordx4 s[20:23], s[4:5], 0x58
	v_lshrrev_b32_e32 v19, 2, v0
	s_ashr_i32 s7, s6, 31
	s_ashr_i32 s13, s2, 31
	v_and_b32_e32 v18, 3, v0
	s_lshl_b32 s14, s6, 6
	v_cmp_gt_u32_e64 s[0:1], 64, v0
	v_lshlrev_b32_e32 v31, 2, v0
	v_lshlrev_b32_e32 v1, 2, v19
	s_and_saveexec_b64 s[2:3], s[0:1]
	s_cbranch_execz .LBB210_5
; %bb.4:
	s_load_dwordx2 s[16:17], s[4:5], 0x18
	s_waitcnt lgkmcnt(0)
	s_mul_i32 s18, s36, s20
	s_ashr_i32 s19, s18, 31
	s_lshl_b64 s[18:19], s[18:19], 2
	v_lshl_add_u32 v3, v18, 6, v1
	s_add_u32 s18, s16, s18
	s_addc_u32 s19, s17, s19
	s_ashr_i32 s15, s14, 31
	s_lshl_b64 s[16:17], s[14:15], 2
	s_add_u32 s16, s18, s16
	s_addc_u32 s17, s19, s17
	global_load_dword v2, v31, s[16:17]
	s_waitcnt vmcnt(0)
	ds_write_b32 v3, v2
.LBB210_5:
	s_or_b64 exec, exec, s[2:3]
	s_mul_i32 s3, s12, s10
	s_sub_i32 s3, s11, s3
	s_xor_b32 s2, s7, s13
	s_add_i32 s7, s12, 1
	s_sub_i32 s11, s3, s10
	s_load_dwordx4 s[24:27], s[4:5], 0x78
	s_cmp_ge_u32 s3, s10
	s_cselect_b32 s7, s7, s12
	s_load_dword s12, s[4:5], 0x88
	s_cselect_b32 s3, s11, s3
	s_add_i32 s11, s7, 1
	s_cmp_ge_u32 s3, s10
	s_cselect_b32 s3, s11, s7
	s_waitcnt lgkmcnt(0)
	s_abs_i32 s37, s27
	v_cvt_f32_u32_e32 v2, s37
	s_xor_b32 s3, s3, s2
	s_sub_i32 s10, s3, s2
	s_sub_i32 s2, 0, s37
	v_rcp_iflag_f32_e32 v2, v2
	s_add_i32 s13, s33, -1
	s_abs_i32 s7, s13
	v_mul_f32_e32 v2, 0x4f7ffffe, v2
	v_cvt_u32_f32_e32 v2, v2
	s_barrier
	v_readfirstlane_b32 s54, v2
	s_mul_i32 s2, s2, s54
	s_mul_hi_u32 s2, s54, s2
	s_add_i32 s54, s54, s2
	s_cmp_lt_i32 s12, 0
	s_mul_hi_u32 s11, s7, s54
	s_cbranch_scc0 .LBB210_7
; %bb.6:
	s_mul_i32 s2, s24, s44
	s_add_i32 s2, s10, s2
	s_mul_i32 s2, s2, s12
	s_sub_i32 s44, 1, s2
	s_mov_b64 s[2:3], 0
	s_branch .LBB210_8
.LBB210_7:
	s_mov_b64 s[2:3], -1
                                        ; implicit-def: $sgpr44
.LBB210_8:
	s_load_dwordx2 s[38:39], s[4:5], 0x38
	s_ashr_i32 s13, s13, 31
	s_andn2_b64 vcc, exec, s[2:3]
	s_ashr_i32 s55, s27, 31
	s_cbranch_vccnz .LBB210_10
; %bb.9:
	s_mul_i32 s2, s9, s24
	s_add_i32 s2, s2, s6
	s_mul_i32 s2, s2, s12
	s_add_i32 s44, s2, 1
.LBB210_10:
	s_load_dwordx2 s[42:43], s[4:5], 0x28
	s_load_dword s2, s[4:5], 0x48
	s_load_dwordx4 s[28:31], s[4:5], 0x0
	s_load_dwordx2 s[34:35], s[4:5], 0x10
	s_load_dword s15, s[4:5], 0x98
	s_load_dwordx4 s[16:19], s[4:5], 0x68
	s_mul_i32 s3, s11, s37
	s_waitcnt lgkmcnt(0)
	s_mul_i32 s40, s36, s2
	s_sub_i32 s3, s7, s3
	s_ashr_i32 s41, s40, 31
	s_xor_b32 s2, s13, s55
	s_add_i32 s7, s11, 1
	s_sub_i32 s12, s3, s37
	s_cmp_ge_u32 s3, s37
	s_cselect_b32 s7, s7, s11
	s_cselect_b32 s3, s12, s3
	s_add_i32 s11, s7, 1
	s_cmp_ge_u32 s3, s37
	s_cselect_b32 s3, s11, s7
	s_xor_b32 s3, s3, s2
	s_sub_i32 s20, s3, s2
	s_add_i32 s2, s33, 15
	s_ashr_i32 s3, s2, 31
	s_lshr_b32 s3, s3, 28
	s_add_i32 s2, s2, s3
	s_lshl_b32 s27, s8, 5
	s_ashr_i32 s7, s2, 4
	s_add_i32 s2, s27, 32
	v_lshrrev_b32_e32 v32, 6, v0
	s_min_i32 s56, s2, s7
	v_or_b32_e32 v20, s27, v32
	v_cmp_gt_i32_e64 s[2:3], s56, v20
	v_mov_b32_e32 v36, 0xff7fffff
	s_mul_i32 s24, s10, s22
	v_ashrrev_i32_e32 v21, 31, v20
	v_lshl_add_u32 v42, v32, 4, s57
	v_mbcnt_lo_u32_b32 v33, -1, 0
	s_and_saveexec_b64 s[22:23], s[2:3]
	s_cbranch_execz .LBB210_116
; %bb.11:
	s_load_dwordx2 s[10:11], s[4:5], 0x20
	s_sub_i32 s59, s20, s25
	s_ashr_i32 s12, s24, 31
	v_bfe_u32 v34, v0, 2, 4
	v_lshlrev_b32_e32 v3, 4, v34
	s_waitcnt lgkmcnt(0)
	s_add_u32 s10, s10, s24
	s_addc_u32 s11, s11, s12
	s_abs_i32 s60, s26
	v_cvt_f32_u32_e32 v2, s60
	s_sub_i32 s12, 0, s60
	v_add_co_u32_e32 v22, vcc, s10, v3
	v_rcp_iflag_f32_e32 v2, v2
	v_mov_b32_e32 v4, s11
	v_addc_co_u32_e32 v23, vcc, 0, v4, vcc
	v_mul_f32_e32 v2, 0x4f7ffffe, v2
	v_cvt_u32_f32_e32 v2, v2
	v_cmp_eq_u32_e64 s[4:5], 0, v18
	s_mov_b32 s61, s21
	v_lshlrev_b32_e32 v35, 6, v18
	v_mul_lo_u32 v3, s12, v2
	v_mul_hi_u32 v3, v2, v3
	s_lshl_b64 s[12:13], s[40:41], 2
	v_add_u32_e32 v37, v2, v3
	v_lshlrev_b64 v[2:3], 2, v[20:21]
	s_add_u32 s12, s38, s12
	v_add_co_u32_e32 v24, vcc, s12, v2
	v_lshlrev_b32_e32 v2, 2, v34
	s_addc_u32 s13, s39, s13
	v_lshl_or_b32 v2, v32, 6, v2
	v_mov_b32_e32 v4, s13
	v_add_u32_e32 v39, 0x110, v2
	v_subrev_u32_e32 v2, s33, v34
	v_cmp_neq_f32_e64 s[10:11], s58, 0
	v_addc_co_u32_e32 v25, vcc, v4, v3, vcc
	v_lshl_add_u32 v38, v32, 4, s57
	v_add_u32_e32 v40, 1, v2
	s_mov_b64 s[46:47], 0
	v_mov_b32_e32 v41, 0xff7fffff
	s_movk_i32 s62, 0x80
	s_movk_i32 s63, 0x7f
	v_bfrev_b32_e32 v43, 60
	v_mbcnt_hi_u32_b32 v44, -1, v33
	v_mov_b32_e32 v36, 0xff7fffff
	v_mov_b32_e32 v45, v20
	s_branch .LBB210_14
.LBB210_12:                             ;   in Loop: Header=BB210_14 Depth=1
	s_or_b64 exec, exec, s[48:49]
.LBB210_13:                             ;   in Loop: Header=BB210_14 Depth=1
	s_or_b64 exec, exec, s[12:13]
	v_add_co_u32_e32 v24, vcc, 8, v24
	v_add_u32_e32 v45, 2, v45
	v_addc_co_u32_e32 v25, vcc, 0, v25, vcc
	v_cmp_le_i32_e32 vcc, s56, v45
	v_add_u32_e32 v38, 32, v38
	s_or_b64 s[46:47], vcc, s[46:47]
	v_add_u32_e32 v39, 0x80, v39
	s_andn2_b64 exec, exec, s[46:47]
	s_cbranch_execz .LBB210_115
.LBB210_14:                             ; =>This Inner Loop Header: Depth=1
	s_waitcnt lgkmcnt(0)
	v_sub_u32_e32 v3, 0, v38
	v_max_i32_e32 v3, v38, v3
	v_mul_hi_u32 v4, v3, s54
	v_mul_lo_u32 v5, v4, s37
	v_sub_u32_e32 v3, v3, v5
	v_add_u32_e32 v5, 1, v4
	v_cmp_le_u32_e32 vcc, s37, v3
	v_cndmask_b32_e32 v4, v4, v5, vcc
	v_subrev_u32_e32 v5, s37, v3
	v_cndmask_b32_e32 v3, v3, v5, vcc
	v_ashrrev_i32_e32 v2, 31, v38
	v_add_u32_e32 v5, 1, v4
	v_cmp_le_u32_e32 vcc, s37, v3
	v_xor_b32_e32 v2, s55, v2
	v_cndmask_b32_e32 v3, v4, v5, vcc
	v_xor_b32_e32 v3, v3, v2
	v_sub_u32_e32 v2, v3, v2
	v_add_u32_e32 v3, s44, v2
	v_sub_u32_e32 v5, 0, v3
	v_ashrrev_i32_e32 v4, 31, v3
	v_max_i32_e32 v3, v3, v5
	v_mul_hi_u32 v5, v3, v37
	v_mul_lo_u32 v5, v5, s60
	v_sub_u32_e32 v3, v3, v5
	v_subrev_u32_e32 v5, s60, v3
	v_cmp_le_u32_e32 vcc, s60, v3
	v_cndmask_b32_e32 v3, v3, v5, vcc
	v_subrev_u32_e32 v5, s60, v3
	v_cmp_le_u32_e32 vcc, s60, v3
	v_cndmask_b32_e32 v3, v3, v5, vcc
	v_xor_b32_e32 v3, v3, v4
	v_sub_u32_e32 v3, v3, v4
	v_cmp_ne_u32_e32 vcc, 0, v3
	v_cmp_ge_i32_e64 s[12:13], s59, v2
	s_and_b64 s[12:13], vcc, s[12:13]
	s_and_b64 s[50:51], s[4:5], s[12:13]
	s_and_saveexec_b64 s[48:49], s[50:51]
	s_cbranch_execz .LBB210_16
; %bb.15:                               ;   in Loop: Header=BB210_14 Depth=1
	ds_write_b32 v39, v41
.LBB210_16:                             ;   in Loop: Header=BB210_14 Depth=1
	s_or_b64 exec, exec, s[48:49]
	s_xor_b64 s[48:49], s[12:13], -1
	s_and_saveexec_b64 s[12:13], s[48:49]
	s_cbranch_execz .LBB210_13
; %bb.17:                               ;   in Loop: Header=BB210_14 Depth=1
	global_load_dword v2, v[24:25], off
	v_mov_b32_e32 v46, 0
	v_mov_b32_e32 v47, 0
	s_waitcnt vmcnt(0)
	v_mad_i64_i32 v[2:3], s[48:49], v2, s61, v[22:23]
	v_add_co_u32_e32 v26, vcc, v2, v18
	v_addc_co_u32_e32 v27, vcc, 0, v3, vcc
	global_load_ubyte v29, v[26:27], off
	ds_read_b128 v[14:17], v35
	ds_read_b128 v[10:13], v35 offset:16
	ds_read_b128 v[6:9], v35 offset:32
	;; [unrolled: 1-line block ×3, first 2 shown]
	s_load_dword s64, s[16:17], 0x0
	s_waitcnt vmcnt(0)
	v_cmp_ne_u16_e32 vcc, 0, v29
	s_and_saveexec_b64 s[48:49], vcc
	s_cbranch_execz .LBB210_23
; %bb.18:                               ;   in Loop: Header=BB210_14 Depth=1
	v_cmp_ne_u16_e32 vcc, s62, v29
	v_bfrev_b32_e32 v47, 1
	s_and_saveexec_b64 s[50:51], vcc
	s_cbranch_execz .LBB210_22
; %bb.19:                               ;   in Loop: Header=BB210_14 Depth=1
	v_and_b32_e32 v28, 0xffff, v29
	v_and_b32_e32 v30, 0x7f, v28
	v_cmp_ne_u32_e32 vcc, s63, v30
	v_mov_b32_e32 v47, 0x7f800001
	s_and_saveexec_b64 s[52:53], vcc
	s_cbranch_execz .LBB210_21
; %bb.20:                               ;   in Loop: Header=BB210_14 Depth=1
	v_and_b32_e32 v47, 7, v28
	v_ffbh_u32_e32 v48, v47
	v_min_u32_e32 v51, 32, v48
	v_subrev_u32_e32 v48, 28, v51
	v_lshlrev_b64 v[48:49], v48, v[28:29]
	v_lshrrev_b32_e32 v50, 3, v30
	v_sub_u32_e32 v28, 29, v51
	v_and_b32_e32 v48, 7, v48
	v_cmp_gt_u32_e32 vcc, 8, v30
	v_cndmask_b32_e32 v28, v50, v28, vcc
	v_cndmask_b32_e32 v30, v47, v48, vcc
	v_lshlrev_b32_e32 v29, 24, v29
	v_lshlrev_b32_e32 v30, 20, v30
	v_and_b32_e32 v29, 0x80000000, v29
	v_lshl_add_u32 v28, v28, 23, v43
	v_or3_b32 v47, v29, v28, v30
.LBB210_21:                             ;   in Loop: Header=BB210_14 Depth=1
	s_or_b64 exec, exec, s[52:53]
.LBB210_22:                             ;   in Loop: Header=BB210_14 Depth=1
	s_or_b64 exec, exec, s[50:51]
.LBB210_23:                             ;   in Loop: Header=BB210_14 Depth=1
	s_or_b64 exec, exec, s[48:49]
	global_load_ubyte v29, v[26:27], off offset:4
	s_waitcnt vmcnt(0)
	v_cmp_ne_u16_e32 vcc, 0, v29
	s_and_saveexec_b64 s[48:49], vcc
	s_cbranch_execz .LBB210_29
; %bb.24:                               ;   in Loop: Header=BB210_14 Depth=1
	v_cmp_ne_u16_e32 vcc, s62, v29
	v_bfrev_b32_e32 v46, 1
	s_and_saveexec_b64 s[50:51], vcc
	s_cbranch_execz .LBB210_28
; %bb.25:                               ;   in Loop: Header=BB210_14 Depth=1
	v_and_b32_e32 v28, 0xffff, v29
	v_and_b32_e32 v30, 0x7f, v28
	v_cmp_ne_u32_e32 vcc, s63, v30
	v_mov_b32_e32 v46, 0x7f800001
	s_and_saveexec_b64 s[52:53], vcc
	s_cbranch_execz .LBB210_27
; %bb.26:                               ;   in Loop: Header=BB210_14 Depth=1
	v_and_b32_e32 v46, 7, v28
	v_ffbh_u32_e32 v48, v46
	v_min_u32_e32 v51, 32, v48
	v_subrev_u32_e32 v48, 28, v51
	v_lshlrev_b64 v[48:49], v48, v[28:29]
	v_lshrrev_b32_e32 v50, 3, v30
	v_sub_u32_e32 v28, 29, v51
	v_and_b32_e32 v48, 7, v48
	v_cmp_gt_u32_e32 vcc, 8, v30
	v_cndmask_b32_e32 v28, v50, v28, vcc
	v_cndmask_b32_e32 v30, v46, v48, vcc
	v_lshlrev_b32_e32 v29, 24, v29
	v_lshlrev_b32_e32 v30, 20, v30
	v_and_b32_e32 v29, 0x80000000, v29
	v_lshl_add_u32 v28, v28, 23, v43
	v_or3_b32 v46, v29, v28, v30
.LBB210_27:                             ;   in Loop: Header=BB210_14 Depth=1
	s_or_b64 exec, exec, s[52:53]
.LBB210_28:                             ;   in Loop: Header=BB210_14 Depth=1
	s_or_b64 exec, exec, s[50:51]
.LBB210_29:                             ;   in Loop: Header=BB210_14 Depth=1
	s_or_b64 exec, exec, s[48:49]
	global_load_ubyte v29, v[26:27], off offset:8
	v_mov_b32_e32 v48, 0
	v_mov_b32_e32 v49, 0
	s_waitcnt vmcnt(0)
	v_cmp_ne_u16_e32 vcc, 0, v29
	s_and_saveexec_b64 s[48:49], vcc
	s_cbranch_execz .LBB210_35
; %bb.30:                               ;   in Loop: Header=BB210_14 Depth=1
	v_cmp_ne_u16_e32 vcc, s62, v29
	v_bfrev_b32_e32 v49, 1
	s_and_saveexec_b64 s[50:51], vcc
	s_cbranch_execz .LBB210_34
; %bb.31:                               ;   in Loop: Header=BB210_14 Depth=1
	v_and_b32_e32 v28, 0xffff, v29
	v_and_b32_e32 v30, 0x7f, v28
	v_cmp_ne_u32_e32 vcc, s63, v30
	v_mov_b32_e32 v49, 0x7f800001
	s_and_saveexec_b64 s[52:53], vcc
	s_cbranch_execz .LBB210_33
; %bb.32:                               ;   in Loop: Header=BB210_14 Depth=1
	v_and_b32_e32 v49, 7, v28
	v_ffbh_u32_e32 v50, v49
	v_min_u32_e32 v53, 32, v50
	v_subrev_u32_e32 v50, 28, v53
	v_lshlrev_b64 v[50:51], v50, v[28:29]
	v_lshrrev_b32_e32 v52, 3, v30
	v_sub_u32_e32 v28, 29, v53
	v_and_b32_e32 v50, 7, v50
	v_cmp_gt_u32_e32 vcc, 8, v30
	v_cndmask_b32_e32 v28, v52, v28, vcc
	v_cndmask_b32_e32 v30, v49, v50, vcc
	v_lshlrev_b32_e32 v29, 24, v29
	v_lshlrev_b32_e32 v30, 20, v30
	v_and_b32_e32 v29, 0x80000000, v29
	v_lshl_add_u32 v28, v28, 23, v43
	v_or3_b32 v49, v29, v28, v30
.LBB210_33:                             ;   in Loop: Header=BB210_14 Depth=1
	s_or_b64 exec, exec, s[52:53]
.LBB210_34:                             ;   in Loop: Header=BB210_14 Depth=1
	s_or_b64 exec, exec, s[50:51]
.LBB210_35:                             ;   in Loop: Header=BB210_14 Depth=1
	s_or_b64 exec, exec, s[48:49]
	global_load_ubyte v29, v[26:27], off offset:12
	s_waitcnt vmcnt(0)
	v_cmp_ne_u16_e32 vcc, 0, v29
	s_and_saveexec_b64 s[48:49], vcc
	s_cbranch_execz .LBB210_41
; %bb.36:                               ;   in Loop: Header=BB210_14 Depth=1
	v_cmp_ne_u16_e32 vcc, s62, v29
	v_bfrev_b32_e32 v48, 1
	s_and_saveexec_b64 s[50:51], vcc
	s_cbranch_execz .LBB210_40
; %bb.37:                               ;   in Loop: Header=BB210_14 Depth=1
	v_and_b32_e32 v28, 0xffff, v29
	v_and_b32_e32 v30, 0x7f, v28
	v_cmp_ne_u32_e32 vcc, s63, v30
	v_mov_b32_e32 v48, 0x7f800001
	s_and_saveexec_b64 s[52:53], vcc
	s_cbranch_execz .LBB210_39
; %bb.38:                               ;   in Loop: Header=BB210_14 Depth=1
	v_and_b32_e32 v48, 7, v28
	v_ffbh_u32_e32 v50, v48
	v_min_u32_e32 v53, 32, v50
	v_subrev_u32_e32 v50, 28, v53
	v_lshlrev_b64 v[50:51], v50, v[28:29]
	v_lshrrev_b32_e32 v52, 3, v30
	v_sub_u32_e32 v28, 29, v53
	v_and_b32_e32 v50, 7, v50
	v_cmp_gt_u32_e32 vcc, 8, v30
	v_cndmask_b32_e32 v28, v52, v28, vcc
	v_cndmask_b32_e32 v30, v48, v50, vcc
	v_lshlrev_b32_e32 v29, 24, v29
	v_lshlrev_b32_e32 v30, 20, v30
	v_and_b32_e32 v29, 0x80000000, v29
	v_lshl_add_u32 v28, v28, 23, v43
	v_or3_b32 v48, v29, v28, v30
.LBB210_39:                             ;   in Loop: Header=BB210_14 Depth=1
	s_or_b64 exec, exec, s[52:53]
.LBB210_40:                             ;   in Loop: Header=BB210_14 Depth=1
	s_or_b64 exec, exec, s[50:51]
.LBB210_41:                             ;   in Loop: Header=BB210_14 Depth=1
	s_or_b64 exec, exec, s[48:49]
	global_load_ubyte v29, v[26:27], off offset:256
	v_mov_b32_e32 v50, 0
	v_mov_b32_e32 v51, 0
	s_waitcnt vmcnt(0)
	v_cmp_ne_u16_e32 vcc, 0, v29
	s_and_saveexec_b64 s[48:49], vcc
	s_cbranch_execz .LBB210_47
; %bb.42:                               ;   in Loop: Header=BB210_14 Depth=1
	v_cmp_ne_u16_e32 vcc, s62, v29
	v_bfrev_b32_e32 v51, 1
	s_and_saveexec_b64 s[50:51], vcc
	s_cbranch_execz .LBB210_46
; %bb.43:                               ;   in Loop: Header=BB210_14 Depth=1
	v_and_b32_e32 v28, 0xffff, v29
	v_and_b32_e32 v30, 0x7f, v28
	v_cmp_ne_u32_e32 vcc, s63, v30
	v_mov_b32_e32 v51, 0x7f800001
	s_and_saveexec_b64 s[52:53], vcc
	s_cbranch_execz .LBB210_45
; %bb.44:                               ;   in Loop: Header=BB210_14 Depth=1
	v_and_b32_e32 v51, 7, v28
	v_ffbh_u32_e32 v52, v51
	v_min_u32_e32 v55, 32, v52
	v_subrev_u32_e32 v52, 28, v55
	v_lshlrev_b64 v[52:53], v52, v[28:29]
	v_lshrrev_b32_e32 v54, 3, v30
	v_sub_u32_e32 v28, 29, v55
	v_and_b32_e32 v52, 7, v52
	v_cmp_gt_u32_e32 vcc, 8, v30
	v_cndmask_b32_e32 v28, v54, v28, vcc
	v_cndmask_b32_e32 v30, v51, v52, vcc
	v_lshlrev_b32_e32 v29, 24, v29
	v_lshlrev_b32_e32 v30, 20, v30
	v_and_b32_e32 v29, 0x80000000, v29
	v_lshl_add_u32 v28, v28, 23, v43
	v_or3_b32 v51, v29, v28, v30
.LBB210_45:                             ;   in Loop: Header=BB210_14 Depth=1
	s_or_b64 exec, exec, s[52:53]
.LBB210_46:                             ;   in Loop: Header=BB210_14 Depth=1
	s_or_b64 exec, exec, s[50:51]
.LBB210_47:                             ;   in Loop: Header=BB210_14 Depth=1
	s_or_b64 exec, exec, s[48:49]
	global_load_ubyte v29, v[26:27], off offset:260
	s_waitcnt vmcnt(0)
	v_cmp_ne_u16_e32 vcc, 0, v29
	s_and_saveexec_b64 s[48:49], vcc
	s_cbranch_execz .LBB210_53
; %bb.48:                               ;   in Loop: Header=BB210_14 Depth=1
	v_cmp_ne_u16_e32 vcc, s62, v29
	v_bfrev_b32_e32 v50, 1
	s_and_saveexec_b64 s[50:51], vcc
	s_cbranch_execz .LBB210_52
; %bb.49:                               ;   in Loop: Header=BB210_14 Depth=1
	v_and_b32_e32 v28, 0xffff, v29
	v_and_b32_e32 v30, 0x7f, v28
	v_cmp_ne_u32_e32 vcc, s63, v30
	v_mov_b32_e32 v50, 0x7f800001
	s_and_saveexec_b64 s[52:53], vcc
	s_cbranch_execz .LBB210_51
; %bb.50:                               ;   in Loop: Header=BB210_14 Depth=1
	v_and_b32_e32 v50, 7, v28
	v_ffbh_u32_e32 v52, v50
	v_min_u32_e32 v55, 32, v52
	v_subrev_u32_e32 v52, 28, v55
	v_lshlrev_b64 v[52:53], v52, v[28:29]
	v_lshrrev_b32_e32 v54, 3, v30
	v_sub_u32_e32 v28, 29, v55
	v_and_b32_e32 v52, 7, v52
	v_cmp_gt_u32_e32 vcc, 8, v30
	v_cndmask_b32_e32 v28, v54, v28, vcc
	v_cndmask_b32_e32 v30, v50, v52, vcc
	v_lshlrev_b32_e32 v29, 24, v29
	v_lshlrev_b32_e32 v30, 20, v30
	v_and_b32_e32 v29, 0x80000000, v29
	v_lshl_add_u32 v28, v28, 23, v43
	v_or3_b32 v50, v29, v28, v30
.LBB210_51:                             ;   in Loop: Header=BB210_14 Depth=1
	s_or_b64 exec, exec, s[52:53]
.LBB210_52:                             ;   in Loop: Header=BB210_14 Depth=1
	s_or_b64 exec, exec, s[50:51]
.LBB210_53:                             ;   in Loop: Header=BB210_14 Depth=1
	s_or_b64 exec, exec, s[48:49]
	v_add_co_u32_e32 v28, vcc, 0x100, v26
	v_addc_co_u32_e32 v29, vcc, 0, v27, vcc
	global_load_ubyte v54, v[28:29], off offset:8
	v_mov_b32_e32 v52, 0
	v_mov_b32_e32 v53, 0
	s_waitcnt vmcnt(0)
	v_cmp_ne_u16_e32 vcc, 0, v54
	s_and_saveexec_b64 s[48:49], vcc
	s_cbranch_execz .LBB210_59
; %bb.54:                               ;   in Loop: Header=BB210_14 Depth=1
	v_cmp_ne_u16_e32 vcc, s62, v54
	v_bfrev_b32_e32 v53, 1
	s_and_saveexec_b64 s[50:51], vcc
	s_cbranch_execz .LBB210_58
; %bb.55:                               ;   in Loop: Header=BB210_14 Depth=1
	v_and_b32_e32 v30, 0xffff, v54
	v_and_b32_e32 v55, 0x7f, v30
	v_cmp_ne_u32_e32 vcc, s63, v55
	v_mov_b32_e32 v53, 0x7f800001
	s_and_saveexec_b64 s[52:53], vcc
	s_cbranch_execz .LBB210_57
; %bb.56:                               ;   in Loop: Header=BB210_14 Depth=1
	v_and_b32_e32 v53, 7, v30
	v_ffbh_u32_e32 v56, v53
	v_min_u32_e32 v59, 32, v56
	v_subrev_u32_e32 v56, 28, v59
	v_lshlrev_b64 v[56:57], v56, v[30:31]
	v_lshrrev_b32_e32 v58, 3, v55
	v_sub_u32_e32 v30, 29, v59
	v_and_b32_e32 v56, 7, v56
	v_cmp_gt_u32_e32 vcc, 8, v55
	v_cndmask_b32_e32 v30, v58, v30, vcc
	v_cndmask_b32_e32 v53, v53, v56, vcc
	v_lshlrev_b32_e32 v54, 24, v54
	v_lshlrev_b32_e32 v53, 20, v53
	v_and_b32_e32 v54, 0x80000000, v54
	v_lshl_add_u32 v30, v30, 23, v43
	v_or3_b32 v53, v54, v30, v53
.LBB210_57:                             ;   in Loop: Header=BB210_14 Depth=1
	s_or_b64 exec, exec, s[52:53]
.LBB210_58:                             ;   in Loop: Header=BB210_14 Depth=1
	s_or_b64 exec, exec, s[50:51]
.LBB210_59:                             ;   in Loop: Header=BB210_14 Depth=1
	s_or_b64 exec, exec, s[48:49]
	global_load_ubyte v29, v[28:29], off offset:12
	s_waitcnt vmcnt(0)
	v_cmp_ne_u16_e32 vcc, 0, v29
	s_and_saveexec_b64 s[48:49], vcc
	s_cbranch_execz .LBB210_65
; %bb.60:                               ;   in Loop: Header=BB210_14 Depth=1
	v_cmp_ne_u16_e32 vcc, s62, v29
	v_bfrev_b32_e32 v52, 1
	s_and_saveexec_b64 s[50:51], vcc
	s_cbranch_execz .LBB210_64
; %bb.61:                               ;   in Loop: Header=BB210_14 Depth=1
	v_and_b32_e32 v28, 0xffff, v29
	v_and_b32_e32 v30, 0x7f, v28
	v_cmp_ne_u32_e32 vcc, s63, v30
	v_mov_b32_e32 v52, 0x7f800001
	s_and_saveexec_b64 s[52:53], vcc
	s_cbranch_execz .LBB210_63
; %bb.62:                               ;   in Loop: Header=BB210_14 Depth=1
	v_and_b32_e32 v52, 7, v28
	v_ffbh_u32_e32 v54, v52
	v_min_u32_e32 v57, 32, v54
	v_subrev_u32_e32 v54, 28, v57
	v_lshlrev_b64 v[54:55], v54, v[28:29]
	v_lshrrev_b32_e32 v56, 3, v30
	v_sub_u32_e32 v28, 29, v57
	v_and_b32_e32 v54, 7, v54
	v_cmp_gt_u32_e32 vcc, 8, v30
	v_cndmask_b32_e32 v28, v56, v28, vcc
	v_cndmask_b32_e32 v30, v52, v54, vcc
	v_lshlrev_b32_e32 v29, 24, v29
	v_lshlrev_b32_e32 v30, 20, v30
	v_and_b32_e32 v29, 0x80000000, v29
	v_lshl_add_u32 v28, v28, 23, v43
	v_or3_b32 v52, v29, v28, v30
.LBB210_63:                             ;   in Loop: Header=BB210_14 Depth=1
	s_or_b64 exec, exec, s[52:53]
.LBB210_64:                             ;   in Loop: Header=BB210_14 Depth=1
	s_or_b64 exec, exec, s[50:51]
.LBB210_65:                             ;   in Loop: Header=BB210_14 Depth=1
	s_or_b64 exec, exec, s[48:49]
	global_load_ubyte v29, v[26:27], off offset:512
	v_mov_b32_e32 v54, 0
	v_mov_b32_e32 v55, 0
	s_waitcnt vmcnt(0)
	v_cmp_ne_u16_e32 vcc, 0, v29
	s_and_saveexec_b64 s[48:49], vcc
	s_cbranch_execz .LBB210_71
; %bb.66:                               ;   in Loop: Header=BB210_14 Depth=1
	v_cmp_ne_u16_e32 vcc, s62, v29
	v_bfrev_b32_e32 v55, 1
	s_and_saveexec_b64 s[50:51], vcc
	s_cbranch_execz .LBB210_70
; %bb.67:                               ;   in Loop: Header=BB210_14 Depth=1
	v_and_b32_e32 v28, 0xffff, v29
	v_and_b32_e32 v30, 0x7f, v28
	v_cmp_ne_u32_e32 vcc, s63, v30
	v_mov_b32_e32 v55, 0x7f800001
	s_and_saveexec_b64 s[52:53], vcc
	s_cbranch_execz .LBB210_69
; %bb.68:                               ;   in Loop: Header=BB210_14 Depth=1
	v_and_b32_e32 v55, 7, v28
	v_ffbh_u32_e32 v56, v55
	v_min_u32_e32 v59, 32, v56
	v_subrev_u32_e32 v56, 28, v59
	v_lshlrev_b64 v[56:57], v56, v[28:29]
	v_lshrrev_b32_e32 v58, 3, v30
	v_sub_u32_e32 v28, 29, v59
	v_and_b32_e32 v56, 7, v56
	v_cmp_gt_u32_e32 vcc, 8, v30
	v_cndmask_b32_e32 v28, v58, v28, vcc
	v_cndmask_b32_e32 v30, v55, v56, vcc
	v_lshlrev_b32_e32 v29, 24, v29
	v_lshlrev_b32_e32 v30, 20, v30
	v_and_b32_e32 v29, 0x80000000, v29
	v_lshl_add_u32 v28, v28, 23, v43
	v_or3_b32 v55, v29, v28, v30
.LBB210_69:                             ;   in Loop: Header=BB210_14 Depth=1
	s_or_b64 exec, exec, s[52:53]
.LBB210_70:                             ;   in Loop: Header=BB210_14 Depth=1
	s_or_b64 exec, exec, s[50:51]
.LBB210_71:                             ;   in Loop: Header=BB210_14 Depth=1
	s_or_b64 exec, exec, s[48:49]
	global_load_ubyte v29, v[26:27], off offset:516
	s_waitcnt vmcnt(0)
	v_cmp_ne_u16_e32 vcc, 0, v29
	s_and_saveexec_b64 s[48:49], vcc
	s_cbranch_execz .LBB210_77
; %bb.72:                               ;   in Loop: Header=BB210_14 Depth=1
	v_cmp_ne_u16_e32 vcc, s62, v29
	v_bfrev_b32_e32 v54, 1
	s_and_saveexec_b64 s[50:51], vcc
	s_cbranch_execz .LBB210_76
; %bb.73:                               ;   in Loop: Header=BB210_14 Depth=1
	v_and_b32_e32 v28, 0xffff, v29
	v_and_b32_e32 v30, 0x7f, v28
	v_cmp_ne_u32_e32 vcc, s63, v30
	v_mov_b32_e32 v54, 0x7f800001
	s_and_saveexec_b64 s[52:53], vcc
	s_cbranch_execz .LBB210_75
; %bb.74:                               ;   in Loop: Header=BB210_14 Depth=1
	v_and_b32_e32 v54, 7, v28
	v_ffbh_u32_e32 v56, v54
	v_min_u32_e32 v59, 32, v56
	v_subrev_u32_e32 v56, 28, v59
	v_lshlrev_b64 v[56:57], v56, v[28:29]
	v_lshrrev_b32_e32 v58, 3, v30
	v_sub_u32_e32 v28, 29, v59
	v_and_b32_e32 v56, 7, v56
	v_cmp_gt_u32_e32 vcc, 8, v30
	v_cndmask_b32_e32 v28, v58, v28, vcc
	v_cndmask_b32_e32 v30, v54, v56, vcc
	v_lshlrev_b32_e32 v29, 24, v29
	v_lshlrev_b32_e32 v30, 20, v30
	v_and_b32_e32 v29, 0x80000000, v29
	v_lshl_add_u32 v28, v28, 23, v43
	v_or3_b32 v54, v29, v28, v30
.LBB210_75:                             ;   in Loop: Header=BB210_14 Depth=1
	s_or_b64 exec, exec, s[52:53]
.LBB210_76:                             ;   in Loop: Header=BB210_14 Depth=1
	s_or_b64 exec, exec, s[50:51]
.LBB210_77:                             ;   in Loop: Header=BB210_14 Depth=1
	s_or_b64 exec, exec, s[48:49]
	v_add_co_u32_e32 v28, vcc, 0x200, v26
	v_addc_co_u32_e32 v29, vcc, 0, v27, vcc
	global_load_ubyte v58, v[28:29], off offset:8
	v_mov_b32_e32 v56, 0
	v_mov_b32_e32 v57, 0
	s_waitcnt vmcnt(0)
	v_cmp_ne_u16_e32 vcc, 0, v58
	s_and_saveexec_b64 s[48:49], vcc
	s_cbranch_execz .LBB210_83
; %bb.78:                               ;   in Loop: Header=BB210_14 Depth=1
	v_cmp_ne_u16_e32 vcc, s62, v58
	v_bfrev_b32_e32 v57, 1
	s_and_saveexec_b64 s[50:51], vcc
	s_cbranch_execz .LBB210_82
; %bb.79:                               ;   in Loop: Header=BB210_14 Depth=1
	v_and_b32_e32 v30, 0xffff, v58
	v_and_b32_e32 v59, 0x7f, v30
	v_cmp_ne_u32_e32 vcc, s63, v59
	v_mov_b32_e32 v57, 0x7f800001
	s_and_saveexec_b64 s[52:53], vcc
	s_cbranch_execz .LBB210_81
; %bb.80:                               ;   in Loop: Header=BB210_14 Depth=1
	v_and_b32_e32 v57, 7, v30
	v_ffbh_u32_e32 v60, v57
	v_min_u32_e32 v63, 32, v60
	v_subrev_u32_e32 v60, 28, v63
	v_lshlrev_b64 v[60:61], v60, v[30:31]
	v_lshrrev_b32_e32 v62, 3, v59
	v_sub_u32_e32 v30, 29, v63
	v_and_b32_e32 v60, 7, v60
	v_cmp_gt_u32_e32 vcc, 8, v59
	v_cndmask_b32_e32 v30, v62, v30, vcc
	v_cndmask_b32_e32 v57, v57, v60, vcc
	v_lshlrev_b32_e32 v58, 24, v58
	v_lshlrev_b32_e32 v57, 20, v57
	v_and_b32_e32 v58, 0x80000000, v58
	v_lshl_add_u32 v30, v30, 23, v43
	v_or3_b32 v57, v58, v30, v57
.LBB210_81:                             ;   in Loop: Header=BB210_14 Depth=1
	s_or_b64 exec, exec, s[52:53]
.LBB210_82:                             ;   in Loop: Header=BB210_14 Depth=1
	s_or_b64 exec, exec, s[50:51]
.LBB210_83:                             ;   in Loop: Header=BB210_14 Depth=1
	s_or_b64 exec, exec, s[48:49]
	global_load_ubyte v29, v[28:29], off offset:12
	s_waitcnt vmcnt(0)
	v_cmp_ne_u16_e32 vcc, 0, v29
	s_and_saveexec_b64 s[48:49], vcc
	s_cbranch_execz .LBB210_89
; %bb.84:                               ;   in Loop: Header=BB210_14 Depth=1
	v_cmp_ne_u16_e32 vcc, s62, v29
	v_bfrev_b32_e32 v56, 1
	s_and_saveexec_b64 s[50:51], vcc
	s_cbranch_execz .LBB210_88
; %bb.85:                               ;   in Loop: Header=BB210_14 Depth=1
	v_and_b32_e32 v28, 0xffff, v29
	v_and_b32_e32 v30, 0x7f, v28
	v_cmp_ne_u32_e32 vcc, s63, v30
	v_mov_b32_e32 v56, 0x7f800001
	s_and_saveexec_b64 s[52:53], vcc
	s_cbranch_execz .LBB210_87
; %bb.86:                               ;   in Loop: Header=BB210_14 Depth=1
	v_and_b32_e32 v56, 7, v28
	v_ffbh_u32_e32 v58, v56
	v_min_u32_e32 v61, 32, v58
	v_subrev_u32_e32 v58, 28, v61
	v_lshlrev_b64 v[58:59], v58, v[28:29]
	v_lshrrev_b32_e32 v60, 3, v30
	v_sub_u32_e32 v28, 29, v61
	v_and_b32_e32 v58, 7, v58
	v_cmp_gt_u32_e32 vcc, 8, v30
	v_cndmask_b32_e32 v28, v60, v28, vcc
	v_cndmask_b32_e32 v30, v56, v58, vcc
	v_lshlrev_b32_e32 v29, 24, v29
	v_lshlrev_b32_e32 v30, 20, v30
	v_and_b32_e32 v29, 0x80000000, v29
	v_lshl_add_u32 v28, v28, 23, v43
	v_or3_b32 v56, v29, v28, v30
.LBB210_87:                             ;   in Loop: Header=BB210_14 Depth=1
	s_or_b64 exec, exec, s[52:53]
.LBB210_88:                             ;   in Loop: Header=BB210_14 Depth=1
	s_or_b64 exec, exec, s[50:51]
.LBB210_89:                             ;   in Loop: Header=BB210_14 Depth=1
	s_or_b64 exec, exec, s[48:49]
	global_load_ubyte v58, v[26:27], off offset:768
	v_mov_b32_e32 v29, 0
	v_mov_b32_e32 v30, 0
	s_waitcnt vmcnt(0)
	v_cmp_ne_u16_e32 vcc, 0, v58
	s_and_saveexec_b64 s[48:49], vcc
	s_cbranch_execz .LBB210_95
; %bb.90:                               ;   in Loop: Header=BB210_14 Depth=1
	v_cmp_ne_u16_e32 vcc, s62, v58
	v_bfrev_b32_e32 v30, 1
	s_and_saveexec_b64 s[50:51], vcc
	s_cbranch_execz .LBB210_94
; %bb.91:                               ;   in Loop: Header=BB210_14 Depth=1
	v_and_b32_e32 v28, 0xffff, v58
	v_and_b32_e32 v59, 0x7f, v28
	v_cmp_ne_u32_e32 vcc, s63, v59
	v_mov_b32_e32 v30, 0x7f800001
	s_and_saveexec_b64 s[52:53], vcc
	s_cbranch_execz .LBB210_93
; %bb.92:                               ;   in Loop: Header=BB210_14 Depth=1
	v_and_b32_e32 v30, 7, v28
	v_ffbh_u32_e32 v60, v30
	v_min_u32_e32 v63, 32, v60
	v_subrev_u32_e32 v60, 28, v63
	v_lshlrev_b64 v[60:61], v60, v[28:29]
	v_lshrrev_b32_e32 v62, 3, v59
	v_sub_u32_e32 v28, 29, v63
	v_and_b32_e32 v60, 7, v60
	v_cmp_gt_u32_e32 vcc, 8, v59
	v_cndmask_b32_e32 v28, v62, v28, vcc
	v_cndmask_b32_e32 v30, v30, v60, vcc
	v_lshlrev_b32_e32 v58, 24, v58
	v_lshlrev_b32_e32 v30, 20, v30
	v_and_b32_e32 v58, 0x80000000, v58
	v_lshl_add_u32 v28, v28, 23, v43
	v_or3_b32 v30, v58, v28, v30
.LBB210_93:                             ;   in Loop: Header=BB210_14 Depth=1
	s_or_b64 exec, exec, s[52:53]
.LBB210_94:                             ;   in Loop: Header=BB210_14 Depth=1
	s_or_b64 exec, exec, s[50:51]
.LBB210_95:                             ;   in Loop: Header=BB210_14 Depth=1
	s_or_b64 exec, exec, s[48:49]
	global_load_ubyte v58, v[26:27], off offset:772
	s_waitcnt vmcnt(0)
	v_cmp_ne_u16_e32 vcc, 0, v58
	s_and_saveexec_b64 s[48:49], vcc
	s_cbranch_execz .LBB210_101
; %bb.96:                               ;   in Loop: Header=BB210_14 Depth=1
	v_cmp_ne_u16_e32 vcc, s62, v58
	v_bfrev_b32_e32 v29, 1
	s_and_saveexec_b64 s[50:51], vcc
	s_cbranch_execz .LBB210_100
; %bb.97:                               ;   in Loop: Header=BB210_14 Depth=1
	v_and_b32_e32 v28, 0xffff, v58
	v_and_b32_e32 v59, 0x7f, v28
	v_cmp_ne_u32_e32 vcc, s63, v59
	v_mov_b32_e32 v29, 0x7f800001
	s_and_saveexec_b64 s[52:53], vcc
	s_cbranch_execz .LBB210_99
; %bb.98:                               ;   in Loop: Header=BB210_14 Depth=1
	v_and_b32_e32 v60, 7, v28
	v_ffbh_u32_e32 v29, v60
	v_min_u32_e32 v62, 32, v29
	v_subrev_u32_e32 v29, 28, v62
	v_lshlrev_b64 v[28:29], v29, v[28:29]
	v_lshrrev_b32_e32 v61, 3, v59
	v_sub_u32_e32 v29, 29, v62
	v_and_b32_e32 v28, 7, v28
	v_cmp_gt_u32_e32 vcc, 8, v59
	v_cndmask_b32_e32 v29, v61, v29, vcc
	v_cndmask_b32_e32 v28, v60, v28, vcc
	v_lshlrev_b32_e32 v58, 24, v58
	v_lshlrev_b32_e32 v28, 20, v28
	v_and_b32_e32 v58, 0x80000000, v58
	v_lshl_add_u32 v29, v29, 23, v43
	v_or3_b32 v29, v58, v29, v28
.LBB210_99:                             ;   in Loop: Header=BB210_14 Depth=1
	s_or_b64 exec, exec, s[52:53]
.LBB210_100:                            ;   in Loop: Header=BB210_14 Depth=1
	s_or_b64 exec, exec, s[50:51]
.LBB210_101:                            ;   in Loop: Header=BB210_14 Depth=1
	s_or_b64 exec, exec, s[48:49]
	v_add_co_u32_e32 v26, vcc, 0x300, v26
	v_addc_co_u32_e32 v27, vcc, 0, v27, vcc
	global_load_ubyte v60, v[26:27], off offset:8
	v_mov_b32_e32 v58, 0
	v_mov_b32_e32 v59, 0
	s_waitcnt vmcnt(0)
	v_cmp_ne_u16_e32 vcc, 0, v60
	s_and_saveexec_b64 s[48:49], vcc
	s_cbranch_execz .LBB210_107
; %bb.102:                              ;   in Loop: Header=BB210_14 Depth=1
	v_cmp_ne_u16_e32 vcc, s62, v60
	v_bfrev_b32_e32 v59, 1
	s_and_saveexec_b64 s[50:51], vcc
	s_cbranch_execz .LBB210_106
; %bb.103:                              ;   in Loop: Header=BB210_14 Depth=1
	v_and_b32_e32 v28, 0xffff, v60
	v_and_b32_e32 v61, 0x7f, v28
	v_cmp_ne_u32_e32 vcc, s63, v61
	v_mov_b32_e32 v59, 0x7f800001
	s_and_saveexec_b64 s[52:53], vcc
	s_cbranch_execz .LBB210_105
; %bb.104:                              ;   in Loop: Header=BB210_14 Depth=1
	v_and_b32_e32 v59, 7, v28
	v_ffbh_u32_e32 v62, v59
	v_min_u32_e32 v65, 32, v62
	v_subrev_u32_e32 v62, 28, v65
	v_lshlrev_b64 v[62:63], v62, v[28:29]
	v_lshrrev_b32_e32 v64, 3, v61
	v_sub_u32_e32 v28, 29, v65
	v_and_b32_e32 v62, 7, v62
	v_cmp_gt_u32_e32 vcc, 8, v61
	v_cndmask_b32_e32 v28, v64, v28, vcc
	v_cndmask_b32_e32 v59, v59, v62, vcc
	v_lshlrev_b32_e32 v60, 24, v60
	v_lshlrev_b32_e32 v59, 20, v59
	v_and_b32_e32 v60, 0x80000000, v60
	v_lshl_add_u32 v28, v28, 23, v43
	v_or3_b32 v59, v60, v28, v59
.LBB210_105:                            ;   in Loop: Header=BB210_14 Depth=1
	s_or_b64 exec, exec, s[52:53]
.LBB210_106:                            ;   in Loop: Header=BB210_14 Depth=1
	s_or_b64 exec, exec, s[50:51]
.LBB210_107:                            ;   in Loop: Header=BB210_14 Depth=1
	s_or_b64 exec, exec, s[48:49]
	global_load_ubyte v27, v[26:27], off offset:12
	s_waitcnt vmcnt(0)
	v_cmp_ne_u16_e32 vcc, 0, v27
	s_and_saveexec_b64 s[48:49], vcc
	s_cbranch_execz .LBB210_113
; %bb.108:                              ;   in Loop: Header=BB210_14 Depth=1
	v_cmp_ne_u16_e32 vcc, s62, v27
	v_bfrev_b32_e32 v58, 1
	s_and_saveexec_b64 s[50:51], vcc
	s_cbranch_execz .LBB210_112
; %bb.109:                              ;   in Loop: Header=BB210_14 Depth=1
	v_and_b32_e32 v26, 0xffff, v27
	v_and_b32_e32 v28, 0x7f, v26
	v_cmp_ne_u32_e32 vcc, s63, v28
	v_mov_b32_e32 v58, 0x7f800001
	s_and_saveexec_b64 s[52:53], vcc
	s_cbranch_execz .LBB210_111
; %bb.110:                              ;   in Loop: Header=BB210_14 Depth=1
	v_and_b32_e32 v58, 7, v26
	v_ffbh_u32_e32 v60, v58
	v_min_u32_e32 v63, 32, v60
	v_subrev_u32_e32 v60, 28, v63
	v_lshlrev_b64 v[60:61], v60, v[26:27]
	v_lshrrev_b32_e32 v62, 3, v28
	v_sub_u32_e32 v26, 29, v63
	v_and_b32_e32 v60, 7, v60
	v_cmp_gt_u32_e32 vcc, 8, v28
	v_cndmask_b32_e32 v26, v62, v26, vcc
	v_cndmask_b32_e32 v28, v58, v60, vcc
	v_lshlrev_b32_e32 v27, 24, v27
	v_lshlrev_b32_e32 v28, 20, v28
	v_and_b32_e32 v27, 0x80000000, v27
	v_lshl_add_u32 v26, v26, 23, v43
	v_or3_b32 v58, v27, v26, v28
.LBB210_111:                            ;   in Loop: Header=BB210_14 Depth=1
	s_or_b64 exec, exec, s[52:53]
.LBB210_112:                            ;   in Loop: Header=BB210_14 Depth=1
	s_or_b64 exec, exec, s[50:51]
.LBB210_113:                            ;   in Loop: Header=BB210_14 Depth=1
	s_or_b64 exec, exec, s[48:49]
	s_waitcnt lgkmcnt(0)
	v_mul_f32_e32 v46, s64, v46
	v_mul_f32_e32 v47, s64, v47
	;; [unrolled: 1-line block ×4, first 2 shown]
	v_fmac_f32_e32 v15, v14, v47
	v_mul_f32_e32 v48, s64, v48
	v_fmac_f32_e32 v15, v16, v49
	v_mul_f32_e32 v51, s64, v51
	;; [unrolled: 2-line block ×8, first 2 shown]
	v_mul_f32_e32 v30, s64, v57
	v_fmac_f32_e32 v15, v7, v54
	v_mul_f32_e32 v27, s64, v29
	v_mul_f32_e32 v29, s64, v56
	v_fmac_f32_e32 v15, v8, v30
	v_and_b32_e32 v56, 64, v44
	v_fmac_f32_e32 v15, v9, v29
	v_add_u32_e32 v56, 64, v56
	v_xor_b32_e32 v57, 2, v44
	v_fmac_f32_e32 v15, v2, v28
	v_mul_f32_e32 v26, s64, v59
	v_cmp_lt_i32_e32 vcc, v57, v56
	v_fmac_f32_e32 v15, v3, v27
	v_cndmask_b32_e32 v57, v44, v57, vcc
	v_mul_f32_e32 v58, s64, v58
	v_fmac_f32_e32 v15, v4, v26
	v_lshlrev_b32_e32 v57, 2, v57
	v_fmac_f32_e32 v15, v5, v58
	ds_bpermute_b32 v2, v57, v15
	v_xor_b32_e32 v3, 1, v44
	v_cmp_lt_i32_e32 vcc, v3, v56
	v_cndmask_b32_e32 v3, v44, v3, vcc
	v_lshlrev_b32_e32 v3, 2, v3
	s_waitcnt lgkmcnt(0)
	v_add_f32_e32 v2, v15, v2
	ds_bpermute_b32 v3, v3, v2
	s_and_saveexec_b64 s[48:49], s[4:5]
	s_cbranch_execz .LBB210_12
; %bb.114:                              ;   in Loop: Header=BB210_14 Depth=1
	v_add_u32_e32 v4, v40, v38
	v_cvt_f32_i32_e32 v4, v4
	s_waitcnt lgkmcnt(0)
	v_add_f32_e32 v2, v2, v3
	v_add_u32_e32 v5, v34, v38
	v_cmp_gt_i32_e32 vcc, s33, v5
	v_mul_f32_e32 v3, s58, v4
	v_cndmask_b32_e64 v3, 0, v3, s[10:11]
	v_fmac_f32_e32 v3, s45, v2
	v_cndmask_b32_e32 v2, 0, v3, vcc
	ds_write_b32 v39, v2
	v_max_f32_e32 v2, v36, v36
	v_max_f32_e32 v2, v2, v3
	v_cndmask_b32_e32 v36, v36, v2, vcc
	s_branch .LBB210_12
.LBB210_115:
	s_or_b64 exec, exec, s[46:47]
.LBB210_116:
	s_or_b64 exec, exec, s[22:23]
	v_mbcnt_hi_u32_b32 v2, -1, v33
	s_waitcnt lgkmcnt(0)
	v_and_b32_e32 v3, 64, v2
	v_add_u32_e32 v3, 64, v3
	v_xor_b32_e32 v4, 32, v2
	v_cmp_lt_i32_e32 vcc, v4, v3
	v_cndmask_b32_e32 v4, v2, v4, vcc
	v_lshlrev_b32_e32 v5, 2, v4
	ds_bpermute_b32 v4, v5, v36
	v_xor_b32_e32 v7, 16, v2
	v_max_f32_e32 v6, v36, v36
	v_cmp_lt_i32_e32 vcc, v7, v3
	v_xor_b32_e32 v8, 8, v2
	s_waitcnt lgkmcnt(0)
	v_max_f32_e32 v4, v4, v4
	v_max_f32_e32 v4, v6, v4
	v_cndmask_b32_e32 v6, v2, v7, vcc
	v_lshlrev_b32_e32 v6, 2, v6
	ds_bpermute_b32 v7, v6, v4
	v_cmp_lt_i32_e32 vcc, v8, v3
	v_and_b32_e32 v43, 63, v0
	s_waitcnt lgkmcnt(0)
	v_max_f32_e32 v7, v7, v7
	v_max_f32_e32 v4, v4, v7
	v_cndmask_b32_e32 v7, v2, v8, vcc
	v_lshlrev_b32_e32 v9, 2, v7
	ds_bpermute_b32 v7, v9, v4
	v_xor_b32_e32 v8, 4, v2
	v_cmp_lt_i32_e32 vcc, v8, v3
	s_waitcnt lgkmcnt(0)
	v_max_f32_e32 v7, v7, v7
	v_max_f32_e32 v4, v4, v7
	v_cndmask_b32_e32 v7, v2, v8, vcc
	v_lshlrev_b32_e32 v10, 2, v7
	ds_bpermute_b32 v8, v10, v4
	v_cmp_eq_u32_e32 vcc, 0, v43
	v_lshlrev_b32_e32 v7, 2, v32
	s_and_saveexec_b64 s[4:5], vcc
	s_cbranch_execz .LBB210_118
; %bb.117:
	s_waitcnt lgkmcnt(0)
	v_max_f32_e32 v8, v8, v8
	v_max_f32_e32 v4, v4, v4
	;; [unrolled: 1-line block ×3, first 2 shown]
	ds_write_b32 v7, v4 offset:256
.LBB210_118:
	s_or_b64 exec, exec, s[4:5]
	v_cmp_gt_u32_e64 s[4:5], 2, v43
	v_mov_b32_e32 v4, 0xff7fffff
	s_waitcnt lgkmcnt(0)
	v_lshlrev_b32_e32 v8, 2, v43
	s_barrier
	s_and_saveexec_b64 s[10:11], s[4:5]
	s_cbranch_execz .LBB210_120
; %bb.119:
	ds_read_b32 v4, v8 offset:256
.LBB210_120:
	s_or_b64 exec, exec, s[10:11]
	v_xor_b32_e32 v11, 1, v2
	v_cmp_lt_i32_e64 s[10:11], v11, v3
	v_cndmask_b32_e64 v11, v2, v11, s[10:11]
	v_lshlrev_b32_e32 v44, 2, v11
	s_waitcnt lgkmcnt(0)
	ds_bpermute_b32 v11, v44, v4
	v_max_f32_e32 v4, v4, v4
	s_sub_i32 s10, s56, s27
	s_lshl_b32 s10, s10, 4
	s_add_i32 s10, s10, s57
	s_waitcnt lgkmcnt(0)
	v_max_f32_e32 v11, v11, v11
	v_max_f32_e32 v4, v4, v11
	v_lshlrev_b32_e32 v11, 2, v2
	v_and_b32_e32 v11, 0x100, v11
	ds_bpermute_b32 v4, v11, v4
	s_min_i32 s45, s10, s33
	s_sub_i32 s27, s45, s57
	v_cmp_gt_i32_e64 s[10:11], s27, v0
	v_mov_b32_e32 v12, 0
	s_and_saveexec_b64 s[16:17], s[10:11]
	s_cbranch_execz .LBB210_124
; %bb.121:
	v_mov_b32_e32 v12, 0x110
	v_lshl_add_u32 v13, v0, 2, v12
	s_mov_b64 s[22:23], 0
	v_mov_b32_e32 v12, 0
	v_mov_b32_e32 v14, v0
.LBB210_122:                            ; =>This Inner Loop Header: Depth=1
	ds_read_b32 v15, v13
	v_add_u32_e32 v14, 0x80, v14
	v_cmp_le_i32_e64 s[12:13], s27, v14
	s_or_b64 s[22:23], s[12:13], s[22:23]
	s_waitcnt lgkmcnt(0)
	v_sub_f32_e32 v15, v15, v4
	v_mul_f32_e32 v15, 0x3fb8aa3b, v15
	v_exp_f32_e32 v15, v15
	ds_write_b32 v13, v15
	v_add_f32_e32 v12, v12, v15
	v_add_u32_e32 v13, 0x200, v13
	s_andn2_b64 exec, exec, s[22:23]
	s_cbranch_execnz .LBB210_122
; %bb.123:
	s_or_b64 exec, exec, s[22:23]
.LBB210_124:
	s_or_b64 exec, exec, s[16:17]
	ds_bpermute_b32 v5, v5, v12
	s_waitcnt lgkmcnt(0)
	v_add_f32_e32 v5, v12, v5
	ds_bpermute_b32 v6, v6, v5
	s_waitcnt lgkmcnt(0)
	v_add_f32_e32 v5, v5, v6
	ds_bpermute_b32 v6, v9, v5
	v_xor_b32_e32 v9, 2, v2
	v_cmp_lt_i32_e64 s[12:13], v9, v3
	v_cndmask_b32_e64 v2, v2, v9, s[12:13]
	v_lshlrev_b32_e32 v45, 2, v2
	s_waitcnt lgkmcnt(0)
	v_add_f32_e32 v5, v5, v6
	ds_bpermute_b32 v6, v10, v5
	s_waitcnt lgkmcnt(0)
	v_add_f32_e32 v3, v5, v6
	ds_bpermute_b32 v2, v45, v3
	;; [unrolled: 3-line block ×3, first 2 shown]
	s_waitcnt lgkmcnt(0)
	v_add_f32_e32 v2, v2, v3
	s_and_saveexec_b64 s[12:13], vcc
	s_cbranch_execz .LBB210_126
; %bb.125:
	ds_write_b32 v7, v2 offset:264
.LBB210_126:
	s_or_b64 exec, exec, s[12:13]
	s_waitcnt lgkmcnt(0)
	s_barrier
	s_and_saveexec_b64 s[12:13], s[4:5]
	s_cbranch_execz .LBB210_128
; %bb.127:
	ds_read_b32 v2, v8 offset:264
.LBB210_128:
	s_or_b64 exec, exec, s[12:13]
	s_waitcnt lgkmcnt(0)
	ds_bpermute_b32 v3, v44, v2
	s_waitcnt lgkmcnt(0)
	v_add_f32_e32 v2, v2, v3
	ds_bpermute_b32 v5, v11, v2
	s_and_saveexec_b64 s[4:5], s[10:11]
	s_cbranch_execz .LBB210_141
; %bb.129:
	s_waitcnt lgkmcnt(0)
	v_add_f32_e32 v2, 0x358637bd, v5
	v_div_scale_f32 v3, s[10:11], v2, v2, 1.0
	v_rcp_f32_e32 v6, v3
	v_div_scale_f32 v7, vcc, 1.0, v2, 1.0
	s_movk_i32 s10, 0x7f
	v_fma_f32 v8, -v3, v6, 1.0
	v_fmac_f32_e32 v6, v8, v6
	v_mul_f32_e32 v8, v7, v6
	v_fma_f32 v9, -v3, v8, v7
	v_fmac_f32_e32 v8, v9, v6
	v_fma_f32 v3, -v3, v8, v7
	v_div_fmas_f32 v3, v3, v6, v8
	v_div_fixup_f32 v2, v3, v2, 1.0
	v_xad_u32 v3, v0, -1, s45
	v_subrev_u32_e32 v6, s57, v3
	v_cmp_lt_u32_e32 vcc, s10, v6
	s_mov_b64 s[12:13], -1
	v_mov_b32_e32 v3, v0
	s_and_saveexec_b64 s[10:11], vcc
	s_cbranch_execz .LBB210_138
; %bb.130:
	v_lshrrev_b32_e32 v6, 7, v6
	v_add_u32_e32 v8, -1, v6
	v_lshrrev_b32_e32 v7, 1, v8
	v_mov_b32_e32 v3, v2
	v_add_u32_e32 v7, 1, v7
	v_cmp_lt_u32_e32 vcc, 13, v8
	v_mov_b32_e32 v10, 0
	s_and_saveexec_b64 s[12:13], vcc
	s_cbranch_execz .LBB210_134
; %bb.131:
	v_mov_b32_e32 v9, 0x110
	v_and_b32_e32 v8, -8, v7
	v_lshl_add_u32 v9, v0, 2, v9
	s_mov_b32 s22, 0
	s_mov_b64 s[16:17], 0
.LBB210_132:                            ; =>This Inner Loop Header: Depth=1
	ds_read2st64_b32 v[10:11], v9 offset1:2
	ds_read2st64_b32 v[12:13], v9 offset0:4 offset1:6
	ds_read2st64_b32 v[14:15], v9 offset0:8 offset1:10
	;; [unrolled: 1-line block ×3, first 2 shown]
	v_add_u32_e32 v8, -8, v8
	s_waitcnt lgkmcnt(3)
	v_pk_mul_f32 v[10:11], v[2:3], v[10:11]
	s_waitcnt lgkmcnt(2)
	v_pk_mul_f32 v[12:13], v[2:3], v[12:13]
	ds_write2st64_b32 v9, v10, v11 offset1:2
	ds_write2st64_b32 v9, v12, v13 offset0:4 offset1:6
	ds_read2st64_b32 v[12:13], v9 offset0:16 offset1:18
	s_waitcnt lgkmcnt(4)
	v_pk_mul_f32 v[10:11], v[2:3], v[14:15]
	ds_write2st64_b32 v9, v10, v11 offset0:8 offset1:10
	s_waitcnt lgkmcnt(4)
	v_pk_mul_f32 v[10:11], v[2:3], v[16:17]
	ds_write2st64_b32 v9, v10, v11 offset0:12 offset1:14
	ds_read2st64_b32 v[10:11], v9 offset0:20 offset1:22
	s_waitcnt lgkmcnt(3)
	v_pk_mul_f32 v[12:13], v[2:3], v[12:13]
	ds_read2st64_b32 v[14:15], v9 offset0:24 offset1:26
	ds_write2st64_b32 v9, v12, v13 offset0:16 offset1:18
	ds_read2st64_b32 v[12:13], v9 offset0:28 offset1:30
	s_waitcnt lgkmcnt(3)
	v_pk_mul_f32 v[10:11], v[2:3], v[10:11]
	ds_write2st64_b32 v9, v10, v11 offset0:20 offset1:22
	s_waitcnt lgkmcnt(3)
	v_pk_mul_f32 v[10:11], v[2:3], v[14:15]
	ds_write2st64_b32 v9, v10, v11 offset0:24 offset1:26
	s_waitcnt lgkmcnt(2)
	v_pk_mul_f32 v[10:11], v[2:3], v[12:13]
	s_add_i32 s22, s22, 16
	v_cmp_eq_u32_e32 vcc, 0, v8
	ds_write2st64_b32 v9, v10, v11 offset0:28 offset1:30
	v_add_u32_e32 v9, 0x2000, v9
	s_or_b64 s[16:17], vcc, s[16:17]
	v_mov_b32_e32 v10, s22
	s_andn2_b64 exec, exec, s[16:17]
	s_cbranch_execnz .LBB210_132
; %bb.133:
	s_or_b64 exec, exec, s[16:17]
.LBB210_134:
	s_or_b64 exec, exec, s[12:13]
	v_and_b32_e32 v7, 7, v7
	v_cmp_ne_u32_e32 vcc, 0, v7
	s_and_saveexec_b64 s[12:13], vcc
	s_cbranch_execz .LBB210_137
; %bb.135:
	v_lshlrev_b32_e32 v8, 9, v10
	s_movk_i32 s16, 0x110
	v_add3_u32 v8, v8, v31, s16
	s_mov_b64 s[16:17], 0
.LBB210_136:                            ; =>This Inner Loop Header: Depth=1
	ds_read2st64_b32 v[10:11], v8 offset1:2
	v_add_u32_e32 v7, -1, v7
	v_cmp_eq_u32_e32 vcc, 0, v7
	s_or_b64 s[16:17], vcc, s[16:17]
	s_waitcnt lgkmcnt(0)
	v_pk_mul_f32 v[10:11], v[2:3], v[10:11]
	ds_write2st64_b32 v8, v10, v11 offset1:2
	v_add_u32_e32 v8, 0x400, v8
	s_andn2_b64 exec, exec, s[16:17]
	s_cbranch_execnz .LBB210_136
.LBB210_137:
	s_or_b64 exec, exec, s[12:13]
	v_add_u32_e32 v6, 1, v6
	v_and_b32_e32 v7, 0x3fffffe, v6
	v_cmp_ne_u32_e32 vcc, v6, v7
	v_lshl_add_u32 v3, v7, 7, v0
	s_orn2_b64 s[12:13], vcc, exec
.LBB210_138:
	s_or_b64 exec, exec, s[10:11]
	s_and_b64 exec, exec, s[12:13]
	s_cbranch_execz .LBB210_141
; %bb.139:
	v_mov_b32_e32 v6, 0x110
	v_lshl_add_u32 v6, v3, 2, v6
	s_mov_b64 s[10:11], 0
.LBB210_140:                            ; =>This Inner Loop Header: Depth=1
	ds_read_b32 v7, v6
	v_add_u32_e32 v3, 0x80, v3
	v_cmp_le_i32_e32 vcc, s27, v3
	s_or_b64 s[10:11], vcc, s[10:11]
	s_waitcnt lgkmcnt(0)
	v_mul_f32_e32 v7, v2, v7
	ds_write_b32 v6, v7
	v_add_u32_e32 v6, 0x200, v6
	s_andn2_b64 exec, exec, s[10:11]
	s_cbranch_execnz .LBB210_140
.LBB210_141:
	s_or_b64 exec, exec, s[4:5]
	s_mul_i32 s4, s15, s36
	v_cmp_eq_u32_e32 vcc, 0, v0
	s_mul_i32 s10, s4, s9
	s_waitcnt lgkmcnt(0)
	s_barrier
	s_and_saveexec_b64 s[4:5], vcc
	s_cbranch_execz .LBB210_143
; %bb.142:
	s_ashr_i32 s11, s10, 31
	s_lshl_b64 s[12:13], s[10:11], 2
	s_add_u32 s9, s30, s12
	s_mul_i32 s16, s15, s6
	s_addc_u32 s11, s31, s13
	s_ashr_i32 s17, s16, 31
	s_lshl_b64 s[16:17], s[16:17], 2
	s_add_u32 s6, s9, s16
	s_addc_u32 s11, s11, s17
	s_ashr_i32 s9, s8, 31
	s_lshl_b64 s[22:23], s[8:9], 2
	s_add_u32 s30, s6, s22
	s_addc_u32 s31, s11, s23
	s_add_u32 s6, s28, s12
	s_addc_u32 s9, s29, s13
	;; [unrolled: 2-line block ×3, first 2 shown]
	s_add_u32 s12, s6, s22
	v_mov_b32_e32 v2, 0
	s_addc_u32 s13, s9, s23
	global_store_dword v2, v4, s[30:31]
	global_store_dword v2, v5, s[12:13]
.LBB210_143:
	s_or_b64 exec, exec, s[4:5]
	s_mov_b32 s4, 0
	v_mov_b32_e32 v5, 0
	v_mov_b32_e32 v4, 0
	v_mov_b32_e32 v3, 0
	v_mov_b32_e32 v2, 0
	s_and_saveexec_b64 s[12:13], s[2:3]
	s_cbranch_execz .LBB210_253
; %bb.144:
	s_sub_i32 s9, s20, s25
	s_ashr_i32 s2, s24, 31
	s_add_u32 s3, s42, s24
	s_addc_u32 s2, s43, s2
	s_abs_i32 s11, s26
	v_cvt_f32_u32_e32 v2, s11
	s_sub_i32 s5, 0, s11
	v_and_b32_e32 v3, 0xfc, v31
	s_add_i32 s31, s7, -1
	v_rcp_iflag_f32_e32 v2, v2
	v_mov_b32_e32 v4, s2
	v_add_co_u32_e32 v10, vcc, s3, v3
	v_mul_f32_e32 v2, 0x4f7ffffe, v2
	v_cvt_u32_f32_e32 v2, v2
	s_lshl_b64 s[2:3], s[40:41], 2
	v_addc_co_u32_e32 v11, vcc, 0, v4, vcc
	v_mul_lo_u32 v5, s5, v2
	v_mul_hi_u32 v5, v2, v5
	v_add_u32_e32 v47, v2, v5
	v_lshlrev_b64 v[2:3], 2, v[20:21]
	s_add_u32 s2, s38, s2
	s_addc_u32 s3, s39, s3
	v_add_co_u32_e32 v12, vcc, s2, v2
	v_lshlrev_b32_e32 v2, 4, v18
	v_mov_b32_e32 v4, s3
	v_lshl_or_b32 v2, v32, 6, v2
	s_mov_b32 s5, s4
	v_addc_co_u32_e32 v13, vcc, v4, v3, vcc
	v_add_u32_e32 v21, 0x110, v2
	s_mov_b32 s6, s4
	s_mov_b32 s7, s4
	v_pk_mov_b32 v[2:3], s[4:5], s[4:5] op_sel:[0,1]
	v_and_b32_e32 v46, 12, v31
	s_mov_b32 s30, s21
	s_mov_b64 s[16:17], 0
	v_pk_mov_b32 v[4:5], s[6:7], s[6:7] op_sel:[0,1]
	s_movk_i32 s36, 0x80
	s_movk_i32 s38, 0x7f
	v_mov_b32_e32 v15, 0
	s_brev_b32 s5, 1
	s_mov_b32 s7, 0x7f800001
	s_mov_b32 s39, 0xffffff
	v_bfrev_b32_e32 v48, 60
	v_mov_b32_e32 v49, 7
	v_mov_b32_e32 v50, 24
	s_branch .LBB210_147
.LBB210_145:                            ;   in Loop: Header=BB210_147 Depth=1
	s_or_b64 exec, exec, s[2:3]
	v_mul_f32_e32 v14, v7, v17
	v_fmac_f32_e32 v14, v6, v16
	v_fmac_f32_e32 v14, v8, v22
	;; [unrolled: 1-line block ×3, first 2 shown]
	v_add_f32_e32 v2, v2, v14
	v_mul_f32_e32 v14, v7, v27
	v_fmac_f32_e32 v14, v6, v26
	v_fmac_f32_e32 v14, v8, v28
	;; [unrolled: 1-line block ×3, first 2 shown]
	v_add_f32_e32 v3, v3, v14
	v_mul_f32_e32 v14, v7, v31
	v_mul_f32_e32 v7, v7, v25
	v_fmac_f32_e32 v14, v6, v30
	v_fmac_f32_e32 v7, v6, v24
	;; [unrolled: 1-line block ×6, first 2 shown]
	v_add_f32_e32 v4, v4, v14
	v_add_f32_e32 v5, v5, v7
.LBB210_146:                            ;   in Loop: Header=BB210_147 Depth=1
	s_or_b64 exec, exec, s[20:21]
	v_add_co_u32_e32 v12, vcc, 8, v12
	v_add_u32_e32 v20, 2, v20
	v_addc_co_u32_e32 v13, vcc, 0, v13, vcc
	v_cmp_le_i32_e32 vcc, s56, v20
	v_add_u32_e32 v42, 32, v42
	s_or_b64 s[16:17], vcc, s[16:17]
	v_add_u32_e32 v21, 0x80, v21
	s_andn2_b64 exec, exec, s[16:17]
	s_cbranch_execz .LBB210_252
.LBB210_147:                            ; =>This Inner Loop Header: Depth=1
	v_sub_u32_e32 v7, 0, v42
	v_max_i32_e32 v7, v42, v7
	v_mul_hi_u32 v8, v7, s54
	v_mul_lo_u32 v9, v8, s37
	v_sub_u32_e32 v7, v7, v9
	v_add_u32_e32 v9, 1, v8
	v_cmp_le_u32_e32 vcc, s37, v7
	v_cndmask_b32_e32 v8, v8, v9, vcc
	v_subrev_u32_e32 v9, s37, v7
	v_cndmask_b32_e32 v7, v7, v9, vcc
	v_ashrrev_i32_e32 v6, 31, v42
	v_add_u32_e32 v9, 1, v8
	v_cmp_le_u32_e32 vcc, s37, v7
	v_xor_b32_e32 v6, s55, v6
	v_cndmask_b32_e32 v7, v8, v9, vcc
	v_xor_b32_e32 v7, v7, v6
	v_sub_u32_e32 v6, v7, v6
	v_add_u32_e32 v7, s44, v6
	v_sub_u32_e32 v9, 0, v7
	v_ashrrev_i32_e32 v8, 31, v7
	v_max_i32_e32 v7, v7, v9
	v_mul_hi_u32 v9, v7, v47
	v_mul_lo_u32 v9, v9, s11
	v_sub_u32_e32 v7, v7, v9
	v_subrev_u32_e32 v9, s11, v7
	v_cmp_le_u32_e32 vcc, s11, v7
	v_cndmask_b32_e32 v7, v7, v9, vcc
	v_subrev_u32_e32 v9, s11, v7
	v_cmp_le_u32_e32 vcc, s11, v7
	v_cndmask_b32_e32 v7, v7, v9, vcc
	v_xor_b32_e32 v7, v7, v8
	v_sub_u32_e32 v7, v7, v8
	v_cmp_eq_u32_e32 vcc, 0, v7
	v_cmp_lt_i32_e64 s[2:3], s9, v6
	s_or_b64 s[2:3], vcc, s[2:3]
	s_and_saveexec_b64 s[20:21], s[2:3]
	s_cbranch_execz .LBB210_146
; %bb.148:                              ;   in Loop: Header=BB210_147 Depth=1
	global_load_dword v6, v[12:13], off
	s_load_dword s22, s[18:19], 0x0
	v_pk_mov_b32 v[26:27], 0, 0
	v_pk_mov_b32 v[22:23], v[26:27], v[26:27] op_sel:[0,1]
	s_waitcnt vmcnt(0)
	v_mad_i64_i32 v[24:25], s[2:3], v6, s30, v[10:11]
	global_load_dword v16, v[24:25], off
	ds_read_b128 v[6:9], v21
	s_waitcnt vmcnt(0)
	v_cmp_ne_u16_sdwa s[24:25], v16, v15 src0_sel:BYTE_0 src1_sel:DWORD
	s_and_saveexec_b64 s[2:3], s[24:25]
	s_cbranch_execz .LBB210_154
; %bb.149:                              ;   in Loop: Header=BB210_147 Depth=1
	v_bfrev_b32_e32 v22, 1
	v_cmp_ne_u16_sdwa s[26:27], v16, s36 src0_sel:BYTE_0 src1_sel:DWORD
	v_mov_b32_e32 v23, 0
	s_and_saveexec_b64 s[24:25], s[26:27]
	s_cbranch_execz .LBB210_153
; %bb.150:                              ;   in Loop: Header=BB210_147 Depth=1
	v_and_b32_e32 v14, 0x7f, v16
	v_mov_b32_e32 v22, 0x7f800001
	v_cmp_ne_u32_e32 vcc, s38, v14
	v_mov_b32_e32 v23, 0
	s_and_saveexec_b64 s[26:27], vcc
	s_cbranch_execz .LBB210_152
; %bb.151:                              ;   in Loop: Header=BB210_147 Depth=1
	v_and_b32_e32 v17, 7, v16
	v_ffbh_u32_e32 v22, v17
	v_min_u32_e32 v29, 32, v22
	v_subrev_u32_e32 v22, 28, v29
	v_lshlrev_b64 v[22:23], v22, v[16:17]
	v_lshrrev_b32_e32 v28, 3, v14
	v_sub_u32_e32 v23, 29, v29
	v_and_b32_e32 v22, 7, v22
	v_cmp_gt_u32_e32 vcc, 8, v14
	v_cndmask_b32_e32 v14, v28, v23, vcc
	v_cndmask_b32_e32 v17, v17, v22, vcc
	v_lshlrev_b32_e32 v17, 20, v17
	v_and_b32_sdwa v22, sext(v16), s5 dst_sel:DWORD dst_unused:UNUSED_PAD src0_sel:BYTE_0 src1_sel:DWORD
	v_lshl_add_u32 v14, v14, 23, v48
	v_or3_b32 v14, v22, v14, v17
	v_pk_mov_b32 v[22:23], v[14:15], v[14:15] op_sel:[0,1]
.LBB210_152:                            ;   in Loop: Header=BB210_147 Depth=1
	s_or_b64 exec, exec, s[26:27]
.LBB210_153:                            ;   in Loop: Header=BB210_147 Depth=1
	s_or_b64 exec, exec, s[24:25]
.LBB210_154:                            ;   in Loop: Header=BB210_147 Depth=1
	s_or_b64 exec, exec, s[2:3]
	v_cmp_ne_u16_sdwa s[24:25], v16, v15 src0_sel:BYTE_1 src1_sel:DWORD
	s_and_saveexec_b64 s[2:3], s[24:25]
	s_cbranch_execz .LBB210_160
; %bb.155:                              ;   in Loop: Header=BB210_147 Depth=1
	v_cmp_ne_u16_sdwa s[26:27], v16, s36 src0_sel:BYTE_1 src1_sel:DWORD
	v_pk_mov_b32 v[26:27], s[4:5], s[4:5] op_sel:[0,1]
	s_and_saveexec_b64 s[24:25], s[26:27]
	s_cbranch_execz .LBB210_159
; %bb.156:                              ;   in Loop: Header=BB210_147 Depth=1
	v_and_b32_sdwa v17, v16, s38 dst_sel:DWORD dst_unused:UNUSED_PAD src0_sel:BYTE_1 src1_sel:DWORD
	s_mov_b32 s6, s4
	v_cmp_ne_u32_e32 vcc, s38, v17
	v_pk_mov_b32 v[26:27], s[6:7], s[6:7] op_sel:[0,1]
	s_and_saveexec_b64 s[26:27], vcc
	s_cbranch_execz .LBB210_158
; %bb.157:                              ;   in Loop: Header=BB210_147 Depth=1
	v_and_b32_sdwa v14, v16, v49 dst_sel:DWORD dst_unused:UNUSED_PAD src0_sel:BYTE_1 src1_sel:DWORD
	v_ffbh_u32_e32 v26, v14
	v_min_u32_e32 v29, 32, v26
	v_subrev_u32_e32 v26, 28, v29
	v_lshlrev_b64 v[26:27], v26, v[14:15]
	v_lshrrev_b32_e32 v28, 3, v17
	v_sub_u32_e32 v27, 29, v29
	v_cmp_gt_u32_e32 vcc, 8, v17
	v_and_b32_e32 v26, 7, v26
	v_cndmask_b32_e32 v17, v28, v27, vcc
	v_cndmask_b32_e32 v14, v14, v26, vcc
	v_lshlrev_b32_e32 v26, 16, v16
	v_lshl_add_u32 v17, v17, 23, v48
	v_and_or_b32 v17, v26, s5, v17
	v_lshlrev_b32_e32 v14, 20, v14
	v_or_b32_e32 v27, v17, v14
	v_mov_b32_e32 v26, v15
.LBB210_158:                            ;   in Loop: Header=BB210_147 Depth=1
	s_or_b64 exec, exec, s[26:27]
.LBB210_159:                            ;   in Loop: Header=BB210_147 Depth=1
	s_or_b64 exec, exec, s[24:25]
.LBB210_160:                            ;   in Loop: Header=BB210_147 Depth=1
	s_or_b64 exec, exec, s[2:3]
	v_lshrrev_b32_e32 v14, 16, v16
	v_pk_mov_b32 v[30:31], 0, 0
	v_cmp_ne_u16_sdwa s[24:25], v14, v15 src0_sel:BYTE_0 src1_sel:DWORD
	v_pk_mov_b32 v[28:29], v[30:31], v[30:31] op_sel:[0,1]
	s_and_saveexec_b64 s[2:3], s[24:25]
	s_cbranch_execz .LBB210_166
; %bb.161:                              ;   in Loop: Header=BB210_147 Depth=1
	v_bfrev_b32_e32 v28, 1
	v_cmp_ne_u16_sdwa s[26:27], v14, s36 src0_sel:BYTE_0 src1_sel:DWORD
	v_mov_b32_e32 v29, 0
	s_and_saveexec_b64 s[24:25], s[26:27]
	s_cbranch_execz .LBB210_165
; %bb.162:                              ;   in Loop: Header=BB210_147 Depth=1
	v_bfe_u32 v17, v16, 16, 7
	v_mov_b32_e32 v28, 0x7f800001
	v_cmp_ne_u32_e32 vcc, s38, v17
	v_mov_b32_e32 v29, 0
	s_and_saveexec_b64 s[26:27], vcc
	s_cbranch_execz .LBB210_164
; %bb.163:                              ;   in Loop: Header=BB210_147 Depth=1
	v_and_b32_e32 v32, 7, v14
	v_ffbh_u32_e32 v28, v32
	v_min_u32_e32 v34, 32, v28
	v_subrev_u32_e32 v28, 28, v34
	v_lshlrev_b64 v[28:29], v28, v[14:15]
	v_lshrrev_b32_e32 v33, 3, v17
	v_sub_u32_e32 v29, 29, v34
	v_and_b32_e32 v28, 7, v28
	v_cmp_gt_u32_e32 vcc, 8, v17
	v_cndmask_b32_e32 v17, v33, v29, vcc
	v_cndmask_b32_e32 v28, v32, v28, vcc
	v_lshlrev_b32_e32 v28, 20, v28
	v_and_b32_sdwa v14, sext(v14), s5 dst_sel:DWORD dst_unused:UNUSED_PAD src0_sel:BYTE_0 src1_sel:DWORD
	v_lshl_add_u32 v17, v17, 23, v48
	v_or3_b32 v14, v14, v17, v28
	v_pk_mov_b32 v[28:29], v[14:15], v[14:15] op_sel:[0,1]
.LBB210_164:                            ;   in Loop: Header=BB210_147 Depth=1
	s_or_b64 exec, exec, s[26:27]
.LBB210_165:                            ;   in Loop: Header=BB210_147 Depth=1
	s_or_b64 exec, exec, s[24:25]
.LBB210_166:                            ;   in Loop: Header=BB210_147 Depth=1
	s_or_b64 exec, exec, s[2:3]
	v_cmp_lt_u32_e32 vcc, s39, v16
	s_and_saveexec_b64 s[2:3], vcc
	s_cbranch_execz .LBB210_172
; %bb.167:                              ;   in Loop: Header=BB210_147 Depth=1
	v_cmp_ne_u32_sdwa s[26:27], v16, s36 src0_sel:BYTE_3 src1_sel:DWORD
	v_pk_mov_b32 v[30:31], s[4:5], s[4:5] op_sel:[0,1]
	s_and_saveexec_b64 s[24:25], s[26:27]
	s_cbranch_execz .LBB210_171
; %bb.168:                              ;   in Loop: Header=BB210_147 Depth=1
	v_bfe_u32 v17, v16, 24, 7
	s_mov_b32 s6, s4
	v_cmp_ne_u32_e32 vcc, s38, v17
	v_pk_mov_b32 v[30:31], s[6:7], s[6:7] op_sel:[0,1]
	s_and_saveexec_b64 s[26:27], vcc
	s_cbranch_execz .LBB210_170
; %bb.169:                              ;   in Loop: Header=BB210_147 Depth=1
	v_and_b32_sdwa v14, v16, v49 dst_sel:DWORD dst_unused:UNUSED_PAD src0_sel:BYTE_3 src1_sel:DWORD
	v_ffbh_u32_e32 v30, v14
	v_min_u32_e32 v33, 32, v30
	v_subrev_u32_e32 v30, 28, v33
	v_lshlrev_b64 v[30:31], v30, v[14:15]
	v_lshrrev_b32_e32 v32, 3, v17
	v_sub_u32_e32 v31, 29, v33
	v_cmp_gt_u32_e32 vcc, 8, v17
	v_and_b32_e32 v30, 7, v30
	v_cndmask_b32_e32 v17, v32, v31, vcc
	v_cndmask_b32_e32 v14, v14, v30, vcc
	v_lshlrev_b32_sdwa v16, v50, v16 dst_sel:DWORD dst_unused:UNUSED_PAD src0_sel:DWORD src1_sel:BYTE_3
	v_lshl_add_u32 v17, v17, 23, v48
	v_and_or_b32 v16, v16, s5, v17
	v_lshlrev_b32_e32 v14, 20, v14
	v_or_b32_e32 v31, v16, v14
	v_mov_b32_e32 v30, v15
.LBB210_170:                            ;   in Loop: Header=BB210_147 Depth=1
	s_or_b64 exec, exec, s[26:27]
.LBB210_171:                            ;   in Loop: Header=BB210_147 Depth=1
	s_or_b64 exec, exec, s[24:25]
.LBB210_172:                            ;   in Loop: Header=BB210_147 Depth=1
	s_or_b64 exec, exec, s[2:3]
	v_add_u32_e32 v51, v46, v42
	v_or_b32_e32 v17, v27, v23
	v_or_b32_e32 v16, v26, v22
	;; [unrolled: 1-line block ×4, first 2 shown]
	v_cmp_eq_u32_e32 vcc, s31, v20
	s_waitcnt lgkmcnt(0)
	v_pk_mul_f32 v[16:17], s[22:23], v[16:17] op_sel_hi:[0,1]
	v_pk_mul_f32 v[22:23], s[22:23], v[22:23] op_sel_hi:[0,1]
	v_add_u32_e32 v54, 1, v51
	v_add_u32_e32 v53, 2, v51
	;; [unrolled: 1-line block ×3, first 2 shown]
	s_and_saveexec_b64 s[24:25], vcc
; %bb.173:                              ;   in Loop: Header=BB210_147 Depth=1
	v_cmp_gt_i32_e64 s[2:3], s33, v51
	v_cndmask_b32_e64 v16, 0, v16, s[2:3]
	v_cmp_gt_i32_e64 s[2:3], s33, v54
	v_cndmask_b32_e64 v17, 0, v17, s[2:3]
	;; [unrolled: 2-line block ×4, first 2 shown]
; %bb.174:                              ;   in Loop: Header=BB210_147 Depth=1
	s_or_b64 exec, exec, s[24:25]
	global_load_dword v26, v[24:25], off offset:256
	v_pk_mov_b32 v[30:31], 0, 0
	v_pk_mov_b32 v[28:29], v[30:31], v[30:31] op_sel:[0,1]
	s_waitcnt vmcnt(0)
	v_cmp_ne_u16_sdwa s[2:3], v26, v15 src0_sel:BYTE_0 src1_sel:DWORD
	s_and_saveexec_b64 s[24:25], s[2:3]
	s_cbranch_execz .LBB210_180
; %bb.175:                              ;   in Loop: Header=BB210_147 Depth=1
	v_bfrev_b32_e32 v28, 1
	v_cmp_ne_u16_sdwa s[2:3], v26, s36 src0_sel:BYTE_0 src1_sel:DWORD
	v_mov_b32_e32 v29, 0
	s_and_saveexec_b64 s[26:27], s[2:3]
	s_cbranch_execz .LBB210_179
; %bb.176:                              ;   in Loop: Header=BB210_147 Depth=1
	v_and_b32_e32 v14, 0x7f, v26
	v_mov_b32_e32 v28, 0x7f800001
	v_cmp_ne_u32_e64 s[2:3], s38, v14
	v_mov_b32_e32 v29, 0
	s_and_saveexec_b64 s[28:29], s[2:3]
	s_cbranch_execz .LBB210_178
; %bb.177:                              ;   in Loop: Header=BB210_147 Depth=1
	v_and_b32_e32 v27, 7, v26
	v_ffbh_u32_e32 v28, v27
	v_min_u32_e32 v33, 32, v28
	v_subrev_u32_e32 v28, 28, v33
	v_lshlrev_b64 v[28:29], v28, v[26:27]
	v_lshrrev_b32_e32 v32, 3, v14
	v_sub_u32_e32 v29, 29, v33
	v_and_b32_e32 v28, 7, v28
	v_cmp_gt_u32_e64 s[2:3], 8, v14
	v_cndmask_b32_e64 v14, v32, v29, s[2:3]
	v_cndmask_b32_e64 v27, v27, v28, s[2:3]
	v_lshlrev_b32_e32 v27, 20, v27
	v_and_b32_sdwa v28, sext(v26), s5 dst_sel:DWORD dst_unused:UNUSED_PAD src0_sel:BYTE_0 src1_sel:DWORD
	v_lshl_add_u32 v14, v14, 23, v48
	v_or3_b32 v14, v28, v14, v27
	v_pk_mov_b32 v[28:29], v[14:15], v[14:15] op_sel:[0,1]
.LBB210_178:                            ;   in Loop: Header=BB210_147 Depth=1
	s_or_b64 exec, exec, s[28:29]
.LBB210_179:                            ;   in Loop: Header=BB210_147 Depth=1
	s_or_b64 exec, exec, s[26:27]
.LBB210_180:                            ;   in Loop: Header=BB210_147 Depth=1
	s_or_b64 exec, exec, s[24:25]
	v_cmp_ne_u16_sdwa s[2:3], v26, v15 src0_sel:BYTE_1 src1_sel:DWORD
	s_and_saveexec_b64 s[24:25], s[2:3]
	s_cbranch_execz .LBB210_186
; %bb.181:                              ;   in Loop: Header=BB210_147 Depth=1
	v_cmp_ne_u16_sdwa s[2:3], v26, s36 src0_sel:BYTE_1 src1_sel:DWORD
	v_pk_mov_b32 v[30:31], s[4:5], s[4:5] op_sel:[0,1]
	s_and_saveexec_b64 s[26:27], s[2:3]
	s_cbranch_execz .LBB210_185
; %bb.182:                              ;   in Loop: Header=BB210_147 Depth=1
	v_and_b32_sdwa v27, v26, s38 dst_sel:DWORD dst_unused:UNUSED_PAD src0_sel:BYTE_1 src1_sel:DWORD
	s_mov_b32 s6, s4
	v_cmp_ne_u32_e64 s[2:3], s38, v27
	v_pk_mov_b32 v[30:31], s[6:7], s[6:7] op_sel:[0,1]
	s_and_saveexec_b64 s[28:29], s[2:3]
	s_cbranch_execz .LBB210_184
; %bb.183:                              ;   in Loop: Header=BB210_147 Depth=1
	v_and_b32_sdwa v14, v26, v49 dst_sel:DWORD dst_unused:UNUSED_PAD src0_sel:BYTE_1 src1_sel:DWORD
	v_ffbh_u32_e32 v30, v14
	v_min_u32_e32 v33, 32, v30
	v_subrev_u32_e32 v30, 28, v33
	v_lshlrev_b64 v[30:31], v30, v[14:15]
	v_lshrrev_b32_e32 v32, 3, v27
	v_sub_u32_e32 v31, 29, v33
	v_cmp_gt_u32_e64 s[2:3], 8, v27
	v_and_b32_e32 v30, 7, v30
	v_cndmask_b32_e64 v27, v32, v31, s[2:3]
	v_cndmask_b32_e64 v14, v14, v30, s[2:3]
	v_lshlrev_b32_e32 v30, 16, v26
	v_lshl_add_u32 v27, v27, 23, v48
	v_and_or_b32 v27, v30, s5, v27
	v_lshlrev_b32_e32 v14, 20, v14
	v_or_b32_e32 v31, v27, v14
	v_mov_b32_e32 v30, v15
.LBB210_184:                            ;   in Loop: Header=BB210_147 Depth=1
	s_or_b64 exec, exec, s[28:29]
.LBB210_185:                            ;   in Loop: Header=BB210_147 Depth=1
	s_or_b64 exec, exec, s[26:27]
.LBB210_186:                            ;   in Loop: Header=BB210_147 Depth=1
	s_or_b64 exec, exec, s[24:25]
	v_lshrrev_b32_e32 v14, 16, v26
	v_pk_mov_b32 v[34:35], 0, 0
	v_cmp_ne_u16_sdwa s[2:3], v14, v15 src0_sel:BYTE_0 src1_sel:DWORD
	v_pk_mov_b32 v[32:33], v[34:35], v[34:35] op_sel:[0,1]
	s_and_saveexec_b64 s[24:25], s[2:3]
	s_cbranch_execz .LBB210_192
; %bb.187:                              ;   in Loop: Header=BB210_147 Depth=1
	v_bfrev_b32_e32 v32, 1
	v_cmp_ne_u16_sdwa s[2:3], v14, s36 src0_sel:BYTE_0 src1_sel:DWORD
	v_mov_b32_e32 v33, 0
	s_and_saveexec_b64 s[26:27], s[2:3]
	s_cbranch_execz .LBB210_191
; %bb.188:                              ;   in Loop: Header=BB210_147 Depth=1
	v_bfe_u32 v27, v26, 16, 7
	v_mov_b32_e32 v32, 0x7f800001
	v_cmp_ne_u32_e64 s[2:3], s38, v27
	v_mov_b32_e32 v33, 0
	s_and_saveexec_b64 s[28:29], s[2:3]
	s_cbranch_execz .LBB210_190
; %bb.189:                              ;   in Loop: Header=BB210_147 Depth=1
	v_and_b32_e32 v36, 7, v14
	v_ffbh_u32_e32 v32, v36
	v_min_u32_e32 v38, 32, v32
	v_subrev_u32_e32 v32, 28, v38
	v_lshlrev_b64 v[32:33], v32, v[14:15]
	v_lshrrev_b32_e32 v37, 3, v27
	v_sub_u32_e32 v33, 29, v38
	v_and_b32_e32 v32, 7, v32
	v_cmp_gt_u32_e64 s[2:3], 8, v27
	v_cndmask_b32_e64 v27, v37, v33, s[2:3]
	v_cndmask_b32_e64 v32, v36, v32, s[2:3]
	v_lshlrev_b32_e32 v32, 20, v32
	v_and_b32_sdwa v14, sext(v14), s5 dst_sel:DWORD dst_unused:UNUSED_PAD src0_sel:BYTE_0 src1_sel:DWORD
	v_lshl_add_u32 v27, v27, 23, v48
	v_or3_b32 v14, v14, v27, v32
	v_pk_mov_b32 v[32:33], v[14:15], v[14:15] op_sel:[0,1]
.LBB210_190:                            ;   in Loop: Header=BB210_147 Depth=1
	s_or_b64 exec, exec, s[28:29]
.LBB210_191:                            ;   in Loop: Header=BB210_147 Depth=1
	s_or_b64 exec, exec, s[26:27]
.LBB210_192:                            ;   in Loop: Header=BB210_147 Depth=1
	s_or_b64 exec, exec, s[24:25]
	v_cmp_lt_u32_e64 s[2:3], s39, v26
	s_and_saveexec_b64 s[24:25], s[2:3]
	s_cbranch_execz .LBB210_198
; %bb.193:                              ;   in Loop: Header=BB210_147 Depth=1
	v_cmp_ne_u32_sdwa s[2:3], v26, s36 src0_sel:BYTE_3 src1_sel:DWORD
	v_pk_mov_b32 v[34:35], s[4:5], s[4:5] op_sel:[0,1]
	s_and_saveexec_b64 s[26:27], s[2:3]
	s_cbranch_execz .LBB210_197
; %bb.194:                              ;   in Loop: Header=BB210_147 Depth=1
	v_bfe_u32 v27, v26, 24, 7
	s_mov_b32 s6, s4
	v_cmp_ne_u32_e64 s[2:3], s38, v27
	v_pk_mov_b32 v[34:35], s[6:7], s[6:7] op_sel:[0,1]
	s_and_saveexec_b64 s[28:29], s[2:3]
	s_cbranch_execz .LBB210_196
; %bb.195:                              ;   in Loop: Header=BB210_147 Depth=1
	v_and_b32_sdwa v14, v26, v49 dst_sel:DWORD dst_unused:UNUSED_PAD src0_sel:BYTE_3 src1_sel:DWORD
	v_ffbh_u32_e32 v34, v14
	v_min_u32_e32 v37, 32, v34
	v_subrev_u32_e32 v34, 28, v37
	v_lshlrev_b64 v[34:35], v34, v[14:15]
	v_lshrrev_b32_e32 v36, 3, v27
	v_sub_u32_e32 v35, 29, v37
	v_cmp_gt_u32_e64 s[2:3], 8, v27
	v_and_b32_e32 v34, 7, v34
	v_cndmask_b32_e64 v27, v36, v35, s[2:3]
	v_cndmask_b32_e64 v14, v14, v34, s[2:3]
	v_lshlrev_b32_sdwa v26, v50, v26 dst_sel:DWORD dst_unused:UNUSED_PAD src0_sel:DWORD src1_sel:BYTE_3
	v_lshl_add_u32 v27, v27, 23, v48
	v_and_or_b32 v26, v26, s5, v27
	v_lshlrev_b32_e32 v14, 20, v14
	v_or_b32_e32 v35, v26, v14
	v_mov_b32_e32 v34, v15
.LBB210_196:                            ;   in Loop: Header=BB210_147 Depth=1
	s_or_b64 exec, exec, s[28:29]
.LBB210_197:                            ;   in Loop: Header=BB210_147 Depth=1
	s_or_b64 exec, exec, s[26:27]
.LBB210_198:                            ;   in Loop: Header=BB210_147 Depth=1
	s_or_b64 exec, exec, s[24:25]
	s_mov_b32 s23, s22
	v_or_b32_e32 v27, v31, v29
	v_or_b32_e32 v26, v30, v28
	;; [unrolled: 1-line block ×4, first 2 shown]
	v_pk_mul_f32 v[26:27], s[22:23], v[26:27]
	v_pk_mul_f32 v[28:29], s[22:23], v[28:29]
	s_and_saveexec_b64 s[24:25], vcc
; %bb.199:                              ;   in Loop: Header=BB210_147 Depth=1
	v_cmp_gt_i32_e64 s[2:3], s33, v51
	v_cndmask_b32_e64 v26, 0, v26, s[2:3]
	v_cmp_gt_i32_e64 s[2:3], s33, v54
	v_cndmask_b32_e64 v27, 0, v27, s[2:3]
	;; [unrolled: 2-line block ×4, first 2 shown]
; %bb.200:                              ;   in Loop: Header=BB210_147 Depth=1
	s_or_b64 exec, exec, s[24:25]
	global_load_dword v30, v[24:25], off offset:512
	v_pk_mov_b32 v[34:35], 0, 0
	v_pk_mov_b32 v[32:33], v[34:35], v[34:35] op_sel:[0,1]
	s_waitcnt vmcnt(0)
	v_cmp_ne_u16_sdwa s[2:3], v30, v15 src0_sel:BYTE_0 src1_sel:DWORD
	s_and_saveexec_b64 s[24:25], s[2:3]
	s_cbranch_execz .LBB210_206
; %bb.201:                              ;   in Loop: Header=BB210_147 Depth=1
	v_bfrev_b32_e32 v32, 1
	v_cmp_ne_u16_sdwa s[2:3], v30, s36 src0_sel:BYTE_0 src1_sel:DWORD
	v_mov_b32_e32 v33, 0
	s_and_saveexec_b64 s[26:27], s[2:3]
	s_cbranch_execz .LBB210_205
; %bb.202:                              ;   in Loop: Header=BB210_147 Depth=1
	v_and_b32_e32 v14, 0x7f, v30
	v_mov_b32_e32 v32, 0x7f800001
	v_cmp_ne_u32_e64 s[2:3], s38, v14
	v_mov_b32_e32 v33, 0
	s_and_saveexec_b64 s[28:29], s[2:3]
	s_cbranch_execz .LBB210_204
; %bb.203:                              ;   in Loop: Header=BB210_147 Depth=1
	v_and_b32_e32 v31, 7, v30
	v_ffbh_u32_e32 v32, v31
	v_min_u32_e32 v37, 32, v32
	v_subrev_u32_e32 v32, 28, v37
	v_lshlrev_b64 v[32:33], v32, v[30:31]
	v_lshrrev_b32_e32 v36, 3, v14
	v_sub_u32_e32 v33, 29, v37
	v_and_b32_e32 v32, 7, v32
	v_cmp_gt_u32_e64 s[2:3], 8, v14
	v_cndmask_b32_e64 v14, v36, v33, s[2:3]
	v_cndmask_b32_e64 v31, v31, v32, s[2:3]
	v_lshlrev_b32_e32 v31, 20, v31
	v_and_b32_sdwa v32, sext(v30), s5 dst_sel:DWORD dst_unused:UNUSED_PAD src0_sel:BYTE_0 src1_sel:DWORD
	v_lshl_add_u32 v14, v14, 23, v48
	v_or3_b32 v14, v32, v14, v31
	v_pk_mov_b32 v[32:33], v[14:15], v[14:15] op_sel:[0,1]
.LBB210_204:                            ;   in Loop: Header=BB210_147 Depth=1
	s_or_b64 exec, exec, s[28:29]
.LBB210_205:                            ;   in Loop: Header=BB210_147 Depth=1
	s_or_b64 exec, exec, s[26:27]
.LBB210_206:                            ;   in Loop: Header=BB210_147 Depth=1
	s_or_b64 exec, exec, s[24:25]
	v_cmp_ne_u16_sdwa s[2:3], v30, v15 src0_sel:BYTE_1 src1_sel:DWORD
	s_and_saveexec_b64 s[24:25], s[2:3]
	s_cbranch_execz .LBB210_212
; %bb.207:                              ;   in Loop: Header=BB210_147 Depth=1
	v_cmp_ne_u16_sdwa s[2:3], v30, s36 src0_sel:BYTE_1 src1_sel:DWORD
	v_pk_mov_b32 v[34:35], s[4:5], s[4:5] op_sel:[0,1]
	s_and_saveexec_b64 s[26:27], s[2:3]
	s_cbranch_execz .LBB210_211
; %bb.208:                              ;   in Loop: Header=BB210_147 Depth=1
	v_and_b32_sdwa v31, v30, s38 dst_sel:DWORD dst_unused:UNUSED_PAD src0_sel:BYTE_1 src1_sel:DWORD
	s_mov_b32 s6, s4
	v_cmp_ne_u32_e64 s[2:3], s38, v31
	v_pk_mov_b32 v[34:35], s[6:7], s[6:7] op_sel:[0,1]
	s_and_saveexec_b64 s[28:29], s[2:3]
	s_cbranch_execz .LBB210_210
; %bb.209:                              ;   in Loop: Header=BB210_147 Depth=1
	v_and_b32_sdwa v14, v30, v49 dst_sel:DWORD dst_unused:UNUSED_PAD src0_sel:BYTE_1 src1_sel:DWORD
	v_ffbh_u32_e32 v34, v14
	v_min_u32_e32 v37, 32, v34
	v_subrev_u32_e32 v34, 28, v37
	v_lshlrev_b64 v[34:35], v34, v[14:15]
	v_lshrrev_b32_e32 v36, 3, v31
	v_sub_u32_e32 v35, 29, v37
	v_cmp_gt_u32_e64 s[2:3], 8, v31
	v_and_b32_e32 v34, 7, v34
	v_cndmask_b32_e64 v31, v36, v35, s[2:3]
	v_cndmask_b32_e64 v14, v14, v34, s[2:3]
	v_lshlrev_b32_e32 v34, 16, v30
	v_lshl_add_u32 v31, v31, 23, v48
	v_and_or_b32 v31, v34, s5, v31
	v_lshlrev_b32_e32 v14, 20, v14
	v_or_b32_e32 v35, v31, v14
	v_mov_b32_e32 v34, v15
.LBB210_210:                            ;   in Loop: Header=BB210_147 Depth=1
	s_or_b64 exec, exec, s[28:29]
.LBB210_211:                            ;   in Loop: Header=BB210_147 Depth=1
	s_or_b64 exec, exec, s[26:27]
.LBB210_212:                            ;   in Loop: Header=BB210_147 Depth=1
	s_or_b64 exec, exec, s[24:25]
	v_lshrrev_b32_e32 v14, 16, v30
	v_pk_mov_b32 v[38:39], 0, 0
	v_cmp_ne_u16_sdwa s[2:3], v14, v15 src0_sel:BYTE_0 src1_sel:DWORD
	v_pk_mov_b32 v[36:37], v[38:39], v[38:39] op_sel:[0,1]
	s_and_saveexec_b64 s[24:25], s[2:3]
	s_cbranch_execz .LBB210_218
; %bb.213:                              ;   in Loop: Header=BB210_147 Depth=1
	v_bfrev_b32_e32 v36, 1
	v_cmp_ne_u16_sdwa s[2:3], v14, s36 src0_sel:BYTE_0 src1_sel:DWORD
	v_mov_b32_e32 v37, 0
	s_and_saveexec_b64 s[26:27], s[2:3]
	s_cbranch_execz .LBB210_217
; %bb.214:                              ;   in Loop: Header=BB210_147 Depth=1
	v_bfe_u32 v31, v30, 16, 7
	v_mov_b32_e32 v36, 0x7f800001
	v_cmp_ne_u32_e64 s[2:3], s38, v31
	v_mov_b32_e32 v37, 0
	s_and_saveexec_b64 s[28:29], s[2:3]
	s_cbranch_execz .LBB210_216
; %bb.215:                              ;   in Loop: Header=BB210_147 Depth=1
	v_and_b32_e32 v40, 7, v14
	v_ffbh_u32_e32 v36, v40
	v_min_u32_e32 v55, 32, v36
	v_subrev_u32_e32 v36, 28, v55
	v_lshlrev_b64 v[36:37], v36, v[14:15]
	v_lshrrev_b32_e32 v41, 3, v31
	v_sub_u32_e32 v37, 29, v55
	v_and_b32_e32 v36, 7, v36
	v_cmp_gt_u32_e64 s[2:3], 8, v31
	v_cndmask_b32_e64 v31, v41, v37, s[2:3]
	v_cndmask_b32_e64 v36, v40, v36, s[2:3]
	v_lshlrev_b32_e32 v36, 20, v36
	v_and_b32_sdwa v14, sext(v14), s5 dst_sel:DWORD dst_unused:UNUSED_PAD src0_sel:BYTE_0 src1_sel:DWORD
	v_lshl_add_u32 v31, v31, 23, v48
	v_or3_b32 v14, v14, v31, v36
	v_pk_mov_b32 v[36:37], v[14:15], v[14:15] op_sel:[0,1]
.LBB210_216:                            ;   in Loop: Header=BB210_147 Depth=1
	s_or_b64 exec, exec, s[28:29]
.LBB210_217:                            ;   in Loop: Header=BB210_147 Depth=1
	s_or_b64 exec, exec, s[26:27]
.LBB210_218:                            ;   in Loop: Header=BB210_147 Depth=1
	s_or_b64 exec, exec, s[24:25]
	v_cmp_lt_u32_e64 s[2:3], s39, v30
	s_and_saveexec_b64 s[24:25], s[2:3]
	s_cbranch_execz .LBB210_224
; %bb.219:                              ;   in Loop: Header=BB210_147 Depth=1
	v_cmp_ne_u32_sdwa s[2:3], v30, s36 src0_sel:BYTE_3 src1_sel:DWORD
	v_pk_mov_b32 v[38:39], s[4:5], s[4:5] op_sel:[0,1]
	s_and_saveexec_b64 s[26:27], s[2:3]
	s_cbranch_execz .LBB210_223
; %bb.220:                              ;   in Loop: Header=BB210_147 Depth=1
	v_bfe_u32 v31, v30, 24, 7
	s_mov_b32 s6, s4
	v_cmp_ne_u32_e64 s[2:3], s38, v31
	v_pk_mov_b32 v[38:39], s[6:7], s[6:7] op_sel:[0,1]
	s_and_saveexec_b64 s[28:29], s[2:3]
	s_cbranch_execz .LBB210_222
; %bb.221:                              ;   in Loop: Header=BB210_147 Depth=1
	v_and_b32_sdwa v14, v30, v49 dst_sel:DWORD dst_unused:UNUSED_PAD src0_sel:BYTE_3 src1_sel:DWORD
	v_ffbh_u32_e32 v38, v14
	v_min_u32_e32 v41, 32, v38
	v_subrev_u32_e32 v38, 28, v41
	v_lshlrev_b64 v[38:39], v38, v[14:15]
	v_lshrrev_b32_e32 v40, 3, v31
	v_sub_u32_e32 v39, 29, v41
	v_cmp_gt_u32_e64 s[2:3], 8, v31
	v_and_b32_e32 v38, 7, v38
	v_cndmask_b32_e64 v31, v40, v39, s[2:3]
	v_cndmask_b32_e64 v14, v14, v38, s[2:3]
	v_lshlrev_b32_sdwa v30, v50, v30 dst_sel:DWORD dst_unused:UNUSED_PAD src0_sel:DWORD src1_sel:BYTE_3
	v_lshl_add_u32 v31, v31, 23, v48
	v_and_or_b32 v30, v30, s5, v31
	v_lshlrev_b32_e32 v14, 20, v14
	v_or_b32_e32 v39, v30, v14
	v_mov_b32_e32 v38, v15
.LBB210_222:                            ;   in Loop: Header=BB210_147 Depth=1
	s_or_b64 exec, exec, s[28:29]
.LBB210_223:                            ;   in Loop: Header=BB210_147 Depth=1
	s_or_b64 exec, exec, s[26:27]
.LBB210_224:                            ;   in Loop: Header=BB210_147 Depth=1
	s_or_b64 exec, exec, s[24:25]
	v_or_b32_e32 v31, v35, v33
	v_or_b32_e32 v30, v34, v32
	;; [unrolled: 1-line block ×4, first 2 shown]
	v_pk_mul_f32 v[30:31], s[22:23], v[30:31]
	v_pk_mul_f32 v[32:33], s[22:23], v[32:33]
	s_and_saveexec_b64 s[24:25], vcc
; %bb.225:                              ;   in Loop: Header=BB210_147 Depth=1
	v_cmp_gt_i32_e64 s[2:3], s33, v51
	v_cndmask_b32_e64 v30, 0, v30, s[2:3]
	v_cmp_gt_i32_e64 s[2:3], s33, v54
	v_cndmask_b32_e64 v31, 0, v31, s[2:3]
	;; [unrolled: 2-line block ×4, first 2 shown]
; %bb.226:                              ;   in Loop: Header=BB210_147 Depth=1
	s_or_b64 exec, exec, s[24:25]
	global_load_dword v24, v[24:25], off offset:768
	v_pk_mov_b32 v[36:37], 0, 0
	v_pk_mov_b32 v[34:35], v[36:37], v[36:37] op_sel:[0,1]
	s_waitcnt vmcnt(0)
	v_cmp_ne_u16_sdwa s[2:3], v24, v15 src0_sel:BYTE_0 src1_sel:DWORD
	s_and_saveexec_b64 s[24:25], s[2:3]
	s_cbranch_execz .LBB210_232
; %bb.227:                              ;   in Loop: Header=BB210_147 Depth=1
	v_bfrev_b32_e32 v34, 1
	v_cmp_ne_u16_sdwa s[2:3], v24, s36 src0_sel:BYTE_0 src1_sel:DWORD
	v_mov_b32_e32 v35, 0
	s_and_saveexec_b64 s[26:27], s[2:3]
	s_cbranch_execz .LBB210_231
; %bb.228:                              ;   in Loop: Header=BB210_147 Depth=1
	v_and_b32_e32 v14, 0x7f, v24
	v_mov_b32_e32 v34, 0x7f800001
	v_cmp_ne_u32_e64 s[2:3], s38, v14
	v_mov_b32_e32 v35, 0
	s_and_saveexec_b64 s[28:29], s[2:3]
	s_cbranch_execz .LBB210_230
; %bb.229:                              ;   in Loop: Header=BB210_147 Depth=1
	v_and_b32_e32 v25, 7, v24
	v_ffbh_u32_e32 v34, v25
	v_min_u32_e32 v39, 32, v34
	v_subrev_u32_e32 v34, 28, v39
	v_lshlrev_b64 v[34:35], v34, v[24:25]
	v_lshrrev_b32_e32 v38, 3, v14
	v_sub_u32_e32 v35, 29, v39
	v_and_b32_e32 v34, 7, v34
	v_cmp_gt_u32_e64 s[2:3], 8, v14
	v_cndmask_b32_e64 v14, v38, v35, s[2:3]
	v_cndmask_b32_e64 v25, v25, v34, s[2:3]
	v_lshlrev_b32_e32 v25, 20, v25
	v_and_b32_sdwa v34, sext(v24), s5 dst_sel:DWORD dst_unused:UNUSED_PAD src0_sel:BYTE_0 src1_sel:DWORD
	v_lshl_add_u32 v14, v14, 23, v48
	v_or3_b32 v14, v34, v14, v25
	v_pk_mov_b32 v[34:35], v[14:15], v[14:15] op_sel:[0,1]
.LBB210_230:                            ;   in Loop: Header=BB210_147 Depth=1
	s_or_b64 exec, exec, s[28:29]
.LBB210_231:                            ;   in Loop: Header=BB210_147 Depth=1
	s_or_b64 exec, exec, s[26:27]
.LBB210_232:                            ;   in Loop: Header=BB210_147 Depth=1
	s_or_b64 exec, exec, s[24:25]
	v_cmp_ne_u16_sdwa s[2:3], v24, v15 src0_sel:BYTE_1 src1_sel:DWORD
	s_and_saveexec_b64 s[24:25], s[2:3]
	s_cbranch_execz .LBB210_238
; %bb.233:                              ;   in Loop: Header=BB210_147 Depth=1
	v_cmp_ne_u16_sdwa s[2:3], v24, s36 src0_sel:BYTE_1 src1_sel:DWORD
	v_pk_mov_b32 v[36:37], s[4:5], s[4:5] op_sel:[0,1]
	s_and_saveexec_b64 s[26:27], s[2:3]
	s_cbranch_execz .LBB210_237
; %bb.234:                              ;   in Loop: Header=BB210_147 Depth=1
	v_and_b32_sdwa v25, v24, s38 dst_sel:DWORD dst_unused:UNUSED_PAD src0_sel:BYTE_1 src1_sel:DWORD
	s_mov_b32 s6, s4
	v_cmp_ne_u32_e64 s[2:3], s38, v25
	v_pk_mov_b32 v[36:37], s[6:7], s[6:7] op_sel:[0,1]
	s_and_saveexec_b64 s[28:29], s[2:3]
	s_cbranch_execz .LBB210_236
; %bb.235:                              ;   in Loop: Header=BB210_147 Depth=1
	v_and_b32_sdwa v14, v24, v49 dst_sel:DWORD dst_unused:UNUSED_PAD src0_sel:BYTE_1 src1_sel:DWORD
	v_ffbh_u32_e32 v36, v14
	v_min_u32_e32 v39, 32, v36
	v_subrev_u32_e32 v36, 28, v39
	v_lshlrev_b64 v[36:37], v36, v[14:15]
	v_lshrrev_b32_e32 v38, 3, v25
	v_sub_u32_e32 v37, 29, v39
	v_cmp_gt_u32_e64 s[2:3], 8, v25
	v_and_b32_e32 v36, 7, v36
	v_cndmask_b32_e64 v25, v38, v37, s[2:3]
	v_cndmask_b32_e64 v14, v14, v36, s[2:3]
	v_lshlrev_b32_e32 v36, 16, v24
	v_lshl_add_u32 v25, v25, 23, v48
	v_and_or_b32 v25, v36, s5, v25
	v_lshlrev_b32_e32 v14, 20, v14
	v_or_b32_e32 v37, v25, v14
	v_mov_b32_e32 v36, v15
.LBB210_236:                            ;   in Loop: Header=BB210_147 Depth=1
	s_or_b64 exec, exec, s[28:29]
.LBB210_237:                            ;   in Loop: Header=BB210_147 Depth=1
	s_or_b64 exec, exec, s[26:27]
.LBB210_238:                            ;   in Loop: Header=BB210_147 Depth=1
	s_or_b64 exec, exec, s[24:25]
	v_lshrrev_b32_e32 v14, 16, v24
	v_pk_mov_b32 v[40:41], 0, 0
	v_cmp_ne_u16_sdwa s[2:3], v14, v15 src0_sel:BYTE_0 src1_sel:DWORD
	v_pk_mov_b32 v[38:39], v[40:41], v[40:41] op_sel:[0,1]
	s_and_saveexec_b64 s[24:25], s[2:3]
	s_cbranch_execz .LBB210_244
; %bb.239:                              ;   in Loop: Header=BB210_147 Depth=1
	v_bfrev_b32_e32 v38, 1
	v_cmp_ne_u16_sdwa s[2:3], v14, s36 src0_sel:BYTE_0 src1_sel:DWORD
	v_mov_b32_e32 v39, 0
	s_and_saveexec_b64 s[26:27], s[2:3]
	s_cbranch_execz .LBB210_243
; %bb.240:                              ;   in Loop: Header=BB210_147 Depth=1
	v_bfe_u32 v25, v24, 16, 7
	v_mov_b32_e32 v38, 0x7f800001
	v_cmp_ne_u32_e64 s[2:3], s38, v25
	v_mov_b32_e32 v39, 0
	s_and_saveexec_b64 s[28:29], s[2:3]
	s_cbranch_execz .LBB210_242
; %bb.241:                              ;   in Loop: Header=BB210_147 Depth=1
	v_and_b32_e32 v55, 7, v14
	v_ffbh_u32_e32 v38, v55
	v_min_u32_e32 v57, 32, v38
	v_subrev_u32_e32 v38, 28, v57
	v_lshlrev_b64 v[38:39], v38, v[14:15]
	v_lshrrev_b32_e32 v56, 3, v25
	v_sub_u32_e32 v39, 29, v57
	v_and_b32_e32 v38, 7, v38
	v_cmp_gt_u32_e64 s[2:3], 8, v25
	v_cndmask_b32_e64 v25, v56, v39, s[2:3]
	v_cndmask_b32_e64 v38, v55, v38, s[2:3]
	v_lshlrev_b32_e32 v38, 20, v38
	v_and_b32_sdwa v14, sext(v14), s5 dst_sel:DWORD dst_unused:UNUSED_PAD src0_sel:BYTE_0 src1_sel:DWORD
	v_lshl_add_u32 v25, v25, 23, v48
	v_or3_b32 v14, v14, v25, v38
	v_pk_mov_b32 v[38:39], v[14:15], v[14:15] op_sel:[0,1]
.LBB210_242:                            ;   in Loop: Header=BB210_147 Depth=1
	s_or_b64 exec, exec, s[28:29]
.LBB210_243:                            ;   in Loop: Header=BB210_147 Depth=1
	s_or_b64 exec, exec, s[26:27]
.LBB210_244:                            ;   in Loop: Header=BB210_147 Depth=1
	s_or_b64 exec, exec, s[24:25]
	v_cmp_lt_u32_e64 s[2:3], s39, v24
	s_and_saveexec_b64 s[24:25], s[2:3]
	s_cbranch_execz .LBB210_250
; %bb.245:                              ;   in Loop: Header=BB210_147 Depth=1
	v_cmp_ne_u32_sdwa s[2:3], v24, s36 src0_sel:BYTE_3 src1_sel:DWORD
	v_pk_mov_b32 v[40:41], s[4:5], s[4:5] op_sel:[0,1]
	s_and_saveexec_b64 s[26:27], s[2:3]
	s_cbranch_execz .LBB210_249
; %bb.246:                              ;   in Loop: Header=BB210_147 Depth=1
	v_bfe_u32 v25, v24, 24, 7
	s_mov_b32 s6, s4
	v_cmp_ne_u32_e64 s[2:3], s38, v25
	v_pk_mov_b32 v[40:41], s[6:7], s[6:7] op_sel:[0,1]
	s_and_saveexec_b64 s[28:29], s[2:3]
	s_cbranch_execz .LBB210_248
; %bb.247:                              ;   in Loop: Header=BB210_147 Depth=1
	v_and_b32_sdwa v14, v24, v49 dst_sel:DWORD dst_unused:UNUSED_PAD src0_sel:BYTE_3 src1_sel:DWORD
	v_ffbh_u32_e32 v40, v14
	v_min_u32_e32 v56, 32, v40
	v_subrev_u32_e32 v40, 28, v56
	v_lshlrev_b64 v[40:41], v40, v[14:15]
	v_lshrrev_b32_e32 v55, 3, v25
	v_sub_u32_e32 v41, 29, v56
	v_cmp_gt_u32_e64 s[2:3], 8, v25
	v_and_b32_e32 v40, 7, v40
	v_cndmask_b32_e64 v25, v55, v41, s[2:3]
	v_cndmask_b32_e64 v14, v14, v40, s[2:3]
	v_lshlrev_b32_sdwa v24, v50, v24 dst_sel:DWORD dst_unused:UNUSED_PAD src0_sel:DWORD src1_sel:BYTE_3
	v_lshl_add_u32 v25, v25, 23, v48
	v_and_or_b32 v24, v24, s5, v25
	v_lshlrev_b32_e32 v14, 20, v14
	v_or_b32_e32 v41, v24, v14
	v_mov_b32_e32 v40, v15
.LBB210_248:                            ;   in Loop: Header=BB210_147 Depth=1
	s_or_b64 exec, exec, s[28:29]
.LBB210_249:                            ;   in Loop: Header=BB210_147 Depth=1
	s_or_b64 exec, exec, s[26:27]
.LBB210_250:                            ;   in Loop: Header=BB210_147 Depth=1
	s_or_b64 exec, exec, s[24:25]
	v_or_b32_e32 v25, v37, v35
	v_or_b32_e32 v24, v36, v34
	v_or_b32_e32 v35, v41, v39
	v_or_b32_e32 v34, v40, v38
	v_pk_mul_f32 v[24:25], s[22:23], v[24:25]
	v_pk_mul_f32 v[34:35], s[22:23], v[34:35]
	s_and_saveexec_b64 s[2:3], vcc
	s_cbranch_execz .LBB210_145
; %bb.251:                              ;   in Loop: Header=BB210_147 Depth=1
	v_cmp_gt_i32_e32 vcc, s33, v51
	v_cndmask_b32_e32 v24, 0, v24, vcc
	v_cmp_gt_i32_e32 vcc, s33, v54
	v_cndmask_b32_e32 v25, 0, v25, vcc
	;; [unrolled: 2-line block ×4, first 2 shown]
	s_branch .LBB210_145
.LBB210_252:
	s_or_b64 exec, exec, s[16:17]
.LBB210_253:
	s_or_b64 exec, exec, s[12:13]
	ds_bpermute_b32 v6, v45, v2
	ds_bpermute_b32 v7, v45, v3
	;; [unrolled: 1-line block ×4, first 2 shown]
	v_and_b32_e32 v0, 0x3c3, v0
	v_cmp_eq_u32_e32 vcc, 64, v0
	s_waitcnt lgkmcnt(2)
	v_pk_add_f32 v[2:3], v[2:3], v[6:7]
	ds_bpermute_b32 v6, v44, v2
	s_waitcnt lgkmcnt(1)
	v_pk_add_f32 v[4:5], v[4:5], v[8:9]
	ds_bpermute_b32 v7, v44, v3
	ds_bpermute_b32 v8, v44, v4
	;; [unrolled: 1-line block ×3, first 2 shown]
	s_waitcnt lgkmcnt(0)
	s_barrier
	v_pk_add_f32 v[2:3], v[2:3], v[6:7]
	v_pk_add_f32 v[4:5], v[4:5], v[8:9]
	s_and_saveexec_b64 s[2:3], vcc
	s_cbranch_execz .LBB210_255
; %bb.254:
	v_add_u32_e32 v6, 0x110, v43
	ds_write2_b32 v6, v2, v3 offset1:16
	ds_write2_b32 v6, v4, v5 offset0:32 offset1:48
.LBB210_255:
	s_or_b64 exec, exec, s[2:3]
	s_waitcnt lgkmcnt(0)
	s_barrier
	s_and_saveexec_b64 s[2:3], s[0:1]
	s_cbranch_execz .LBB210_262
; %bb.256:
	v_cmp_eq_u32_e32 vcc, 0, v18
	s_and_saveexec_b64 s[0:1], vcc
	s_cbranch_execnz .LBB210_265
; %bb.257:
	s_or_b64 exec, exec, s[0:1]
	s_and_saveexec_b64 s[0:1], vcc
	s_cbranch_execnz .LBB210_266
.LBB210_258:
	s_or_b64 exec, exec, s[0:1]
	s_and_saveexec_b64 s[0:1], vcc
	s_cbranch_execnz .LBB210_267
.LBB210_259:
	s_or_b64 exec, exec, s[0:1]
	s_and_saveexec_b64 s[0:1], vcc
	s_cbranch_execz .LBB210_261
.LBB210_260:
	v_mov_b32_e32 v6, 0x110
	v_lshl_add_u32 v6, v19, 2, v6
	ds_read_b32 v6, v6 offset:192
	s_waitcnt lgkmcnt(0)
	v_add_f32_e32 v5, v5, v6
.LBB210_261:
	s_or_b64 exec, exec, s[0:1]
.LBB210_262:
	s_or_b64 exec, exec, s[2:3]
	v_cmp_eq_u32_e32 vcc, 0, v0
	s_barrier
	s_and_saveexec_b64 s[0:1], vcc
	s_cbranch_execz .LBB210_264
; %bb.263:
	s_lshl_b32 s0, s10, 6
	s_ashr_i32 s1, s0, 31
	s_lshl_b64 s[0:1], s[0:1], 2
	s_add_u32 s2, s34, s0
	s_mul_i32 s0, s15, s14
	s_addc_u32 s3, s35, s1
	s_ashr_i32 s1, s0, 31
	s_lshl_b64 s[0:1], s[0:1], 2
	s_add_u32 s2, s2, s0
	s_addc_u32 s3, s3, s1
	s_lshl_b32 s0, s8, 6
	s_ashr_i32 s1, s0, 31
	s_lshl_b64 s[0:1], s[0:1], 2
	s_add_u32 s0, s2, s0
	s_addc_u32 s1, s3, s1
	global_store_dword v1, v2, s[0:1]
	global_store_dword v1, v3, s[0:1] offset:64
	global_store_dword v1, v4, s[0:1] offset:128
	;; [unrolled: 1-line block ×3, first 2 shown]
.LBB210_264:
	s_endpgm
.LBB210_265:
	v_mov_b32_e32 v6, 0x110
	v_lshl_add_u32 v6, v19, 2, v6
	ds_read_b32 v6, v6
	s_waitcnt lgkmcnt(0)
	v_add_f32_e32 v2, v2, v6
	s_or_b64 exec, exec, s[0:1]
	s_and_saveexec_b64 s[0:1], vcc
	s_cbranch_execz .LBB210_258
.LBB210_266:
	v_mov_b32_e32 v6, 0x110
	v_lshl_add_u32 v6, v19, 2, v6
	ds_read_b32 v6, v6 offset:64
	s_waitcnt lgkmcnt(0)
	v_add_f32_e32 v3, v3, v6
	s_or_b64 exec, exec, s[0:1]
	s_and_saveexec_b64 s[0:1], vcc
	s_cbranch_execz .LBB210_259
.LBB210_267:
	v_mov_b32_e32 v6, 0x110
	v_lshl_add_u32 v6, v19, 2, v6
	ds_read_b32 v6, v6 offset:128
	s_waitcnt lgkmcnt(0)
	v_add_f32_e32 v4, v4, v6
	s_or_b64 exec, exec, s[0:1]
	s_and_saveexec_b64 s[0:1], vcc
	s_cbranch_execnz .LBB210_260
	s_branch .LBB210_261
	.section	.rodata,"a",@progbits
	.p2align	6, 0x0
	.amdhsa_kernel _ZN4vllm25paged_attention_v2_kernelIfhLi64ELi16ELi128ELNS_18Fp8KVCacheDataTypeE1ELb1ELi512EEEvPfS2_PT_PKS3_PKT0_S9_ifPKiSB_iPKfiiiSD_SD_iiiii
		.amdhsa_group_segment_fixed_size 272
		.amdhsa_private_segment_fixed_size 0
		.amdhsa_kernarg_size 400
		.amdhsa_user_sgpr_count 6
		.amdhsa_user_sgpr_private_segment_buffer 1
		.amdhsa_user_sgpr_dispatch_ptr 0
		.amdhsa_user_sgpr_queue_ptr 0
		.amdhsa_user_sgpr_kernarg_segment_ptr 1
		.amdhsa_user_sgpr_dispatch_id 0
		.amdhsa_user_sgpr_flat_scratch_init 0
		.amdhsa_user_sgpr_kernarg_preload_length 0
		.amdhsa_user_sgpr_kernarg_preload_offset 0
		.amdhsa_user_sgpr_private_segment_size 0
		.amdhsa_uses_dynamic_stack 0
		.amdhsa_system_sgpr_private_segment_wavefront_offset 0
		.amdhsa_system_sgpr_workgroup_id_x 1
		.amdhsa_system_sgpr_workgroup_id_y 1
		.amdhsa_system_sgpr_workgroup_id_z 1
		.amdhsa_system_sgpr_workgroup_info 0
		.amdhsa_system_vgpr_workitem_id 0
		.amdhsa_next_free_vgpr 66
		.amdhsa_next_free_sgpr 65
		.amdhsa_accum_offset 68
		.amdhsa_reserve_vcc 1
		.amdhsa_reserve_flat_scratch 0
		.amdhsa_float_round_mode_32 0
		.amdhsa_float_round_mode_16_64 0
		.amdhsa_float_denorm_mode_32 3
		.amdhsa_float_denorm_mode_16_64 3
		.amdhsa_dx10_clamp 1
		.amdhsa_ieee_mode 1
		.amdhsa_fp16_overflow 0
		.amdhsa_tg_split 0
		.amdhsa_exception_fp_ieee_invalid_op 0
		.amdhsa_exception_fp_denorm_src 0
		.amdhsa_exception_fp_ieee_div_zero 0
		.amdhsa_exception_fp_ieee_overflow 0
		.amdhsa_exception_fp_ieee_underflow 0
		.amdhsa_exception_fp_ieee_inexact 0
		.amdhsa_exception_int_div_zero 0
	.end_amdhsa_kernel
	.section	.text._ZN4vllm25paged_attention_v2_kernelIfhLi64ELi16ELi128ELNS_18Fp8KVCacheDataTypeE1ELb1ELi512EEEvPfS2_PT_PKS3_PKT0_S9_ifPKiSB_iPKfiiiSD_SD_iiiii,"axG",@progbits,_ZN4vllm25paged_attention_v2_kernelIfhLi64ELi16ELi128ELNS_18Fp8KVCacheDataTypeE1ELb1ELi512EEEvPfS2_PT_PKS3_PKT0_S9_ifPKiSB_iPKfiiiSD_SD_iiiii,comdat
.Lfunc_end210:
	.size	_ZN4vllm25paged_attention_v2_kernelIfhLi64ELi16ELi128ELNS_18Fp8KVCacheDataTypeE1ELb1ELi512EEEvPfS2_PT_PKS3_PKT0_S9_ifPKiSB_iPKfiiiSD_SD_iiiii, .Lfunc_end210-_ZN4vllm25paged_attention_v2_kernelIfhLi64ELi16ELi128ELNS_18Fp8KVCacheDataTypeE1ELb1ELi512EEEvPfS2_PT_PKS3_PKT0_S9_ifPKiSB_iPKfiiiSD_SD_iiiii
                                        ; -- End function
	.section	.AMDGPU.csdata,"",@progbits
; Kernel info:
; codeLenInByte = 10532
; NumSgprs: 69
; NumVgprs: 66
; NumAgprs: 0
; TotalNumVgprs: 66
; ScratchSize: 0
; MemoryBound: 0
; FloatMode: 240
; IeeeMode: 1
; LDSByteSize: 272 bytes/workgroup (compile time only)
; SGPRBlocks: 8
; VGPRBlocks: 8
; NumSGPRsForWavesPerEU: 69
; NumVGPRsForWavesPerEU: 66
; AccumOffset: 68
; Occupancy: 7
; WaveLimiterHint : 1
; COMPUTE_PGM_RSRC2:SCRATCH_EN: 0
; COMPUTE_PGM_RSRC2:USER_SGPR: 6
; COMPUTE_PGM_RSRC2:TRAP_HANDLER: 0
; COMPUTE_PGM_RSRC2:TGID_X_EN: 1
; COMPUTE_PGM_RSRC2:TGID_Y_EN: 1
; COMPUTE_PGM_RSRC2:TGID_Z_EN: 1
; COMPUTE_PGM_RSRC2:TIDIG_COMP_CNT: 0
; COMPUTE_PGM_RSRC3_GFX90A:ACCUM_OFFSET: 16
; COMPUTE_PGM_RSRC3_GFX90A:TG_SPLIT: 0
	.section	.text._ZN4vllm25paged_attention_v2_kernelIfhLi80ELi16ELi128ELNS_18Fp8KVCacheDataTypeE1ELb1ELi512EEEvPfS2_PT_PKS3_PKT0_S9_ifPKiSB_iPKfiiiSD_SD_iiiii,"axG",@progbits,_ZN4vllm25paged_attention_v2_kernelIfhLi80ELi16ELi128ELNS_18Fp8KVCacheDataTypeE1ELb1ELi512EEEvPfS2_PT_PKS3_PKT0_S9_ifPKiSB_iPKfiiiSD_SD_iiiii,comdat
	.protected	_ZN4vllm25paged_attention_v2_kernelIfhLi80ELi16ELi128ELNS_18Fp8KVCacheDataTypeE1ELb1ELi512EEEvPfS2_PT_PKS3_PKT0_S9_ifPKiSB_iPKfiiiSD_SD_iiiii ; -- Begin function _ZN4vllm25paged_attention_v2_kernelIfhLi80ELi16ELi128ELNS_18Fp8KVCacheDataTypeE1ELb1ELi512EEEvPfS2_PT_PKS3_PKT0_S9_ifPKiSB_iPKfiiiSD_SD_iiiii
	.globl	_ZN4vllm25paged_attention_v2_kernelIfhLi80ELi16ELi128ELNS_18Fp8KVCacheDataTypeE1ELb1ELi512EEEvPfS2_PT_PKS3_PKT0_S9_ifPKiSB_iPKfiiiSD_SD_iiiii
	.p2align	8
	.type	_ZN4vllm25paged_attention_v2_kernelIfhLi80ELi16ELi128ELNS_18Fp8KVCacheDataTypeE1ELb1ELi512EEEvPfS2_PT_PKS3_PKT0_S9_ifPKiSB_iPKfiiiSD_SD_iiiii,@function
_ZN4vllm25paged_attention_v2_kernelIfhLi80ELi16ELi128ELNS_18Fp8KVCacheDataTypeE1ELb1ELi512EEEvPfS2_PT_PKS3_PKT0_S9_ifPKiSB_iPKfiiiSD_SD_iiiii: ; @_ZN4vllm25paged_attention_v2_kernelIfhLi80ELi16ELi128ELNS_18Fp8KVCacheDataTypeE1ELb1ELi512EEEvPfS2_PT_PKS3_PKT0_S9_ifPKiSB_iPKfiiiSD_SD_iiiii
; %bb.0:
	s_load_dwordx2 s[0:1], s[4:5], 0x40
	s_mov_b32 s34, s7
	s_ashr_i32 s35, s7, 31
	s_lshl_b64 s[2:3], s[34:35], 2
	s_waitcnt lgkmcnt(0)
	s_add_u32 s0, s0, s2
	s_addc_u32 s1, s1, s3
	s_load_dword s33, s[0:1], 0x0
	s_lshl_b32 s55, s8, 9
	s_waitcnt lgkmcnt(0)
	s_cmp_ge_i32 s55, s33
	s_cbranch_scc1 .LBB211_315
; %bb.1:
	s_load_dword s9, s[4:5], 0x90
	s_load_dwordx2 s[42:43], s[4:5], 0x30
	s_mov_b32 s56, 0
	s_waitcnt lgkmcnt(0)
	s_abs_i32 s2, s9
	s_abs_i32 s0, s42
	v_cvt_f32_u32_e32 v1, s0
	s_sub_i32 s3, 0, s0
	s_xor_b32 s1, s9, s42
	s_ashr_i32 s1, s1, 31
	v_rcp_iflag_f32_e32 v1, v1
	v_mul_f32_e32 v1, 0x4f7ffffe, v1
	v_cvt_u32_f32_e32 v1, v1
	v_readfirstlane_b32 s7, v1
	s_mul_i32 s3, s3, s7
	s_mul_hi_u32 s3, s7, s3
	s_add_i32 s7, s7, s3
	s_mul_hi_u32 s3, s2, s7
	s_mul_i32 s7, s3, s0
	s_sub_i32 s2, s2, s7
	s_add_i32 s10, s3, 1
	s_sub_i32 s7, s2, s0
	s_cmp_ge_u32 s2, s0
	s_cselect_b32 s3, s10, s3
	s_cselect_b32 s2, s7, s2
	s_add_i32 s7, s3, 1
	s_cmp_ge_u32 s2, s0
	s_cselect_b32 s0, s7, s3
	s_xor_b32 s0, s0, s1
	s_sub_i32 s11, s0, s1
	s_abs_i32 s2, s11
	v_cvt_f32_u32_e32 v1, s2
	s_load_dwordx2 s[0:1], s[4:5], 0x50
	s_sub_i32 s7, 0, s2
	s_abs_i32 s3, s6
	v_rcp_iflag_f32_e32 v1, v1
	v_mul_f32_e32 v1, 0x4f7ffffe, v1
	v_cvt_u32_f32_e32 v1, v1
	v_readfirstlane_b32 s10, v1
	s_mul_i32 s7, s7, s10
	s_mul_hi_u32 s7, s10, s7
	s_add_i32 s10, s10, s7
	s_waitcnt lgkmcnt(0)
	s_cmp_eq_u64 s[0:1], 0
	s_mul_hi_u32 s10, s3, s10
	s_cbranch_scc1 .LBB211_3
; %bb.2:
	s_ashr_i32 s7, s6, 31
	s_lshl_b64 s[12:13], s[6:7], 2
	s_add_u32 s0, s0, s12
	s_addc_u32 s1, s1, s13
	s_load_dword s56, s[0:1], 0x0
.LBB211_3:
	s_load_dwordx4 s[12:15], s[4:5], 0x58
	v_lshrrev_b32_e32 v23, 2, v0
	s_waitcnt lgkmcnt(0)
	s_movk_i32 s15, 0x50
	s_ashr_i32 s7, s6, 31
	s_ashr_i32 s11, s11, 31
	v_and_b32_e32 v22, 3, v0
	s_mul_i32 s28, s6, 0x50
	v_cmp_gt_u32_e32 vcc, s15, v0
	v_lshlrev_b32_e32 v35, 2, v0
	v_lshlrev_b32_e32 v1, 2, v23
	s_and_saveexec_b64 s[0:1], vcc
	s_cbranch_execz .LBB211_5
; %bb.4:
	s_load_dwordx2 s[16:17], s[4:5], 0x18
	s_mul_i32 s18, s34, s12
	s_ashr_i32 s19, s18, 31
	s_lshl_b64 s[18:19], s[18:19], 2
	v_mad_u32_u24 v3, v22, s15, v1
	s_waitcnt lgkmcnt(0)
	s_add_u32 s12, s16, s18
	s_addc_u32 s18, s17, s19
	s_ashr_i32 s29, s28, 31
	s_lshl_b64 s[16:17], s[28:29], 2
	s_add_u32 s16, s12, s16
	s_addc_u32 s17, s18, s17
	global_load_dword v2, v35, s[16:17]
	s_waitcnt vmcnt(0)
	ds_write_b32 v3, v2
.LBB211_5:
	s_or_b64 exec, exec, s[0:1]
	s_mul_i32 s1, s10, s2
	s_sub_i32 s1, s3, s1
	s_xor_b32 s0, s7, s11
	s_add_i32 s3, s10, 1
	s_sub_i32 s7, s1, s2
	s_load_dwordx4 s[20:23], s[4:5], 0x78
	s_cmp_ge_u32 s1, s2
	s_cselect_b32 s3, s3, s10
	s_load_dword s10, s[4:5], 0x88
	s_cselect_b32 s1, s7, s1
	s_add_i32 s7, s3, 1
	s_cmp_ge_u32 s1, s2
	s_cselect_b32 s1, s7, s3
	s_waitcnt lgkmcnt(0)
	s_abs_i32 s35, s23
	v_cvt_f32_u32_e32 v2, s35
	s_xor_b32 s1, s1, s0
	s_sub_i32 s2, s1, s0
	s_sub_i32 s0, 0, s35
	v_rcp_iflag_f32_e32 v2, v2
	s_add_i32 s11, s33, -1
	s_abs_i32 s3, s11
	v_mul_f32_e32 v2, 0x4f7ffffe, v2
	v_cvt_u32_f32_e32 v2, v2
	s_barrier
	v_readfirstlane_b32 s52, v2
	s_mul_i32 s0, s0, s52
	s_mul_hi_u32 s0, s52, s0
	s_add_i32 s52, s52, s0
	s_cmp_lt_i32 s10, 0
	s_mul_hi_u32 s7, s3, s52
	s_cbranch_scc0 .LBB211_7
; %bb.6:
	s_mul_i32 s0, s20, s42
	s_add_i32 s0, s2, s0
	s_mul_i32 s0, s0, s10
	s_sub_i32 s42, 1, s0
	s_mov_b64 s[0:1], 0
	s_branch .LBB211_8
.LBB211_7:
	s_mov_b64 s[0:1], -1
                                        ; implicit-def: $sgpr42
.LBB211_8:
	s_load_dwordx2 s[36:37], s[4:5], 0x38
	s_ashr_i32 s11, s11, 31
	s_andn2_b64 vcc, exec, s[0:1]
	s_ashr_i32 s53, s23, 31
	s_cbranch_vccnz .LBB211_10
; %bb.9:
	s_mul_i32 s0, s9, s20
	s_add_i32 s0, s0, s6
	s_mul_i32 s0, s0, s10
	s_add_i32 s42, s0, 1
.LBB211_10:
	s_load_dwordx2 s[40:41], s[4:5], 0x28
	s_load_dword s0, s[4:5], 0x48
	s_load_dwordx4 s[24:27], s[4:5], 0x0
	s_load_dwordx2 s[30:31], s[4:5], 0x10
	s_load_dword s29, s[4:5], 0x98
	s_load_dwordx4 s[16:19], s[4:5], 0x68
	s_mul_i32 s1, s7, s35
	s_waitcnt lgkmcnt(0)
	s_mul_i32 s38, s34, s0
	s_sub_i32 s1, s3, s1
	s_ashr_i32 s39, s38, 31
	s_xor_b32 s0, s11, s53
	s_add_i32 s3, s7, 1
	s_sub_i32 s10, s1, s35
	s_cmp_ge_u32 s1, s35
	s_cselect_b32 s3, s3, s7
	s_cselect_b32 s1, s10, s1
	s_add_i32 s7, s3, 1
	s_cmp_ge_u32 s1, s35
	s_cselect_b32 s1, s7, s3
	s_xor_b32 s1, s1, s0
	s_sub_i32 s20, s1, s0
	s_add_i32 s0, s33, 15
	s_ashr_i32 s1, s0, 31
	s_lshr_b32 s1, s1, 28
	s_add_i32 s0, s0, s1
	s_lshl_b32 s12, s8, 5
	s_ashr_i32 s7, s0, 4
	s_add_i32 s0, s12, 32
	v_lshrrev_b32_e32 v36, 6, v0
	s_min_i32 s54, s0, s7
	v_or_b32_e32 v24, s12, v36
	v_cmp_gt_i32_e64 s[0:1], s54, v24
	v_mov_b32_e32 v40, 0xff7fffff
	s_mul_i32 s23, s2, s14
	v_ashrrev_i32_e32 v25, 31, v24
	v_lshl_add_u32 v48, v36, 4, s55
	v_mbcnt_lo_u32_b32 v37, -1, 0
	s_and_saveexec_b64 s[14:15], s[0:1]
	s_cbranch_execz .LBB211_140
; %bb.11:
	s_load_dwordx2 s[4:5], s[4:5], 0x20
	s_sub_i32 s57, s20, s21
	s_ashr_i32 s10, s23, 31
	v_bfe_u32 v38, v0, 2, 4
	v_lshlrev_b32_e32 v3, 4, v38
	s_waitcnt lgkmcnt(0)
	s_add_u32 s4, s4, s23
	s_addc_u32 s5, s5, s10
	s_abs_i32 s58, s22
	v_cvt_f32_u32_e32 v2, s58
	s_sub_i32 s10, 0, s58
	v_add_co_u32_e32 v26, vcc, s4, v3
	v_rcp_iflag_f32_e32 v2, v2
	v_mov_b32_e32 v4, s5
	v_addc_co_u32_e32 v27, vcc, 0, v4, vcc
	v_mul_f32_e32 v2, 0x4f7ffffe, v2
	v_cvt_u32_f32_e32 v2, v2
	v_cmp_eq_u32_e64 s[2:3], 0, v22
	s_mov_b32 s59, s13
	v_mul_u32_u24_e32 v39, 0x50, v22
	v_mul_lo_u32 v3, s10, v2
	v_mul_hi_u32 v3, v2, v3
	s_lshl_b64 s[10:11], s[38:39], 2
	v_add_u32_e32 v41, v2, v3
	v_lshlrev_b64 v[2:3], 2, v[24:25]
	s_add_u32 s10, s36, s10
	v_add_co_u32_e32 v28, vcc, s10, v2
	v_lshlrev_b32_e32 v2, 2, v38
	s_addc_u32 s11, s37, s11
	v_lshl_or_b32 v2, v36, 6, v2
	v_mov_b32_e32 v4, s11
	v_add_u32_e32 v43, 0x150, v2
	v_subrev_u32_e32 v2, s33, v38
	v_cmp_neq_f32_e64 s[4:5], s56, 0
	v_addc_co_u32_e32 v29, vcc, v4, v3, vcc
	v_lshl_add_u32 v42, v36, 4, s55
	v_add_u32_e32 v44, 1, v2
	s_mov_b64 s[44:45], 0
	v_mov_b32_e32 v45, 0xff7fffff
	s_movk_i32 s60, 0x80
	s_movk_i32 s61, 0x7f
	v_bfrev_b32_e32 v46, 60
	v_mbcnt_hi_u32_b32 v47, -1, v37
	v_mov_b32_e32 v40, 0xff7fffff
	v_mov_b32_e32 v49, v24
	s_branch .LBB211_14
.LBB211_12:                             ;   in Loop: Header=BB211_14 Depth=1
	s_or_b64 exec, exec, s[46:47]
.LBB211_13:                             ;   in Loop: Header=BB211_14 Depth=1
	s_or_b64 exec, exec, s[10:11]
	v_add_co_u32_e32 v28, vcc, 8, v28
	v_add_u32_e32 v49, 2, v49
	v_addc_co_u32_e32 v29, vcc, 0, v29, vcc
	v_cmp_le_i32_e32 vcc, s54, v49
	v_add_u32_e32 v42, 32, v42
	s_or_b64 s[44:45], vcc, s[44:45]
	v_add_u32_e32 v43, 0x80, v43
	s_andn2_b64 exec, exec, s[44:45]
	s_cbranch_execz .LBB211_139
.LBB211_14:                             ; =>This Inner Loop Header: Depth=1
	s_waitcnt lgkmcnt(0)
	v_sub_u32_e32 v3, 0, v42
	v_max_i32_e32 v3, v42, v3
	v_mul_hi_u32 v4, v3, s52
	v_mul_lo_u32 v5, v4, s35
	v_sub_u32_e32 v3, v3, v5
	v_add_u32_e32 v5, 1, v4
	v_cmp_le_u32_e32 vcc, s35, v3
	v_cndmask_b32_e32 v4, v4, v5, vcc
	v_subrev_u32_e32 v5, s35, v3
	v_cndmask_b32_e32 v3, v3, v5, vcc
	v_ashrrev_i32_e32 v2, 31, v42
	v_add_u32_e32 v5, 1, v4
	v_cmp_le_u32_e32 vcc, s35, v3
	v_xor_b32_e32 v2, s53, v2
	v_cndmask_b32_e32 v3, v4, v5, vcc
	v_xor_b32_e32 v3, v3, v2
	v_sub_u32_e32 v2, v3, v2
	v_add_u32_e32 v3, s42, v2
	v_sub_u32_e32 v5, 0, v3
	v_ashrrev_i32_e32 v4, 31, v3
	v_max_i32_e32 v3, v3, v5
	v_mul_hi_u32 v5, v3, v41
	v_mul_lo_u32 v5, v5, s58
	v_sub_u32_e32 v3, v3, v5
	v_subrev_u32_e32 v5, s58, v3
	v_cmp_le_u32_e32 vcc, s58, v3
	v_cndmask_b32_e32 v3, v3, v5, vcc
	v_subrev_u32_e32 v5, s58, v3
	v_cmp_le_u32_e32 vcc, s58, v3
	v_cndmask_b32_e32 v3, v3, v5, vcc
	v_xor_b32_e32 v3, v3, v4
	v_sub_u32_e32 v3, v3, v4
	v_cmp_ne_u32_e32 vcc, 0, v3
	v_cmp_ge_i32_e64 s[10:11], s57, v2
	s_and_b64 s[10:11], vcc, s[10:11]
	s_and_b64 s[48:49], s[2:3], s[10:11]
	s_and_saveexec_b64 s[46:47], s[48:49]
	s_cbranch_execz .LBB211_16
; %bb.15:                               ;   in Loop: Header=BB211_14 Depth=1
	ds_write_b32 v43, v45
.LBB211_16:                             ;   in Loop: Header=BB211_14 Depth=1
	s_or_b64 exec, exec, s[46:47]
	s_xor_b64 s[46:47], s[10:11], -1
	s_and_saveexec_b64 s[10:11], s[46:47]
	s_cbranch_execz .LBB211_13
; %bb.17:                               ;   in Loop: Header=BB211_14 Depth=1
	global_load_dword v2, v[28:29], off
	v_mov_b32_e32 v50, 0
	v_mov_b32_e32 v51, 0
	s_waitcnt vmcnt(0)
	v_mad_i64_i32 v[2:3], s[46:47], v2, s59, v[26:27]
	v_add_co_u32_e32 v30, vcc, v2, v22
	v_addc_co_u32_e32 v31, vcc, 0, v3, vcc
	global_load_ubyte v33, v[30:31], off
	ds_read_b128 v[18:21], v39
	ds_read_b128 v[14:17], v39 offset:16
	ds_read_b128 v[10:13], v39 offset:32
	;; [unrolled: 1-line block ×4, first 2 shown]
	s_load_dword s62, s[16:17], 0x0
	s_waitcnt vmcnt(0)
	v_cmp_ne_u16_e32 vcc, 0, v33
	s_and_saveexec_b64 s[46:47], vcc
	s_cbranch_execz .LBB211_23
; %bb.18:                               ;   in Loop: Header=BB211_14 Depth=1
	v_cmp_ne_u16_e32 vcc, s60, v33
	v_bfrev_b32_e32 v51, 1
	s_and_saveexec_b64 s[48:49], vcc
	s_cbranch_execz .LBB211_22
; %bb.19:                               ;   in Loop: Header=BB211_14 Depth=1
	v_and_b32_e32 v32, 0xffff, v33
	v_and_b32_e32 v34, 0x7f, v32
	v_cmp_ne_u32_e32 vcc, s61, v34
	v_mov_b32_e32 v51, 0x7f800001
	s_and_saveexec_b64 s[50:51], vcc
	s_cbranch_execz .LBB211_21
; %bb.20:                               ;   in Loop: Header=BB211_14 Depth=1
	v_and_b32_e32 v51, 7, v32
	v_ffbh_u32_e32 v52, v51
	v_min_u32_e32 v55, 32, v52
	v_subrev_u32_e32 v52, 28, v55
	v_lshlrev_b64 v[52:53], v52, v[32:33]
	v_lshrrev_b32_e32 v54, 3, v34
	v_sub_u32_e32 v32, 29, v55
	v_and_b32_e32 v52, 7, v52
	v_cmp_gt_u32_e32 vcc, 8, v34
	v_cndmask_b32_e32 v32, v54, v32, vcc
	v_cndmask_b32_e32 v34, v51, v52, vcc
	v_lshlrev_b32_e32 v33, 24, v33
	v_lshlrev_b32_e32 v34, 20, v34
	v_and_b32_e32 v33, 0x80000000, v33
	v_lshl_add_u32 v32, v32, 23, v46
	v_or3_b32 v51, v33, v32, v34
.LBB211_21:                             ;   in Loop: Header=BB211_14 Depth=1
	s_or_b64 exec, exec, s[50:51]
.LBB211_22:                             ;   in Loop: Header=BB211_14 Depth=1
	s_or_b64 exec, exec, s[48:49]
.LBB211_23:                             ;   in Loop: Header=BB211_14 Depth=1
	s_or_b64 exec, exec, s[46:47]
	global_load_ubyte v33, v[30:31], off offset:4
	s_waitcnt vmcnt(0)
	v_cmp_ne_u16_e32 vcc, 0, v33
	s_and_saveexec_b64 s[46:47], vcc
	s_cbranch_execz .LBB211_29
; %bb.24:                               ;   in Loop: Header=BB211_14 Depth=1
	v_cmp_ne_u16_e32 vcc, s60, v33
	v_bfrev_b32_e32 v50, 1
	s_and_saveexec_b64 s[48:49], vcc
	s_cbranch_execz .LBB211_28
; %bb.25:                               ;   in Loop: Header=BB211_14 Depth=1
	v_and_b32_e32 v32, 0xffff, v33
	v_and_b32_e32 v34, 0x7f, v32
	v_cmp_ne_u32_e32 vcc, s61, v34
	v_mov_b32_e32 v50, 0x7f800001
	s_and_saveexec_b64 s[50:51], vcc
	s_cbranch_execz .LBB211_27
; %bb.26:                               ;   in Loop: Header=BB211_14 Depth=1
	v_and_b32_e32 v50, 7, v32
	v_ffbh_u32_e32 v52, v50
	v_min_u32_e32 v55, 32, v52
	v_subrev_u32_e32 v52, 28, v55
	v_lshlrev_b64 v[52:53], v52, v[32:33]
	v_lshrrev_b32_e32 v54, 3, v34
	v_sub_u32_e32 v32, 29, v55
	v_and_b32_e32 v52, 7, v52
	v_cmp_gt_u32_e32 vcc, 8, v34
	v_cndmask_b32_e32 v32, v54, v32, vcc
	v_cndmask_b32_e32 v34, v50, v52, vcc
	v_lshlrev_b32_e32 v33, 24, v33
	v_lshlrev_b32_e32 v34, 20, v34
	v_and_b32_e32 v33, 0x80000000, v33
	v_lshl_add_u32 v32, v32, 23, v46
	v_or3_b32 v50, v33, v32, v34
.LBB211_27:                             ;   in Loop: Header=BB211_14 Depth=1
	s_or_b64 exec, exec, s[50:51]
.LBB211_28:                             ;   in Loop: Header=BB211_14 Depth=1
	s_or_b64 exec, exec, s[48:49]
.LBB211_29:                             ;   in Loop: Header=BB211_14 Depth=1
	s_or_b64 exec, exec, s[46:47]
	global_load_ubyte v33, v[30:31], off offset:8
	v_mov_b32_e32 v52, 0
	v_mov_b32_e32 v53, 0
	s_waitcnt vmcnt(0)
	v_cmp_ne_u16_e32 vcc, 0, v33
	s_and_saveexec_b64 s[46:47], vcc
	s_cbranch_execz .LBB211_35
; %bb.30:                               ;   in Loop: Header=BB211_14 Depth=1
	v_cmp_ne_u16_e32 vcc, s60, v33
	v_bfrev_b32_e32 v53, 1
	s_and_saveexec_b64 s[48:49], vcc
	s_cbranch_execz .LBB211_34
; %bb.31:                               ;   in Loop: Header=BB211_14 Depth=1
	v_and_b32_e32 v32, 0xffff, v33
	v_and_b32_e32 v34, 0x7f, v32
	v_cmp_ne_u32_e32 vcc, s61, v34
	v_mov_b32_e32 v53, 0x7f800001
	s_and_saveexec_b64 s[50:51], vcc
	s_cbranch_execz .LBB211_33
; %bb.32:                               ;   in Loop: Header=BB211_14 Depth=1
	v_and_b32_e32 v53, 7, v32
	v_ffbh_u32_e32 v54, v53
	v_min_u32_e32 v57, 32, v54
	v_subrev_u32_e32 v54, 28, v57
	v_lshlrev_b64 v[54:55], v54, v[32:33]
	v_lshrrev_b32_e32 v56, 3, v34
	v_sub_u32_e32 v32, 29, v57
	v_and_b32_e32 v54, 7, v54
	v_cmp_gt_u32_e32 vcc, 8, v34
	v_cndmask_b32_e32 v32, v56, v32, vcc
	v_cndmask_b32_e32 v34, v53, v54, vcc
	v_lshlrev_b32_e32 v33, 24, v33
	v_lshlrev_b32_e32 v34, 20, v34
	v_and_b32_e32 v33, 0x80000000, v33
	v_lshl_add_u32 v32, v32, 23, v46
	v_or3_b32 v53, v33, v32, v34
.LBB211_33:                             ;   in Loop: Header=BB211_14 Depth=1
	s_or_b64 exec, exec, s[50:51]
.LBB211_34:                             ;   in Loop: Header=BB211_14 Depth=1
	s_or_b64 exec, exec, s[48:49]
.LBB211_35:                             ;   in Loop: Header=BB211_14 Depth=1
	s_or_b64 exec, exec, s[46:47]
	global_load_ubyte v33, v[30:31], off offset:12
	s_waitcnt vmcnt(0)
	v_cmp_ne_u16_e32 vcc, 0, v33
	s_and_saveexec_b64 s[46:47], vcc
	s_cbranch_execz .LBB211_41
; %bb.36:                               ;   in Loop: Header=BB211_14 Depth=1
	v_cmp_ne_u16_e32 vcc, s60, v33
	v_bfrev_b32_e32 v52, 1
	s_and_saveexec_b64 s[48:49], vcc
	s_cbranch_execz .LBB211_40
; %bb.37:                               ;   in Loop: Header=BB211_14 Depth=1
	v_and_b32_e32 v32, 0xffff, v33
	v_and_b32_e32 v34, 0x7f, v32
	v_cmp_ne_u32_e32 vcc, s61, v34
	v_mov_b32_e32 v52, 0x7f800001
	s_and_saveexec_b64 s[50:51], vcc
	s_cbranch_execz .LBB211_39
; %bb.38:                               ;   in Loop: Header=BB211_14 Depth=1
	v_and_b32_e32 v52, 7, v32
	v_ffbh_u32_e32 v54, v52
	v_min_u32_e32 v57, 32, v54
	v_subrev_u32_e32 v54, 28, v57
	v_lshlrev_b64 v[54:55], v54, v[32:33]
	v_lshrrev_b32_e32 v56, 3, v34
	v_sub_u32_e32 v32, 29, v57
	v_and_b32_e32 v54, 7, v54
	v_cmp_gt_u32_e32 vcc, 8, v34
	v_cndmask_b32_e32 v32, v56, v32, vcc
	v_cndmask_b32_e32 v34, v52, v54, vcc
	v_lshlrev_b32_e32 v33, 24, v33
	v_lshlrev_b32_e32 v34, 20, v34
	v_and_b32_e32 v33, 0x80000000, v33
	v_lshl_add_u32 v32, v32, 23, v46
	v_or3_b32 v52, v33, v32, v34
.LBB211_39:                             ;   in Loop: Header=BB211_14 Depth=1
	s_or_b64 exec, exec, s[50:51]
.LBB211_40:                             ;   in Loop: Header=BB211_14 Depth=1
	s_or_b64 exec, exec, s[48:49]
.LBB211_41:                             ;   in Loop: Header=BB211_14 Depth=1
	s_or_b64 exec, exec, s[46:47]
	global_load_ubyte v33, v[30:31], off offset:256
	v_mov_b32_e32 v54, 0
	v_mov_b32_e32 v55, 0
	s_waitcnt vmcnt(0)
	v_cmp_ne_u16_e32 vcc, 0, v33
	s_and_saveexec_b64 s[46:47], vcc
	s_cbranch_execz .LBB211_47
; %bb.42:                               ;   in Loop: Header=BB211_14 Depth=1
	v_cmp_ne_u16_e32 vcc, s60, v33
	v_bfrev_b32_e32 v55, 1
	s_and_saveexec_b64 s[48:49], vcc
	s_cbranch_execz .LBB211_46
; %bb.43:                               ;   in Loop: Header=BB211_14 Depth=1
	v_and_b32_e32 v32, 0xffff, v33
	v_and_b32_e32 v34, 0x7f, v32
	v_cmp_ne_u32_e32 vcc, s61, v34
	v_mov_b32_e32 v55, 0x7f800001
	s_and_saveexec_b64 s[50:51], vcc
	s_cbranch_execz .LBB211_45
; %bb.44:                               ;   in Loop: Header=BB211_14 Depth=1
	v_and_b32_e32 v55, 7, v32
	v_ffbh_u32_e32 v56, v55
	v_min_u32_e32 v59, 32, v56
	v_subrev_u32_e32 v56, 28, v59
	v_lshlrev_b64 v[56:57], v56, v[32:33]
	v_lshrrev_b32_e32 v58, 3, v34
	v_sub_u32_e32 v32, 29, v59
	v_and_b32_e32 v56, 7, v56
	v_cmp_gt_u32_e32 vcc, 8, v34
	v_cndmask_b32_e32 v32, v58, v32, vcc
	v_cndmask_b32_e32 v34, v55, v56, vcc
	v_lshlrev_b32_e32 v33, 24, v33
	v_lshlrev_b32_e32 v34, 20, v34
	v_and_b32_e32 v33, 0x80000000, v33
	v_lshl_add_u32 v32, v32, 23, v46
	v_or3_b32 v55, v33, v32, v34
.LBB211_45:                             ;   in Loop: Header=BB211_14 Depth=1
	s_or_b64 exec, exec, s[50:51]
.LBB211_46:                             ;   in Loop: Header=BB211_14 Depth=1
	s_or_b64 exec, exec, s[48:49]
.LBB211_47:                             ;   in Loop: Header=BB211_14 Depth=1
	s_or_b64 exec, exec, s[46:47]
	global_load_ubyte v33, v[30:31], off offset:260
	s_waitcnt vmcnt(0)
	v_cmp_ne_u16_e32 vcc, 0, v33
	s_and_saveexec_b64 s[46:47], vcc
	s_cbranch_execz .LBB211_53
; %bb.48:                               ;   in Loop: Header=BB211_14 Depth=1
	v_cmp_ne_u16_e32 vcc, s60, v33
	v_bfrev_b32_e32 v54, 1
	s_and_saveexec_b64 s[48:49], vcc
	s_cbranch_execz .LBB211_52
; %bb.49:                               ;   in Loop: Header=BB211_14 Depth=1
	v_and_b32_e32 v32, 0xffff, v33
	v_and_b32_e32 v34, 0x7f, v32
	v_cmp_ne_u32_e32 vcc, s61, v34
	v_mov_b32_e32 v54, 0x7f800001
	s_and_saveexec_b64 s[50:51], vcc
	s_cbranch_execz .LBB211_51
; %bb.50:                               ;   in Loop: Header=BB211_14 Depth=1
	v_and_b32_e32 v54, 7, v32
	v_ffbh_u32_e32 v56, v54
	v_min_u32_e32 v59, 32, v56
	v_subrev_u32_e32 v56, 28, v59
	v_lshlrev_b64 v[56:57], v56, v[32:33]
	v_lshrrev_b32_e32 v58, 3, v34
	v_sub_u32_e32 v32, 29, v59
	v_and_b32_e32 v56, 7, v56
	v_cmp_gt_u32_e32 vcc, 8, v34
	v_cndmask_b32_e32 v32, v58, v32, vcc
	v_cndmask_b32_e32 v34, v54, v56, vcc
	v_lshlrev_b32_e32 v33, 24, v33
	v_lshlrev_b32_e32 v34, 20, v34
	v_and_b32_e32 v33, 0x80000000, v33
	v_lshl_add_u32 v32, v32, 23, v46
	v_or3_b32 v54, v33, v32, v34
.LBB211_51:                             ;   in Loop: Header=BB211_14 Depth=1
	s_or_b64 exec, exec, s[50:51]
.LBB211_52:                             ;   in Loop: Header=BB211_14 Depth=1
	s_or_b64 exec, exec, s[48:49]
.LBB211_53:                             ;   in Loop: Header=BB211_14 Depth=1
	s_or_b64 exec, exec, s[46:47]
	v_add_co_u32_e32 v32, vcc, 0x100, v30
	v_addc_co_u32_e32 v33, vcc, 0, v31, vcc
	global_load_ubyte v58, v[32:33], off offset:8
	v_mov_b32_e32 v56, 0
	v_mov_b32_e32 v57, 0
	s_waitcnt vmcnt(0)
	v_cmp_ne_u16_e32 vcc, 0, v58
	s_and_saveexec_b64 s[46:47], vcc
	s_cbranch_execz .LBB211_59
; %bb.54:                               ;   in Loop: Header=BB211_14 Depth=1
	v_cmp_ne_u16_e32 vcc, s60, v58
	v_bfrev_b32_e32 v57, 1
	s_and_saveexec_b64 s[48:49], vcc
	s_cbranch_execz .LBB211_58
; %bb.55:                               ;   in Loop: Header=BB211_14 Depth=1
	v_and_b32_e32 v34, 0xffff, v58
	v_and_b32_e32 v59, 0x7f, v34
	v_cmp_ne_u32_e32 vcc, s61, v59
	v_mov_b32_e32 v57, 0x7f800001
	s_and_saveexec_b64 s[50:51], vcc
	s_cbranch_execz .LBB211_57
; %bb.56:                               ;   in Loop: Header=BB211_14 Depth=1
	v_and_b32_e32 v57, 7, v34
	v_ffbh_u32_e32 v60, v57
	v_min_u32_e32 v63, 32, v60
	v_subrev_u32_e32 v60, 28, v63
	v_lshlrev_b64 v[60:61], v60, v[34:35]
	v_lshrrev_b32_e32 v62, 3, v59
	v_sub_u32_e32 v34, 29, v63
	v_and_b32_e32 v60, 7, v60
	v_cmp_gt_u32_e32 vcc, 8, v59
	v_cndmask_b32_e32 v34, v62, v34, vcc
	v_cndmask_b32_e32 v57, v57, v60, vcc
	v_lshlrev_b32_e32 v58, 24, v58
	v_lshlrev_b32_e32 v57, 20, v57
	v_and_b32_e32 v58, 0x80000000, v58
	v_lshl_add_u32 v34, v34, 23, v46
	v_or3_b32 v57, v58, v34, v57
.LBB211_57:                             ;   in Loop: Header=BB211_14 Depth=1
	s_or_b64 exec, exec, s[50:51]
.LBB211_58:                             ;   in Loop: Header=BB211_14 Depth=1
	s_or_b64 exec, exec, s[48:49]
.LBB211_59:                             ;   in Loop: Header=BB211_14 Depth=1
	s_or_b64 exec, exec, s[46:47]
	global_load_ubyte v33, v[32:33], off offset:12
	s_waitcnt vmcnt(0)
	v_cmp_ne_u16_e32 vcc, 0, v33
	s_and_saveexec_b64 s[46:47], vcc
	s_cbranch_execz .LBB211_65
; %bb.60:                               ;   in Loop: Header=BB211_14 Depth=1
	v_cmp_ne_u16_e32 vcc, s60, v33
	v_bfrev_b32_e32 v56, 1
	s_and_saveexec_b64 s[48:49], vcc
	s_cbranch_execz .LBB211_64
; %bb.61:                               ;   in Loop: Header=BB211_14 Depth=1
	v_and_b32_e32 v32, 0xffff, v33
	v_and_b32_e32 v34, 0x7f, v32
	v_cmp_ne_u32_e32 vcc, s61, v34
	v_mov_b32_e32 v56, 0x7f800001
	s_and_saveexec_b64 s[50:51], vcc
	s_cbranch_execz .LBB211_63
; %bb.62:                               ;   in Loop: Header=BB211_14 Depth=1
	v_and_b32_e32 v56, 7, v32
	v_ffbh_u32_e32 v58, v56
	v_min_u32_e32 v61, 32, v58
	v_subrev_u32_e32 v58, 28, v61
	v_lshlrev_b64 v[58:59], v58, v[32:33]
	v_lshrrev_b32_e32 v60, 3, v34
	v_sub_u32_e32 v32, 29, v61
	v_and_b32_e32 v58, 7, v58
	v_cmp_gt_u32_e32 vcc, 8, v34
	v_cndmask_b32_e32 v32, v60, v32, vcc
	v_cndmask_b32_e32 v34, v56, v58, vcc
	v_lshlrev_b32_e32 v33, 24, v33
	v_lshlrev_b32_e32 v34, 20, v34
	v_and_b32_e32 v33, 0x80000000, v33
	v_lshl_add_u32 v32, v32, 23, v46
	v_or3_b32 v56, v33, v32, v34
.LBB211_63:                             ;   in Loop: Header=BB211_14 Depth=1
	s_or_b64 exec, exec, s[50:51]
.LBB211_64:                             ;   in Loop: Header=BB211_14 Depth=1
	s_or_b64 exec, exec, s[48:49]
.LBB211_65:                             ;   in Loop: Header=BB211_14 Depth=1
	s_or_b64 exec, exec, s[46:47]
	global_load_ubyte v33, v[30:31], off offset:512
	v_mov_b32_e32 v58, 0
	v_mov_b32_e32 v59, 0
	s_waitcnt vmcnt(0)
	v_cmp_ne_u16_e32 vcc, 0, v33
	s_and_saveexec_b64 s[46:47], vcc
	s_cbranch_execz .LBB211_71
; %bb.66:                               ;   in Loop: Header=BB211_14 Depth=1
	v_cmp_ne_u16_e32 vcc, s60, v33
	v_bfrev_b32_e32 v59, 1
	s_and_saveexec_b64 s[48:49], vcc
	s_cbranch_execz .LBB211_70
; %bb.67:                               ;   in Loop: Header=BB211_14 Depth=1
	v_and_b32_e32 v32, 0xffff, v33
	v_and_b32_e32 v34, 0x7f, v32
	v_cmp_ne_u32_e32 vcc, s61, v34
	v_mov_b32_e32 v59, 0x7f800001
	s_and_saveexec_b64 s[50:51], vcc
	s_cbranch_execz .LBB211_69
; %bb.68:                               ;   in Loop: Header=BB211_14 Depth=1
	v_and_b32_e32 v59, 7, v32
	v_ffbh_u32_e32 v60, v59
	v_min_u32_e32 v63, 32, v60
	v_subrev_u32_e32 v60, 28, v63
	v_lshlrev_b64 v[60:61], v60, v[32:33]
	v_lshrrev_b32_e32 v62, 3, v34
	v_sub_u32_e32 v32, 29, v63
	v_and_b32_e32 v60, 7, v60
	v_cmp_gt_u32_e32 vcc, 8, v34
	v_cndmask_b32_e32 v32, v62, v32, vcc
	v_cndmask_b32_e32 v34, v59, v60, vcc
	v_lshlrev_b32_e32 v33, 24, v33
	v_lshlrev_b32_e32 v34, 20, v34
	v_and_b32_e32 v33, 0x80000000, v33
	v_lshl_add_u32 v32, v32, 23, v46
	v_or3_b32 v59, v33, v32, v34
.LBB211_69:                             ;   in Loop: Header=BB211_14 Depth=1
	s_or_b64 exec, exec, s[50:51]
.LBB211_70:                             ;   in Loop: Header=BB211_14 Depth=1
	s_or_b64 exec, exec, s[48:49]
.LBB211_71:                             ;   in Loop: Header=BB211_14 Depth=1
	s_or_b64 exec, exec, s[46:47]
	global_load_ubyte v33, v[30:31], off offset:516
	s_waitcnt vmcnt(0)
	v_cmp_ne_u16_e32 vcc, 0, v33
	s_and_saveexec_b64 s[46:47], vcc
	s_cbranch_execz .LBB211_77
; %bb.72:                               ;   in Loop: Header=BB211_14 Depth=1
	v_cmp_ne_u16_e32 vcc, s60, v33
	v_bfrev_b32_e32 v58, 1
	s_and_saveexec_b64 s[48:49], vcc
	s_cbranch_execz .LBB211_76
; %bb.73:                               ;   in Loop: Header=BB211_14 Depth=1
	v_and_b32_e32 v32, 0xffff, v33
	v_and_b32_e32 v34, 0x7f, v32
	v_cmp_ne_u32_e32 vcc, s61, v34
	v_mov_b32_e32 v58, 0x7f800001
	s_and_saveexec_b64 s[50:51], vcc
	s_cbranch_execz .LBB211_75
; %bb.74:                               ;   in Loop: Header=BB211_14 Depth=1
	v_and_b32_e32 v58, 7, v32
	v_ffbh_u32_e32 v60, v58
	v_min_u32_e32 v63, 32, v60
	v_subrev_u32_e32 v60, 28, v63
	v_lshlrev_b64 v[60:61], v60, v[32:33]
	v_lshrrev_b32_e32 v62, 3, v34
	v_sub_u32_e32 v32, 29, v63
	v_and_b32_e32 v60, 7, v60
	v_cmp_gt_u32_e32 vcc, 8, v34
	v_cndmask_b32_e32 v32, v62, v32, vcc
	v_cndmask_b32_e32 v34, v58, v60, vcc
	v_lshlrev_b32_e32 v33, 24, v33
	v_lshlrev_b32_e32 v34, 20, v34
	v_and_b32_e32 v33, 0x80000000, v33
	v_lshl_add_u32 v32, v32, 23, v46
	v_or3_b32 v58, v33, v32, v34
.LBB211_75:                             ;   in Loop: Header=BB211_14 Depth=1
	s_or_b64 exec, exec, s[50:51]
.LBB211_76:                             ;   in Loop: Header=BB211_14 Depth=1
	s_or_b64 exec, exec, s[48:49]
.LBB211_77:                             ;   in Loop: Header=BB211_14 Depth=1
	s_or_b64 exec, exec, s[46:47]
	v_add_co_u32_e32 v32, vcc, 0x200, v30
	v_addc_co_u32_e32 v33, vcc, 0, v31, vcc
	global_load_ubyte v62, v[32:33], off offset:8
	v_mov_b32_e32 v60, 0
	v_mov_b32_e32 v61, 0
	s_waitcnt vmcnt(0)
	v_cmp_ne_u16_e32 vcc, 0, v62
	s_and_saveexec_b64 s[46:47], vcc
	s_cbranch_execz .LBB211_83
; %bb.78:                               ;   in Loop: Header=BB211_14 Depth=1
	v_cmp_ne_u16_e32 vcc, s60, v62
	v_bfrev_b32_e32 v61, 1
	s_and_saveexec_b64 s[48:49], vcc
	s_cbranch_execz .LBB211_82
; %bb.79:                               ;   in Loop: Header=BB211_14 Depth=1
	v_and_b32_e32 v34, 0xffff, v62
	v_and_b32_e32 v63, 0x7f, v34
	v_cmp_ne_u32_e32 vcc, s61, v63
	v_mov_b32_e32 v61, 0x7f800001
	s_and_saveexec_b64 s[50:51], vcc
	s_cbranch_execz .LBB211_81
; %bb.80:                               ;   in Loop: Header=BB211_14 Depth=1
	v_and_b32_e32 v61, 7, v34
	v_ffbh_u32_e32 v64, v61
	v_min_u32_e32 v67, 32, v64
	v_subrev_u32_e32 v64, 28, v67
	v_lshlrev_b64 v[64:65], v64, v[34:35]
	v_lshrrev_b32_e32 v66, 3, v63
	v_sub_u32_e32 v34, 29, v67
	v_and_b32_e32 v64, 7, v64
	v_cmp_gt_u32_e32 vcc, 8, v63
	v_cndmask_b32_e32 v34, v66, v34, vcc
	v_cndmask_b32_e32 v61, v61, v64, vcc
	v_lshlrev_b32_e32 v62, 24, v62
	v_lshlrev_b32_e32 v61, 20, v61
	v_and_b32_e32 v62, 0x80000000, v62
	v_lshl_add_u32 v34, v34, 23, v46
	v_or3_b32 v61, v62, v34, v61
.LBB211_81:                             ;   in Loop: Header=BB211_14 Depth=1
	s_or_b64 exec, exec, s[50:51]
.LBB211_82:                             ;   in Loop: Header=BB211_14 Depth=1
	s_or_b64 exec, exec, s[48:49]
.LBB211_83:                             ;   in Loop: Header=BB211_14 Depth=1
	s_or_b64 exec, exec, s[46:47]
	global_load_ubyte v33, v[32:33], off offset:12
	s_waitcnt vmcnt(0)
	v_cmp_ne_u16_e32 vcc, 0, v33
	s_and_saveexec_b64 s[46:47], vcc
	s_cbranch_execz .LBB211_89
; %bb.84:                               ;   in Loop: Header=BB211_14 Depth=1
	v_cmp_ne_u16_e32 vcc, s60, v33
	v_bfrev_b32_e32 v60, 1
	s_and_saveexec_b64 s[48:49], vcc
	s_cbranch_execz .LBB211_88
; %bb.85:                               ;   in Loop: Header=BB211_14 Depth=1
	v_and_b32_e32 v32, 0xffff, v33
	v_and_b32_e32 v34, 0x7f, v32
	v_cmp_ne_u32_e32 vcc, s61, v34
	v_mov_b32_e32 v60, 0x7f800001
	s_and_saveexec_b64 s[50:51], vcc
	s_cbranch_execz .LBB211_87
; %bb.86:                               ;   in Loop: Header=BB211_14 Depth=1
	v_and_b32_e32 v60, 7, v32
	v_ffbh_u32_e32 v62, v60
	v_min_u32_e32 v65, 32, v62
	v_subrev_u32_e32 v62, 28, v65
	v_lshlrev_b64 v[62:63], v62, v[32:33]
	v_lshrrev_b32_e32 v64, 3, v34
	v_sub_u32_e32 v32, 29, v65
	v_and_b32_e32 v62, 7, v62
	v_cmp_gt_u32_e32 vcc, 8, v34
	v_cndmask_b32_e32 v32, v64, v32, vcc
	v_cndmask_b32_e32 v34, v60, v62, vcc
	v_lshlrev_b32_e32 v33, 24, v33
	v_lshlrev_b32_e32 v34, 20, v34
	v_and_b32_e32 v33, 0x80000000, v33
	v_lshl_add_u32 v32, v32, 23, v46
	v_or3_b32 v60, v33, v32, v34
.LBB211_87:                             ;   in Loop: Header=BB211_14 Depth=1
	s_or_b64 exec, exec, s[50:51]
.LBB211_88:                             ;   in Loop: Header=BB211_14 Depth=1
	s_or_b64 exec, exec, s[48:49]
.LBB211_89:                             ;   in Loop: Header=BB211_14 Depth=1
	s_or_b64 exec, exec, s[46:47]
	global_load_ubyte v33, v[30:31], off offset:768
	v_mov_b32_e32 v62, 0
	v_mov_b32_e32 v63, 0
	s_waitcnt vmcnt(0)
	v_cmp_ne_u16_e32 vcc, 0, v33
	s_and_saveexec_b64 s[46:47], vcc
	s_cbranch_execz .LBB211_95
; %bb.90:                               ;   in Loop: Header=BB211_14 Depth=1
	v_cmp_ne_u16_e32 vcc, s60, v33
	v_bfrev_b32_e32 v63, 1
	s_and_saveexec_b64 s[48:49], vcc
	s_cbranch_execz .LBB211_94
; %bb.91:                               ;   in Loop: Header=BB211_14 Depth=1
	v_and_b32_e32 v32, 0xffff, v33
	v_and_b32_e32 v34, 0x7f, v32
	v_cmp_ne_u32_e32 vcc, s61, v34
	v_mov_b32_e32 v63, 0x7f800001
	s_and_saveexec_b64 s[50:51], vcc
	s_cbranch_execz .LBB211_93
; %bb.92:                               ;   in Loop: Header=BB211_14 Depth=1
	v_and_b32_e32 v63, 7, v32
	v_ffbh_u32_e32 v64, v63
	v_min_u32_e32 v67, 32, v64
	v_subrev_u32_e32 v64, 28, v67
	v_lshlrev_b64 v[64:65], v64, v[32:33]
	v_lshrrev_b32_e32 v66, 3, v34
	v_sub_u32_e32 v32, 29, v67
	v_and_b32_e32 v64, 7, v64
	v_cmp_gt_u32_e32 vcc, 8, v34
	v_cndmask_b32_e32 v32, v66, v32, vcc
	v_cndmask_b32_e32 v34, v63, v64, vcc
	v_lshlrev_b32_e32 v33, 24, v33
	v_lshlrev_b32_e32 v34, 20, v34
	v_and_b32_e32 v33, 0x80000000, v33
	v_lshl_add_u32 v32, v32, 23, v46
	v_or3_b32 v63, v33, v32, v34
.LBB211_93:                             ;   in Loop: Header=BB211_14 Depth=1
	s_or_b64 exec, exec, s[50:51]
.LBB211_94:                             ;   in Loop: Header=BB211_14 Depth=1
	s_or_b64 exec, exec, s[48:49]
.LBB211_95:                             ;   in Loop: Header=BB211_14 Depth=1
	s_or_b64 exec, exec, s[46:47]
	global_load_ubyte v33, v[30:31], off offset:772
	s_waitcnt vmcnt(0)
	v_cmp_ne_u16_e32 vcc, 0, v33
	s_and_saveexec_b64 s[46:47], vcc
	s_cbranch_execz .LBB211_101
; %bb.96:                               ;   in Loop: Header=BB211_14 Depth=1
	v_cmp_ne_u16_e32 vcc, s60, v33
	v_bfrev_b32_e32 v62, 1
	s_and_saveexec_b64 s[48:49], vcc
	s_cbranch_execz .LBB211_100
; %bb.97:                               ;   in Loop: Header=BB211_14 Depth=1
	v_and_b32_e32 v32, 0xffff, v33
	v_and_b32_e32 v34, 0x7f, v32
	v_cmp_ne_u32_e32 vcc, s61, v34
	v_mov_b32_e32 v62, 0x7f800001
	s_and_saveexec_b64 s[50:51], vcc
	s_cbranch_execz .LBB211_99
; %bb.98:                               ;   in Loop: Header=BB211_14 Depth=1
	v_and_b32_e32 v62, 7, v32
	v_ffbh_u32_e32 v64, v62
	v_min_u32_e32 v67, 32, v64
	v_subrev_u32_e32 v64, 28, v67
	v_lshlrev_b64 v[64:65], v64, v[32:33]
	v_lshrrev_b32_e32 v66, 3, v34
	v_sub_u32_e32 v32, 29, v67
	v_and_b32_e32 v64, 7, v64
	v_cmp_gt_u32_e32 vcc, 8, v34
	v_cndmask_b32_e32 v32, v66, v32, vcc
	v_cndmask_b32_e32 v34, v62, v64, vcc
	v_lshlrev_b32_e32 v33, 24, v33
	v_lshlrev_b32_e32 v34, 20, v34
	v_and_b32_e32 v33, 0x80000000, v33
	v_lshl_add_u32 v32, v32, 23, v46
	v_or3_b32 v62, v33, v32, v34
.LBB211_99:                             ;   in Loop: Header=BB211_14 Depth=1
	s_or_b64 exec, exec, s[50:51]
.LBB211_100:                            ;   in Loop: Header=BB211_14 Depth=1
	s_or_b64 exec, exec, s[48:49]
.LBB211_101:                            ;   in Loop: Header=BB211_14 Depth=1
	s_or_b64 exec, exec, s[46:47]
	v_add_co_u32_e32 v32, vcc, 0x300, v30
	v_addc_co_u32_e32 v33, vcc, 0, v31, vcc
	global_load_ubyte v66, v[32:33], off offset:8
	v_mov_b32_e32 v64, 0
	v_mov_b32_e32 v65, 0
	s_waitcnt vmcnt(0)
	v_cmp_ne_u16_e32 vcc, 0, v66
	s_and_saveexec_b64 s[46:47], vcc
	s_cbranch_execz .LBB211_107
; %bb.102:                              ;   in Loop: Header=BB211_14 Depth=1
	v_cmp_ne_u16_e32 vcc, s60, v66
	v_bfrev_b32_e32 v65, 1
	s_and_saveexec_b64 s[48:49], vcc
	s_cbranch_execz .LBB211_106
; %bb.103:                              ;   in Loop: Header=BB211_14 Depth=1
	v_and_b32_e32 v34, 0xffff, v66
	v_and_b32_e32 v67, 0x7f, v34
	v_cmp_ne_u32_e32 vcc, s61, v67
	v_mov_b32_e32 v65, 0x7f800001
	s_and_saveexec_b64 s[50:51], vcc
	s_cbranch_execz .LBB211_105
; %bb.104:                              ;   in Loop: Header=BB211_14 Depth=1
	v_and_b32_e32 v65, 7, v34
	v_ffbh_u32_e32 v68, v65
	v_min_u32_e32 v71, 32, v68
	v_subrev_u32_e32 v68, 28, v71
	v_lshlrev_b64 v[68:69], v68, v[34:35]
	v_lshrrev_b32_e32 v70, 3, v67
	v_sub_u32_e32 v34, 29, v71
	v_and_b32_e32 v68, 7, v68
	v_cmp_gt_u32_e32 vcc, 8, v67
	v_cndmask_b32_e32 v34, v70, v34, vcc
	v_cndmask_b32_e32 v65, v65, v68, vcc
	v_lshlrev_b32_e32 v66, 24, v66
	v_lshlrev_b32_e32 v65, 20, v65
	v_and_b32_e32 v66, 0x80000000, v66
	v_lshl_add_u32 v34, v34, 23, v46
	v_or3_b32 v65, v66, v34, v65
.LBB211_105:                            ;   in Loop: Header=BB211_14 Depth=1
	s_or_b64 exec, exec, s[50:51]
.LBB211_106:                            ;   in Loop: Header=BB211_14 Depth=1
	s_or_b64 exec, exec, s[48:49]
.LBB211_107:                            ;   in Loop: Header=BB211_14 Depth=1
	s_or_b64 exec, exec, s[46:47]
	global_load_ubyte v33, v[32:33], off offset:12
	s_waitcnt vmcnt(0)
	v_cmp_ne_u16_e32 vcc, 0, v33
	s_and_saveexec_b64 s[46:47], vcc
	s_cbranch_execz .LBB211_113
; %bb.108:                              ;   in Loop: Header=BB211_14 Depth=1
	v_cmp_ne_u16_e32 vcc, s60, v33
	v_bfrev_b32_e32 v64, 1
	s_and_saveexec_b64 s[48:49], vcc
	s_cbranch_execz .LBB211_112
; %bb.109:                              ;   in Loop: Header=BB211_14 Depth=1
	v_and_b32_e32 v32, 0xffff, v33
	v_and_b32_e32 v34, 0x7f, v32
	v_cmp_ne_u32_e32 vcc, s61, v34
	v_mov_b32_e32 v64, 0x7f800001
	s_and_saveexec_b64 s[50:51], vcc
	s_cbranch_execz .LBB211_111
; %bb.110:                              ;   in Loop: Header=BB211_14 Depth=1
	v_and_b32_e32 v64, 7, v32
	v_ffbh_u32_e32 v66, v64
	v_min_u32_e32 v69, 32, v66
	v_subrev_u32_e32 v66, 28, v69
	v_lshlrev_b64 v[66:67], v66, v[32:33]
	v_lshrrev_b32_e32 v68, 3, v34
	v_sub_u32_e32 v32, 29, v69
	v_and_b32_e32 v66, 7, v66
	v_cmp_gt_u32_e32 vcc, 8, v34
	v_cndmask_b32_e32 v32, v68, v32, vcc
	v_cndmask_b32_e32 v34, v64, v66, vcc
	v_lshlrev_b32_e32 v33, 24, v33
	v_lshlrev_b32_e32 v34, 20, v34
	v_and_b32_e32 v33, 0x80000000, v33
	v_lshl_add_u32 v32, v32, 23, v46
	v_or3_b32 v64, v33, v32, v34
.LBB211_111:                            ;   in Loop: Header=BB211_14 Depth=1
	s_or_b64 exec, exec, s[50:51]
.LBB211_112:                            ;   in Loop: Header=BB211_14 Depth=1
	s_or_b64 exec, exec, s[48:49]
.LBB211_113:                            ;   in Loop: Header=BB211_14 Depth=1
	s_or_b64 exec, exec, s[46:47]
	global_load_ubyte v66, v[30:31], off offset:1024
	v_mov_b32_e32 v33, 0
	v_mov_b32_e32 v34, 0
	s_waitcnt vmcnt(0)
	v_cmp_ne_u16_e32 vcc, 0, v66
	s_and_saveexec_b64 s[46:47], vcc
	s_cbranch_execz .LBB211_119
; %bb.114:                              ;   in Loop: Header=BB211_14 Depth=1
	v_cmp_ne_u16_e32 vcc, s60, v66
	v_bfrev_b32_e32 v34, 1
	s_and_saveexec_b64 s[48:49], vcc
	s_cbranch_execz .LBB211_118
; %bb.115:                              ;   in Loop: Header=BB211_14 Depth=1
	v_and_b32_e32 v32, 0xffff, v66
	v_and_b32_e32 v67, 0x7f, v32
	v_cmp_ne_u32_e32 vcc, s61, v67
	v_mov_b32_e32 v34, 0x7f800001
	s_and_saveexec_b64 s[50:51], vcc
	s_cbranch_execz .LBB211_117
; %bb.116:                              ;   in Loop: Header=BB211_14 Depth=1
	v_and_b32_e32 v34, 7, v32
	v_ffbh_u32_e32 v68, v34
	v_min_u32_e32 v71, 32, v68
	v_subrev_u32_e32 v68, 28, v71
	v_lshlrev_b64 v[68:69], v68, v[32:33]
	v_lshrrev_b32_e32 v70, 3, v67
	v_sub_u32_e32 v32, 29, v71
	v_and_b32_e32 v68, 7, v68
	v_cmp_gt_u32_e32 vcc, 8, v67
	v_cndmask_b32_e32 v32, v70, v32, vcc
	v_cndmask_b32_e32 v34, v34, v68, vcc
	v_lshlrev_b32_e32 v66, 24, v66
	v_lshlrev_b32_e32 v34, 20, v34
	v_and_b32_e32 v66, 0x80000000, v66
	v_lshl_add_u32 v32, v32, 23, v46
	v_or3_b32 v34, v66, v32, v34
.LBB211_117:                            ;   in Loop: Header=BB211_14 Depth=1
	s_or_b64 exec, exec, s[50:51]
.LBB211_118:                            ;   in Loop: Header=BB211_14 Depth=1
	s_or_b64 exec, exec, s[48:49]
.LBB211_119:                            ;   in Loop: Header=BB211_14 Depth=1
	s_or_b64 exec, exec, s[46:47]
	global_load_ubyte v66, v[30:31], off offset:1028
	s_waitcnt vmcnt(0)
	v_cmp_ne_u16_e32 vcc, 0, v66
	s_and_saveexec_b64 s[46:47], vcc
	s_cbranch_execz .LBB211_125
; %bb.120:                              ;   in Loop: Header=BB211_14 Depth=1
	v_cmp_ne_u16_e32 vcc, s60, v66
	v_bfrev_b32_e32 v33, 1
	s_and_saveexec_b64 s[48:49], vcc
	s_cbranch_execz .LBB211_124
; %bb.121:                              ;   in Loop: Header=BB211_14 Depth=1
	v_and_b32_e32 v32, 0xffff, v66
	v_and_b32_e32 v67, 0x7f, v32
	v_cmp_ne_u32_e32 vcc, s61, v67
	v_mov_b32_e32 v33, 0x7f800001
	s_and_saveexec_b64 s[50:51], vcc
	s_cbranch_execz .LBB211_123
; %bb.122:                              ;   in Loop: Header=BB211_14 Depth=1
	v_and_b32_e32 v68, 7, v32
	v_ffbh_u32_e32 v33, v68
	v_min_u32_e32 v70, 32, v33
	v_subrev_u32_e32 v33, 28, v70
	v_lshlrev_b64 v[32:33], v33, v[32:33]
	v_lshrrev_b32_e32 v69, 3, v67
	v_sub_u32_e32 v33, 29, v70
	v_and_b32_e32 v32, 7, v32
	v_cmp_gt_u32_e32 vcc, 8, v67
	v_cndmask_b32_e32 v33, v69, v33, vcc
	v_cndmask_b32_e32 v32, v68, v32, vcc
	v_lshlrev_b32_e32 v66, 24, v66
	v_lshlrev_b32_e32 v32, 20, v32
	v_and_b32_e32 v66, 0x80000000, v66
	v_lshl_add_u32 v33, v33, 23, v46
	v_or3_b32 v33, v66, v33, v32
.LBB211_123:                            ;   in Loop: Header=BB211_14 Depth=1
	s_or_b64 exec, exec, s[50:51]
.LBB211_124:                            ;   in Loop: Header=BB211_14 Depth=1
	s_or_b64 exec, exec, s[48:49]
.LBB211_125:                            ;   in Loop: Header=BB211_14 Depth=1
	s_or_b64 exec, exec, s[46:47]
	v_add_co_u32_e32 v30, vcc, 0x400, v30
	v_addc_co_u32_e32 v31, vcc, 0, v31, vcc
	global_load_ubyte v68, v[30:31], off offset:8
	v_mov_b32_e32 v66, 0
	v_mov_b32_e32 v67, 0
	s_waitcnt vmcnt(0)
	v_cmp_ne_u16_e32 vcc, 0, v68
	s_and_saveexec_b64 s[46:47], vcc
	s_cbranch_execz .LBB211_131
; %bb.126:                              ;   in Loop: Header=BB211_14 Depth=1
	v_cmp_ne_u16_e32 vcc, s60, v68
	v_bfrev_b32_e32 v67, 1
	s_and_saveexec_b64 s[48:49], vcc
	s_cbranch_execz .LBB211_130
; %bb.127:                              ;   in Loop: Header=BB211_14 Depth=1
	v_and_b32_e32 v32, 0xffff, v68
	v_and_b32_e32 v69, 0x7f, v32
	v_cmp_ne_u32_e32 vcc, s61, v69
	v_mov_b32_e32 v67, 0x7f800001
	s_and_saveexec_b64 s[50:51], vcc
	s_cbranch_execz .LBB211_129
; %bb.128:                              ;   in Loop: Header=BB211_14 Depth=1
	v_and_b32_e32 v67, 7, v32
	v_ffbh_u32_e32 v70, v67
	v_min_u32_e32 v73, 32, v70
	v_subrev_u32_e32 v70, 28, v73
	v_lshlrev_b64 v[70:71], v70, v[32:33]
	v_lshrrev_b32_e32 v72, 3, v69
	v_sub_u32_e32 v32, 29, v73
	v_and_b32_e32 v70, 7, v70
	v_cmp_gt_u32_e32 vcc, 8, v69
	v_cndmask_b32_e32 v32, v72, v32, vcc
	v_cndmask_b32_e32 v67, v67, v70, vcc
	v_lshlrev_b32_e32 v68, 24, v68
	v_lshlrev_b32_e32 v67, 20, v67
	v_and_b32_e32 v68, 0x80000000, v68
	v_lshl_add_u32 v32, v32, 23, v46
	v_or3_b32 v67, v68, v32, v67
.LBB211_129:                            ;   in Loop: Header=BB211_14 Depth=1
	s_or_b64 exec, exec, s[50:51]
.LBB211_130:                            ;   in Loop: Header=BB211_14 Depth=1
	s_or_b64 exec, exec, s[48:49]
.LBB211_131:                            ;   in Loop: Header=BB211_14 Depth=1
	s_or_b64 exec, exec, s[46:47]
	global_load_ubyte v31, v[30:31], off offset:12
	s_waitcnt vmcnt(0)
	v_cmp_ne_u16_e32 vcc, 0, v31
	s_and_saveexec_b64 s[46:47], vcc
	s_cbranch_execz .LBB211_137
; %bb.132:                              ;   in Loop: Header=BB211_14 Depth=1
	v_cmp_ne_u16_e32 vcc, s60, v31
	v_bfrev_b32_e32 v66, 1
	s_and_saveexec_b64 s[48:49], vcc
	s_cbranch_execz .LBB211_136
; %bb.133:                              ;   in Loop: Header=BB211_14 Depth=1
	v_and_b32_e32 v30, 0xffff, v31
	v_and_b32_e32 v32, 0x7f, v30
	v_cmp_ne_u32_e32 vcc, s61, v32
	v_mov_b32_e32 v66, 0x7f800001
	s_and_saveexec_b64 s[50:51], vcc
	s_cbranch_execz .LBB211_135
; %bb.134:                              ;   in Loop: Header=BB211_14 Depth=1
	v_and_b32_e32 v66, 7, v30
	v_ffbh_u32_e32 v68, v66
	v_min_u32_e32 v71, 32, v68
	v_subrev_u32_e32 v68, 28, v71
	v_lshlrev_b64 v[68:69], v68, v[30:31]
	v_lshrrev_b32_e32 v70, 3, v32
	v_sub_u32_e32 v30, 29, v71
	v_and_b32_e32 v68, 7, v68
	v_cmp_gt_u32_e32 vcc, 8, v32
	v_cndmask_b32_e32 v30, v70, v30, vcc
	v_cndmask_b32_e32 v32, v66, v68, vcc
	v_lshlrev_b32_e32 v31, 24, v31
	v_lshlrev_b32_e32 v32, 20, v32
	v_and_b32_e32 v31, 0x80000000, v31
	v_lshl_add_u32 v30, v30, 23, v46
	v_or3_b32 v66, v31, v30, v32
.LBB211_135:                            ;   in Loop: Header=BB211_14 Depth=1
	s_or_b64 exec, exec, s[50:51]
.LBB211_136:                            ;   in Loop: Header=BB211_14 Depth=1
	s_or_b64 exec, exec, s[48:49]
.LBB211_137:                            ;   in Loop: Header=BB211_14 Depth=1
	s_or_b64 exec, exec, s[46:47]
	s_waitcnt lgkmcnt(0)
	v_mul_f32_e32 v50, s62, v50
	v_mul_f32_e32 v51, s62, v51
	;; [unrolled: 1-line block ×4, first 2 shown]
	v_fmac_f32_e32 v19, v18, v51
	v_mul_f32_e32 v52, s62, v52
	v_fmac_f32_e32 v19, v20, v53
	v_mul_f32_e32 v55, s62, v55
	;; [unrolled: 2-line block ×12, first 2 shown]
	v_mul_f32_e32 v34, s62, v65
	v_fmac_f32_e32 v19, v7, v62
	v_mul_f32_e32 v31, s62, v33
	v_mul_f32_e32 v33, s62, v64
	v_fmac_f32_e32 v19, v8, v34
	v_and_b32_e32 v64, 64, v47
	v_fmac_f32_e32 v19, v9, v33
	v_add_u32_e32 v64, 64, v64
	v_xor_b32_e32 v65, 2, v47
	v_fmac_f32_e32 v19, v2, v32
	v_mul_f32_e32 v30, s62, v67
	v_cmp_lt_i32_e32 vcc, v65, v64
	v_fmac_f32_e32 v19, v3, v31
	v_cndmask_b32_e32 v65, v47, v65, vcc
	v_mul_f32_e32 v66, s62, v66
	v_fmac_f32_e32 v19, v4, v30
	v_lshlrev_b32_e32 v65, 2, v65
	v_fmac_f32_e32 v19, v5, v66
	ds_bpermute_b32 v2, v65, v19
	v_xor_b32_e32 v3, 1, v47
	v_cmp_lt_i32_e32 vcc, v3, v64
	v_cndmask_b32_e32 v3, v47, v3, vcc
	v_lshlrev_b32_e32 v3, 2, v3
	s_waitcnt lgkmcnt(0)
	v_add_f32_e32 v2, v19, v2
	ds_bpermute_b32 v3, v3, v2
	s_and_saveexec_b64 s[46:47], s[2:3]
	s_cbranch_execz .LBB211_12
; %bb.138:                              ;   in Loop: Header=BB211_14 Depth=1
	v_add_u32_e32 v4, v44, v42
	v_cvt_f32_i32_e32 v4, v4
	s_waitcnt lgkmcnt(0)
	v_add_f32_e32 v2, v2, v3
	v_add_u32_e32 v5, v38, v42
	v_cmp_gt_i32_e32 vcc, s33, v5
	v_mul_f32_e32 v3, s56, v4
	v_cndmask_b32_e64 v3, 0, v3, s[4:5]
	v_fmac_f32_e32 v3, s43, v2
	v_cndmask_b32_e32 v2, 0, v3, vcc
	ds_write_b32 v43, v2
	v_max_f32_e32 v2, v40, v40
	v_max_f32_e32 v2, v2, v3
	v_cndmask_b32_e32 v40, v40, v2, vcc
	s_branch .LBB211_12
.LBB211_139:
	s_or_b64 exec, exec, s[44:45]
.LBB211_140:
	s_or_b64 exec, exec, s[14:15]
	v_mbcnt_hi_u32_b32 v2, -1, v37
	s_waitcnt lgkmcnt(0)
	v_and_b32_e32 v3, 64, v2
	v_add_u32_e32 v3, 64, v3
	v_xor_b32_e32 v4, 32, v2
	v_cmp_lt_i32_e32 vcc, v4, v3
	v_cndmask_b32_e32 v4, v2, v4, vcc
	v_lshlrev_b32_e32 v5, 2, v4
	ds_bpermute_b32 v4, v5, v40
	v_xor_b32_e32 v7, 16, v2
	v_max_f32_e32 v6, v40, v40
	v_cmp_lt_i32_e32 vcc, v7, v3
	v_xor_b32_e32 v8, 8, v2
	s_waitcnt lgkmcnt(0)
	v_max_f32_e32 v4, v4, v4
	v_max_f32_e32 v4, v6, v4
	v_cndmask_b32_e32 v6, v2, v7, vcc
	v_lshlrev_b32_e32 v6, 2, v6
	ds_bpermute_b32 v7, v6, v4
	v_cmp_lt_i32_e32 vcc, v8, v3
	v_and_b32_e32 v49, 63, v0
	s_waitcnt lgkmcnt(0)
	v_max_f32_e32 v7, v7, v7
	v_max_f32_e32 v4, v4, v7
	v_cndmask_b32_e32 v7, v2, v8, vcc
	v_lshlrev_b32_e32 v10, 2, v7
	ds_bpermute_b32 v7, v10, v4
	v_xor_b32_e32 v8, 4, v2
	v_cmp_lt_i32_e32 vcc, v8, v3
	s_waitcnt lgkmcnt(0)
	v_max_f32_e32 v7, v7, v7
	v_max_f32_e32 v4, v4, v7
	v_cndmask_b32_e32 v7, v2, v8, vcc
	v_lshlrev_b32_e32 v11, 2, v7
	ds_bpermute_b32 v7, v11, v4
	v_cmp_eq_u32_e32 vcc, 0, v49
	v_lshlrev_b32_e32 v8, 2, v36
	s_and_saveexec_b64 s[2:3], vcc
	s_cbranch_execz .LBB211_142
; %bb.141:
	s_waitcnt lgkmcnt(0)
	v_max_f32_e32 v7, v7, v7
	v_max_f32_e32 v4, v4, v4
	;; [unrolled: 1-line block ×3, first 2 shown]
	ds_write_b32 v8, v4 offset:320
.LBB211_142:
	s_or_b64 exec, exec, s[2:3]
	v_cmp_gt_u32_e64 s[2:3], 2, v49
	v_mov_b32_e32 v4, 0xff7fffff
	v_lshlrev_b32_e32 v9, 2, v49
	s_waitcnt lgkmcnt(0)
	s_barrier
	s_and_saveexec_b64 s[4:5], s[2:3]
	s_cbranch_execz .LBB211_144
; %bb.143:
	ds_read_b32 v4, v9 offset:320
.LBB211_144:
	s_or_b64 exec, exec, s[4:5]
	v_xor_b32_e32 v7, 1, v2
	v_cmp_lt_i32_e64 s[4:5], v7, v3
	v_cndmask_b32_e64 v7, v2, v7, s[4:5]
	v_lshlrev_b32_e32 v7, 2, v7
	s_waitcnt lgkmcnt(0)
	ds_bpermute_b32 v12, v7, v4
	v_max_f32_e32 v4, v4, v4
	s_sub_i32 s4, s54, s12
	s_lshl_b32 s4, s4, 4
	s_add_i32 s4, s4, s55
	s_waitcnt lgkmcnt(0)
	v_max_f32_e32 v12, v12, v12
	v_max_f32_e32 v4, v4, v12
	v_lshlrev_b32_e32 v12, 2, v2
	v_and_b32_e32 v12, 0x100, v12
	ds_bpermute_b32 v4, v12, v4
	s_min_i32 s43, s4, s33
	s_sub_i32 s12, s43, s55
	v_cmp_gt_i32_e64 s[4:5], s12, v0
	v_mov_b32_e32 v13, 0
	s_and_saveexec_b64 s[14:15], s[4:5]
	s_cbranch_execz .LBB211_148
; %bb.145:
	v_mov_b32_e32 v13, 0x150
	v_lshl_add_u32 v14, v0, 2, v13
	s_mov_b64 s[16:17], 0
	v_mov_b32_e32 v13, 0
	v_mov_b32_e32 v15, v0
.LBB211_146:                            ; =>This Inner Loop Header: Depth=1
	ds_read_b32 v16, v14
	v_add_u32_e32 v15, 0x80, v15
	v_cmp_le_i32_e64 s[10:11], s12, v15
	s_or_b64 s[16:17], s[10:11], s[16:17]
	s_waitcnt lgkmcnt(0)
	v_sub_f32_e32 v16, v16, v4
	v_mul_f32_e32 v16, 0x3fb8aa3b, v16
	v_exp_f32_e32 v16, v16
	ds_write_b32 v14, v16
	v_add_f32_e32 v13, v13, v16
	v_add_u32_e32 v14, 0x200, v14
	s_andn2_b64 exec, exec, s[16:17]
	s_cbranch_execnz .LBB211_146
; %bb.147:
	s_or_b64 exec, exec, s[16:17]
.LBB211_148:
	s_or_b64 exec, exec, s[14:15]
	ds_bpermute_b32 v5, v5, v13
	s_waitcnt lgkmcnt(0)
	v_add_f32_e32 v5, v13, v5
	ds_bpermute_b32 v6, v6, v5
	s_waitcnt lgkmcnt(0)
	v_add_f32_e32 v5, v5, v6
	ds_bpermute_b32 v6, v10, v5
	v_xor_b32_e32 v10, 2, v2
	v_cmp_lt_i32_e64 s[10:11], v10, v3
	v_cndmask_b32_e64 v2, v2, v10, s[10:11]
	v_lshlrev_b32_e32 v50, 2, v2
	s_waitcnt lgkmcnt(0)
	v_add_f32_e32 v5, v5, v6
	ds_bpermute_b32 v6, v11, v5
	s_waitcnt lgkmcnt(0)
	v_add_f32_e32 v3, v5, v6
	ds_bpermute_b32 v2, v50, v3
	;; [unrolled: 3-line block ×3, first 2 shown]
	s_waitcnt lgkmcnt(0)
	v_add_f32_e32 v2, v2, v3
	s_and_saveexec_b64 s[10:11], vcc
	s_cbranch_execz .LBB211_150
; %bb.149:
	ds_write_b32 v8, v2 offset:328
.LBB211_150:
	s_or_b64 exec, exec, s[10:11]
	s_waitcnt lgkmcnt(0)
	s_barrier
	s_and_saveexec_b64 s[10:11], s[2:3]
	s_cbranch_execz .LBB211_152
; %bb.151:
	ds_read_b32 v2, v9 offset:328
.LBB211_152:
	s_or_b64 exec, exec, s[10:11]
	s_waitcnt lgkmcnt(0)
	ds_bpermute_b32 v3, v7, v2
	s_waitcnt lgkmcnt(0)
	v_add_f32_e32 v2, v2, v3
	ds_bpermute_b32 v5, v12, v2
	s_and_saveexec_b64 s[2:3], s[4:5]
	s_cbranch_execz .LBB211_165
; %bb.153:
	s_waitcnt lgkmcnt(0)
	v_add_f32_e32 v2, 0x358637bd, v5
	v_div_scale_f32 v3, s[4:5], v2, v2, 1.0
	v_rcp_f32_e32 v6, v3
	v_div_scale_f32 v8, vcc, 1.0, v2, 1.0
	s_movk_i32 s4, 0x7f
	v_fma_f32 v9, -v3, v6, 1.0
	v_fmac_f32_e32 v6, v9, v6
	v_mul_f32_e32 v9, v8, v6
	v_fma_f32 v10, -v3, v9, v8
	v_fmac_f32_e32 v9, v10, v6
	v_fma_f32 v3, -v3, v9, v8
	v_div_fmas_f32 v3, v3, v6, v9
	v_div_fixup_f32 v2, v3, v2, 1.0
	v_xad_u32 v3, v0, -1, s43
	v_subrev_u32_e32 v6, s55, v3
	v_cmp_lt_u32_e32 vcc, s4, v6
	s_mov_b64 s[10:11], -1
	v_mov_b32_e32 v3, v0
	s_and_saveexec_b64 s[4:5], vcc
	s_cbranch_execz .LBB211_162
; %bb.154:
	v_lshrrev_b32_e32 v6, 7, v6
	v_add_u32_e32 v9, -1, v6
	v_lshrrev_b32_e32 v8, 1, v9
	v_mov_b32_e32 v3, v2
	v_add_u32_e32 v8, 1, v8
	v_cmp_lt_u32_e32 vcc, 13, v9
	v_mov_b32_e32 v11, 0
	s_and_saveexec_b64 s[10:11], vcc
	s_cbranch_execz .LBB211_158
; %bb.155:
	v_mov_b32_e32 v10, 0x150
	v_and_b32_e32 v9, -8, v8
	v_lshl_add_u32 v10, v0, 2, v10
	s_mov_b32 s16, 0
	s_mov_b64 s[14:15], 0
.LBB211_156:                            ; =>This Inner Loop Header: Depth=1
	ds_read2st64_b32 v[12:13], v10 offset1:2
	ds_read2st64_b32 v[14:15], v10 offset0:4 offset1:6
	ds_read2st64_b32 v[16:17], v10 offset0:8 offset1:10
	;; [unrolled: 1-line block ×3, first 2 shown]
	v_add_u32_e32 v9, -8, v9
	s_waitcnt lgkmcnt(3)
	v_pk_mul_f32 v[12:13], v[2:3], v[12:13]
	s_waitcnt lgkmcnt(2)
	v_pk_mul_f32 v[14:15], v[2:3], v[14:15]
	ds_write2st64_b32 v10, v12, v13 offset1:2
	ds_write2st64_b32 v10, v14, v15 offset0:4 offset1:6
	ds_read2st64_b32 v[14:15], v10 offset0:16 offset1:18
	s_waitcnt lgkmcnt(4)
	v_pk_mul_f32 v[12:13], v[2:3], v[16:17]
	ds_write2st64_b32 v10, v12, v13 offset0:8 offset1:10
	s_waitcnt lgkmcnt(4)
	v_pk_mul_f32 v[12:13], v[2:3], v[18:19]
	ds_write2st64_b32 v10, v12, v13 offset0:12 offset1:14
	ds_read2st64_b32 v[12:13], v10 offset0:20 offset1:22
	s_waitcnt lgkmcnt(3)
	v_pk_mul_f32 v[14:15], v[2:3], v[14:15]
	ds_read2st64_b32 v[16:17], v10 offset0:24 offset1:26
	ds_write2st64_b32 v10, v14, v15 offset0:16 offset1:18
	ds_read2st64_b32 v[14:15], v10 offset0:28 offset1:30
	s_waitcnt lgkmcnt(3)
	v_pk_mul_f32 v[12:13], v[2:3], v[12:13]
	ds_write2st64_b32 v10, v12, v13 offset0:20 offset1:22
	s_waitcnt lgkmcnt(3)
	v_pk_mul_f32 v[12:13], v[2:3], v[16:17]
	ds_write2st64_b32 v10, v12, v13 offset0:24 offset1:26
	s_waitcnt lgkmcnt(2)
	v_pk_mul_f32 v[12:13], v[2:3], v[14:15]
	s_add_i32 s16, s16, 16
	v_cmp_eq_u32_e32 vcc, 0, v9
	ds_write2st64_b32 v10, v12, v13 offset0:28 offset1:30
	v_add_u32_e32 v10, 0x2000, v10
	s_or_b64 s[14:15], vcc, s[14:15]
	v_mov_b32_e32 v11, s16
	s_andn2_b64 exec, exec, s[14:15]
	s_cbranch_execnz .LBB211_156
; %bb.157:
	s_or_b64 exec, exec, s[14:15]
.LBB211_158:
	s_or_b64 exec, exec, s[10:11]
	v_and_b32_e32 v8, 7, v8
	v_cmp_ne_u32_e32 vcc, 0, v8
	s_and_saveexec_b64 s[10:11], vcc
	s_cbranch_execz .LBB211_161
; %bb.159:
	v_lshlrev_b32_e32 v9, 9, v11
	s_movk_i32 s14, 0x150
	v_add3_u32 v9, v9, v35, s14
	s_mov_b64 s[14:15], 0
.LBB211_160:                            ; =>This Inner Loop Header: Depth=1
	ds_read2st64_b32 v[10:11], v9 offset1:2
	v_add_u32_e32 v8, -1, v8
	v_cmp_eq_u32_e32 vcc, 0, v8
	s_or_b64 s[14:15], vcc, s[14:15]
	s_waitcnt lgkmcnt(0)
	v_pk_mul_f32 v[10:11], v[2:3], v[10:11]
	ds_write2st64_b32 v9, v10, v11 offset1:2
	v_add_u32_e32 v9, 0x400, v9
	s_andn2_b64 exec, exec, s[14:15]
	s_cbranch_execnz .LBB211_160
.LBB211_161:
	s_or_b64 exec, exec, s[10:11]
	v_add_u32_e32 v6, 1, v6
	v_and_b32_e32 v8, 0x3fffffe, v6
	v_cmp_ne_u32_e32 vcc, v6, v8
	v_lshl_add_u32 v3, v8, 7, v0
	s_orn2_b64 s[10:11], vcc, exec
.LBB211_162:
	s_or_b64 exec, exec, s[4:5]
	s_and_b64 exec, exec, s[10:11]
	s_cbranch_execz .LBB211_165
; %bb.163:
	v_mov_b32_e32 v6, 0x150
	v_lshl_add_u32 v6, v3, 2, v6
	s_mov_b64 s[4:5], 0
.LBB211_164:                            ; =>This Inner Loop Header: Depth=1
	ds_read_b32 v8, v6
	v_add_u32_e32 v3, 0x80, v3
	v_cmp_le_i32_e32 vcc, s12, v3
	s_or_b64 s[4:5], vcc, s[4:5]
	s_waitcnt lgkmcnt(0)
	v_mul_f32_e32 v8, v2, v8
	ds_write_b32 v6, v8
	v_add_u32_e32 v6, 0x200, v6
	s_andn2_b64 exec, exec, s[4:5]
	s_cbranch_execnz .LBB211_164
.LBB211_165:
	s_or_b64 exec, exec, s[2:3]
	s_mul_i32 s2, s29, s34
	v_cmp_eq_u32_e32 vcc, 0, v0
	s_mul_i32 s2, s2, s9
	s_waitcnt lgkmcnt(0)
	s_barrier
	s_and_saveexec_b64 s[4:5], vcc
	s_cbranch_execz .LBB211_167
; %bb.166:
	s_ashr_i32 s3, s2, 31
	s_lshl_b64 s[10:11], s[2:3], 2
	s_add_u32 s3, s26, s10
	s_mul_i32 s14, s29, s6
	s_addc_u32 s9, s27, s11
	s_ashr_i32 s15, s14, 31
	s_lshl_b64 s[14:15], s[14:15], 2
	s_add_u32 s3, s3, s14
	s_addc_u32 s6, s9, s15
	s_ashr_i32 s9, s8, 31
	s_lshl_b64 s[16:17], s[8:9], 2
	s_add_u32 s26, s3, s16
	s_addc_u32 s27, s6, s17
	s_add_u32 s3, s24, s10
	s_addc_u32 s6, s25, s11
	;; [unrolled: 2-line block ×3, first 2 shown]
	s_add_u32 s10, s3, s16
	v_mov_b32_e32 v2, 0
	s_addc_u32 s11, s6, s17
	global_store_dword v2, v4, s[26:27]
	global_store_dword v2, v5, s[10:11]
.LBB211_167:
	s_or_b64 exec, exec, s[4:5]
	s_mov_b32 s12, 0
	v_mov_b32_e32 v6, 0
	v_mov_b32_e32 v5, 0
	;; [unrolled: 1-line block ×5, first 2 shown]
	s_and_saveexec_b64 s[4:5], s[0:1]
	s_cbranch_execz .LBB211_303
; %bb.168:
	s_sub_i32 s3, s20, s21
	s_ashr_i32 s0, s23, 31
	s_add_u32 s1, s40, s23
	s_addc_u32 s0, s41, s0
	s_abs_i32 s9, s22
	v_cvt_f32_u32_e32 v2, s9
	s_sub_i32 s6, 0, s9
	v_and_b32_e32 v3, 0xfc, v35
	s_add_i32 s27, s7, -1
	v_rcp_iflag_f32_e32 v2, v2
	v_mov_b32_e32 v4, s0
	v_add_co_u32_e32 v12, vcc, s1, v3
	v_mul_f32_e32 v2, 0x4f7ffffe, v2
	v_cvt_u32_f32_e32 v2, v2
	s_lshl_b64 s[0:1], s[38:39], 2
	v_addc_co_u32_e32 v13, vcc, 0, v4, vcc
	v_mul_lo_u32 v5, s6, v2
	v_mul_hi_u32 v5, v2, v5
	v_add_u32_e32 v52, v2, v5
	v_lshlrev_b64 v[2:3], 2, v[24:25]
	s_add_u32 s0, s36, s0
	s_addc_u32 s1, s37, s1
	v_add_co_u32_e32 v14, vcc, s0, v2
	v_lshlrev_b32_e32 v2, 4, v22
	v_mov_b32_e32 v4, s1
	v_lshl_or_b32 v2, v36, 6, v2
	s_mov_b32 s26, s13
	v_addc_co_u32_e32 v15, vcc, v4, v3, vcc
	v_add_u32_e32 v25, 0x150, v2
	s_mov_b32 s13, s12
	s_mov_b32 s14, s12
	s_mov_b32 s15, s12
	s_mov_b32 s16, s12
	v_mov_b32_e32 v2, s12
	v_and_b32_e32 v51, 12, v35
	s_mov_b64 s[6:7], 0
	v_mov_b32_e32 v3, s13
	v_mov_b32_e32 v4, s14
	;; [unrolled: 1-line block ×4, first 2 shown]
	s_movk_i32 s34, 0x80
	s_movk_i32 s36, 0x7f
	v_mov_b32_e32 v17, 0
	s_brev_b32 s13, 1
	s_mov_b32 s11, 0x7f800001
	s_mov_b32 s37, 0xffffff
	v_bfrev_b32_e32 v53, 60
	v_mov_b32_e32 v54, 7
	v_mov_b32_e32 v55, 24
	s_branch .LBB211_171
.LBB211_169:                            ;   in Loop: Header=BB211_171 Depth=1
	s_or_b64 exec, exec, s[0:1]
	v_mul_f32_e32 v16, v9, v19
	v_fmac_f32_e32 v16, v8, v18
	v_fmac_f32_e32 v16, v10, v20
	v_fmac_f32_e32 v16, v11, v21
	v_add_f32_e32 v2, v2, v16
	v_mul_f32_e32 v16, v9, v29
	v_fmac_f32_e32 v16, v8, v28
	v_fmac_f32_e32 v16, v10, v30
	v_fmac_f32_e32 v16, v11, v31
	v_add_f32_e32 v3, v3, v16
	;; [unrolled: 5-line block ×3, first 2 shown]
	v_mul_f32_e32 v16, v9, v37
	v_mul_f32_e32 v9, v9, v27
	v_fmac_f32_e32 v16, v8, v36
	v_fmac_f32_e32 v9, v8, v26
	;; [unrolled: 1-line block ×6, first 2 shown]
	v_add_f32_e32 v5, v5, v16
	v_add_f32_e32 v6, v6, v9
.LBB211_170:                            ;   in Loop: Header=BB211_171 Depth=1
	s_or_b64 exec, exec, s[14:15]
	v_add_co_u32_e32 v14, vcc, 8, v14
	v_add_u32_e32 v24, 2, v24
	v_addc_co_u32_e32 v15, vcc, 0, v15, vcc
	v_cmp_le_i32_e32 vcc, s54, v24
	v_add_u32_e32 v48, 32, v48
	s_or_b64 s[6:7], vcc, s[6:7]
	v_add_u32_e32 v25, 0x80, v25
	s_andn2_b64 exec, exec, s[6:7]
	s_cbranch_execz .LBB211_302
.LBB211_171:                            ; =>This Inner Loop Header: Depth=1
	v_sub_u32_e32 v9, 0, v48
	v_max_i32_e32 v9, v48, v9
	v_mul_hi_u32 v10, v9, s52
	v_mul_lo_u32 v11, v10, s35
	v_sub_u32_e32 v9, v9, v11
	v_add_u32_e32 v11, 1, v10
	v_cmp_le_u32_e32 vcc, s35, v9
	v_cndmask_b32_e32 v10, v10, v11, vcc
	v_subrev_u32_e32 v11, s35, v9
	v_cndmask_b32_e32 v9, v9, v11, vcc
	v_ashrrev_i32_e32 v8, 31, v48
	v_add_u32_e32 v11, 1, v10
	v_cmp_le_u32_e32 vcc, s35, v9
	v_xor_b32_e32 v8, s53, v8
	v_cndmask_b32_e32 v9, v10, v11, vcc
	v_xor_b32_e32 v9, v9, v8
	v_sub_u32_e32 v8, v9, v8
	v_add_u32_e32 v9, s42, v8
	v_sub_u32_e32 v11, 0, v9
	v_ashrrev_i32_e32 v10, 31, v9
	v_max_i32_e32 v9, v9, v11
	v_mul_hi_u32 v11, v9, v52
	v_mul_lo_u32 v11, v11, s9
	v_sub_u32_e32 v9, v9, v11
	v_subrev_u32_e32 v11, s9, v9
	v_cmp_le_u32_e32 vcc, s9, v9
	v_cndmask_b32_e32 v9, v9, v11, vcc
	v_subrev_u32_e32 v11, s9, v9
	v_cmp_le_u32_e32 vcc, s9, v9
	v_cndmask_b32_e32 v9, v9, v11, vcc
	v_xor_b32_e32 v9, v9, v10
	v_sub_u32_e32 v9, v9, v10
	v_cmp_eq_u32_e32 vcc, 0, v9
	v_cmp_lt_i32_e64 s[0:1], s3, v8
	s_or_b64 s[0:1], vcc, s[0:1]
	s_and_saveexec_b64 s[14:15], s[0:1]
	s_cbranch_execz .LBB211_170
; %bb.172:                              ;   in Loop: Header=BB211_171 Depth=1
	global_load_dword v8, v[14:15], off
	s_load_dword s16, s[18:19], 0x0
	v_pk_mov_b32 v[28:29], 0, 0
	v_pk_mov_b32 v[20:21], v[28:29], v[28:29] op_sel:[0,1]
	s_waitcnt vmcnt(0)
	v_mad_i64_i32 v[26:27], s[0:1], v8, s26, v[12:13]
	global_load_dword v18, v[26:27], off
	ds_read_b128 v[8:11], v25
	s_waitcnt vmcnt(0)
	v_cmp_ne_u16_sdwa s[20:21], v18, v17 src0_sel:BYTE_0 src1_sel:DWORD
	s_and_saveexec_b64 s[0:1], s[20:21]
	s_cbranch_execz .LBB211_178
; %bb.173:                              ;   in Loop: Header=BB211_171 Depth=1
	v_bfrev_b32_e32 v20, 1
	v_cmp_ne_u16_sdwa s[22:23], v18, s34 src0_sel:BYTE_0 src1_sel:DWORD
	v_mov_b32_e32 v21, 0
	s_and_saveexec_b64 s[20:21], s[22:23]
	s_cbranch_execz .LBB211_177
; %bb.174:                              ;   in Loop: Header=BB211_171 Depth=1
	v_and_b32_e32 v16, 0x7f, v18
	v_mov_b32_e32 v20, 0x7f800001
	v_cmp_ne_u32_e32 vcc, s36, v16
	v_mov_b32_e32 v21, 0
	s_and_saveexec_b64 s[22:23], vcc
	s_cbranch_execz .LBB211_176
; %bb.175:                              ;   in Loop: Header=BB211_171 Depth=1
	v_and_b32_e32 v19, 7, v18
	v_ffbh_u32_e32 v20, v19
	v_min_u32_e32 v31, 32, v20
	v_subrev_u32_e32 v20, 28, v31
	v_lshlrev_b64 v[20:21], v20, v[18:19]
	v_lshrrev_b32_e32 v30, 3, v16
	v_sub_u32_e32 v21, 29, v31
	v_and_b32_e32 v20, 7, v20
	v_cmp_gt_u32_e32 vcc, 8, v16
	v_cndmask_b32_e32 v16, v30, v21, vcc
	v_cndmask_b32_e32 v19, v19, v20, vcc
	v_lshlrev_b32_e32 v19, 20, v19
	v_and_b32_sdwa v20, sext(v18), s13 dst_sel:DWORD dst_unused:UNUSED_PAD src0_sel:BYTE_0 src1_sel:DWORD
	v_lshl_add_u32 v16, v16, 23, v53
	v_or3_b32 v16, v20, v16, v19
	v_pk_mov_b32 v[20:21], v[16:17], v[16:17] op_sel:[0,1]
.LBB211_176:                            ;   in Loop: Header=BB211_171 Depth=1
	s_or_b64 exec, exec, s[22:23]
.LBB211_177:                            ;   in Loop: Header=BB211_171 Depth=1
	s_or_b64 exec, exec, s[20:21]
.LBB211_178:                            ;   in Loop: Header=BB211_171 Depth=1
	s_or_b64 exec, exec, s[0:1]
	v_cmp_ne_u16_sdwa s[20:21], v18, v17 src0_sel:BYTE_1 src1_sel:DWORD
	s_and_saveexec_b64 s[0:1], s[20:21]
	s_cbranch_execz .LBB211_184
; %bb.179:                              ;   in Loop: Header=BB211_171 Depth=1
	v_cmp_ne_u16_sdwa s[22:23], v18, s34 src0_sel:BYTE_1 src1_sel:DWORD
	v_pk_mov_b32 v[28:29], s[12:13], s[12:13] op_sel:[0,1]
	s_and_saveexec_b64 s[20:21], s[22:23]
	s_cbranch_execz .LBB211_183
; %bb.180:                              ;   in Loop: Header=BB211_171 Depth=1
	v_and_b32_sdwa v19, v18, s36 dst_sel:DWORD dst_unused:UNUSED_PAD src0_sel:BYTE_1 src1_sel:DWORD
	s_mov_b32 s10, s12
	v_cmp_ne_u32_e32 vcc, s36, v19
	v_pk_mov_b32 v[28:29], s[10:11], s[10:11] op_sel:[0,1]
	s_and_saveexec_b64 s[22:23], vcc
	s_cbranch_execz .LBB211_182
; %bb.181:                              ;   in Loop: Header=BB211_171 Depth=1
	v_and_b32_sdwa v16, v18, v54 dst_sel:DWORD dst_unused:UNUSED_PAD src0_sel:BYTE_1 src1_sel:DWORD
	v_ffbh_u32_e32 v28, v16
	v_min_u32_e32 v31, 32, v28
	v_subrev_u32_e32 v28, 28, v31
	v_lshlrev_b64 v[28:29], v28, v[16:17]
	v_lshrrev_b32_e32 v30, 3, v19
	v_sub_u32_e32 v29, 29, v31
	v_cmp_gt_u32_e32 vcc, 8, v19
	v_and_b32_e32 v28, 7, v28
	v_cndmask_b32_e32 v19, v30, v29, vcc
	v_cndmask_b32_e32 v16, v16, v28, vcc
	v_lshlrev_b32_e32 v28, 16, v18
	v_lshl_add_u32 v19, v19, 23, v53
	v_and_or_b32 v19, v28, s13, v19
	v_lshlrev_b32_e32 v16, 20, v16
	v_or_b32_e32 v29, v19, v16
	v_mov_b32_e32 v28, v17
.LBB211_182:                            ;   in Loop: Header=BB211_171 Depth=1
	s_or_b64 exec, exec, s[22:23]
.LBB211_183:                            ;   in Loop: Header=BB211_171 Depth=1
	s_or_b64 exec, exec, s[20:21]
.LBB211_184:                            ;   in Loop: Header=BB211_171 Depth=1
	s_or_b64 exec, exec, s[0:1]
	v_lshrrev_b32_e32 v16, 16, v18
	v_pk_mov_b32 v[32:33], 0, 0
	v_cmp_ne_u16_sdwa s[20:21], v16, v17 src0_sel:BYTE_0 src1_sel:DWORD
	v_pk_mov_b32 v[30:31], v[32:33], v[32:33] op_sel:[0,1]
	s_and_saveexec_b64 s[0:1], s[20:21]
	s_cbranch_execz .LBB211_190
; %bb.185:                              ;   in Loop: Header=BB211_171 Depth=1
	v_bfrev_b32_e32 v30, 1
	v_cmp_ne_u16_sdwa s[22:23], v16, s34 src0_sel:BYTE_0 src1_sel:DWORD
	v_mov_b32_e32 v31, 0
	s_and_saveexec_b64 s[20:21], s[22:23]
	s_cbranch_execz .LBB211_189
; %bb.186:                              ;   in Loop: Header=BB211_171 Depth=1
	v_bfe_u32 v19, v18, 16, 7
	v_mov_b32_e32 v30, 0x7f800001
	v_cmp_ne_u32_e32 vcc, s36, v19
	v_mov_b32_e32 v31, 0
	s_and_saveexec_b64 s[22:23], vcc
	s_cbranch_execz .LBB211_188
; %bb.187:                              ;   in Loop: Header=BB211_171 Depth=1
	v_and_b32_e32 v34, 7, v16
	v_ffbh_u32_e32 v30, v34
	v_min_u32_e32 v36, 32, v30
	v_subrev_u32_e32 v30, 28, v36
	v_lshlrev_b64 v[30:31], v30, v[16:17]
	v_lshrrev_b32_e32 v35, 3, v19
	v_sub_u32_e32 v31, 29, v36
	v_and_b32_e32 v30, 7, v30
	v_cmp_gt_u32_e32 vcc, 8, v19
	v_cndmask_b32_e32 v19, v35, v31, vcc
	v_cndmask_b32_e32 v30, v34, v30, vcc
	v_lshlrev_b32_e32 v30, 20, v30
	v_and_b32_sdwa v16, sext(v16), s13 dst_sel:DWORD dst_unused:UNUSED_PAD src0_sel:BYTE_0 src1_sel:DWORD
	v_lshl_add_u32 v19, v19, 23, v53
	v_or3_b32 v16, v16, v19, v30
	v_pk_mov_b32 v[30:31], v[16:17], v[16:17] op_sel:[0,1]
.LBB211_188:                            ;   in Loop: Header=BB211_171 Depth=1
	s_or_b64 exec, exec, s[22:23]
.LBB211_189:                            ;   in Loop: Header=BB211_171 Depth=1
	s_or_b64 exec, exec, s[20:21]
.LBB211_190:                            ;   in Loop: Header=BB211_171 Depth=1
	s_or_b64 exec, exec, s[0:1]
	v_cmp_lt_u32_e32 vcc, s37, v18
	s_and_saveexec_b64 s[0:1], vcc
	s_cbranch_execz .LBB211_196
; %bb.191:                              ;   in Loop: Header=BB211_171 Depth=1
	v_cmp_ne_u32_sdwa s[22:23], v18, s34 src0_sel:BYTE_3 src1_sel:DWORD
	v_pk_mov_b32 v[32:33], s[12:13], s[12:13] op_sel:[0,1]
	s_and_saveexec_b64 s[20:21], s[22:23]
	s_cbranch_execz .LBB211_195
; %bb.192:                              ;   in Loop: Header=BB211_171 Depth=1
	v_bfe_u32 v19, v18, 24, 7
	s_mov_b32 s10, s12
	v_cmp_ne_u32_e32 vcc, s36, v19
	v_pk_mov_b32 v[32:33], s[10:11], s[10:11] op_sel:[0,1]
	s_and_saveexec_b64 s[22:23], vcc
	s_cbranch_execz .LBB211_194
; %bb.193:                              ;   in Loop: Header=BB211_171 Depth=1
	v_and_b32_sdwa v16, v18, v54 dst_sel:DWORD dst_unused:UNUSED_PAD src0_sel:BYTE_3 src1_sel:DWORD
	v_ffbh_u32_e32 v32, v16
	v_min_u32_e32 v35, 32, v32
	v_subrev_u32_e32 v32, 28, v35
	v_lshlrev_b64 v[32:33], v32, v[16:17]
	v_lshrrev_b32_e32 v34, 3, v19
	v_sub_u32_e32 v33, 29, v35
	v_cmp_gt_u32_e32 vcc, 8, v19
	v_and_b32_e32 v32, 7, v32
	v_cndmask_b32_e32 v19, v34, v33, vcc
	v_cndmask_b32_e32 v16, v16, v32, vcc
	v_lshlrev_b32_sdwa v18, v55, v18 dst_sel:DWORD dst_unused:UNUSED_PAD src0_sel:DWORD src1_sel:BYTE_3
	v_lshl_add_u32 v19, v19, 23, v53
	v_and_or_b32 v18, v18, s13, v19
	v_lshlrev_b32_e32 v16, 20, v16
	v_or_b32_e32 v33, v18, v16
	v_mov_b32_e32 v32, v17
.LBB211_194:                            ;   in Loop: Header=BB211_171 Depth=1
	s_or_b64 exec, exec, s[22:23]
.LBB211_195:                            ;   in Loop: Header=BB211_171 Depth=1
	s_or_b64 exec, exec, s[20:21]
.LBB211_196:                            ;   in Loop: Header=BB211_171 Depth=1
	s_or_b64 exec, exec, s[0:1]
	v_add_u32_e32 v56, v51, v48
	v_or_b32_e32 v19, v29, v21
	v_or_b32_e32 v18, v28, v20
	;; [unrolled: 1-line block ×4, first 2 shown]
	v_cmp_eq_u32_e32 vcc, s27, v24
	s_waitcnt lgkmcnt(0)
	v_pk_mul_f32 v[18:19], s[16:17], v[18:19] op_sel_hi:[0,1]
	v_pk_mul_f32 v[20:21], s[16:17], v[20:21] op_sel_hi:[0,1]
	v_add_u32_e32 v59, 1, v56
	v_add_u32_e32 v58, 2, v56
	;; [unrolled: 1-line block ×3, first 2 shown]
	s_and_saveexec_b64 s[20:21], vcc
; %bb.197:                              ;   in Loop: Header=BB211_171 Depth=1
	v_cmp_gt_i32_e64 s[0:1], s33, v56
	v_cndmask_b32_e64 v18, 0, v18, s[0:1]
	v_cmp_gt_i32_e64 s[0:1], s33, v59
	v_cndmask_b32_e64 v19, 0, v19, s[0:1]
	;; [unrolled: 2-line block ×4, first 2 shown]
; %bb.198:                              ;   in Loop: Header=BB211_171 Depth=1
	s_or_b64 exec, exec, s[20:21]
	global_load_dword v28, v[26:27], off offset:256
	v_pk_mov_b32 v[32:33], 0, 0
	v_pk_mov_b32 v[30:31], v[32:33], v[32:33] op_sel:[0,1]
	s_waitcnt vmcnt(0)
	v_cmp_ne_u16_sdwa s[0:1], v28, v17 src0_sel:BYTE_0 src1_sel:DWORD
	s_and_saveexec_b64 s[20:21], s[0:1]
	s_cbranch_execz .LBB211_204
; %bb.199:                              ;   in Loop: Header=BB211_171 Depth=1
	v_bfrev_b32_e32 v30, 1
	v_cmp_ne_u16_sdwa s[0:1], v28, s34 src0_sel:BYTE_0 src1_sel:DWORD
	v_mov_b32_e32 v31, 0
	s_and_saveexec_b64 s[22:23], s[0:1]
	s_cbranch_execz .LBB211_203
; %bb.200:                              ;   in Loop: Header=BB211_171 Depth=1
	v_and_b32_e32 v16, 0x7f, v28
	v_mov_b32_e32 v30, 0x7f800001
	v_cmp_ne_u32_e64 s[0:1], s36, v16
	v_mov_b32_e32 v31, 0
	s_and_saveexec_b64 s[24:25], s[0:1]
	s_cbranch_execz .LBB211_202
; %bb.201:                              ;   in Loop: Header=BB211_171 Depth=1
	v_and_b32_e32 v29, 7, v28
	v_ffbh_u32_e32 v30, v29
	v_min_u32_e32 v35, 32, v30
	v_subrev_u32_e32 v30, 28, v35
	v_lshlrev_b64 v[30:31], v30, v[28:29]
	v_lshrrev_b32_e32 v34, 3, v16
	v_sub_u32_e32 v31, 29, v35
	v_and_b32_e32 v30, 7, v30
	v_cmp_gt_u32_e64 s[0:1], 8, v16
	v_cndmask_b32_e64 v16, v34, v31, s[0:1]
	v_cndmask_b32_e64 v29, v29, v30, s[0:1]
	v_lshlrev_b32_e32 v29, 20, v29
	v_and_b32_sdwa v30, sext(v28), s13 dst_sel:DWORD dst_unused:UNUSED_PAD src0_sel:BYTE_0 src1_sel:DWORD
	v_lshl_add_u32 v16, v16, 23, v53
	v_or3_b32 v16, v30, v16, v29
	v_pk_mov_b32 v[30:31], v[16:17], v[16:17] op_sel:[0,1]
.LBB211_202:                            ;   in Loop: Header=BB211_171 Depth=1
	s_or_b64 exec, exec, s[24:25]
.LBB211_203:                            ;   in Loop: Header=BB211_171 Depth=1
	s_or_b64 exec, exec, s[22:23]
.LBB211_204:                            ;   in Loop: Header=BB211_171 Depth=1
	s_or_b64 exec, exec, s[20:21]
	v_cmp_ne_u16_sdwa s[0:1], v28, v17 src0_sel:BYTE_1 src1_sel:DWORD
	s_and_saveexec_b64 s[20:21], s[0:1]
	s_cbranch_execz .LBB211_210
; %bb.205:                              ;   in Loop: Header=BB211_171 Depth=1
	v_cmp_ne_u16_sdwa s[0:1], v28, s34 src0_sel:BYTE_1 src1_sel:DWORD
	v_pk_mov_b32 v[32:33], s[12:13], s[12:13] op_sel:[0,1]
	s_and_saveexec_b64 s[22:23], s[0:1]
	s_cbranch_execz .LBB211_209
; %bb.206:                              ;   in Loop: Header=BB211_171 Depth=1
	v_and_b32_sdwa v29, v28, s36 dst_sel:DWORD dst_unused:UNUSED_PAD src0_sel:BYTE_1 src1_sel:DWORD
	s_mov_b32 s10, s12
	v_cmp_ne_u32_e64 s[0:1], s36, v29
	v_pk_mov_b32 v[32:33], s[10:11], s[10:11] op_sel:[0,1]
	s_and_saveexec_b64 s[24:25], s[0:1]
	s_cbranch_execz .LBB211_208
; %bb.207:                              ;   in Loop: Header=BB211_171 Depth=1
	v_and_b32_sdwa v16, v28, v54 dst_sel:DWORD dst_unused:UNUSED_PAD src0_sel:BYTE_1 src1_sel:DWORD
	v_ffbh_u32_e32 v32, v16
	v_min_u32_e32 v35, 32, v32
	v_subrev_u32_e32 v32, 28, v35
	v_lshlrev_b64 v[32:33], v32, v[16:17]
	v_lshrrev_b32_e32 v34, 3, v29
	v_sub_u32_e32 v33, 29, v35
	v_cmp_gt_u32_e64 s[0:1], 8, v29
	v_and_b32_e32 v32, 7, v32
	v_cndmask_b32_e64 v29, v34, v33, s[0:1]
	v_cndmask_b32_e64 v16, v16, v32, s[0:1]
	v_lshlrev_b32_e32 v32, 16, v28
	v_lshl_add_u32 v29, v29, 23, v53
	v_and_or_b32 v29, v32, s13, v29
	v_lshlrev_b32_e32 v16, 20, v16
	v_or_b32_e32 v33, v29, v16
	v_mov_b32_e32 v32, v17
.LBB211_208:                            ;   in Loop: Header=BB211_171 Depth=1
	s_or_b64 exec, exec, s[24:25]
.LBB211_209:                            ;   in Loop: Header=BB211_171 Depth=1
	s_or_b64 exec, exec, s[22:23]
.LBB211_210:                            ;   in Loop: Header=BB211_171 Depth=1
	s_or_b64 exec, exec, s[20:21]
	v_lshrrev_b32_e32 v16, 16, v28
	v_pk_mov_b32 v[36:37], 0, 0
	v_cmp_ne_u16_sdwa s[0:1], v16, v17 src0_sel:BYTE_0 src1_sel:DWORD
	v_pk_mov_b32 v[34:35], v[36:37], v[36:37] op_sel:[0,1]
	s_and_saveexec_b64 s[20:21], s[0:1]
	s_cbranch_execz .LBB211_216
; %bb.211:                              ;   in Loop: Header=BB211_171 Depth=1
	v_bfrev_b32_e32 v34, 1
	v_cmp_ne_u16_sdwa s[0:1], v16, s34 src0_sel:BYTE_0 src1_sel:DWORD
	v_mov_b32_e32 v35, 0
	s_and_saveexec_b64 s[22:23], s[0:1]
	s_cbranch_execz .LBB211_215
; %bb.212:                              ;   in Loop: Header=BB211_171 Depth=1
	v_bfe_u32 v29, v28, 16, 7
	v_mov_b32_e32 v34, 0x7f800001
	v_cmp_ne_u32_e64 s[0:1], s36, v29
	v_mov_b32_e32 v35, 0
	s_and_saveexec_b64 s[24:25], s[0:1]
	s_cbranch_execz .LBB211_214
; %bb.213:                              ;   in Loop: Header=BB211_171 Depth=1
	v_and_b32_e32 v38, 7, v16
	v_ffbh_u32_e32 v34, v38
	v_min_u32_e32 v40, 32, v34
	v_subrev_u32_e32 v34, 28, v40
	v_lshlrev_b64 v[34:35], v34, v[16:17]
	v_lshrrev_b32_e32 v39, 3, v29
	v_sub_u32_e32 v35, 29, v40
	v_and_b32_e32 v34, 7, v34
	v_cmp_gt_u32_e64 s[0:1], 8, v29
	v_cndmask_b32_e64 v29, v39, v35, s[0:1]
	v_cndmask_b32_e64 v34, v38, v34, s[0:1]
	v_lshlrev_b32_e32 v34, 20, v34
	v_and_b32_sdwa v16, sext(v16), s13 dst_sel:DWORD dst_unused:UNUSED_PAD src0_sel:BYTE_0 src1_sel:DWORD
	v_lshl_add_u32 v29, v29, 23, v53
	v_or3_b32 v16, v16, v29, v34
	v_pk_mov_b32 v[34:35], v[16:17], v[16:17] op_sel:[0,1]
.LBB211_214:                            ;   in Loop: Header=BB211_171 Depth=1
	s_or_b64 exec, exec, s[24:25]
.LBB211_215:                            ;   in Loop: Header=BB211_171 Depth=1
	s_or_b64 exec, exec, s[22:23]
.LBB211_216:                            ;   in Loop: Header=BB211_171 Depth=1
	s_or_b64 exec, exec, s[20:21]
	v_cmp_lt_u32_e64 s[0:1], s37, v28
	s_and_saveexec_b64 s[20:21], s[0:1]
	s_cbranch_execz .LBB211_222
; %bb.217:                              ;   in Loop: Header=BB211_171 Depth=1
	v_cmp_ne_u32_sdwa s[0:1], v28, s34 src0_sel:BYTE_3 src1_sel:DWORD
	v_pk_mov_b32 v[36:37], s[12:13], s[12:13] op_sel:[0,1]
	s_and_saveexec_b64 s[22:23], s[0:1]
	s_cbranch_execz .LBB211_221
; %bb.218:                              ;   in Loop: Header=BB211_171 Depth=1
	v_bfe_u32 v29, v28, 24, 7
	s_mov_b32 s10, s12
	v_cmp_ne_u32_e64 s[0:1], s36, v29
	v_pk_mov_b32 v[36:37], s[10:11], s[10:11] op_sel:[0,1]
	s_and_saveexec_b64 s[24:25], s[0:1]
	s_cbranch_execz .LBB211_220
; %bb.219:                              ;   in Loop: Header=BB211_171 Depth=1
	v_and_b32_sdwa v16, v28, v54 dst_sel:DWORD dst_unused:UNUSED_PAD src0_sel:BYTE_3 src1_sel:DWORD
	v_ffbh_u32_e32 v36, v16
	v_min_u32_e32 v39, 32, v36
	v_subrev_u32_e32 v36, 28, v39
	v_lshlrev_b64 v[36:37], v36, v[16:17]
	v_lshrrev_b32_e32 v38, 3, v29
	v_sub_u32_e32 v37, 29, v39
	v_cmp_gt_u32_e64 s[0:1], 8, v29
	v_and_b32_e32 v36, 7, v36
	v_cndmask_b32_e64 v29, v38, v37, s[0:1]
	v_cndmask_b32_e64 v16, v16, v36, s[0:1]
	v_lshlrev_b32_sdwa v28, v55, v28 dst_sel:DWORD dst_unused:UNUSED_PAD src0_sel:DWORD src1_sel:BYTE_3
	v_lshl_add_u32 v29, v29, 23, v53
	v_and_or_b32 v28, v28, s13, v29
	v_lshlrev_b32_e32 v16, 20, v16
	v_or_b32_e32 v37, v28, v16
	v_mov_b32_e32 v36, v17
.LBB211_220:                            ;   in Loop: Header=BB211_171 Depth=1
	s_or_b64 exec, exec, s[24:25]
.LBB211_221:                            ;   in Loop: Header=BB211_171 Depth=1
	s_or_b64 exec, exec, s[22:23]
.LBB211_222:                            ;   in Loop: Header=BB211_171 Depth=1
	s_or_b64 exec, exec, s[20:21]
	s_mov_b32 s17, s16
	v_or_b32_e32 v29, v33, v31
	v_or_b32_e32 v28, v32, v30
	;; [unrolled: 1-line block ×4, first 2 shown]
	v_pk_mul_f32 v[28:29], s[16:17], v[28:29]
	v_pk_mul_f32 v[30:31], s[16:17], v[30:31]
	s_and_saveexec_b64 s[20:21], vcc
; %bb.223:                              ;   in Loop: Header=BB211_171 Depth=1
	v_cmp_gt_i32_e64 s[0:1], s33, v56
	v_cndmask_b32_e64 v28, 0, v28, s[0:1]
	v_cmp_gt_i32_e64 s[0:1], s33, v59
	v_cndmask_b32_e64 v29, 0, v29, s[0:1]
	;; [unrolled: 2-line block ×4, first 2 shown]
; %bb.224:                              ;   in Loop: Header=BB211_171 Depth=1
	s_or_b64 exec, exec, s[20:21]
	global_load_dword v32, v[26:27], off offset:512
	v_pk_mov_b32 v[36:37], 0, 0
	v_pk_mov_b32 v[34:35], v[36:37], v[36:37] op_sel:[0,1]
	s_waitcnt vmcnt(0)
	v_cmp_ne_u16_sdwa s[0:1], v32, v17 src0_sel:BYTE_0 src1_sel:DWORD
	s_and_saveexec_b64 s[20:21], s[0:1]
	s_cbranch_execz .LBB211_230
; %bb.225:                              ;   in Loop: Header=BB211_171 Depth=1
	v_bfrev_b32_e32 v34, 1
	v_cmp_ne_u16_sdwa s[0:1], v32, s34 src0_sel:BYTE_0 src1_sel:DWORD
	v_mov_b32_e32 v35, 0
	s_and_saveexec_b64 s[22:23], s[0:1]
	s_cbranch_execz .LBB211_229
; %bb.226:                              ;   in Loop: Header=BB211_171 Depth=1
	v_and_b32_e32 v16, 0x7f, v32
	v_mov_b32_e32 v34, 0x7f800001
	v_cmp_ne_u32_e64 s[0:1], s36, v16
	v_mov_b32_e32 v35, 0
	s_and_saveexec_b64 s[24:25], s[0:1]
	s_cbranch_execz .LBB211_228
; %bb.227:                              ;   in Loop: Header=BB211_171 Depth=1
	v_and_b32_e32 v33, 7, v32
	v_ffbh_u32_e32 v34, v33
	v_min_u32_e32 v39, 32, v34
	v_subrev_u32_e32 v34, 28, v39
	v_lshlrev_b64 v[34:35], v34, v[32:33]
	v_lshrrev_b32_e32 v38, 3, v16
	v_sub_u32_e32 v35, 29, v39
	v_and_b32_e32 v34, 7, v34
	v_cmp_gt_u32_e64 s[0:1], 8, v16
	v_cndmask_b32_e64 v16, v38, v35, s[0:1]
	v_cndmask_b32_e64 v33, v33, v34, s[0:1]
	v_lshlrev_b32_e32 v33, 20, v33
	v_and_b32_sdwa v34, sext(v32), s13 dst_sel:DWORD dst_unused:UNUSED_PAD src0_sel:BYTE_0 src1_sel:DWORD
	v_lshl_add_u32 v16, v16, 23, v53
	v_or3_b32 v16, v34, v16, v33
	v_pk_mov_b32 v[34:35], v[16:17], v[16:17] op_sel:[0,1]
.LBB211_228:                            ;   in Loop: Header=BB211_171 Depth=1
	s_or_b64 exec, exec, s[24:25]
.LBB211_229:                            ;   in Loop: Header=BB211_171 Depth=1
	s_or_b64 exec, exec, s[22:23]
.LBB211_230:                            ;   in Loop: Header=BB211_171 Depth=1
	s_or_b64 exec, exec, s[20:21]
	v_cmp_ne_u16_sdwa s[0:1], v32, v17 src0_sel:BYTE_1 src1_sel:DWORD
	s_and_saveexec_b64 s[20:21], s[0:1]
	s_cbranch_execz .LBB211_236
; %bb.231:                              ;   in Loop: Header=BB211_171 Depth=1
	v_cmp_ne_u16_sdwa s[0:1], v32, s34 src0_sel:BYTE_1 src1_sel:DWORD
	v_pk_mov_b32 v[36:37], s[12:13], s[12:13] op_sel:[0,1]
	s_and_saveexec_b64 s[22:23], s[0:1]
	s_cbranch_execz .LBB211_235
; %bb.232:                              ;   in Loop: Header=BB211_171 Depth=1
	v_and_b32_sdwa v33, v32, s36 dst_sel:DWORD dst_unused:UNUSED_PAD src0_sel:BYTE_1 src1_sel:DWORD
	s_mov_b32 s10, s12
	v_cmp_ne_u32_e64 s[0:1], s36, v33
	v_pk_mov_b32 v[36:37], s[10:11], s[10:11] op_sel:[0,1]
	s_and_saveexec_b64 s[24:25], s[0:1]
	s_cbranch_execz .LBB211_234
; %bb.233:                              ;   in Loop: Header=BB211_171 Depth=1
	v_and_b32_sdwa v16, v32, v54 dst_sel:DWORD dst_unused:UNUSED_PAD src0_sel:BYTE_1 src1_sel:DWORD
	v_ffbh_u32_e32 v36, v16
	v_min_u32_e32 v39, 32, v36
	v_subrev_u32_e32 v36, 28, v39
	v_lshlrev_b64 v[36:37], v36, v[16:17]
	v_lshrrev_b32_e32 v38, 3, v33
	v_sub_u32_e32 v37, 29, v39
	v_cmp_gt_u32_e64 s[0:1], 8, v33
	v_and_b32_e32 v36, 7, v36
	v_cndmask_b32_e64 v33, v38, v37, s[0:1]
	v_cndmask_b32_e64 v16, v16, v36, s[0:1]
	v_lshlrev_b32_e32 v36, 16, v32
	v_lshl_add_u32 v33, v33, 23, v53
	v_and_or_b32 v33, v36, s13, v33
	v_lshlrev_b32_e32 v16, 20, v16
	v_or_b32_e32 v37, v33, v16
	v_mov_b32_e32 v36, v17
.LBB211_234:                            ;   in Loop: Header=BB211_171 Depth=1
	s_or_b64 exec, exec, s[24:25]
.LBB211_235:                            ;   in Loop: Header=BB211_171 Depth=1
	s_or_b64 exec, exec, s[22:23]
.LBB211_236:                            ;   in Loop: Header=BB211_171 Depth=1
	s_or_b64 exec, exec, s[20:21]
	v_lshrrev_b32_e32 v16, 16, v32
	v_pk_mov_b32 v[40:41], 0, 0
	v_cmp_ne_u16_sdwa s[0:1], v16, v17 src0_sel:BYTE_0 src1_sel:DWORD
	v_pk_mov_b32 v[38:39], v[40:41], v[40:41] op_sel:[0,1]
	s_and_saveexec_b64 s[20:21], s[0:1]
	s_cbranch_execz .LBB211_242
; %bb.237:                              ;   in Loop: Header=BB211_171 Depth=1
	v_bfrev_b32_e32 v38, 1
	v_cmp_ne_u16_sdwa s[0:1], v16, s34 src0_sel:BYTE_0 src1_sel:DWORD
	v_mov_b32_e32 v39, 0
	s_and_saveexec_b64 s[22:23], s[0:1]
	s_cbranch_execz .LBB211_241
; %bb.238:                              ;   in Loop: Header=BB211_171 Depth=1
	v_bfe_u32 v33, v32, 16, 7
	v_mov_b32_e32 v38, 0x7f800001
	v_cmp_ne_u32_e64 s[0:1], s36, v33
	v_mov_b32_e32 v39, 0
	s_and_saveexec_b64 s[24:25], s[0:1]
	s_cbranch_execz .LBB211_240
; %bb.239:                              ;   in Loop: Header=BB211_171 Depth=1
	v_and_b32_e32 v42, 7, v16
	v_ffbh_u32_e32 v38, v42
	v_min_u32_e32 v44, 32, v38
	v_subrev_u32_e32 v38, 28, v44
	v_lshlrev_b64 v[38:39], v38, v[16:17]
	v_lshrrev_b32_e32 v43, 3, v33
	v_sub_u32_e32 v39, 29, v44
	v_and_b32_e32 v38, 7, v38
	v_cmp_gt_u32_e64 s[0:1], 8, v33
	v_cndmask_b32_e64 v33, v43, v39, s[0:1]
	v_cndmask_b32_e64 v38, v42, v38, s[0:1]
	v_lshlrev_b32_e32 v38, 20, v38
	v_and_b32_sdwa v16, sext(v16), s13 dst_sel:DWORD dst_unused:UNUSED_PAD src0_sel:BYTE_0 src1_sel:DWORD
	v_lshl_add_u32 v33, v33, 23, v53
	v_or3_b32 v16, v16, v33, v38
	v_pk_mov_b32 v[38:39], v[16:17], v[16:17] op_sel:[0,1]
.LBB211_240:                            ;   in Loop: Header=BB211_171 Depth=1
	s_or_b64 exec, exec, s[24:25]
.LBB211_241:                            ;   in Loop: Header=BB211_171 Depth=1
	s_or_b64 exec, exec, s[22:23]
.LBB211_242:                            ;   in Loop: Header=BB211_171 Depth=1
	s_or_b64 exec, exec, s[20:21]
	v_cmp_lt_u32_e64 s[0:1], s37, v32
	s_and_saveexec_b64 s[20:21], s[0:1]
	s_cbranch_execz .LBB211_248
; %bb.243:                              ;   in Loop: Header=BB211_171 Depth=1
	v_cmp_ne_u32_sdwa s[0:1], v32, s34 src0_sel:BYTE_3 src1_sel:DWORD
	v_pk_mov_b32 v[40:41], s[12:13], s[12:13] op_sel:[0,1]
	s_and_saveexec_b64 s[22:23], s[0:1]
	s_cbranch_execz .LBB211_247
; %bb.244:                              ;   in Loop: Header=BB211_171 Depth=1
	v_bfe_u32 v33, v32, 24, 7
	s_mov_b32 s10, s12
	v_cmp_ne_u32_e64 s[0:1], s36, v33
	v_pk_mov_b32 v[40:41], s[10:11], s[10:11] op_sel:[0,1]
	s_and_saveexec_b64 s[24:25], s[0:1]
	s_cbranch_execz .LBB211_246
; %bb.245:                              ;   in Loop: Header=BB211_171 Depth=1
	v_and_b32_sdwa v16, v32, v54 dst_sel:DWORD dst_unused:UNUSED_PAD src0_sel:BYTE_3 src1_sel:DWORD
	v_ffbh_u32_e32 v40, v16
	v_min_u32_e32 v43, 32, v40
	v_subrev_u32_e32 v40, 28, v43
	v_lshlrev_b64 v[40:41], v40, v[16:17]
	v_lshrrev_b32_e32 v42, 3, v33
	v_sub_u32_e32 v41, 29, v43
	v_cmp_gt_u32_e64 s[0:1], 8, v33
	v_and_b32_e32 v40, 7, v40
	v_cndmask_b32_e64 v33, v42, v41, s[0:1]
	v_cndmask_b32_e64 v16, v16, v40, s[0:1]
	v_lshlrev_b32_sdwa v32, v55, v32 dst_sel:DWORD dst_unused:UNUSED_PAD src0_sel:DWORD src1_sel:BYTE_3
	v_lshl_add_u32 v33, v33, 23, v53
	v_and_or_b32 v32, v32, s13, v33
	v_lshlrev_b32_e32 v16, 20, v16
	v_or_b32_e32 v41, v32, v16
	v_mov_b32_e32 v40, v17
.LBB211_246:                            ;   in Loop: Header=BB211_171 Depth=1
	s_or_b64 exec, exec, s[24:25]
.LBB211_247:                            ;   in Loop: Header=BB211_171 Depth=1
	s_or_b64 exec, exec, s[22:23]
.LBB211_248:                            ;   in Loop: Header=BB211_171 Depth=1
	s_or_b64 exec, exec, s[20:21]
	v_or_b32_e32 v33, v37, v35
	v_or_b32_e32 v32, v36, v34
	;; [unrolled: 1-line block ×4, first 2 shown]
	v_pk_mul_f32 v[32:33], s[16:17], v[32:33]
	v_pk_mul_f32 v[34:35], s[16:17], v[34:35]
	s_and_saveexec_b64 s[20:21], vcc
; %bb.249:                              ;   in Loop: Header=BB211_171 Depth=1
	v_cmp_gt_i32_e64 s[0:1], s33, v56
	v_cndmask_b32_e64 v32, 0, v32, s[0:1]
	v_cmp_gt_i32_e64 s[0:1], s33, v59
	v_cndmask_b32_e64 v33, 0, v33, s[0:1]
	;; [unrolled: 2-line block ×4, first 2 shown]
; %bb.250:                              ;   in Loop: Header=BB211_171 Depth=1
	s_or_b64 exec, exec, s[20:21]
	global_load_dword v36, v[26:27], off offset:768
	v_pk_mov_b32 v[40:41], 0, 0
	v_pk_mov_b32 v[38:39], v[40:41], v[40:41] op_sel:[0,1]
	s_waitcnt vmcnt(0)
	v_cmp_ne_u16_sdwa s[0:1], v36, v17 src0_sel:BYTE_0 src1_sel:DWORD
	s_and_saveexec_b64 s[20:21], s[0:1]
	s_cbranch_execz .LBB211_256
; %bb.251:                              ;   in Loop: Header=BB211_171 Depth=1
	v_bfrev_b32_e32 v38, 1
	v_cmp_ne_u16_sdwa s[0:1], v36, s34 src0_sel:BYTE_0 src1_sel:DWORD
	v_mov_b32_e32 v39, 0
	s_and_saveexec_b64 s[22:23], s[0:1]
	s_cbranch_execz .LBB211_255
; %bb.252:                              ;   in Loop: Header=BB211_171 Depth=1
	v_and_b32_e32 v16, 0x7f, v36
	v_mov_b32_e32 v38, 0x7f800001
	v_cmp_ne_u32_e64 s[0:1], s36, v16
	v_mov_b32_e32 v39, 0
	s_and_saveexec_b64 s[24:25], s[0:1]
	s_cbranch_execz .LBB211_254
; %bb.253:                              ;   in Loop: Header=BB211_171 Depth=1
	v_and_b32_e32 v37, 7, v36
	v_ffbh_u32_e32 v38, v37
	v_min_u32_e32 v43, 32, v38
	v_subrev_u32_e32 v38, 28, v43
	v_lshlrev_b64 v[38:39], v38, v[36:37]
	v_lshrrev_b32_e32 v42, 3, v16
	v_sub_u32_e32 v39, 29, v43
	v_and_b32_e32 v38, 7, v38
	v_cmp_gt_u32_e64 s[0:1], 8, v16
	v_cndmask_b32_e64 v16, v42, v39, s[0:1]
	v_cndmask_b32_e64 v37, v37, v38, s[0:1]
	v_lshlrev_b32_e32 v37, 20, v37
	v_and_b32_sdwa v38, sext(v36), s13 dst_sel:DWORD dst_unused:UNUSED_PAD src0_sel:BYTE_0 src1_sel:DWORD
	v_lshl_add_u32 v16, v16, 23, v53
	v_or3_b32 v16, v38, v16, v37
	v_pk_mov_b32 v[38:39], v[16:17], v[16:17] op_sel:[0,1]
.LBB211_254:                            ;   in Loop: Header=BB211_171 Depth=1
	s_or_b64 exec, exec, s[24:25]
.LBB211_255:                            ;   in Loop: Header=BB211_171 Depth=1
	s_or_b64 exec, exec, s[22:23]
.LBB211_256:                            ;   in Loop: Header=BB211_171 Depth=1
	s_or_b64 exec, exec, s[20:21]
	v_cmp_ne_u16_sdwa s[0:1], v36, v17 src0_sel:BYTE_1 src1_sel:DWORD
	s_and_saveexec_b64 s[20:21], s[0:1]
	s_cbranch_execz .LBB211_262
; %bb.257:                              ;   in Loop: Header=BB211_171 Depth=1
	v_cmp_ne_u16_sdwa s[0:1], v36, s34 src0_sel:BYTE_1 src1_sel:DWORD
	v_pk_mov_b32 v[40:41], s[12:13], s[12:13] op_sel:[0,1]
	s_and_saveexec_b64 s[22:23], s[0:1]
	s_cbranch_execz .LBB211_261
; %bb.258:                              ;   in Loop: Header=BB211_171 Depth=1
	v_and_b32_sdwa v37, v36, s36 dst_sel:DWORD dst_unused:UNUSED_PAD src0_sel:BYTE_1 src1_sel:DWORD
	s_mov_b32 s10, s12
	v_cmp_ne_u32_e64 s[0:1], s36, v37
	v_pk_mov_b32 v[40:41], s[10:11], s[10:11] op_sel:[0,1]
	s_and_saveexec_b64 s[24:25], s[0:1]
	s_cbranch_execz .LBB211_260
; %bb.259:                              ;   in Loop: Header=BB211_171 Depth=1
	v_and_b32_sdwa v16, v36, v54 dst_sel:DWORD dst_unused:UNUSED_PAD src0_sel:BYTE_1 src1_sel:DWORD
	v_ffbh_u32_e32 v40, v16
	v_min_u32_e32 v43, 32, v40
	v_subrev_u32_e32 v40, 28, v43
	v_lshlrev_b64 v[40:41], v40, v[16:17]
	v_lshrrev_b32_e32 v42, 3, v37
	v_sub_u32_e32 v41, 29, v43
	v_cmp_gt_u32_e64 s[0:1], 8, v37
	v_and_b32_e32 v40, 7, v40
	v_cndmask_b32_e64 v37, v42, v41, s[0:1]
	v_cndmask_b32_e64 v16, v16, v40, s[0:1]
	v_lshlrev_b32_e32 v40, 16, v36
	v_lshl_add_u32 v37, v37, 23, v53
	v_and_or_b32 v37, v40, s13, v37
	v_lshlrev_b32_e32 v16, 20, v16
	v_or_b32_e32 v41, v37, v16
	v_mov_b32_e32 v40, v17
.LBB211_260:                            ;   in Loop: Header=BB211_171 Depth=1
	s_or_b64 exec, exec, s[24:25]
.LBB211_261:                            ;   in Loop: Header=BB211_171 Depth=1
	s_or_b64 exec, exec, s[22:23]
.LBB211_262:                            ;   in Loop: Header=BB211_171 Depth=1
	s_or_b64 exec, exec, s[20:21]
	v_lshrrev_b32_e32 v16, 16, v36
	v_pk_mov_b32 v[44:45], 0, 0
	v_cmp_ne_u16_sdwa s[0:1], v16, v17 src0_sel:BYTE_0 src1_sel:DWORD
	v_pk_mov_b32 v[42:43], v[44:45], v[44:45] op_sel:[0,1]
	s_and_saveexec_b64 s[20:21], s[0:1]
	s_cbranch_execz .LBB211_268
; %bb.263:                              ;   in Loop: Header=BB211_171 Depth=1
	v_bfrev_b32_e32 v42, 1
	v_cmp_ne_u16_sdwa s[0:1], v16, s34 src0_sel:BYTE_0 src1_sel:DWORD
	v_mov_b32_e32 v43, 0
	s_and_saveexec_b64 s[22:23], s[0:1]
	s_cbranch_execz .LBB211_267
; %bb.264:                              ;   in Loop: Header=BB211_171 Depth=1
	v_bfe_u32 v37, v36, 16, 7
	v_mov_b32_e32 v42, 0x7f800001
	v_cmp_ne_u32_e64 s[0:1], s36, v37
	v_mov_b32_e32 v43, 0
	s_and_saveexec_b64 s[24:25], s[0:1]
	s_cbranch_execz .LBB211_266
; %bb.265:                              ;   in Loop: Header=BB211_171 Depth=1
	v_and_b32_e32 v46, 7, v16
	v_ffbh_u32_e32 v42, v46
	v_min_u32_e32 v60, 32, v42
	v_subrev_u32_e32 v42, 28, v60
	v_lshlrev_b64 v[42:43], v42, v[16:17]
	v_lshrrev_b32_e32 v47, 3, v37
	v_sub_u32_e32 v43, 29, v60
	v_and_b32_e32 v42, 7, v42
	v_cmp_gt_u32_e64 s[0:1], 8, v37
	v_cndmask_b32_e64 v37, v47, v43, s[0:1]
	v_cndmask_b32_e64 v42, v46, v42, s[0:1]
	v_lshlrev_b32_e32 v42, 20, v42
	v_and_b32_sdwa v16, sext(v16), s13 dst_sel:DWORD dst_unused:UNUSED_PAD src0_sel:BYTE_0 src1_sel:DWORD
	v_lshl_add_u32 v37, v37, 23, v53
	v_or3_b32 v16, v16, v37, v42
	v_pk_mov_b32 v[42:43], v[16:17], v[16:17] op_sel:[0,1]
.LBB211_266:                            ;   in Loop: Header=BB211_171 Depth=1
	s_or_b64 exec, exec, s[24:25]
.LBB211_267:                            ;   in Loop: Header=BB211_171 Depth=1
	s_or_b64 exec, exec, s[22:23]
.LBB211_268:                            ;   in Loop: Header=BB211_171 Depth=1
	s_or_b64 exec, exec, s[20:21]
	v_cmp_lt_u32_e64 s[0:1], s37, v36
	s_and_saveexec_b64 s[20:21], s[0:1]
	s_cbranch_execz .LBB211_274
; %bb.269:                              ;   in Loop: Header=BB211_171 Depth=1
	v_cmp_ne_u32_sdwa s[0:1], v36, s34 src0_sel:BYTE_3 src1_sel:DWORD
	v_pk_mov_b32 v[44:45], s[12:13], s[12:13] op_sel:[0,1]
	s_and_saveexec_b64 s[22:23], s[0:1]
	s_cbranch_execz .LBB211_273
; %bb.270:                              ;   in Loop: Header=BB211_171 Depth=1
	v_bfe_u32 v37, v36, 24, 7
	s_mov_b32 s10, s12
	v_cmp_ne_u32_e64 s[0:1], s36, v37
	v_pk_mov_b32 v[44:45], s[10:11], s[10:11] op_sel:[0,1]
	s_and_saveexec_b64 s[24:25], s[0:1]
	s_cbranch_execz .LBB211_272
; %bb.271:                              ;   in Loop: Header=BB211_171 Depth=1
	v_and_b32_sdwa v16, v36, v54 dst_sel:DWORD dst_unused:UNUSED_PAD src0_sel:BYTE_3 src1_sel:DWORD
	v_ffbh_u32_e32 v44, v16
	v_min_u32_e32 v47, 32, v44
	v_subrev_u32_e32 v44, 28, v47
	v_lshlrev_b64 v[44:45], v44, v[16:17]
	v_lshrrev_b32_e32 v46, 3, v37
	v_sub_u32_e32 v45, 29, v47
	v_cmp_gt_u32_e64 s[0:1], 8, v37
	v_and_b32_e32 v44, 7, v44
	v_cndmask_b32_e64 v37, v46, v45, s[0:1]
	v_cndmask_b32_e64 v16, v16, v44, s[0:1]
	v_lshlrev_b32_sdwa v36, v55, v36 dst_sel:DWORD dst_unused:UNUSED_PAD src0_sel:DWORD src1_sel:BYTE_3
	v_lshl_add_u32 v37, v37, 23, v53
	v_and_or_b32 v36, v36, s13, v37
	v_lshlrev_b32_e32 v16, 20, v16
	v_or_b32_e32 v45, v36, v16
	v_mov_b32_e32 v44, v17
.LBB211_272:                            ;   in Loop: Header=BB211_171 Depth=1
	s_or_b64 exec, exec, s[24:25]
.LBB211_273:                            ;   in Loop: Header=BB211_171 Depth=1
	s_or_b64 exec, exec, s[22:23]
.LBB211_274:                            ;   in Loop: Header=BB211_171 Depth=1
	s_or_b64 exec, exec, s[20:21]
	v_or_b32_e32 v37, v41, v39
	v_or_b32_e32 v36, v40, v38
	;; [unrolled: 1-line block ×4, first 2 shown]
	v_pk_mul_f32 v[36:37], s[16:17], v[36:37]
	v_pk_mul_f32 v[38:39], s[16:17], v[38:39]
	s_and_saveexec_b64 s[20:21], vcc
; %bb.275:                              ;   in Loop: Header=BB211_171 Depth=1
	v_cmp_gt_i32_e64 s[0:1], s33, v56
	v_cndmask_b32_e64 v36, 0, v36, s[0:1]
	v_cmp_gt_i32_e64 s[0:1], s33, v59
	v_cndmask_b32_e64 v37, 0, v37, s[0:1]
	;; [unrolled: 2-line block ×4, first 2 shown]
; %bb.276:                              ;   in Loop: Header=BB211_171 Depth=1
	s_or_b64 exec, exec, s[20:21]
	global_load_dword v26, v[26:27], off offset:1024
	v_pk_mov_b32 v[42:43], 0, 0
	v_pk_mov_b32 v[40:41], v[42:43], v[42:43] op_sel:[0,1]
	s_waitcnt vmcnt(0)
	v_cmp_ne_u16_sdwa s[0:1], v26, v17 src0_sel:BYTE_0 src1_sel:DWORD
	s_and_saveexec_b64 s[20:21], s[0:1]
	s_cbranch_execz .LBB211_282
; %bb.277:                              ;   in Loop: Header=BB211_171 Depth=1
	v_bfrev_b32_e32 v40, 1
	v_cmp_ne_u16_sdwa s[0:1], v26, s34 src0_sel:BYTE_0 src1_sel:DWORD
	v_mov_b32_e32 v41, 0
	s_and_saveexec_b64 s[22:23], s[0:1]
	s_cbranch_execz .LBB211_281
; %bb.278:                              ;   in Loop: Header=BB211_171 Depth=1
	v_and_b32_e32 v16, 0x7f, v26
	v_mov_b32_e32 v40, 0x7f800001
	v_cmp_ne_u32_e64 s[0:1], s36, v16
	v_mov_b32_e32 v41, 0
	s_and_saveexec_b64 s[24:25], s[0:1]
	s_cbranch_execz .LBB211_280
; %bb.279:                              ;   in Loop: Header=BB211_171 Depth=1
	v_and_b32_e32 v27, 7, v26
	v_ffbh_u32_e32 v40, v27
	v_min_u32_e32 v45, 32, v40
	v_subrev_u32_e32 v40, 28, v45
	v_lshlrev_b64 v[40:41], v40, v[26:27]
	v_lshrrev_b32_e32 v44, 3, v16
	v_sub_u32_e32 v41, 29, v45
	v_and_b32_e32 v40, 7, v40
	v_cmp_gt_u32_e64 s[0:1], 8, v16
	v_cndmask_b32_e64 v16, v44, v41, s[0:1]
	v_cndmask_b32_e64 v27, v27, v40, s[0:1]
	v_lshlrev_b32_e32 v27, 20, v27
	v_and_b32_sdwa v40, sext(v26), s13 dst_sel:DWORD dst_unused:UNUSED_PAD src0_sel:BYTE_0 src1_sel:DWORD
	v_lshl_add_u32 v16, v16, 23, v53
	v_or3_b32 v16, v40, v16, v27
	v_pk_mov_b32 v[40:41], v[16:17], v[16:17] op_sel:[0,1]
.LBB211_280:                            ;   in Loop: Header=BB211_171 Depth=1
	s_or_b64 exec, exec, s[24:25]
.LBB211_281:                            ;   in Loop: Header=BB211_171 Depth=1
	s_or_b64 exec, exec, s[22:23]
.LBB211_282:                            ;   in Loop: Header=BB211_171 Depth=1
	s_or_b64 exec, exec, s[20:21]
	v_cmp_ne_u16_sdwa s[0:1], v26, v17 src0_sel:BYTE_1 src1_sel:DWORD
	s_and_saveexec_b64 s[20:21], s[0:1]
	s_cbranch_execz .LBB211_288
; %bb.283:                              ;   in Loop: Header=BB211_171 Depth=1
	v_cmp_ne_u16_sdwa s[0:1], v26, s34 src0_sel:BYTE_1 src1_sel:DWORD
	v_pk_mov_b32 v[42:43], s[12:13], s[12:13] op_sel:[0,1]
	s_and_saveexec_b64 s[22:23], s[0:1]
	s_cbranch_execz .LBB211_287
; %bb.284:                              ;   in Loop: Header=BB211_171 Depth=1
	v_and_b32_sdwa v27, v26, s36 dst_sel:DWORD dst_unused:UNUSED_PAD src0_sel:BYTE_1 src1_sel:DWORD
	s_mov_b32 s10, s12
	v_cmp_ne_u32_e64 s[0:1], s36, v27
	v_pk_mov_b32 v[42:43], s[10:11], s[10:11] op_sel:[0,1]
	s_and_saveexec_b64 s[24:25], s[0:1]
	s_cbranch_execz .LBB211_286
; %bb.285:                              ;   in Loop: Header=BB211_171 Depth=1
	v_and_b32_sdwa v16, v26, v54 dst_sel:DWORD dst_unused:UNUSED_PAD src0_sel:BYTE_1 src1_sel:DWORD
	v_ffbh_u32_e32 v42, v16
	v_min_u32_e32 v45, 32, v42
	v_subrev_u32_e32 v42, 28, v45
	v_lshlrev_b64 v[42:43], v42, v[16:17]
	v_lshrrev_b32_e32 v44, 3, v27
	v_sub_u32_e32 v43, 29, v45
	v_cmp_gt_u32_e64 s[0:1], 8, v27
	v_and_b32_e32 v42, 7, v42
	v_cndmask_b32_e64 v27, v44, v43, s[0:1]
	v_cndmask_b32_e64 v16, v16, v42, s[0:1]
	v_lshlrev_b32_e32 v42, 16, v26
	v_lshl_add_u32 v27, v27, 23, v53
	v_and_or_b32 v27, v42, s13, v27
	v_lshlrev_b32_e32 v16, 20, v16
	v_or_b32_e32 v43, v27, v16
	v_mov_b32_e32 v42, v17
.LBB211_286:                            ;   in Loop: Header=BB211_171 Depth=1
	s_or_b64 exec, exec, s[24:25]
.LBB211_287:                            ;   in Loop: Header=BB211_171 Depth=1
	s_or_b64 exec, exec, s[22:23]
.LBB211_288:                            ;   in Loop: Header=BB211_171 Depth=1
	s_or_b64 exec, exec, s[20:21]
	v_lshrrev_b32_e32 v16, 16, v26
	v_pk_mov_b32 v[46:47], 0, 0
	v_cmp_ne_u16_sdwa s[0:1], v16, v17 src0_sel:BYTE_0 src1_sel:DWORD
	v_pk_mov_b32 v[44:45], v[46:47], v[46:47] op_sel:[0,1]
	s_and_saveexec_b64 s[20:21], s[0:1]
	s_cbranch_execz .LBB211_294
; %bb.289:                              ;   in Loop: Header=BB211_171 Depth=1
	v_bfrev_b32_e32 v44, 1
	v_cmp_ne_u16_sdwa s[0:1], v16, s34 src0_sel:BYTE_0 src1_sel:DWORD
	v_mov_b32_e32 v45, 0
	s_and_saveexec_b64 s[22:23], s[0:1]
	s_cbranch_execz .LBB211_293
; %bb.290:                              ;   in Loop: Header=BB211_171 Depth=1
	v_bfe_u32 v27, v26, 16, 7
	v_mov_b32_e32 v44, 0x7f800001
	v_cmp_ne_u32_e64 s[0:1], s36, v27
	v_mov_b32_e32 v45, 0
	s_and_saveexec_b64 s[24:25], s[0:1]
	s_cbranch_execz .LBB211_292
; %bb.291:                              ;   in Loop: Header=BB211_171 Depth=1
	v_and_b32_e32 v60, 7, v16
	v_ffbh_u32_e32 v44, v60
	v_min_u32_e32 v62, 32, v44
	v_subrev_u32_e32 v44, 28, v62
	v_lshlrev_b64 v[44:45], v44, v[16:17]
	v_lshrrev_b32_e32 v61, 3, v27
	v_sub_u32_e32 v45, 29, v62
	v_and_b32_e32 v44, 7, v44
	v_cmp_gt_u32_e64 s[0:1], 8, v27
	v_cndmask_b32_e64 v27, v61, v45, s[0:1]
	v_cndmask_b32_e64 v44, v60, v44, s[0:1]
	v_lshlrev_b32_e32 v44, 20, v44
	v_and_b32_sdwa v16, sext(v16), s13 dst_sel:DWORD dst_unused:UNUSED_PAD src0_sel:BYTE_0 src1_sel:DWORD
	v_lshl_add_u32 v27, v27, 23, v53
	v_or3_b32 v16, v16, v27, v44
	v_pk_mov_b32 v[44:45], v[16:17], v[16:17] op_sel:[0,1]
.LBB211_292:                            ;   in Loop: Header=BB211_171 Depth=1
	s_or_b64 exec, exec, s[24:25]
.LBB211_293:                            ;   in Loop: Header=BB211_171 Depth=1
	s_or_b64 exec, exec, s[22:23]
.LBB211_294:                            ;   in Loop: Header=BB211_171 Depth=1
	s_or_b64 exec, exec, s[20:21]
	v_cmp_lt_u32_e64 s[0:1], s37, v26
	s_and_saveexec_b64 s[20:21], s[0:1]
	s_cbranch_execz .LBB211_300
; %bb.295:                              ;   in Loop: Header=BB211_171 Depth=1
	v_cmp_ne_u32_sdwa s[0:1], v26, s34 src0_sel:BYTE_3 src1_sel:DWORD
	v_pk_mov_b32 v[46:47], s[12:13], s[12:13] op_sel:[0,1]
	s_and_saveexec_b64 s[22:23], s[0:1]
	s_cbranch_execz .LBB211_299
; %bb.296:                              ;   in Loop: Header=BB211_171 Depth=1
	v_bfe_u32 v27, v26, 24, 7
	s_mov_b32 s10, s12
	v_cmp_ne_u32_e64 s[0:1], s36, v27
	v_pk_mov_b32 v[46:47], s[10:11], s[10:11] op_sel:[0,1]
	s_and_saveexec_b64 s[24:25], s[0:1]
	s_cbranch_execz .LBB211_298
; %bb.297:                              ;   in Loop: Header=BB211_171 Depth=1
	v_and_b32_sdwa v16, v26, v54 dst_sel:DWORD dst_unused:UNUSED_PAD src0_sel:BYTE_3 src1_sel:DWORD
	v_ffbh_u32_e32 v46, v16
	v_min_u32_e32 v61, 32, v46
	v_subrev_u32_e32 v46, 28, v61
	v_lshlrev_b64 v[46:47], v46, v[16:17]
	v_lshrrev_b32_e32 v60, 3, v27
	v_sub_u32_e32 v47, 29, v61
	v_cmp_gt_u32_e64 s[0:1], 8, v27
	v_and_b32_e32 v46, 7, v46
	v_cndmask_b32_e64 v27, v60, v47, s[0:1]
	v_cndmask_b32_e64 v16, v16, v46, s[0:1]
	v_lshlrev_b32_sdwa v26, v55, v26 dst_sel:DWORD dst_unused:UNUSED_PAD src0_sel:DWORD src1_sel:BYTE_3
	v_lshl_add_u32 v27, v27, 23, v53
	v_and_or_b32 v26, v26, s13, v27
	v_lshlrev_b32_e32 v16, 20, v16
	v_or_b32_e32 v47, v26, v16
	v_mov_b32_e32 v46, v17
.LBB211_298:                            ;   in Loop: Header=BB211_171 Depth=1
	s_or_b64 exec, exec, s[24:25]
.LBB211_299:                            ;   in Loop: Header=BB211_171 Depth=1
	s_or_b64 exec, exec, s[22:23]
.LBB211_300:                            ;   in Loop: Header=BB211_171 Depth=1
	s_or_b64 exec, exec, s[20:21]
	v_or_b32_e32 v27, v43, v41
	v_or_b32_e32 v26, v42, v40
	;; [unrolled: 1-line block ×4, first 2 shown]
	v_pk_mul_f32 v[26:27], s[16:17], v[26:27]
	v_pk_mul_f32 v[40:41], s[16:17], v[40:41]
	s_and_saveexec_b64 s[0:1], vcc
	s_cbranch_execz .LBB211_169
; %bb.301:                              ;   in Loop: Header=BB211_171 Depth=1
	v_cmp_gt_i32_e32 vcc, s33, v56
	v_cndmask_b32_e32 v26, 0, v26, vcc
	v_cmp_gt_i32_e32 vcc, s33, v59
	v_cndmask_b32_e32 v27, 0, v27, vcc
	v_cmp_gt_i32_e32 vcc, s33, v58
	v_cndmask_b32_e32 v40, 0, v40, vcc
	v_cmp_gt_i32_e32 vcc, s33, v57
	v_cndmask_b32_e32 v41, 0, v41, vcc
	s_branch .LBB211_169
.LBB211_302:
	s_or_b64 exec, exec, s[6:7]
.LBB211_303:
	s_or_b64 exec, exec, s[4:5]
	ds_bpermute_b32 v8, v50, v2
	ds_bpermute_b32 v9, v50, v3
	;; [unrolled: 1-line block ×5, first 2 shown]
	s_waitcnt lgkmcnt(0)
	v_pk_add_f32 v[2:3], v[2:3], v[8:9]
	ds_bpermute_b32 v8, v7, v2
	v_pk_add_f32 v[4:5], v[4:5], v[10:11]
	ds_bpermute_b32 v9, v7, v3
	ds_bpermute_b32 v10, v7, v4
	;; [unrolled: 1-line block ×3, first 2 shown]
	v_add_f32_e32 v12, v6, v12
	ds_bpermute_b32 v13, v7, v12
	s_waitcnt lgkmcnt(3)
	v_pk_add_f32 v[6:7], v[2:3], v[8:9]
	s_barrier
	s_waitcnt lgkmcnt(1)
	v_pk_add_f32 v[2:3], v[4:5], v[10:11]
	v_and_b32_e32 v5, 0x3c3, v0
	s_waitcnt lgkmcnt(0)
	v_add_f32_e32 v4, v12, v13
	v_cmp_eq_u32_e32 vcc, 64, v5
	s_and_saveexec_b64 s[0:1], vcc
	s_cbranch_execz .LBB211_305
; %bb.304:
	v_add_u32_e32 v8, 0x150, v49
	ds_write2_b32 v8, v6, v7 offset1:16
	ds_write2_b32 v8, v2, v3 offset0:32 offset1:48
	ds_write_b32 v8, v4 offset:256
.LBB211_305:
	s_or_b64 exec, exec, s[0:1]
	v_cmp_gt_u32_e32 vcc, 64, v0
	s_waitcnt lgkmcnt(0)
	s_barrier
	s_and_saveexec_b64 s[0:1], vcc
	s_cbranch_execz .LBB211_313
; %bb.306:
	v_cmp_eq_u32_e32 vcc, 0, v22
	s_and_saveexec_b64 s[4:5], vcc
	s_cbranch_execnz .LBB211_316
; %bb.307:
	s_or_b64 exec, exec, s[4:5]
	s_and_saveexec_b64 s[4:5], vcc
	s_cbranch_execnz .LBB211_317
.LBB211_308:
	s_or_b64 exec, exec, s[4:5]
	s_and_saveexec_b64 s[4:5], vcc
	s_cbranch_execnz .LBB211_318
.LBB211_309:
	s_or_b64 exec, exec, s[4:5]
	s_and_saveexec_b64 s[4:5], vcc
	s_cbranch_execnz .LBB211_319
.LBB211_310:
	s_or_b64 exec, exec, s[4:5]
	s_and_saveexec_b64 s[4:5], vcc
	s_cbranch_execz .LBB211_312
.LBB211_311:
	v_mov_b32_e32 v0, 0x150
	v_lshl_add_u32 v0, v23, 2, v0
	ds_read_b32 v0, v0 offset:256
	s_waitcnt lgkmcnt(0)
	v_add_f32_e32 v4, v4, v0
.LBB211_312:
	s_or_b64 exec, exec, s[4:5]
.LBB211_313:
	s_or_b64 exec, exec, s[0:1]
	v_cmp_eq_u32_e32 vcc, 0, v5
	s_barrier
	s_and_saveexec_b64 s[0:1], vcc
	s_cbranch_execz .LBB211_315
; %bb.314:
	s_mul_i32 s0, s2, 0x50
	s_ashr_i32 s1, s0, 31
	s_lshl_b64 s[0:1], s[0:1], 2
	s_add_u32 s2, s30, s0
	s_mul_i32 s0, s29, s28
	s_addc_u32 s3, s31, s1
	s_ashr_i32 s1, s0, 31
	s_lshl_b64 s[0:1], s[0:1], 2
	s_add_u32 s2, s2, s0
	s_mul_i32 s0, s8, 0x50
	s_addc_u32 s3, s3, s1
	s_ashr_i32 s1, s0, 31
	s_lshl_b64 s[0:1], s[0:1], 2
	s_add_u32 s0, s2, s0
	s_addc_u32 s1, s3, s1
	global_store_dword v1, v6, s[0:1]
	global_store_dword v1, v7, s[0:1] offset:64
	global_store_dword v1, v2, s[0:1] offset:128
	;; [unrolled: 1-line block ×4, first 2 shown]
.LBB211_315:
	s_endpgm
.LBB211_316:
	v_mov_b32_e32 v0, 0x150
	v_lshl_add_u32 v0, v23, 2, v0
	ds_read_b32 v0, v0
	s_waitcnt lgkmcnt(0)
	v_add_f32_e32 v6, v6, v0
	s_or_b64 exec, exec, s[4:5]
	s_and_saveexec_b64 s[4:5], vcc
	s_cbranch_execz .LBB211_308
.LBB211_317:
	v_mov_b32_e32 v0, 0x150
	v_lshl_add_u32 v0, v23, 2, v0
	ds_read_b32 v0, v0 offset:64
	s_waitcnt lgkmcnt(0)
	v_add_f32_e32 v7, v7, v0
	s_or_b64 exec, exec, s[4:5]
	s_and_saveexec_b64 s[4:5], vcc
	s_cbranch_execz .LBB211_309
.LBB211_318:
	v_mov_b32_e32 v0, 0x150
	v_lshl_add_u32 v0, v23, 2, v0
	ds_read_b32 v0, v0 offset:128
	s_waitcnt lgkmcnt(0)
	v_add_f32_e32 v2, v2, v0
	s_or_b64 exec, exec, s[4:5]
	s_and_saveexec_b64 s[4:5], vcc
	s_cbranch_execz .LBB211_310
.LBB211_319:
	v_mov_b32_e32 v0, 0x150
	v_lshl_add_u32 v0, v23, 2, v0
	ds_read_b32 v0, v0 offset:192
	s_waitcnt lgkmcnt(0)
	v_add_f32_e32 v3, v3, v0
	s_or_b64 exec, exec, s[4:5]
	s_and_saveexec_b64 s[4:5], vcc
	s_cbranch_execnz .LBB211_311
	s_branch .LBB211_312
	.section	.rodata,"a",@progbits
	.p2align	6, 0x0
	.amdhsa_kernel _ZN4vllm25paged_attention_v2_kernelIfhLi80ELi16ELi128ELNS_18Fp8KVCacheDataTypeE1ELb1ELi512EEEvPfS2_PT_PKS3_PKT0_S9_ifPKiSB_iPKfiiiSD_SD_iiiii
		.amdhsa_group_segment_fixed_size 336
		.amdhsa_private_segment_fixed_size 0
		.amdhsa_kernarg_size 400
		.amdhsa_user_sgpr_count 6
		.amdhsa_user_sgpr_private_segment_buffer 1
		.amdhsa_user_sgpr_dispatch_ptr 0
		.amdhsa_user_sgpr_queue_ptr 0
		.amdhsa_user_sgpr_kernarg_segment_ptr 1
		.amdhsa_user_sgpr_dispatch_id 0
		.amdhsa_user_sgpr_flat_scratch_init 0
		.amdhsa_user_sgpr_kernarg_preload_length 0
		.amdhsa_user_sgpr_kernarg_preload_offset 0
		.amdhsa_user_sgpr_private_segment_size 0
		.amdhsa_uses_dynamic_stack 0
		.amdhsa_system_sgpr_private_segment_wavefront_offset 0
		.amdhsa_system_sgpr_workgroup_id_x 1
		.amdhsa_system_sgpr_workgroup_id_y 1
		.amdhsa_system_sgpr_workgroup_id_z 1
		.amdhsa_system_sgpr_workgroup_info 0
		.amdhsa_system_vgpr_workitem_id 0
		.amdhsa_next_free_vgpr 74
		.amdhsa_next_free_sgpr 63
		.amdhsa_accum_offset 76
		.amdhsa_reserve_vcc 1
		.amdhsa_reserve_flat_scratch 0
		.amdhsa_float_round_mode_32 0
		.amdhsa_float_round_mode_16_64 0
		.amdhsa_float_denorm_mode_32 3
		.amdhsa_float_denorm_mode_16_64 3
		.amdhsa_dx10_clamp 1
		.amdhsa_ieee_mode 1
		.amdhsa_fp16_overflow 0
		.amdhsa_tg_split 0
		.amdhsa_exception_fp_ieee_invalid_op 0
		.amdhsa_exception_fp_denorm_src 0
		.amdhsa_exception_fp_ieee_div_zero 0
		.amdhsa_exception_fp_ieee_overflow 0
		.amdhsa_exception_fp_ieee_underflow 0
		.amdhsa_exception_fp_ieee_inexact 0
		.amdhsa_exception_int_div_zero 0
	.end_amdhsa_kernel
	.section	.text._ZN4vllm25paged_attention_v2_kernelIfhLi80ELi16ELi128ELNS_18Fp8KVCacheDataTypeE1ELb1ELi512EEEvPfS2_PT_PKS3_PKT0_S9_ifPKiSB_iPKfiiiSD_SD_iiiii,"axG",@progbits,_ZN4vllm25paged_attention_v2_kernelIfhLi80ELi16ELi128ELNS_18Fp8KVCacheDataTypeE1ELb1ELi512EEEvPfS2_PT_PKS3_PKT0_S9_ifPKiSB_iPKfiiiSD_SD_iiiii,comdat
.Lfunc_end211:
	.size	_ZN4vllm25paged_attention_v2_kernelIfhLi80ELi16ELi128ELNS_18Fp8KVCacheDataTypeE1ELb1ELi512EEEvPfS2_PT_PKS3_PKT0_S9_ifPKiSB_iPKfiiiSD_SD_iiiii, .Lfunc_end211-_ZN4vllm25paged_attention_v2_kernelIfhLi80ELi16ELi128ELNS_18Fp8KVCacheDataTypeE1ELb1ELi512EEEvPfS2_PT_PKS3_PKT0_S9_ifPKiSB_iPKfiiiSD_SD_iiiii
                                        ; -- End function
	.section	.AMDGPU.csdata,"",@progbits
; Kernel info:
; codeLenInByte = 12320
; NumSgprs: 67
; NumVgprs: 74
; NumAgprs: 0
; TotalNumVgprs: 74
; ScratchSize: 0
; MemoryBound: 0
; FloatMode: 240
; IeeeMode: 1
; LDSByteSize: 336 bytes/workgroup (compile time only)
; SGPRBlocks: 8
; VGPRBlocks: 9
; NumSGPRsForWavesPerEU: 67
; NumVGPRsForWavesPerEU: 74
; AccumOffset: 76
; Occupancy: 6
; WaveLimiterHint : 1
; COMPUTE_PGM_RSRC2:SCRATCH_EN: 0
; COMPUTE_PGM_RSRC2:USER_SGPR: 6
; COMPUTE_PGM_RSRC2:TRAP_HANDLER: 0
; COMPUTE_PGM_RSRC2:TGID_X_EN: 1
; COMPUTE_PGM_RSRC2:TGID_Y_EN: 1
; COMPUTE_PGM_RSRC2:TGID_Z_EN: 1
; COMPUTE_PGM_RSRC2:TIDIG_COMP_CNT: 0
; COMPUTE_PGM_RSRC3_GFX90A:ACCUM_OFFSET: 18
; COMPUTE_PGM_RSRC3_GFX90A:TG_SPLIT: 0
	.section	.text._ZN4vllm25paged_attention_v2_kernelIfhLi96ELi16ELi128ELNS_18Fp8KVCacheDataTypeE1ELb1ELi512EEEvPfS2_PT_PKS3_PKT0_S9_ifPKiSB_iPKfiiiSD_SD_iiiii,"axG",@progbits,_ZN4vllm25paged_attention_v2_kernelIfhLi96ELi16ELi128ELNS_18Fp8KVCacheDataTypeE1ELb1ELi512EEEvPfS2_PT_PKS3_PKT0_S9_ifPKiSB_iPKfiiiSD_SD_iiiii,comdat
	.protected	_ZN4vllm25paged_attention_v2_kernelIfhLi96ELi16ELi128ELNS_18Fp8KVCacheDataTypeE1ELb1ELi512EEEvPfS2_PT_PKS3_PKT0_S9_ifPKiSB_iPKfiiiSD_SD_iiiii ; -- Begin function _ZN4vllm25paged_attention_v2_kernelIfhLi96ELi16ELi128ELNS_18Fp8KVCacheDataTypeE1ELb1ELi512EEEvPfS2_PT_PKS3_PKT0_S9_ifPKiSB_iPKfiiiSD_SD_iiiii
	.globl	_ZN4vllm25paged_attention_v2_kernelIfhLi96ELi16ELi128ELNS_18Fp8KVCacheDataTypeE1ELb1ELi512EEEvPfS2_PT_PKS3_PKT0_S9_ifPKiSB_iPKfiiiSD_SD_iiiii
	.p2align	8
	.type	_ZN4vllm25paged_attention_v2_kernelIfhLi96ELi16ELi128ELNS_18Fp8KVCacheDataTypeE1ELb1ELi512EEEvPfS2_PT_PKS3_PKT0_S9_ifPKiSB_iPKfiiiSD_SD_iiiii,@function
_ZN4vllm25paged_attention_v2_kernelIfhLi96ELi16ELi128ELNS_18Fp8KVCacheDataTypeE1ELb1ELi512EEEvPfS2_PT_PKS3_PKT0_S9_ifPKiSB_iPKfiiiSD_SD_iiiii: ; @_ZN4vllm25paged_attention_v2_kernelIfhLi96ELi16ELi128ELNS_18Fp8KVCacheDataTypeE1ELb1ELi512EEEvPfS2_PT_PKS3_PKT0_S9_ifPKiSB_iPKfiiiSD_SD_iiiii
; %bb.0:
	s_load_dwordx2 s[0:1], s[4:5], 0x40
	s_mov_b32 s34, s7
	s_ashr_i32 s35, s7, 31
	s_lshl_b64 s[2:3], s[34:35], 2
	s_waitcnt lgkmcnt(0)
	s_add_u32 s0, s0, s2
	s_addc_u32 s1, s1, s3
	s_load_dword s33, s[0:1], 0x0
	s_lshl_b32 s55, s8, 9
	s_waitcnt lgkmcnt(0)
	s_cmp_ge_i32 s55, s33
	s_cbranch_scc1 .LBB212_366
; %bb.1:
	s_load_dword s9, s[4:5], 0x90
	s_load_dwordx2 s[42:43], s[4:5], 0x30
	s_mov_b32 s56, 0
	s_waitcnt lgkmcnt(0)
	s_abs_i32 s2, s9
	s_abs_i32 s0, s42
	v_cvt_f32_u32_e32 v1, s0
	s_sub_i32 s3, 0, s0
	s_xor_b32 s1, s9, s42
	s_ashr_i32 s1, s1, 31
	v_rcp_iflag_f32_e32 v1, v1
	v_mul_f32_e32 v1, 0x4f7ffffe, v1
	v_cvt_u32_f32_e32 v1, v1
	v_readfirstlane_b32 s7, v1
	s_mul_i32 s3, s3, s7
	s_mul_hi_u32 s3, s7, s3
	s_add_i32 s7, s7, s3
	s_mul_hi_u32 s3, s2, s7
	s_mul_i32 s7, s3, s0
	s_sub_i32 s2, s2, s7
	s_add_i32 s10, s3, 1
	s_sub_i32 s7, s2, s0
	s_cmp_ge_u32 s2, s0
	s_cselect_b32 s3, s10, s3
	s_cselect_b32 s2, s7, s2
	s_add_i32 s7, s3, 1
	s_cmp_ge_u32 s2, s0
	s_cselect_b32 s0, s7, s3
	s_xor_b32 s0, s0, s1
	s_sub_i32 s11, s0, s1
	s_abs_i32 s2, s11
	v_cvt_f32_u32_e32 v1, s2
	s_load_dwordx2 s[0:1], s[4:5], 0x50
	s_sub_i32 s7, 0, s2
	s_abs_i32 s3, s6
	v_rcp_iflag_f32_e32 v1, v1
	v_mul_f32_e32 v1, 0x4f7ffffe, v1
	v_cvt_u32_f32_e32 v1, v1
	v_readfirstlane_b32 s10, v1
	s_mul_i32 s7, s7, s10
	s_mul_hi_u32 s7, s10, s7
	s_add_i32 s10, s10, s7
	s_waitcnt lgkmcnt(0)
	s_cmp_eq_u64 s[0:1], 0
	s_mul_hi_u32 s10, s3, s10
	s_cbranch_scc1 .LBB212_3
; %bb.2:
	s_ashr_i32 s7, s6, 31
	s_lshl_b64 s[12:13], s[6:7], 2
	s_add_u32 s0, s0, s12
	s_addc_u32 s1, s1, s13
	s_load_dword s56, s[0:1], 0x0
.LBB212_3:
	s_load_dwordx4 s[12:15], s[4:5], 0x58
	v_lshrrev_b32_e32 v27, 2, v0
	s_waitcnt lgkmcnt(0)
	s_movk_i32 s15, 0x60
	s_ashr_i32 s7, s6, 31
	s_ashr_i32 s11, s11, 31
	v_and_b32_e32 v26, 3, v0
	s_mul_i32 s28, s6, 0x60
	v_cmp_gt_u32_e32 vcc, s15, v0
	v_lshlrev_b32_e32 v39, 2, v0
	v_lshlrev_b32_e32 v1, 2, v27
	s_and_saveexec_b64 s[0:1], vcc
	s_cbranch_execz .LBB212_5
; %bb.4:
	s_load_dwordx2 s[16:17], s[4:5], 0x18
	s_mul_i32 s18, s34, s12
	s_ashr_i32 s19, s18, 31
	s_lshl_b64 s[18:19], s[18:19], 2
	v_mad_u32_u24 v3, v26, s15, v1
	s_waitcnt lgkmcnt(0)
	s_add_u32 s12, s16, s18
	s_addc_u32 s18, s17, s19
	s_ashr_i32 s29, s28, 31
	s_lshl_b64 s[16:17], s[28:29], 2
	s_add_u32 s16, s12, s16
	s_addc_u32 s17, s18, s17
	global_load_dword v2, v39, s[16:17]
	s_waitcnt vmcnt(0)
	ds_write_b32 v3, v2
.LBB212_5:
	s_or_b64 exec, exec, s[0:1]
	s_mul_i32 s1, s10, s2
	s_sub_i32 s1, s3, s1
	s_xor_b32 s0, s7, s11
	s_add_i32 s3, s10, 1
	s_sub_i32 s7, s1, s2
	s_load_dwordx4 s[20:23], s[4:5], 0x78
	s_cmp_ge_u32 s1, s2
	s_cselect_b32 s3, s3, s10
	s_load_dword s10, s[4:5], 0x88
	s_cselect_b32 s1, s7, s1
	s_add_i32 s7, s3, 1
	s_cmp_ge_u32 s1, s2
	s_cselect_b32 s1, s7, s3
	s_waitcnt lgkmcnt(0)
	s_abs_i32 s35, s23
	v_cvt_f32_u32_e32 v2, s35
	s_xor_b32 s1, s1, s0
	s_sub_i32 s2, s1, s0
	s_sub_i32 s0, 0, s35
	v_rcp_iflag_f32_e32 v2, v2
	s_add_i32 s11, s33, -1
	s_abs_i32 s3, s11
	v_mul_f32_e32 v2, 0x4f7ffffe, v2
	v_cvt_u32_f32_e32 v2, v2
	s_barrier
	v_readfirstlane_b32 s52, v2
	s_mul_i32 s0, s0, s52
	s_mul_hi_u32 s0, s52, s0
	s_add_i32 s52, s52, s0
	s_cmp_lt_i32 s10, 0
	s_mul_hi_u32 s7, s3, s52
	s_cbranch_scc0 .LBB212_7
; %bb.6:
	s_mul_i32 s0, s20, s42
	s_add_i32 s0, s2, s0
	s_mul_i32 s0, s0, s10
	s_sub_i32 s42, 1, s0
	s_mov_b64 s[0:1], 0
	s_branch .LBB212_8
.LBB212_7:
	s_mov_b64 s[0:1], -1
                                        ; implicit-def: $sgpr42
.LBB212_8:
	s_load_dwordx2 s[36:37], s[4:5], 0x38
	s_ashr_i32 s11, s11, 31
	s_andn2_b64 vcc, exec, s[0:1]
	s_ashr_i32 s53, s23, 31
	s_cbranch_vccnz .LBB212_10
; %bb.9:
	s_mul_i32 s0, s9, s20
	s_add_i32 s0, s0, s6
	s_mul_i32 s0, s0, s10
	s_add_i32 s42, s0, 1
.LBB212_10:
	s_load_dwordx2 s[40:41], s[4:5], 0x28
	s_load_dword s0, s[4:5], 0x48
	s_load_dwordx4 s[24:27], s[4:5], 0x0
	s_load_dwordx2 s[30:31], s[4:5], 0x10
	s_load_dword s29, s[4:5], 0x98
	s_load_dwordx4 s[16:19], s[4:5], 0x68
	s_mul_i32 s1, s7, s35
	s_waitcnt lgkmcnt(0)
	s_mul_i32 s38, s34, s0
	s_sub_i32 s1, s3, s1
	s_ashr_i32 s39, s38, 31
	s_xor_b32 s0, s11, s53
	s_add_i32 s3, s7, 1
	s_sub_i32 s10, s1, s35
	s_cmp_ge_u32 s1, s35
	s_cselect_b32 s3, s3, s7
	s_cselect_b32 s1, s10, s1
	s_add_i32 s7, s3, 1
	s_cmp_ge_u32 s1, s35
	s_cselect_b32 s1, s7, s3
	s_xor_b32 s1, s1, s0
	s_sub_i32 s20, s1, s0
	s_add_i32 s0, s33, 15
	s_ashr_i32 s1, s0, 31
	s_lshr_b32 s1, s1, 28
	s_add_i32 s0, s0, s1
	s_lshl_b32 s12, s8, 5
	s_ashr_i32 s7, s0, 4
	s_add_i32 s0, s12, 32
	v_lshrrev_b32_e32 v40, 6, v0
	s_min_i32 s54, s0, s7
	v_or_b32_e32 v28, s12, v40
	v_cmp_gt_i32_e64 s[0:1], s54, v28
	v_mov_b32_e32 v44, 0xff7fffff
	s_mul_i32 s23, s2, s14
	v_ashrrev_i32_e32 v29, 31, v28
	v_lshl_add_u32 v52, v40, 4, s55
	v_mbcnt_lo_u32_b32 v41, -1, 0
	s_and_saveexec_b64 s[14:15], s[0:1]
	s_cbranch_execz .LBB212_164
; %bb.11:
	s_load_dwordx2 s[4:5], s[4:5], 0x20
	s_sub_i32 s57, s20, s21
	s_ashr_i32 s10, s23, 31
	v_bfe_u32 v42, v0, 2, 4
	v_lshlrev_b32_e32 v3, 4, v42
	s_waitcnt lgkmcnt(0)
	s_add_u32 s4, s4, s23
	s_addc_u32 s5, s5, s10
	s_abs_i32 s58, s22
	v_cvt_f32_u32_e32 v2, s58
	s_sub_i32 s10, 0, s58
	v_add_co_u32_e32 v30, vcc, s4, v3
	v_rcp_iflag_f32_e32 v2, v2
	v_mov_b32_e32 v4, s5
	v_addc_co_u32_e32 v31, vcc, 0, v4, vcc
	v_mul_f32_e32 v2, 0x4f7ffffe, v2
	v_cvt_u32_f32_e32 v2, v2
	v_cmp_eq_u32_e64 s[2:3], 0, v26
	s_mov_b32 s59, s13
	v_mul_u32_u24_e32 v43, 0x60, v26
	v_mul_lo_u32 v3, s10, v2
	v_mul_hi_u32 v3, v2, v3
	s_lshl_b64 s[10:11], s[38:39], 2
	v_add_u32_e32 v45, v2, v3
	v_lshlrev_b64 v[2:3], 2, v[28:29]
	s_add_u32 s10, s36, s10
	v_add_co_u32_e32 v32, vcc, s10, v2
	v_lshlrev_b32_e32 v2, 2, v42
	s_addc_u32 s11, s37, s11
	v_lshl_or_b32 v2, v40, 6, v2
	v_mov_b32_e32 v4, s11
	v_add_u32_e32 v47, 0x190, v2
	v_subrev_u32_e32 v2, s33, v42
	v_cmp_neq_f32_e64 s[4:5], s56, 0
	v_addc_co_u32_e32 v33, vcc, v4, v3, vcc
	v_lshl_add_u32 v46, v40, 4, s55
	v_add_u32_e32 v48, 1, v2
	s_mov_b64 s[44:45], 0
	v_mov_b32_e32 v49, 0xff7fffff
	s_movk_i32 s60, 0x80
	s_movk_i32 s61, 0x7f
	v_bfrev_b32_e32 v50, 60
	v_mbcnt_hi_u32_b32 v51, -1, v41
	v_mov_b32_e32 v44, 0xff7fffff
	v_mov_b32_e32 v53, v28
	s_branch .LBB212_14
.LBB212_12:                             ;   in Loop: Header=BB212_14 Depth=1
	s_or_b64 exec, exec, s[46:47]
.LBB212_13:                             ;   in Loop: Header=BB212_14 Depth=1
	s_or_b64 exec, exec, s[10:11]
	v_add_co_u32_e32 v32, vcc, 8, v32
	v_add_u32_e32 v53, 2, v53
	v_addc_co_u32_e32 v33, vcc, 0, v33, vcc
	v_cmp_le_i32_e32 vcc, s54, v53
	v_add_u32_e32 v46, 32, v46
	s_or_b64 s[44:45], vcc, s[44:45]
	v_add_u32_e32 v47, 0x80, v47
	s_andn2_b64 exec, exec, s[44:45]
	s_cbranch_execz .LBB212_163
.LBB212_14:                             ; =>This Inner Loop Header: Depth=1
	s_waitcnt lgkmcnt(0)
	v_sub_u32_e32 v3, 0, v46
	v_max_i32_e32 v3, v46, v3
	v_mul_hi_u32 v4, v3, s52
	v_mul_lo_u32 v5, v4, s35
	v_sub_u32_e32 v3, v3, v5
	v_add_u32_e32 v5, 1, v4
	v_cmp_le_u32_e32 vcc, s35, v3
	v_cndmask_b32_e32 v4, v4, v5, vcc
	v_subrev_u32_e32 v5, s35, v3
	v_cndmask_b32_e32 v3, v3, v5, vcc
	v_ashrrev_i32_e32 v2, 31, v46
	v_add_u32_e32 v5, 1, v4
	v_cmp_le_u32_e32 vcc, s35, v3
	v_xor_b32_e32 v2, s53, v2
	v_cndmask_b32_e32 v3, v4, v5, vcc
	v_xor_b32_e32 v3, v3, v2
	v_sub_u32_e32 v2, v3, v2
	v_add_u32_e32 v3, s42, v2
	v_sub_u32_e32 v5, 0, v3
	v_ashrrev_i32_e32 v4, 31, v3
	v_max_i32_e32 v3, v3, v5
	v_mul_hi_u32 v5, v3, v45
	v_mul_lo_u32 v5, v5, s58
	v_sub_u32_e32 v3, v3, v5
	v_subrev_u32_e32 v5, s58, v3
	v_cmp_le_u32_e32 vcc, s58, v3
	v_cndmask_b32_e32 v3, v3, v5, vcc
	v_subrev_u32_e32 v5, s58, v3
	v_cmp_le_u32_e32 vcc, s58, v3
	v_cndmask_b32_e32 v3, v3, v5, vcc
	v_xor_b32_e32 v3, v3, v4
	v_sub_u32_e32 v3, v3, v4
	v_cmp_ne_u32_e32 vcc, 0, v3
	v_cmp_ge_i32_e64 s[10:11], s57, v2
	s_and_b64 s[10:11], vcc, s[10:11]
	s_and_b64 s[48:49], s[2:3], s[10:11]
	s_and_saveexec_b64 s[46:47], s[48:49]
	s_cbranch_execz .LBB212_16
; %bb.15:                               ;   in Loop: Header=BB212_14 Depth=1
	ds_write_b32 v47, v49
.LBB212_16:                             ;   in Loop: Header=BB212_14 Depth=1
	s_or_b64 exec, exec, s[46:47]
	s_xor_b64 s[46:47], s[10:11], -1
	s_and_saveexec_b64 s[10:11], s[46:47]
	s_cbranch_execz .LBB212_13
; %bb.17:                               ;   in Loop: Header=BB212_14 Depth=1
	global_load_dword v2, v[32:33], off
	v_mov_b32_e32 v54, 0
	v_mov_b32_e32 v55, 0
	s_waitcnt vmcnt(0)
	v_mad_i64_i32 v[2:3], s[46:47], v2, s59, v[30:31]
	v_add_co_u32_e32 v34, vcc, v2, v26
	v_addc_co_u32_e32 v35, vcc, 0, v3, vcc
	global_load_ubyte v37, v[34:35], off
	ds_read_b128 v[22:25], v43
	ds_read_b128 v[18:21], v43 offset:16
	ds_read_b128 v[14:17], v43 offset:32
	;; [unrolled: 1-line block ×5, first 2 shown]
	s_load_dword s62, s[16:17], 0x0
	s_waitcnt vmcnt(0)
	v_cmp_ne_u16_e32 vcc, 0, v37
	s_and_saveexec_b64 s[46:47], vcc
	s_cbranch_execz .LBB212_23
; %bb.18:                               ;   in Loop: Header=BB212_14 Depth=1
	v_cmp_ne_u16_e32 vcc, s60, v37
	v_bfrev_b32_e32 v55, 1
	s_and_saveexec_b64 s[48:49], vcc
	s_cbranch_execz .LBB212_22
; %bb.19:                               ;   in Loop: Header=BB212_14 Depth=1
	v_and_b32_e32 v36, 0xffff, v37
	v_and_b32_e32 v38, 0x7f, v36
	v_cmp_ne_u32_e32 vcc, s61, v38
	v_mov_b32_e32 v55, 0x7f800001
	s_and_saveexec_b64 s[50:51], vcc
	s_cbranch_execz .LBB212_21
; %bb.20:                               ;   in Loop: Header=BB212_14 Depth=1
	v_and_b32_e32 v55, 7, v36
	v_ffbh_u32_e32 v56, v55
	v_min_u32_e32 v59, 32, v56
	v_subrev_u32_e32 v56, 28, v59
	v_lshlrev_b64 v[56:57], v56, v[36:37]
	v_lshrrev_b32_e32 v58, 3, v38
	v_sub_u32_e32 v36, 29, v59
	v_and_b32_e32 v56, 7, v56
	v_cmp_gt_u32_e32 vcc, 8, v38
	v_cndmask_b32_e32 v36, v58, v36, vcc
	v_cndmask_b32_e32 v38, v55, v56, vcc
	v_lshlrev_b32_e32 v37, 24, v37
	v_lshlrev_b32_e32 v38, 20, v38
	v_and_b32_e32 v37, 0x80000000, v37
	v_lshl_add_u32 v36, v36, 23, v50
	v_or3_b32 v55, v37, v36, v38
.LBB212_21:                             ;   in Loop: Header=BB212_14 Depth=1
	s_or_b64 exec, exec, s[50:51]
.LBB212_22:                             ;   in Loop: Header=BB212_14 Depth=1
	s_or_b64 exec, exec, s[48:49]
.LBB212_23:                             ;   in Loop: Header=BB212_14 Depth=1
	s_or_b64 exec, exec, s[46:47]
	global_load_ubyte v37, v[34:35], off offset:4
	s_waitcnt vmcnt(0)
	v_cmp_ne_u16_e32 vcc, 0, v37
	s_and_saveexec_b64 s[46:47], vcc
	s_cbranch_execz .LBB212_29
; %bb.24:                               ;   in Loop: Header=BB212_14 Depth=1
	v_cmp_ne_u16_e32 vcc, s60, v37
	v_bfrev_b32_e32 v54, 1
	s_and_saveexec_b64 s[48:49], vcc
	s_cbranch_execz .LBB212_28
; %bb.25:                               ;   in Loop: Header=BB212_14 Depth=1
	v_and_b32_e32 v36, 0xffff, v37
	v_and_b32_e32 v38, 0x7f, v36
	v_cmp_ne_u32_e32 vcc, s61, v38
	v_mov_b32_e32 v54, 0x7f800001
	s_and_saveexec_b64 s[50:51], vcc
	s_cbranch_execz .LBB212_27
; %bb.26:                               ;   in Loop: Header=BB212_14 Depth=1
	v_and_b32_e32 v54, 7, v36
	v_ffbh_u32_e32 v56, v54
	v_min_u32_e32 v59, 32, v56
	v_subrev_u32_e32 v56, 28, v59
	v_lshlrev_b64 v[56:57], v56, v[36:37]
	v_lshrrev_b32_e32 v58, 3, v38
	v_sub_u32_e32 v36, 29, v59
	v_and_b32_e32 v56, 7, v56
	v_cmp_gt_u32_e32 vcc, 8, v38
	v_cndmask_b32_e32 v36, v58, v36, vcc
	v_cndmask_b32_e32 v38, v54, v56, vcc
	v_lshlrev_b32_e32 v37, 24, v37
	v_lshlrev_b32_e32 v38, 20, v38
	v_and_b32_e32 v37, 0x80000000, v37
	v_lshl_add_u32 v36, v36, 23, v50
	v_or3_b32 v54, v37, v36, v38
.LBB212_27:                             ;   in Loop: Header=BB212_14 Depth=1
	s_or_b64 exec, exec, s[50:51]
.LBB212_28:                             ;   in Loop: Header=BB212_14 Depth=1
	s_or_b64 exec, exec, s[48:49]
.LBB212_29:                             ;   in Loop: Header=BB212_14 Depth=1
	s_or_b64 exec, exec, s[46:47]
	global_load_ubyte v37, v[34:35], off offset:8
	v_mov_b32_e32 v56, 0
	v_mov_b32_e32 v57, 0
	s_waitcnt vmcnt(0)
	v_cmp_ne_u16_e32 vcc, 0, v37
	s_and_saveexec_b64 s[46:47], vcc
	s_cbranch_execz .LBB212_35
; %bb.30:                               ;   in Loop: Header=BB212_14 Depth=1
	v_cmp_ne_u16_e32 vcc, s60, v37
	v_bfrev_b32_e32 v57, 1
	s_and_saveexec_b64 s[48:49], vcc
	s_cbranch_execz .LBB212_34
; %bb.31:                               ;   in Loop: Header=BB212_14 Depth=1
	v_and_b32_e32 v36, 0xffff, v37
	v_and_b32_e32 v38, 0x7f, v36
	v_cmp_ne_u32_e32 vcc, s61, v38
	v_mov_b32_e32 v57, 0x7f800001
	s_and_saveexec_b64 s[50:51], vcc
	s_cbranch_execz .LBB212_33
; %bb.32:                               ;   in Loop: Header=BB212_14 Depth=1
	v_and_b32_e32 v57, 7, v36
	v_ffbh_u32_e32 v58, v57
	v_min_u32_e32 v61, 32, v58
	v_subrev_u32_e32 v58, 28, v61
	v_lshlrev_b64 v[58:59], v58, v[36:37]
	v_lshrrev_b32_e32 v60, 3, v38
	v_sub_u32_e32 v36, 29, v61
	v_and_b32_e32 v58, 7, v58
	v_cmp_gt_u32_e32 vcc, 8, v38
	v_cndmask_b32_e32 v36, v60, v36, vcc
	v_cndmask_b32_e32 v38, v57, v58, vcc
	v_lshlrev_b32_e32 v37, 24, v37
	v_lshlrev_b32_e32 v38, 20, v38
	v_and_b32_e32 v37, 0x80000000, v37
	v_lshl_add_u32 v36, v36, 23, v50
	v_or3_b32 v57, v37, v36, v38
.LBB212_33:                             ;   in Loop: Header=BB212_14 Depth=1
	s_or_b64 exec, exec, s[50:51]
.LBB212_34:                             ;   in Loop: Header=BB212_14 Depth=1
	s_or_b64 exec, exec, s[48:49]
.LBB212_35:                             ;   in Loop: Header=BB212_14 Depth=1
	s_or_b64 exec, exec, s[46:47]
	global_load_ubyte v37, v[34:35], off offset:12
	s_waitcnt vmcnt(0)
	v_cmp_ne_u16_e32 vcc, 0, v37
	s_and_saveexec_b64 s[46:47], vcc
	s_cbranch_execz .LBB212_41
; %bb.36:                               ;   in Loop: Header=BB212_14 Depth=1
	v_cmp_ne_u16_e32 vcc, s60, v37
	v_bfrev_b32_e32 v56, 1
	s_and_saveexec_b64 s[48:49], vcc
	s_cbranch_execz .LBB212_40
; %bb.37:                               ;   in Loop: Header=BB212_14 Depth=1
	v_and_b32_e32 v36, 0xffff, v37
	v_and_b32_e32 v38, 0x7f, v36
	v_cmp_ne_u32_e32 vcc, s61, v38
	v_mov_b32_e32 v56, 0x7f800001
	s_and_saveexec_b64 s[50:51], vcc
	s_cbranch_execz .LBB212_39
; %bb.38:                               ;   in Loop: Header=BB212_14 Depth=1
	v_and_b32_e32 v56, 7, v36
	v_ffbh_u32_e32 v58, v56
	v_min_u32_e32 v61, 32, v58
	v_subrev_u32_e32 v58, 28, v61
	v_lshlrev_b64 v[58:59], v58, v[36:37]
	v_lshrrev_b32_e32 v60, 3, v38
	v_sub_u32_e32 v36, 29, v61
	v_and_b32_e32 v58, 7, v58
	v_cmp_gt_u32_e32 vcc, 8, v38
	v_cndmask_b32_e32 v36, v60, v36, vcc
	v_cndmask_b32_e32 v38, v56, v58, vcc
	v_lshlrev_b32_e32 v37, 24, v37
	v_lshlrev_b32_e32 v38, 20, v38
	v_and_b32_e32 v37, 0x80000000, v37
	v_lshl_add_u32 v36, v36, 23, v50
	v_or3_b32 v56, v37, v36, v38
.LBB212_39:                             ;   in Loop: Header=BB212_14 Depth=1
	s_or_b64 exec, exec, s[50:51]
.LBB212_40:                             ;   in Loop: Header=BB212_14 Depth=1
	s_or_b64 exec, exec, s[48:49]
.LBB212_41:                             ;   in Loop: Header=BB212_14 Depth=1
	s_or_b64 exec, exec, s[46:47]
	global_load_ubyte v37, v[34:35], off offset:256
	v_mov_b32_e32 v58, 0
	v_mov_b32_e32 v59, 0
	s_waitcnt vmcnt(0)
	v_cmp_ne_u16_e32 vcc, 0, v37
	s_and_saveexec_b64 s[46:47], vcc
	s_cbranch_execz .LBB212_47
; %bb.42:                               ;   in Loop: Header=BB212_14 Depth=1
	v_cmp_ne_u16_e32 vcc, s60, v37
	v_bfrev_b32_e32 v59, 1
	s_and_saveexec_b64 s[48:49], vcc
	s_cbranch_execz .LBB212_46
; %bb.43:                               ;   in Loop: Header=BB212_14 Depth=1
	v_and_b32_e32 v36, 0xffff, v37
	v_and_b32_e32 v38, 0x7f, v36
	v_cmp_ne_u32_e32 vcc, s61, v38
	v_mov_b32_e32 v59, 0x7f800001
	s_and_saveexec_b64 s[50:51], vcc
	s_cbranch_execz .LBB212_45
; %bb.44:                               ;   in Loop: Header=BB212_14 Depth=1
	v_and_b32_e32 v59, 7, v36
	v_ffbh_u32_e32 v60, v59
	v_min_u32_e32 v63, 32, v60
	v_subrev_u32_e32 v60, 28, v63
	v_lshlrev_b64 v[60:61], v60, v[36:37]
	v_lshrrev_b32_e32 v62, 3, v38
	v_sub_u32_e32 v36, 29, v63
	v_and_b32_e32 v60, 7, v60
	v_cmp_gt_u32_e32 vcc, 8, v38
	v_cndmask_b32_e32 v36, v62, v36, vcc
	v_cndmask_b32_e32 v38, v59, v60, vcc
	v_lshlrev_b32_e32 v37, 24, v37
	v_lshlrev_b32_e32 v38, 20, v38
	v_and_b32_e32 v37, 0x80000000, v37
	v_lshl_add_u32 v36, v36, 23, v50
	v_or3_b32 v59, v37, v36, v38
.LBB212_45:                             ;   in Loop: Header=BB212_14 Depth=1
	s_or_b64 exec, exec, s[50:51]
.LBB212_46:                             ;   in Loop: Header=BB212_14 Depth=1
	s_or_b64 exec, exec, s[48:49]
.LBB212_47:                             ;   in Loop: Header=BB212_14 Depth=1
	s_or_b64 exec, exec, s[46:47]
	global_load_ubyte v37, v[34:35], off offset:260
	s_waitcnt vmcnt(0)
	v_cmp_ne_u16_e32 vcc, 0, v37
	s_and_saveexec_b64 s[46:47], vcc
	s_cbranch_execz .LBB212_53
; %bb.48:                               ;   in Loop: Header=BB212_14 Depth=1
	v_cmp_ne_u16_e32 vcc, s60, v37
	v_bfrev_b32_e32 v58, 1
	s_and_saveexec_b64 s[48:49], vcc
	s_cbranch_execz .LBB212_52
; %bb.49:                               ;   in Loop: Header=BB212_14 Depth=1
	v_and_b32_e32 v36, 0xffff, v37
	v_and_b32_e32 v38, 0x7f, v36
	v_cmp_ne_u32_e32 vcc, s61, v38
	v_mov_b32_e32 v58, 0x7f800001
	s_and_saveexec_b64 s[50:51], vcc
	s_cbranch_execz .LBB212_51
; %bb.50:                               ;   in Loop: Header=BB212_14 Depth=1
	v_and_b32_e32 v58, 7, v36
	v_ffbh_u32_e32 v60, v58
	v_min_u32_e32 v63, 32, v60
	v_subrev_u32_e32 v60, 28, v63
	v_lshlrev_b64 v[60:61], v60, v[36:37]
	v_lshrrev_b32_e32 v62, 3, v38
	v_sub_u32_e32 v36, 29, v63
	v_and_b32_e32 v60, 7, v60
	v_cmp_gt_u32_e32 vcc, 8, v38
	v_cndmask_b32_e32 v36, v62, v36, vcc
	v_cndmask_b32_e32 v38, v58, v60, vcc
	v_lshlrev_b32_e32 v37, 24, v37
	v_lshlrev_b32_e32 v38, 20, v38
	v_and_b32_e32 v37, 0x80000000, v37
	v_lshl_add_u32 v36, v36, 23, v50
	v_or3_b32 v58, v37, v36, v38
.LBB212_51:                             ;   in Loop: Header=BB212_14 Depth=1
	s_or_b64 exec, exec, s[50:51]
.LBB212_52:                             ;   in Loop: Header=BB212_14 Depth=1
	s_or_b64 exec, exec, s[48:49]
.LBB212_53:                             ;   in Loop: Header=BB212_14 Depth=1
	s_or_b64 exec, exec, s[46:47]
	v_add_co_u32_e32 v36, vcc, 0x100, v34
	v_addc_co_u32_e32 v37, vcc, 0, v35, vcc
	global_load_ubyte v62, v[36:37], off offset:8
	v_mov_b32_e32 v60, 0
	v_mov_b32_e32 v61, 0
	s_waitcnt vmcnt(0)
	v_cmp_ne_u16_e32 vcc, 0, v62
	s_and_saveexec_b64 s[46:47], vcc
	s_cbranch_execz .LBB212_59
; %bb.54:                               ;   in Loop: Header=BB212_14 Depth=1
	v_cmp_ne_u16_e32 vcc, s60, v62
	v_bfrev_b32_e32 v61, 1
	s_and_saveexec_b64 s[48:49], vcc
	s_cbranch_execz .LBB212_58
; %bb.55:                               ;   in Loop: Header=BB212_14 Depth=1
	v_and_b32_e32 v38, 0xffff, v62
	v_and_b32_e32 v63, 0x7f, v38
	v_cmp_ne_u32_e32 vcc, s61, v63
	v_mov_b32_e32 v61, 0x7f800001
	s_and_saveexec_b64 s[50:51], vcc
	s_cbranch_execz .LBB212_57
; %bb.56:                               ;   in Loop: Header=BB212_14 Depth=1
	v_and_b32_e32 v61, 7, v38
	v_ffbh_u32_e32 v64, v61
	v_min_u32_e32 v67, 32, v64
	v_subrev_u32_e32 v64, 28, v67
	v_lshlrev_b64 v[64:65], v64, v[38:39]
	v_lshrrev_b32_e32 v66, 3, v63
	v_sub_u32_e32 v38, 29, v67
	v_and_b32_e32 v64, 7, v64
	v_cmp_gt_u32_e32 vcc, 8, v63
	v_cndmask_b32_e32 v38, v66, v38, vcc
	v_cndmask_b32_e32 v61, v61, v64, vcc
	v_lshlrev_b32_e32 v62, 24, v62
	v_lshlrev_b32_e32 v61, 20, v61
	v_and_b32_e32 v62, 0x80000000, v62
	v_lshl_add_u32 v38, v38, 23, v50
	v_or3_b32 v61, v62, v38, v61
.LBB212_57:                             ;   in Loop: Header=BB212_14 Depth=1
	s_or_b64 exec, exec, s[50:51]
.LBB212_58:                             ;   in Loop: Header=BB212_14 Depth=1
	s_or_b64 exec, exec, s[48:49]
.LBB212_59:                             ;   in Loop: Header=BB212_14 Depth=1
	s_or_b64 exec, exec, s[46:47]
	global_load_ubyte v37, v[36:37], off offset:12
	s_waitcnt vmcnt(0)
	v_cmp_ne_u16_e32 vcc, 0, v37
	s_and_saveexec_b64 s[46:47], vcc
	s_cbranch_execz .LBB212_65
; %bb.60:                               ;   in Loop: Header=BB212_14 Depth=1
	v_cmp_ne_u16_e32 vcc, s60, v37
	v_bfrev_b32_e32 v60, 1
	s_and_saveexec_b64 s[48:49], vcc
	s_cbranch_execz .LBB212_64
; %bb.61:                               ;   in Loop: Header=BB212_14 Depth=1
	v_and_b32_e32 v36, 0xffff, v37
	v_and_b32_e32 v38, 0x7f, v36
	v_cmp_ne_u32_e32 vcc, s61, v38
	v_mov_b32_e32 v60, 0x7f800001
	s_and_saveexec_b64 s[50:51], vcc
	s_cbranch_execz .LBB212_63
; %bb.62:                               ;   in Loop: Header=BB212_14 Depth=1
	v_and_b32_e32 v60, 7, v36
	v_ffbh_u32_e32 v62, v60
	v_min_u32_e32 v65, 32, v62
	v_subrev_u32_e32 v62, 28, v65
	v_lshlrev_b64 v[62:63], v62, v[36:37]
	v_lshrrev_b32_e32 v64, 3, v38
	v_sub_u32_e32 v36, 29, v65
	v_and_b32_e32 v62, 7, v62
	v_cmp_gt_u32_e32 vcc, 8, v38
	v_cndmask_b32_e32 v36, v64, v36, vcc
	v_cndmask_b32_e32 v38, v60, v62, vcc
	v_lshlrev_b32_e32 v37, 24, v37
	v_lshlrev_b32_e32 v38, 20, v38
	v_and_b32_e32 v37, 0x80000000, v37
	v_lshl_add_u32 v36, v36, 23, v50
	v_or3_b32 v60, v37, v36, v38
.LBB212_63:                             ;   in Loop: Header=BB212_14 Depth=1
	s_or_b64 exec, exec, s[50:51]
.LBB212_64:                             ;   in Loop: Header=BB212_14 Depth=1
	s_or_b64 exec, exec, s[48:49]
.LBB212_65:                             ;   in Loop: Header=BB212_14 Depth=1
	s_or_b64 exec, exec, s[46:47]
	global_load_ubyte v37, v[34:35], off offset:512
	v_mov_b32_e32 v62, 0
	v_mov_b32_e32 v63, 0
	s_waitcnt vmcnt(0)
	v_cmp_ne_u16_e32 vcc, 0, v37
	s_and_saveexec_b64 s[46:47], vcc
	s_cbranch_execz .LBB212_71
; %bb.66:                               ;   in Loop: Header=BB212_14 Depth=1
	v_cmp_ne_u16_e32 vcc, s60, v37
	v_bfrev_b32_e32 v63, 1
	s_and_saveexec_b64 s[48:49], vcc
	s_cbranch_execz .LBB212_70
; %bb.67:                               ;   in Loop: Header=BB212_14 Depth=1
	v_and_b32_e32 v36, 0xffff, v37
	v_and_b32_e32 v38, 0x7f, v36
	v_cmp_ne_u32_e32 vcc, s61, v38
	v_mov_b32_e32 v63, 0x7f800001
	s_and_saveexec_b64 s[50:51], vcc
	s_cbranch_execz .LBB212_69
; %bb.68:                               ;   in Loop: Header=BB212_14 Depth=1
	v_and_b32_e32 v63, 7, v36
	v_ffbh_u32_e32 v64, v63
	v_min_u32_e32 v67, 32, v64
	v_subrev_u32_e32 v64, 28, v67
	v_lshlrev_b64 v[64:65], v64, v[36:37]
	v_lshrrev_b32_e32 v66, 3, v38
	v_sub_u32_e32 v36, 29, v67
	v_and_b32_e32 v64, 7, v64
	v_cmp_gt_u32_e32 vcc, 8, v38
	v_cndmask_b32_e32 v36, v66, v36, vcc
	v_cndmask_b32_e32 v38, v63, v64, vcc
	v_lshlrev_b32_e32 v37, 24, v37
	v_lshlrev_b32_e32 v38, 20, v38
	v_and_b32_e32 v37, 0x80000000, v37
	v_lshl_add_u32 v36, v36, 23, v50
	v_or3_b32 v63, v37, v36, v38
.LBB212_69:                             ;   in Loop: Header=BB212_14 Depth=1
	s_or_b64 exec, exec, s[50:51]
.LBB212_70:                             ;   in Loop: Header=BB212_14 Depth=1
	s_or_b64 exec, exec, s[48:49]
.LBB212_71:                             ;   in Loop: Header=BB212_14 Depth=1
	s_or_b64 exec, exec, s[46:47]
	global_load_ubyte v37, v[34:35], off offset:516
	s_waitcnt vmcnt(0)
	v_cmp_ne_u16_e32 vcc, 0, v37
	s_and_saveexec_b64 s[46:47], vcc
	s_cbranch_execz .LBB212_77
; %bb.72:                               ;   in Loop: Header=BB212_14 Depth=1
	v_cmp_ne_u16_e32 vcc, s60, v37
	v_bfrev_b32_e32 v62, 1
	s_and_saveexec_b64 s[48:49], vcc
	s_cbranch_execz .LBB212_76
; %bb.73:                               ;   in Loop: Header=BB212_14 Depth=1
	v_and_b32_e32 v36, 0xffff, v37
	v_and_b32_e32 v38, 0x7f, v36
	v_cmp_ne_u32_e32 vcc, s61, v38
	v_mov_b32_e32 v62, 0x7f800001
	s_and_saveexec_b64 s[50:51], vcc
	s_cbranch_execz .LBB212_75
; %bb.74:                               ;   in Loop: Header=BB212_14 Depth=1
	v_and_b32_e32 v62, 7, v36
	v_ffbh_u32_e32 v64, v62
	v_min_u32_e32 v67, 32, v64
	v_subrev_u32_e32 v64, 28, v67
	v_lshlrev_b64 v[64:65], v64, v[36:37]
	v_lshrrev_b32_e32 v66, 3, v38
	v_sub_u32_e32 v36, 29, v67
	v_and_b32_e32 v64, 7, v64
	v_cmp_gt_u32_e32 vcc, 8, v38
	v_cndmask_b32_e32 v36, v66, v36, vcc
	v_cndmask_b32_e32 v38, v62, v64, vcc
	v_lshlrev_b32_e32 v37, 24, v37
	v_lshlrev_b32_e32 v38, 20, v38
	v_and_b32_e32 v37, 0x80000000, v37
	v_lshl_add_u32 v36, v36, 23, v50
	v_or3_b32 v62, v37, v36, v38
.LBB212_75:                             ;   in Loop: Header=BB212_14 Depth=1
	s_or_b64 exec, exec, s[50:51]
.LBB212_76:                             ;   in Loop: Header=BB212_14 Depth=1
	s_or_b64 exec, exec, s[48:49]
.LBB212_77:                             ;   in Loop: Header=BB212_14 Depth=1
	s_or_b64 exec, exec, s[46:47]
	v_add_co_u32_e32 v36, vcc, 0x200, v34
	v_addc_co_u32_e32 v37, vcc, 0, v35, vcc
	global_load_ubyte v66, v[36:37], off offset:8
	v_mov_b32_e32 v64, 0
	v_mov_b32_e32 v65, 0
	s_waitcnt vmcnt(0)
	v_cmp_ne_u16_e32 vcc, 0, v66
	s_and_saveexec_b64 s[46:47], vcc
	s_cbranch_execz .LBB212_83
; %bb.78:                               ;   in Loop: Header=BB212_14 Depth=1
	v_cmp_ne_u16_e32 vcc, s60, v66
	v_bfrev_b32_e32 v65, 1
	s_and_saveexec_b64 s[48:49], vcc
	s_cbranch_execz .LBB212_82
; %bb.79:                               ;   in Loop: Header=BB212_14 Depth=1
	v_and_b32_e32 v38, 0xffff, v66
	v_and_b32_e32 v67, 0x7f, v38
	v_cmp_ne_u32_e32 vcc, s61, v67
	v_mov_b32_e32 v65, 0x7f800001
	s_and_saveexec_b64 s[50:51], vcc
	s_cbranch_execz .LBB212_81
; %bb.80:                               ;   in Loop: Header=BB212_14 Depth=1
	v_and_b32_e32 v65, 7, v38
	v_ffbh_u32_e32 v68, v65
	v_min_u32_e32 v71, 32, v68
	v_subrev_u32_e32 v68, 28, v71
	v_lshlrev_b64 v[68:69], v68, v[38:39]
	v_lshrrev_b32_e32 v70, 3, v67
	v_sub_u32_e32 v38, 29, v71
	v_and_b32_e32 v68, 7, v68
	v_cmp_gt_u32_e32 vcc, 8, v67
	v_cndmask_b32_e32 v38, v70, v38, vcc
	v_cndmask_b32_e32 v65, v65, v68, vcc
	v_lshlrev_b32_e32 v66, 24, v66
	v_lshlrev_b32_e32 v65, 20, v65
	v_and_b32_e32 v66, 0x80000000, v66
	v_lshl_add_u32 v38, v38, 23, v50
	v_or3_b32 v65, v66, v38, v65
.LBB212_81:                             ;   in Loop: Header=BB212_14 Depth=1
	s_or_b64 exec, exec, s[50:51]
.LBB212_82:                             ;   in Loop: Header=BB212_14 Depth=1
	s_or_b64 exec, exec, s[48:49]
.LBB212_83:                             ;   in Loop: Header=BB212_14 Depth=1
	s_or_b64 exec, exec, s[46:47]
	global_load_ubyte v37, v[36:37], off offset:12
	s_waitcnt vmcnt(0)
	v_cmp_ne_u16_e32 vcc, 0, v37
	s_and_saveexec_b64 s[46:47], vcc
	s_cbranch_execz .LBB212_89
; %bb.84:                               ;   in Loop: Header=BB212_14 Depth=1
	v_cmp_ne_u16_e32 vcc, s60, v37
	v_bfrev_b32_e32 v64, 1
	s_and_saveexec_b64 s[48:49], vcc
	s_cbranch_execz .LBB212_88
; %bb.85:                               ;   in Loop: Header=BB212_14 Depth=1
	v_and_b32_e32 v36, 0xffff, v37
	v_and_b32_e32 v38, 0x7f, v36
	v_cmp_ne_u32_e32 vcc, s61, v38
	v_mov_b32_e32 v64, 0x7f800001
	s_and_saveexec_b64 s[50:51], vcc
	s_cbranch_execz .LBB212_87
; %bb.86:                               ;   in Loop: Header=BB212_14 Depth=1
	v_and_b32_e32 v64, 7, v36
	v_ffbh_u32_e32 v66, v64
	v_min_u32_e32 v69, 32, v66
	v_subrev_u32_e32 v66, 28, v69
	v_lshlrev_b64 v[66:67], v66, v[36:37]
	v_lshrrev_b32_e32 v68, 3, v38
	v_sub_u32_e32 v36, 29, v69
	v_and_b32_e32 v66, 7, v66
	v_cmp_gt_u32_e32 vcc, 8, v38
	v_cndmask_b32_e32 v36, v68, v36, vcc
	v_cndmask_b32_e32 v38, v64, v66, vcc
	v_lshlrev_b32_e32 v37, 24, v37
	v_lshlrev_b32_e32 v38, 20, v38
	v_and_b32_e32 v37, 0x80000000, v37
	v_lshl_add_u32 v36, v36, 23, v50
	v_or3_b32 v64, v37, v36, v38
.LBB212_87:                             ;   in Loop: Header=BB212_14 Depth=1
	s_or_b64 exec, exec, s[50:51]
.LBB212_88:                             ;   in Loop: Header=BB212_14 Depth=1
	s_or_b64 exec, exec, s[48:49]
.LBB212_89:                             ;   in Loop: Header=BB212_14 Depth=1
	s_or_b64 exec, exec, s[46:47]
	global_load_ubyte v37, v[34:35], off offset:768
	v_mov_b32_e32 v66, 0
	v_mov_b32_e32 v67, 0
	s_waitcnt vmcnt(0)
	v_cmp_ne_u16_e32 vcc, 0, v37
	s_and_saveexec_b64 s[46:47], vcc
	s_cbranch_execz .LBB212_95
; %bb.90:                               ;   in Loop: Header=BB212_14 Depth=1
	v_cmp_ne_u16_e32 vcc, s60, v37
	v_bfrev_b32_e32 v67, 1
	s_and_saveexec_b64 s[48:49], vcc
	s_cbranch_execz .LBB212_94
; %bb.91:                               ;   in Loop: Header=BB212_14 Depth=1
	v_and_b32_e32 v36, 0xffff, v37
	v_and_b32_e32 v38, 0x7f, v36
	v_cmp_ne_u32_e32 vcc, s61, v38
	v_mov_b32_e32 v67, 0x7f800001
	s_and_saveexec_b64 s[50:51], vcc
	s_cbranch_execz .LBB212_93
; %bb.92:                               ;   in Loop: Header=BB212_14 Depth=1
	v_and_b32_e32 v67, 7, v36
	v_ffbh_u32_e32 v68, v67
	v_min_u32_e32 v71, 32, v68
	v_subrev_u32_e32 v68, 28, v71
	v_lshlrev_b64 v[68:69], v68, v[36:37]
	v_lshrrev_b32_e32 v70, 3, v38
	v_sub_u32_e32 v36, 29, v71
	v_and_b32_e32 v68, 7, v68
	v_cmp_gt_u32_e32 vcc, 8, v38
	v_cndmask_b32_e32 v36, v70, v36, vcc
	v_cndmask_b32_e32 v38, v67, v68, vcc
	v_lshlrev_b32_e32 v37, 24, v37
	v_lshlrev_b32_e32 v38, 20, v38
	v_and_b32_e32 v37, 0x80000000, v37
	v_lshl_add_u32 v36, v36, 23, v50
	v_or3_b32 v67, v37, v36, v38
.LBB212_93:                             ;   in Loop: Header=BB212_14 Depth=1
	s_or_b64 exec, exec, s[50:51]
.LBB212_94:                             ;   in Loop: Header=BB212_14 Depth=1
	s_or_b64 exec, exec, s[48:49]
.LBB212_95:                             ;   in Loop: Header=BB212_14 Depth=1
	s_or_b64 exec, exec, s[46:47]
	global_load_ubyte v37, v[34:35], off offset:772
	s_waitcnt vmcnt(0)
	v_cmp_ne_u16_e32 vcc, 0, v37
	s_and_saveexec_b64 s[46:47], vcc
	s_cbranch_execz .LBB212_101
; %bb.96:                               ;   in Loop: Header=BB212_14 Depth=1
	v_cmp_ne_u16_e32 vcc, s60, v37
	v_bfrev_b32_e32 v66, 1
	s_and_saveexec_b64 s[48:49], vcc
	s_cbranch_execz .LBB212_100
; %bb.97:                               ;   in Loop: Header=BB212_14 Depth=1
	v_and_b32_e32 v36, 0xffff, v37
	v_and_b32_e32 v38, 0x7f, v36
	v_cmp_ne_u32_e32 vcc, s61, v38
	v_mov_b32_e32 v66, 0x7f800001
	s_and_saveexec_b64 s[50:51], vcc
	s_cbranch_execz .LBB212_99
; %bb.98:                               ;   in Loop: Header=BB212_14 Depth=1
	v_and_b32_e32 v66, 7, v36
	v_ffbh_u32_e32 v68, v66
	v_min_u32_e32 v71, 32, v68
	v_subrev_u32_e32 v68, 28, v71
	v_lshlrev_b64 v[68:69], v68, v[36:37]
	v_lshrrev_b32_e32 v70, 3, v38
	v_sub_u32_e32 v36, 29, v71
	v_and_b32_e32 v68, 7, v68
	v_cmp_gt_u32_e32 vcc, 8, v38
	v_cndmask_b32_e32 v36, v70, v36, vcc
	v_cndmask_b32_e32 v38, v66, v68, vcc
	v_lshlrev_b32_e32 v37, 24, v37
	v_lshlrev_b32_e32 v38, 20, v38
	v_and_b32_e32 v37, 0x80000000, v37
	v_lshl_add_u32 v36, v36, 23, v50
	v_or3_b32 v66, v37, v36, v38
.LBB212_99:                             ;   in Loop: Header=BB212_14 Depth=1
	s_or_b64 exec, exec, s[50:51]
.LBB212_100:                            ;   in Loop: Header=BB212_14 Depth=1
	s_or_b64 exec, exec, s[48:49]
.LBB212_101:                            ;   in Loop: Header=BB212_14 Depth=1
	s_or_b64 exec, exec, s[46:47]
	v_add_co_u32_e32 v36, vcc, 0x300, v34
	v_addc_co_u32_e32 v37, vcc, 0, v35, vcc
	global_load_ubyte v70, v[36:37], off offset:8
	v_mov_b32_e32 v68, 0
	v_mov_b32_e32 v69, 0
	s_waitcnt vmcnt(0)
	v_cmp_ne_u16_e32 vcc, 0, v70
	s_and_saveexec_b64 s[46:47], vcc
	s_cbranch_execz .LBB212_107
; %bb.102:                              ;   in Loop: Header=BB212_14 Depth=1
	v_cmp_ne_u16_e32 vcc, s60, v70
	v_bfrev_b32_e32 v69, 1
	s_and_saveexec_b64 s[48:49], vcc
	s_cbranch_execz .LBB212_106
; %bb.103:                              ;   in Loop: Header=BB212_14 Depth=1
	v_and_b32_e32 v38, 0xffff, v70
	v_and_b32_e32 v71, 0x7f, v38
	v_cmp_ne_u32_e32 vcc, s61, v71
	v_mov_b32_e32 v69, 0x7f800001
	s_and_saveexec_b64 s[50:51], vcc
	s_cbranch_execz .LBB212_105
; %bb.104:                              ;   in Loop: Header=BB212_14 Depth=1
	v_and_b32_e32 v69, 7, v38
	v_ffbh_u32_e32 v72, v69
	v_min_u32_e32 v75, 32, v72
	v_subrev_u32_e32 v72, 28, v75
	v_lshlrev_b64 v[72:73], v72, v[38:39]
	v_lshrrev_b32_e32 v74, 3, v71
	v_sub_u32_e32 v38, 29, v75
	v_and_b32_e32 v72, 7, v72
	v_cmp_gt_u32_e32 vcc, 8, v71
	v_cndmask_b32_e32 v38, v74, v38, vcc
	v_cndmask_b32_e32 v69, v69, v72, vcc
	v_lshlrev_b32_e32 v70, 24, v70
	v_lshlrev_b32_e32 v69, 20, v69
	v_and_b32_e32 v70, 0x80000000, v70
	v_lshl_add_u32 v38, v38, 23, v50
	v_or3_b32 v69, v70, v38, v69
.LBB212_105:                            ;   in Loop: Header=BB212_14 Depth=1
	s_or_b64 exec, exec, s[50:51]
.LBB212_106:                            ;   in Loop: Header=BB212_14 Depth=1
	s_or_b64 exec, exec, s[48:49]
.LBB212_107:                            ;   in Loop: Header=BB212_14 Depth=1
	s_or_b64 exec, exec, s[46:47]
	global_load_ubyte v37, v[36:37], off offset:12
	s_waitcnt vmcnt(0)
	v_cmp_ne_u16_e32 vcc, 0, v37
	s_and_saveexec_b64 s[46:47], vcc
	s_cbranch_execz .LBB212_113
; %bb.108:                              ;   in Loop: Header=BB212_14 Depth=1
	v_cmp_ne_u16_e32 vcc, s60, v37
	v_bfrev_b32_e32 v68, 1
	s_and_saveexec_b64 s[48:49], vcc
	s_cbranch_execz .LBB212_112
; %bb.109:                              ;   in Loop: Header=BB212_14 Depth=1
	v_and_b32_e32 v36, 0xffff, v37
	v_and_b32_e32 v38, 0x7f, v36
	v_cmp_ne_u32_e32 vcc, s61, v38
	v_mov_b32_e32 v68, 0x7f800001
	s_and_saveexec_b64 s[50:51], vcc
	s_cbranch_execz .LBB212_111
; %bb.110:                              ;   in Loop: Header=BB212_14 Depth=1
	v_and_b32_e32 v68, 7, v36
	v_ffbh_u32_e32 v70, v68
	v_min_u32_e32 v73, 32, v70
	v_subrev_u32_e32 v70, 28, v73
	v_lshlrev_b64 v[70:71], v70, v[36:37]
	v_lshrrev_b32_e32 v72, 3, v38
	v_sub_u32_e32 v36, 29, v73
	v_and_b32_e32 v70, 7, v70
	v_cmp_gt_u32_e32 vcc, 8, v38
	v_cndmask_b32_e32 v36, v72, v36, vcc
	v_cndmask_b32_e32 v38, v68, v70, vcc
	v_lshlrev_b32_e32 v37, 24, v37
	v_lshlrev_b32_e32 v38, 20, v38
	v_and_b32_e32 v37, 0x80000000, v37
	v_lshl_add_u32 v36, v36, 23, v50
	v_or3_b32 v68, v37, v36, v38
.LBB212_111:                            ;   in Loop: Header=BB212_14 Depth=1
	s_or_b64 exec, exec, s[50:51]
.LBB212_112:                            ;   in Loop: Header=BB212_14 Depth=1
	s_or_b64 exec, exec, s[48:49]
.LBB212_113:                            ;   in Loop: Header=BB212_14 Depth=1
	s_or_b64 exec, exec, s[46:47]
	global_load_ubyte v37, v[34:35], off offset:1024
	v_mov_b32_e32 v70, 0
	v_mov_b32_e32 v71, 0
	s_waitcnt vmcnt(0)
	v_cmp_ne_u16_e32 vcc, 0, v37
	s_and_saveexec_b64 s[46:47], vcc
	s_cbranch_execz .LBB212_119
; %bb.114:                              ;   in Loop: Header=BB212_14 Depth=1
	v_cmp_ne_u16_e32 vcc, s60, v37
	v_bfrev_b32_e32 v71, 1
	s_and_saveexec_b64 s[48:49], vcc
	s_cbranch_execz .LBB212_118
; %bb.115:                              ;   in Loop: Header=BB212_14 Depth=1
	v_and_b32_e32 v36, 0xffff, v37
	v_and_b32_e32 v38, 0x7f, v36
	v_cmp_ne_u32_e32 vcc, s61, v38
	v_mov_b32_e32 v71, 0x7f800001
	s_and_saveexec_b64 s[50:51], vcc
	s_cbranch_execz .LBB212_117
; %bb.116:                              ;   in Loop: Header=BB212_14 Depth=1
	v_and_b32_e32 v71, 7, v36
	v_ffbh_u32_e32 v72, v71
	v_min_u32_e32 v75, 32, v72
	v_subrev_u32_e32 v72, 28, v75
	v_lshlrev_b64 v[72:73], v72, v[36:37]
	v_lshrrev_b32_e32 v74, 3, v38
	v_sub_u32_e32 v36, 29, v75
	v_and_b32_e32 v72, 7, v72
	v_cmp_gt_u32_e32 vcc, 8, v38
	v_cndmask_b32_e32 v36, v74, v36, vcc
	v_cndmask_b32_e32 v38, v71, v72, vcc
	v_lshlrev_b32_e32 v37, 24, v37
	v_lshlrev_b32_e32 v38, 20, v38
	v_and_b32_e32 v37, 0x80000000, v37
	v_lshl_add_u32 v36, v36, 23, v50
	v_or3_b32 v71, v37, v36, v38
.LBB212_117:                            ;   in Loop: Header=BB212_14 Depth=1
	s_or_b64 exec, exec, s[50:51]
.LBB212_118:                            ;   in Loop: Header=BB212_14 Depth=1
	s_or_b64 exec, exec, s[48:49]
.LBB212_119:                            ;   in Loop: Header=BB212_14 Depth=1
	s_or_b64 exec, exec, s[46:47]
	global_load_ubyte v37, v[34:35], off offset:1028
	s_waitcnt vmcnt(0)
	v_cmp_ne_u16_e32 vcc, 0, v37
	s_and_saveexec_b64 s[46:47], vcc
	s_cbranch_execz .LBB212_125
; %bb.120:                              ;   in Loop: Header=BB212_14 Depth=1
	v_cmp_ne_u16_e32 vcc, s60, v37
	v_bfrev_b32_e32 v70, 1
	s_and_saveexec_b64 s[48:49], vcc
	s_cbranch_execz .LBB212_124
; %bb.121:                              ;   in Loop: Header=BB212_14 Depth=1
	v_and_b32_e32 v36, 0xffff, v37
	v_and_b32_e32 v38, 0x7f, v36
	v_cmp_ne_u32_e32 vcc, s61, v38
	v_mov_b32_e32 v70, 0x7f800001
	s_and_saveexec_b64 s[50:51], vcc
	s_cbranch_execz .LBB212_123
; %bb.122:                              ;   in Loop: Header=BB212_14 Depth=1
	v_and_b32_e32 v70, 7, v36
	v_ffbh_u32_e32 v72, v70
	v_min_u32_e32 v75, 32, v72
	v_subrev_u32_e32 v72, 28, v75
	v_lshlrev_b64 v[72:73], v72, v[36:37]
	v_lshrrev_b32_e32 v74, 3, v38
	v_sub_u32_e32 v36, 29, v75
	v_and_b32_e32 v72, 7, v72
	v_cmp_gt_u32_e32 vcc, 8, v38
	v_cndmask_b32_e32 v36, v74, v36, vcc
	v_cndmask_b32_e32 v38, v70, v72, vcc
	v_lshlrev_b32_e32 v37, 24, v37
	v_lshlrev_b32_e32 v38, 20, v38
	v_and_b32_e32 v37, 0x80000000, v37
	v_lshl_add_u32 v36, v36, 23, v50
	v_or3_b32 v70, v37, v36, v38
.LBB212_123:                            ;   in Loop: Header=BB212_14 Depth=1
	s_or_b64 exec, exec, s[50:51]
.LBB212_124:                            ;   in Loop: Header=BB212_14 Depth=1
	s_or_b64 exec, exec, s[48:49]
.LBB212_125:                            ;   in Loop: Header=BB212_14 Depth=1
	s_or_b64 exec, exec, s[46:47]
	v_add_co_u32_e32 v36, vcc, 0x400, v34
	v_addc_co_u32_e32 v37, vcc, 0, v35, vcc
	global_load_ubyte v74, v[36:37], off offset:8
	v_mov_b32_e32 v72, 0
	v_mov_b32_e32 v73, 0
	s_waitcnt vmcnt(0)
	v_cmp_ne_u16_e32 vcc, 0, v74
	s_and_saveexec_b64 s[46:47], vcc
	s_cbranch_execz .LBB212_131
; %bb.126:                              ;   in Loop: Header=BB212_14 Depth=1
	v_cmp_ne_u16_e32 vcc, s60, v74
	v_bfrev_b32_e32 v73, 1
	s_and_saveexec_b64 s[48:49], vcc
	s_cbranch_execz .LBB212_130
; %bb.127:                              ;   in Loop: Header=BB212_14 Depth=1
	v_and_b32_e32 v38, 0xffff, v74
	v_and_b32_e32 v75, 0x7f, v38
	v_cmp_ne_u32_e32 vcc, s61, v75
	v_mov_b32_e32 v73, 0x7f800001
	s_and_saveexec_b64 s[50:51], vcc
	s_cbranch_execz .LBB212_129
; %bb.128:                              ;   in Loop: Header=BB212_14 Depth=1
	v_and_b32_e32 v73, 7, v38
	v_ffbh_u32_e32 v76, v73
	v_min_u32_e32 v79, 32, v76
	v_subrev_u32_e32 v76, 28, v79
	v_lshlrev_b64 v[76:77], v76, v[38:39]
	v_lshrrev_b32_e32 v78, 3, v75
	v_sub_u32_e32 v38, 29, v79
	v_and_b32_e32 v76, 7, v76
	v_cmp_gt_u32_e32 vcc, 8, v75
	v_cndmask_b32_e32 v38, v78, v38, vcc
	v_cndmask_b32_e32 v73, v73, v76, vcc
	v_lshlrev_b32_e32 v74, 24, v74
	v_lshlrev_b32_e32 v73, 20, v73
	v_and_b32_e32 v74, 0x80000000, v74
	v_lshl_add_u32 v38, v38, 23, v50
	v_or3_b32 v73, v74, v38, v73
.LBB212_129:                            ;   in Loop: Header=BB212_14 Depth=1
	s_or_b64 exec, exec, s[50:51]
.LBB212_130:                            ;   in Loop: Header=BB212_14 Depth=1
	s_or_b64 exec, exec, s[48:49]
.LBB212_131:                            ;   in Loop: Header=BB212_14 Depth=1
	s_or_b64 exec, exec, s[46:47]
	global_load_ubyte v37, v[36:37], off offset:12
	s_waitcnt vmcnt(0)
	v_cmp_ne_u16_e32 vcc, 0, v37
	s_and_saveexec_b64 s[46:47], vcc
	s_cbranch_execz .LBB212_137
; %bb.132:                              ;   in Loop: Header=BB212_14 Depth=1
	v_cmp_ne_u16_e32 vcc, s60, v37
	v_bfrev_b32_e32 v72, 1
	s_and_saveexec_b64 s[48:49], vcc
	s_cbranch_execz .LBB212_136
; %bb.133:                              ;   in Loop: Header=BB212_14 Depth=1
	v_and_b32_e32 v36, 0xffff, v37
	v_and_b32_e32 v38, 0x7f, v36
	v_cmp_ne_u32_e32 vcc, s61, v38
	v_mov_b32_e32 v72, 0x7f800001
	s_and_saveexec_b64 s[50:51], vcc
	s_cbranch_execz .LBB212_135
; %bb.134:                              ;   in Loop: Header=BB212_14 Depth=1
	v_and_b32_e32 v72, 7, v36
	v_ffbh_u32_e32 v74, v72
	v_min_u32_e32 v77, 32, v74
	v_subrev_u32_e32 v74, 28, v77
	v_lshlrev_b64 v[74:75], v74, v[36:37]
	v_lshrrev_b32_e32 v76, 3, v38
	v_sub_u32_e32 v36, 29, v77
	v_and_b32_e32 v74, 7, v74
	v_cmp_gt_u32_e32 vcc, 8, v38
	v_cndmask_b32_e32 v36, v76, v36, vcc
	v_cndmask_b32_e32 v38, v72, v74, vcc
	v_lshlrev_b32_e32 v37, 24, v37
	v_lshlrev_b32_e32 v38, 20, v38
	v_and_b32_e32 v37, 0x80000000, v37
	v_lshl_add_u32 v36, v36, 23, v50
	v_or3_b32 v72, v37, v36, v38
.LBB212_135:                            ;   in Loop: Header=BB212_14 Depth=1
	s_or_b64 exec, exec, s[50:51]
.LBB212_136:                            ;   in Loop: Header=BB212_14 Depth=1
	s_or_b64 exec, exec, s[48:49]
.LBB212_137:                            ;   in Loop: Header=BB212_14 Depth=1
	s_or_b64 exec, exec, s[46:47]
	global_load_ubyte v74, v[34:35], off offset:1280
	v_mov_b32_e32 v37, 0
	v_mov_b32_e32 v38, 0
	s_waitcnt vmcnt(0)
	v_cmp_ne_u16_e32 vcc, 0, v74
	s_and_saveexec_b64 s[46:47], vcc
	s_cbranch_execz .LBB212_143
; %bb.138:                              ;   in Loop: Header=BB212_14 Depth=1
	v_cmp_ne_u16_e32 vcc, s60, v74
	v_bfrev_b32_e32 v38, 1
	s_and_saveexec_b64 s[48:49], vcc
	s_cbranch_execz .LBB212_142
; %bb.139:                              ;   in Loop: Header=BB212_14 Depth=1
	v_and_b32_e32 v36, 0xffff, v74
	v_and_b32_e32 v75, 0x7f, v36
	v_cmp_ne_u32_e32 vcc, s61, v75
	v_mov_b32_e32 v38, 0x7f800001
	s_and_saveexec_b64 s[50:51], vcc
	s_cbranch_execz .LBB212_141
; %bb.140:                              ;   in Loop: Header=BB212_14 Depth=1
	v_and_b32_e32 v38, 7, v36
	v_ffbh_u32_e32 v76, v38
	v_min_u32_e32 v79, 32, v76
	v_subrev_u32_e32 v76, 28, v79
	v_lshlrev_b64 v[76:77], v76, v[36:37]
	v_lshrrev_b32_e32 v78, 3, v75
	v_sub_u32_e32 v36, 29, v79
	v_and_b32_e32 v76, 7, v76
	v_cmp_gt_u32_e32 vcc, 8, v75
	v_cndmask_b32_e32 v36, v78, v36, vcc
	v_cndmask_b32_e32 v38, v38, v76, vcc
	v_lshlrev_b32_e32 v74, 24, v74
	v_lshlrev_b32_e32 v38, 20, v38
	v_and_b32_e32 v74, 0x80000000, v74
	v_lshl_add_u32 v36, v36, 23, v50
	v_or3_b32 v38, v74, v36, v38
.LBB212_141:                            ;   in Loop: Header=BB212_14 Depth=1
	s_or_b64 exec, exec, s[50:51]
.LBB212_142:                            ;   in Loop: Header=BB212_14 Depth=1
	s_or_b64 exec, exec, s[48:49]
.LBB212_143:                            ;   in Loop: Header=BB212_14 Depth=1
	s_or_b64 exec, exec, s[46:47]
	global_load_ubyte v74, v[34:35], off offset:1284
	s_waitcnt vmcnt(0)
	v_cmp_ne_u16_e32 vcc, 0, v74
	s_and_saveexec_b64 s[46:47], vcc
	s_cbranch_execz .LBB212_149
; %bb.144:                              ;   in Loop: Header=BB212_14 Depth=1
	v_cmp_ne_u16_e32 vcc, s60, v74
	v_bfrev_b32_e32 v37, 1
	s_and_saveexec_b64 s[48:49], vcc
	s_cbranch_execz .LBB212_148
; %bb.145:                              ;   in Loop: Header=BB212_14 Depth=1
	v_and_b32_e32 v36, 0xffff, v74
	v_and_b32_e32 v75, 0x7f, v36
	v_cmp_ne_u32_e32 vcc, s61, v75
	v_mov_b32_e32 v37, 0x7f800001
	s_and_saveexec_b64 s[50:51], vcc
	s_cbranch_execz .LBB212_147
; %bb.146:                              ;   in Loop: Header=BB212_14 Depth=1
	v_and_b32_e32 v76, 7, v36
	v_ffbh_u32_e32 v37, v76
	v_min_u32_e32 v78, 32, v37
	v_subrev_u32_e32 v37, 28, v78
	v_lshlrev_b64 v[36:37], v37, v[36:37]
	v_lshrrev_b32_e32 v77, 3, v75
	v_sub_u32_e32 v37, 29, v78
	v_and_b32_e32 v36, 7, v36
	v_cmp_gt_u32_e32 vcc, 8, v75
	v_cndmask_b32_e32 v37, v77, v37, vcc
	v_cndmask_b32_e32 v36, v76, v36, vcc
	v_lshlrev_b32_e32 v74, 24, v74
	v_lshlrev_b32_e32 v36, 20, v36
	v_and_b32_e32 v74, 0x80000000, v74
	v_lshl_add_u32 v37, v37, 23, v50
	v_or3_b32 v37, v74, v37, v36
.LBB212_147:                            ;   in Loop: Header=BB212_14 Depth=1
	s_or_b64 exec, exec, s[50:51]
.LBB212_148:                            ;   in Loop: Header=BB212_14 Depth=1
	s_or_b64 exec, exec, s[48:49]
.LBB212_149:                            ;   in Loop: Header=BB212_14 Depth=1
	s_or_b64 exec, exec, s[46:47]
	v_add_co_u32_e32 v34, vcc, 0x500, v34
	v_addc_co_u32_e32 v35, vcc, 0, v35, vcc
	global_load_ubyte v76, v[34:35], off offset:8
	v_mov_b32_e32 v74, 0
	v_mov_b32_e32 v75, 0
	s_waitcnt vmcnt(0)
	v_cmp_ne_u16_e32 vcc, 0, v76
	s_and_saveexec_b64 s[46:47], vcc
	s_cbranch_execz .LBB212_155
; %bb.150:                              ;   in Loop: Header=BB212_14 Depth=1
	v_cmp_ne_u16_e32 vcc, s60, v76
	v_bfrev_b32_e32 v75, 1
	s_and_saveexec_b64 s[48:49], vcc
	s_cbranch_execz .LBB212_154
; %bb.151:                              ;   in Loop: Header=BB212_14 Depth=1
	v_and_b32_e32 v36, 0xffff, v76
	v_and_b32_e32 v77, 0x7f, v36
	v_cmp_ne_u32_e32 vcc, s61, v77
	v_mov_b32_e32 v75, 0x7f800001
	s_and_saveexec_b64 s[50:51], vcc
	s_cbranch_execz .LBB212_153
; %bb.152:                              ;   in Loop: Header=BB212_14 Depth=1
	v_and_b32_e32 v75, 7, v36
	v_ffbh_u32_e32 v78, v75
	v_min_u32_e32 v81, 32, v78
	v_subrev_u32_e32 v78, 28, v81
	v_lshlrev_b64 v[78:79], v78, v[36:37]
	v_lshrrev_b32_e32 v80, 3, v77
	v_sub_u32_e32 v36, 29, v81
	v_and_b32_e32 v78, 7, v78
	v_cmp_gt_u32_e32 vcc, 8, v77
	v_cndmask_b32_e32 v36, v80, v36, vcc
	v_cndmask_b32_e32 v75, v75, v78, vcc
	v_lshlrev_b32_e32 v76, 24, v76
	v_lshlrev_b32_e32 v75, 20, v75
	v_and_b32_e32 v76, 0x80000000, v76
	v_lshl_add_u32 v36, v36, 23, v50
	v_or3_b32 v75, v76, v36, v75
.LBB212_153:                            ;   in Loop: Header=BB212_14 Depth=1
	s_or_b64 exec, exec, s[50:51]
.LBB212_154:                            ;   in Loop: Header=BB212_14 Depth=1
	s_or_b64 exec, exec, s[48:49]
.LBB212_155:                            ;   in Loop: Header=BB212_14 Depth=1
	s_or_b64 exec, exec, s[46:47]
	global_load_ubyte v35, v[34:35], off offset:12
	s_waitcnt vmcnt(0)
	v_cmp_ne_u16_e32 vcc, 0, v35
	s_and_saveexec_b64 s[46:47], vcc
	s_cbranch_execz .LBB212_161
; %bb.156:                              ;   in Loop: Header=BB212_14 Depth=1
	v_cmp_ne_u16_e32 vcc, s60, v35
	v_bfrev_b32_e32 v74, 1
	s_and_saveexec_b64 s[48:49], vcc
	s_cbranch_execz .LBB212_160
; %bb.157:                              ;   in Loop: Header=BB212_14 Depth=1
	v_and_b32_e32 v34, 0xffff, v35
	v_and_b32_e32 v36, 0x7f, v34
	v_cmp_ne_u32_e32 vcc, s61, v36
	v_mov_b32_e32 v74, 0x7f800001
	s_and_saveexec_b64 s[50:51], vcc
	s_cbranch_execz .LBB212_159
; %bb.158:                              ;   in Loop: Header=BB212_14 Depth=1
	v_and_b32_e32 v74, 7, v34
	v_ffbh_u32_e32 v76, v74
	v_min_u32_e32 v79, 32, v76
	v_subrev_u32_e32 v76, 28, v79
	v_lshlrev_b64 v[76:77], v76, v[34:35]
	v_lshrrev_b32_e32 v78, 3, v36
	v_sub_u32_e32 v34, 29, v79
	v_and_b32_e32 v76, 7, v76
	v_cmp_gt_u32_e32 vcc, 8, v36
	v_cndmask_b32_e32 v34, v78, v34, vcc
	v_cndmask_b32_e32 v36, v74, v76, vcc
	v_lshlrev_b32_e32 v35, 24, v35
	v_lshlrev_b32_e32 v36, 20, v36
	v_and_b32_e32 v35, 0x80000000, v35
	v_lshl_add_u32 v34, v34, 23, v50
	v_or3_b32 v74, v35, v34, v36
.LBB212_159:                            ;   in Loop: Header=BB212_14 Depth=1
	s_or_b64 exec, exec, s[50:51]
.LBB212_160:                            ;   in Loop: Header=BB212_14 Depth=1
	s_or_b64 exec, exec, s[48:49]
.LBB212_161:                            ;   in Loop: Header=BB212_14 Depth=1
	s_or_b64 exec, exec, s[46:47]
	s_waitcnt lgkmcnt(0)
	v_mul_f32_e32 v54, s62, v54
	v_mul_f32_e32 v55, s62, v55
	;; [unrolled: 1-line block ×4, first 2 shown]
	v_fmac_f32_e32 v23, v22, v55
	v_mul_f32_e32 v56, s62, v56
	v_fmac_f32_e32 v23, v24, v57
	v_mul_f32_e32 v59, s62, v59
	;; [unrolled: 2-line block ×16, first 2 shown]
	v_mul_f32_e32 v38, s62, v73
	v_fmac_f32_e32 v23, v7, v70
	v_mul_f32_e32 v35, s62, v37
	v_mul_f32_e32 v37, s62, v72
	v_fmac_f32_e32 v23, v8, v38
	v_and_b32_e32 v72, 64, v51
	v_fmac_f32_e32 v23, v9, v37
	v_add_u32_e32 v72, 64, v72
	v_xor_b32_e32 v73, 2, v51
	v_fmac_f32_e32 v23, v2, v36
	v_mul_f32_e32 v34, s62, v75
	v_cmp_lt_i32_e32 vcc, v73, v72
	v_fmac_f32_e32 v23, v3, v35
	v_cndmask_b32_e32 v73, v51, v73, vcc
	v_mul_f32_e32 v74, s62, v74
	v_fmac_f32_e32 v23, v4, v34
	v_lshlrev_b32_e32 v73, 2, v73
	v_fmac_f32_e32 v23, v5, v74
	ds_bpermute_b32 v2, v73, v23
	v_xor_b32_e32 v3, 1, v51
	v_cmp_lt_i32_e32 vcc, v3, v72
	v_cndmask_b32_e32 v3, v51, v3, vcc
	v_lshlrev_b32_e32 v3, 2, v3
	s_waitcnt lgkmcnt(0)
	v_add_f32_e32 v2, v23, v2
	ds_bpermute_b32 v3, v3, v2
	s_and_saveexec_b64 s[46:47], s[2:3]
	s_cbranch_execz .LBB212_12
; %bb.162:                              ;   in Loop: Header=BB212_14 Depth=1
	v_add_u32_e32 v4, v48, v46
	v_cvt_f32_i32_e32 v4, v4
	s_waitcnt lgkmcnt(0)
	v_add_f32_e32 v2, v2, v3
	v_add_u32_e32 v5, v42, v46
	v_cmp_gt_i32_e32 vcc, s33, v5
	v_mul_f32_e32 v3, s56, v4
	v_cndmask_b32_e64 v3, 0, v3, s[4:5]
	v_fmac_f32_e32 v3, s43, v2
	v_cndmask_b32_e32 v2, 0, v3, vcc
	ds_write_b32 v47, v2
	v_max_f32_e32 v2, v44, v44
	v_max_f32_e32 v2, v2, v3
	v_cndmask_b32_e32 v44, v44, v2, vcc
	s_branch .LBB212_12
.LBB212_163:
	s_or_b64 exec, exec, s[44:45]
.LBB212_164:
	s_or_b64 exec, exec, s[14:15]
	v_mbcnt_hi_u32_b32 v2, -1, v41
	s_waitcnt lgkmcnt(0)
	v_and_b32_e32 v3, 64, v2
	v_add_u32_e32 v3, 64, v3
	v_xor_b32_e32 v4, 32, v2
	v_cmp_lt_i32_e32 vcc, v4, v3
	v_cndmask_b32_e32 v4, v2, v4, vcc
	v_lshlrev_b32_e32 v5, 2, v4
	ds_bpermute_b32 v4, v5, v44
	v_xor_b32_e32 v7, 16, v2
	v_max_f32_e32 v6, v44, v44
	v_cmp_lt_i32_e32 vcc, v7, v3
	v_xor_b32_e32 v8, 8, v2
	s_waitcnt lgkmcnt(0)
	v_max_f32_e32 v4, v4, v4
	v_max_f32_e32 v4, v6, v4
	v_cndmask_b32_e32 v6, v2, v7, vcc
	v_lshlrev_b32_e32 v6, 2, v6
	ds_bpermute_b32 v7, v6, v4
	v_cmp_lt_i32_e32 vcc, v8, v3
	v_and_b32_e32 v53, 63, v0
	s_waitcnt lgkmcnt(0)
	v_max_f32_e32 v7, v7, v7
	v_max_f32_e32 v4, v4, v7
	v_cndmask_b32_e32 v7, v2, v8, vcc
	v_lshlrev_b32_e32 v9, 2, v7
	ds_bpermute_b32 v7, v9, v4
	v_xor_b32_e32 v8, 4, v2
	v_cmp_lt_i32_e32 vcc, v8, v3
	s_waitcnt lgkmcnt(0)
	v_max_f32_e32 v7, v7, v7
	v_max_f32_e32 v4, v4, v7
	v_cndmask_b32_e32 v7, v2, v8, vcc
	v_lshlrev_b32_e32 v10, 2, v7
	ds_bpermute_b32 v8, v10, v4
	v_cmp_eq_u32_e32 vcc, 0, v53
	v_lshlrev_b32_e32 v7, 2, v40
	s_and_saveexec_b64 s[2:3], vcc
	s_cbranch_execz .LBB212_166
; %bb.165:
	s_waitcnt lgkmcnt(0)
	v_max_f32_e32 v8, v8, v8
	v_max_f32_e32 v4, v4, v4
	;; [unrolled: 1-line block ×3, first 2 shown]
	ds_write_b32 v7, v4 offset:384
.LBB212_166:
	s_or_b64 exec, exec, s[2:3]
	v_cmp_gt_u32_e64 s[2:3], 2, v53
	v_mov_b32_e32 v4, 0xff7fffff
	s_waitcnt lgkmcnt(0)
	v_lshlrev_b32_e32 v8, 2, v53
	s_barrier
	s_and_saveexec_b64 s[4:5], s[2:3]
	s_cbranch_execz .LBB212_168
; %bb.167:
	ds_read_b32 v4, v8 offset:384
.LBB212_168:
	s_or_b64 exec, exec, s[4:5]
	v_xor_b32_e32 v11, 1, v2
	v_cmp_lt_i32_e64 s[4:5], v11, v3
	v_cndmask_b32_e64 v11, v2, v11, s[4:5]
	v_lshlrev_b32_e32 v54, 2, v11
	s_waitcnt lgkmcnt(0)
	ds_bpermute_b32 v11, v54, v4
	v_max_f32_e32 v4, v4, v4
	s_sub_i32 s4, s54, s12
	s_lshl_b32 s4, s4, 4
	s_add_i32 s4, s4, s55
	s_waitcnt lgkmcnt(0)
	v_max_f32_e32 v11, v11, v11
	v_max_f32_e32 v4, v4, v11
	v_lshlrev_b32_e32 v11, 2, v2
	v_and_b32_e32 v11, 0x100, v11
	ds_bpermute_b32 v4, v11, v4
	s_min_i32 s43, s4, s33
	s_sub_i32 s12, s43, s55
	v_cmp_gt_i32_e64 s[4:5], s12, v0
	v_mov_b32_e32 v12, 0
	s_and_saveexec_b64 s[14:15], s[4:5]
	s_cbranch_execz .LBB212_172
; %bb.169:
	v_mov_b32_e32 v12, 0x190
	v_lshl_add_u32 v13, v0, 2, v12
	s_mov_b64 s[16:17], 0
	v_mov_b32_e32 v12, 0
	v_mov_b32_e32 v14, v0
.LBB212_170:                            ; =>This Inner Loop Header: Depth=1
	ds_read_b32 v15, v13
	v_add_u32_e32 v14, 0x80, v14
	v_cmp_le_i32_e64 s[10:11], s12, v14
	s_or_b64 s[16:17], s[10:11], s[16:17]
	s_waitcnt lgkmcnt(0)
	v_sub_f32_e32 v15, v15, v4
	v_mul_f32_e32 v15, 0x3fb8aa3b, v15
	v_exp_f32_e32 v15, v15
	ds_write_b32 v13, v15
	v_add_f32_e32 v12, v12, v15
	v_add_u32_e32 v13, 0x200, v13
	s_andn2_b64 exec, exec, s[16:17]
	s_cbranch_execnz .LBB212_170
; %bb.171:
	s_or_b64 exec, exec, s[16:17]
.LBB212_172:
	s_or_b64 exec, exec, s[14:15]
	ds_bpermute_b32 v5, v5, v12
	s_waitcnt lgkmcnt(0)
	v_add_f32_e32 v5, v12, v5
	ds_bpermute_b32 v6, v6, v5
	s_waitcnt lgkmcnt(0)
	v_add_f32_e32 v5, v5, v6
	ds_bpermute_b32 v6, v9, v5
	v_xor_b32_e32 v9, 2, v2
	v_cmp_lt_i32_e64 s[10:11], v9, v3
	v_cndmask_b32_e64 v2, v2, v9, s[10:11]
	v_lshlrev_b32_e32 v55, 2, v2
	s_waitcnt lgkmcnt(0)
	v_add_f32_e32 v5, v5, v6
	ds_bpermute_b32 v6, v10, v5
	s_waitcnt lgkmcnt(0)
	v_add_f32_e32 v3, v5, v6
	ds_bpermute_b32 v2, v55, v3
	;; [unrolled: 3-line block ×3, first 2 shown]
	s_waitcnt lgkmcnt(0)
	v_add_f32_e32 v2, v2, v3
	s_and_saveexec_b64 s[10:11], vcc
	s_cbranch_execz .LBB212_174
; %bb.173:
	ds_write_b32 v7, v2 offset:392
.LBB212_174:
	s_or_b64 exec, exec, s[10:11]
	s_waitcnt lgkmcnt(0)
	s_barrier
	s_and_saveexec_b64 s[10:11], s[2:3]
	s_cbranch_execz .LBB212_176
; %bb.175:
	ds_read_b32 v2, v8 offset:392
.LBB212_176:
	s_or_b64 exec, exec, s[10:11]
	s_waitcnt lgkmcnt(0)
	ds_bpermute_b32 v3, v54, v2
	s_waitcnt lgkmcnt(0)
	v_add_f32_e32 v2, v2, v3
	ds_bpermute_b32 v5, v11, v2
	s_and_saveexec_b64 s[2:3], s[4:5]
	s_cbranch_execz .LBB212_189
; %bb.177:
	s_waitcnt lgkmcnt(0)
	v_add_f32_e32 v2, 0x358637bd, v5
	v_div_scale_f32 v3, s[4:5], v2, v2, 1.0
	v_rcp_f32_e32 v6, v3
	v_div_scale_f32 v7, vcc, 1.0, v2, 1.0
	s_movk_i32 s4, 0x7f
	v_fma_f32 v8, -v3, v6, 1.0
	v_fmac_f32_e32 v6, v8, v6
	v_mul_f32_e32 v8, v7, v6
	v_fma_f32 v9, -v3, v8, v7
	v_fmac_f32_e32 v8, v9, v6
	v_fma_f32 v3, -v3, v8, v7
	v_div_fmas_f32 v3, v3, v6, v8
	v_div_fixup_f32 v2, v3, v2, 1.0
	v_xad_u32 v3, v0, -1, s43
	v_subrev_u32_e32 v6, s55, v3
	v_cmp_lt_u32_e32 vcc, s4, v6
	s_mov_b64 s[10:11], -1
	v_mov_b32_e32 v3, v0
	s_and_saveexec_b64 s[4:5], vcc
	s_cbranch_execz .LBB212_186
; %bb.178:
	v_lshrrev_b32_e32 v6, 7, v6
	v_add_u32_e32 v8, -1, v6
	v_lshrrev_b32_e32 v7, 1, v8
	v_mov_b32_e32 v3, v2
	v_add_u32_e32 v7, 1, v7
	v_cmp_lt_u32_e32 vcc, 13, v8
	v_mov_b32_e32 v10, 0
	s_and_saveexec_b64 s[10:11], vcc
	s_cbranch_execz .LBB212_182
; %bb.179:
	v_mov_b32_e32 v9, 0x190
	v_and_b32_e32 v8, -8, v7
	v_lshl_add_u32 v9, v0, 2, v9
	s_mov_b32 s16, 0
	s_mov_b64 s[14:15], 0
.LBB212_180:                            ; =>This Inner Loop Header: Depth=1
	ds_read2st64_b32 v[10:11], v9 offset1:2
	ds_read2st64_b32 v[12:13], v9 offset0:4 offset1:6
	ds_read2st64_b32 v[14:15], v9 offset0:8 offset1:10
	;; [unrolled: 1-line block ×3, first 2 shown]
	v_add_u32_e32 v8, -8, v8
	s_waitcnt lgkmcnt(3)
	v_pk_mul_f32 v[10:11], v[2:3], v[10:11]
	s_waitcnt lgkmcnt(2)
	v_pk_mul_f32 v[12:13], v[2:3], v[12:13]
	ds_write2st64_b32 v9, v10, v11 offset1:2
	ds_write2st64_b32 v9, v12, v13 offset0:4 offset1:6
	ds_read2st64_b32 v[12:13], v9 offset0:16 offset1:18
	s_waitcnt lgkmcnt(4)
	v_pk_mul_f32 v[10:11], v[2:3], v[14:15]
	ds_write2st64_b32 v9, v10, v11 offset0:8 offset1:10
	s_waitcnt lgkmcnt(4)
	v_pk_mul_f32 v[10:11], v[2:3], v[16:17]
	ds_write2st64_b32 v9, v10, v11 offset0:12 offset1:14
	ds_read2st64_b32 v[10:11], v9 offset0:20 offset1:22
	s_waitcnt lgkmcnt(3)
	v_pk_mul_f32 v[12:13], v[2:3], v[12:13]
	ds_read2st64_b32 v[14:15], v9 offset0:24 offset1:26
	ds_write2st64_b32 v9, v12, v13 offset0:16 offset1:18
	ds_read2st64_b32 v[12:13], v9 offset0:28 offset1:30
	s_waitcnt lgkmcnt(3)
	v_pk_mul_f32 v[10:11], v[2:3], v[10:11]
	ds_write2st64_b32 v9, v10, v11 offset0:20 offset1:22
	s_waitcnt lgkmcnt(3)
	v_pk_mul_f32 v[10:11], v[2:3], v[14:15]
	ds_write2st64_b32 v9, v10, v11 offset0:24 offset1:26
	s_waitcnt lgkmcnt(2)
	v_pk_mul_f32 v[10:11], v[2:3], v[12:13]
	s_add_i32 s16, s16, 16
	v_cmp_eq_u32_e32 vcc, 0, v8
	ds_write2st64_b32 v9, v10, v11 offset0:28 offset1:30
	v_add_u32_e32 v9, 0x2000, v9
	s_or_b64 s[14:15], vcc, s[14:15]
	v_mov_b32_e32 v10, s16
	s_andn2_b64 exec, exec, s[14:15]
	s_cbranch_execnz .LBB212_180
; %bb.181:
	s_or_b64 exec, exec, s[14:15]
.LBB212_182:
	s_or_b64 exec, exec, s[10:11]
	v_and_b32_e32 v7, 7, v7
	v_cmp_ne_u32_e32 vcc, 0, v7
	s_and_saveexec_b64 s[10:11], vcc
	s_cbranch_execz .LBB212_185
; %bb.183:
	v_lshlrev_b32_e32 v8, 9, v10
	s_movk_i32 s14, 0x190
	v_add3_u32 v8, v8, v39, s14
	s_mov_b64 s[14:15], 0
.LBB212_184:                            ; =>This Inner Loop Header: Depth=1
	ds_read2st64_b32 v[10:11], v8 offset1:2
	v_add_u32_e32 v7, -1, v7
	v_cmp_eq_u32_e32 vcc, 0, v7
	s_or_b64 s[14:15], vcc, s[14:15]
	s_waitcnt lgkmcnt(0)
	v_pk_mul_f32 v[10:11], v[2:3], v[10:11]
	ds_write2st64_b32 v8, v10, v11 offset1:2
	v_add_u32_e32 v8, 0x400, v8
	s_andn2_b64 exec, exec, s[14:15]
	s_cbranch_execnz .LBB212_184
.LBB212_185:
	s_or_b64 exec, exec, s[10:11]
	v_add_u32_e32 v6, 1, v6
	v_and_b32_e32 v7, 0x3fffffe, v6
	v_cmp_ne_u32_e32 vcc, v6, v7
	v_lshl_add_u32 v3, v7, 7, v0
	s_orn2_b64 s[10:11], vcc, exec
.LBB212_186:
	s_or_b64 exec, exec, s[4:5]
	s_and_b64 exec, exec, s[10:11]
	s_cbranch_execz .LBB212_189
; %bb.187:
	v_mov_b32_e32 v6, 0x190
	v_lshl_add_u32 v6, v3, 2, v6
	s_mov_b64 s[4:5], 0
.LBB212_188:                            ; =>This Inner Loop Header: Depth=1
	ds_read_b32 v7, v6
	v_add_u32_e32 v3, 0x80, v3
	v_cmp_le_i32_e32 vcc, s12, v3
	s_or_b64 s[4:5], vcc, s[4:5]
	s_waitcnt lgkmcnt(0)
	v_mul_f32_e32 v7, v2, v7
	ds_write_b32 v6, v7
	v_add_u32_e32 v6, 0x200, v6
	s_andn2_b64 exec, exec, s[4:5]
	s_cbranch_execnz .LBB212_188
.LBB212_189:
	s_or_b64 exec, exec, s[2:3]
	s_mul_i32 s2, s29, s34
	v_cmp_eq_u32_e32 vcc, 0, v0
	s_mul_i32 s2, s2, s9
	s_waitcnt lgkmcnt(0)
	s_barrier
	s_and_saveexec_b64 s[4:5], vcc
	s_cbranch_execz .LBB212_191
; %bb.190:
	s_ashr_i32 s3, s2, 31
	s_lshl_b64 s[10:11], s[2:3], 2
	s_add_u32 s3, s26, s10
	s_mul_i32 s14, s29, s6
	s_addc_u32 s9, s27, s11
	s_ashr_i32 s15, s14, 31
	s_lshl_b64 s[14:15], s[14:15], 2
	s_add_u32 s3, s3, s14
	s_addc_u32 s6, s9, s15
	s_ashr_i32 s9, s8, 31
	s_lshl_b64 s[16:17], s[8:9], 2
	s_add_u32 s26, s3, s16
	s_addc_u32 s27, s6, s17
	s_add_u32 s3, s24, s10
	s_addc_u32 s6, s25, s11
	;; [unrolled: 2-line block ×3, first 2 shown]
	s_add_u32 s10, s3, s16
	v_mov_b32_e32 v2, 0
	s_addc_u32 s11, s6, s17
	global_store_dword v2, v4, s[26:27]
	global_store_dword v2, v5, s[10:11]
.LBB212_191:
	s_or_b64 exec, exec, s[4:5]
	s_mov_b32 s12, 0
	v_mov_b32_e32 v7, 0
	v_mov_b32_e32 v6, 0
	;; [unrolled: 1-line block ×6, first 2 shown]
	s_and_saveexec_b64 s[4:5], s[0:1]
	s_cbranch_execz .LBB212_353
; %bb.192:
	s_sub_i32 s3, s20, s21
	s_ashr_i32 s0, s23, 31
	s_add_u32 s1, s40, s23
	s_addc_u32 s0, s41, s0
	s_abs_i32 s9, s22
	v_cvt_f32_u32_e32 v2, s9
	s_sub_i32 s6, 0, s9
	v_and_b32_e32 v3, 0xfc, v39
	s_add_i32 s27, s7, -1
	v_rcp_iflag_f32_e32 v2, v2
	v_mov_b32_e32 v4, s0
	v_add_co_u32_e32 v12, vcc, s1, v3
	v_mul_f32_e32 v2, 0x4f7ffffe, v2
	v_cvt_u32_f32_e32 v2, v2
	s_lshl_b64 s[0:1], s[38:39], 2
	v_addc_co_u32_e32 v13, vcc, 0, v4, vcc
	v_mul_lo_u32 v5, s6, v2
	v_mul_hi_u32 v5, v2, v5
	v_add_u32_e32 v57, v2, v5
	v_lshlrev_b64 v[2:3], 2, v[28:29]
	s_add_u32 s0, s36, s0
	s_addc_u32 s1, s37, s1
	v_add_co_u32_e32 v14, vcc, s0, v2
	v_lshlrev_b32_e32 v2, 4, v26
	s_mov_b32 s26, s13
	v_mov_b32_e32 v4, s1
	v_lshl_or_b32 v2, v40, 6, v2
	s_mov_b32 s13, s12
	v_addc_co_u32_e32 v15, vcc, v4, v3, vcc
	v_add_u32_e32 v29, 0x190, v2
	s_mov_b32 s14, s12
	s_mov_b32 s15, s12
	;; [unrolled: 1-line block ×4, first 2 shown]
	v_pk_mov_b32 v[2:3], s[12:13], s[12:13] op_sel:[0,1]
	v_and_b32_e32 v56, 12, v39
	s_mov_b64 s[6:7], 0
	v_pk_mov_b32 v[4:5], s[14:15], s[14:15] op_sel:[0,1]
	v_pk_mov_b32 v[6:7], s[16:17], s[16:17] op_sel:[0,1]
	s_movk_i32 s34, 0x80
	s_movk_i32 s36, 0x7f
	v_mov_b32_e32 v17, 0
	s_brev_b32 s13, 1
	s_mov_b32 s11, 0x7f800001
	s_mov_b32 s37, 0xffffff
	v_bfrev_b32_e32 v58, 60
	v_mov_b32_e32 v59, 7
	v_mov_b32_e32 v60, 24
	s_branch .LBB212_195
.LBB212_193:                            ;   in Loop: Header=BB212_195 Depth=1
	s_or_b64 exec, exec, s[0:1]
	v_mul_f32_e32 v16, v9, v19
	v_fmac_f32_e32 v16, v8, v18
	v_fmac_f32_e32 v16, v10, v20
	v_fmac_f32_e32 v16, v11, v21
	v_add_f32_e32 v2, v2, v16
	v_mul_f32_e32 v16, v9, v25
	v_fmac_f32_e32 v16, v8, v24
	v_fmac_f32_e32 v16, v10, v30
	v_fmac_f32_e32 v16, v11, v31
	v_add_f32_e32 v3, v3, v16
	;; [unrolled: 5-line block ×4, first 2 shown]
	v_mul_f32_e32 v16, v9, v41
	v_mul_f32_e32 v9, v9, v23
	v_fmac_f32_e32 v16, v8, v40
	v_fmac_f32_e32 v9, v8, v22
	;; [unrolled: 1-line block ×6, first 2 shown]
	v_add_f32_e32 v6, v6, v16
	v_add_f32_e32 v7, v7, v9
.LBB212_194:                            ;   in Loop: Header=BB212_195 Depth=1
	s_or_b64 exec, exec, s[14:15]
	v_add_co_u32_e32 v14, vcc, 8, v14
	v_add_u32_e32 v28, 2, v28
	v_addc_co_u32_e32 v15, vcc, 0, v15, vcc
	v_cmp_le_i32_e32 vcc, s54, v28
	v_add_u32_e32 v52, 32, v52
	s_or_b64 s[6:7], vcc, s[6:7]
	v_add_u32_e32 v29, 0x80, v29
	s_andn2_b64 exec, exec, s[6:7]
	s_cbranch_execz .LBB212_352
.LBB212_195:                            ; =>This Inner Loop Header: Depth=1
	v_sub_u32_e32 v9, 0, v52
	v_max_i32_e32 v9, v52, v9
	v_mul_hi_u32 v10, v9, s52
	v_mul_lo_u32 v11, v10, s35
	v_sub_u32_e32 v9, v9, v11
	v_add_u32_e32 v11, 1, v10
	v_cmp_le_u32_e32 vcc, s35, v9
	v_cndmask_b32_e32 v10, v10, v11, vcc
	v_subrev_u32_e32 v11, s35, v9
	v_cndmask_b32_e32 v9, v9, v11, vcc
	v_ashrrev_i32_e32 v8, 31, v52
	v_add_u32_e32 v11, 1, v10
	v_cmp_le_u32_e32 vcc, s35, v9
	v_xor_b32_e32 v8, s53, v8
	v_cndmask_b32_e32 v9, v10, v11, vcc
	v_xor_b32_e32 v9, v9, v8
	v_sub_u32_e32 v8, v9, v8
	v_add_u32_e32 v9, s42, v8
	v_sub_u32_e32 v11, 0, v9
	v_ashrrev_i32_e32 v10, 31, v9
	v_max_i32_e32 v9, v9, v11
	v_mul_hi_u32 v11, v9, v57
	v_mul_lo_u32 v11, v11, s9
	v_sub_u32_e32 v9, v9, v11
	v_subrev_u32_e32 v11, s9, v9
	v_cmp_le_u32_e32 vcc, s9, v9
	v_cndmask_b32_e32 v9, v9, v11, vcc
	v_subrev_u32_e32 v11, s9, v9
	v_cmp_le_u32_e32 vcc, s9, v9
	v_cndmask_b32_e32 v9, v9, v11, vcc
	v_xor_b32_e32 v9, v9, v10
	v_sub_u32_e32 v9, v9, v10
	v_cmp_eq_u32_e32 vcc, 0, v9
	v_cmp_lt_i32_e64 s[0:1], s3, v8
	s_or_b64 s[0:1], vcc, s[0:1]
	s_and_saveexec_b64 s[14:15], s[0:1]
	s_cbranch_execz .LBB212_194
; %bb.196:                              ;   in Loop: Header=BB212_195 Depth=1
	global_load_dword v8, v[14:15], off
	s_load_dword s16, s[18:19], 0x0
	v_pk_mov_b32 v[24:25], 0, 0
	v_pk_mov_b32 v[20:21], v[24:25], v[24:25] op_sel:[0,1]
	s_waitcnt vmcnt(0)
	v_mad_i64_i32 v[22:23], s[0:1], v8, s26, v[12:13]
	global_load_dword v18, v[22:23], off
	ds_read_b128 v[8:11], v29
	s_waitcnt vmcnt(0)
	v_cmp_ne_u16_sdwa s[20:21], v18, v17 src0_sel:BYTE_0 src1_sel:DWORD
	s_and_saveexec_b64 s[0:1], s[20:21]
	s_cbranch_execz .LBB212_202
; %bb.197:                              ;   in Loop: Header=BB212_195 Depth=1
	v_bfrev_b32_e32 v20, 1
	v_cmp_ne_u16_sdwa s[22:23], v18, s34 src0_sel:BYTE_0 src1_sel:DWORD
	v_mov_b32_e32 v21, 0
	s_and_saveexec_b64 s[20:21], s[22:23]
	s_cbranch_execz .LBB212_201
; %bb.198:                              ;   in Loop: Header=BB212_195 Depth=1
	v_and_b32_e32 v16, 0x7f, v18
	v_mov_b32_e32 v20, 0x7f800001
	v_cmp_ne_u32_e32 vcc, s36, v16
	v_mov_b32_e32 v21, 0
	s_and_saveexec_b64 s[22:23], vcc
	s_cbranch_execz .LBB212_200
; %bb.199:                              ;   in Loop: Header=BB212_195 Depth=1
	v_and_b32_e32 v19, 7, v18
	v_ffbh_u32_e32 v20, v19
	v_min_u32_e32 v31, 32, v20
	v_subrev_u32_e32 v20, 28, v31
	v_lshlrev_b64 v[20:21], v20, v[18:19]
	v_lshrrev_b32_e32 v30, 3, v16
	v_sub_u32_e32 v21, 29, v31
	v_and_b32_e32 v20, 7, v20
	v_cmp_gt_u32_e32 vcc, 8, v16
	v_cndmask_b32_e32 v16, v30, v21, vcc
	v_cndmask_b32_e32 v19, v19, v20, vcc
	v_lshlrev_b32_e32 v19, 20, v19
	v_and_b32_sdwa v20, sext(v18), s13 dst_sel:DWORD dst_unused:UNUSED_PAD src0_sel:BYTE_0 src1_sel:DWORD
	v_lshl_add_u32 v16, v16, 23, v58
	v_or3_b32 v16, v20, v16, v19
	v_pk_mov_b32 v[20:21], v[16:17], v[16:17] op_sel:[0,1]
.LBB212_200:                            ;   in Loop: Header=BB212_195 Depth=1
	s_or_b64 exec, exec, s[22:23]
.LBB212_201:                            ;   in Loop: Header=BB212_195 Depth=1
	s_or_b64 exec, exec, s[20:21]
.LBB212_202:                            ;   in Loop: Header=BB212_195 Depth=1
	s_or_b64 exec, exec, s[0:1]
	v_cmp_ne_u16_sdwa s[20:21], v18, v17 src0_sel:BYTE_1 src1_sel:DWORD
	s_and_saveexec_b64 s[0:1], s[20:21]
	s_cbranch_execz .LBB212_208
; %bb.203:                              ;   in Loop: Header=BB212_195 Depth=1
	v_cmp_ne_u16_sdwa s[22:23], v18, s34 src0_sel:BYTE_1 src1_sel:DWORD
	v_pk_mov_b32 v[24:25], s[12:13], s[12:13] op_sel:[0,1]
	s_and_saveexec_b64 s[20:21], s[22:23]
	s_cbranch_execz .LBB212_207
; %bb.204:                              ;   in Loop: Header=BB212_195 Depth=1
	v_and_b32_sdwa v19, v18, s36 dst_sel:DWORD dst_unused:UNUSED_PAD src0_sel:BYTE_1 src1_sel:DWORD
	s_mov_b32 s10, s12
	v_cmp_ne_u32_e32 vcc, s36, v19
	v_pk_mov_b32 v[24:25], s[10:11], s[10:11] op_sel:[0,1]
	s_and_saveexec_b64 s[22:23], vcc
	s_cbranch_execz .LBB212_206
; %bb.205:                              ;   in Loop: Header=BB212_195 Depth=1
	v_and_b32_sdwa v16, v18, v59 dst_sel:DWORD dst_unused:UNUSED_PAD src0_sel:BYTE_1 src1_sel:DWORD
	v_ffbh_u32_e32 v24, v16
	v_min_u32_e32 v31, 32, v24
	v_subrev_u32_e32 v24, 28, v31
	v_lshlrev_b64 v[24:25], v24, v[16:17]
	v_lshrrev_b32_e32 v30, 3, v19
	v_sub_u32_e32 v25, 29, v31
	v_cmp_gt_u32_e32 vcc, 8, v19
	v_and_b32_e32 v24, 7, v24
	v_cndmask_b32_e32 v19, v30, v25, vcc
	v_cndmask_b32_e32 v16, v16, v24, vcc
	v_lshlrev_b32_e32 v24, 16, v18
	v_lshl_add_u32 v19, v19, 23, v58
	v_and_or_b32 v19, v24, s13, v19
	v_lshlrev_b32_e32 v16, 20, v16
	v_or_b32_e32 v25, v19, v16
	v_mov_b32_e32 v24, v17
.LBB212_206:                            ;   in Loop: Header=BB212_195 Depth=1
	s_or_b64 exec, exec, s[22:23]
.LBB212_207:                            ;   in Loop: Header=BB212_195 Depth=1
	s_or_b64 exec, exec, s[20:21]
.LBB212_208:                            ;   in Loop: Header=BB212_195 Depth=1
	s_or_b64 exec, exec, s[0:1]
	v_lshrrev_b32_e32 v16, 16, v18
	v_pk_mov_b32 v[32:33], 0, 0
	v_cmp_ne_u16_sdwa s[20:21], v16, v17 src0_sel:BYTE_0 src1_sel:DWORD
	v_pk_mov_b32 v[30:31], v[32:33], v[32:33] op_sel:[0,1]
	s_and_saveexec_b64 s[0:1], s[20:21]
	s_cbranch_execz .LBB212_214
; %bb.209:                              ;   in Loop: Header=BB212_195 Depth=1
	v_bfrev_b32_e32 v30, 1
	v_cmp_ne_u16_sdwa s[22:23], v16, s34 src0_sel:BYTE_0 src1_sel:DWORD
	v_mov_b32_e32 v31, 0
	s_and_saveexec_b64 s[20:21], s[22:23]
	s_cbranch_execz .LBB212_213
; %bb.210:                              ;   in Loop: Header=BB212_195 Depth=1
	v_bfe_u32 v19, v18, 16, 7
	v_mov_b32_e32 v30, 0x7f800001
	v_cmp_ne_u32_e32 vcc, s36, v19
	v_mov_b32_e32 v31, 0
	s_and_saveexec_b64 s[22:23], vcc
	s_cbranch_execz .LBB212_212
; %bb.211:                              ;   in Loop: Header=BB212_195 Depth=1
	v_and_b32_e32 v34, 7, v16
	v_ffbh_u32_e32 v30, v34
	v_min_u32_e32 v36, 32, v30
	v_subrev_u32_e32 v30, 28, v36
	v_lshlrev_b64 v[30:31], v30, v[16:17]
	v_lshrrev_b32_e32 v35, 3, v19
	v_sub_u32_e32 v31, 29, v36
	v_and_b32_e32 v30, 7, v30
	v_cmp_gt_u32_e32 vcc, 8, v19
	v_cndmask_b32_e32 v19, v35, v31, vcc
	v_cndmask_b32_e32 v30, v34, v30, vcc
	v_lshlrev_b32_e32 v30, 20, v30
	v_and_b32_sdwa v16, sext(v16), s13 dst_sel:DWORD dst_unused:UNUSED_PAD src0_sel:BYTE_0 src1_sel:DWORD
	v_lshl_add_u32 v19, v19, 23, v58
	v_or3_b32 v16, v16, v19, v30
	v_pk_mov_b32 v[30:31], v[16:17], v[16:17] op_sel:[0,1]
.LBB212_212:                            ;   in Loop: Header=BB212_195 Depth=1
	s_or_b64 exec, exec, s[22:23]
.LBB212_213:                            ;   in Loop: Header=BB212_195 Depth=1
	s_or_b64 exec, exec, s[20:21]
.LBB212_214:                            ;   in Loop: Header=BB212_195 Depth=1
	s_or_b64 exec, exec, s[0:1]
	v_cmp_lt_u32_e32 vcc, s37, v18
	s_and_saveexec_b64 s[0:1], vcc
	s_cbranch_execz .LBB212_220
; %bb.215:                              ;   in Loop: Header=BB212_195 Depth=1
	v_cmp_ne_u32_sdwa s[22:23], v18, s34 src0_sel:BYTE_3 src1_sel:DWORD
	v_pk_mov_b32 v[32:33], s[12:13], s[12:13] op_sel:[0,1]
	s_and_saveexec_b64 s[20:21], s[22:23]
	s_cbranch_execz .LBB212_219
; %bb.216:                              ;   in Loop: Header=BB212_195 Depth=1
	v_bfe_u32 v19, v18, 24, 7
	s_mov_b32 s10, s12
	v_cmp_ne_u32_e32 vcc, s36, v19
	v_pk_mov_b32 v[32:33], s[10:11], s[10:11] op_sel:[0,1]
	s_and_saveexec_b64 s[22:23], vcc
	s_cbranch_execz .LBB212_218
; %bb.217:                              ;   in Loop: Header=BB212_195 Depth=1
	v_and_b32_sdwa v16, v18, v59 dst_sel:DWORD dst_unused:UNUSED_PAD src0_sel:BYTE_3 src1_sel:DWORD
	v_ffbh_u32_e32 v32, v16
	v_min_u32_e32 v35, 32, v32
	v_subrev_u32_e32 v32, 28, v35
	v_lshlrev_b64 v[32:33], v32, v[16:17]
	v_lshrrev_b32_e32 v34, 3, v19
	v_sub_u32_e32 v33, 29, v35
	v_cmp_gt_u32_e32 vcc, 8, v19
	v_and_b32_e32 v32, 7, v32
	v_cndmask_b32_e32 v19, v34, v33, vcc
	v_cndmask_b32_e32 v16, v16, v32, vcc
	v_lshlrev_b32_sdwa v18, v60, v18 dst_sel:DWORD dst_unused:UNUSED_PAD src0_sel:DWORD src1_sel:BYTE_3
	v_lshl_add_u32 v19, v19, 23, v58
	v_and_or_b32 v18, v18, s13, v19
	v_lshlrev_b32_e32 v16, 20, v16
	v_or_b32_e32 v33, v18, v16
	v_mov_b32_e32 v32, v17
.LBB212_218:                            ;   in Loop: Header=BB212_195 Depth=1
	s_or_b64 exec, exec, s[22:23]
.LBB212_219:                            ;   in Loop: Header=BB212_195 Depth=1
	s_or_b64 exec, exec, s[20:21]
.LBB212_220:                            ;   in Loop: Header=BB212_195 Depth=1
	s_or_b64 exec, exec, s[0:1]
	v_add_u32_e32 v61, v56, v52
	v_or_b32_e32 v19, v25, v21
	v_or_b32_e32 v18, v24, v20
	;; [unrolled: 1-line block ×4, first 2 shown]
	v_cmp_eq_u32_e32 vcc, s27, v28
	s_waitcnt lgkmcnt(0)
	v_pk_mul_f32 v[18:19], s[16:17], v[18:19] op_sel_hi:[0,1]
	v_pk_mul_f32 v[20:21], s[16:17], v[20:21] op_sel_hi:[0,1]
	v_add_u32_e32 v64, 1, v61
	v_add_u32_e32 v63, 2, v61
	;; [unrolled: 1-line block ×3, first 2 shown]
	s_and_saveexec_b64 s[20:21], vcc
; %bb.221:                              ;   in Loop: Header=BB212_195 Depth=1
	v_cmp_gt_i32_e64 s[0:1], s33, v61
	v_cndmask_b32_e64 v18, 0, v18, s[0:1]
	v_cmp_gt_i32_e64 s[0:1], s33, v64
	v_cndmask_b32_e64 v19, 0, v19, s[0:1]
	;; [unrolled: 2-line block ×4, first 2 shown]
; %bb.222:                              ;   in Loop: Header=BB212_195 Depth=1
	s_or_b64 exec, exec, s[20:21]
	global_load_dword v24, v[22:23], off offset:256
	v_pk_mov_b32 v[32:33], 0, 0
	v_pk_mov_b32 v[30:31], v[32:33], v[32:33] op_sel:[0,1]
	s_waitcnt vmcnt(0)
	v_cmp_ne_u16_sdwa s[0:1], v24, v17 src0_sel:BYTE_0 src1_sel:DWORD
	s_and_saveexec_b64 s[20:21], s[0:1]
	s_cbranch_execz .LBB212_228
; %bb.223:                              ;   in Loop: Header=BB212_195 Depth=1
	v_bfrev_b32_e32 v30, 1
	v_cmp_ne_u16_sdwa s[0:1], v24, s34 src0_sel:BYTE_0 src1_sel:DWORD
	v_mov_b32_e32 v31, 0
	s_and_saveexec_b64 s[22:23], s[0:1]
	s_cbranch_execz .LBB212_227
; %bb.224:                              ;   in Loop: Header=BB212_195 Depth=1
	v_and_b32_e32 v16, 0x7f, v24
	v_mov_b32_e32 v30, 0x7f800001
	v_cmp_ne_u32_e64 s[0:1], s36, v16
	v_mov_b32_e32 v31, 0
	s_and_saveexec_b64 s[24:25], s[0:1]
	s_cbranch_execz .LBB212_226
; %bb.225:                              ;   in Loop: Header=BB212_195 Depth=1
	v_and_b32_e32 v25, 7, v24
	v_ffbh_u32_e32 v30, v25
	v_min_u32_e32 v35, 32, v30
	v_subrev_u32_e32 v30, 28, v35
	v_lshlrev_b64 v[30:31], v30, v[24:25]
	v_lshrrev_b32_e32 v34, 3, v16
	v_sub_u32_e32 v31, 29, v35
	v_and_b32_e32 v30, 7, v30
	v_cmp_gt_u32_e64 s[0:1], 8, v16
	v_cndmask_b32_e64 v16, v34, v31, s[0:1]
	v_cndmask_b32_e64 v25, v25, v30, s[0:1]
	v_lshlrev_b32_e32 v25, 20, v25
	v_and_b32_sdwa v30, sext(v24), s13 dst_sel:DWORD dst_unused:UNUSED_PAD src0_sel:BYTE_0 src1_sel:DWORD
	v_lshl_add_u32 v16, v16, 23, v58
	v_or3_b32 v16, v30, v16, v25
	v_pk_mov_b32 v[30:31], v[16:17], v[16:17] op_sel:[0,1]
.LBB212_226:                            ;   in Loop: Header=BB212_195 Depth=1
	s_or_b64 exec, exec, s[24:25]
.LBB212_227:                            ;   in Loop: Header=BB212_195 Depth=1
	s_or_b64 exec, exec, s[22:23]
.LBB212_228:                            ;   in Loop: Header=BB212_195 Depth=1
	s_or_b64 exec, exec, s[20:21]
	v_cmp_ne_u16_sdwa s[0:1], v24, v17 src0_sel:BYTE_1 src1_sel:DWORD
	s_and_saveexec_b64 s[20:21], s[0:1]
	s_cbranch_execz .LBB212_234
; %bb.229:                              ;   in Loop: Header=BB212_195 Depth=1
	v_cmp_ne_u16_sdwa s[0:1], v24, s34 src0_sel:BYTE_1 src1_sel:DWORD
	v_pk_mov_b32 v[32:33], s[12:13], s[12:13] op_sel:[0,1]
	s_and_saveexec_b64 s[22:23], s[0:1]
	s_cbranch_execz .LBB212_233
; %bb.230:                              ;   in Loop: Header=BB212_195 Depth=1
	v_and_b32_sdwa v25, v24, s36 dst_sel:DWORD dst_unused:UNUSED_PAD src0_sel:BYTE_1 src1_sel:DWORD
	s_mov_b32 s10, s12
	v_cmp_ne_u32_e64 s[0:1], s36, v25
	v_pk_mov_b32 v[32:33], s[10:11], s[10:11] op_sel:[0,1]
	s_and_saveexec_b64 s[24:25], s[0:1]
	s_cbranch_execz .LBB212_232
; %bb.231:                              ;   in Loop: Header=BB212_195 Depth=1
	v_and_b32_sdwa v16, v24, v59 dst_sel:DWORD dst_unused:UNUSED_PAD src0_sel:BYTE_1 src1_sel:DWORD
	v_ffbh_u32_e32 v32, v16
	v_min_u32_e32 v35, 32, v32
	v_subrev_u32_e32 v32, 28, v35
	v_lshlrev_b64 v[32:33], v32, v[16:17]
	v_lshrrev_b32_e32 v34, 3, v25
	v_sub_u32_e32 v33, 29, v35
	v_cmp_gt_u32_e64 s[0:1], 8, v25
	v_and_b32_e32 v32, 7, v32
	v_cndmask_b32_e64 v25, v34, v33, s[0:1]
	v_cndmask_b32_e64 v16, v16, v32, s[0:1]
	v_lshlrev_b32_e32 v32, 16, v24
	v_lshl_add_u32 v25, v25, 23, v58
	v_and_or_b32 v25, v32, s13, v25
	v_lshlrev_b32_e32 v16, 20, v16
	v_or_b32_e32 v33, v25, v16
	v_mov_b32_e32 v32, v17
.LBB212_232:                            ;   in Loop: Header=BB212_195 Depth=1
	s_or_b64 exec, exec, s[24:25]
.LBB212_233:                            ;   in Loop: Header=BB212_195 Depth=1
	s_or_b64 exec, exec, s[22:23]
.LBB212_234:                            ;   in Loop: Header=BB212_195 Depth=1
	s_or_b64 exec, exec, s[20:21]
	v_lshrrev_b32_e32 v16, 16, v24
	v_pk_mov_b32 v[36:37], 0, 0
	v_cmp_ne_u16_sdwa s[0:1], v16, v17 src0_sel:BYTE_0 src1_sel:DWORD
	v_pk_mov_b32 v[34:35], v[36:37], v[36:37] op_sel:[0,1]
	s_and_saveexec_b64 s[20:21], s[0:1]
	s_cbranch_execz .LBB212_240
; %bb.235:                              ;   in Loop: Header=BB212_195 Depth=1
	v_bfrev_b32_e32 v34, 1
	v_cmp_ne_u16_sdwa s[0:1], v16, s34 src0_sel:BYTE_0 src1_sel:DWORD
	v_mov_b32_e32 v35, 0
	s_and_saveexec_b64 s[22:23], s[0:1]
	s_cbranch_execz .LBB212_239
; %bb.236:                              ;   in Loop: Header=BB212_195 Depth=1
	v_bfe_u32 v25, v24, 16, 7
	v_mov_b32_e32 v34, 0x7f800001
	v_cmp_ne_u32_e64 s[0:1], s36, v25
	v_mov_b32_e32 v35, 0
	s_and_saveexec_b64 s[24:25], s[0:1]
	s_cbranch_execz .LBB212_238
; %bb.237:                              ;   in Loop: Header=BB212_195 Depth=1
	v_and_b32_e32 v38, 7, v16
	v_ffbh_u32_e32 v34, v38
	v_min_u32_e32 v40, 32, v34
	v_subrev_u32_e32 v34, 28, v40
	v_lshlrev_b64 v[34:35], v34, v[16:17]
	v_lshrrev_b32_e32 v39, 3, v25
	v_sub_u32_e32 v35, 29, v40
	v_and_b32_e32 v34, 7, v34
	v_cmp_gt_u32_e64 s[0:1], 8, v25
	v_cndmask_b32_e64 v25, v39, v35, s[0:1]
	v_cndmask_b32_e64 v34, v38, v34, s[0:1]
	v_lshlrev_b32_e32 v34, 20, v34
	v_and_b32_sdwa v16, sext(v16), s13 dst_sel:DWORD dst_unused:UNUSED_PAD src0_sel:BYTE_0 src1_sel:DWORD
	v_lshl_add_u32 v25, v25, 23, v58
	v_or3_b32 v16, v16, v25, v34
	v_pk_mov_b32 v[34:35], v[16:17], v[16:17] op_sel:[0,1]
.LBB212_238:                            ;   in Loop: Header=BB212_195 Depth=1
	s_or_b64 exec, exec, s[24:25]
.LBB212_239:                            ;   in Loop: Header=BB212_195 Depth=1
	s_or_b64 exec, exec, s[22:23]
.LBB212_240:                            ;   in Loop: Header=BB212_195 Depth=1
	s_or_b64 exec, exec, s[20:21]
	v_cmp_lt_u32_e64 s[0:1], s37, v24
	s_and_saveexec_b64 s[20:21], s[0:1]
	s_cbranch_execz .LBB212_246
; %bb.241:                              ;   in Loop: Header=BB212_195 Depth=1
	v_cmp_ne_u32_sdwa s[0:1], v24, s34 src0_sel:BYTE_3 src1_sel:DWORD
	v_pk_mov_b32 v[36:37], s[12:13], s[12:13] op_sel:[0,1]
	s_and_saveexec_b64 s[22:23], s[0:1]
	s_cbranch_execz .LBB212_245
; %bb.242:                              ;   in Loop: Header=BB212_195 Depth=1
	v_bfe_u32 v25, v24, 24, 7
	s_mov_b32 s10, s12
	v_cmp_ne_u32_e64 s[0:1], s36, v25
	v_pk_mov_b32 v[36:37], s[10:11], s[10:11] op_sel:[0,1]
	s_and_saveexec_b64 s[24:25], s[0:1]
	s_cbranch_execz .LBB212_244
; %bb.243:                              ;   in Loop: Header=BB212_195 Depth=1
	v_and_b32_sdwa v16, v24, v59 dst_sel:DWORD dst_unused:UNUSED_PAD src0_sel:BYTE_3 src1_sel:DWORD
	v_ffbh_u32_e32 v36, v16
	v_min_u32_e32 v39, 32, v36
	v_subrev_u32_e32 v36, 28, v39
	v_lshlrev_b64 v[36:37], v36, v[16:17]
	v_lshrrev_b32_e32 v38, 3, v25
	v_sub_u32_e32 v37, 29, v39
	v_cmp_gt_u32_e64 s[0:1], 8, v25
	v_and_b32_e32 v36, 7, v36
	v_cndmask_b32_e64 v25, v38, v37, s[0:1]
	v_cndmask_b32_e64 v16, v16, v36, s[0:1]
	v_lshlrev_b32_sdwa v24, v60, v24 dst_sel:DWORD dst_unused:UNUSED_PAD src0_sel:DWORD src1_sel:BYTE_3
	v_lshl_add_u32 v25, v25, 23, v58
	v_and_or_b32 v24, v24, s13, v25
	v_lshlrev_b32_e32 v16, 20, v16
	v_or_b32_e32 v37, v24, v16
	v_mov_b32_e32 v36, v17
.LBB212_244:                            ;   in Loop: Header=BB212_195 Depth=1
	s_or_b64 exec, exec, s[24:25]
.LBB212_245:                            ;   in Loop: Header=BB212_195 Depth=1
	s_or_b64 exec, exec, s[22:23]
.LBB212_246:                            ;   in Loop: Header=BB212_195 Depth=1
	s_or_b64 exec, exec, s[20:21]
	s_mov_b32 s17, s16
	v_or_b32_e32 v25, v33, v31
	v_or_b32_e32 v24, v32, v30
	;; [unrolled: 1-line block ×4, first 2 shown]
	v_pk_mul_f32 v[24:25], s[16:17], v[24:25]
	v_pk_mul_f32 v[30:31], s[16:17], v[30:31]
	s_and_saveexec_b64 s[20:21], vcc
; %bb.247:                              ;   in Loop: Header=BB212_195 Depth=1
	v_cmp_gt_i32_e64 s[0:1], s33, v61
	v_cndmask_b32_e64 v24, 0, v24, s[0:1]
	v_cmp_gt_i32_e64 s[0:1], s33, v64
	v_cndmask_b32_e64 v25, 0, v25, s[0:1]
	;; [unrolled: 2-line block ×4, first 2 shown]
; %bb.248:                              ;   in Loop: Header=BB212_195 Depth=1
	s_or_b64 exec, exec, s[20:21]
	global_load_dword v32, v[22:23], off offset:512
	v_pk_mov_b32 v[36:37], 0, 0
	v_pk_mov_b32 v[34:35], v[36:37], v[36:37] op_sel:[0,1]
	s_waitcnt vmcnt(0)
	v_cmp_ne_u16_sdwa s[0:1], v32, v17 src0_sel:BYTE_0 src1_sel:DWORD
	s_and_saveexec_b64 s[20:21], s[0:1]
	s_cbranch_execz .LBB212_254
; %bb.249:                              ;   in Loop: Header=BB212_195 Depth=1
	v_bfrev_b32_e32 v34, 1
	v_cmp_ne_u16_sdwa s[0:1], v32, s34 src0_sel:BYTE_0 src1_sel:DWORD
	v_mov_b32_e32 v35, 0
	s_and_saveexec_b64 s[22:23], s[0:1]
	s_cbranch_execz .LBB212_253
; %bb.250:                              ;   in Loop: Header=BB212_195 Depth=1
	v_and_b32_e32 v16, 0x7f, v32
	v_mov_b32_e32 v34, 0x7f800001
	v_cmp_ne_u32_e64 s[0:1], s36, v16
	v_mov_b32_e32 v35, 0
	s_and_saveexec_b64 s[24:25], s[0:1]
	s_cbranch_execz .LBB212_252
; %bb.251:                              ;   in Loop: Header=BB212_195 Depth=1
	v_and_b32_e32 v33, 7, v32
	v_ffbh_u32_e32 v34, v33
	v_min_u32_e32 v39, 32, v34
	v_subrev_u32_e32 v34, 28, v39
	v_lshlrev_b64 v[34:35], v34, v[32:33]
	v_lshrrev_b32_e32 v38, 3, v16
	v_sub_u32_e32 v35, 29, v39
	v_and_b32_e32 v34, 7, v34
	v_cmp_gt_u32_e64 s[0:1], 8, v16
	v_cndmask_b32_e64 v16, v38, v35, s[0:1]
	v_cndmask_b32_e64 v33, v33, v34, s[0:1]
	v_lshlrev_b32_e32 v33, 20, v33
	v_and_b32_sdwa v34, sext(v32), s13 dst_sel:DWORD dst_unused:UNUSED_PAD src0_sel:BYTE_0 src1_sel:DWORD
	v_lshl_add_u32 v16, v16, 23, v58
	v_or3_b32 v16, v34, v16, v33
	v_pk_mov_b32 v[34:35], v[16:17], v[16:17] op_sel:[0,1]
.LBB212_252:                            ;   in Loop: Header=BB212_195 Depth=1
	s_or_b64 exec, exec, s[24:25]
.LBB212_253:                            ;   in Loop: Header=BB212_195 Depth=1
	s_or_b64 exec, exec, s[22:23]
.LBB212_254:                            ;   in Loop: Header=BB212_195 Depth=1
	s_or_b64 exec, exec, s[20:21]
	v_cmp_ne_u16_sdwa s[0:1], v32, v17 src0_sel:BYTE_1 src1_sel:DWORD
	s_and_saveexec_b64 s[20:21], s[0:1]
	s_cbranch_execz .LBB212_260
; %bb.255:                              ;   in Loop: Header=BB212_195 Depth=1
	v_cmp_ne_u16_sdwa s[0:1], v32, s34 src0_sel:BYTE_1 src1_sel:DWORD
	v_pk_mov_b32 v[36:37], s[12:13], s[12:13] op_sel:[0,1]
	s_and_saveexec_b64 s[22:23], s[0:1]
	s_cbranch_execz .LBB212_259
; %bb.256:                              ;   in Loop: Header=BB212_195 Depth=1
	v_and_b32_sdwa v33, v32, s36 dst_sel:DWORD dst_unused:UNUSED_PAD src0_sel:BYTE_1 src1_sel:DWORD
	s_mov_b32 s10, s12
	v_cmp_ne_u32_e64 s[0:1], s36, v33
	v_pk_mov_b32 v[36:37], s[10:11], s[10:11] op_sel:[0,1]
	s_and_saveexec_b64 s[24:25], s[0:1]
	s_cbranch_execz .LBB212_258
; %bb.257:                              ;   in Loop: Header=BB212_195 Depth=1
	v_and_b32_sdwa v16, v32, v59 dst_sel:DWORD dst_unused:UNUSED_PAD src0_sel:BYTE_1 src1_sel:DWORD
	v_ffbh_u32_e32 v36, v16
	v_min_u32_e32 v39, 32, v36
	v_subrev_u32_e32 v36, 28, v39
	v_lshlrev_b64 v[36:37], v36, v[16:17]
	v_lshrrev_b32_e32 v38, 3, v33
	v_sub_u32_e32 v37, 29, v39
	v_cmp_gt_u32_e64 s[0:1], 8, v33
	v_and_b32_e32 v36, 7, v36
	v_cndmask_b32_e64 v33, v38, v37, s[0:1]
	v_cndmask_b32_e64 v16, v16, v36, s[0:1]
	v_lshlrev_b32_e32 v36, 16, v32
	v_lshl_add_u32 v33, v33, 23, v58
	v_and_or_b32 v33, v36, s13, v33
	v_lshlrev_b32_e32 v16, 20, v16
	v_or_b32_e32 v37, v33, v16
	v_mov_b32_e32 v36, v17
.LBB212_258:                            ;   in Loop: Header=BB212_195 Depth=1
	s_or_b64 exec, exec, s[24:25]
.LBB212_259:                            ;   in Loop: Header=BB212_195 Depth=1
	s_or_b64 exec, exec, s[22:23]
.LBB212_260:                            ;   in Loop: Header=BB212_195 Depth=1
	s_or_b64 exec, exec, s[20:21]
	v_lshrrev_b32_e32 v16, 16, v32
	v_pk_mov_b32 v[40:41], 0, 0
	v_cmp_ne_u16_sdwa s[0:1], v16, v17 src0_sel:BYTE_0 src1_sel:DWORD
	v_pk_mov_b32 v[38:39], v[40:41], v[40:41] op_sel:[0,1]
	s_and_saveexec_b64 s[20:21], s[0:1]
	s_cbranch_execz .LBB212_266
; %bb.261:                              ;   in Loop: Header=BB212_195 Depth=1
	v_bfrev_b32_e32 v38, 1
	v_cmp_ne_u16_sdwa s[0:1], v16, s34 src0_sel:BYTE_0 src1_sel:DWORD
	v_mov_b32_e32 v39, 0
	s_and_saveexec_b64 s[22:23], s[0:1]
	s_cbranch_execz .LBB212_265
; %bb.262:                              ;   in Loop: Header=BB212_195 Depth=1
	v_bfe_u32 v33, v32, 16, 7
	v_mov_b32_e32 v38, 0x7f800001
	v_cmp_ne_u32_e64 s[0:1], s36, v33
	v_mov_b32_e32 v39, 0
	s_and_saveexec_b64 s[24:25], s[0:1]
	s_cbranch_execz .LBB212_264
; %bb.263:                              ;   in Loop: Header=BB212_195 Depth=1
	v_and_b32_e32 v42, 7, v16
	v_ffbh_u32_e32 v38, v42
	v_min_u32_e32 v44, 32, v38
	v_subrev_u32_e32 v38, 28, v44
	v_lshlrev_b64 v[38:39], v38, v[16:17]
	v_lshrrev_b32_e32 v43, 3, v33
	v_sub_u32_e32 v39, 29, v44
	v_and_b32_e32 v38, 7, v38
	v_cmp_gt_u32_e64 s[0:1], 8, v33
	v_cndmask_b32_e64 v33, v43, v39, s[0:1]
	v_cndmask_b32_e64 v38, v42, v38, s[0:1]
	v_lshlrev_b32_e32 v38, 20, v38
	v_and_b32_sdwa v16, sext(v16), s13 dst_sel:DWORD dst_unused:UNUSED_PAD src0_sel:BYTE_0 src1_sel:DWORD
	v_lshl_add_u32 v33, v33, 23, v58
	v_or3_b32 v16, v16, v33, v38
	v_pk_mov_b32 v[38:39], v[16:17], v[16:17] op_sel:[0,1]
.LBB212_264:                            ;   in Loop: Header=BB212_195 Depth=1
	s_or_b64 exec, exec, s[24:25]
.LBB212_265:                            ;   in Loop: Header=BB212_195 Depth=1
	s_or_b64 exec, exec, s[22:23]
.LBB212_266:                            ;   in Loop: Header=BB212_195 Depth=1
	s_or_b64 exec, exec, s[20:21]
	v_cmp_lt_u32_e64 s[0:1], s37, v32
	s_and_saveexec_b64 s[20:21], s[0:1]
	s_cbranch_execz .LBB212_272
; %bb.267:                              ;   in Loop: Header=BB212_195 Depth=1
	v_cmp_ne_u32_sdwa s[0:1], v32, s34 src0_sel:BYTE_3 src1_sel:DWORD
	v_pk_mov_b32 v[40:41], s[12:13], s[12:13] op_sel:[0,1]
	s_and_saveexec_b64 s[22:23], s[0:1]
	s_cbranch_execz .LBB212_271
; %bb.268:                              ;   in Loop: Header=BB212_195 Depth=1
	v_bfe_u32 v33, v32, 24, 7
	s_mov_b32 s10, s12
	v_cmp_ne_u32_e64 s[0:1], s36, v33
	v_pk_mov_b32 v[40:41], s[10:11], s[10:11] op_sel:[0,1]
	s_and_saveexec_b64 s[24:25], s[0:1]
	s_cbranch_execz .LBB212_270
; %bb.269:                              ;   in Loop: Header=BB212_195 Depth=1
	v_and_b32_sdwa v16, v32, v59 dst_sel:DWORD dst_unused:UNUSED_PAD src0_sel:BYTE_3 src1_sel:DWORD
	v_ffbh_u32_e32 v40, v16
	v_min_u32_e32 v43, 32, v40
	v_subrev_u32_e32 v40, 28, v43
	v_lshlrev_b64 v[40:41], v40, v[16:17]
	v_lshrrev_b32_e32 v42, 3, v33
	v_sub_u32_e32 v41, 29, v43
	v_cmp_gt_u32_e64 s[0:1], 8, v33
	v_and_b32_e32 v40, 7, v40
	v_cndmask_b32_e64 v33, v42, v41, s[0:1]
	v_cndmask_b32_e64 v16, v16, v40, s[0:1]
	v_lshlrev_b32_sdwa v32, v60, v32 dst_sel:DWORD dst_unused:UNUSED_PAD src0_sel:DWORD src1_sel:BYTE_3
	v_lshl_add_u32 v33, v33, 23, v58
	v_and_or_b32 v32, v32, s13, v33
	v_lshlrev_b32_e32 v16, 20, v16
	v_or_b32_e32 v41, v32, v16
	v_mov_b32_e32 v40, v17
.LBB212_270:                            ;   in Loop: Header=BB212_195 Depth=1
	s_or_b64 exec, exec, s[24:25]
.LBB212_271:                            ;   in Loop: Header=BB212_195 Depth=1
	s_or_b64 exec, exec, s[22:23]
.LBB212_272:                            ;   in Loop: Header=BB212_195 Depth=1
	s_or_b64 exec, exec, s[20:21]
	v_or_b32_e32 v33, v37, v35
	v_or_b32_e32 v32, v36, v34
	;; [unrolled: 1-line block ×4, first 2 shown]
	v_pk_mul_f32 v[32:33], s[16:17], v[32:33]
	v_pk_mul_f32 v[34:35], s[16:17], v[34:35]
	s_and_saveexec_b64 s[20:21], vcc
; %bb.273:                              ;   in Loop: Header=BB212_195 Depth=1
	v_cmp_gt_i32_e64 s[0:1], s33, v61
	v_cndmask_b32_e64 v32, 0, v32, s[0:1]
	v_cmp_gt_i32_e64 s[0:1], s33, v64
	v_cndmask_b32_e64 v33, 0, v33, s[0:1]
	v_cmp_gt_i32_e64 s[0:1], s33, v63
	v_cndmask_b32_e64 v34, 0, v34, s[0:1]
	v_cmp_gt_i32_e64 s[0:1], s33, v62
	v_cndmask_b32_e64 v35, 0, v35, s[0:1]
; %bb.274:                              ;   in Loop: Header=BB212_195 Depth=1
	s_or_b64 exec, exec, s[20:21]
	global_load_dword v36, v[22:23], off offset:768
	v_pk_mov_b32 v[40:41], 0, 0
	v_pk_mov_b32 v[38:39], v[40:41], v[40:41] op_sel:[0,1]
	s_waitcnt vmcnt(0)
	v_cmp_ne_u16_sdwa s[0:1], v36, v17 src0_sel:BYTE_0 src1_sel:DWORD
	s_and_saveexec_b64 s[20:21], s[0:1]
	s_cbranch_execz .LBB212_280
; %bb.275:                              ;   in Loop: Header=BB212_195 Depth=1
	v_bfrev_b32_e32 v38, 1
	v_cmp_ne_u16_sdwa s[0:1], v36, s34 src0_sel:BYTE_0 src1_sel:DWORD
	v_mov_b32_e32 v39, 0
	s_and_saveexec_b64 s[22:23], s[0:1]
	s_cbranch_execz .LBB212_279
; %bb.276:                              ;   in Loop: Header=BB212_195 Depth=1
	v_and_b32_e32 v16, 0x7f, v36
	v_mov_b32_e32 v38, 0x7f800001
	v_cmp_ne_u32_e64 s[0:1], s36, v16
	v_mov_b32_e32 v39, 0
	s_and_saveexec_b64 s[24:25], s[0:1]
	s_cbranch_execz .LBB212_278
; %bb.277:                              ;   in Loop: Header=BB212_195 Depth=1
	v_and_b32_e32 v37, 7, v36
	v_ffbh_u32_e32 v38, v37
	v_min_u32_e32 v43, 32, v38
	v_subrev_u32_e32 v38, 28, v43
	v_lshlrev_b64 v[38:39], v38, v[36:37]
	v_lshrrev_b32_e32 v42, 3, v16
	v_sub_u32_e32 v39, 29, v43
	v_and_b32_e32 v38, 7, v38
	v_cmp_gt_u32_e64 s[0:1], 8, v16
	v_cndmask_b32_e64 v16, v42, v39, s[0:1]
	v_cndmask_b32_e64 v37, v37, v38, s[0:1]
	v_lshlrev_b32_e32 v37, 20, v37
	v_and_b32_sdwa v38, sext(v36), s13 dst_sel:DWORD dst_unused:UNUSED_PAD src0_sel:BYTE_0 src1_sel:DWORD
	v_lshl_add_u32 v16, v16, 23, v58
	v_or3_b32 v16, v38, v16, v37
	v_pk_mov_b32 v[38:39], v[16:17], v[16:17] op_sel:[0,1]
.LBB212_278:                            ;   in Loop: Header=BB212_195 Depth=1
	s_or_b64 exec, exec, s[24:25]
.LBB212_279:                            ;   in Loop: Header=BB212_195 Depth=1
	s_or_b64 exec, exec, s[22:23]
.LBB212_280:                            ;   in Loop: Header=BB212_195 Depth=1
	s_or_b64 exec, exec, s[20:21]
	v_cmp_ne_u16_sdwa s[0:1], v36, v17 src0_sel:BYTE_1 src1_sel:DWORD
	s_and_saveexec_b64 s[20:21], s[0:1]
	s_cbranch_execz .LBB212_286
; %bb.281:                              ;   in Loop: Header=BB212_195 Depth=1
	v_cmp_ne_u16_sdwa s[0:1], v36, s34 src0_sel:BYTE_1 src1_sel:DWORD
	v_pk_mov_b32 v[40:41], s[12:13], s[12:13] op_sel:[0,1]
	s_and_saveexec_b64 s[22:23], s[0:1]
	s_cbranch_execz .LBB212_285
; %bb.282:                              ;   in Loop: Header=BB212_195 Depth=1
	v_and_b32_sdwa v37, v36, s36 dst_sel:DWORD dst_unused:UNUSED_PAD src0_sel:BYTE_1 src1_sel:DWORD
	s_mov_b32 s10, s12
	v_cmp_ne_u32_e64 s[0:1], s36, v37
	v_pk_mov_b32 v[40:41], s[10:11], s[10:11] op_sel:[0,1]
	s_and_saveexec_b64 s[24:25], s[0:1]
	s_cbranch_execz .LBB212_284
; %bb.283:                              ;   in Loop: Header=BB212_195 Depth=1
	v_and_b32_sdwa v16, v36, v59 dst_sel:DWORD dst_unused:UNUSED_PAD src0_sel:BYTE_1 src1_sel:DWORD
	v_ffbh_u32_e32 v40, v16
	v_min_u32_e32 v43, 32, v40
	v_subrev_u32_e32 v40, 28, v43
	v_lshlrev_b64 v[40:41], v40, v[16:17]
	v_lshrrev_b32_e32 v42, 3, v37
	v_sub_u32_e32 v41, 29, v43
	v_cmp_gt_u32_e64 s[0:1], 8, v37
	v_and_b32_e32 v40, 7, v40
	v_cndmask_b32_e64 v37, v42, v41, s[0:1]
	v_cndmask_b32_e64 v16, v16, v40, s[0:1]
	v_lshlrev_b32_e32 v40, 16, v36
	v_lshl_add_u32 v37, v37, 23, v58
	v_and_or_b32 v37, v40, s13, v37
	v_lshlrev_b32_e32 v16, 20, v16
	v_or_b32_e32 v41, v37, v16
	v_mov_b32_e32 v40, v17
.LBB212_284:                            ;   in Loop: Header=BB212_195 Depth=1
	s_or_b64 exec, exec, s[24:25]
.LBB212_285:                            ;   in Loop: Header=BB212_195 Depth=1
	s_or_b64 exec, exec, s[22:23]
.LBB212_286:                            ;   in Loop: Header=BB212_195 Depth=1
	s_or_b64 exec, exec, s[20:21]
	v_lshrrev_b32_e32 v16, 16, v36
	v_pk_mov_b32 v[44:45], 0, 0
	v_cmp_ne_u16_sdwa s[0:1], v16, v17 src0_sel:BYTE_0 src1_sel:DWORD
	v_pk_mov_b32 v[42:43], v[44:45], v[44:45] op_sel:[0,1]
	s_and_saveexec_b64 s[20:21], s[0:1]
	s_cbranch_execz .LBB212_292
; %bb.287:                              ;   in Loop: Header=BB212_195 Depth=1
	v_bfrev_b32_e32 v42, 1
	v_cmp_ne_u16_sdwa s[0:1], v16, s34 src0_sel:BYTE_0 src1_sel:DWORD
	v_mov_b32_e32 v43, 0
	s_and_saveexec_b64 s[22:23], s[0:1]
	s_cbranch_execz .LBB212_291
; %bb.288:                              ;   in Loop: Header=BB212_195 Depth=1
	v_bfe_u32 v37, v36, 16, 7
	v_mov_b32_e32 v42, 0x7f800001
	v_cmp_ne_u32_e64 s[0:1], s36, v37
	v_mov_b32_e32 v43, 0
	s_and_saveexec_b64 s[24:25], s[0:1]
	s_cbranch_execz .LBB212_290
; %bb.289:                              ;   in Loop: Header=BB212_195 Depth=1
	v_and_b32_e32 v46, 7, v16
	v_ffbh_u32_e32 v42, v46
	v_min_u32_e32 v48, 32, v42
	v_subrev_u32_e32 v42, 28, v48
	v_lshlrev_b64 v[42:43], v42, v[16:17]
	v_lshrrev_b32_e32 v47, 3, v37
	v_sub_u32_e32 v43, 29, v48
	v_and_b32_e32 v42, 7, v42
	v_cmp_gt_u32_e64 s[0:1], 8, v37
	v_cndmask_b32_e64 v37, v47, v43, s[0:1]
	v_cndmask_b32_e64 v42, v46, v42, s[0:1]
	v_lshlrev_b32_e32 v42, 20, v42
	v_and_b32_sdwa v16, sext(v16), s13 dst_sel:DWORD dst_unused:UNUSED_PAD src0_sel:BYTE_0 src1_sel:DWORD
	v_lshl_add_u32 v37, v37, 23, v58
	v_or3_b32 v16, v16, v37, v42
	v_pk_mov_b32 v[42:43], v[16:17], v[16:17] op_sel:[0,1]
.LBB212_290:                            ;   in Loop: Header=BB212_195 Depth=1
	s_or_b64 exec, exec, s[24:25]
.LBB212_291:                            ;   in Loop: Header=BB212_195 Depth=1
	s_or_b64 exec, exec, s[22:23]
.LBB212_292:                            ;   in Loop: Header=BB212_195 Depth=1
	s_or_b64 exec, exec, s[20:21]
	v_cmp_lt_u32_e64 s[0:1], s37, v36
	s_and_saveexec_b64 s[20:21], s[0:1]
	s_cbranch_execz .LBB212_298
; %bb.293:                              ;   in Loop: Header=BB212_195 Depth=1
	v_cmp_ne_u32_sdwa s[0:1], v36, s34 src0_sel:BYTE_3 src1_sel:DWORD
	v_pk_mov_b32 v[44:45], s[12:13], s[12:13] op_sel:[0,1]
	s_and_saveexec_b64 s[22:23], s[0:1]
	s_cbranch_execz .LBB212_297
; %bb.294:                              ;   in Loop: Header=BB212_195 Depth=1
	v_bfe_u32 v37, v36, 24, 7
	s_mov_b32 s10, s12
	v_cmp_ne_u32_e64 s[0:1], s36, v37
	v_pk_mov_b32 v[44:45], s[10:11], s[10:11] op_sel:[0,1]
	s_and_saveexec_b64 s[24:25], s[0:1]
	s_cbranch_execz .LBB212_296
; %bb.295:                              ;   in Loop: Header=BB212_195 Depth=1
	v_and_b32_sdwa v16, v36, v59 dst_sel:DWORD dst_unused:UNUSED_PAD src0_sel:BYTE_3 src1_sel:DWORD
	v_ffbh_u32_e32 v44, v16
	v_min_u32_e32 v47, 32, v44
	v_subrev_u32_e32 v44, 28, v47
	v_lshlrev_b64 v[44:45], v44, v[16:17]
	v_lshrrev_b32_e32 v46, 3, v37
	v_sub_u32_e32 v45, 29, v47
	v_cmp_gt_u32_e64 s[0:1], 8, v37
	v_and_b32_e32 v44, 7, v44
	v_cndmask_b32_e64 v37, v46, v45, s[0:1]
	v_cndmask_b32_e64 v16, v16, v44, s[0:1]
	v_lshlrev_b32_sdwa v36, v60, v36 dst_sel:DWORD dst_unused:UNUSED_PAD src0_sel:DWORD src1_sel:BYTE_3
	v_lshl_add_u32 v37, v37, 23, v58
	v_and_or_b32 v36, v36, s13, v37
	v_lshlrev_b32_e32 v16, 20, v16
	v_or_b32_e32 v45, v36, v16
	v_mov_b32_e32 v44, v17
.LBB212_296:                            ;   in Loop: Header=BB212_195 Depth=1
	s_or_b64 exec, exec, s[24:25]
.LBB212_297:                            ;   in Loop: Header=BB212_195 Depth=1
	s_or_b64 exec, exec, s[22:23]
.LBB212_298:                            ;   in Loop: Header=BB212_195 Depth=1
	s_or_b64 exec, exec, s[20:21]
	v_or_b32_e32 v37, v41, v39
	v_or_b32_e32 v36, v40, v38
	;; [unrolled: 1-line block ×4, first 2 shown]
	v_pk_mul_f32 v[36:37], s[16:17], v[36:37]
	v_pk_mul_f32 v[38:39], s[16:17], v[38:39]
	s_and_saveexec_b64 s[20:21], vcc
; %bb.299:                              ;   in Loop: Header=BB212_195 Depth=1
	v_cmp_gt_i32_e64 s[0:1], s33, v61
	v_cndmask_b32_e64 v36, 0, v36, s[0:1]
	v_cmp_gt_i32_e64 s[0:1], s33, v64
	v_cndmask_b32_e64 v37, 0, v37, s[0:1]
	;; [unrolled: 2-line block ×4, first 2 shown]
; %bb.300:                              ;   in Loop: Header=BB212_195 Depth=1
	s_or_b64 exec, exec, s[20:21]
	global_load_dword v40, v[22:23], off offset:1024
	v_pk_mov_b32 v[44:45], 0, 0
	v_pk_mov_b32 v[42:43], v[44:45], v[44:45] op_sel:[0,1]
	s_waitcnt vmcnt(0)
	v_cmp_ne_u16_sdwa s[0:1], v40, v17 src0_sel:BYTE_0 src1_sel:DWORD
	s_and_saveexec_b64 s[20:21], s[0:1]
	s_cbranch_execz .LBB212_306
; %bb.301:                              ;   in Loop: Header=BB212_195 Depth=1
	v_bfrev_b32_e32 v42, 1
	v_cmp_ne_u16_sdwa s[0:1], v40, s34 src0_sel:BYTE_0 src1_sel:DWORD
	v_mov_b32_e32 v43, 0
	s_and_saveexec_b64 s[22:23], s[0:1]
	s_cbranch_execz .LBB212_305
; %bb.302:                              ;   in Loop: Header=BB212_195 Depth=1
	v_and_b32_e32 v16, 0x7f, v40
	v_mov_b32_e32 v42, 0x7f800001
	v_cmp_ne_u32_e64 s[0:1], s36, v16
	v_mov_b32_e32 v43, 0
	s_and_saveexec_b64 s[24:25], s[0:1]
	s_cbranch_execz .LBB212_304
; %bb.303:                              ;   in Loop: Header=BB212_195 Depth=1
	v_and_b32_e32 v41, 7, v40
	v_ffbh_u32_e32 v42, v41
	v_min_u32_e32 v47, 32, v42
	v_subrev_u32_e32 v42, 28, v47
	v_lshlrev_b64 v[42:43], v42, v[40:41]
	v_lshrrev_b32_e32 v46, 3, v16
	v_sub_u32_e32 v43, 29, v47
	v_and_b32_e32 v42, 7, v42
	v_cmp_gt_u32_e64 s[0:1], 8, v16
	v_cndmask_b32_e64 v16, v46, v43, s[0:1]
	v_cndmask_b32_e64 v41, v41, v42, s[0:1]
	v_lshlrev_b32_e32 v41, 20, v41
	v_and_b32_sdwa v42, sext(v40), s13 dst_sel:DWORD dst_unused:UNUSED_PAD src0_sel:BYTE_0 src1_sel:DWORD
	v_lshl_add_u32 v16, v16, 23, v58
	v_or3_b32 v16, v42, v16, v41
	v_pk_mov_b32 v[42:43], v[16:17], v[16:17] op_sel:[0,1]
.LBB212_304:                            ;   in Loop: Header=BB212_195 Depth=1
	s_or_b64 exec, exec, s[24:25]
.LBB212_305:                            ;   in Loop: Header=BB212_195 Depth=1
	s_or_b64 exec, exec, s[22:23]
.LBB212_306:                            ;   in Loop: Header=BB212_195 Depth=1
	s_or_b64 exec, exec, s[20:21]
	v_cmp_ne_u16_sdwa s[0:1], v40, v17 src0_sel:BYTE_1 src1_sel:DWORD
	s_and_saveexec_b64 s[20:21], s[0:1]
	s_cbranch_execz .LBB212_312
; %bb.307:                              ;   in Loop: Header=BB212_195 Depth=1
	v_cmp_ne_u16_sdwa s[0:1], v40, s34 src0_sel:BYTE_1 src1_sel:DWORD
	v_pk_mov_b32 v[44:45], s[12:13], s[12:13] op_sel:[0,1]
	s_and_saveexec_b64 s[22:23], s[0:1]
	s_cbranch_execz .LBB212_311
; %bb.308:                              ;   in Loop: Header=BB212_195 Depth=1
	v_and_b32_sdwa v41, v40, s36 dst_sel:DWORD dst_unused:UNUSED_PAD src0_sel:BYTE_1 src1_sel:DWORD
	s_mov_b32 s10, s12
	v_cmp_ne_u32_e64 s[0:1], s36, v41
	v_pk_mov_b32 v[44:45], s[10:11], s[10:11] op_sel:[0,1]
	s_and_saveexec_b64 s[24:25], s[0:1]
	s_cbranch_execz .LBB212_310
; %bb.309:                              ;   in Loop: Header=BB212_195 Depth=1
	v_and_b32_sdwa v16, v40, v59 dst_sel:DWORD dst_unused:UNUSED_PAD src0_sel:BYTE_1 src1_sel:DWORD
	v_ffbh_u32_e32 v44, v16
	v_min_u32_e32 v47, 32, v44
	v_subrev_u32_e32 v44, 28, v47
	v_lshlrev_b64 v[44:45], v44, v[16:17]
	v_lshrrev_b32_e32 v46, 3, v41
	v_sub_u32_e32 v45, 29, v47
	v_cmp_gt_u32_e64 s[0:1], 8, v41
	v_and_b32_e32 v44, 7, v44
	v_cndmask_b32_e64 v41, v46, v45, s[0:1]
	v_cndmask_b32_e64 v16, v16, v44, s[0:1]
	v_lshlrev_b32_e32 v44, 16, v40
	v_lshl_add_u32 v41, v41, 23, v58
	v_and_or_b32 v41, v44, s13, v41
	v_lshlrev_b32_e32 v16, 20, v16
	v_or_b32_e32 v45, v41, v16
	v_mov_b32_e32 v44, v17
.LBB212_310:                            ;   in Loop: Header=BB212_195 Depth=1
	s_or_b64 exec, exec, s[24:25]
.LBB212_311:                            ;   in Loop: Header=BB212_195 Depth=1
	s_or_b64 exec, exec, s[22:23]
.LBB212_312:                            ;   in Loop: Header=BB212_195 Depth=1
	s_or_b64 exec, exec, s[20:21]
	v_lshrrev_b32_e32 v16, 16, v40
	v_pk_mov_b32 v[48:49], 0, 0
	v_cmp_ne_u16_sdwa s[0:1], v16, v17 src0_sel:BYTE_0 src1_sel:DWORD
	v_pk_mov_b32 v[46:47], v[48:49], v[48:49] op_sel:[0,1]
	s_and_saveexec_b64 s[20:21], s[0:1]
	s_cbranch_execz .LBB212_318
; %bb.313:                              ;   in Loop: Header=BB212_195 Depth=1
	v_bfrev_b32_e32 v46, 1
	v_cmp_ne_u16_sdwa s[0:1], v16, s34 src0_sel:BYTE_0 src1_sel:DWORD
	v_mov_b32_e32 v47, 0
	s_and_saveexec_b64 s[22:23], s[0:1]
	s_cbranch_execz .LBB212_317
; %bb.314:                              ;   in Loop: Header=BB212_195 Depth=1
	v_bfe_u32 v41, v40, 16, 7
	v_mov_b32_e32 v46, 0x7f800001
	v_cmp_ne_u32_e64 s[0:1], s36, v41
	v_mov_b32_e32 v47, 0
	s_and_saveexec_b64 s[24:25], s[0:1]
	s_cbranch_execz .LBB212_316
; %bb.315:                              ;   in Loop: Header=BB212_195 Depth=1
	v_and_b32_e32 v50, 7, v16
	v_ffbh_u32_e32 v46, v50
	v_min_u32_e32 v65, 32, v46
	v_subrev_u32_e32 v46, 28, v65
	v_lshlrev_b64 v[46:47], v46, v[16:17]
	v_lshrrev_b32_e32 v51, 3, v41
	v_sub_u32_e32 v47, 29, v65
	v_and_b32_e32 v46, 7, v46
	v_cmp_gt_u32_e64 s[0:1], 8, v41
	v_cndmask_b32_e64 v41, v51, v47, s[0:1]
	v_cndmask_b32_e64 v46, v50, v46, s[0:1]
	v_lshlrev_b32_e32 v46, 20, v46
	v_and_b32_sdwa v16, sext(v16), s13 dst_sel:DWORD dst_unused:UNUSED_PAD src0_sel:BYTE_0 src1_sel:DWORD
	v_lshl_add_u32 v41, v41, 23, v58
	v_or3_b32 v16, v16, v41, v46
	v_pk_mov_b32 v[46:47], v[16:17], v[16:17] op_sel:[0,1]
.LBB212_316:                            ;   in Loop: Header=BB212_195 Depth=1
	s_or_b64 exec, exec, s[24:25]
.LBB212_317:                            ;   in Loop: Header=BB212_195 Depth=1
	s_or_b64 exec, exec, s[22:23]
.LBB212_318:                            ;   in Loop: Header=BB212_195 Depth=1
	s_or_b64 exec, exec, s[20:21]
	v_cmp_lt_u32_e64 s[0:1], s37, v40
	s_and_saveexec_b64 s[20:21], s[0:1]
	s_cbranch_execz .LBB212_324
; %bb.319:                              ;   in Loop: Header=BB212_195 Depth=1
	v_cmp_ne_u32_sdwa s[0:1], v40, s34 src0_sel:BYTE_3 src1_sel:DWORD
	v_pk_mov_b32 v[48:49], s[12:13], s[12:13] op_sel:[0,1]
	s_and_saveexec_b64 s[22:23], s[0:1]
	s_cbranch_execz .LBB212_323
; %bb.320:                              ;   in Loop: Header=BB212_195 Depth=1
	v_bfe_u32 v41, v40, 24, 7
	s_mov_b32 s10, s12
	v_cmp_ne_u32_e64 s[0:1], s36, v41
	v_pk_mov_b32 v[48:49], s[10:11], s[10:11] op_sel:[0,1]
	s_and_saveexec_b64 s[24:25], s[0:1]
	s_cbranch_execz .LBB212_322
; %bb.321:                              ;   in Loop: Header=BB212_195 Depth=1
	v_and_b32_sdwa v16, v40, v59 dst_sel:DWORD dst_unused:UNUSED_PAD src0_sel:BYTE_3 src1_sel:DWORD
	v_ffbh_u32_e32 v48, v16
	v_min_u32_e32 v51, 32, v48
	v_subrev_u32_e32 v48, 28, v51
	v_lshlrev_b64 v[48:49], v48, v[16:17]
	v_lshrrev_b32_e32 v50, 3, v41
	v_sub_u32_e32 v49, 29, v51
	v_cmp_gt_u32_e64 s[0:1], 8, v41
	v_and_b32_e32 v48, 7, v48
	v_cndmask_b32_e64 v41, v50, v49, s[0:1]
	v_cndmask_b32_e64 v16, v16, v48, s[0:1]
	v_lshlrev_b32_sdwa v40, v60, v40 dst_sel:DWORD dst_unused:UNUSED_PAD src0_sel:DWORD src1_sel:BYTE_3
	v_lshl_add_u32 v41, v41, 23, v58
	v_and_or_b32 v40, v40, s13, v41
	v_lshlrev_b32_e32 v16, 20, v16
	v_or_b32_e32 v49, v40, v16
	v_mov_b32_e32 v48, v17
.LBB212_322:                            ;   in Loop: Header=BB212_195 Depth=1
	s_or_b64 exec, exec, s[24:25]
.LBB212_323:                            ;   in Loop: Header=BB212_195 Depth=1
	s_or_b64 exec, exec, s[22:23]
.LBB212_324:                            ;   in Loop: Header=BB212_195 Depth=1
	s_or_b64 exec, exec, s[20:21]
	v_or_b32_e32 v41, v45, v43
	v_or_b32_e32 v40, v44, v42
	v_or_b32_e32 v43, v49, v47
	v_or_b32_e32 v42, v48, v46
	v_pk_mul_f32 v[40:41], s[16:17], v[40:41]
	v_pk_mul_f32 v[42:43], s[16:17], v[42:43]
	s_and_saveexec_b64 s[20:21], vcc
; %bb.325:                              ;   in Loop: Header=BB212_195 Depth=1
	v_cmp_gt_i32_e64 s[0:1], s33, v61
	v_cndmask_b32_e64 v40, 0, v40, s[0:1]
	v_cmp_gt_i32_e64 s[0:1], s33, v64
	v_cndmask_b32_e64 v41, 0, v41, s[0:1]
	;; [unrolled: 2-line block ×4, first 2 shown]
; %bb.326:                              ;   in Loop: Header=BB212_195 Depth=1
	s_or_b64 exec, exec, s[20:21]
	global_load_dword v22, v[22:23], off offset:1280
	v_pk_mov_b32 v[46:47], 0, 0
	v_pk_mov_b32 v[44:45], v[46:47], v[46:47] op_sel:[0,1]
	s_waitcnt vmcnt(0)
	v_cmp_ne_u16_sdwa s[0:1], v22, v17 src0_sel:BYTE_0 src1_sel:DWORD
	s_and_saveexec_b64 s[20:21], s[0:1]
	s_cbranch_execz .LBB212_332
; %bb.327:                              ;   in Loop: Header=BB212_195 Depth=1
	v_bfrev_b32_e32 v44, 1
	v_cmp_ne_u16_sdwa s[0:1], v22, s34 src0_sel:BYTE_0 src1_sel:DWORD
	v_mov_b32_e32 v45, 0
	s_and_saveexec_b64 s[22:23], s[0:1]
	s_cbranch_execz .LBB212_331
; %bb.328:                              ;   in Loop: Header=BB212_195 Depth=1
	v_and_b32_e32 v16, 0x7f, v22
	v_mov_b32_e32 v44, 0x7f800001
	v_cmp_ne_u32_e64 s[0:1], s36, v16
	v_mov_b32_e32 v45, 0
	s_and_saveexec_b64 s[24:25], s[0:1]
	s_cbranch_execz .LBB212_330
; %bb.329:                              ;   in Loop: Header=BB212_195 Depth=1
	v_and_b32_e32 v23, 7, v22
	v_ffbh_u32_e32 v44, v23
	v_min_u32_e32 v49, 32, v44
	v_subrev_u32_e32 v44, 28, v49
	v_lshlrev_b64 v[44:45], v44, v[22:23]
	v_lshrrev_b32_e32 v48, 3, v16
	v_sub_u32_e32 v45, 29, v49
	v_and_b32_e32 v44, 7, v44
	v_cmp_gt_u32_e64 s[0:1], 8, v16
	v_cndmask_b32_e64 v16, v48, v45, s[0:1]
	v_cndmask_b32_e64 v23, v23, v44, s[0:1]
	v_lshlrev_b32_e32 v23, 20, v23
	v_and_b32_sdwa v44, sext(v22), s13 dst_sel:DWORD dst_unused:UNUSED_PAD src0_sel:BYTE_0 src1_sel:DWORD
	v_lshl_add_u32 v16, v16, 23, v58
	v_or3_b32 v16, v44, v16, v23
	v_pk_mov_b32 v[44:45], v[16:17], v[16:17] op_sel:[0,1]
.LBB212_330:                            ;   in Loop: Header=BB212_195 Depth=1
	s_or_b64 exec, exec, s[24:25]
.LBB212_331:                            ;   in Loop: Header=BB212_195 Depth=1
	s_or_b64 exec, exec, s[22:23]
.LBB212_332:                            ;   in Loop: Header=BB212_195 Depth=1
	s_or_b64 exec, exec, s[20:21]
	v_cmp_ne_u16_sdwa s[0:1], v22, v17 src0_sel:BYTE_1 src1_sel:DWORD
	s_and_saveexec_b64 s[20:21], s[0:1]
	s_cbranch_execz .LBB212_338
; %bb.333:                              ;   in Loop: Header=BB212_195 Depth=1
	v_cmp_ne_u16_sdwa s[0:1], v22, s34 src0_sel:BYTE_1 src1_sel:DWORD
	v_pk_mov_b32 v[46:47], s[12:13], s[12:13] op_sel:[0,1]
	s_and_saveexec_b64 s[22:23], s[0:1]
	s_cbranch_execz .LBB212_337
; %bb.334:                              ;   in Loop: Header=BB212_195 Depth=1
	v_and_b32_sdwa v23, v22, s36 dst_sel:DWORD dst_unused:UNUSED_PAD src0_sel:BYTE_1 src1_sel:DWORD
	s_mov_b32 s10, s12
	v_cmp_ne_u32_e64 s[0:1], s36, v23
	v_pk_mov_b32 v[46:47], s[10:11], s[10:11] op_sel:[0,1]
	s_and_saveexec_b64 s[24:25], s[0:1]
	s_cbranch_execz .LBB212_336
; %bb.335:                              ;   in Loop: Header=BB212_195 Depth=1
	v_and_b32_sdwa v16, v22, v59 dst_sel:DWORD dst_unused:UNUSED_PAD src0_sel:BYTE_1 src1_sel:DWORD
	v_ffbh_u32_e32 v46, v16
	v_min_u32_e32 v49, 32, v46
	v_subrev_u32_e32 v46, 28, v49
	v_lshlrev_b64 v[46:47], v46, v[16:17]
	v_lshrrev_b32_e32 v48, 3, v23
	v_sub_u32_e32 v47, 29, v49
	v_cmp_gt_u32_e64 s[0:1], 8, v23
	v_and_b32_e32 v46, 7, v46
	v_cndmask_b32_e64 v23, v48, v47, s[0:1]
	v_cndmask_b32_e64 v16, v16, v46, s[0:1]
	v_lshlrev_b32_e32 v46, 16, v22
	v_lshl_add_u32 v23, v23, 23, v58
	v_and_or_b32 v23, v46, s13, v23
	v_lshlrev_b32_e32 v16, 20, v16
	v_or_b32_e32 v47, v23, v16
	v_mov_b32_e32 v46, v17
.LBB212_336:                            ;   in Loop: Header=BB212_195 Depth=1
	s_or_b64 exec, exec, s[24:25]
.LBB212_337:                            ;   in Loop: Header=BB212_195 Depth=1
	s_or_b64 exec, exec, s[22:23]
.LBB212_338:                            ;   in Loop: Header=BB212_195 Depth=1
	s_or_b64 exec, exec, s[20:21]
	v_lshrrev_b32_e32 v16, 16, v22
	v_pk_mov_b32 v[50:51], 0, 0
	v_cmp_ne_u16_sdwa s[0:1], v16, v17 src0_sel:BYTE_0 src1_sel:DWORD
	v_pk_mov_b32 v[48:49], v[50:51], v[50:51] op_sel:[0,1]
	s_and_saveexec_b64 s[20:21], s[0:1]
	s_cbranch_execz .LBB212_344
; %bb.339:                              ;   in Loop: Header=BB212_195 Depth=1
	v_bfrev_b32_e32 v48, 1
	v_cmp_ne_u16_sdwa s[0:1], v16, s34 src0_sel:BYTE_0 src1_sel:DWORD
	v_mov_b32_e32 v49, 0
	s_and_saveexec_b64 s[22:23], s[0:1]
	s_cbranch_execz .LBB212_343
; %bb.340:                              ;   in Loop: Header=BB212_195 Depth=1
	v_bfe_u32 v23, v22, 16, 7
	v_mov_b32_e32 v48, 0x7f800001
	v_cmp_ne_u32_e64 s[0:1], s36, v23
	v_mov_b32_e32 v49, 0
	s_and_saveexec_b64 s[24:25], s[0:1]
	s_cbranch_execz .LBB212_342
; %bb.341:                              ;   in Loop: Header=BB212_195 Depth=1
	v_and_b32_e32 v65, 7, v16
	v_ffbh_u32_e32 v48, v65
	v_min_u32_e32 v67, 32, v48
	v_subrev_u32_e32 v48, 28, v67
	v_lshlrev_b64 v[48:49], v48, v[16:17]
	v_lshrrev_b32_e32 v66, 3, v23
	v_sub_u32_e32 v49, 29, v67
	v_and_b32_e32 v48, 7, v48
	v_cmp_gt_u32_e64 s[0:1], 8, v23
	v_cndmask_b32_e64 v23, v66, v49, s[0:1]
	v_cndmask_b32_e64 v48, v65, v48, s[0:1]
	v_lshlrev_b32_e32 v48, 20, v48
	v_and_b32_sdwa v16, sext(v16), s13 dst_sel:DWORD dst_unused:UNUSED_PAD src0_sel:BYTE_0 src1_sel:DWORD
	v_lshl_add_u32 v23, v23, 23, v58
	v_or3_b32 v16, v16, v23, v48
	v_pk_mov_b32 v[48:49], v[16:17], v[16:17] op_sel:[0,1]
.LBB212_342:                            ;   in Loop: Header=BB212_195 Depth=1
	s_or_b64 exec, exec, s[24:25]
.LBB212_343:                            ;   in Loop: Header=BB212_195 Depth=1
	s_or_b64 exec, exec, s[22:23]
.LBB212_344:                            ;   in Loop: Header=BB212_195 Depth=1
	s_or_b64 exec, exec, s[20:21]
	v_cmp_lt_u32_e64 s[0:1], s37, v22
	s_and_saveexec_b64 s[20:21], s[0:1]
	s_cbranch_execz .LBB212_350
; %bb.345:                              ;   in Loop: Header=BB212_195 Depth=1
	v_cmp_ne_u32_sdwa s[0:1], v22, s34 src0_sel:BYTE_3 src1_sel:DWORD
	v_pk_mov_b32 v[50:51], s[12:13], s[12:13] op_sel:[0,1]
	s_and_saveexec_b64 s[22:23], s[0:1]
	s_cbranch_execz .LBB212_349
; %bb.346:                              ;   in Loop: Header=BB212_195 Depth=1
	v_bfe_u32 v23, v22, 24, 7
	s_mov_b32 s10, s12
	v_cmp_ne_u32_e64 s[0:1], s36, v23
	v_pk_mov_b32 v[50:51], s[10:11], s[10:11] op_sel:[0,1]
	s_and_saveexec_b64 s[24:25], s[0:1]
	s_cbranch_execz .LBB212_348
; %bb.347:                              ;   in Loop: Header=BB212_195 Depth=1
	v_and_b32_sdwa v16, v22, v59 dst_sel:DWORD dst_unused:UNUSED_PAD src0_sel:BYTE_3 src1_sel:DWORD
	v_ffbh_u32_e32 v50, v16
	v_min_u32_e32 v66, 32, v50
	v_subrev_u32_e32 v50, 28, v66
	v_lshlrev_b64 v[50:51], v50, v[16:17]
	v_lshrrev_b32_e32 v65, 3, v23
	v_sub_u32_e32 v51, 29, v66
	v_cmp_gt_u32_e64 s[0:1], 8, v23
	v_and_b32_e32 v50, 7, v50
	v_cndmask_b32_e64 v23, v65, v51, s[0:1]
	v_cndmask_b32_e64 v16, v16, v50, s[0:1]
	v_lshlrev_b32_sdwa v22, v60, v22 dst_sel:DWORD dst_unused:UNUSED_PAD src0_sel:DWORD src1_sel:BYTE_3
	v_lshl_add_u32 v23, v23, 23, v58
	v_and_or_b32 v22, v22, s13, v23
	v_lshlrev_b32_e32 v16, 20, v16
	v_or_b32_e32 v51, v22, v16
	v_mov_b32_e32 v50, v17
.LBB212_348:                            ;   in Loop: Header=BB212_195 Depth=1
	s_or_b64 exec, exec, s[24:25]
.LBB212_349:                            ;   in Loop: Header=BB212_195 Depth=1
	s_or_b64 exec, exec, s[22:23]
.LBB212_350:                            ;   in Loop: Header=BB212_195 Depth=1
	s_or_b64 exec, exec, s[20:21]
	v_or_b32_e32 v23, v47, v45
	v_or_b32_e32 v22, v46, v44
	;; [unrolled: 1-line block ×4, first 2 shown]
	v_pk_mul_f32 v[22:23], s[16:17], v[22:23]
	v_pk_mul_f32 v[44:45], s[16:17], v[44:45]
	s_and_saveexec_b64 s[0:1], vcc
	s_cbranch_execz .LBB212_193
; %bb.351:                              ;   in Loop: Header=BB212_195 Depth=1
	v_cmp_gt_i32_e32 vcc, s33, v61
	v_cndmask_b32_e32 v22, 0, v22, vcc
	v_cmp_gt_i32_e32 vcc, s33, v64
	v_cndmask_b32_e32 v23, 0, v23, vcc
	;; [unrolled: 2-line block ×4, first 2 shown]
	s_branch .LBB212_193
.LBB212_352:
	s_or_b64 exec, exec, s[6:7]
.LBB212_353:
	s_or_b64 exec, exec, s[4:5]
	ds_bpermute_b32 v8, v55, v2
	ds_bpermute_b32 v9, v55, v3
	;; [unrolled: 1-line block ×6, first 2 shown]
	s_waitcnt lgkmcnt(4)
	v_pk_add_f32 v[2:3], v[2:3], v[8:9]
	ds_bpermute_b32 v8, v54, v2
	ds_bpermute_b32 v9, v54, v3
	s_waitcnt lgkmcnt(4)
	v_pk_add_f32 v[4:5], v[4:5], v[10:11]
	s_waitcnt lgkmcnt(2)
	v_pk_add_f32 v[12:13], v[6:7], v[12:13]
	ds_bpermute_b32 v10, v54, v4
	ds_bpermute_b32 v11, v54, v5
	;; [unrolled: 1-line block ×4, first 2 shown]
	s_waitcnt lgkmcnt(4)
	v_pk_add_f32 v[6:7], v[2:3], v[8:9]
	v_and_b32_e32 v8, 0x3c3, v0
	s_waitcnt lgkmcnt(2)
	v_pk_add_f32 v[2:3], v[4:5], v[10:11]
	v_cmp_eq_u32_e32 vcc, 64, v8
	s_waitcnt lgkmcnt(0)
	v_pk_add_f32 v[4:5], v[12:13], v[14:15]
	s_barrier
	s_and_saveexec_b64 s[0:1], vcc
	s_cbranch_execz .LBB212_355
; %bb.354:
	v_add_u32_e32 v9, 0x190, v53
	ds_write2_b32 v9, v6, v7 offset1:16
	ds_write2_b32 v9, v2, v3 offset0:32 offset1:48
	ds_write2_b32 v9, v4, v5 offset0:64 offset1:80
.LBB212_355:
	s_or_b64 exec, exec, s[0:1]
	v_cmp_gt_u32_e32 vcc, 64, v0
	s_waitcnt lgkmcnt(0)
	s_barrier
	s_and_saveexec_b64 s[0:1], vcc
	s_cbranch_execz .LBB212_364
; %bb.356:
	v_cmp_eq_u32_e32 vcc, 0, v26
	s_and_saveexec_b64 s[4:5], vcc
	s_cbranch_execnz .LBB212_367
; %bb.357:
	s_or_b64 exec, exec, s[4:5]
	s_and_saveexec_b64 s[4:5], vcc
	s_cbranch_execnz .LBB212_368
.LBB212_358:
	s_or_b64 exec, exec, s[4:5]
	s_and_saveexec_b64 s[4:5], vcc
	s_cbranch_execnz .LBB212_369
.LBB212_359:
	s_or_b64 exec, exec, s[4:5]
	s_and_saveexec_b64 s[4:5], vcc
	s_cbranch_execnz .LBB212_370
.LBB212_360:
	s_or_b64 exec, exec, s[4:5]
	s_and_saveexec_b64 s[4:5], vcc
	s_cbranch_execnz .LBB212_371
.LBB212_361:
	s_or_b64 exec, exec, s[4:5]
	s_and_saveexec_b64 s[4:5], vcc
	s_cbranch_execz .LBB212_363
.LBB212_362:
	v_mov_b32_e32 v0, 0x190
	v_lshl_add_u32 v0, v27, 2, v0
	ds_read_b32 v0, v0 offset:320
	s_waitcnt lgkmcnt(0)
	v_add_f32_e32 v5, v5, v0
.LBB212_363:
	s_or_b64 exec, exec, s[4:5]
.LBB212_364:
	s_or_b64 exec, exec, s[0:1]
	v_cmp_eq_u32_e32 vcc, 0, v8
	s_barrier
	s_and_saveexec_b64 s[0:1], vcc
	s_cbranch_execz .LBB212_366
; %bb.365:
	s_mul_i32 s0, s2, 0x60
	s_ashr_i32 s1, s0, 31
	s_lshl_b64 s[0:1], s[0:1], 2
	s_add_u32 s2, s30, s0
	s_mul_i32 s0, s29, s28
	s_addc_u32 s3, s31, s1
	s_ashr_i32 s1, s0, 31
	s_lshl_b64 s[0:1], s[0:1], 2
	s_add_u32 s2, s2, s0
	s_mul_i32 s0, s8, 0x60
	s_addc_u32 s3, s3, s1
	s_ashr_i32 s1, s0, 31
	s_lshl_b64 s[0:1], s[0:1], 2
	s_add_u32 s0, s2, s0
	s_addc_u32 s1, s3, s1
	global_store_dword v1, v6, s[0:1]
	global_store_dword v1, v7, s[0:1] offset:64
	global_store_dword v1, v2, s[0:1] offset:128
	;; [unrolled: 1-line block ×5, first 2 shown]
.LBB212_366:
	s_endpgm
.LBB212_367:
	v_mov_b32_e32 v0, 0x190
	v_lshl_add_u32 v0, v27, 2, v0
	ds_read_b32 v0, v0
	s_waitcnt lgkmcnt(0)
	v_add_f32_e32 v6, v6, v0
	s_or_b64 exec, exec, s[4:5]
	s_and_saveexec_b64 s[4:5], vcc
	s_cbranch_execz .LBB212_358
.LBB212_368:
	v_mov_b32_e32 v0, 0x190
	v_lshl_add_u32 v0, v27, 2, v0
	ds_read_b32 v0, v0 offset:64
	s_waitcnt lgkmcnt(0)
	v_add_f32_e32 v7, v7, v0
	s_or_b64 exec, exec, s[4:5]
	s_and_saveexec_b64 s[4:5], vcc
	s_cbranch_execz .LBB212_359
.LBB212_369:
	v_mov_b32_e32 v0, 0x190
	v_lshl_add_u32 v0, v27, 2, v0
	ds_read_b32 v0, v0 offset:128
	s_waitcnt lgkmcnt(0)
	v_add_f32_e32 v2, v2, v0
	s_or_b64 exec, exec, s[4:5]
	s_and_saveexec_b64 s[4:5], vcc
	s_cbranch_execz .LBB212_360
.LBB212_370:
	v_mov_b32_e32 v0, 0x190
	v_lshl_add_u32 v0, v27, 2, v0
	ds_read_b32 v0, v0 offset:192
	s_waitcnt lgkmcnt(0)
	v_add_f32_e32 v3, v3, v0
	s_or_b64 exec, exec, s[4:5]
	s_and_saveexec_b64 s[4:5], vcc
	s_cbranch_execz .LBB212_361
.LBB212_371:
	v_mov_b32_e32 v0, 0x190
	v_lshl_add_u32 v0, v27, 2, v0
	ds_read_b32 v0, v0 offset:256
	s_waitcnt lgkmcnt(0)
	v_add_f32_e32 v4, v4, v0
	s_or_b64 exec, exec, s[4:5]
	s_and_saveexec_b64 s[4:5], vcc
	s_cbranch_execnz .LBB212_362
	s_branch .LBB212_363
	.section	.rodata,"a",@progbits
	.p2align	6, 0x0
	.amdhsa_kernel _ZN4vllm25paged_attention_v2_kernelIfhLi96ELi16ELi128ELNS_18Fp8KVCacheDataTypeE1ELb1ELi512EEEvPfS2_PT_PKS3_PKT0_S9_ifPKiSB_iPKfiiiSD_SD_iiiii
		.amdhsa_group_segment_fixed_size 400
		.amdhsa_private_segment_fixed_size 0
		.amdhsa_kernarg_size 400
		.amdhsa_user_sgpr_count 6
		.amdhsa_user_sgpr_private_segment_buffer 1
		.amdhsa_user_sgpr_dispatch_ptr 0
		.amdhsa_user_sgpr_queue_ptr 0
		.amdhsa_user_sgpr_kernarg_segment_ptr 1
		.amdhsa_user_sgpr_dispatch_id 0
		.amdhsa_user_sgpr_flat_scratch_init 0
		.amdhsa_user_sgpr_kernarg_preload_length 0
		.amdhsa_user_sgpr_kernarg_preload_offset 0
		.amdhsa_user_sgpr_private_segment_size 0
		.amdhsa_uses_dynamic_stack 0
		.amdhsa_system_sgpr_private_segment_wavefront_offset 0
		.amdhsa_system_sgpr_workgroup_id_x 1
		.amdhsa_system_sgpr_workgroup_id_y 1
		.amdhsa_system_sgpr_workgroup_id_z 1
		.amdhsa_system_sgpr_workgroup_info 0
		.amdhsa_system_vgpr_workitem_id 0
		.amdhsa_next_free_vgpr 82
		.amdhsa_next_free_sgpr 63
		.amdhsa_accum_offset 84
		.amdhsa_reserve_vcc 1
		.amdhsa_reserve_flat_scratch 0
		.amdhsa_float_round_mode_32 0
		.amdhsa_float_round_mode_16_64 0
		.amdhsa_float_denorm_mode_32 3
		.amdhsa_float_denorm_mode_16_64 3
		.amdhsa_dx10_clamp 1
		.amdhsa_ieee_mode 1
		.amdhsa_fp16_overflow 0
		.amdhsa_tg_split 0
		.amdhsa_exception_fp_ieee_invalid_op 0
		.amdhsa_exception_fp_denorm_src 0
		.amdhsa_exception_fp_ieee_div_zero 0
		.amdhsa_exception_fp_ieee_overflow 0
		.amdhsa_exception_fp_ieee_underflow 0
		.amdhsa_exception_fp_ieee_inexact 0
		.amdhsa_exception_int_div_zero 0
	.end_amdhsa_kernel
	.section	.text._ZN4vllm25paged_attention_v2_kernelIfhLi96ELi16ELi128ELNS_18Fp8KVCacheDataTypeE1ELb1ELi512EEEvPfS2_PT_PKS3_PKT0_S9_ifPKiSB_iPKfiiiSD_SD_iiiii,"axG",@progbits,_ZN4vllm25paged_attention_v2_kernelIfhLi96ELi16ELi128ELNS_18Fp8KVCacheDataTypeE1ELb1ELi512EEEvPfS2_PT_PKS3_PKT0_S9_ifPKiSB_iPKfiiiSD_SD_iiiii,comdat
.Lfunc_end212:
	.size	_ZN4vllm25paged_attention_v2_kernelIfhLi96ELi16ELi128ELNS_18Fp8KVCacheDataTypeE1ELb1ELi512EEEvPfS2_PT_PKS3_PKT0_S9_ifPKiSB_iPKfiiiSD_SD_iiiii, .Lfunc_end212-_ZN4vllm25paged_attention_v2_kernelIfhLi96ELi16ELi128ELNS_18Fp8KVCacheDataTypeE1ELb1ELi512EEEvPfS2_PT_PKS3_PKT0_S9_ifPKiSB_iPKfiiiSD_SD_iiiii
                                        ; -- End function
	.section	.AMDGPU.csdata,"",@progbits
; Kernel info:
; codeLenInByte = 14080
; NumSgprs: 67
; NumVgprs: 82
; NumAgprs: 0
; TotalNumVgprs: 82
; ScratchSize: 0
; MemoryBound: 0
; FloatMode: 240
; IeeeMode: 1
; LDSByteSize: 400 bytes/workgroup (compile time only)
; SGPRBlocks: 8
; VGPRBlocks: 10
; NumSGPRsForWavesPerEU: 67
; NumVGPRsForWavesPerEU: 82
; AccumOffset: 84
; Occupancy: 5
; WaveLimiterHint : 1
; COMPUTE_PGM_RSRC2:SCRATCH_EN: 0
; COMPUTE_PGM_RSRC2:USER_SGPR: 6
; COMPUTE_PGM_RSRC2:TRAP_HANDLER: 0
; COMPUTE_PGM_RSRC2:TGID_X_EN: 1
; COMPUTE_PGM_RSRC2:TGID_Y_EN: 1
; COMPUTE_PGM_RSRC2:TGID_Z_EN: 1
; COMPUTE_PGM_RSRC2:TIDIG_COMP_CNT: 0
; COMPUTE_PGM_RSRC3_GFX90A:ACCUM_OFFSET: 20
; COMPUTE_PGM_RSRC3_GFX90A:TG_SPLIT: 0
	.section	.text._ZN4vllm25paged_attention_v2_kernelIfhLi112ELi16ELi128ELNS_18Fp8KVCacheDataTypeE1ELb1ELi512EEEvPfS2_PT_PKS3_PKT0_S9_ifPKiSB_iPKfiiiSD_SD_iiiii,"axG",@progbits,_ZN4vllm25paged_attention_v2_kernelIfhLi112ELi16ELi128ELNS_18Fp8KVCacheDataTypeE1ELb1ELi512EEEvPfS2_PT_PKS3_PKT0_S9_ifPKiSB_iPKfiiiSD_SD_iiiii,comdat
	.protected	_ZN4vllm25paged_attention_v2_kernelIfhLi112ELi16ELi128ELNS_18Fp8KVCacheDataTypeE1ELb1ELi512EEEvPfS2_PT_PKS3_PKT0_S9_ifPKiSB_iPKfiiiSD_SD_iiiii ; -- Begin function _ZN4vllm25paged_attention_v2_kernelIfhLi112ELi16ELi128ELNS_18Fp8KVCacheDataTypeE1ELb1ELi512EEEvPfS2_PT_PKS3_PKT0_S9_ifPKiSB_iPKfiiiSD_SD_iiiii
	.globl	_ZN4vllm25paged_attention_v2_kernelIfhLi112ELi16ELi128ELNS_18Fp8KVCacheDataTypeE1ELb1ELi512EEEvPfS2_PT_PKS3_PKT0_S9_ifPKiSB_iPKfiiiSD_SD_iiiii
	.p2align	8
	.type	_ZN4vllm25paged_attention_v2_kernelIfhLi112ELi16ELi128ELNS_18Fp8KVCacheDataTypeE1ELb1ELi512EEEvPfS2_PT_PKS3_PKT0_S9_ifPKiSB_iPKfiiiSD_SD_iiiii,@function
_ZN4vllm25paged_attention_v2_kernelIfhLi112ELi16ELi128ELNS_18Fp8KVCacheDataTypeE1ELb1ELi512EEEvPfS2_PT_PKS3_PKT0_S9_ifPKiSB_iPKfiiiSD_SD_iiiii: ; @_ZN4vllm25paged_attention_v2_kernelIfhLi112ELi16ELi128ELNS_18Fp8KVCacheDataTypeE1ELb1ELi512EEEvPfS2_PT_PKS3_PKT0_S9_ifPKiSB_iPKfiiiSD_SD_iiiii
; %bb.0:
	s_load_dwordx2 s[0:1], s[4:5], 0x40
	s_mov_b32 s34, s7
	s_ashr_i32 s35, s7, 31
	s_lshl_b64 s[2:3], s[34:35], 2
	s_waitcnt lgkmcnt(0)
	s_add_u32 s0, s0, s2
	s_addc_u32 s1, s1, s3
	s_load_dword s33, s[0:1], 0x0
	s_lshl_b32 s55, s8, 9
	s_waitcnt lgkmcnt(0)
	s_cmp_ge_i32 s55, s33
	s_cbranch_scc1 .LBB213_417
; %bb.1:
	s_load_dword s9, s[4:5], 0x90
	s_load_dwordx2 s[42:43], s[4:5], 0x30
	s_mov_b32 s56, 0
	s_waitcnt lgkmcnt(0)
	s_abs_i32 s2, s9
	s_abs_i32 s0, s42
	v_cvt_f32_u32_e32 v1, s0
	s_sub_i32 s3, 0, s0
	s_xor_b32 s1, s9, s42
	s_ashr_i32 s1, s1, 31
	v_rcp_iflag_f32_e32 v1, v1
	v_mul_f32_e32 v1, 0x4f7ffffe, v1
	v_cvt_u32_f32_e32 v1, v1
	v_readfirstlane_b32 s7, v1
	s_mul_i32 s3, s3, s7
	s_mul_hi_u32 s3, s7, s3
	s_add_i32 s7, s7, s3
	s_mul_hi_u32 s3, s2, s7
	s_mul_i32 s7, s3, s0
	s_sub_i32 s2, s2, s7
	s_add_i32 s10, s3, 1
	s_sub_i32 s7, s2, s0
	s_cmp_ge_u32 s2, s0
	s_cselect_b32 s3, s10, s3
	s_cselect_b32 s2, s7, s2
	s_add_i32 s7, s3, 1
	s_cmp_ge_u32 s2, s0
	s_cselect_b32 s0, s7, s3
	s_xor_b32 s0, s0, s1
	s_sub_i32 s11, s0, s1
	s_abs_i32 s2, s11
	v_cvt_f32_u32_e32 v1, s2
	s_load_dwordx2 s[0:1], s[4:5], 0x50
	s_sub_i32 s7, 0, s2
	s_abs_i32 s3, s6
	v_rcp_iflag_f32_e32 v1, v1
	v_mul_f32_e32 v1, 0x4f7ffffe, v1
	v_cvt_u32_f32_e32 v1, v1
	v_readfirstlane_b32 s10, v1
	s_mul_i32 s7, s7, s10
	s_mul_hi_u32 s7, s10, s7
	s_add_i32 s10, s10, s7
	s_waitcnt lgkmcnt(0)
	s_cmp_eq_u64 s[0:1], 0
	s_mul_hi_u32 s10, s3, s10
	s_cbranch_scc1 .LBB213_3
; %bb.2:
	s_ashr_i32 s7, s6, 31
	s_lshl_b64 s[12:13], s[6:7], 2
	s_add_u32 s0, s0, s12
	s_addc_u32 s1, s1, s13
	s_load_dword s56, s[0:1], 0x0
.LBB213_3:
	s_load_dwordx4 s[12:15], s[4:5], 0x58
	v_lshrrev_b32_e32 v31, 2, v0
	s_waitcnt lgkmcnt(0)
	s_movk_i32 s15, 0x70
	s_ashr_i32 s7, s6, 31
	s_ashr_i32 s11, s11, 31
	v_and_b32_e32 v30, 3, v0
	s_mul_i32 s28, s6, 0x70
	v_cmp_gt_u32_e32 vcc, s15, v0
	v_lshlrev_b32_e32 v43, 2, v0
	v_lshlrev_b32_e32 v1, 2, v31
	s_and_saveexec_b64 s[0:1], vcc
	s_cbranch_execz .LBB213_5
; %bb.4:
	s_load_dwordx2 s[16:17], s[4:5], 0x18
	s_mul_i32 s18, s34, s12
	s_ashr_i32 s19, s18, 31
	s_lshl_b64 s[18:19], s[18:19], 2
	v_mad_u32_u24 v3, v30, s15, v1
	s_waitcnt lgkmcnt(0)
	s_add_u32 s12, s16, s18
	s_addc_u32 s18, s17, s19
	s_ashr_i32 s29, s28, 31
	s_lshl_b64 s[16:17], s[28:29], 2
	s_add_u32 s16, s12, s16
	s_addc_u32 s17, s18, s17
	global_load_dword v2, v43, s[16:17]
	s_waitcnt vmcnt(0)
	ds_write_b32 v3, v2
.LBB213_5:
	s_or_b64 exec, exec, s[0:1]
	s_mul_i32 s1, s10, s2
	s_sub_i32 s1, s3, s1
	s_xor_b32 s0, s7, s11
	s_add_i32 s3, s10, 1
	s_sub_i32 s7, s1, s2
	s_load_dwordx4 s[16:19], s[4:5], 0x78
	s_cmp_ge_u32 s1, s2
	s_cselect_b32 s3, s3, s10
	s_load_dword s10, s[4:5], 0x88
	s_cselect_b32 s1, s7, s1
	s_add_i32 s7, s3, 1
	s_cmp_ge_u32 s1, s2
	s_cselect_b32 s1, s7, s3
	s_waitcnt lgkmcnt(0)
	s_abs_i32 s35, s19
	v_cvt_f32_u32_e32 v2, s35
	s_xor_b32 s1, s1, s0
	s_sub_i32 s2, s1, s0
	s_sub_i32 s0, 0, s35
	v_rcp_iflag_f32_e32 v2, v2
	s_add_i32 s11, s33, -1
	s_abs_i32 s3, s11
	v_mul_f32_e32 v2, 0x4f7ffffe, v2
	v_cvt_u32_f32_e32 v2, v2
	s_barrier
	v_readfirstlane_b32 s52, v2
	s_mul_i32 s0, s0, s52
	s_mul_hi_u32 s0, s52, s0
	s_add_i32 s52, s52, s0
	s_cmp_lt_i32 s10, 0
	s_mul_hi_u32 s7, s3, s52
	s_cbranch_scc0 .LBB213_7
; %bb.6:
	s_mul_i32 s0, s16, s42
	s_add_i32 s0, s2, s0
	s_mul_i32 s0, s0, s10
	s_sub_i32 s42, 1, s0
	s_mov_b64 s[0:1], 0
	s_branch .LBB213_8
.LBB213_7:
	s_mov_b64 s[0:1], -1
                                        ; implicit-def: $sgpr42
.LBB213_8:
	s_load_dwordx2 s[36:37], s[4:5], 0x38
	s_ashr_i32 s11, s11, 31
	s_andn2_b64 vcc, exec, s[0:1]
	s_ashr_i32 s53, s19, 31
	s_cbranch_vccnz .LBB213_10
; %bb.9:
	s_mul_i32 s0, s9, s16
	s_add_i32 s0, s0, s6
	s_mul_i32 s0, s0, s10
	s_add_i32 s42, s0, 1
.LBB213_10:
	s_load_dwordx2 s[40:41], s[4:5], 0x28
	s_load_dword s0, s[4:5], 0x48
	s_load_dwordx4 s[24:27], s[4:5], 0x0
	s_load_dwordx2 s[30:31], s[4:5], 0x10
	s_load_dword s29, s[4:5], 0x98
	s_load_dwordx4 s[20:23], s[4:5], 0x68
	s_mul_i32 s1, s7, s35
	s_waitcnt lgkmcnt(0)
	s_mul_i32 s38, s34, s0
	s_sub_i32 s1, s3, s1
	s_ashr_i32 s39, s38, 31
	s_xor_b32 s0, s11, s53
	s_add_i32 s3, s7, 1
	s_sub_i32 s10, s1, s35
	s_cmp_ge_u32 s1, s35
	s_cselect_b32 s3, s3, s7
	s_cselect_b32 s1, s10, s1
	s_add_i32 s7, s3, 1
	s_cmp_ge_u32 s1, s35
	s_cselect_b32 s1, s7, s3
	s_xor_b32 s1, s1, s0
	s_sub_i32 s16, s1, s0
	s_add_i32 s0, s33, 15
	s_ashr_i32 s1, s0, 31
	s_lshr_b32 s1, s1, 28
	s_add_i32 s0, s0, s1
	s_lshl_b32 s12, s8, 5
	s_ashr_i32 s7, s0, 4
	s_add_i32 s0, s12, 32
	v_lshrrev_b32_e32 v44, 6, v0
	s_min_i32 s54, s0, s7
	v_or_b32_e32 v32, s12, v44
	v_cmp_gt_i32_e64 s[0:1], s54, v32
	v_mov_b32_e32 v48, 0xff7fffff
	s_mul_i32 s19, s2, s14
	v_ashrrev_i32_e32 v33, 31, v32
	v_lshl_add_u32 v58, v44, 4, s55
	v_mbcnt_lo_u32_b32 v45, -1, 0
	s_and_saveexec_b64 s[14:15], s[0:1]
	s_cbranch_execz .LBB213_188
; %bb.11:
	s_load_dwordx2 s[4:5], s[4:5], 0x20
	s_sub_i32 s57, s16, s17
	s_ashr_i32 s10, s19, 31
	v_bfe_u32 v46, v0, 2, 4
	v_lshlrev_b32_e32 v3, 4, v46
	s_waitcnt lgkmcnt(0)
	s_add_u32 s4, s4, s19
	s_addc_u32 s5, s5, s10
	s_abs_i32 s58, s18
	v_cvt_f32_u32_e32 v2, s58
	s_sub_i32 s10, 0, s58
	v_add_co_u32_e32 v34, vcc, s4, v3
	v_rcp_iflag_f32_e32 v2, v2
	v_mov_b32_e32 v4, s5
	v_addc_co_u32_e32 v35, vcc, 0, v4, vcc
	v_mul_f32_e32 v2, 0x4f7ffffe, v2
	v_cvt_u32_f32_e32 v2, v2
	v_cmp_eq_u32_e64 s[2:3], 0, v30
	s_mov_b32 s59, s13
	v_mul_u32_u24_e32 v47, 0x70, v30
	v_mul_lo_u32 v3, s10, v2
	v_mul_hi_u32 v3, v2, v3
	s_lshl_b64 s[10:11], s[38:39], 2
	v_add_u32_e32 v49, v2, v3
	v_lshlrev_b64 v[2:3], 2, v[32:33]
	s_add_u32 s10, s36, s10
	v_add_co_u32_e32 v36, vcc, s10, v2
	v_lshlrev_b32_e32 v2, 2, v46
	s_addc_u32 s11, s37, s11
	v_lshl_or_b32 v2, v44, 6, v2
	v_mov_b32_e32 v4, s11
	v_add_u32_e32 v51, 0x1d0, v2
	v_subrev_u32_e32 v2, s33, v46
	v_cmp_neq_f32_e64 s[4:5], s56, 0
	v_addc_co_u32_e32 v37, vcc, v4, v3, vcc
	v_lshl_add_u32 v50, v44, 4, s55
	v_add_u32_e32 v52, 1, v2
	s_mov_b64 s[44:45], 0
	v_mov_b32_e32 v53, 0xff7fffff
	s_movk_i32 s60, 0x80
	s_movk_i32 s61, 0x7f
	v_bfrev_b32_e32 v54, 60
	v_mbcnt_hi_u32_b32 v55, -1, v45
	v_mov_b32_e32 v48, 0xff7fffff
	v_mov_b32_e32 v56, v32
	s_branch .LBB213_14
.LBB213_12:                             ;   in Loop: Header=BB213_14 Depth=1
	s_or_b64 exec, exec, s[46:47]
.LBB213_13:                             ;   in Loop: Header=BB213_14 Depth=1
	s_or_b64 exec, exec, s[10:11]
	v_add_co_u32_e32 v36, vcc, 8, v36
	v_add_u32_e32 v56, 2, v56
	v_addc_co_u32_e32 v37, vcc, 0, v37, vcc
	v_cmp_le_i32_e32 vcc, s54, v56
	v_add_u32_e32 v50, 32, v50
	s_or_b64 s[44:45], vcc, s[44:45]
	v_add_u32_e32 v51, 0x80, v51
	s_andn2_b64 exec, exec, s[44:45]
	s_cbranch_execz .LBB213_187
.LBB213_14:                             ; =>This Inner Loop Header: Depth=1
	s_waitcnt lgkmcnt(0)
	v_sub_u32_e32 v3, 0, v50
	v_max_i32_e32 v3, v50, v3
	v_mul_hi_u32 v4, v3, s52
	v_mul_lo_u32 v5, v4, s35
	v_sub_u32_e32 v3, v3, v5
	v_add_u32_e32 v5, 1, v4
	v_cmp_le_u32_e32 vcc, s35, v3
	v_cndmask_b32_e32 v4, v4, v5, vcc
	v_subrev_u32_e32 v5, s35, v3
	v_cndmask_b32_e32 v3, v3, v5, vcc
	v_ashrrev_i32_e32 v2, 31, v50
	v_add_u32_e32 v5, 1, v4
	v_cmp_le_u32_e32 vcc, s35, v3
	v_xor_b32_e32 v2, s53, v2
	v_cndmask_b32_e32 v3, v4, v5, vcc
	v_xor_b32_e32 v3, v3, v2
	v_sub_u32_e32 v2, v3, v2
	v_add_u32_e32 v3, s42, v2
	v_sub_u32_e32 v5, 0, v3
	v_ashrrev_i32_e32 v4, 31, v3
	v_max_i32_e32 v3, v3, v5
	v_mul_hi_u32 v5, v3, v49
	v_mul_lo_u32 v5, v5, s58
	v_sub_u32_e32 v3, v3, v5
	v_subrev_u32_e32 v5, s58, v3
	v_cmp_le_u32_e32 vcc, s58, v3
	v_cndmask_b32_e32 v3, v3, v5, vcc
	v_subrev_u32_e32 v5, s58, v3
	v_cmp_le_u32_e32 vcc, s58, v3
	v_cndmask_b32_e32 v3, v3, v5, vcc
	v_xor_b32_e32 v3, v3, v4
	v_sub_u32_e32 v3, v3, v4
	v_cmp_ne_u32_e32 vcc, 0, v3
	v_cmp_ge_i32_e64 s[10:11], s57, v2
	s_and_b64 s[10:11], vcc, s[10:11]
	s_and_b64 s[48:49], s[2:3], s[10:11]
	s_and_saveexec_b64 s[46:47], s[48:49]
	s_cbranch_execz .LBB213_16
; %bb.15:                               ;   in Loop: Header=BB213_14 Depth=1
	ds_write_b32 v51, v53
.LBB213_16:                             ;   in Loop: Header=BB213_14 Depth=1
	s_or_b64 exec, exec, s[46:47]
	s_xor_b64 s[46:47], s[10:11], -1
	s_and_saveexec_b64 s[10:11], s[46:47]
	s_cbranch_execz .LBB213_13
; %bb.17:                               ;   in Loop: Header=BB213_14 Depth=1
	global_load_dword v2, v[36:37], off
	v_mov_b32_e32 v57, 0
	v_mov_b32_e32 v59, 0
	s_waitcnt vmcnt(0)
	v_mad_i64_i32 v[2:3], s[46:47], v2, s59, v[34:35]
	v_add_co_u32_e32 v38, vcc, v2, v30
	v_addc_co_u32_e32 v39, vcc, 0, v3, vcc
	global_load_ubyte v41, v[38:39], off
	ds_read_b128 v[26:29], v47
	ds_read_b128 v[22:25], v47 offset:16
	ds_read_b128 v[18:21], v47 offset:32
	;; [unrolled: 1-line block ×6, first 2 shown]
	s_load_dword s62, s[20:21], 0x0
	s_waitcnt vmcnt(0)
	v_cmp_ne_u16_e32 vcc, 0, v41
	s_and_saveexec_b64 s[46:47], vcc
	s_cbranch_execz .LBB213_23
; %bb.18:                               ;   in Loop: Header=BB213_14 Depth=1
	v_cmp_ne_u16_e32 vcc, s60, v41
	v_bfrev_b32_e32 v59, 1
	s_and_saveexec_b64 s[48:49], vcc
	s_cbranch_execz .LBB213_22
; %bb.19:                               ;   in Loop: Header=BB213_14 Depth=1
	v_and_b32_e32 v40, 0xffff, v41
	v_and_b32_e32 v42, 0x7f, v40
	v_cmp_ne_u32_e32 vcc, s61, v42
	v_mov_b32_e32 v59, 0x7f800001
	s_and_saveexec_b64 s[50:51], vcc
	s_cbranch_execz .LBB213_21
; %bb.20:                               ;   in Loop: Header=BB213_14 Depth=1
	v_and_b32_e32 v59, 7, v40
	v_ffbh_u32_e32 v60, v59
	v_min_u32_e32 v63, 32, v60
	v_subrev_u32_e32 v60, 28, v63
	v_lshlrev_b64 v[60:61], v60, v[40:41]
	v_lshrrev_b32_e32 v62, 3, v42
	v_sub_u32_e32 v40, 29, v63
	v_and_b32_e32 v60, 7, v60
	v_cmp_gt_u32_e32 vcc, 8, v42
	v_cndmask_b32_e32 v40, v62, v40, vcc
	v_cndmask_b32_e32 v42, v59, v60, vcc
	v_lshlrev_b32_e32 v41, 24, v41
	v_lshlrev_b32_e32 v42, 20, v42
	v_and_b32_e32 v41, 0x80000000, v41
	v_lshl_add_u32 v40, v40, 23, v54
	v_or3_b32 v59, v41, v40, v42
.LBB213_21:                             ;   in Loop: Header=BB213_14 Depth=1
	s_or_b64 exec, exec, s[50:51]
.LBB213_22:                             ;   in Loop: Header=BB213_14 Depth=1
	s_or_b64 exec, exec, s[48:49]
.LBB213_23:                             ;   in Loop: Header=BB213_14 Depth=1
	s_or_b64 exec, exec, s[46:47]
	global_load_ubyte v41, v[38:39], off offset:4
	s_waitcnt vmcnt(0)
	v_cmp_ne_u16_e32 vcc, 0, v41
	s_and_saveexec_b64 s[46:47], vcc
	s_cbranch_execz .LBB213_29
; %bb.24:                               ;   in Loop: Header=BB213_14 Depth=1
	v_cmp_ne_u16_e32 vcc, s60, v41
	v_bfrev_b32_e32 v57, 1
	s_and_saveexec_b64 s[48:49], vcc
	s_cbranch_execz .LBB213_28
; %bb.25:                               ;   in Loop: Header=BB213_14 Depth=1
	v_and_b32_e32 v40, 0xffff, v41
	v_and_b32_e32 v42, 0x7f, v40
	v_cmp_ne_u32_e32 vcc, s61, v42
	v_mov_b32_e32 v57, 0x7f800001
	s_and_saveexec_b64 s[50:51], vcc
	s_cbranch_execz .LBB213_27
; %bb.26:                               ;   in Loop: Header=BB213_14 Depth=1
	v_and_b32_e32 v57, 7, v40
	v_ffbh_u32_e32 v60, v57
	v_min_u32_e32 v63, 32, v60
	v_subrev_u32_e32 v60, 28, v63
	v_lshlrev_b64 v[60:61], v60, v[40:41]
	v_lshrrev_b32_e32 v62, 3, v42
	v_sub_u32_e32 v40, 29, v63
	v_and_b32_e32 v60, 7, v60
	v_cmp_gt_u32_e32 vcc, 8, v42
	v_cndmask_b32_e32 v40, v62, v40, vcc
	v_cndmask_b32_e32 v42, v57, v60, vcc
	v_lshlrev_b32_e32 v41, 24, v41
	v_lshlrev_b32_e32 v42, 20, v42
	v_and_b32_e32 v41, 0x80000000, v41
	v_lshl_add_u32 v40, v40, 23, v54
	v_or3_b32 v57, v41, v40, v42
.LBB213_27:                             ;   in Loop: Header=BB213_14 Depth=1
	s_or_b64 exec, exec, s[50:51]
.LBB213_28:                             ;   in Loop: Header=BB213_14 Depth=1
	s_or_b64 exec, exec, s[48:49]
.LBB213_29:                             ;   in Loop: Header=BB213_14 Depth=1
	s_or_b64 exec, exec, s[46:47]
	global_load_ubyte v41, v[38:39], off offset:8
	v_mov_b32_e32 v60, 0
	v_mov_b32_e32 v61, 0
	s_waitcnt vmcnt(0)
	v_cmp_ne_u16_e32 vcc, 0, v41
	s_and_saveexec_b64 s[46:47], vcc
	s_cbranch_execz .LBB213_35
; %bb.30:                               ;   in Loop: Header=BB213_14 Depth=1
	v_cmp_ne_u16_e32 vcc, s60, v41
	v_bfrev_b32_e32 v61, 1
	s_and_saveexec_b64 s[48:49], vcc
	s_cbranch_execz .LBB213_34
; %bb.31:                               ;   in Loop: Header=BB213_14 Depth=1
	v_and_b32_e32 v40, 0xffff, v41
	v_and_b32_e32 v42, 0x7f, v40
	v_cmp_ne_u32_e32 vcc, s61, v42
	v_mov_b32_e32 v61, 0x7f800001
	s_and_saveexec_b64 s[50:51], vcc
	s_cbranch_execz .LBB213_33
; %bb.32:                               ;   in Loop: Header=BB213_14 Depth=1
	v_and_b32_e32 v61, 7, v40
	v_ffbh_u32_e32 v62, v61
	v_min_u32_e32 v65, 32, v62
	v_subrev_u32_e32 v62, 28, v65
	v_lshlrev_b64 v[62:63], v62, v[40:41]
	v_lshrrev_b32_e32 v64, 3, v42
	v_sub_u32_e32 v40, 29, v65
	v_and_b32_e32 v62, 7, v62
	v_cmp_gt_u32_e32 vcc, 8, v42
	v_cndmask_b32_e32 v40, v64, v40, vcc
	v_cndmask_b32_e32 v42, v61, v62, vcc
	v_lshlrev_b32_e32 v41, 24, v41
	v_lshlrev_b32_e32 v42, 20, v42
	v_and_b32_e32 v41, 0x80000000, v41
	v_lshl_add_u32 v40, v40, 23, v54
	v_or3_b32 v61, v41, v40, v42
.LBB213_33:                             ;   in Loop: Header=BB213_14 Depth=1
	s_or_b64 exec, exec, s[50:51]
.LBB213_34:                             ;   in Loop: Header=BB213_14 Depth=1
	s_or_b64 exec, exec, s[48:49]
.LBB213_35:                             ;   in Loop: Header=BB213_14 Depth=1
	s_or_b64 exec, exec, s[46:47]
	global_load_ubyte v41, v[38:39], off offset:12
	s_waitcnt vmcnt(0)
	v_cmp_ne_u16_e32 vcc, 0, v41
	s_and_saveexec_b64 s[46:47], vcc
	s_cbranch_execz .LBB213_41
; %bb.36:                               ;   in Loop: Header=BB213_14 Depth=1
	v_cmp_ne_u16_e32 vcc, s60, v41
	v_bfrev_b32_e32 v60, 1
	s_and_saveexec_b64 s[48:49], vcc
	s_cbranch_execz .LBB213_40
; %bb.37:                               ;   in Loop: Header=BB213_14 Depth=1
	v_and_b32_e32 v40, 0xffff, v41
	v_and_b32_e32 v42, 0x7f, v40
	v_cmp_ne_u32_e32 vcc, s61, v42
	v_mov_b32_e32 v60, 0x7f800001
	s_and_saveexec_b64 s[50:51], vcc
	s_cbranch_execz .LBB213_39
; %bb.38:                               ;   in Loop: Header=BB213_14 Depth=1
	v_and_b32_e32 v60, 7, v40
	v_ffbh_u32_e32 v62, v60
	v_min_u32_e32 v65, 32, v62
	v_subrev_u32_e32 v62, 28, v65
	v_lshlrev_b64 v[62:63], v62, v[40:41]
	v_lshrrev_b32_e32 v64, 3, v42
	v_sub_u32_e32 v40, 29, v65
	v_and_b32_e32 v62, 7, v62
	v_cmp_gt_u32_e32 vcc, 8, v42
	v_cndmask_b32_e32 v40, v64, v40, vcc
	v_cndmask_b32_e32 v42, v60, v62, vcc
	v_lshlrev_b32_e32 v41, 24, v41
	v_lshlrev_b32_e32 v42, 20, v42
	v_and_b32_e32 v41, 0x80000000, v41
	v_lshl_add_u32 v40, v40, 23, v54
	v_or3_b32 v60, v41, v40, v42
.LBB213_39:                             ;   in Loop: Header=BB213_14 Depth=1
	s_or_b64 exec, exec, s[50:51]
.LBB213_40:                             ;   in Loop: Header=BB213_14 Depth=1
	s_or_b64 exec, exec, s[48:49]
.LBB213_41:                             ;   in Loop: Header=BB213_14 Depth=1
	s_or_b64 exec, exec, s[46:47]
	global_load_ubyte v41, v[38:39], off offset:256
	v_mov_b32_e32 v62, 0
	v_mov_b32_e32 v63, 0
	s_waitcnt vmcnt(0)
	v_cmp_ne_u16_e32 vcc, 0, v41
	s_and_saveexec_b64 s[46:47], vcc
	s_cbranch_execz .LBB213_47
; %bb.42:                               ;   in Loop: Header=BB213_14 Depth=1
	v_cmp_ne_u16_e32 vcc, s60, v41
	v_bfrev_b32_e32 v63, 1
	s_and_saveexec_b64 s[48:49], vcc
	s_cbranch_execz .LBB213_46
; %bb.43:                               ;   in Loop: Header=BB213_14 Depth=1
	v_and_b32_e32 v40, 0xffff, v41
	v_and_b32_e32 v42, 0x7f, v40
	v_cmp_ne_u32_e32 vcc, s61, v42
	v_mov_b32_e32 v63, 0x7f800001
	s_and_saveexec_b64 s[50:51], vcc
	s_cbranch_execz .LBB213_45
; %bb.44:                               ;   in Loop: Header=BB213_14 Depth=1
	v_and_b32_e32 v63, 7, v40
	v_ffbh_u32_e32 v64, v63
	v_min_u32_e32 v67, 32, v64
	v_subrev_u32_e32 v64, 28, v67
	v_lshlrev_b64 v[64:65], v64, v[40:41]
	v_lshrrev_b32_e32 v66, 3, v42
	v_sub_u32_e32 v40, 29, v67
	v_and_b32_e32 v64, 7, v64
	v_cmp_gt_u32_e32 vcc, 8, v42
	v_cndmask_b32_e32 v40, v66, v40, vcc
	v_cndmask_b32_e32 v42, v63, v64, vcc
	v_lshlrev_b32_e32 v41, 24, v41
	v_lshlrev_b32_e32 v42, 20, v42
	v_and_b32_e32 v41, 0x80000000, v41
	v_lshl_add_u32 v40, v40, 23, v54
	v_or3_b32 v63, v41, v40, v42
.LBB213_45:                             ;   in Loop: Header=BB213_14 Depth=1
	s_or_b64 exec, exec, s[50:51]
.LBB213_46:                             ;   in Loop: Header=BB213_14 Depth=1
	s_or_b64 exec, exec, s[48:49]
.LBB213_47:                             ;   in Loop: Header=BB213_14 Depth=1
	s_or_b64 exec, exec, s[46:47]
	global_load_ubyte v41, v[38:39], off offset:260
	s_waitcnt vmcnt(0)
	v_cmp_ne_u16_e32 vcc, 0, v41
	s_and_saveexec_b64 s[46:47], vcc
	s_cbranch_execz .LBB213_53
; %bb.48:                               ;   in Loop: Header=BB213_14 Depth=1
	v_cmp_ne_u16_e32 vcc, s60, v41
	v_bfrev_b32_e32 v62, 1
	s_and_saveexec_b64 s[48:49], vcc
	s_cbranch_execz .LBB213_52
; %bb.49:                               ;   in Loop: Header=BB213_14 Depth=1
	v_and_b32_e32 v40, 0xffff, v41
	v_and_b32_e32 v42, 0x7f, v40
	v_cmp_ne_u32_e32 vcc, s61, v42
	v_mov_b32_e32 v62, 0x7f800001
	s_and_saveexec_b64 s[50:51], vcc
	s_cbranch_execz .LBB213_51
; %bb.50:                               ;   in Loop: Header=BB213_14 Depth=1
	v_and_b32_e32 v62, 7, v40
	v_ffbh_u32_e32 v64, v62
	v_min_u32_e32 v67, 32, v64
	v_subrev_u32_e32 v64, 28, v67
	v_lshlrev_b64 v[64:65], v64, v[40:41]
	v_lshrrev_b32_e32 v66, 3, v42
	v_sub_u32_e32 v40, 29, v67
	v_and_b32_e32 v64, 7, v64
	v_cmp_gt_u32_e32 vcc, 8, v42
	v_cndmask_b32_e32 v40, v66, v40, vcc
	v_cndmask_b32_e32 v42, v62, v64, vcc
	v_lshlrev_b32_e32 v41, 24, v41
	v_lshlrev_b32_e32 v42, 20, v42
	v_and_b32_e32 v41, 0x80000000, v41
	v_lshl_add_u32 v40, v40, 23, v54
	v_or3_b32 v62, v41, v40, v42
.LBB213_51:                             ;   in Loop: Header=BB213_14 Depth=1
	s_or_b64 exec, exec, s[50:51]
.LBB213_52:                             ;   in Loop: Header=BB213_14 Depth=1
	s_or_b64 exec, exec, s[48:49]
.LBB213_53:                             ;   in Loop: Header=BB213_14 Depth=1
	s_or_b64 exec, exec, s[46:47]
	v_add_co_u32_e32 v40, vcc, 0x100, v38
	v_addc_co_u32_e32 v41, vcc, 0, v39, vcc
	global_load_ubyte v66, v[40:41], off offset:8
	v_mov_b32_e32 v64, 0
	v_mov_b32_e32 v65, 0
	s_waitcnt vmcnt(0)
	v_cmp_ne_u16_e32 vcc, 0, v66
	s_and_saveexec_b64 s[46:47], vcc
	s_cbranch_execz .LBB213_59
; %bb.54:                               ;   in Loop: Header=BB213_14 Depth=1
	v_cmp_ne_u16_e32 vcc, s60, v66
	v_bfrev_b32_e32 v65, 1
	s_and_saveexec_b64 s[48:49], vcc
	s_cbranch_execz .LBB213_58
; %bb.55:                               ;   in Loop: Header=BB213_14 Depth=1
	v_and_b32_e32 v42, 0xffff, v66
	v_and_b32_e32 v67, 0x7f, v42
	v_cmp_ne_u32_e32 vcc, s61, v67
	v_mov_b32_e32 v65, 0x7f800001
	s_and_saveexec_b64 s[50:51], vcc
	s_cbranch_execz .LBB213_57
; %bb.56:                               ;   in Loop: Header=BB213_14 Depth=1
	v_and_b32_e32 v65, 7, v42
	v_ffbh_u32_e32 v68, v65
	v_min_u32_e32 v71, 32, v68
	v_subrev_u32_e32 v68, 28, v71
	v_lshlrev_b64 v[68:69], v68, v[42:43]
	v_lshrrev_b32_e32 v70, 3, v67
	v_sub_u32_e32 v42, 29, v71
	v_and_b32_e32 v68, 7, v68
	v_cmp_gt_u32_e32 vcc, 8, v67
	v_cndmask_b32_e32 v42, v70, v42, vcc
	v_cndmask_b32_e32 v65, v65, v68, vcc
	v_lshlrev_b32_e32 v66, 24, v66
	v_lshlrev_b32_e32 v65, 20, v65
	v_and_b32_e32 v66, 0x80000000, v66
	v_lshl_add_u32 v42, v42, 23, v54
	v_or3_b32 v65, v66, v42, v65
.LBB213_57:                             ;   in Loop: Header=BB213_14 Depth=1
	s_or_b64 exec, exec, s[50:51]
.LBB213_58:                             ;   in Loop: Header=BB213_14 Depth=1
	s_or_b64 exec, exec, s[48:49]
.LBB213_59:                             ;   in Loop: Header=BB213_14 Depth=1
	s_or_b64 exec, exec, s[46:47]
	global_load_ubyte v41, v[40:41], off offset:12
	s_waitcnt vmcnt(0)
	v_cmp_ne_u16_e32 vcc, 0, v41
	s_and_saveexec_b64 s[46:47], vcc
	s_cbranch_execz .LBB213_65
; %bb.60:                               ;   in Loop: Header=BB213_14 Depth=1
	v_cmp_ne_u16_e32 vcc, s60, v41
	v_bfrev_b32_e32 v64, 1
	s_and_saveexec_b64 s[48:49], vcc
	s_cbranch_execz .LBB213_64
; %bb.61:                               ;   in Loop: Header=BB213_14 Depth=1
	v_and_b32_e32 v40, 0xffff, v41
	v_and_b32_e32 v42, 0x7f, v40
	v_cmp_ne_u32_e32 vcc, s61, v42
	v_mov_b32_e32 v64, 0x7f800001
	s_and_saveexec_b64 s[50:51], vcc
	s_cbranch_execz .LBB213_63
; %bb.62:                               ;   in Loop: Header=BB213_14 Depth=1
	v_and_b32_e32 v64, 7, v40
	v_ffbh_u32_e32 v66, v64
	v_min_u32_e32 v69, 32, v66
	v_subrev_u32_e32 v66, 28, v69
	v_lshlrev_b64 v[66:67], v66, v[40:41]
	v_lshrrev_b32_e32 v68, 3, v42
	v_sub_u32_e32 v40, 29, v69
	v_and_b32_e32 v66, 7, v66
	v_cmp_gt_u32_e32 vcc, 8, v42
	v_cndmask_b32_e32 v40, v68, v40, vcc
	v_cndmask_b32_e32 v42, v64, v66, vcc
	v_lshlrev_b32_e32 v41, 24, v41
	v_lshlrev_b32_e32 v42, 20, v42
	v_and_b32_e32 v41, 0x80000000, v41
	v_lshl_add_u32 v40, v40, 23, v54
	v_or3_b32 v64, v41, v40, v42
.LBB213_63:                             ;   in Loop: Header=BB213_14 Depth=1
	s_or_b64 exec, exec, s[50:51]
.LBB213_64:                             ;   in Loop: Header=BB213_14 Depth=1
	s_or_b64 exec, exec, s[48:49]
.LBB213_65:                             ;   in Loop: Header=BB213_14 Depth=1
	s_or_b64 exec, exec, s[46:47]
	global_load_ubyte v41, v[38:39], off offset:512
	v_mov_b32_e32 v66, 0
	v_mov_b32_e32 v67, 0
	s_waitcnt vmcnt(0)
	v_cmp_ne_u16_e32 vcc, 0, v41
	s_and_saveexec_b64 s[46:47], vcc
	s_cbranch_execz .LBB213_71
; %bb.66:                               ;   in Loop: Header=BB213_14 Depth=1
	v_cmp_ne_u16_e32 vcc, s60, v41
	v_bfrev_b32_e32 v67, 1
	s_and_saveexec_b64 s[48:49], vcc
	s_cbranch_execz .LBB213_70
; %bb.67:                               ;   in Loop: Header=BB213_14 Depth=1
	v_and_b32_e32 v40, 0xffff, v41
	v_and_b32_e32 v42, 0x7f, v40
	v_cmp_ne_u32_e32 vcc, s61, v42
	v_mov_b32_e32 v67, 0x7f800001
	s_and_saveexec_b64 s[50:51], vcc
	s_cbranch_execz .LBB213_69
; %bb.68:                               ;   in Loop: Header=BB213_14 Depth=1
	v_and_b32_e32 v67, 7, v40
	v_ffbh_u32_e32 v68, v67
	v_min_u32_e32 v71, 32, v68
	v_subrev_u32_e32 v68, 28, v71
	v_lshlrev_b64 v[68:69], v68, v[40:41]
	v_lshrrev_b32_e32 v70, 3, v42
	v_sub_u32_e32 v40, 29, v71
	v_and_b32_e32 v68, 7, v68
	v_cmp_gt_u32_e32 vcc, 8, v42
	v_cndmask_b32_e32 v40, v70, v40, vcc
	v_cndmask_b32_e32 v42, v67, v68, vcc
	v_lshlrev_b32_e32 v41, 24, v41
	v_lshlrev_b32_e32 v42, 20, v42
	v_and_b32_e32 v41, 0x80000000, v41
	v_lshl_add_u32 v40, v40, 23, v54
	v_or3_b32 v67, v41, v40, v42
.LBB213_69:                             ;   in Loop: Header=BB213_14 Depth=1
	s_or_b64 exec, exec, s[50:51]
.LBB213_70:                             ;   in Loop: Header=BB213_14 Depth=1
	s_or_b64 exec, exec, s[48:49]
.LBB213_71:                             ;   in Loop: Header=BB213_14 Depth=1
	s_or_b64 exec, exec, s[46:47]
	global_load_ubyte v41, v[38:39], off offset:516
	s_waitcnt vmcnt(0)
	v_cmp_ne_u16_e32 vcc, 0, v41
	s_and_saveexec_b64 s[46:47], vcc
	s_cbranch_execz .LBB213_77
; %bb.72:                               ;   in Loop: Header=BB213_14 Depth=1
	v_cmp_ne_u16_e32 vcc, s60, v41
	v_bfrev_b32_e32 v66, 1
	s_and_saveexec_b64 s[48:49], vcc
	s_cbranch_execz .LBB213_76
; %bb.73:                               ;   in Loop: Header=BB213_14 Depth=1
	v_and_b32_e32 v40, 0xffff, v41
	v_and_b32_e32 v42, 0x7f, v40
	v_cmp_ne_u32_e32 vcc, s61, v42
	v_mov_b32_e32 v66, 0x7f800001
	s_and_saveexec_b64 s[50:51], vcc
	s_cbranch_execz .LBB213_75
; %bb.74:                               ;   in Loop: Header=BB213_14 Depth=1
	v_and_b32_e32 v66, 7, v40
	v_ffbh_u32_e32 v68, v66
	v_min_u32_e32 v71, 32, v68
	v_subrev_u32_e32 v68, 28, v71
	v_lshlrev_b64 v[68:69], v68, v[40:41]
	v_lshrrev_b32_e32 v70, 3, v42
	v_sub_u32_e32 v40, 29, v71
	v_and_b32_e32 v68, 7, v68
	v_cmp_gt_u32_e32 vcc, 8, v42
	v_cndmask_b32_e32 v40, v70, v40, vcc
	v_cndmask_b32_e32 v42, v66, v68, vcc
	v_lshlrev_b32_e32 v41, 24, v41
	v_lshlrev_b32_e32 v42, 20, v42
	v_and_b32_e32 v41, 0x80000000, v41
	v_lshl_add_u32 v40, v40, 23, v54
	v_or3_b32 v66, v41, v40, v42
.LBB213_75:                             ;   in Loop: Header=BB213_14 Depth=1
	s_or_b64 exec, exec, s[50:51]
.LBB213_76:                             ;   in Loop: Header=BB213_14 Depth=1
	s_or_b64 exec, exec, s[48:49]
.LBB213_77:                             ;   in Loop: Header=BB213_14 Depth=1
	s_or_b64 exec, exec, s[46:47]
	v_add_co_u32_e32 v40, vcc, 0x200, v38
	v_addc_co_u32_e32 v41, vcc, 0, v39, vcc
	global_load_ubyte v70, v[40:41], off offset:8
	v_mov_b32_e32 v68, 0
	v_mov_b32_e32 v69, 0
	s_waitcnt vmcnt(0)
	v_cmp_ne_u16_e32 vcc, 0, v70
	s_and_saveexec_b64 s[46:47], vcc
	s_cbranch_execz .LBB213_83
; %bb.78:                               ;   in Loop: Header=BB213_14 Depth=1
	v_cmp_ne_u16_e32 vcc, s60, v70
	v_bfrev_b32_e32 v69, 1
	s_and_saveexec_b64 s[48:49], vcc
	s_cbranch_execz .LBB213_82
; %bb.79:                               ;   in Loop: Header=BB213_14 Depth=1
	v_and_b32_e32 v42, 0xffff, v70
	v_and_b32_e32 v71, 0x7f, v42
	v_cmp_ne_u32_e32 vcc, s61, v71
	v_mov_b32_e32 v69, 0x7f800001
	s_and_saveexec_b64 s[50:51], vcc
	s_cbranch_execz .LBB213_81
; %bb.80:                               ;   in Loop: Header=BB213_14 Depth=1
	v_and_b32_e32 v69, 7, v42
	v_ffbh_u32_e32 v72, v69
	v_min_u32_e32 v75, 32, v72
	v_subrev_u32_e32 v72, 28, v75
	v_lshlrev_b64 v[72:73], v72, v[42:43]
	v_lshrrev_b32_e32 v74, 3, v71
	v_sub_u32_e32 v42, 29, v75
	v_and_b32_e32 v72, 7, v72
	v_cmp_gt_u32_e32 vcc, 8, v71
	v_cndmask_b32_e32 v42, v74, v42, vcc
	v_cndmask_b32_e32 v69, v69, v72, vcc
	v_lshlrev_b32_e32 v70, 24, v70
	v_lshlrev_b32_e32 v69, 20, v69
	v_and_b32_e32 v70, 0x80000000, v70
	v_lshl_add_u32 v42, v42, 23, v54
	v_or3_b32 v69, v70, v42, v69
.LBB213_81:                             ;   in Loop: Header=BB213_14 Depth=1
	s_or_b64 exec, exec, s[50:51]
.LBB213_82:                             ;   in Loop: Header=BB213_14 Depth=1
	s_or_b64 exec, exec, s[48:49]
.LBB213_83:                             ;   in Loop: Header=BB213_14 Depth=1
	s_or_b64 exec, exec, s[46:47]
	global_load_ubyte v41, v[40:41], off offset:12
	s_waitcnt vmcnt(0)
	v_cmp_ne_u16_e32 vcc, 0, v41
	s_and_saveexec_b64 s[46:47], vcc
	s_cbranch_execz .LBB213_89
; %bb.84:                               ;   in Loop: Header=BB213_14 Depth=1
	v_cmp_ne_u16_e32 vcc, s60, v41
	v_bfrev_b32_e32 v68, 1
	s_and_saveexec_b64 s[48:49], vcc
	s_cbranch_execz .LBB213_88
; %bb.85:                               ;   in Loop: Header=BB213_14 Depth=1
	v_and_b32_e32 v40, 0xffff, v41
	v_and_b32_e32 v42, 0x7f, v40
	v_cmp_ne_u32_e32 vcc, s61, v42
	v_mov_b32_e32 v68, 0x7f800001
	s_and_saveexec_b64 s[50:51], vcc
	s_cbranch_execz .LBB213_87
; %bb.86:                               ;   in Loop: Header=BB213_14 Depth=1
	v_and_b32_e32 v68, 7, v40
	v_ffbh_u32_e32 v70, v68
	v_min_u32_e32 v73, 32, v70
	v_subrev_u32_e32 v70, 28, v73
	v_lshlrev_b64 v[70:71], v70, v[40:41]
	v_lshrrev_b32_e32 v72, 3, v42
	v_sub_u32_e32 v40, 29, v73
	v_and_b32_e32 v70, 7, v70
	v_cmp_gt_u32_e32 vcc, 8, v42
	v_cndmask_b32_e32 v40, v72, v40, vcc
	v_cndmask_b32_e32 v42, v68, v70, vcc
	v_lshlrev_b32_e32 v41, 24, v41
	v_lshlrev_b32_e32 v42, 20, v42
	v_and_b32_e32 v41, 0x80000000, v41
	v_lshl_add_u32 v40, v40, 23, v54
	v_or3_b32 v68, v41, v40, v42
.LBB213_87:                             ;   in Loop: Header=BB213_14 Depth=1
	s_or_b64 exec, exec, s[50:51]
.LBB213_88:                             ;   in Loop: Header=BB213_14 Depth=1
	s_or_b64 exec, exec, s[48:49]
.LBB213_89:                             ;   in Loop: Header=BB213_14 Depth=1
	s_or_b64 exec, exec, s[46:47]
	global_load_ubyte v41, v[38:39], off offset:768
	v_mov_b32_e32 v70, 0
	v_mov_b32_e32 v71, 0
	s_waitcnt vmcnt(0)
	v_cmp_ne_u16_e32 vcc, 0, v41
	s_and_saveexec_b64 s[46:47], vcc
	s_cbranch_execz .LBB213_95
; %bb.90:                               ;   in Loop: Header=BB213_14 Depth=1
	v_cmp_ne_u16_e32 vcc, s60, v41
	v_bfrev_b32_e32 v71, 1
	s_and_saveexec_b64 s[48:49], vcc
	s_cbranch_execz .LBB213_94
; %bb.91:                               ;   in Loop: Header=BB213_14 Depth=1
	v_and_b32_e32 v40, 0xffff, v41
	v_and_b32_e32 v42, 0x7f, v40
	v_cmp_ne_u32_e32 vcc, s61, v42
	v_mov_b32_e32 v71, 0x7f800001
	s_and_saveexec_b64 s[50:51], vcc
	s_cbranch_execz .LBB213_93
; %bb.92:                               ;   in Loop: Header=BB213_14 Depth=1
	v_and_b32_e32 v71, 7, v40
	v_ffbh_u32_e32 v72, v71
	v_min_u32_e32 v75, 32, v72
	v_subrev_u32_e32 v72, 28, v75
	v_lshlrev_b64 v[72:73], v72, v[40:41]
	v_lshrrev_b32_e32 v74, 3, v42
	v_sub_u32_e32 v40, 29, v75
	v_and_b32_e32 v72, 7, v72
	v_cmp_gt_u32_e32 vcc, 8, v42
	v_cndmask_b32_e32 v40, v74, v40, vcc
	v_cndmask_b32_e32 v42, v71, v72, vcc
	v_lshlrev_b32_e32 v41, 24, v41
	v_lshlrev_b32_e32 v42, 20, v42
	v_and_b32_e32 v41, 0x80000000, v41
	v_lshl_add_u32 v40, v40, 23, v54
	v_or3_b32 v71, v41, v40, v42
.LBB213_93:                             ;   in Loop: Header=BB213_14 Depth=1
	s_or_b64 exec, exec, s[50:51]
.LBB213_94:                             ;   in Loop: Header=BB213_14 Depth=1
	s_or_b64 exec, exec, s[48:49]
.LBB213_95:                             ;   in Loop: Header=BB213_14 Depth=1
	s_or_b64 exec, exec, s[46:47]
	global_load_ubyte v41, v[38:39], off offset:772
	s_waitcnt vmcnt(0)
	v_cmp_ne_u16_e32 vcc, 0, v41
	s_and_saveexec_b64 s[46:47], vcc
	s_cbranch_execz .LBB213_101
; %bb.96:                               ;   in Loop: Header=BB213_14 Depth=1
	v_cmp_ne_u16_e32 vcc, s60, v41
	v_bfrev_b32_e32 v70, 1
	s_and_saveexec_b64 s[48:49], vcc
	s_cbranch_execz .LBB213_100
; %bb.97:                               ;   in Loop: Header=BB213_14 Depth=1
	v_and_b32_e32 v40, 0xffff, v41
	v_and_b32_e32 v42, 0x7f, v40
	v_cmp_ne_u32_e32 vcc, s61, v42
	v_mov_b32_e32 v70, 0x7f800001
	s_and_saveexec_b64 s[50:51], vcc
	s_cbranch_execz .LBB213_99
; %bb.98:                               ;   in Loop: Header=BB213_14 Depth=1
	v_and_b32_e32 v70, 7, v40
	v_ffbh_u32_e32 v72, v70
	v_min_u32_e32 v75, 32, v72
	v_subrev_u32_e32 v72, 28, v75
	v_lshlrev_b64 v[72:73], v72, v[40:41]
	v_lshrrev_b32_e32 v74, 3, v42
	v_sub_u32_e32 v40, 29, v75
	v_and_b32_e32 v72, 7, v72
	v_cmp_gt_u32_e32 vcc, 8, v42
	v_cndmask_b32_e32 v40, v74, v40, vcc
	v_cndmask_b32_e32 v42, v70, v72, vcc
	v_lshlrev_b32_e32 v41, 24, v41
	v_lshlrev_b32_e32 v42, 20, v42
	v_and_b32_e32 v41, 0x80000000, v41
	v_lshl_add_u32 v40, v40, 23, v54
	v_or3_b32 v70, v41, v40, v42
.LBB213_99:                             ;   in Loop: Header=BB213_14 Depth=1
	s_or_b64 exec, exec, s[50:51]
.LBB213_100:                            ;   in Loop: Header=BB213_14 Depth=1
	s_or_b64 exec, exec, s[48:49]
.LBB213_101:                            ;   in Loop: Header=BB213_14 Depth=1
	s_or_b64 exec, exec, s[46:47]
	v_add_co_u32_e32 v40, vcc, 0x300, v38
	v_addc_co_u32_e32 v41, vcc, 0, v39, vcc
	global_load_ubyte v74, v[40:41], off offset:8
	v_mov_b32_e32 v72, 0
	v_mov_b32_e32 v73, 0
	s_waitcnt vmcnt(0)
	v_cmp_ne_u16_e32 vcc, 0, v74
	s_and_saveexec_b64 s[46:47], vcc
	s_cbranch_execz .LBB213_107
; %bb.102:                              ;   in Loop: Header=BB213_14 Depth=1
	v_cmp_ne_u16_e32 vcc, s60, v74
	v_bfrev_b32_e32 v73, 1
	s_and_saveexec_b64 s[48:49], vcc
	s_cbranch_execz .LBB213_106
; %bb.103:                              ;   in Loop: Header=BB213_14 Depth=1
	v_and_b32_e32 v42, 0xffff, v74
	v_and_b32_e32 v75, 0x7f, v42
	v_cmp_ne_u32_e32 vcc, s61, v75
	v_mov_b32_e32 v73, 0x7f800001
	s_and_saveexec_b64 s[50:51], vcc
	s_cbranch_execz .LBB213_105
; %bb.104:                              ;   in Loop: Header=BB213_14 Depth=1
	v_and_b32_e32 v73, 7, v42
	v_ffbh_u32_e32 v76, v73
	v_min_u32_e32 v79, 32, v76
	v_subrev_u32_e32 v76, 28, v79
	v_lshlrev_b64 v[76:77], v76, v[42:43]
	v_lshrrev_b32_e32 v78, 3, v75
	v_sub_u32_e32 v42, 29, v79
	v_and_b32_e32 v76, 7, v76
	v_cmp_gt_u32_e32 vcc, 8, v75
	v_cndmask_b32_e32 v42, v78, v42, vcc
	v_cndmask_b32_e32 v73, v73, v76, vcc
	v_lshlrev_b32_e32 v74, 24, v74
	v_lshlrev_b32_e32 v73, 20, v73
	v_and_b32_e32 v74, 0x80000000, v74
	v_lshl_add_u32 v42, v42, 23, v54
	v_or3_b32 v73, v74, v42, v73
.LBB213_105:                            ;   in Loop: Header=BB213_14 Depth=1
	s_or_b64 exec, exec, s[50:51]
.LBB213_106:                            ;   in Loop: Header=BB213_14 Depth=1
	s_or_b64 exec, exec, s[48:49]
.LBB213_107:                            ;   in Loop: Header=BB213_14 Depth=1
	s_or_b64 exec, exec, s[46:47]
	global_load_ubyte v41, v[40:41], off offset:12
	s_waitcnt vmcnt(0)
	v_cmp_ne_u16_e32 vcc, 0, v41
	s_and_saveexec_b64 s[46:47], vcc
	s_cbranch_execz .LBB213_113
; %bb.108:                              ;   in Loop: Header=BB213_14 Depth=1
	v_cmp_ne_u16_e32 vcc, s60, v41
	v_bfrev_b32_e32 v72, 1
	s_and_saveexec_b64 s[48:49], vcc
	s_cbranch_execz .LBB213_112
; %bb.109:                              ;   in Loop: Header=BB213_14 Depth=1
	v_and_b32_e32 v40, 0xffff, v41
	v_and_b32_e32 v42, 0x7f, v40
	v_cmp_ne_u32_e32 vcc, s61, v42
	v_mov_b32_e32 v72, 0x7f800001
	s_and_saveexec_b64 s[50:51], vcc
	s_cbranch_execz .LBB213_111
; %bb.110:                              ;   in Loop: Header=BB213_14 Depth=1
	v_and_b32_e32 v72, 7, v40
	v_ffbh_u32_e32 v74, v72
	v_min_u32_e32 v77, 32, v74
	v_subrev_u32_e32 v74, 28, v77
	v_lshlrev_b64 v[74:75], v74, v[40:41]
	v_lshrrev_b32_e32 v76, 3, v42
	v_sub_u32_e32 v40, 29, v77
	v_and_b32_e32 v74, 7, v74
	v_cmp_gt_u32_e32 vcc, 8, v42
	v_cndmask_b32_e32 v40, v76, v40, vcc
	v_cndmask_b32_e32 v42, v72, v74, vcc
	v_lshlrev_b32_e32 v41, 24, v41
	v_lshlrev_b32_e32 v42, 20, v42
	v_and_b32_e32 v41, 0x80000000, v41
	v_lshl_add_u32 v40, v40, 23, v54
	v_or3_b32 v72, v41, v40, v42
.LBB213_111:                            ;   in Loop: Header=BB213_14 Depth=1
	s_or_b64 exec, exec, s[50:51]
.LBB213_112:                            ;   in Loop: Header=BB213_14 Depth=1
	s_or_b64 exec, exec, s[48:49]
.LBB213_113:                            ;   in Loop: Header=BB213_14 Depth=1
	s_or_b64 exec, exec, s[46:47]
	global_load_ubyte v41, v[38:39], off offset:1024
	v_mov_b32_e32 v74, 0
	v_mov_b32_e32 v75, 0
	s_waitcnt vmcnt(0)
	v_cmp_ne_u16_e32 vcc, 0, v41
	s_and_saveexec_b64 s[46:47], vcc
	s_cbranch_execz .LBB213_119
; %bb.114:                              ;   in Loop: Header=BB213_14 Depth=1
	v_cmp_ne_u16_e32 vcc, s60, v41
	v_bfrev_b32_e32 v75, 1
	s_and_saveexec_b64 s[48:49], vcc
	s_cbranch_execz .LBB213_118
; %bb.115:                              ;   in Loop: Header=BB213_14 Depth=1
	v_and_b32_e32 v40, 0xffff, v41
	v_and_b32_e32 v42, 0x7f, v40
	v_cmp_ne_u32_e32 vcc, s61, v42
	v_mov_b32_e32 v75, 0x7f800001
	s_and_saveexec_b64 s[50:51], vcc
	s_cbranch_execz .LBB213_117
; %bb.116:                              ;   in Loop: Header=BB213_14 Depth=1
	v_and_b32_e32 v75, 7, v40
	v_ffbh_u32_e32 v76, v75
	v_min_u32_e32 v79, 32, v76
	v_subrev_u32_e32 v76, 28, v79
	v_lshlrev_b64 v[76:77], v76, v[40:41]
	v_lshrrev_b32_e32 v78, 3, v42
	v_sub_u32_e32 v40, 29, v79
	v_and_b32_e32 v76, 7, v76
	v_cmp_gt_u32_e32 vcc, 8, v42
	v_cndmask_b32_e32 v40, v78, v40, vcc
	v_cndmask_b32_e32 v42, v75, v76, vcc
	v_lshlrev_b32_e32 v41, 24, v41
	v_lshlrev_b32_e32 v42, 20, v42
	v_and_b32_e32 v41, 0x80000000, v41
	v_lshl_add_u32 v40, v40, 23, v54
	v_or3_b32 v75, v41, v40, v42
.LBB213_117:                            ;   in Loop: Header=BB213_14 Depth=1
	s_or_b64 exec, exec, s[50:51]
.LBB213_118:                            ;   in Loop: Header=BB213_14 Depth=1
	s_or_b64 exec, exec, s[48:49]
.LBB213_119:                            ;   in Loop: Header=BB213_14 Depth=1
	s_or_b64 exec, exec, s[46:47]
	global_load_ubyte v41, v[38:39], off offset:1028
	s_waitcnt vmcnt(0)
	v_cmp_ne_u16_e32 vcc, 0, v41
	s_and_saveexec_b64 s[46:47], vcc
	s_cbranch_execz .LBB213_125
; %bb.120:                              ;   in Loop: Header=BB213_14 Depth=1
	v_cmp_ne_u16_e32 vcc, s60, v41
	v_bfrev_b32_e32 v74, 1
	s_and_saveexec_b64 s[48:49], vcc
	s_cbranch_execz .LBB213_124
; %bb.121:                              ;   in Loop: Header=BB213_14 Depth=1
	v_and_b32_e32 v40, 0xffff, v41
	v_and_b32_e32 v42, 0x7f, v40
	v_cmp_ne_u32_e32 vcc, s61, v42
	v_mov_b32_e32 v74, 0x7f800001
	s_and_saveexec_b64 s[50:51], vcc
	s_cbranch_execz .LBB213_123
; %bb.122:                              ;   in Loop: Header=BB213_14 Depth=1
	v_and_b32_e32 v74, 7, v40
	v_ffbh_u32_e32 v76, v74
	v_min_u32_e32 v79, 32, v76
	v_subrev_u32_e32 v76, 28, v79
	v_lshlrev_b64 v[76:77], v76, v[40:41]
	v_lshrrev_b32_e32 v78, 3, v42
	v_sub_u32_e32 v40, 29, v79
	v_and_b32_e32 v76, 7, v76
	v_cmp_gt_u32_e32 vcc, 8, v42
	v_cndmask_b32_e32 v40, v78, v40, vcc
	v_cndmask_b32_e32 v42, v74, v76, vcc
	v_lshlrev_b32_e32 v41, 24, v41
	v_lshlrev_b32_e32 v42, 20, v42
	v_and_b32_e32 v41, 0x80000000, v41
	v_lshl_add_u32 v40, v40, 23, v54
	v_or3_b32 v74, v41, v40, v42
.LBB213_123:                            ;   in Loop: Header=BB213_14 Depth=1
	s_or_b64 exec, exec, s[50:51]
.LBB213_124:                            ;   in Loop: Header=BB213_14 Depth=1
	s_or_b64 exec, exec, s[48:49]
.LBB213_125:                            ;   in Loop: Header=BB213_14 Depth=1
	s_or_b64 exec, exec, s[46:47]
	v_add_co_u32_e32 v40, vcc, 0x400, v38
	v_addc_co_u32_e32 v41, vcc, 0, v39, vcc
	global_load_ubyte v78, v[40:41], off offset:8
	v_mov_b32_e32 v76, 0
	v_mov_b32_e32 v77, 0
	s_waitcnt vmcnt(0)
	v_cmp_ne_u16_e32 vcc, 0, v78
	s_and_saveexec_b64 s[46:47], vcc
	s_cbranch_execz .LBB213_131
; %bb.126:                              ;   in Loop: Header=BB213_14 Depth=1
	v_cmp_ne_u16_e32 vcc, s60, v78
	v_bfrev_b32_e32 v77, 1
	s_and_saveexec_b64 s[48:49], vcc
	s_cbranch_execz .LBB213_130
; %bb.127:                              ;   in Loop: Header=BB213_14 Depth=1
	v_and_b32_e32 v42, 0xffff, v78
	v_and_b32_e32 v79, 0x7f, v42
	v_cmp_ne_u32_e32 vcc, s61, v79
	v_mov_b32_e32 v77, 0x7f800001
	s_and_saveexec_b64 s[50:51], vcc
	s_cbranch_execz .LBB213_129
; %bb.128:                              ;   in Loop: Header=BB213_14 Depth=1
	v_and_b32_e32 v77, 7, v42
	v_ffbh_u32_e32 v80, v77
	v_min_u32_e32 v83, 32, v80
	v_subrev_u32_e32 v80, 28, v83
	v_lshlrev_b64 v[80:81], v80, v[42:43]
	v_lshrrev_b32_e32 v82, 3, v79
	v_sub_u32_e32 v42, 29, v83
	v_and_b32_e32 v80, 7, v80
	v_cmp_gt_u32_e32 vcc, 8, v79
	v_cndmask_b32_e32 v42, v82, v42, vcc
	v_cndmask_b32_e32 v77, v77, v80, vcc
	v_lshlrev_b32_e32 v78, 24, v78
	v_lshlrev_b32_e32 v77, 20, v77
	v_and_b32_e32 v78, 0x80000000, v78
	v_lshl_add_u32 v42, v42, 23, v54
	v_or3_b32 v77, v78, v42, v77
.LBB213_129:                            ;   in Loop: Header=BB213_14 Depth=1
	s_or_b64 exec, exec, s[50:51]
.LBB213_130:                            ;   in Loop: Header=BB213_14 Depth=1
	s_or_b64 exec, exec, s[48:49]
.LBB213_131:                            ;   in Loop: Header=BB213_14 Depth=1
	s_or_b64 exec, exec, s[46:47]
	global_load_ubyte v41, v[40:41], off offset:12
	s_waitcnt vmcnt(0)
	v_cmp_ne_u16_e32 vcc, 0, v41
	s_and_saveexec_b64 s[46:47], vcc
	s_cbranch_execz .LBB213_137
; %bb.132:                              ;   in Loop: Header=BB213_14 Depth=1
	v_cmp_ne_u16_e32 vcc, s60, v41
	v_bfrev_b32_e32 v76, 1
	s_and_saveexec_b64 s[48:49], vcc
	s_cbranch_execz .LBB213_136
; %bb.133:                              ;   in Loop: Header=BB213_14 Depth=1
	v_and_b32_e32 v40, 0xffff, v41
	v_and_b32_e32 v42, 0x7f, v40
	v_cmp_ne_u32_e32 vcc, s61, v42
	v_mov_b32_e32 v76, 0x7f800001
	s_and_saveexec_b64 s[50:51], vcc
	s_cbranch_execz .LBB213_135
; %bb.134:                              ;   in Loop: Header=BB213_14 Depth=1
	v_and_b32_e32 v76, 7, v40
	v_ffbh_u32_e32 v78, v76
	v_min_u32_e32 v81, 32, v78
	v_subrev_u32_e32 v78, 28, v81
	v_lshlrev_b64 v[78:79], v78, v[40:41]
	v_lshrrev_b32_e32 v80, 3, v42
	v_sub_u32_e32 v40, 29, v81
	v_and_b32_e32 v78, 7, v78
	v_cmp_gt_u32_e32 vcc, 8, v42
	v_cndmask_b32_e32 v40, v80, v40, vcc
	v_cndmask_b32_e32 v42, v76, v78, vcc
	v_lshlrev_b32_e32 v41, 24, v41
	v_lshlrev_b32_e32 v42, 20, v42
	v_and_b32_e32 v41, 0x80000000, v41
	v_lshl_add_u32 v40, v40, 23, v54
	v_or3_b32 v76, v41, v40, v42
.LBB213_135:                            ;   in Loop: Header=BB213_14 Depth=1
	s_or_b64 exec, exec, s[50:51]
.LBB213_136:                            ;   in Loop: Header=BB213_14 Depth=1
	s_or_b64 exec, exec, s[48:49]
.LBB213_137:                            ;   in Loop: Header=BB213_14 Depth=1
	s_or_b64 exec, exec, s[46:47]
	global_load_ubyte v41, v[38:39], off offset:1280
	v_mov_b32_e32 v78, 0
	v_mov_b32_e32 v79, 0
	s_waitcnt vmcnt(0)
	v_cmp_ne_u16_e32 vcc, 0, v41
	s_and_saveexec_b64 s[46:47], vcc
	s_cbranch_execz .LBB213_143
; %bb.138:                              ;   in Loop: Header=BB213_14 Depth=1
	v_cmp_ne_u16_e32 vcc, s60, v41
	v_bfrev_b32_e32 v79, 1
	s_and_saveexec_b64 s[48:49], vcc
	s_cbranch_execz .LBB213_142
; %bb.139:                              ;   in Loop: Header=BB213_14 Depth=1
	v_and_b32_e32 v40, 0xffff, v41
	v_and_b32_e32 v42, 0x7f, v40
	v_cmp_ne_u32_e32 vcc, s61, v42
	v_mov_b32_e32 v79, 0x7f800001
	s_and_saveexec_b64 s[50:51], vcc
	s_cbranch_execz .LBB213_141
; %bb.140:                              ;   in Loop: Header=BB213_14 Depth=1
	v_and_b32_e32 v79, 7, v40
	v_ffbh_u32_e32 v80, v79
	v_min_u32_e32 v83, 32, v80
	v_subrev_u32_e32 v80, 28, v83
	v_lshlrev_b64 v[80:81], v80, v[40:41]
	v_lshrrev_b32_e32 v82, 3, v42
	v_sub_u32_e32 v40, 29, v83
	v_and_b32_e32 v80, 7, v80
	v_cmp_gt_u32_e32 vcc, 8, v42
	v_cndmask_b32_e32 v40, v82, v40, vcc
	v_cndmask_b32_e32 v42, v79, v80, vcc
	v_lshlrev_b32_e32 v41, 24, v41
	v_lshlrev_b32_e32 v42, 20, v42
	v_and_b32_e32 v41, 0x80000000, v41
	v_lshl_add_u32 v40, v40, 23, v54
	v_or3_b32 v79, v41, v40, v42
.LBB213_141:                            ;   in Loop: Header=BB213_14 Depth=1
	s_or_b64 exec, exec, s[50:51]
.LBB213_142:                            ;   in Loop: Header=BB213_14 Depth=1
	s_or_b64 exec, exec, s[48:49]
.LBB213_143:                            ;   in Loop: Header=BB213_14 Depth=1
	s_or_b64 exec, exec, s[46:47]
	global_load_ubyte v41, v[38:39], off offset:1284
	s_waitcnt vmcnt(0)
	v_cmp_ne_u16_e32 vcc, 0, v41
	s_and_saveexec_b64 s[46:47], vcc
	s_cbranch_execz .LBB213_149
; %bb.144:                              ;   in Loop: Header=BB213_14 Depth=1
	v_cmp_ne_u16_e32 vcc, s60, v41
	v_bfrev_b32_e32 v78, 1
	s_and_saveexec_b64 s[48:49], vcc
	s_cbranch_execz .LBB213_148
; %bb.145:                              ;   in Loop: Header=BB213_14 Depth=1
	v_and_b32_e32 v40, 0xffff, v41
	v_and_b32_e32 v42, 0x7f, v40
	v_cmp_ne_u32_e32 vcc, s61, v42
	v_mov_b32_e32 v78, 0x7f800001
	s_and_saveexec_b64 s[50:51], vcc
	s_cbranch_execz .LBB213_147
; %bb.146:                              ;   in Loop: Header=BB213_14 Depth=1
	v_and_b32_e32 v78, 7, v40
	v_ffbh_u32_e32 v80, v78
	v_min_u32_e32 v83, 32, v80
	v_subrev_u32_e32 v80, 28, v83
	v_lshlrev_b64 v[80:81], v80, v[40:41]
	v_lshrrev_b32_e32 v82, 3, v42
	v_sub_u32_e32 v40, 29, v83
	v_and_b32_e32 v80, 7, v80
	v_cmp_gt_u32_e32 vcc, 8, v42
	v_cndmask_b32_e32 v40, v82, v40, vcc
	v_cndmask_b32_e32 v42, v78, v80, vcc
	v_lshlrev_b32_e32 v41, 24, v41
	v_lshlrev_b32_e32 v42, 20, v42
	v_and_b32_e32 v41, 0x80000000, v41
	v_lshl_add_u32 v40, v40, 23, v54
	v_or3_b32 v78, v41, v40, v42
.LBB213_147:                            ;   in Loop: Header=BB213_14 Depth=1
	s_or_b64 exec, exec, s[50:51]
.LBB213_148:                            ;   in Loop: Header=BB213_14 Depth=1
	s_or_b64 exec, exec, s[48:49]
.LBB213_149:                            ;   in Loop: Header=BB213_14 Depth=1
	s_or_b64 exec, exec, s[46:47]
	v_add_co_u32_e32 v40, vcc, 0x500, v38
	v_addc_co_u32_e32 v41, vcc, 0, v39, vcc
	global_load_ubyte v82, v[40:41], off offset:8
	v_mov_b32_e32 v80, 0
	v_mov_b32_e32 v81, 0
	s_waitcnt vmcnt(0)
	v_cmp_ne_u16_e32 vcc, 0, v82
	s_and_saveexec_b64 s[46:47], vcc
	s_cbranch_execz .LBB213_155
; %bb.150:                              ;   in Loop: Header=BB213_14 Depth=1
	v_cmp_ne_u16_e32 vcc, s60, v82
	v_bfrev_b32_e32 v81, 1
	s_and_saveexec_b64 s[48:49], vcc
	s_cbranch_execz .LBB213_154
; %bb.151:                              ;   in Loop: Header=BB213_14 Depth=1
	v_and_b32_e32 v42, 0xffff, v82
	v_and_b32_e32 v83, 0x7f, v42
	v_cmp_ne_u32_e32 vcc, s61, v83
	v_mov_b32_e32 v81, 0x7f800001
	s_and_saveexec_b64 s[50:51], vcc
	s_cbranch_execz .LBB213_153
; %bb.152:                              ;   in Loop: Header=BB213_14 Depth=1
	v_and_b32_e32 v81, 7, v42
	v_ffbh_u32_e32 v84, v81
	v_min_u32_e32 v87, 32, v84
	v_subrev_u32_e32 v84, 28, v87
	v_lshlrev_b64 v[84:85], v84, v[42:43]
	v_lshrrev_b32_e32 v86, 3, v83
	v_sub_u32_e32 v42, 29, v87
	v_and_b32_e32 v84, 7, v84
	v_cmp_gt_u32_e32 vcc, 8, v83
	v_cndmask_b32_e32 v42, v86, v42, vcc
	v_cndmask_b32_e32 v81, v81, v84, vcc
	v_lshlrev_b32_e32 v82, 24, v82
	v_lshlrev_b32_e32 v81, 20, v81
	v_and_b32_e32 v82, 0x80000000, v82
	v_lshl_add_u32 v42, v42, 23, v54
	v_or3_b32 v81, v82, v42, v81
.LBB213_153:                            ;   in Loop: Header=BB213_14 Depth=1
	s_or_b64 exec, exec, s[50:51]
.LBB213_154:                            ;   in Loop: Header=BB213_14 Depth=1
	s_or_b64 exec, exec, s[48:49]
.LBB213_155:                            ;   in Loop: Header=BB213_14 Depth=1
	s_or_b64 exec, exec, s[46:47]
	global_load_ubyte v41, v[40:41], off offset:12
	s_waitcnt vmcnt(0)
	v_cmp_ne_u16_e32 vcc, 0, v41
	s_and_saveexec_b64 s[46:47], vcc
	s_cbranch_execz .LBB213_161
; %bb.156:                              ;   in Loop: Header=BB213_14 Depth=1
	v_cmp_ne_u16_e32 vcc, s60, v41
	v_bfrev_b32_e32 v80, 1
	s_and_saveexec_b64 s[48:49], vcc
	s_cbranch_execz .LBB213_160
; %bb.157:                              ;   in Loop: Header=BB213_14 Depth=1
	v_and_b32_e32 v40, 0xffff, v41
	v_and_b32_e32 v42, 0x7f, v40
	v_cmp_ne_u32_e32 vcc, s61, v42
	v_mov_b32_e32 v80, 0x7f800001
	s_and_saveexec_b64 s[50:51], vcc
	s_cbranch_execz .LBB213_159
; %bb.158:                              ;   in Loop: Header=BB213_14 Depth=1
	v_and_b32_e32 v80, 7, v40
	v_ffbh_u32_e32 v82, v80
	v_min_u32_e32 v85, 32, v82
	v_subrev_u32_e32 v82, 28, v85
	v_lshlrev_b64 v[82:83], v82, v[40:41]
	v_lshrrev_b32_e32 v84, 3, v42
	v_sub_u32_e32 v40, 29, v85
	v_and_b32_e32 v82, 7, v82
	v_cmp_gt_u32_e32 vcc, 8, v42
	v_cndmask_b32_e32 v40, v84, v40, vcc
	v_cndmask_b32_e32 v42, v80, v82, vcc
	v_lshlrev_b32_e32 v41, 24, v41
	v_lshlrev_b32_e32 v42, 20, v42
	v_and_b32_e32 v41, 0x80000000, v41
	v_lshl_add_u32 v40, v40, 23, v54
	v_or3_b32 v80, v41, v40, v42
.LBB213_159:                            ;   in Loop: Header=BB213_14 Depth=1
	s_or_b64 exec, exec, s[50:51]
.LBB213_160:                            ;   in Loop: Header=BB213_14 Depth=1
	s_or_b64 exec, exec, s[48:49]
.LBB213_161:                            ;   in Loop: Header=BB213_14 Depth=1
	s_or_b64 exec, exec, s[46:47]
	global_load_ubyte v82, v[38:39], off offset:1536
	v_mov_b32_e32 v41, 0
	v_mov_b32_e32 v42, 0
	s_waitcnt vmcnt(0)
	v_cmp_ne_u16_e32 vcc, 0, v82
	s_and_saveexec_b64 s[46:47], vcc
	s_cbranch_execz .LBB213_167
; %bb.162:                              ;   in Loop: Header=BB213_14 Depth=1
	v_cmp_ne_u16_e32 vcc, s60, v82
	v_bfrev_b32_e32 v42, 1
	s_and_saveexec_b64 s[48:49], vcc
	s_cbranch_execz .LBB213_166
; %bb.163:                              ;   in Loop: Header=BB213_14 Depth=1
	v_and_b32_e32 v40, 0xffff, v82
	v_and_b32_e32 v83, 0x7f, v40
	v_cmp_ne_u32_e32 vcc, s61, v83
	v_mov_b32_e32 v42, 0x7f800001
	s_and_saveexec_b64 s[50:51], vcc
	s_cbranch_execz .LBB213_165
; %bb.164:                              ;   in Loop: Header=BB213_14 Depth=1
	v_and_b32_e32 v42, 7, v40
	v_ffbh_u32_e32 v84, v42
	v_min_u32_e32 v87, 32, v84
	v_subrev_u32_e32 v84, 28, v87
	v_lshlrev_b64 v[84:85], v84, v[40:41]
	v_lshrrev_b32_e32 v86, 3, v83
	v_sub_u32_e32 v40, 29, v87
	v_and_b32_e32 v84, 7, v84
	v_cmp_gt_u32_e32 vcc, 8, v83
	v_cndmask_b32_e32 v40, v86, v40, vcc
	v_cndmask_b32_e32 v42, v42, v84, vcc
	v_lshlrev_b32_e32 v82, 24, v82
	v_lshlrev_b32_e32 v42, 20, v42
	v_and_b32_e32 v82, 0x80000000, v82
	v_lshl_add_u32 v40, v40, 23, v54
	v_or3_b32 v42, v82, v40, v42
.LBB213_165:                            ;   in Loop: Header=BB213_14 Depth=1
	s_or_b64 exec, exec, s[50:51]
.LBB213_166:                            ;   in Loop: Header=BB213_14 Depth=1
	s_or_b64 exec, exec, s[48:49]
.LBB213_167:                            ;   in Loop: Header=BB213_14 Depth=1
	s_or_b64 exec, exec, s[46:47]
	global_load_ubyte v82, v[38:39], off offset:1540
	s_waitcnt vmcnt(0)
	v_cmp_ne_u16_e32 vcc, 0, v82
	s_and_saveexec_b64 s[46:47], vcc
	s_cbranch_execz .LBB213_173
; %bb.168:                              ;   in Loop: Header=BB213_14 Depth=1
	v_cmp_ne_u16_e32 vcc, s60, v82
	v_bfrev_b32_e32 v41, 1
	s_and_saveexec_b64 s[48:49], vcc
	s_cbranch_execz .LBB213_172
; %bb.169:                              ;   in Loop: Header=BB213_14 Depth=1
	v_and_b32_e32 v40, 0xffff, v82
	v_and_b32_e32 v83, 0x7f, v40
	v_cmp_ne_u32_e32 vcc, s61, v83
	v_mov_b32_e32 v41, 0x7f800001
	s_and_saveexec_b64 s[50:51], vcc
	s_cbranch_execz .LBB213_171
; %bb.170:                              ;   in Loop: Header=BB213_14 Depth=1
	v_and_b32_e32 v84, 7, v40
	v_ffbh_u32_e32 v41, v84
	v_min_u32_e32 v86, 32, v41
	v_subrev_u32_e32 v41, 28, v86
	v_lshlrev_b64 v[40:41], v41, v[40:41]
	v_lshrrev_b32_e32 v85, 3, v83
	v_sub_u32_e32 v41, 29, v86
	v_and_b32_e32 v40, 7, v40
	v_cmp_gt_u32_e32 vcc, 8, v83
	v_cndmask_b32_e32 v41, v85, v41, vcc
	v_cndmask_b32_e32 v40, v84, v40, vcc
	v_lshlrev_b32_e32 v82, 24, v82
	v_lshlrev_b32_e32 v40, 20, v40
	v_and_b32_e32 v82, 0x80000000, v82
	v_lshl_add_u32 v41, v41, 23, v54
	v_or3_b32 v41, v82, v41, v40
.LBB213_171:                            ;   in Loop: Header=BB213_14 Depth=1
	s_or_b64 exec, exec, s[50:51]
.LBB213_172:                            ;   in Loop: Header=BB213_14 Depth=1
	s_or_b64 exec, exec, s[48:49]
.LBB213_173:                            ;   in Loop: Header=BB213_14 Depth=1
	s_or_b64 exec, exec, s[46:47]
	v_add_co_u32_e32 v38, vcc, 0x600, v38
	v_addc_co_u32_e32 v39, vcc, 0, v39, vcc
	global_load_ubyte v84, v[38:39], off offset:8
	v_mov_b32_e32 v82, 0
	v_mov_b32_e32 v83, 0
	s_waitcnt vmcnt(0)
	v_cmp_ne_u16_e32 vcc, 0, v84
	s_and_saveexec_b64 s[46:47], vcc
	s_cbranch_execz .LBB213_179
; %bb.174:                              ;   in Loop: Header=BB213_14 Depth=1
	v_cmp_ne_u16_e32 vcc, s60, v84
	v_bfrev_b32_e32 v83, 1
	s_and_saveexec_b64 s[48:49], vcc
	s_cbranch_execz .LBB213_178
; %bb.175:                              ;   in Loop: Header=BB213_14 Depth=1
	v_and_b32_e32 v40, 0xffff, v84
	v_and_b32_e32 v85, 0x7f, v40
	v_cmp_ne_u32_e32 vcc, s61, v85
	v_mov_b32_e32 v83, 0x7f800001
	s_and_saveexec_b64 s[50:51], vcc
	s_cbranch_execz .LBB213_177
; %bb.176:                              ;   in Loop: Header=BB213_14 Depth=1
	v_and_b32_e32 v83, 7, v40
	v_ffbh_u32_e32 v86, v83
	v_min_u32_e32 v89, 32, v86
	v_subrev_u32_e32 v86, 28, v89
	v_lshlrev_b64 v[86:87], v86, v[40:41]
	v_lshrrev_b32_e32 v88, 3, v85
	v_sub_u32_e32 v40, 29, v89
	v_and_b32_e32 v86, 7, v86
	v_cmp_gt_u32_e32 vcc, 8, v85
	v_cndmask_b32_e32 v40, v88, v40, vcc
	v_cndmask_b32_e32 v83, v83, v86, vcc
	v_lshlrev_b32_e32 v84, 24, v84
	v_lshlrev_b32_e32 v83, 20, v83
	v_and_b32_e32 v84, 0x80000000, v84
	v_lshl_add_u32 v40, v40, 23, v54
	v_or3_b32 v83, v84, v40, v83
.LBB213_177:                            ;   in Loop: Header=BB213_14 Depth=1
	s_or_b64 exec, exec, s[50:51]
.LBB213_178:                            ;   in Loop: Header=BB213_14 Depth=1
	s_or_b64 exec, exec, s[48:49]
.LBB213_179:                            ;   in Loop: Header=BB213_14 Depth=1
	s_or_b64 exec, exec, s[46:47]
	global_load_ubyte v39, v[38:39], off offset:12
	s_waitcnt vmcnt(0)
	v_cmp_ne_u16_e32 vcc, 0, v39
	s_and_saveexec_b64 s[46:47], vcc
	s_cbranch_execz .LBB213_185
; %bb.180:                              ;   in Loop: Header=BB213_14 Depth=1
	v_cmp_ne_u16_e32 vcc, s60, v39
	v_bfrev_b32_e32 v82, 1
	s_and_saveexec_b64 s[48:49], vcc
	s_cbranch_execz .LBB213_184
; %bb.181:                              ;   in Loop: Header=BB213_14 Depth=1
	v_and_b32_e32 v38, 0xffff, v39
	v_and_b32_e32 v40, 0x7f, v38
	v_cmp_ne_u32_e32 vcc, s61, v40
	v_mov_b32_e32 v82, 0x7f800001
	s_and_saveexec_b64 s[50:51], vcc
	s_cbranch_execz .LBB213_183
; %bb.182:                              ;   in Loop: Header=BB213_14 Depth=1
	v_and_b32_e32 v82, 7, v38
	v_ffbh_u32_e32 v84, v82
	v_min_u32_e32 v87, 32, v84
	v_subrev_u32_e32 v84, 28, v87
	v_lshlrev_b64 v[84:85], v84, v[38:39]
	v_lshrrev_b32_e32 v86, 3, v40
	v_sub_u32_e32 v38, 29, v87
	v_and_b32_e32 v84, 7, v84
	v_cmp_gt_u32_e32 vcc, 8, v40
	v_cndmask_b32_e32 v38, v86, v38, vcc
	v_cndmask_b32_e32 v40, v82, v84, vcc
	v_lshlrev_b32_e32 v39, 24, v39
	v_lshlrev_b32_e32 v40, 20, v40
	v_and_b32_e32 v39, 0x80000000, v39
	v_lshl_add_u32 v38, v38, 23, v54
	v_or3_b32 v82, v39, v38, v40
.LBB213_183:                            ;   in Loop: Header=BB213_14 Depth=1
	s_or_b64 exec, exec, s[50:51]
.LBB213_184:                            ;   in Loop: Header=BB213_14 Depth=1
	s_or_b64 exec, exec, s[48:49]
.LBB213_185:                            ;   in Loop: Header=BB213_14 Depth=1
	s_or_b64 exec, exec, s[46:47]
	s_waitcnt lgkmcnt(0)
	v_mul_f32_e32 v57, s62, v57
	v_mul_f32_e32 v59, s62, v59
	;; [unrolled: 1-line block ×4, first 2 shown]
	v_fmac_f32_e32 v27, v26, v59
	v_mul_f32_e32 v60, s62, v60
	v_fmac_f32_e32 v27, v28, v61
	v_mul_f32_e32 v63, s62, v63
	;; [unrolled: 2-line block ×20, first 2 shown]
	v_mul_f32_e32 v42, s62, v81
	v_fmac_f32_e32 v27, v7, v78
	v_mul_f32_e32 v39, s62, v41
	v_mul_f32_e32 v41, s62, v80
	v_fmac_f32_e32 v27, v8, v42
	v_and_b32_e32 v80, 64, v55
	v_fmac_f32_e32 v27, v9, v41
	v_add_u32_e32 v80, 64, v80
	v_xor_b32_e32 v81, 2, v55
	v_fmac_f32_e32 v27, v2, v40
	v_mul_f32_e32 v38, s62, v83
	v_cmp_lt_i32_e32 vcc, v81, v80
	v_fmac_f32_e32 v27, v3, v39
	v_cndmask_b32_e32 v81, v55, v81, vcc
	v_mul_f32_e32 v82, s62, v82
	v_fmac_f32_e32 v27, v4, v38
	v_lshlrev_b32_e32 v81, 2, v81
	v_fmac_f32_e32 v27, v5, v82
	ds_bpermute_b32 v2, v81, v27
	v_xor_b32_e32 v3, 1, v55
	v_cmp_lt_i32_e32 vcc, v3, v80
	v_cndmask_b32_e32 v3, v55, v3, vcc
	v_lshlrev_b32_e32 v3, 2, v3
	s_waitcnt lgkmcnt(0)
	v_add_f32_e32 v2, v27, v2
	ds_bpermute_b32 v3, v3, v2
	s_and_saveexec_b64 s[46:47], s[2:3]
	s_cbranch_execz .LBB213_12
; %bb.186:                              ;   in Loop: Header=BB213_14 Depth=1
	v_add_u32_e32 v4, v52, v50
	v_cvt_f32_i32_e32 v4, v4
	s_waitcnt lgkmcnt(0)
	v_add_f32_e32 v2, v2, v3
	v_add_u32_e32 v5, v46, v50
	v_cmp_gt_i32_e32 vcc, s33, v5
	v_mul_f32_e32 v3, s56, v4
	v_cndmask_b32_e64 v3, 0, v3, s[4:5]
	v_fmac_f32_e32 v3, s43, v2
	v_cndmask_b32_e32 v2, 0, v3, vcc
	ds_write_b32 v51, v2
	v_max_f32_e32 v2, v48, v48
	v_max_f32_e32 v2, v2, v3
	v_cndmask_b32_e32 v48, v48, v2, vcc
	s_branch .LBB213_12
.LBB213_187:
	s_or_b64 exec, exec, s[44:45]
.LBB213_188:
	s_or_b64 exec, exec, s[14:15]
	v_mbcnt_hi_u32_b32 v2, -1, v45
	s_waitcnt lgkmcnt(0)
	v_and_b32_e32 v3, 64, v2
	v_add_u32_e32 v3, 64, v3
	v_xor_b32_e32 v4, 32, v2
	v_cmp_lt_i32_e32 vcc, v4, v3
	v_cndmask_b32_e32 v4, v2, v4, vcc
	v_lshlrev_b32_e32 v5, 2, v4
	ds_bpermute_b32 v4, v5, v48
	v_xor_b32_e32 v7, 16, v2
	v_max_f32_e32 v6, v48, v48
	v_cmp_lt_i32_e32 vcc, v7, v3
	v_xor_b32_e32 v8, 8, v2
	s_waitcnt lgkmcnt(0)
	v_max_f32_e32 v4, v4, v4
	v_max_f32_e32 v4, v6, v4
	v_cndmask_b32_e32 v6, v2, v7, vcc
	v_lshlrev_b32_e32 v6, 2, v6
	ds_bpermute_b32 v7, v6, v4
	v_cmp_lt_i32_e32 vcc, v8, v3
	v_and_b32_e32 v59, 63, v0
	s_waitcnt lgkmcnt(0)
	v_max_f32_e32 v7, v7, v7
	v_max_f32_e32 v4, v4, v7
	v_cndmask_b32_e32 v7, v2, v8, vcc
	v_lshlrev_b32_e32 v10, 2, v7
	ds_bpermute_b32 v7, v10, v4
	v_xor_b32_e32 v8, 4, v2
	v_cmp_lt_i32_e32 vcc, v8, v3
	s_waitcnt lgkmcnt(0)
	v_max_f32_e32 v7, v7, v7
	v_max_f32_e32 v4, v4, v7
	v_cndmask_b32_e32 v7, v2, v8, vcc
	v_lshlrev_b32_e32 v11, 2, v7
	ds_bpermute_b32 v8, v11, v4
	v_cmp_eq_u32_e32 vcc, 0, v59
	v_lshlrev_b32_e32 v7, 2, v44
	s_and_saveexec_b64 s[2:3], vcc
	s_cbranch_execz .LBB213_190
; %bb.189:
	s_waitcnt lgkmcnt(0)
	v_max_f32_e32 v8, v8, v8
	v_max_f32_e32 v4, v4, v4
	;; [unrolled: 1-line block ×3, first 2 shown]
	ds_write_b32 v7, v4 offset:448
.LBB213_190:
	s_or_b64 exec, exec, s[2:3]
	v_cmp_gt_u32_e64 s[2:3], 2, v59
	v_mov_b32_e32 v4, 0xff7fffff
	s_waitcnt lgkmcnt(0)
	v_lshlrev_b32_e32 v8, 2, v59
	s_barrier
	s_and_saveexec_b64 s[4:5], s[2:3]
	s_cbranch_execz .LBB213_192
; %bb.191:
	ds_read_b32 v4, v8 offset:448
.LBB213_192:
	s_or_b64 exec, exec, s[4:5]
	v_xor_b32_e32 v9, 1, v2
	v_cmp_lt_i32_e64 s[4:5], v9, v3
	v_cndmask_b32_e64 v9, v2, v9, s[4:5]
	v_lshlrev_b32_e32 v9, 2, v9
	s_waitcnt lgkmcnt(0)
	ds_bpermute_b32 v12, v9, v4
	v_max_f32_e32 v4, v4, v4
	s_sub_i32 s4, s54, s12
	s_lshl_b32 s4, s4, 4
	s_add_i32 s4, s4, s55
	s_waitcnt lgkmcnt(0)
	v_max_f32_e32 v12, v12, v12
	v_max_f32_e32 v4, v4, v12
	v_lshlrev_b32_e32 v12, 2, v2
	v_and_b32_e32 v12, 0x100, v12
	ds_bpermute_b32 v4, v12, v4
	s_min_i32 s43, s4, s33
	s_sub_i32 s12, s43, s55
	v_cmp_gt_i32_e64 s[4:5], s12, v0
	v_mov_b32_e32 v13, 0
	s_and_saveexec_b64 s[14:15], s[4:5]
	s_cbranch_execz .LBB213_196
; %bb.193:
	v_mov_b32_e32 v13, 0x1d0
	v_lshl_add_u32 v14, v0, 2, v13
	s_mov_b64 s[20:21], 0
	v_mov_b32_e32 v13, 0
	v_mov_b32_e32 v15, v0
.LBB213_194:                            ; =>This Inner Loop Header: Depth=1
	ds_read_b32 v16, v14
	v_add_u32_e32 v15, 0x80, v15
	v_cmp_le_i32_e64 s[10:11], s12, v15
	s_or_b64 s[20:21], s[10:11], s[20:21]
	s_waitcnt lgkmcnt(0)
	v_sub_f32_e32 v16, v16, v4
	v_mul_f32_e32 v16, 0x3fb8aa3b, v16
	v_exp_f32_e32 v16, v16
	ds_write_b32 v14, v16
	v_add_f32_e32 v13, v13, v16
	v_add_u32_e32 v14, 0x200, v14
	s_andn2_b64 exec, exec, s[20:21]
	s_cbranch_execnz .LBB213_194
; %bb.195:
	s_or_b64 exec, exec, s[20:21]
.LBB213_196:
	s_or_b64 exec, exec, s[14:15]
	ds_bpermute_b32 v5, v5, v13
	s_waitcnt lgkmcnt(0)
	v_add_f32_e32 v5, v13, v5
	ds_bpermute_b32 v6, v6, v5
	s_waitcnt lgkmcnt(0)
	v_add_f32_e32 v5, v5, v6
	ds_bpermute_b32 v6, v10, v5
	v_xor_b32_e32 v10, 2, v2
	v_cmp_lt_i32_e64 s[10:11], v10, v3
	v_cndmask_b32_e64 v2, v2, v10, s[10:11]
	v_lshlrev_b32_e32 v60, 2, v2
	s_waitcnt lgkmcnt(0)
	v_add_f32_e32 v5, v5, v6
	ds_bpermute_b32 v6, v11, v5
	s_waitcnt lgkmcnt(0)
	v_add_f32_e32 v3, v5, v6
	ds_bpermute_b32 v2, v60, v3
	;; [unrolled: 3-line block ×3, first 2 shown]
	s_waitcnt lgkmcnt(0)
	v_add_f32_e32 v2, v2, v3
	s_and_saveexec_b64 s[10:11], vcc
	s_cbranch_execz .LBB213_198
; %bb.197:
	ds_write_b32 v7, v2 offset:456
.LBB213_198:
	s_or_b64 exec, exec, s[10:11]
	s_waitcnt lgkmcnt(0)
	s_barrier
	s_and_saveexec_b64 s[10:11], s[2:3]
	s_cbranch_execz .LBB213_200
; %bb.199:
	ds_read_b32 v2, v8 offset:456
.LBB213_200:
	s_or_b64 exec, exec, s[10:11]
	s_waitcnt lgkmcnt(0)
	ds_bpermute_b32 v3, v9, v2
	s_waitcnt lgkmcnt(0)
	v_add_f32_e32 v2, v2, v3
	ds_bpermute_b32 v5, v12, v2
	s_and_saveexec_b64 s[2:3], s[4:5]
	s_cbranch_execz .LBB213_213
; %bb.201:
	s_waitcnt lgkmcnt(0)
	v_add_f32_e32 v2, 0x358637bd, v5
	v_div_scale_f32 v3, s[4:5], v2, v2, 1.0
	v_rcp_f32_e32 v6, v3
	v_div_scale_f32 v7, vcc, 1.0, v2, 1.0
	s_movk_i32 s4, 0x7f
	v_fma_f32 v8, -v3, v6, 1.0
	v_fmac_f32_e32 v6, v8, v6
	v_mul_f32_e32 v8, v7, v6
	v_fma_f32 v10, -v3, v8, v7
	v_fmac_f32_e32 v8, v10, v6
	v_fma_f32 v3, -v3, v8, v7
	v_div_fmas_f32 v3, v3, v6, v8
	v_div_fixup_f32 v2, v3, v2, 1.0
	v_xad_u32 v3, v0, -1, s43
	v_subrev_u32_e32 v6, s55, v3
	v_cmp_lt_u32_e32 vcc, s4, v6
	s_mov_b64 s[10:11], -1
	v_mov_b32_e32 v3, v0
	s_and_saveexec_b64 s[4:5], vcc
	s_cbranch_execz .LBB213_210
; %bb.202:
	v_lshrrev_b32_e32 v6, 7, v6
	v_add_u32_e32 v8, -1, v6
	v_lshrrev_b32_e32 v7, 1, v8
	v_mov_b32_e32 v3, v2
	v_add_u32_e32 v7, 1, v7
	v_cmp_lt_u32_e32 vcc, 13, v8
	v_mov_b32_e32 v11, 0
	s_and_saveexec_b64 s[10:11], vcc
	s_cbranch_execz .LBB213_206
; %bb.203:
	v_mov_b32_e32 v10, 0x1d0
	v_and_b32_e32 v8, -8, v7
	v_lshl_add_u32 v10, v0, 2, v10
	s_mov_b32 s20, 0
	s_mov_b64 s[14:15], 0
.LBB213_204:                            ; =>This Inner Loop Header: Depth=1
	ds_read2st64_b32 v[12:13], v10 offset1:2
	ds_read2st64_b32 v[14:15], v10 offset0:4 offset1:6
	ds_read2st64_b32 v[16:17], v10 offset0:8 offset1:10
	;; [unrolled: 1-line block ×3, first 2 shown]
	v_add_u32_e32 v8, -8, v8
	s_waitcnt lgkmcnt(3)
	v_pk_mul_f32 v[12:13], v[2:3], v[12:13]
	s_waitcnt lgkmcnt(2)
	v_pk_mul_f32 v[14:15], v[2:3], v[14:15]
	ds_write2st64_b32 v10, v12, v13 offset1:2
	ds_write2st64_b32 v10, v14, v15 offset0:4 offset1:6
	ds_read2st64_b32 v[14:15], v10 offset0:16 offset1:18
	s_waitcnt lgkmcnt(4)
	v_pk_mul_f32 v[12:13], v[2:3], v[16:17]
	ds_write2st64_b32 v10, v12, v13 offset0:8 offset1:10
	s_waitcnt lgkmcnt(4)
	v_pk_mul_f32 v[12:13], v[2:3], v[18:19]
	ds_write2st64_b32 v10, v12, v13 offset0:12 offset1:14
	ds_read2st64_b32 v[12:13], v10 offset0:20 offset1:22
	s_waitcnt lgkmcnt(3)
	v_pk_mul_f32 v[14:15], v[2:3], v[14:15]
	ds_read2st64_b32 v[16:17], v10 offset0:24 offset1:26
	ds_write2st64_b32 v10, v14, v15 offset0:16 offset1:18
	ds_read2st64_b32 v[14:15], v10 offset0:28 offset1:30
	s_waitcnt lgkmcnt(3)
	v_pk_mul_f32 v[12:13], v[2:3], v[12:13]
	ds_write2st64_b32 v10, v12, v13 offset0:20 offset1:22
	s_waitcnt lgkmcnt(3)
	v_pk_mul_f32 v[12:13], v[2:3], v[16:17]
	ds_write2st64_b32 v10, v12, v13 offset0:24 offset1:26
	s_waitcnt lgkmcnt(2)
	v_pk_mul_f32 v[12:13], v[2:3], v[14:15]
	s_add_i32 s20, s20, 16
	v_cmp_eq_u32_e32 vcc, 0, v8
	ds_write2st64_b32 v10, v12, v13 offset0:28 offset1:30
	v_add_u32_e32 v10, 0x2000, v10
	s_or_b64 s[14:15], vcc, s[14:15]
	v_mov_b32_e32 v11, s20
	s_andn2_b64 exec, exec, s[14:15]
	s_cbranch_execnz .LBB213_204
; %bb.205:
	s_or_b64 exec, exec, s[14:15]
.LBB213_206:
	s_or_b64 exec, exec, s[10:11]
	v_and_b32_e32 v7, 7, v7
	v_cmp_ne_u32_e32 vcc, 0, v7
	s_and_saveexec_b64 s[10:11], vcc
	s_cbranch_execz .LBB213_209
; %bb.207:
	v_lshlrev_b32_e32 v8, 9, v11
	s_movk_i32 s14, 0x1d0
	v_add3_u32 v8, v8, v43, s14
	s_mov_b64 s[14:15], 0
.LBB213_208:                            ; =>This Inner Loop Header: Depth=1
	ds_read2st64_b32 v[10:11], v8 offset1:2
	v_add_u32_e32 v7, -1, v7
	v_cmp_eq_u32_e32 vcc, 0, v7
	s_or_b64 s[14:15], vcc, s[14:15]
	s_waitcnt lgkmcnt(0)
	v_pk_mul_f32 v[10:11], v[2:3], v[10:11]
	ds_write2st64_b32 v8, v10, v11 offset1:2
	v_add_u32_e32 v8, 0x400, v8
	s_andn2_b64 exec, exec, s[14:15]
	s_cbranch_execnz .LBB213_208
.LBB213_209:
	s_or_b64 exec, exec, s[10:11]
	v_add_u32_e32 v6, 1, v6
	v_and_b32_e32 v7, 0x3fffffe, v6
	v_cmp_ne_u32_e32 vcc, v6, v7
	v_lshl_add_u32 v3, v7, 7, v0
	s_orn2_b64 s[10:11], vcc, exec
.LBB213_210:
	s_or_b64 exec, exec, s[4:5]
	s_and_b64 exec, exec, s[10:11]
	s_cbranch_execz .LBB213_213
; %bb.211:
	v_mov_b32_e32 v6, 0x1d0
	v_lshl_add_u32 v6, v3, 2, v6
	s_mov_b64 s[4:5], 0
.LBB213_212:                            ; =>This Inner Loop Header: Depth=1
	ds_read_b32 v7, v6
	v_add_u32_e32 v3, 0x80, v3
	v_cmp_le_i32_e32 vcc, s12, v3
	s_or_b64 s[4:5], vcc, s[4:5]
	s_waitcnt lgkmcnt(0)
	v_mul_f32_e32 v7, v2, v7
	ds_write_b32 v6, v7
	v_add_u32_e32 v6, 0x200, v6
	s_andn2_b64 exec, exec, s[4:5]
	s_cbranch_execnz .LBB213_212
.LBB213_213:
	s_or_b64 exec, exec, s[2:3]
	s_mul_i32 s2, s29, s34
	v_cmp_eq_u32_e32 vcc, 0, v0
	s_mul_i32 s2, s2, s9
	s_waitcnt lgkmcnt(0)
	s_barrier
	s_and_saveexec_b64 s[4:5], vcc
	s_cbranch_execz .LBB213_215
; %bb.214:
	s_ashr_i32 s3, s2, 31
	s_lshl_b64 s[10:11], s[2:3], 2
	s_add_u32 s3, s26, s10
	s_mul_i32 s14, s29, s6
	s_addc_u32 s9, s27, s11
	s_ashr_i32 s15, s14, 31
	s_lshl_b64 s[14:15], s[14:15], 2
	s_add_u32 s3, s3, s14
	s_addc_u32 s6, s9, s15
	s_ashr_i32 s9, s8, 31
	s_lshl_b64 s[20:21], s[8:9], 2
	s_add_u32 s26, s3, s20
	s_addc_u32 s27, s6, s21
	s_add_u32 s3, s24, s10
	s_addc_u32 s6, s25, s11
	;; [unrolled: 2-line block ×3, first 2 shown]
	s_add_u32 s10, s3, s20
	v_mov_b32_e32 v2, 0
	s_addc_u32 s11, s6, s21
	global_store_dword v2, v4, s[26:27]
	global_store_dword v2, v5, s[10:11]
.LBB213_215:
	s_or_b64 exec, exec, s[4:5]
	s_mov_b32 s12, 0
	v_mov_b32_e32 v8, 0
	v_mov_b32_e32 v7, 0
	;; [unrolled: 1-line block ×7, first 2 shown]
	s_and_saveexec_b64 s[4:5], s[0:1]
	s_cbranch_execz .LBB213_403
; %bb.216:
	s_sub_i32 s3, s16, s17
	s_ashr_i32 s0, s19, 31
	s_add_u32 s1, s40, s19
	s_addc_u32 s0, s41, s0
	s_abs_i32 s9, s18
	v_cvt_f32_u32_e32 v2, s9
	s_sub_i32 s6, 0, s9
	v_and_b32_e32 v3, 0xfc, v43
	s_add_i32 s27, s7, -1
	v_rcp_iflag_f32_e32 v2, v2
	v_mov_b32_e32 v4, s0
	v_add_co_u32_e32 v14, vcc, s1, v3
	v_mul_f32_e32 v2, 0x4f7ffffe, v2
	v_cvt_u32_f32_e32 v2, v2
	s_lshl_b64 s[0:1], s[38:39], 2
	v_addc_co_u32_e32 v15, vcc, 0, v4, vcc
	v_mul_lo_u32 v5, s6, v2
	v_mul_hi_u32 v5, v2, v5
	v_add_u32_e32 v62, v2, v5
	v_lshlrev_b64 v[2:3], 2, v[32:33]
	s_add_u32 s0, s36, s0
	s_addc_u32 s1, s37, s1
	v_add_co_u32_e32 v16, vcc, s0, v2
	v_lshlrev_b32_e32 v2, 4, v30
	v_mov_b32_e32 v4, s1
	v_lshl_or_b32 v2, v44, 6, v2
	s_mov_b32 s26, s13
	v_addc_co_u32_e32 v17, vcc, v4, v3, vcc
	v_add_u32_e32 v33, 0x1d0, v2
	s_mov_b32 s13, s12
	s_mov_b32 s14, s12
	;; [unrolled: 1-line block ×6, first 2 shown]
	v_mov_b32_e32 v2, s12
	v_and_b32_e32 v61, 12, v43
	s_mov_b64 s[6:7], 0
	v_mov_b32_e32 v3, s13
	v_mov_b32_e32 v4, s14
	;; [unrolled: 1-line block ×6, first 2 shown]
	s_movk_i32 s34, 0x80
	s_movk_i32 s36, 0x7f
	v_mov_b32_e32 v19, 0
	s_brev_b32 s13, 1
	s_mov_b32 s11, 0x7f800001
	s_mov_b32 s37, 0xffffff
	v_bfrev_b32_e32 v63, 60
	v_mov_b32_e32 v64, 7
	v_mov_b32_e32 v65, 24
	s_branch .LBB213_219
.LBB213_217:                            ;   in Loop: Header=BB213_219 Depth=1
	s_or_b64 exec, exec, s[0:1]
	v_mul_f32_e32 v18, v11, v21
	v_fmac_f32_e32 v18, v10, v20
	v_fmac_f32_e32 v18, v12, v22
	v_fmac_f32_e32 v18, v13, v23
	v_add_f32_e32 v2, v2, v18
	v_mul_f32_e32 v18, v11, v27
	v_fmac_f32_e32 v18, v10, v26
	v_fmac_f32_e32 v18, v12, v28
	v_fmac_f32_e32 v18, v13, v29
	v_add_f32_e32 v3, v3, v18
	v_mul_f32_e32 v18, v11, v35
	v_fmac_f32_e32 v18, v10, v34
	v_fmac_f32_e32 v18, v12, v36
	v_fmac_f32_e32 v18, v13, v37
	v_add_f32_e32 v4, v4, v18
	v_mul_f32_e32 v18, v11, v39
	v_fmac_f32_e32 v18, v10, v38
	v_fmac_f32_e32 v18, v12, v40
	v_fmac_f32_e32 v18, v13, v41
	v_add_f32_e32 v5, v5, v18
	v_mul_f32_e32 v18, v11, v43
	v_fmac_f32_e32 v18, v10, v42
	v_fmac_f32_e32 v18, v12, v44
	v_fmac_f32_e32 v18, v13, v45
	v_add_f32_e32 v6, v6, v18
	v_mul_f32_e32 v18, v11, v47
	v_mul_f32_e32 v11, v11, v25
	v_fmac_f32_e32 v18, v10, v46
	v_fmac_f32_e32 v11, v10, v24
	;; [unrolled: 1-line block ×6, first 2 shown]
	v_add_f32_e32 v7, v7, v18
	v_add_f32_e32 v8, v8, v11
.LBB213_218:                            ;   in Loop: Header=BB213_219 Depth=1
	s_or_b64 exec, exec, s[14:15]
	v_add_co_u32_e32 v16, vcc, 8, v16
	v_add_u32_e32 v32, 2, v32
	v_addc_co_u32_e32 v17, vcc, 0, v17, vcc
	v_cmp_le_i32_e32 vcc, s54, v32
	v_add_u32_e32 v58, 32, v58
	s_or_b64 s[6:7], vcc, s[6:7]
	v_add_u32_e32 v33, 0x80, v33
	s_andn2_b64 exec, exec, s[6:7]
	s_cbranch_execz .LBB213_402
.LBB213_219:                            ; =>This Inner Loop Header: Depth=1
	v_sub_u32_e32 v11, 0, v58
	v_max_i32_e32 v11, v58, v11
	v_mul_hi_u32 v12, v11, s52
	v_mul_lo_u32 v13, v12, s35
	v_sub_u32_e32 v11, v11, v13
	v_add_u32_e32 v13, 1, v12
	v_cmp_le_u32_e32 vcc, s35, v11
	v_cndmask_b32_e32 v12, v12, v13, vcc
	v_subrev_u32_e32 v13, s35, v11
	v_cndmask_b32_e32 v11, v11, v13, vcc
	v_ashrrev_i32_e32 v10, 31, v58
	v_add_u32_e32 v13, 1, v12
	v_cmp_le_u32_e32 vcc, s35, v11
	v_xor_b32_e32 v10, s53, v10
	v_cndmask_b32_e32 v11, v12, v13, vcc
	v_xor_b32_e32 v11, v11, v10
	v_sub_u32_e32 v10, v11, v10
	v_add_u32_e32 v11, s42, v10
	v_sub_u32_e32 v13, 0, v11
	v_ashrrev_i32_e32 v12, 31, v11
	v_max_i32_e32 v11, v11, v13
	v_mul_hi_u32 v13, v11, v62
	v_mul_lo_u32 v13, v13, s9
	v_sub_u32_e32 v11, v11, v13
	v_subrev_u32_e32 v13, s9, v11
	v_cmp_le_u32_e32 vcc, s9, v11
	v_cndmask_b32_e32 v11, v11, v13, vcc
	v_subrev_u32_e32 v13, s9, v11
	v_cmp_le_u32_e32 vcc, s9, v11
	v_cndmask_b32_e32 v11, v11, v13, vcc
	v_xor_b32_e32 v11, v11, v12
	v_sub_u32_e32 v11, v11, v12
	v_cmp_eq_u32_e32 vcc, 0, v11
	v_cmp_lt_i32_e64 s[0:1], s3, v10
	s_or_b64 s[0:1], vcc, s[0:1]
	s_and_saveexec_b64 s[14:15], s[0:1]
	s_cbranch_execz .LBB213_218
; %bb.220:                              ;   in Loop: Header=BB213_219 Depth=1
	global_load_dword v10, v[16:17], off
	s_load_dword s16, s[22:23], 0x0
	v_pk_mov_b32 v[26:27], 0, 0
	v_pk_mov_b32 v[22:23], v[26:27], v[26:27] op_sel:[0,1]
	s_waitcnt vmcnt(0)
	v_mad_i64_i32 v[24:25], s[0:1], v10, s26, v[14:15]
	global_load_dword v20, v[24:25], off
	ds_read_b128 v[10:13], v33
	s_waitcnt vmcnt(0)
	v_cmp_ne_u16_sdwa s[18:19], v20, v19 src0_sel:BYTE_0 src1_sel:DWORD
	s_and_saveexec_b64 s[0:1], s[18:19]
	s_cbranch_execz .LBB213_226
; %bb.221:                              ;   in Loop: Header=BB213_219 Depth=1
	v_bfrev_b32_e32 v22, 1
	v_cmp_ne_u16_sdwa s[20:21], v20, s34 src0_sel:BYTE_0 src1_sel:DWORD
	v_mov_b32_e32 v23, 0
	s_and_saveexec_b64 s[18:19], s[20:21]
	s_cbranch_execz .LBB213_225
; %bb.222:                              ;   in Loop: Header=BB213_219 Depth=1
	v_and_b32_e32 v18, 0x7f, v20
	v_mov_b32_e32 v22, 0x7f800001
	v_cmp_ne_u32_e32 vcc, s36, v18
	v_mov_b32_e32 v23, 0
	s_and_saveexec_b64 s[20:21], vcc
	s_cbranch_execz .LBB213_224
; %bb.223:                              ;   in Loop: Header=BB213_219 Depth=1
	v_and_b32_e32 v21, 7, v20
	v_ffbh_u32_e32 v22, v21
	v_min_u32_e32 v29, 32, v22
	v_subrev_u32_e32 v22, 28, v29
	v_lshlrev_b64 v[22:23], v22, v[20:21]
	v_lshrrev_b32_e32 v28, 3, v18
	v_sub_u32_e32 v23, 29, v29
	v_and_b32_e32 v22, 7, v22
	v_cmp_gt_u32_e32 vcc, 8, v18
	v_cndmask_b32_e32 v18, v28, v23, vcc
	v_cndmask_b32_e32 v21, v21, v22, vcc
	v_lshlrev_b32_e32 v21, 20, v21
	v_and_b32_sdwa v22, sext(v20), s13 dst_sel:DWORD dst_unused:UNUSED_PAD src0_sel:BYTE_0 src1_sel:DWORD
	v_lshl_add_u32 v18, v18, 23, v63
	v_or3_b32 v18, v22, v18, v21
	v_pk_mov_b32 v[22:23], v[18:19], v[18:19] op_sel:[0,1]
.LBB213_224:                            ;   in Loop: Header=BB213_219 Depth=1
	s_or_b64 exec, exec, s[20:21]
.LBB213_225:                            ;   in Loop: Header=BB213_219 Depth=1
	s_or_b64 exec, exec, s[18:19]
.LBB213_226:                            ;   in Loop: Header=BB213_219 Depth=1
	s_or_b64 exec, exec, s[0:1]
	v_cmp_ne_u16_sdwa s[18:19], v20, v19 src0_sel:BYTE_1 src1_sel:DWORD
	s_and_saveexec_b64 s[0:1], s[18:19]
	s_cbranch_execz .LBB213_232
; %bb.227:                              ;   in Loop: Header=BB213_219 Depth=1
	v_cmp_ne_u16_sdwa s[20:21], v20, s34 src0_sel:BYTE_1 src1_sel:DWORD
	v_pk_mov_b32 v[26:27], s[12:13], s[12:13] op_sel:[0,1]
	s_and_saveexec_b64 s[18:19], s[20:21]
	s_cbranch_execz .LBB213_231
; %bb.228:                              ;   in Loop: Header=BB213_219 Depth=1
	v_and_b32_sdwa v21, v20, s36 dst_sel:DWORD dst_unused:UNUSED_PAD src0_sel:BYTE_1 src1_sel:DWORD
	s_mov_b32 s10, s12
	v_cmp_ne_u32_e32 vcc, s36, v21
	v_pk_mov_b32 v[26:27], s[10:11], s[10:11] op_sel:[0,1]
	s_and_saveexec_b64 s[20:21], vcc
	s_cbranch_execz .LBB213_230
; %bb.229:                              ;   in Loop: Header=BB213_219 Depth=1
	v_and_b32_sdwa v18, v20, v64 dst_sel:DWORD dst_unused:UNUSED_PAD src0_sel:BYTE_1 src1_sel:DWORD
	v_ffbh_u32_e32 v26, v18
	v_min_u32_e32 v29, 32, v26
	v_subrev_u32_e32 v26, 28, v29
	v_lshlrev_b64 v[26:27], v26, v[18:19]
	v_lshrrev_b32_e32 v28, 3, v21
	v_sub_u32_e32 v27, 29, v29
	v_cmp_gt_u32_e32 vcc, 8, v21
	v_and_b32_e32 v26, 7, v26
	v_cndmask_b32_e32 v21, v28, v27, vcc
	v_cndmask_b32_e32 v18, v18, v26, vcc
	v_lshlrev_b32_e32 v26, 16, v20
	v_lshl_add_u32 v21, v21, 23, v63
	v_and_or_b32 v21, v26, s13, v21
	v_lshlrev_b32_e32 v18, 20, v18
	v_or_b32_e32 v27, v21, v18
	v_mov_b32_e32 v26, v19
.LBB213_230:                            ;   in Loop: Header=BB213_219 Depth=1
	s_or_b64 exec, exec, s[20:21]
.LBB213_231:                            ;   in Loop: Header=BB213_219 Depth=1
	s_or_b64 exec, exec, s[18:19]
.LBB213_232:                            ;   in Loop: Header=BB213_219 Depth=1
	s_or_b64 exec, exec, s[0:1]
	v_lshrrev_b32_e32 v18, 16, v20
	v_pk_mov_b32 v[34:35], 0, 0
	v_cmp_ne_u16_sdwa s[18:19], v18, v19 src0_sel:BYTE_0 src1_sel:DWORD
	v_pk_mov_b32 v[28:29], v[34:35], v[34:35] op_sel:[0,1]
	s_and_saveexec_b64 s[0:1], s[18:19]
	s_cbranch_execz .LBB213_238
; %bb.233:                              ;   in Loop: Header=BB213_219 Depth=1
	v_bfrev_b32_e32 v28, 1
	v_cmp_ne_u16_sdwa s[20:21], v18, s34 src0_sel:BYTE_0 src1_sel:DWORD
	v_mov_b32_e32 v29, 0
	s_and_saveexec_b64 s[18:19], s[20:21]
	s_cbranch_execz .LBB213_237
; %bb.234:                              ;   in Loop: Header=BB213_219 Depth=1
	v_bfe_u32 v21, v20, 16, 7
	v_mov_b32_e32 v28, 0x7f800001
	v_cmp_ne_u32_e32 vcc, s36, v21
	v_mov_b32_e32 v29, 0
	s_and_saveexec_b64 s[20:21], vcc
	s_cbranch_execz .LBB213_236
; %bb.235:                              ;   in Loop: Header=BB213_219 Depth=1
	v_and_b32_e32 v36, 7, v18
	v_ffbh_u32_e32 v28, v36
	v_min_u32_e32 v38, 32, v28
	v_subrev_u32_e32 v28, 28, v38
	v_lshlrev_b64 v[28:29], v28, v[18:19]
	v_lshrrev_b32_e32 v37, 3, v21
	v_sub_u32_e32 v29, 29, v38
	v_and_b32_e32 v28, 7, v28
	v_cmp_gt_u32_e32 vcc, 8, v21
	v_cndmask_b32_e32 v21, v37, v29, vcc
	v_cndmask_b32_e32 v28, v36, v28, vcc
	v_lshlrev_b32_e32 v28, 20, v28
	v_and_b32_sdwa v18, sext(v18), s13 dst_sel:DWORD dst_unused:UNUSED_PAD src0_sel:BYTE_0 src1_sel:DWORD
	v_lshl_add_u32 v21, v21, 23, v63
	v_or3_b32 v18, v18, v21, v28
	v_pk_mov_b32 v[28:29], v[18:19], v[18:19] op_sel:[0,1]
.LBB213_236:                            ;   in Loop: Header=BB213_219 Depth=1
	s_or_b64 exec, exec, s[20:21]
.LBB213_237:                            ;   in Loop: Header=BB213_219 Depth=1
	s_or_b64 exec, exec, s[18:19]
.LBB213_238:                            ;   in Loop: Header=BB213_219 Depth=1
	s_or_b64 exec, exec, s[0:1]
	v_cmp_lt_u32_e32 vcc, s37, v20
	s_and_saveexec_b64 s[0:1], vcc
	s_cbranch_execz .LBB213_244
; %bb.239:                              ;   in Loop: Header=BB213_219 Depth=1
	v_cmp_ne_u32_sdwa s[20:21], v20, s34 src0_sel:BYTE_3 src1_sel:DWORD
	v_pk_mov_b32 v[34:35], s[12:13], s[12:13] op_sel:[0,1]
	s_and_saveexec_b64 s[18:19], s[20:21]
	s_cbranch_execz .LBB213_243
; %bb.240:                              ;   in Loop: Header=BB213_219 Depth=1
	v_bfe_u32 v21, v20, 24, 7
	s_mov_b32 s10, s12
	v_cmp_ne_u32_e32 vcc, s36, v21
	v_pk_mov_b32 v[34:35], s[10:11], s[10:11] op_sel:[0,1]
	s_and_saveexec_b64 s[20:21], vcc
	s_cbranch_execz .LBB213_242
; %bb.241:                              ;   in Loop: Header=BB213_219 Depth=1
	v_and_b32_sdwa v18, v20, v64 dst_sel:DWORD dst_unused:UNUSED_PAD src0_sel:BYTE_3 src1_sel:DWORD
	v_ffbh_u32_e32 v34, v18
	v_min_u32_e32 v37, 32, v34
	v_subrev_u32_e32 v34, 28, v37
	v_lshlrev_b64 v[34:35], v34, v[18:19]
	v_lshrrev_b32_e32 v36, 3, v21
	v_sub_u32_e32 v35, 29, v37
	v_cmp_gt_u32_e32 vcc, 8, v21
	v_and_b32_e32 v34, 7, v34
	v_cndmask_b32_e32 v21, v36, v35, vcc
	v_cndmask_b32_e32 v18, v18, v34, vcc
	v_lshlrev_b32_sdwa v20, v65, v20 dst_sel:DWORD dst_unused:UNUSED_PAD src0_sel:DWORD src1_sel:BYTE_3
	v_lshl_add_u32 v21, v21, 23, v63
	v_and_or_b32 v20, v20, s13, v21
	v_lshlrev_b32_e32 v18, 20, v18
	v_or_b32_e32 v35, v20, v18
	v_mov_b32_e32 v34, v19
.LBB213_242:                            ;   in Loop: Header=BB213_219 Depth=1
	s_or_b64 exec, exec, s[20:21]
.LBB213_243:                            ;   in Loop: Header=BB213_219 Depth=1
	s_or_b64 exec, exec, s[18:19]
.LBB213_244:                            ;   in Loop: Header=BB213_219 Depth=1
	s_or_b64 exec, exec, s[0:1]
	v_add_u32_e32 v66, v61, v58
	v_or_b32_e32 v21, v27, v23
	v_or_b32_e32 v20, v26, v22
	;; [unrolled: 1-line block ×4, first 2 shown]
	v_cmp_eq_u32_e32 vcc, s27, v32
	s_waitcnt lgkmcnt(0)
	v_pk_mul_f32 v[20:21], s[16:17], v[20:21] op_sel_hi:[0,1]
	v_pk_mul_f32 v[22:23], s[16:17], v[22:23] op_sel_hi:[0,1]
	v_add_u32_e32 v69, 1, v66
	v_add_u32_e32 v68, 2, v66
	;; [unrolled: 1-line block ×3, first 2 shown]
	s_and_saveexec_b64 s[18:19], vcc
; %bb.245:                              ;   in Loop: Header=BB213_219 Depth=1
	v_cmp_gt_i32_e64 s[0:1], s33, v66
	v_cndmask_b32_e64 v20, 0, v20, s[0:1]
	v_cmp_gt_i32_e64 s[0:1], s33, v69
	v_cndmask_b32_e64 v21, 0, v21, s[0:1]
	;; [unrolled: 2-line block ×4, first 2 shown]
; %bb.246:                              ;   in Loop: Header=BB213_219 Depth=1
	s_or_b64 exec, exec, s[18:19]
	global_load_dword v26, v[24:25], off offset:256
	v_pk_mov_b32 v[34:35], 0, 0
	v_pk_mov_b32 v[28:29], v[34:35], v[34:35] op_sel:[0,1]
	s_waitcnt vmcnt(0)
	v_cmp_ne_u16_sdwa s[0:1], v26, v19 src0_sel:BYTE_0 src1_sel:DWORD
	s_and_saveexec_b64 s[18:19], s[0:1]
	s_cbranch_execz .LBB213_252
; %bb.247:                              ;   in Loop: Header=BB213_219 Depth=1
	v_bfrev_b32_e32 v28, 1
	v_cmp_ne_u16_sdwa s[0:1], v26, s34 src0_sel:BYTE_0 src1_sel:DWORD
	v_mov_b32_e32 v29, 0
	s_and_saveexec_b64 s[20:21], s[0:1]
	s_cbranch_execz .LBB213_251
; %bb.248:                              ;   in Loop: Header=BB213_219 Depth=1
	v_and_b32_e32 v18, 0x7f, v26
	v_mov_b32_e32 v28, 0x7f800001
	v_cmp_ne_u32_e64 s[0:1], s36, v18
	v_mov_b32_e32 v29, 0
	s_and_saveexec_b64 s[24:25], s[0:1]
	s_cbranch_execz .LBB213_250
; %bb.249:                              ;   in Loop: Header=BB213_219 Depth=1
	v_and_b32_e32 v27, 7, v26
	v_ffbh_u32_e32 v28, v27
	v_min_u32_e32 v37, 32, v28
	v_subrev_u32_e32 v28, 28, v37
	v_lshlrev_b64 v[28:29], v28, v[26:27]
	v_lshrrev_b32_e32 v36, 3, v18
	v_sub_u32_e32 v29, 29, v37
	v_and_b32_e32 v28, 7, v28
	v_cmp_gt_u32_e64 s[0:1], 8, v18
	v_cndmask_b32_e64 v18, v36, v29, s[0:1]
	v_cndmask_b32_e64 v27, v27, v28, s[0:1]
	v_lshlrev_b32_e32 v27, 20, v27
	v_and_b32_sdwa v28, sext(v26), s13 dst_sel:DWORD dst_unused:UNUSED_PAD src0_sel:BYTE_0 src1_sel:DWORD
	v_lshl_add_u32 v18, v18, 23, v63
	v_or3_b32 v18, v28, v18, v27
	v_pk_mov_b32 v[28:29], v[18:19], v[18:19] op_sel:[0,1]
.LBB213_250:                            ;   in Loop: Header=BB213_219 Depth=1
	s_or_b64 exec, exec, s[24:25]
.LBB213_251:                            ;   in Loop: Header=BB213_219 Depth=1
	s_or_b64 exec, exec, s[20:21]
.LBB213_252:                            ;   in Loop: Header=BB213_219 Depth=1
	s_or_b64 exec, exec, s[18:19]
	v_cmp_ne_u16_sdwa s[0:1], v26, v19 src0_sel:BYTE_1 src1_sel:DWORD
	s_and_saveexec_b64 s[18:19], s[0:1]
	s_cbranch_execz .LBB213_258
; %bb.253:                              ;   in Loop: Header=BB213_219 Depth=1
	v_cmp_ne_u16_sdwa s[0:1], v26, s34 src0_sel:BYTE_1 src1_sel:DWORD
	v_pk_mov_b32 v[34:35], s[12:13], s[12:13] op_sel:[0,1]
	s_and_saveexec_b64 s[20:21], s[0:1]
	s_cbranch_execz .LBB213_257
; %bb.254:                              ;   in Loop: Header=BB213_219 Depth=1
	v_and_b32_sdwa v27, v26, s36 dst_sel:DWORD dst_unused:UNUSED_PAD src0_sel:BYTE_1 src1_sel:DWORD
	s_mov_b32 s10, s12
	v_cmp_ne_u32_e64 s[0:1], s36, v27
	v_pk_mov_b32 v[34:35], s[10:11], s[10:11] op_sel:[0,1]
	s_and_saveexec_b64 s[24:25], s[0:1]
	s_cbranch_execz .LBB213_256
; %bb.255:                              ;   in Loop: Header=BB213_219 Depth=1
	v_and_b32_sdwa v18, v26, v64 dst_sel:DWORD dst_unused:UNUSED_PAD src0_sel:BYTE_1 src1_sel:DWORD
	v_ffbh_u32_e32 v34, v18
	v_min_u32_e32 v37, 32, v34
	v_subrev_u32_e32 v34, 28, v37
	v_lshlrev_b64 v[34:35], v34, v[18:19]
	v_lshrrev_b32_e32 v36, 3, v27
	v_sub_u32_e32 v35, 29, v37
	v_cmp_gt_u32_e64 s[0:1], 8, v27
	v_and_b32_e32 v34, 7, v34
	v_cndmask_b32_e64 v27, v36, v35, s[0:1]
	v_cndmask_b32_e64 v18, v18, v34, s[0:1]
	v_lshlrev_b32_e32 v34, 16, v26
	v_lshl_add_u32 v27, v27, 23, v63
	v_and_or_b32 v27, v34, s13, v27
	v_lshlrev_b32_e32 v18, 20, v18
	v_or_b32_e32 v35, v27, v18
	v_mov_b32_e32 v34, v19
.LBB213_256:                            ;   in Loop: Header=BB213_219 Depth=1
	s_or_b64 exec, exec, s[24:25]
.LBB213_257:                            ;   in Loop: Header=BB213_219 Depth=1
	s_or_b64 exec, exec, s[20:21]
.LBB213_258:                            ;   in Loop: Header=BB213_219 Depth=1
	s_or_b64 exec, exec, s[18:19]
	v_lshrrev_b32_e32 v18, 16, v26
	v_pk_mov_b32 v[38:39], 0, 0
	v_cmp_ne_u16_sdwa s[0:1], v18, v19 src0_sel:BYTE_0 src1_sel:DWORD
	v_pk_mov_b32 v[36:37], v[38:39], v[38:39] op_sel:[0,1]
	s_and_saveexec_b64 s[18:19], s[0:1]
	s_cbranch_execz .LBB213_264
; %bb.259:                              ;   in Loop: Header=BB213_219 Depth=1
	v_bfrev_b32_e32 v36, 1
	v_cmp_ne_u16_sdwa s[0:1], v18, s34 src0_sel:BYTE_0 src1_sel:DWORD
	v_mov_b32_e32 v37, 0
	s_and_saveexec_b64 s[20:21], s[0:1]
	s_cbranch_execz .LBB213_263
; %bb.260:                              ;   in Loop: Header=BB213_219 Depth=1
	v_bfe_u32 v27, v26, 16, 7
	v_mov_b32_e32 v36, 0x7f800001
	v_cmp_ne_u32_e64 s[0:1], s36, v27
	v_mov_b32_e32 v37, 0
	s_and_saveexec_b64 s[24:25], s[0:1]
	s_cbranch_execz .LBB213_262
; %bb.261:                              ;   in Loop: Header=BB213_219 Depth=1
	v_and_b32_e32 v40, 7, v18
	v_ffbh_u32_e32 v36, v40
	v_min_u32_e32 v42, 32, v36
	v_subrev_u32_e32 v36, 28, v42
	v_lshlrev_b64 v[36:37], v36, v[18:19]
	v_lshrrev_b32_e32 v41, 3, v27
	v_sub_u32_e32 v37, 29, v42
	v_and_b32_e32 v36, 7, v36
	v_cmp_gt_u32_e64 s[0:1], 8, v27
	v_cndmask_b32_e64 v27, v41, v37, s[0:1]
	v_cndmask_b32_e64 v36, v40, v36, s[0:1]
	v_lshlrev_b32_e32 v36, 20, v36
	v_and_b32_sdwa v18, sext(v18), s13 dst_sel:DWORD dst_unused:UNUSED_PAD src0_sel:BYTE_0 src1_sel:DWORD
	v_lshl_add_u32 v27, v27, 23, v63
	v_or3_b32 v18, v18, v27, v36
	v_pk_mov_b32 v[36:37], v[18:19], v[18:19] op_sel:[0,1]
.LBB213_262:                            ;   in Loop: Header=BB213_219 Depth=1
	s_or_b64 exec, exec, s[24:25]
.LBB213_263:                            ;   in Loop: Header=BB213_219 Depth=1
	s_or_b64 exec, exec, s[20:21]
.LBB213_264:                            ;   in Loop: Header=BB213_219 Depth=1
	s_or_b64 exec, exec, s[18:19]
	v_cmp_lt_u32_e64 s[0:1], s37, v26
	s_and_saveexec_b64 s[18:19], s[0:1]
	s_cbranch_execz .LBB213_270
; %bb.265:                              ;   in Loop: Header=BB213_219 Depth=1
	v_cmp_ne_u32_sdwa s[0:1], v26, s34 src0_sel:BYTE_3 src1_sel:DWORD
	v_pk_mov_b32 v[38:39], s[12:13], s[12:13] op_sel:[0,1]
	s_and_saveexec_b64 s[20:21], s[0:1]
	s_cbranch_execz .LBB213_269
; %bb.266:                              ;   in Loop: Header=BB213_219 Depth=1
	v_bfe_u32 v27, v26, 24, 7
	s_mov_b32 s10, s12
	v_cmp_ne_u32_e64 s[0:1], s36, v27
	v_pk_mov_b32 v[38:39], s[10:11], s[10:11] op_sel:[0,1]
	s_and_saveexec_b64 s[24:25], s[0:1]
	s_cbranch_execz .LBB213_268
; %bb.267:                              ;   in Loop: Header=BB213_219 Depth=1
	v_and_b32_sdwa v18, v26, v64 dst_sel:DWORD dst_unused:UNUSED_PAD src0_sel:BYTE_3 src1_sel:DWORD
	v_ffbh_u32_e32 v38, v18
	v_min_u32_e32 v41, 32, v38
	v_subrev_u32_e32 v38, 28, v41
	v_lshlrev_b64 v[38:39], v38, v[18:19]
	v_lshrrev_b32_e32 v40, 3, v27
	v_sub_u32_e32 v39, 29, v41
	v_cmp_gt_u32_e64 s[0:1], 8, v27
	v_and_b32_e32 v38, 7, v38
	v_cndmask_b32_e64 v27, v40, v39, s[0:1]
	v_cndmask_b32_e64 v18, v18, v38, s[0:1]
	v_lshlrev_b32_sdwa v26, v65, v26 dst_sel:DWORD dst_unused:UNUSED_PAD src0_sel:DWORD src1_sel:BYTE_3
	v_lshl_add_u32 v27, v27, 23, v63
	v_and_or_b32 v26, v26, s13, v27
	v_lshlrev_b32_e32 v18, 20, v18
	v_or_b32_e32 v39, v26, v18
	v_mov_b32_e32 v38, v19
.LBB213_268:                            ;   in Loop: Header=BB213_219 Depth=1
	s_or_b64 exec, exec, s[24:25]
.LBB213_269:                            ;   in Loop: Header=BB213_219 Depth=1
	s_or_b64 exec, exec, s[20:21]
.LBB213_270:                            ;   in Loop: Header=BB213_219 Depth=1
	s_or_b64 exec, exec, s[18:19]
	s_mov_b32 s17, s16
	v_or_b32_e32 v27, v35, v29
	v_or_b32_e32 v26, v34, v28
	;; [unrolled: 1-line block ×4, first 2 shown]
	v_pk_mul_f32 v[26:27], s[16:17], v[26:27]
	v_pk_mul_f32 v[28:29], s[16:17], v[28:29]
	s_and_saveexec_b64 s[18:19], vcc
; %bb.271:                              ;   in Loop: Header=BB213_219 Depth=1
	v_cmp_gt_i32_e64 s[0:1], s33, v66
	v_cndmask_b32_e64 v26, 0, v26, s[0:1]
	v_cmp_gt_i32_e64 s[0:1], s33, v69
	v_cndmask_b32_e64 v27, 0, v27, s[0:1]
	;; [unrolled: 2-line block ×4, first 2 shown]
; %bb.272:                              ;   in Loop: Header=BB213_219 Depth=1
	s_or_b64 exec, exec, s[18:19]
	global_load_dword v34, v[24:25], off offset:512
	v_pk_mov_b32 v[38:39], 0, 0
	v_pk_mov_b32 v[36:37], v[38:39], v[38:39] op_sel:[0,1]
	s_waitcnt vmcnt(0)
	v_cmp_ne_u16_sdwa s[0:1], v34, v19 src0_sel:BYTE_0 src1_sel:DWORD
	s_and_saveexec_b64 s[18:19], s[0:1]
	s_cbranch_execz .LBB213_278
; %bb.273:                              ;   in Loop: Header=BB213_219 Depth=1
	v_bfrev_b32_e32 v36, 1
	v_cmp_ne_u16_sdwa s[0:1], v34, s34 src0_sel:BYTE_0 src1_sel:DWORD
	v_mov_b32_e32 v37, 0
	s_and_saveexec_b64 s[20:21], s[0:1]
	s_cbranch_execz .LBB213_277
; %bb.274:                              ;   in Loop: Header=BB213_219 Depth=1
	v_and_b32_e32 v18, 0x7f, v34
	v_mov_b32_e32 v36, 0x7f800001
	v_cmp_ne_u32_e64 s[0:1], s36, v18
	v_mov_b32_e32 v37, 0
	s_and_saveexec_b64 s[24:25], s[0:1]
	s_cbranch_execz .LBB213_276
; %bb.275:                              ;   in Loop: Header=BB213_219 Depth=1
	v_and_b32_e32 v35, 7, v34
	v_ffbh_u32_e32 v36, v35
	v_min_u32_e32 v41, 32, v36
	v_subrev_u32_e32 v36, 28, v41
	v_lshlrev_b64 v[36:37], v36, v[34:35]
	v_lshrrev_b32_e32 v40, 3, v18
	v_sub_u32_e32 v37, 29, v41
	v_and_b32_e32 v36, 7, v36
	v_cmp_gt_u32_e64 s[0:1], 8, v18
	v_cndmask_b32_e64 v18, v40, v37, s[0:1]
	v_cndmask_b32_e64 v35, v35, v36, s[0:1]
	v_lshlrev_b32_e32 v35, 20, v35
	v_and_b32_sdwa v36, sext(v34), s13 dst_sel:DWORD dst_unused:UNUSED_PAD src0_sel:BYTE_0 src1_sel:DWORD
	v_lshl_add_u32 v18, v18, 23, v63
	v_or3_b32 v18, v36, v18, v35
	v_pk_mov_b32 v[36:37], v[18:19], v[18:19] op_sel:[0,1]
.LBB213_276:                            ;   in Loop: Header=BB213_219 Depth=1
	s_or_b64 exec, exec, s[24:25]
.LBB213_277:                            ;   in Loop: Header=BB213_219 Depth=1
	s_or_b64 exec, exec, s[20:21]
.LBB213_278:                            ;   in Loop: Header=BB213_219 Depth=1
	s_or_b64 exec, exec, s[18:19]
	v_cmp_ne_u16_sdwa s[0:1], v34, v19 src0_sel:BYTE_1 src1_sel:DWORD
	s_and_saveexec_b64 s[18:19], s[0:1]
	s_cbranch_execz .LBB213_284
; %bb.279:                              ;   in Loop: Header=BB213_219 Depth=1
	v_cmp_ne_u16_sdwa s[0:1], v34, s34 src0_sel:BYTE_1 src1_sel:DWORD
	v_pk_mov_b32 v[38:39], s[12:13], s[12:13] op_sel:[0,1]
	s_and_saveexec_b64 s[20:21], s[0:1]
	s_cbranch_execz .LBB213_283
; %bb.280:                              ;   in Loop: Header=BB213_219 Depth=1
	v_and_b32_sdwa v35, v34, s36 dst_sel:DWORD dst_unused:UNUSED_PAD src0_sel:BYTE_1 src1_sel:DWORD
	s_mov_b32 s10, s12
	v_cmp_ne_u32_e64 s[0:1], s36, v35
	v_pk_mov_b32 v[38:39], s[10:11], s[10:11] op_sel:[0,1]
	s_and_saveexec_b64 s[24:25], s[0:1]
	s_cbranch_execz .LBB213_282
; %bb.281:                              ;   in Loop: Header=BB213_219 Depth=1
	v_and_b32_sdwa v18, v34, v64 dst_sel:DWORD dst_unused:UNUSED_PAD src0_sel:BYTE_1 src1_sel:DWORD
	v_ffbh_u32_e32 v38, v18
	v_min_u32_e32 v41, 32, v38
	v_subrev_u32_e32 v38, 28, v41
	v_lshlrev_b64 v[38:39], v38, v[18:19]
	v_lshrrev_b32_e32 v40, 3, v35
	v_sub_u32_e32 v39, 29, v41
	v_cmp_gt_u32_e64 s[0:1], 8, v35
	v_and_b32_e32 v38, 7, v38
	v_cndmask_b32_e64 v35, v40, v39, s[0:1]
	v_cndmask_b32_e64 v18, v18, v38, s[0:1]
	v_lshlrev_b32_e32 v38, 16, v34
	v_lshl_add_u32 v35, v35, 23, v63
	v_and_or_b32 v35, v38, s13, v35
	v_lshlrev_b32_e32 v18, 20, v18
	v_or_b32_e32 v39, v35, v18
	v_mov_b32_e32 v38, v19
.LBB213_282:                            ;   in Loop: Header=BB213_219 Depth=1
	s_or_b64 exec, exec, s[24:25]
.LBB213_283:                            ;   in Loop: Header=BB213_219 Depth=1
	s_or_b64 exec, exec, s[20:21]
.LBB213_284:                            ;   in Loop: Header=BB213_219 Depth=1
	s_or_b64 exec, exec, s[18:19]
	v_lshrrev_b32_e32 v18, 16, v34
	v_pk_mov_b32 v[42:43], 0, 0
	v_cmp_ne_u16_sdwa s[0:1], v18, v19 src0_sel:BYTE_0 src1_sel:DWORD
	v_pk_mov_b32 v[40:41], v[42:43], v[42:43] op_sel:[0,1]
	s_and_saveexec_b64 s[18:19], s[0:1]
	s_cbranch_execz .LBB213_290
; %bb.285:                              ;   in Loop: Header=BB213_219 Depth=1
	v_bfrev_b32_e32 v40, 1
	v_cmp_ne_u16_sdwa s[0:1], v18, s34 src0_sel:BYTE_0 src1_sel:DWORD
	v_mov_b32_e32 v41, 0
	s_and_saveexec_b64 s[20:21], s[0:1]
	s_cbranch_execz .LBB213_289
; %bb.286:                              ;   in Loop: Header=BB213_219 Depth=1
	v_bfe_u32 v35, v34, 16, 7
	v_mov_b32_e32 v40, 0x7f800001
	v_cmp_ne_u32_e64 s[0:1], s36, v35
	v_mov_b32_e32 v41, 0
	s_and_saveexec_b64 s[24:25], s[0:1]
	s_cbranch_execz .LBB213_288
; %bb.287:                              ;   in Loop: Header=BB213_219 Depth=1
	v_and_b32_e32 v44, 7, v18
	v_ffbh_u32_e32 v40, v44
	v_min_u32_e32 v46, 32, v40
	v_subrev_u32_e32 v40, 28, v46
	v_lshlrev_b64 v[40:41], v40, v[18:19]
	v_lshrrev_b32_e32 v45, 3, v35
	v_sub_u32_e32 v41, 29, v46
	v_and_b32_e32 v40, 7, v40
	v_cmp_gt_u32_e64 s[0:1], 8, v35
	v_cndmask_b32_e64 v35, v45, v41, s[0:1]
	v_cndmask_b32_e64 v40, v44, v40, s[0:1]
	v_lshlrev_b32_e32 v40, 20, v40
	v_and_b32_sdwa v18, sext(v18), s13 dst_sel:DWORD dst_unused:UNUSED_PAD src0_sel:BYTE_0 src1_sel:DWORD
	v_lshl_add_u32 v35, v35, 23, v63
	v_or3_b32 v18, v18, v35, v40
	v_pk_mov_b32 v[40:41], v[18:19], v[18:19] op_sel:[0,1]
.LBB213_288:                            ;   in Loop: Header=BB213_219 Depth=1
	s_or_b64 exec, exec, s[24:25]
.LBB213_289:                            ;   in Loop: Header=BB213_219 Depth=1
	s_or_b64 exec, exec, s[20:21]
.LBB213_290:                            ;   in Loop: Header=BB213_219 Depth=1
	s_or_b64 exec, exec, s[18:19]
	v_cmp_lt_u32_e64 s[0:1], s37, v34
	s_and_saveexec_b64 s[18:19], s[0:1]
	s_cbranch_execz .LBB213_296
; %bb.291:                              ;   in Loop: Header=BB213_219 Depth=1
	v_cmp_ne_u32_sdwa s[0:1], v34, s34 src0_sel:BYTE_3 src1_sel:DWORD
	v_pk_mov_b32 v[42:43], s[12:13], s[12:13] op_sel:[0,1]
	s_and_saveexec_b64 s[20:21], s[0:1]
	s_cbranch_execz .LBB213_295
; %bb.292:                              ;   in Loop: Header=BB213_219 Depth=1
	v_bfe_u32 v35, v34, 24, 7
	s_mov_b32 s10, s12
	v_cmp_ne_u32_e64 s[0:1], s36, v35
	v_pk_mov_b32 v[42:43], s[10:11], s[10:11] op_sel:[0,1]
	s_and_saveexec_b64 s[24:25], s[0:1]
	s_cbranch_execz .LBB213_294
; %bb.293:                              ;   in Loop: Header=BB213_219 Depth=1
	v_and_b32_sdwa v18, v34, v64 dst_sel:DWORD dst_unused:UNUSED_PAD src0_sel:BYTE_3 src1_sel:DWORD
	v_ffbh_u32_e32 v42, v18
	v_min_u32_e32 v45, 32, v42
	v_subrev_u32_e32 v42, 28, v45
	v_lshlrev_b64 v[42:43], v42, v[18:19]
	v_lshrrev_b32_e32 v44, 3, v35
	v_sub_u32_e32 v43, 29, v45
	v_cmp_gt_u32_e64 s[0:1], 8, v35
	v_and_b32_e32 v42, 7, v42
	v_cndmask_b32_e64 v35, v44, v43, s[0:1]
	v_cndmask_b32_e64 v18, v18, v42, s[0:1]
	v_lshlrev_b32_sdwa v34, v65, v34 dst_sel:DWORD dst_unused:UNUSED_PAD src0_sel:DWORD src1_sel:BYTE_3
	v_lshl_add_u32 v35, v35, 23, v63
	v_and_or_b32 v34, v34, s13, v35
	v_lshlrev_b32_e32 v18, 20, v18
	v_or_b32_e32 v43, v34, v18
	v_mov_b32_e32 v42, v19
.LBB213_294:                            ;   in Loop: Header=BB213_219 Depth=1
	s_or_b64 exec, exec, s[24:25]
.LBB213_295:                            ;   in Loop: Header=BB213_219 Depth=1
	s_or_b64 exec, exec, s[20:21]
.LBB213_296:                            ;   in Loop: Header=BB213_219 Depth=1
	s_or_b64 exec, exec, s[18:19]
	v_or_b32_e32 v35, v39, v37
	v_or_b32_e32 v34, v38, v36
	;; [unrolled: 1-line block ×4, first 2 shown]
	v_pk_mul_f32 v[34:35], s[16:17], v[34:35]
	v_pk_mul_f32 v[36:37], s[16:17], v[36:37]
	s_and_saveexec_b64 s[18:19], vcc
; %bb.297:                              ;   in Loop: Header=BB213_219 Depth=1
	v_cmp_gt_i32_e64 s[0:1], s33, v66
	v_cndmask_b32_e64 v34, 0, v34, s[0:1]
	v_cmp_gt_i32_e64 s[0:1], s33, v69
	v_cndmask_b32_e64 v35, 0, v35, s[0:1]
	;; [unrolled: 2-line block ×4, first 2 shown]
; %bb.298:                              ;   in Loop: Header=BB213_219 Depth=1
	s_or_b64 exec, exec, s[18:19]
	global_load_dword v38, v[24:25], off offset:768
	v_pk_mov_b32 v[42:43], 0, 0
	v_pk_mov_b32 v[40:41], v[42:43], v[42:43] op_sel:[0,1]
	s_waitcnt vmcnt(0)
	v_cmp_ne_u16_sdwa s[0:1], v38, v19 src0_sel:BYTE_0 src1_sel:DWORD
	s_and_saveexec_b64 s[18:19], s[0:1]
	s_cbranch_execz .LBB213_304
; %bb.299:                              ;   in Loop: Header=BB213_219 Depth=1
	v_bfrev_b32_e32 v40, 1
	v_cmp_ne_u16_sdwa s[0:1], v38, s34 src0_sel:BYTE_0 src1_sel:DWORD
	v_mov_b32_e32 v41, 0
	s_and_saveexec_b64 s[20:21], s[0:1]
	s_cbranch_execz .LBB213_303
; %bb.300:                              ;   in Loop: Header=BB213_219 Depth=1
	v_and_b32_e32 v18, 0x7f, v38
	v_mov_b32_e32 v40, 0x7f800001
	v_cmp_ne_u32_e64 s[0:1], s36, v18
	v_mov_b32_e32 v41, 0
	s_and_saveexec_b64 s[24:25], s[0:1]
	s_cbranch_execz .LBB213_302
; %bb.301:                              ;   in Loop: Header=BB213_219 Depth=1
	v_and_b32_e32 v39, 7, v38
	v_ffbh_u32_e32 v40, v39
	v_min_u32_e32 v45, 32, v40
	v_subrev_u32_e32 v40, 28, v45
	v_lshlrev_b64 v[40:41], v40, v[38:39]
	v_lshrrev_b32_e32 v44, 3, v18
	v_sub_u32_e32 v41, 29, v45
	v_and_b32_e32 v40, 7, v40
	v_cmp_gt_u32_e64 s[0:1], 8, v18
	v_cndmask_b32_e64 v18, v44, v41, s[0:1]
	v_cndmask_b32_e64 v39, v39, v40, s[0:1]
	v_lshlrev_b32_e32 v39, 20, v39
	v_and_b32_sdwa v40, sext(v38), s13 dst_sel:DWORD dst_unused:UNUSED_PAD src0_sel:BYTE_0 src1_sel:DWORD
	v_lshl_add_u32 v18, v18, 23, v63
	v_or3_b32 v18, v40, v18, v39
	v_pk_mov_b32 v[40:41], v[18:19], v[18:19] op_sel:[0,1]
.LBB213_302:                            ;   in Loop: Header=BB213_219 Depth=1
	s_or_b64 exec, exec, s[24:25]
.LBB213_303:                            ;   in Loop: Header=BB213_219 Depth=1
	s_or_b64 exec, exec, s[20:21]
.LBB213_304:                            ;   in Loop: Header=BB213_219 Depth=1
	s_or_b64 exec, exec, s[18:19]
	v_cmp_ne_u16_sdwa s[0:1], v38, v19 src0_sel:BYTE_1 src1_sel:DWORD
	s_and_saveexec_b64 s[18:19], s[0:1]
	s_cbranch_execz .LBB213_310
; %bb.305:                              ;   in Loop: Header=BB213_219 Depth=1
	v_cmp_ne_u16_sdwa s[0:1], v38, s34 src0_sel:BYTE_1 src1_sel:DWORD
	v_pk_mov_b32 v[42:43], s[12:13], s[12:13] op_sel:[0,1]
	s_and_saveexec_b64 s[20:21], s[0:1]
	s_cbranch_execz .LBB213_309
; %bb.306:                              ;   in Loop: Header=BB213_219 Depth=1
	v_and_b32_sdwa v39, v38, s36 dst_sel:DWORD dst_unused:UNUSED_PAD src0_sel:BYTE_1 src1_sel:DWORD
	s_mov_b32 s10, s12
	v_cmp_ne_u32_e64 s[0:1], s36, v39
	v_pk_mov_b32 v[42:43], s[10:11], s[10:11] op_sel:[0,1]
	s_and_saveexec_b64 s[24:25], s[0:1]
	s_cbranch_execz .LBB213_308
; %bb.307:                              ;   in Loop: Header=BB213_219 Depth=1
	v_and_b32_sdwa v18, v38, v64 dst_sel:DWORD dst_unused:UNUSED_PAD src0_sel:BYTE_1 src1_sel:DWORD
	v_ffbh_u32_e32 v42, v18
	v_min_u32_e32 v45, 32, v42
	v_subrev_u32_e32 v42, 28, v45
	v_lshlrev_b64 v[42:43], v42, v[18:19]
	v_lshrrev_b32_e32 v44, 3, v39
	v_sub_u32_e32 v43, 29, v45
	v_cmp_gt_u32_e64 s[0:1], 8, v39
	v_and_b32_e32 v42, 7, v42
	v_cndmask_b32_e64 v39, v44, v43, s[0:1]
	v_cndmask_b32_e64 v18, v18, v42, s[0:1]
	v_lshlrev_b32_e32 v42, 16, v38
	v_lshl_add_u32 v39, v39, 23, v63
	v_and_or_b32 v39, v42, s13, v39
	v_lshlrev_b32_e32 v18, 20, v18
	v_or_b32_e32 v43, v39, v18
	v_mov_b32_e32 v42, v19
.LBB213_308:                            ;   in Loop: Header=BB213_219 Depth=1
	s_or_b64 exec, exec, s[24:25]
.LBB213_309:                            ;   in Loop: Header=BB213_219 Depth=1
	s_or_b64 exec, exec, s[20:21]
.LBB213_310:                            ;   in Loop: Header=BB213_219 Depth=1
	s_or_b64 exec, exec, s[18:19]
	v_lshrrev_b32_e32 v18, 16, v38
	v_pk_mov_b32 v[46:47], 0, 0
	v_cmp_ne_u16_sdwa s[0:1], v18, v19 src0_sel:BYTE_0 src1_sel:DWORD
	v_pk_mov_b32 v[44:45], v[46:47], v[46:47] op_sel:[0,1]
	s_and_saveexec_b64 s[18:19], s[0:1]
	s_cbranch_execz .LBB213_316
; %bb.311:                              ;   in Loop: Header=BB213_219 Depth=1
	v_bfrev_b32_e32 v44, 1
	v_cmp_ne_u16_sdwa s[0:1], v18, s34 src0_sel:BYTE_0 src1_sel:DWORD
	v_mov_b32_e32 v45, 0
	s_and_saveexec_b64 s[20:21], s[0:1]
	s_cbranch_execz .LBB213_315
; %bb.312:                              ;   in Loop: Header=BB213_219 Depth=1
	v_bfe_u32 v39, v38, 16, 7
	v_mov_b32_e32 v44, 0x7f800001
	v_cmp_ne_u32_e64 s[0:1], s36, v39
	v_mov_b32_e32 v45, 0
	s_and_saveexec_b64 s[24:25], s[0:1]
	s_cbranch_execz .LBB213_314
; %bb.313:                              ;   in Loop: Header=BB213_219 Depth=1
	v_and_b32_e32 v48, 7, v18
	v_ffbh_u32_e32 v44, v48
	v_min_u32_e32 v50, 32, v44
	v_subrev_u32_e32 v44, 28, v50
	v_lshlrev_b64 v[44:45], v44, v[18:19]
	v_lshrrev_b32_e32 v49, 3, v39
	v_sub_u32_e32 v45, 29, v50
	v_and_b32_e32 v44, 7, v44
	v_cmp_gt_u32_e64 s[0:1], 8, v39
	v_cndmask_b32_e64 v39, v49, v45, s[0:1]
	v_cndmask_b32_e64 v44, v48, v44, s[0:1]
	v_lshlrev_b32_e32 v44, 20, v44
	v_and_b32_sdwa v18, sext(v18), s13 dst_sel:DWORD dst_unused:UNUSED_PAD src0_sel:BYTE_0 src1_sel:DWORD
	v_lshl_add_u32 v39, v39, 23, v63
	v_or3_b32 v18, v18, v39, v44
	v_pk_mov_b32 v[44:45], v[18:19], v[18:19] op_sel:[0,1]
.LBB213_314:                            ;   in Loop: Header=BB213_219 Depth=1
	s_or_b64 exec, exec, s[24:25]
.LBB213_315:                            ;   in Loop: Header=BB213_219 Depth=1
	s_or_b64 exec, exec, s[20:21]
.LBB213_316:                            ;   in Loop: Header=BB213_219 Depth=1
	s_or_b64 exec, exec, s[18:19]
	v_cmp_lt_u32_e64 s[0:1], s37, v38
	s_and_saveexec_b64 s[18:19], s[0:1]
	s_cbranch_execz .LBB213_322
; %bb.317:                              ;   in Loop: Header=BB213_219 Depth=1
	v_cmp_ne_u32_sdwa s[0:1], v38, s34 src0_sel:BYTE_3 src1_sel:DWORD
	v_pk_mov_b32 v[46:47], s[12:13], s[12:13] op_sel:[0,1]
	s_and_saveexec_b64 s[20:21], s[0:1]
	s_cbranch_execz .LBB213_321
; %bb.318:                              ;   in Loop: Header=BB213_219 Depth=1
	v_bfe_u32 v39, v38, 24, 7
	s_mov_b32 s10, s12
	v_cmp_ne_u32_e64 s[0:1], s36, v39
	v_pk_mov_b32 v[46:47], s[10:11], s[10:11] op_sel:[0,1]
	s_and_saveexec_b64 s[24:25], s[0:1]
	s_cbranch_execz .LBB213_320
; %bb.319:                              ;   in Loop: Header=BB213_219 Depth=1
	v_and_b32_sdwa v18, v38, v64 dst_sel:DWORD dst_unused:UNUSED_PAD src0_sel:BYTE_3 src1_sel:DWORD
	v_ffbh_u32_e32 v46, v18
	v_min_u32_e32 v49, 32, v46
	v_subrev_u32_e32 v46, 28, v49
	v_lshlrev_b64 v[46:47], v46, v[18:19]
	v_lshrrev_b32_e32 v48, 3, v39
	v_sub_u32_e32 v47, 29, v49
	v_cmp_gt_u32_e64 s[0:1], 8, v39
	v_and_b32_e32 v46, 7, v46
	v_cndmask_b32_e64 v39, v48, v47, s[0:1]
	v_cndmask_b32_e64 v18, v18, v46, s[0:1]
	v_lshlrev_b32_sdwa v38, v65, v38 dst_sel:DWORD dst_unused:UNUSED_PAD src0_sel:DWORD src1_sel:BYTE_3
	v_lshl_add_u32 v39, v39, 23, v63
	v_and_or_b32 v38, v38, s13, v39
	v_lshlrev_b32_e32 v18, 20, v18
	v_or_b32_e32 v47, v38, v18
	v_mov_b32_e32 v46, v19
.LBB213_320:                            ;   in Loop: Header=BB213_219 Depth=1
	s_or_b64 exec, exec, s[24:25]
.LBB213_321:                            ;   in Loop: Header=BB213_219 Depth=1
	s_or_b64 exec, exec, s[20:21]
.LBB213_322:                            ;   in Loop: Header=BB213_219 Depth=1
	s_or_b64 exec, exec, s[18:19]
	v_or_b32_e32 v39, v43, v41
	v_or_b32_e32 v38, v42, v40
	;; [unrolled: 1-line block ×4, first 2 shown]
	v_pk_mul_f32 v[38:39], s[16:17], v[38:39]
	v_pk_mul_f32 v[40:41], s[16:17], v[40:41]
	s_and_saveexec_b64 s[18:19], vcc
; %bb.323:                              ;   in Loop: Header=BB213_219 Depth=1
	v_cmp_gt_i32_e64 s[0:1], s33, v66
	v_cndmask_b32_e64 v38, 0, v38, s[0:1]
	v_cmp_gt_i32_e64 s[0:1], s33, v69
	v_cndmask_b32_e64 v39, 0, v39, s[0:1]
	;; [unrolled: 2-line block ×4, first 2 shown]
; %bb.324:                              ;   in Loop: Header=BB213_219 Depth=1
	s_or_b64 exec, exec, s[18:19]
	global_load_dword v42, v[24:25], off offset:1024
	v_pk_mov_b32 v[46:47], 0, 0
	v_pk_mov_b32 v[44:45], v[46:47], v[46:47] op_sel:[0,1]
	s_waitcnt vmcnt(0)
	v_cmp_ne_u16_sdwa s[0:1], v42, v19 src0_sel:BYTE_0 src1_sel:DWORD
	s_and_saveexec_b64 s[18:19], s[0:1]
	s_cbranch_execz .LBB213_330
; %bb.325:                              ;   in Loop: Header=BB213_219 Depth=1
	v_bfrev_b32_e32 v44, 1
	v_cmp_ne_u16_sdwa s[0:1], v42, s34 src0_sel:BYTE_0 src1_sel:DWORD
	v_mov_b32_e32 v45, 0
	s_and_saveexec_b64 s[20:21], s[0:1]
	s_cbranch_execz .LBB213_329
; %bb.326:                              ;   in Loop: Header=BB213_219 Depth=1
	v_and_b32_e32 v18, 0x7f, v42
	v_mov_b32_e32 v44, 0x7f800001
	v_cmp_ne_u32_e64 s[0:1], s36, v18
	v_mov_b32_e32 v45, 0
	s_and_saveexec_b64 s[24:25], s[0:1]
	s_cbranch_execz .LBB213_328
; %bb.327:                              ;   in Loop: Header=BB213_219 Depth=1
	v_and_b32_e32 v43, 7, v42
	v_ffbh_u32_e32 v44, v43
	v_min_u32_e32 v49, 32, v44
	v_subrev_u32_e32 v44, 28, v49
	v_lshlrev_b64 v[44:45], v44, v[42:43]
	v_lshrrev_b32_e32 v48, 3, v18
	v_sub_u32_e32 v45, 29, v49
	v_and_b32_e32 v44, 7, v44
	v_cmp_gt_u32_e64 s[0:1], 8, v18
	v_cndmask_b32_e64 v18, v48, v45, s[0:1]
	v_cndmask_b32_e64 v43, v43, v44, s[0:1]
	v_lshlrev_b32_e32 v43, 20, v43
	v_and_b32_sdwa v44, sext(v42), s13 dst_sel:DWORD dst_unused:UNUSED_PAD src0_sel:BYTE_0 src1_sel:DWORD
	v_lshl_add_u32 v18, v18, 23, v63
	v_or3_b32 v18, v44, v18, v43
	v_pk_mov_b32 v[44:45], v[18:19], v[18:19] op_sel:[0,1]
.LBB213_328:                            ;   in Loop: Header=BB213_219 Depth=1
	s_or_b64 exec, exec, s[24:25]
.LBB213_329:                            ;   in Loop: Header=BB213_219 Depth=1
	s_or_b64 exec, exec, s[20:21]
.LBB213_330:                            ;   in Loop: Header=BB213_219 Depth=1
	s_or_b64 exec, exec, s[18:19]
	v_cmp_ne_u16_sdwa s[0:1], v42, v19 src0_sel:BYTE_1 src1_sel:DWORD
	s_and_saveexec_b64 s[18:19], s[0:1]
	s_cbranch_execz .LBB213_336
; %bb.331:                              ;   in Loop: Header=BB213_219 Depth=1
	v_cmp_ne_u16_sdwa s[0:1], v42, s34 src0_sel:BYTE_1 src1_sel:DWORD
	v_pk_mov_b32 v[46:47], s[12:13], s[12:13] op_sel:[0,1]
	s_and_saveexec_b64 s[20:21], s[0:1]
	s_cbranch_execz .LBB213_335
; %bb.332:                              ;   in Loop: Header=BB213_219 Depth=1
	v_and_b32_sdwa v43, v42, s36 dst_sel:DWORD dst_unused:UNUSED_PAD src0_sel:BYTE_1 src1_sel:DWORD
	s_mov_b32 s10, s12
	v_cmp_ne_u32_e64 s[0:1], s36, v43
	v_pk_mov_b32 v[46:47], s[10:11], s[10:11] op_sel:[0,1]
	s_and_saveexec_b64 s[24:25], s[0:1]
	s_cbranch_execz .LBB213_334
; %bb.333:                              ;   in Loop: Header=BB213_219 Depth=1
	v_and_b32_sdwa v18, v42, v64 dst_sel:DWORD dst_unused:UNUSED_PAD src0_sel:BYTE_1 src1_sel:DWORD
	v_ffbh_u32_e32 v46, v18
	v_min_u32_e32 v49, 32, v46
	v_subrev_u32_e32 v46, 28, v49
	v_lshlrev_b64 v[46:47], v46, v[18:19]
	v_lshrrev_b32_e32 v48, 3, v43
	v_sub_u32_e32 v47, 29, v49
	v_cmp_gt_u32_e64 s[0:1], 8, v43
	v_and_b32_e32 v46, 7, v46
	v_cndmask_b32_e64 v43, v48, v47, s[0:1]
	v_cndmask_b32_e64 v18, v18, v46, s[0:1]
	v_lshlrev_b32_e32 v46, 16, v42
	v_lshl_add_u32 v43, v43, 23, v63
	v_and_or_b32 v43, v46, s13, v43
	v_lshlrev_b32_e32 v18, 20, v18
	v_or_b32_e32 v47, v43, v18
	v_mov_b32_e32 v46, v19
.LBB213_334:                            ;   in Loop: Header=BB213_219 Depth=1
	s_or_b64 exec, exec, s[24:25]
.LBB213_335:                            ;   in Loop: Header=BB213_219 Depth=1
	s_or_b64 exec, exec, s[20:21]
.LBB213_336:                            ;   in Loop: Header=BB213_219 Depth=1
	s_or_b64 exec, exec, s[18:19]
	v_lshrrev_b32_e32 v18, 16, v42
	v_pk_mov_b32 v[50:51], 0, 0
	v_cmp_ne_u16_sdwa s[0:1], v18, v19 src0_sel:BYTE_0 src1_sel:DWORD
	v_pk_mov_b32 v[48:49], v[50:51], v[50:51] op_sel:[0,1]
	s_and_saveexec_b64 s[18:19], s[0:1]
	s_cbranch_execz .LBB213_342
; %bb.337:                              ;   in Loop: Header=BB213_219 Depth=1
	v_bfrev_b32_e32 v48, 1
	v_cmp_ne_u16_sdwa s[0:1], v18, s34 src0_sel:BYTE_0 src1_sel:DWORD
	v_mov_b32_e32 v49, 0
	s_and_saveexec_b64 s[20:21], s[0:1]
	s_cbranch_execz .LBB213_341
; %bb.338:                              ;   in Loop: Header=BB213_219 Depth=1
	v_bfe_u32 v43, v42, 16, 7
	v_mov_b32_e32 v48, 0x7f800001
	v_cmp_ne_u32_e64 s[0:1], s36, v43
	v_mov_b32_e32 v49, 0
	s_and_saveexec_b64 s[24:25], s[0:1]
	s_cbranch_execz .LBB213_340
; %bb.339:                              ;   in Loop: Header=BB213_219 Depth=1
	v_and_b32_e32 v52, 7, v18
	v_ffbh_u32_e32 v48, v52
	v_min_u32_e32 v54, 32, v48
	v_subrev_u32_e32 v48, 28, v54
	v_lshlrev_b64 v[48:49], v48, v[18:19]
	v_lshrrev_b32_e32 v53, 3, v43
	v_sub_u32_e32 v49, 29, v54
	v_and_b32_e32 v48, 7, v48
	v_cmp_gt_u32_e64 s[0:1], 8, v43
	v_cndmask_b32_e64 v43, v53, v49, s[0:1]
	v_cndmask_b32_e64 v48, v52, v48, s[0:1]
	v_lshlrev_b32_e32 v48, 20, v48
	v_and_b32_sdwa v18, sext(v18), s13 dst_sel:DWORD dst_unused:UNUSED_PAD src0_sel:BYTE_0 src1_sel:DWORD
	v_lshl_add_u32 v43, v43, 23, v63
	v_or3_b32 v18, v18, v43, v48
	v_pk_mov_b32 v[48:49], v[18:19], v[18:19] op_sel:[0,1]
.LBB213_340:                            ;   in Loop: Header=BB213_219 Depth=1
	s_or_b64 exec, exec, s[24:25]
.LBB213_341:                            ;   in Loop: Header=BB213_219 Depth=1
	s_or_b64 exec, exec, s[20:21]
.LBB213_342:                            ;   in Loop: Header=BB213_219 Depth=1
	s_or_b64 exec, exec, s[18:19]
	v_cmp_lt_u32_e64 s[0:1], s37, v42
	s_and_saveexec_b64 s[18:19], s[0:1]
	s_cbranch_execz .LBB213_348
; %bb.343:                              ;   in Loop: Header=BB213_219 Depth=1
	v_cmp_ne_u32_sdwa s[0:1], v42, s34 src0_sel:BYTE_3 src1_sel:DWORD
	v_pk_mov_b32 v[50:51], s[12:13], s[12:13] op_sel:[0,1]
	s_and_saveexec_b64 s[20:21], s[0:1]
	s_cbranch_execz .LBB213_347
; %bb.344:                              ;   in Loop: Header=BB213_219 Depth=1
	v_bfe_u32 v43, v42, 24, 7
	s_mov_b32 s10, s12
	v_cmp_ne_u32_e64 s[0:1], s36, v43
	v_pk_mov_b32 v[50:51], s[10:11], s[10:11] op_sel:[0,1]
	s_and_saveexec_b64 s[24:25], s[0:1]
	s_cbranch_execz .LBB213_346
; %bb.345:                              ;   in Loop: Header=BB213_219 Depth=1
	v_and_b32_sdwa v18, v42, v64 dst_sel:DWORD dst_unused:UNUSED_PAD src0_sel:BYTE_3 src1_sel:DWORD
	v_ffbh_u32_e32 v50, v18
	v_min_u32_e32 v53, 32, v50
	v_subrev_u32_e32 v50, 28, v53
	v_lshlrev_b64 v[50:51], v50, v[18:19]
	v_lshrrev_b32_e32 v52, 3, v43
	v_sub_u32_e32 v51, 29, v53
	v_cmp_gt_u32_e64 s[0:1], 8, v43
	v_and_b32_e32 v50, 7, v50
	v_cndmask_b32_e64 v43, v52, v51, s[0:1]
	v_cndmask_b32_e64 v18, v18, v50, s[0:1]
	v_lshlrev_b32_sdwa v42, v65, v42 dst_sel:DWORD dst_unused:UNUSED_PAD src0_sel:DWORD src1_sel:BYTE_3
	v_lshl_add_u32 v43, v43, 23, v63
	v_and_or_b32 v42, v42, s13, v43
	v_lshlrev_b32_e32 v18, 20, v18
	v_or_b32_e32 v51, v42, v18
	v_mov_b32_e32 v50, v19
.LBB213_346:                            ;   in Loop: Header=BB213_219 Depth=1
	s_or_b64 exec, exec, s[24:25]
.LBB213_347:                            ;   in Loop: Header=BB213_219 Depth=1
	s_or_b64 exec, exec, s[20:21]
.LBB213_348:                            ;   in Loop: Header=BB213_219 Depth=1
	s_or_b64 exec, exec, s[18:19]
	v_or_b32_e32 v43, v47, v45
	v_or_b32_e32 v42, v46, v44
	;; [unrolled: 1-line block ×4, first 2 shown]
	v_pk_mul_f32 v[42:43], s[16:17], v[42:43]
	v_pk_mul_f32 v[44:45], s[16:17], v[44:45]
	s_and_saveexec_b64 s[18:19], vcc
; %bb.349:                              ;   in Loop: Header=BB213_219 Depth=1
	v_cmp_gt_i32_e64 s[0:1], s33, v66
	v_cndmask_b32_e64 v42, 0, v42, s[0:1]
	v_cmp_gt_i32_e64 s[0:1], s33, v69
	v_cndmask_b32_e64 v43, 0, v43, s[0:1]
	;; [unrolled: 2-line block ×4, first 2 shown]
; %bb.350:                              ;   in Loop: Header=BB213_219 Depth=1
	s_or_b64 exec, exec, s[18:19]
	global_load_dword v46, v[24:25], off offset:1280
	v_pk_mov_b32 v[50:51], 0, 0
	v_pk_mov_b32 v[48:49], v[50:51], v[50:51] op_sel:[0,1]
	s_waitcnt vmcnt(0)
	v_cmp_ne_u16_sdwa s[0:1], v46, v19 src0_sel:BYTE_0 src1_sel:DWORD
	s_and_saveexec_b64 s[18:19], s[0:1]
	s_cbranch_execz .LBB213_356
; %bb.351:                              ;   in Loop: Header=BB213_219 Depth=1
	v_bfrev_b32_e32 v48, 1
	v_cmp_ne_u16_sdwa s[0:1], v46, s34 src0_sel:BYTE_0 src1_sel:DWORD
	v_mov_b32_e32 v49, 0
	s_and_saveexec_b64 s[20:21], s[0:1]
	s_cbranch_execz .LBB213_355
; %bb.352:                              ;   in Loop: Header=BB213_219 Depth=1
	v_and_b32_e32 v18, 0x7f, v46
	v_mov_b32_e32 v48, 0x7f800001
	v_cmp_ne_u32_e64 s[0:1], s36, v18
	v_mov_b32_e32 v49, 0
	s_and_saveexec_b64 s[24:25], s[0:1]
	s_cbranch_execz .LBB213_354
; %bb.353:                              ;   in Loop: Header=BB213_219 Depth=1
	v_and_b32_e32 v47, 7, v46
	v_ffbh_u32_e32 v48, v47
	v_min_u32_e32 v53, 32, v48
	v_subrev_u32_e32 v48, 28, v53
	v_lshlrev_b64 v[48:49], v48, v[46:47]
	v_lshrrev_b32_e32 v52, 3, v18
	v_sub_u32_e32 v49, 29, v53
	v_and_b32_e32 v48, 7, v48
	v_cmp_gt_u32_e64 s[0:1], 8, v18
	v_cndmask_b32_e64 v18, v52, v49, s[0:1]
	v_cndmask_b32_e64 v47, v47, v48, s[0:1]
	v_lshlrev_b32_e32 v47, 20, v47
	v_and_b32_sdwa v48, sext(v46), s13 dst_sel:DWORD dst_unused:UNUSED_PAD src0_sel:BYTE_0 src1_sel:DWORD
	v_lshl_add_u32 v18, v18, 23, v63
	v_or3_b32 v18, v48, v18, v47
	v_pk_mov_b32 v[48:49], v[18:19], v[18:19] op_sel:[0,1]
.LBB213_354:                            ;   in Loop: Header=BB213_219 Depth=1
	s_or_b64 exec, exec, s[24:25]
.LBB213_355:                            ;   in Loop: Header=BB213_219 Depth=1
	s_or_b64 exec, exec, s[20:21]
.LBB213_356:                            ;   in Loop: Header=BB213_219 Depth=1
	s_or_b64 exec, exec, s[18:19]
	v_cmp_ne_u16_sdwa s[0:1], v46, v19 src0_sel:BYTE_1 src1_sel:DWORD
	s_and_saveexec_b64 s[18:19], s[0:1]
	s_cbranch_execz .LBB213_362
; %bb.357:                              ;   in Loop: Header=BB213_219 Depth=1
	v_cmp_ne_u16_sdwa s[0:1], v46, s34 src0_sel:BYTE_1 src1_sel:DWORD
	v_pk_mov_b32 v[50:51], s[12:13], s[12:13] op_sel:[0,1]
	s_and_saveexec_b64 s[20:21], s[0:1]
	s_cbranch_execz .LBB213_361
; %bb.358:                              ;   in Loop: Header=BB213_219 Depth=1
	v_and_b32_sdwa v47, v46, s36 dst_sel:DWORD dst_unused:UNUSED_PAD src0_sel:BYTE_1 src1_sel:DWORD
	s_mov_b32 s10, s12
	v_cmp_ne_u32_e64 s[0:1], s36, v47
	v_pk_mov_b32 v[50:51], s[10:11], s[10:11] op_sel:[0,1]
	s_and_saveexec_b64 s[24:25], s[0:1]
	s_cbranch_execz .LBB213_360
; %bb.359:                              ;   in Loop: Header=BB213_219 Depth=1
	v_and_b32_sdwa v18, v46, v64 dst_sel:DWORD dst_unused:UNUSED_PAD src0_sel:BYTE_1 src1_sel:DWORD
	v_ffbh_u32_e32 v50, v18
	v_min_u32_e32 v53, 32, v50
	v_subrev_u32_e32 v50, 28, v53
	v_lshlrev_b64 v[50:51], v50, v[18:19]
	v_lshrrev_b32_e32 v52, 3, v47
	v_sub_u32_e32 v51, 29, v53
	v_cmp_gt_u32_e64 s[0:1], 8, v47
	v_and_b32_e32 v50, 7, v50
	v_cndmask_b32_e64 v47, v52, v51, s[0:1]
	v_cndmask_b32_e64 v18, v18, v50, s[0:1]
	v_lshlrev_b32_e32 v50, 16, v46
	v_lshl_add_u32 v47, v47, 23, v63
	v_and_or_b32 v47, v50, s13, v47
	v_lshlrev_b32_e32 v18, 20, v18
	v_or_b32_e32 v51, v47, v18
	v_mov_b32_e32 v50, v19
.LBB213_360:                            ;   in Loop: Header=BB213_219 Depth=1
	s_or_b64 exec, exec, s[24:25]
.LBB213_361:                            ;   in Loop: Header=BB213_219 Depth=1
	s_or_b64 exec, exec, s[20:21]
.LBB213_362:                            ;   in Loop: Header=BB213_219 Depth=1
	s_or_b64 exec, exec, s[18:19]
	v_lshrrev_b32_e32 v18, 16, v46
	v_pk_mov_b32 v[54:55], 0, 0
	v_cmp_ne_u16_sdwa s[0:1], v18, v19 src0_sel:BYTE_0 src1_sel:DWORD
	v_pk_mov_b32 v[52:53], v[54:55], v[54:55] op_sel:[0,1]
	s_and_saveexec_b64 s[18:19], s[0:1]
	s_cbranch_execz .LBB213_368
; %bb.363:                              ;   in Loop: Header=BB213_219 Depth=1
	v_bfrev_b32_e32 v52, 1
	v_cmp_ne_u16_sdwa s[0:1], v18, s34 src0_sel:BYTE_0 src1_sel:DWORD
	v_mov_b32_e32 v53, 0
	s_and_saveexec_b64 s[20:21], s[0:1]
	s_cbranch_execz .LBB213_367
; %bb.364:                              ;   in Loop: Header=BB213_219 Depth=1
	v_bfe_u32 v47, v46, 16, 7
	v_mov_b32_e32 v52, 0x7f800001
	v_cmp_ne_u32_e64 s[0:1], s36, v47
	v_mov_b32_e32 v53, 0
	s_and_saveexec_b64 s[24:25], s[0:1]
	s_cbranch_execz .LBB213_366
; %bb.365:                              ;   in Loop: Header=BB213_219 Depth=1
	v_and_b32_e32 v56, 7, v18
	v_ffbh_u32_e32 v52, v56
	v_min_u32_e32 v70, 32, v52
	v_subrev_u32_e32 v52, 28, v70
	v_lshlrev_b64 v[52:53], v52, v[18:19]
	v_lshrrev_b32_e32 v57, 3, v47
	v_sub_u32_e32 v53, 29, v70
	v_and_b32_e32 v52, 7, v52
	v_cmp_gt_u32_e64 s[0:1], 8, v47
	v_cndmask_b32_e64 v47, v57, v53, s[0:1]
	v_cndmask_b32_e64 v52, v56, v52, s[0:1]
	v_lshlrev_b32_e32 v52, 20, v52
	v_and_b32_sdwa v18, sext(v18), s13 dst_sel:DWORD dst_unused:UNUSED_PAD src0_sel:BYTE_0 src1_sel:DWORD
	v_lshl_add_u32 v47, v47, 23, v63
	v_or3_b32 v18, v18, v47, v52
	v_pk_mov_b32 v[52:53], v[18:19], v[18:19] op_sel:[0,1]
.LBB213_366:                            ;   in Loop: Header=BB213_219 Depth=1
	s_or_b64 exec, exec, s[24:25]
.LBB213_367:                            ;   in Loop: Header=BB213_219 Depth=1
	s_or_b64 exec, exec, s[20:21]
.LBB213_368:                            ;   in Loop: Header=BB213_219 Depth=1
	s_or_b64 exec, exec, s[18:19]
	v_cmp_lt_u32_e64 s[0:1], s37, v46
	s_and_saveexec_b64 s[18:19], s[0:1]
	s_cbranch_execz .LBB213_374
; %bb.369:                              ;   in Loop: Header=BB213_219 Depth=1
	v_cmp_ne_u32_sdwa s[0:1], v46, s34 src0_sel:BYTE_3 src1_sel:DWORD
	v_pk_mov_b32 v[54:55], s[12:13], s[12:13] op_sel:[0,1]
	s_and_saveexec_b64 s[20:21], s[0:1]
	s_cbranch_execz .LBB213_373
; %bb.370:                              ;   in Loop: Header=BB213_219 Depth=1
	v_bfe_u32 v47, v46, 24, 7
	s_mov_b32 s10, s12
	v_cmp_ne_u32_e64 s[0:1], s36, v47
	v_pk_mov_b32 v[54:55], s[10:11], s[10:11] op_sel:[0,1]
	s_and_saveexec_b64 s[24:25], s[0:1]
	s_cbranch_execz .LBB213_372
; %bb.371:                              ;   in Loop: Header=BB213_219 Depth=1
	v_and_b32_sdwa v18, v46, v64 dst_sel:DWORD dst_unused:UNUSED_PAD src0_sel:BYTE_3 src1_sel:DWORD
	v_ffbh_u32_e32 v54, v18
	v_min_u32_e32 v57, 32, v54
	v_subrev_u32_e32 v54, 28, v57
	v_lshlrev_b64 v[54:55], v54, v[18:19]
	v_lshrrev_b32_e32 v56, 3, v47
	v_sub_u32_e32 v55, 29, v57
	v_cmp_gt_u32_e64 s[0:1], 8, v47
	v_and_b32_e32 v54, 7, v54
	v_cndmask_b32_e64 v47, v56, v55, s[0:1]
	v_cndmask_b32_e64 v18, v18, v54, s[0:1]
	v_lshlrev_b32_sdwa v46, v65, v46 dst_sel:DWORD dst_unused:UNUSED_PAD src0_sel:DWORD src1_sel:BYTE_3
	v_lshl_add_u32 v47, v47, 23, v63
	v_and_or_b32 v46, v46, s13, v47
	v_lshlrev_b32_e32 v18, 20, v18
	v_or_b32_e32 v55, v46, v18
	v_mov_b32_e32 v54, v19
.LBB213_372:                            ;   in Loop: Header=BB213_219 Depth=1
	s_or_b64 exec, exec, s[24:25]
.LBB213_373:                            ;   in Loop: Header=BB213_219 Depth=1
	s_or_b64 exec, exec, s[20:21]
.LBB213_374:                            ;   in Loop: Header=BB213_219 Depth=1
	s_or_b64 exec, exec, s[18:19]
	v_or_b32_e32 v47, v51, v49
	v_or_b32_e32 v46, v50, v48
	;; [unrolled: 1-line block ×4, first 2 shown]
	v_pk_mul_f32 v[46:47], s[16:17], v[46:47]
	v_pk_mul_f32 v[48:49], s[16:17], v[48:49]
	s_and_saveexec_b64 s[18:19], vcc
; %bb.375:                              ;   in Loop: Header=BB213_219 Depth=1
	v_cmp_gt_i32_e64 s[0:1], s33, v66
	v_cndmask_b32_e64 v46, 0, v46, s[0:1]
	v_cmp_gt_i32_e64 s[0:1], s33, v69
	v_cndmask_b32_e64 v47, 0, v47, s[0:1]
	v_cmp_gt_i32_e64 s[0:1], s33, v68
	v_cndmask_b32_e64 v48, 0, v48, s[0:1]
	v_cmp_gt_i32_e64 s[0:1], s33, v67
	v_cndmask_b32_e64 v49, 0, v49, s[0:1]
; %bb.376:                              ;   in Loop: Header=BB213_219 Depth=1
	s_or_b64 exec, exec, s[18:19]
	global_load_dword v24, v[24:25], off offset:1536
	v_pk_mov_b32 v[52:53], 0, 0
	v_pk_mov_b32 v[50:51], v[52:53], v[52:53] op_sel:[0,1]
	s_waitcnt vmcnt(0)
	v_cmp_ne_u16_sdwa s[0:1], v24, v19 src0_sel:BYTE_0 src1_sel:DWORD
	s_and_saveexec_b64 s[18:19], s[0:1]
	s_cbranch_execz .LBB213_382
; %bb.377:                              ;   in Loop: Header=BB213_219 Depth=1
	v_bfrev_b32_e32 v50, 1
	v_cmp_ne_u16_sdwa s[0:1], v24, s34 src0_sel:BYTE_0 src1_sel:DWORD
	v_mov_b32_e32 v51, 0
	s_and_saveexec_b64 s[20:21], s[0:1]
	s_cbranch_execz .LBB213_381
; %bb.378:                              ;   in Loop: Header=BB213_219 Depth=1
	v_and_b32_e32 v18, 0x7f, v24
	v_mov_b32_e32 v50, 0x7f800001
	v_cmp_ne_u32_e64 s[0:1], s36, v18
	v_mov_b32_e32 v51, 0
	s_and_saveexec_b64 s[24:25], s[0:1]
	s_cbranch_execz .LBB213_380
; %bb.379:                              ;   in Loop: Header=BB213_219 Depth=1
	v_and_b32_e32 v25, 7, v24
	v_ffbh_u32_e32 v50, v25
	v_min_u32_e32 v55, 32, v50
	v_subrev_u32_e32 v50, 28, v55
	v_lshlrev_b64 v[50:51], v50, v[24:25]
	v_lshrrev_b32_e32 v54, 3, v18
	v_sub_u32_e32 v51, 29, v55
	v_and_b32_e32 v50, 7, v50
	v_cmp_gt_u32_e64 s[0:1], 8, v18
	v_cndmask_b32_e64 v18, v54, v51, s[0:1]
	v_cndmask_b32_e64 v25, v25, v50, s[0:1]
	v_lshlrev_b32_e32 v25, 20, v25
	v_and_b32_sdwa v50, sext(v24), s13 dst_sel:DWORD dst_unused:UNUSED_PAD src0_sel:BYTE_0 src1_sel:DWORD
	v_lshl_add_u32 v18, v18, 23, v63
	v_or3_b32 v18, v50, v18, v25
	v_pk_mov_b32 v[50:51], v[18:19], v[18:19] op_sel:[0,1]
.LBB213_380:                            ;   in Loop: Header=BB213_219 Depth=1
	s_or_b64 exec, exec, s[24:25]
.LBB213_381:                            ;   in Loop: Header=BB213_219 Depth=1
	s_or_b64 exec, exec, s[20:21]
.LBB213_382:                            ;   in Loop: Header=BB213_219 Depth=1
	s_or_b64 exec, exec, s[18:19]
	v_cmp_ne_u16_sdwa s[0:1], v24, v19 src0_sel:BYTE_1 src1_sel:DWORD
	s_and_saveexec_b64 s[18:19], s[0:1]
	s_cbranch_execz .LBB213_388
; %bb.383:                              ;   in Loop: Header=BB213_219 Depth=1
	v_cmp_ne_u16_sdwa s[0:1], v24, s34 src0_sel:BYTE_1 src1_sel:DWORD
	v_pk_mov_b32 v[52:53], s[12:13], s[12:13] op_sel:[0,1]
	s_and_saveexec_b64 s[20:21], s[0:1]
	s_cbranch_execz .LBB213_387
; %bb.384:                              ;   in Loop: Header=BB213_219 Depth=1
	v_and_b32_sdwa v25, v24, s36 dst_sel:DWORD dst_unused:UNUSED_PAD src0_sel:BYTE_1 src1_sel:DWORD
	s_mov_b32 s10, s12
	v_cmp_ne_u32_e64 s[0:1], s36, v25
	v_pk_mov_b32 v[52:53], s[10:11], s[10:11] op_sel:[0,1]
	s_and_saveexec_b64 s[24:25], s[0:1]
	s_cbranch_execz .LBB213_386
; %bb.385:                              ;   in Loop: Header=BB213_219 Depth=1
	v_and_b32_sdwa v18, v24, v64 dst_sel:DWORD dst_unused:UNUSED_PAD src0_sel:BYTE_1 src1_sel:DWORD
	v_ffbh_u32_e32 v52, v18
	v_min_u32_e32 v55, 32, v52
	v_subrev_u32_e32 v52, 28, v55
	v_lshlrev_b64 v[52:53], v52, v[18:19]
	v_lshrrev_b32_e32 v54, 3, v25
	v_sub_u32_e32 v53, 29, v55
	v_cmp_gt_u32_e64 s[0:1], 8, v25
	v_and_b32_e32 v52, 7, v52
	v_cndmask_b32_e64 v25, v54, v53, s[0:1]
	v_cndmask_b32_e64 v18, v18, v52, s[0:1]
	v_lshlrev_b32_e32 v52, 16, v24
	v_lshl_add_u32 v25, v25, 23, v63
	v_and_or_b32 v25, v52, s13, v25
	v_lshlrev_b32_e32 v18, 20, v18
	v_or_b32_e32 v53, v25, v18
	v_mov_b32_e32 v52, v19
.LBB213_386:                            ;   in Loop: Header=BB213_219 Depth=1
	s_or_b64 exec, exec, s[24:25]
.LBB213_387:                            ;   in Loop: Header=BB213_219 Depth=1
	s_or_b64 exec, exec, s[20:21]
.LBB213_388:                            ;   in Loop: Header=BB213_219 Depth=1
	s_or_b64 exec, exec, s[18:19]
	v_lshrrev_b32_e32 v18, 16, v24
	v_pk_mov_b32 v[56:57], 0, 0
	v_cmp_ne_u16_sdwa s[0:1], v18, v19 src0_sel:BYTE_0 src1_sel:DWORD
	v_pk_mov_b32 v[54:55], v[56:57], v[56:57] op_sel:[0,1]
	s_and_saveexec_b64 s[18:19], s[0:1]
	s_cbranch_execz .LBB213_394
; %bb.389:                              ;   in Loop: Header=BB213_219 Depth=1
	v_bfrev_b32_e32 v54, 1
	v_cmp_ne_u16_sdwa s[0:1], v18, s34 src0_sel:BYTE_0 src1_sel:DWORD
	v_mov_b32_e32 v55, 0
	s_and_saveexec_b64 s[20:21], s[0:1]
	s_cbranch_execz .LBB213_393
; %bb.390:                              ;   in Loop: Header=BB213_219 Depth=1
	v_bfe_u32 v25, v24, 16, 7
	v_mov_b32_e32 v54, 0x7f800001
	v_cmp_ne_u32_e64 s[0:1], s36, v25
	v_mov_b32_e32 v55, 0
	s_and_saveexec_b64 s[24:25], s[0:1]
	s_cbranch_execz .LBB213_392
; %bb.391:                              ;   in Loop: Header=BB213_219 Depth=1
	v_and_b32_e32 v70, 7, v18
	v_ffbh_u32_e32 v54, v70
	v_min_u32_e32 v72, 32, v54
	v_subrev_u32_e32 v54, 28, v72
	v_lshlrev_b64 v[54:55], v54, v[18:19]
	v_lshrrev_b32_e32 v71, 3, v25
	v_sub_u32_e32 v55, 29, v72
	v_and_b32_e32 v54, 7, v54
	v_cmp_gt_u32_e64 s[0:1], 8, v25
	v_cndmask_b32_e64 v25, v71, v55, s[0:1]
	v_cndmask_b32_e64 v54, v70, v54, s[0:1]
	v_lshlrev_b32_e32 v54, 20, v54
	v_and_b32_sdwa v18, sext(v18), s13 dst_sel:DWORD dst_unused:UNUSED_PAD src0_sel:BYTE_0 src1_sel:DWORD
	v_lshl_add_u32 v25, v25, 23, v63
	v_or3_b32 v18, v18, v25, v54
	v_pk_mov_b32 v[54:55], v[18:19], v[18:19] op_sel:[0,1]
.LBB213_392:                            ;   in Loop: Header=BB213_219 Depth=1
	s_or_b64 exec, exec, s[24:25]
.LBB213_393:                            ;   in Loop: Header=BB213_219 Depth=1
	s_or_b64 exec, exec, s[20:21]
.LBB213_394:                            ;   in Loop: Header=BB213_219 Depth=1
	s_or_b64 exec, exec, s[18:19]
	v_cmp_lt_u32_e64 s[0:1], s37, v24
	s_and_saveexec_b64 s[18:19], s[0:1]
	s_cbranch_execz .LBB213_400
; %bb.395:                              ;   in Loop: Header=BB213_219 Depth=1
	v_cmp_ne_u32_sdwa s[0:1], v24, s34 src0_sel:BYTE_3 src1_sel:DWORD
	v_pk_mov_b32 v[56:57], s[12:13], s[12:13] op_sel:[0,1]
	s_and_saveexec_b64 s[20:21], s[0:1]
	s_cbranch_execz .LBB213_399
; %bb.396:                              ;   in Loop: Header=BB213_219 Depth=1
	v_bfe_u32 v25, v24, 24, 7
	s_mov_b32 s10, s12
	v_cmp_ne_u32_e64 s[0:1], s36, v25
	v_pk_mov_b32 v[56:57], s[10:11], s[10:11] op_sel:[0,1]
	s_and_saveexec_b64 s[24:25], s[0:1]
	s_cbranch_execz .LBB213_398
; %bb.397:                              ;   in Loop: Header=BB213_219 Depth=1
	v_and_b32_sdwa v18, v24, v64 dst_sel:DWORD dst_unused:UNUSED_PAD src0_sel:BYTE_3 src1_sel:DWORD
	v_ffbh_u32_e32 v56, v18
	v_min_u32_e32 v71, 32, v56
	v_subrev_u32_e32 v56, 28, v71
	v_lshlrev_b64 v[56:57], v56, v[18:19]
	v_lshrrev_b32_e32 v70, 3, v25
	v_sub_u32_e32 v57, 29, v71
	v_cmp_gt_u32_e64 s[0:1], 8, v25
	v_and_b32_e32 v56, 7, v56
	v_cndmask_b32_e64 v25, v70, v57, s[0:1]
	v_cndmask_b32_e64 v18, v18, v56, s[0:1]
	v_lshlrev_b32_sdwa v24, v65, v24 dst_sel:DWORD dst_unused:UNUSED_PAD src0_sel:DWORD src1_sel:BYTE_3
	v_lshl_add_u32 v25, v25, 23, v63
	v_and_or_b32 v24, v24, s13, v25
	v_lshlrev_b32_e32 v18, 20, v18
	v_or_b32_e32 v57, v24, v18
	v_mov_b32_e32 v56, v19
.LBB213_398:                            ;   in Loop: Header=BB213_219 Depth=1
	s_or_b64 exec, exec, s[24:25]
.LBB213_399:                            ;   in Loop: Header=BB213_219 Depth=1
	s_or_b64 exec, exec, s[20:21]
.LBB213_400:                            ;   in Loop: Header=BB213_219 Depth=1
	s_or_b64 exec, exec, s[18:19]
	v_or_b32_e32 v25, v53, v51
	v_or_b32_e32 v24, v52, v50
	v_or_b32_e32 v51, v57, v55
	v_or_b32_e32 v50, v56, v54
	v_pk_mul_f32 v[24:25], s[16:17], v[24:25]
	v_pk_mul_f32 v[50:51], s[16:17], v[50:51]
	s_and_saveexec_b64 s[0:1], vcc
	s_cbranch_execz .LBB213_217
; %bb.401:                              ;   in Loop: Header=BB213_219 Depth=1
	v_cmp_gt_i32_e32 vcc, s33, v66
	v_cndmask_b32_e32 v24, 0, v24, vcc
	v_cmp_gt_i32_e32 vcc, s33, v69
	v_cndmask_b32_e32 v25, 0, v25, vcc
	;; [unrolled: 2-line block ×4, first 2 shown]
	s_branch .LBB213_217
.LBB213_402:
	s_or_b64 exec, exec, s[6:7]
.LBB213_403:
	s_or_b64 exec, exec, s[4:5]
	ds_bpermute_b32 v10, v60, v2
	ds_bpermute_b32 v11, v60, v3
	;; [unrolled: 1-line block ×7, first 2 shown]
	s_waitcnt lgkmcnt(5)
	v_pk_add_f32 v[2:3], v[2:3], v[10:11]
	s_waitcnt lgkmcnt(3)
	v_pk_add_f32 v[6:7], v[6:7], v[14:15]
	ds_bpermute_b32 v10, v9, v2
	ds_bpermute_b32 v11, v9, v3
	s_waitcnt lgkmcnt(3)
	v_pk_add_f32 v[4:5], v[4:5], v[12:13]
	ds_bpermute_b32 v14, v9, v6
	ds_bpermute_b32 v15, v9, v7
	s_waitcnt lgkmcnt(4)
	v_add_f32_e32 v16, v8, v16
	ds_bpermute_b32 v12, v9, v4
	ds_bpermute_b32 v13, v9, v5
	;; [unrolled: 1-line block ×3, first 2 shown]
	s_waitcnt lgkmcnt(5)
	v_pk_add_f32 v[8:9], v[2:3], v[10:11]
	s_waitcnt lgkmcnt(3)
	v_pk_add_f32 v[2:3], v[6:7], v[14:15]
	v_and_b32_e32 v7, 0x3c3, v0
	s_waitcnt lgkmcnt(1)
	v_pk_add_f32 v[4:5], v[4:5], v[12:13]
	s_waitcnt lgkmcnt(0)
	v_add_f32_e32 v6, v16, v17
	v_cmp_eq_u32_e32 vcc, 64, v7
	s_barrier
	s_and_saveexec_b64 s[0:1], vcc
	s_cbranch_execz .LBB213_405
; %bb.404:
	v_add_u32_e32 v10, 0x1d0, v59
	ds_write2_b32 v10, v8, v9 offset1:16
	ds_write2_b32 v10, v4, v5 offset0:32 offset1:48
	ds_write2_b32 v10, v2, v3 offset0:64 offset1:80
	ds_write_b32 v10, v6 offset:384
.LBB213_405:
	s_or_b64 exec, exec, s[0:1]
	v_cmp_gt_u32_e32 vcc, 64, v0
	s_waitcnt lgkmcnt(0)
	s_barrier
	s_and_saveexec_b64 s[0:1], vcc
	s_cbranch_execz .LBB213_415
; %bb.406:
	v_cmp_eq_u32_e32 vcc, 0, v30
	s_and_saveexec_b64 s[4:5], vcc
	s_cbranch_execnz .LBB213_418
; %bb.407:
	s_or_b64 exec, exec, s[4:5]
	s_and_saveexec_b64 s[4:5], vcc
	s_cbranch_execnz .LBB213_419
.LBB213_408:
	s_or_b64 exec, exec, s[4:5]
	s_and_saveexec_b64 s[4:5], vcc
	s_cbranch_execnz .LBB213_420
.LBB213_409:
	s_or_b64 exec, exec, s[4:5]
	s_and_saveexec_b64 s[4:5], vcc
	s_cbranch_execnz .LBB213_421
.LBB213_410:
	s_or_b64 exec, exec, s[4:5]
	s_and_saveexec_b64 s[4:5], vcc
	s_cbranch_execnz .LBB213_422
.LBB213_411:
	s_or_b64 exec, exec, s[4:5]
	s_and_saveexec_b64 s[4:5], vcc
	s_cbranch_execnz .LBB213_423
.LBB213_412:
	s_or_b64 exec, exec, s[4:5]
	s_and_saveexec_b64 s[4:5], vcc
	s_cbranch_execz .LBB213_414
.LBB213_413:
	v_mov_b32_e32 v0, 0x1d0
	v_lshl_add_u32 v0, v31, 2, v0
	ds_read_b32 v0, v0 offset:384
	s_waitcnt lgkmcnt(0)
	v_add_f32_e32 v6, v6, v0
.LBB213_414:
	s_or_b64 exec, exec, s[4:5]
.LBB213_415:
	s_or_b64 exec, exec, s[0:1]
	v_cmp_eq_u32_e32 vcc, 0, v7
	s_barrier
	s_and_saveexec_b64 s[0:1], vcc
	s_cbranch_execz .LBB213_417
; %bb.416:
	s_mul_i32 s0, s2, 0x70
	s_ashr_i32 s1, s0, 31
	s_lshl_b64 s[0:1], s[0:1], 2
	s_add_u32 s2, s30, s0
	s_mul_i32 s0, s29, s28
	s_addc_u32 s3, s31, s1
	s_ashr_i32 s1, s0, 31
	s_lshl_b64 s[0:1], s[0:1], 2
	s_add_u32 s2, s2, s0
	s_mul_i32 s0, s8, 0x70
	s_addc_u32 s3, s3, s1
	s_ashr_i32 s1, s0, 31
	s_lshl_b64 s[0:1], s[0:1], 2
	s_add_u32 s0, s2, s0
	s_addc_u32 s1, s3, s1
	global_store_dword v1, v8, s[0:1]
	global_store_dword v1, v9, s[0:1] offset:64
	global_store_dword v1, v4, s[0:1] offset:128
	;; [unrolled: 1-line block ×6, first 2 shown]
.LBB213_417:
	s_endpgm
.LBB213_418:
	v_mov_b32_e32 v0, 0x1d0
	v_lshl_add_u32 v0, v31, 2, v0
	ds_read_b32 v0, v0
	s_waitcnt lgkmcnt(0)
	v_add_f32_e32 v8, v8, v0
	s_or_b64 exec, exec, s[4:5]
	s_and_saveexec_b64 s[4:5], vcc
	s_cbranch_execz .LBB213_408
.LBB213_419:
	v_mov_b32_e32 v0, 0x1d0
	v_lshl_add_u32 v0, v31, 2, v0
	ds_read_b32 v0, v0 offset:64
	s_waitcnt lgkmcnt(0)
	v_add_f32_e32 v9, v9, v0
	s_or_b64 exec, exec, s[4:5]
	s_and_saveexec_b64 s[4:5], vcc
	s_cbranch_execz .LBB213_409
.LBB213_420:
	v_mov_b32_e32 v0, 0x1d0
	v_lshl_add_u32 v0, v31, 2, v0
	ds_read_b32 v0, v0 offset:128
	s_waitcnt lgkmcnt(0)
	v_add_f32_e32 v4, v4, v0
	s_or_b64 exec, exec, s[4:5]
	s_and_saveexec_b64 s[4:5], vcc
	s_cbranch_execz .LBB213_410
.LBB213_421:
	v_mov_b32_e32 v0, 0x1d0
	v_lshl_add_u32 v0, v31, 2, v0
	ds_read_b32 v0, v0 offset:192
	s_waitcnt lgkmcnt(0)
	v_add_f32_e32 v5, v5, v0
	s_or_b64 exec, exec, s[4:5]
	s_and_saveexec_b64 s[4:5], vcc
	s_cbranch_execz .LBB213_411
.LBB213_422:
	v_mov_b32_e32 v0, 0x1d0
	v_lshl_add_u32 v0, v31, 2, v0
	ds_read_b32 v0, v0 offset:256
	s_waitcnt lgkmcnt(0)
	v_add_f32_e32 v2, v2, v0
	s_or_b64 exec, exec, s[4:5]
	s_and_saveexec_b64 s[4:5], vcc
	s_cbranch_execz .LBB213_412
.LBB213_423:
	v_mov_b32_e32 v0, 0x1d0
	v_lshl_add_u32 v0, v31, 2, v0
	ds_read_b32 v0, v0 offset:320
	s_waitcnt lgkmcnt(0)
	v_add_f32_e32 v3, v3, v0
	s_or_b64 exec, exec, s[4:5]
	s_and_saveexec_b64 s[4:5], vcc
	s_cbranch_execnz .LBB213_413
	s_branch .LBB213_414
	.section	.rodata,"a",@progbits
	.p2align	6, 0x0
	.amdhsa_kernel _ZN4vllm25paged_attention_v2_kernelIfhLi112ELi16ELi128ELNS_18Fp8KVCacheDataTypeE1ELb1ELi512EEEvPfS2_PT_PKS3_PKT0_S9_ifPKiSB_iPKfiiiSD_SD_iiiii
		.amdhsa_group_segment_fixed_size 464
		.amdhsa_private_segment_fixed_size 0
		.amdhsa_kernarg_size 400
		.amdhsa_user_sgpr_count 6
		.amdhsa_user_sgpr_private_segment_buffer 1
		.amdhsa_user_sgpr_dispatch_ptr 0
		.amdhsa_user_sgpr_queue_ptr 0
		.amdhsa_user_sgpr_kernarg_segment_ptr 1
		.amdhsa_user_sgpr_dispatch_id 0
		.amdhsa_user_sgpr_flat_scratch_init 0
		.amdhsa_user_sgpr_kernarg_preload_length 0
		.amdhsa_user_sgpr_kernarg_preload_offset 0
		.amdhsa_user_sgpr_private_segment_size 0
		.amdhsa_uses_dynamic_stack 0
		.amdhsa_system_sgpr_private_segment_wavefront_offset 0
		.amdhsa_system_sgpr_workgroup_id_x 1
		.amdhsa_system_sgpr_workgroup_id_y 1
		.amdhsa_system_sgpr_workgroup_id_z 1
		.amdhsa_system_sgpr_workgroup_info 0
		.amdhsa_system_vgpr_workitem_id 0
		.amdhsa_next_free_vgpr 90
		.amdhsa_next_free_sgpr 63
		.amdhsa_accum_offset 92
		.amdhsa_reserve_vcc 1
		.amdhsa_reserve_flat_scratch 0
		.amdhsa_float_round_mode_32 0
		.amdhsa_float_round_mode_16_64 0
		.amdhsa_float_denorm_mode_32 3
		.amdhsa_float_denorm_mode_16_64 3
		.amdhsa_dx10_clamp 1
		.amdhsa_ieee_mode 1
		.amdhsa_fp16_overflow 0
		.amdhsa_tg_split 0
		.amdhsa_exception_fp_ieee_invalid_op 0
		.amdhsa_exception_fp_denorm_src 0
		.amdhsa_exception_fp_ieee_div_zero 0
		.amdhsa_exception_fp_ieee_overflow 0
		.amdhsa_exception_fp_ieee_underflow 0
		.amdhsa_exception_fp_ieee_inexact 0
		.amdhsa_exception_int_div_zero 0
	.end_amdhsa_kernel
	.section	.text._ZN4vllm25paged_attention_v2_kernelIfhLi112ELi16ELi128ELNS_18Fp8KVCacheDataTypeE1ELb1ELi512EEEvPfS2_PT_PKS3_PKT0_S9_ifPKiSB_iPKfiiiSD_SD_iiiii,"axG",@progbits,_ZN4vllm25paged_attention_v2_kernelIfhLi112ELi16ELi128ELNS_18Fp8KVCacheDataTypeE1ELb1ELi512EEEvPfS2_PT_PKS3_PKT0_S9_ifPKiSB_iPKfiiiSD_SD_iiiii,comdat
.Lfunc_end213:
	.size	_ZN4vllm25paged_attention_v2_kernelIfhLi112ELi16ELi128ELNS_18Fp8KVCacheDataTypeE1ELb1ELi512EEEvPfS2_PT_PKS3_PKT0_S9_ifPKiSB_iPKfiiiSD_SD_iiiii, .Lfunc_end213-_ZN4vllm25paged_attention_v2_kernelIfhLi112ELi16ELi128ELNS_18Fp8KVCacheDataTypeE1ELb1ELi512EEEvPfS2_PT_PKS3_PKT0_S9_ifPKiSB_iPKfiiiSD_SD_iiiii
                                        ; -- End function
	.section	.AMDGPU.csdata,"",@progbits
; Kernel info:
; codeLenInByte = 15848
; NumSgprs: 67
; NumVgprs: 90
; NumAgprs: 0
; TotalNumVgprs: 90
; ScratchSize: 0
; MemoryBound: 0
; FloatMode: 240
; IeeeMode: 1
; LDSByteSize: 464 bytes/workgroup (compile time only)
; SGPRBlocks: 8
; VGPRBlocks: 11
; NumSGPRsForWavesPerEU: 67
; NumVGPRsForWavesPerEU: 90
; AccumOffset: 92
; Occupancy: 5
; WaveLimiterHint : 1
; COMPUTE_PGM_RSRC2:SCRATCH_EN: 0
; COMPUTE_PGM_RSRC2:USER_SGPR: 6
; COMPUTE_PGM_RSRC2:TRAP_HANDLER: 0
; COMPUTE_PGM_RSRC2:TGID_X_EN: 1
; COMPUTE_PGM_RSRC2:TGID_Y_EN: 1
; COMPUTE_PGM_RSRC2:TGID_Z_EN: 1
; COMPUTE_PGM_RSRC2:TIDIG_COMP_CNT: 0
; COMPUTE_PGM_RSRC3_GFX90A:ACCUM_OFFSET: 22
; COMPUTE_PGM_RSRC3_GFX90A:TG_SPLIT: 0
	.section	.text._ZN4vllm25paged_attention_v2_kernelIfhLi120ELi16ELi128ELNS_18Fp8KVCacheDataTypeE1ELb1ELi512EEEvPfS2_PT_PKS3_PKT0_S9_ifPKiSB_iPKfiiiSD_SD_iiiii,"axG",@progbits,_ZN4vllm25paged_attention_v2_kernelIfhLi120ELi16ELi128ELNS_18Fp8KVCacheDataTypeE1ELb1ELi512EEEvPfS2_PT_PKS3_PKT0_S9_ifPKiSB_iPKfiiiSD_SD_iiiii,comdat
	.protected	_ZN4vllm25paged_attention_v2_kernelIfhLi120ELi16ELi128ELNS_18Fp8KVCacheDataTypeE1ELb1ELi512EEEvPfS2_PT_PKS3_PKT0_S9_ifPKiSB_iPKfiiiSD_SD_iiiii ; -- Begin function _ZN4vllm25paged_attention_v2_kernelIfhLi120ELi16ELi128ELNS_18Fp8KVCacheDataTypeE1ELb1ELi512EEEvPfS2_PT_PKS3_PKT0_S9_ifPKiSB_iPKfiiiSD_SD_iiiii
	.globl	_ZN4vllm25paged_attention_v2_kernelIfhLi120ELi16ELi128ELNS_18Fp8KVCacheDataTypeE1ELb1ELi512EEEvPfS2_PT_PKS3_PKT0_S9_ifPKiSB_iPKfiiiSD_SD_iiiii
	.p2align	8
	.type	_ZN4vllm25paged_attention_v2_kernelIfhLi120ELi16ELi128ELNS_18Fp8KVCacheDataTypeE1ELb1ELi512EEEvPfS2_PT_PKS3_PKT0_S9_ifPKiSB_iPKfiiiSD_SD_iiiii,@function
_ZN4vllm25paged_attention_v2_kernelIfhLi120ELi16ELi128ELNS_18Fp8KVCacheDataTypeE1ELb1ELi512EEEvPfS2_PT_PKS3_PKT0_S9_ifPKiSB_iPKfiiiSD_SD_iiiii: ; @_ZN4vllm25paged_attention_v2_kernelIfhLi120ELi16ELi128ELNS_18Fp8KVCacheDataTypeE1ELb1ELi512EEEvPfS2_PT_PKS3_PKT0_S9_ifPKiSB_iPKfiiiSD_SD_iiiii
; %bb.0:
	s_load_dwordx2 s[0:1], s[4:5], 0x40
	s_mov_b32 s34, s7
	s_ashr_i32 s35, s7, 31
	s_lshl_b64 s[2:3], s[34:35], 2
	s_waitcnt lgkmcnt(0)
	s_add_u32 s0, s0, s2
	s_addc_u32 s1, s1, s3
	s_load_dword s33, s[0:1], 0x0
	s_lshl_b32 s35, s8, 9
	s_waitcnt lgkmcnt(0)
	s_cmp_ge_i32 s35, s33
	s_cbranch_scc1 .LBB214_483
; %bb.1:
	s_load_dword s9, s[4:5], 0x90
	s_load_dwordx2 s[42:43], s[4:5], 0x30
	s_waitcnt lgkmcnt(0)
	s_abs_i32 s2, s9
	s_abs_i32 s0, s42
	v_cvt_f32_u32_e32 v1, s0
	s_sub_i32 s3, 0, s0
	s_xor_b32 s1, s9, s42
	s_ashr_i32 s1, s1, 31
	v_rcp_iflag_f32_e32 v1, v1
	v_mul_f32_e32 v1, 0x4f7ffffe, v1
	v_cvt_u32_f32_e32 v1, v1
	v_readfirstlane_b32 s7, v1
	s_mul_i32 s3, s3, s7
	s_mul_hi_u32 s3, s7, s3
	s_add_i32 s7, s7, s3
	s_mul_hi_u32 s3, s2, s7
	s_mul_i32 s7, s3, s0
	s_sub_i32 s2, s2, s7
	s_add_i32 s10, s3, 1
	s_sub_i32 s7, s2, s0
	s_cmp_ge_u32 s2, s0
	s_cselect_b32 s3, s10, s3
	s_cselect_b32 s2, s7, s2
	s_add_i32 s7, s3, 1
	s_cmp_ge_u32 s2, s0
	s_cselect_b32 s0, s7, s3
	s_xor_b32 s0, s0, s1
	s_sub_i32 s12, s0, s1
	s_abs_i32 s2, s12
	v_cvt_f32_u32_e32 v1, s2
	s_load_dwordx2 s[0:1], s[4:5], 0x50
	s_sub_i32 s10, 0, s2
	s_abs_i32 s3, s6
	v_rcp_iflag_f32_e32 v1, v1
	s_mov_b32 s7, 0
	v_mul_f32_e32 v1, 0x4f7ffffe, v1
	v_cvt_u32_f32_e32 v1, v1
	v_readfirstlane_b32 s11, v1
	s_mul_i32 s10, s10, s11
	s_mul_hi_u32 s10, s11, s10
	s_add_i32 s11, s11, s10
	s_waitcnt lgkmcnt(0)
	s_cmp_eq_u64 s[0:1], 0
	s_mul_hi_u32 s10, s3, s11
	s_cbranch_scc1 .LBB214_3
; %bb.2:
	s_ashr_i32 s7, s6, 31
	s_lshl_b64 s[14:15], s[6:7], 2
	s_add_u32 s0, s0, s14
	s_addc_u32 s1, s1, s15
	s_load_dword s7, s[0:1], 0x0
.LBB214_3:
	s_load_dwordx4 s[16:19], s[4:5], 0x58
	v_lshrrev_b32_e32 v31, 2, v0
	s_movk_i32 s13, 0x78
	s_ashr_i32 s11, s6, 31
	s_ashr_i32 s12, s12, 31
	v_and_b32_e32 v30, 3, v0
	s_mul_i32 s28, s6, 0x78
	v_cmp_gt_u32_e32 vcc, s13, v0
	v_lshlrev_b32_e32 v45, 2, v0
	v_lshlrev_b32_e32 v1, 2, v31
	s_and_saveexec_b64 s[0:1], vcc
	s_cbranch_execz .LBB214_5
; %bb.4:
	s_load_dwordx2 s[14:15], s[4:5], 0x18
	s_waitcnt lgkmcnt(0)
	s_mul_i32 s20, s34, s16
	s_ashr_i32 s21, s20, 31
	s_lshl_b64 s[20:21], s[20:21], 2
	v_mad_u32_u24 v3, v30, s13, v1
	s_add_u32 s16, s14, s20
	s_addc_u32 s19, s15, s21
	s_ashr_i32 s29, s28, 31
	s_lshl_b64 s[14:15], s[28:29], 2
	s_add_u32 s14, s16, s14
	s_addc_u32 s15, s19, s15
	global_load_dword v2, v45, s[14:15]
	s_waitcnt vmcnt(0)
	ds_write_b32 v3, v2
.LBB214_5:
	s_or_b64 exec, exec, s[0:1]
	s_mul_i32 s1, s10, s2
	s_sub_i32 s1, s3, s1
	s_xor_b32 s0, s11, s12
	s_add_i32 s3, s10, 1
	s_sub_i32 s11, s1, s2
	s_load_dwordx4 s[20:23], s[4:5], 0x78
	s_cmp_ge_u32 s1, s2
	s_cselect_b32 s3, s3, s10
	s_cselect_b32 s1, s11, s1
	s_load_dword s11, s[4:5], 0x88
	s_add_i32 s10, s3, 1
	s_cmp_ge_u32 s1, s2
	s_cselect_b32 s1, s10, s3
	s_waitcnt lgkmcnt(0)
	s_abs_i32 s52, s23
	v_cvt_f32_u32_e32 v2, s52
	s_xor_b32 s1, s1, s0
	s_sub_i32 s2, s1, s0
	s_sub_i32 s0, 0, s52
	v_rcp_iflag_f32_e32 v2, v2
	s_add_i32 s12, s33, -1
	s_abs_i32 s3, s12
	v_mul_f32_e32 v2, 0x4f7ffffe, v2
	v_cvt_u32_f32_e32 v2, v2
	s_barrier
	v_readfirstlane_b32 s53, v2
	s_mul_i32 s0, s0, s53
	s_mul_hi_u32 s0, s53, s0
	s_add_i32 s53, s53, s0
	s_cmp_lt_i32 s11, 0
	s_mul_hi_u32 s10, s3, s53
	s_cbranch_scc0 .LBB214_7
; %bb.6:
	s_mul_i32 s0, s20, s42
	s_add_i32 s0, s2, s0
	s_mul_i32 s0, s0, s11
	s_sub_i32 s42, 1, s0
	s_mov_b64 s[0:1], 0
	s_branch .LBB214_8
.LBB214_7:
	s_mov_b64 s[0:1], -1
                                        ; implicit-def: $sgpr42
.LBB214_8:
	s_load_dwordx2 s[36:37], s[4:5], 0x38
	s_ashr_i32 s16, s12, 31
	s_andn2_b64 vcc, exec, s[0:1]
	s_ashr_i32 s54, s23, 31
	s_cbranch_vccnz .LBB214_10
; %bb.9:
	s_mul_i32 s0, s9, s20
	s_add_i32 s0, s0, s6
	s_mul_i32 s0, s0, s11
	s_add_i32 s42, s0, 1
.LBB214_10:
	s_load_dwordx2 s[40:41], s[4:5], 0x28
	s_load_dword s0, s[4:5], 0x48
	s_load_dwordx4 s[24:27], s[4:5], 0x0
	s_load_dwordx2 s[30:31], s[4:5], 0x10
	s_load_dword s29, s[4:5], 0x98
	s_load_dwordx4 s[12:15], s[4:5], 0x68
	s_mul_i32 s1, s10, s52
	s_waitcnt lgkmcnt(0)
	s_mul_i32 s38, s34, s0
	s_sub_i32 s1, s3, s1
	s_ashr_i32 s39, s38, 31
	s_xor_b32 s0, s16, s54
	s_add_i32 s3, s10, 1
	s_sub_i32 s11, s1, s52
	s_cmp_ge_u32 s1, s52
	s_cselect_b32 s3, s3, s10
	s_cselect_b32 s1, s11, s1
	s_add_i32 s10, s3, 1
	s_cmp_ge_u32 s1, s52
	s_cselect_b32 s1, s10, s3
	s_xor_b32 s1, s1, s0
	s_sub_i32 s20, s1, s0
	s_add_i32 s0, s33, 15
	s_ashr_i32 s1, s0, 31
	s_lshr_b32 s1, s1, 28
	s_add_i32 s0, s0, s1
	s_lshl_b32 s56, s8, 5
	s_ashr_i32 s16, s0, 4
	s_add_i32 s0, s56, 32
	v_lshrrev_b32_e32 v46, 6, v0
	s_min_i32 s55, s0, s16
	v_or_b32_e32 v32, s56, v46
	v_cmp_gt_i32_e64 s[0:1], s55, v32
	v_mov_b32_e32 v50, 0xff7fffff
	s_mul_i32 s23, s2, s18
	v_ashrrev_i32_e32 v33, 31, v32
	v_lshl_add_u32 v64, v46, 4, s35
	v_mbcnt_lo_u32_b32 v47, -1, 0
	s_and_saveexec_b64 s[18:19], s[0:1]
	s_cbranch_execz .LBB214_200
; %bb.11:
	s_load_dwordx2 s[4:5], s[4:5], 0x20
	s_sub_i32 s57, s20, s21
	s_ashr_i32 s10, s23, 31
	v_bfe_u32 v48, v0, 2, 4
	v_lshlrev_b32_e32 v3, 4, v48
	s_waitcnt lgkmcnt(0)
	s_add_u32 s4, s4, s23
	s_addc_u32 s5, s5, s10
	s_abs_i32 s58, s22
	v_cvt_f32_u32_e32 v2, s58
	s_sub_i32 s10, 0, s58
	v_add_co_u32_e32 v34, vcc, s4, v3
	v_rcp_iflag_f32_e32 v2, v2
	v_mov_b32_e32 v4, s5
	v_addc_co_u32_e32 v35, vcc, 0, v4, vcc
	v_mul_f32_e32 v2, 0x4f7ffffe, v2
	v_cvt_u32_f32_e32 v2, v2
	v_cmp_eq_u32_e64 s[2:3], 0, v30
	s_mov_b32 s59, s17
	v_mul_u32_u24_e32 v49, 0x78, v30
	v_mul_lo_u32 v3, s10, v2
	v_mul_hi_u32 v3, v2, v3
	s_lshl_b64 s[10:11], s[38:39], 2
	v_add_u32_e32 v51, v2, v3
	v_lshlrev_b64 v[2:3], 2, v[32:33]
	s_add_u32 s10, s36, s10
	v_add_co_u32_e32 v36, vcc, s10, v2
	v_lshlrev_b32_e32 v2, 2, v48
	s_addc_u32 s11, s37, s11
	v_lshl_or_b32 v2, v46, 6, v2
	v_mov_b32_e32 v4, s11
	v_add_u32_e32 v53, 0x1f0, v2
	v_subrev_u32_e32 v2, s33, v48
	v_cmp_neq_f32_e64 s[4:5], s7, 0
	v_addc_co_u32_e32 v37, vcc, v4, v3, vcc
	v_lshl_add_u32 v52, v46, 4, s35
	v_add_u32_e32 v54, 1, v2
	s_mov_b64 s[44:45], 0
	v_mov_b32_e32 v55, 0xff7fffff
	s_movk_i32 s60, 0x80
	s_movk_i32 s61, 0x7f
	v_bfrev_b32_e32 v56, 60
	v_mbcnt_hi_u32_b32 v57, -1, v47
	v_mov_b32_e32 v50, 0xff7fffff
	v_mov_b32_e32 v58, v32
	s_branch .LBB214_14
.LBB214_12:                             ;   in Loop: Header=BB214_14 Depth=1
	s_or_b64 exec, exec, s[46:47]
.LBB214_13:                             ;   in Loop: Header=BB214_14 Depth=1
	s_or_b64 exec, exec, s[10:11]
	v_add_co_u32_e32 v36, vcc, 8, v36
	v_add_u32_e32 v58, 2, v58
	v_addc_co_u32_e32 v37, vcc, 0, v37, vcc
	v_cmp_le_i32_e32 vcc, s55, v58
	v_add_u32_e32 v52, 32, v52
	s_or_b64 s[44:45], vcc, s[44:45]
	v_add_u32_e32 v53, 0x80, v53
	s_andn2_b64 exec, exec, s[44:45]
	s_cbranch_execz .LBB214_199
.LBB214_14:                             ; =>This Inner Loop Header: Depth=1
	s_waitcnt lgkmcnt(0)
	v_sub_u32_e32 v3, 0, v52
	v_max_i32_e32 v3, v52, v3
	v_mul_hi_u32 v4, v3, s53
	v_mul_lo_u32 v5, v4, s52
	v_sub_u32_e32 v3, v3, v5
	v_add_u32_e32 v5, 1, v4
	v_cmp_le_u32_e32 vcc, s52, v3
	v_cndmask_b32_e32 v4, v4, v5, vcc
	v_subrev_u32_e32 v5, s52, v3
	v_cndmask_b32_e32 v3, v3, v5, vcc
	v_ashrrev_i32_e32 v2, 31, v52
	v_add_u32_e32 v5, 1, v4
	v_cmp_le_u32_e32 vcc, s52, v3
	v_xor_b32_e32 v2, s54, v2
	v_cndmask_b32_e32 v3, v4, v5, vcc
	v_xor_b32_e32 v3, v3, v2
	v_sub_u32_e32 v2, v3, v2
	v_add_u32_e32 v3, s42, v2
	v_sub_u32_e32 v5, 0, v3
	v_ashrrev_i32_e32 v4, 31, v3
	v_max_i32_e32 v3, v3, v5
	v_mul_hi_u32 v5, v3, v51
	v_mul_lo_u32 v5, v5, s58
	v_sub_u32_e32 v3, v3, v5
	v_subrev_u32_e32 v5, s58, v3
	v_cmp_le_u32_e32 vcc, s58, v3
	v_cndmask_b32_e32 v3, v3, v5, vcc
	v_subrev_u32_e32 v5, s58, v3
	v_cmp_le_u32_e32 vcc, s58, v3
	v_cndmask_b32_e32 v3, v3, v5, vcc
	v_xor_b32_e32 v3, v3, v4
	v_sub_u32_e32 v3, v3, v4
	v_cmp_ne_u32_e32 vcc, 0, v3
	v_cmp_ge_i32_e64 s[10:11], s57, v2
	s_and_b64 s[10:11], vcc, s[10:11]
	s_and_b64 s[48:49], s[2:3], s[10:11]
	s_and_saveexec_b64 s[46:47], s[48:49]
	s_cbranch_execz .LBB214_16
; %bb.15:                               ;   in Loop: Header=BB214_14 Depth=1
	ds_write_b32 v53, v55
.LBB214_16:                             ;   in Loop: Header=BB214_14 Depth=1
	s_or_b64 exec, exec, s[46:47]
	s_xor_b64 s[46:47], s[10:11], -1
	s_and_saveexec_b64 s[10:11], s[46:47]
	s_cbranch_execz .LBB214_13
; %bb.17:                               ;   in Loop: Header=BB214_14 Depth=1
	global_load_dword v2, v[36:37], off
	v_mov_b32_e32 v59, 0
	v_mov_b32_e32 v60, 0
	s_waitcnt vmcnt(0)
	v_mad_i64_i32 v[2:3], s[46:47], v2, s59, v[34:35]
	v_add_co_u32_e32 v40, vcc, v2, v30
	v_addc_co_u32_e32 v41, vcc, 0, v3, vcc
	global_load_ubyte v43, v[40:41], off
	ds_read2_b64 v[26:29], v49 offset1:1
	ds_read2_b64 v[22:25], v49 offset0:2 offset1:3
	ds_read2_b64 v[18:21], v49 offset0:4 offset1:5
	;; [unrolled: 1-line block ×6, first 2 shown]
	ds_read_b64 v[38:39], v49 offset:112
	s_load_dword s62, s[12:13], 0x0
	s_waitcnt vmcnt(0)
	v_cmp_ne_u16_e32 vcc, 0, v43
	s_and_saveexec_b64 s[46:47], vcc
	s_cbranch_execz .LBB214_23
; %bb.18:                               ;   in Loop: Header=BB214_14 Depth=1
	v_cmp_ne_u16_e32 vcc, s60, v43
	v_bfrev_b32_e32 v60, 1
	s_and_saveexec_b64 s[48:49], vcc
	s_cbranch_execz .LBB214_22
; %bb.19:                               ;   in Loop: Header=BB214_14 Depth=1
	v_and_b32_e32 v42, 0xffff, v43
	v_and_b32_e32 v44, 0x7f, v42
	v_cmp_ne_u32_e32 vcc, s61, v44
	v_mov_b32_e32 v60, 0x7f800001
	s_and_saveexec_b64 s[50:51], vcc
	s_cbranch_execz .LBB214_21
; %bb.20:                               ;   in Loop: Header=BB214_14 Depth=1
	v_and_b32_e32 v62, 7, v42
	v_ffbh_u32_e32 v60, v62
	v_min_u32_e32 v65, 32, v60
	v_subrev_u32_e32 v60, 28, v65
	v_lshlrev_b64 v[60:61], v60, v[42:43]
	v_lshrrev_b32_e32 v63, 3, v44
	v_sub_u32_e32 v42, 29, v65
	v_and_b32_e32 v60, 7, v60
	v_cmp_gt_u32_e32 vcc, 8, v44
	v_cndmask_b32_e32 v42, v63, v42, vcc
	v_cndmask_b32_e32 v44, v62, v60, vcc
	v_lshlrev_b32_e32 v43, 24, v43
	v_lshlrev_b32_e32 v44, 20, v44
	v_and_b32_e32 v43, 0x80000000, v43
	v_lshl_add_u32 v42, v42, 23, v56
	v_or3_b32 v60, v43, v42, v44
.LBB214_21:                             ;   in Loop: Header=BB214_14 Depth=1
	s_or_b64 exec, exec, s[50:51]
.LBB214_22:                             ;   in Loop: Header=BB214_14 Depth=1
	s_or_b64 exec, exec, s[48:49]
.LBB214_23:                             ;   in Loop: Header=BB214_14 Depth=1
	s_or_b64 exec, exec, s[46:47]
	global_load_ubyte v43, v[40:41], off offset:4
	s_waitcnt vmcnt(0)
	v_cmp_ne_u16_e32 vcc, 0, v43
	s_and_saveexec_b64 s[46:47], vcc
	s_cbranch_execz .LBB214_29
; %bb.24:                               ;   in Loop: Header=BB214_14 Depth=1
	v_cmp_ne_u16_e32 vcc, s60, v43
	v_bfrev_b32_e32 v59, 1
	s_and_saveexec_b64 s[48:49], vcc
	s_cbranch_execz .LBB214_28
; %bb.25:                               ;   in Loop: Header=BB214_14 Depth=1
	v_and_b32_e32 v42, 0xffff, v43
	v_and_b32_e32 v44, 0x7f, v42
	v_cmp_ne_u32_e32 vcc, s61, v44
	v_mov_b32_e32 v59, 0x7f800001
	s_and_saveexec_b64 s[50:51], vcc
	s_cbranch_execz .LBB214_27
; %bb.26:                               ;   in Loop: Header=BB214_14 Depth=1
	v_and_b32_e32 v59, 7, v42
	v_ffbh_u32_e32 v62, v59
	v_min_u32_e32 v65, 32, v62
	v_subrev_u32_e32 v62, 28, v65
	v_lshlrev_b64 v[62:63], v62, v[42:43]
	v_lshrrev_b32_e32 v61, 3, v44
	v_sub_u32_e32 v42, 29, v65
	v_and_b32_e32 v62, 7, v62
	v_cmp_gt_u32_e32 vcc, 8, v44
	v_cndmask_b32_e32 v42, v61, v42, vcc
	v_cndmask_b32_e32 v44, v59, v62, vcc
	v_lshlrev_b32_e32 v43, 24, v43
	v_lshlrev_b32_e32 v44, 20, v44
	v_and_b32_e32 v43, 0x80000000, v43
	v_lshl_add_u32 v42, v42, 23, v56
	v_or3_b32 v59, v43, v42, v44
.LBB214_27:                             ;   in Loop: Header=BB214_14 Depth=1
	s_or_b64 exec, exec, s[50:51]
.LBB214_28:                             ;   in Loop: Header=BB214_14 Depth=1
	s_or_b64 exec, exec, s[48:49]
.LBB214_29:                             ;   in Loop: Header=BB214_14 Depth=1
	s_or_b64 exec, exec, s[46:47]
	global_load_ubyte v43, v[40:41], off offset:8
	v_mov_b32_e32 v61, 0
	v_mov_b32_e32 v62, 0
	s_waitcnt vmcnt(0)
	v_cmp_ne_u16_e32 vcc, 0, v43
	s_and_saveexec_b64 s[46:47], vcc
	s_cbranch_execz .LBB214_35
; %bb.30:                               ;   in Loop: Header=BB214_14 Depth=1
	v_cmp_ne_u16_e32 vcc, s60, v43
	v_bfrev_b32_e32 v62, 1
	s_and_saveexec_b64 s[48:49], vcc
	s_cbranch_execz .LBB214_34
; %bb.31:                               ;   in Loop: Header=BB214_14 Depth=1
	v_and_b32_e32 v42, 0xffff, v43
	v_and_b32_e32 v44, 0x7f, v42
	v_cmp_ne_u32_e32 vcc, s61, v44
	v_mov_b32_e32 v62, 0x7f800001
	s_and_saveexec_b64 s[50:51], vcc
	s_cbranch_execz .LBB214_33
; %bb.32:                               ;   in Loop: Header=BB214_14 Depth=1
	v_and_b32_e32 v65, 7, v42
	v_ffbh_u32_e32 v62, v65
	v_min_u32_e32 v67, 32, v62
	v_subrev_u32_e32 v62, 28, v67
	v_lshlrev_b64 v[62:63], v62, v[42:43]
	v_lshrrev_b32_e32 v66, 3, v44
	v_sub_u32_e32 v42, 29, v67
	v_and_b32_e32 v62, 7, v62
	v_cmp_gt_u32_e32 vcc, 8, v44
	v_cndmask_b32_e32 v42, v66, v42, vcc
	v_cndmask_b32_e32 v44, v65, v62, vcc
	v_lshlrev_b32_e32 v43, 24, v43
	v_lshlrev_b32_e32 v44, 20, v44
	v_and_b32_e32 v43, 0x80000000, v43
	v_lshl_add_u32 v42, v42, 23, v56
	v_or3_b32 v62, v43, v42, v44
.LBB214_33:                             ;   in Loop: Header=BB214_14 Depth=1
	s_or_b64 exec, exec, s[50:51]
.LBB214_34:                             ;   in Loop: Header=BB214_14 Depth=1
	s_or_b64 exec, exec, s[48:49]
.LBB214_35:                             ;   in Loop: Header=BB214_14 Depth=1
	s_or_b64 exec, exec, s[46:47]
	global_load_ubyte v43, v[40:41], off offset:12
	s_waitcnt vmcnt(0)
	v_cmp_ne_u16_e32 vcc, 0, v43
	s_and_saveexec_b64 s[46:47], vcc
	s_cbranch_execz .LBB214_41
; %bb.36:                               ;   in Loop: Header=BB214_14 Depth=1
	v_cmp_ne_u16_e32 vcc, s60, v43
	v_bfrev_b32_e32 v61, 1
	s_and_saveexec_b64 s[48:49], vcc
	s_cbranch_execz .LBB214_40
; %bb.37:                               ;   in Loop: Header=BB214_14 Depth=1
	v_and_b32_e32 v42, 0xffff, v43
	v_and_b32_e32 v44, 0x7f, v42
	v_cmp_ne_u32_e32 vcc, s61, v44
	v_mov_b32_e32 v61, 0x7f800001
	s_and_saveexec_b64 s[50:51], vcc
	s_cbranch_execz .LBB214_39
; %bb.38:                               ;   in Loop: Header=BB214_14 Depth=1
	v_and_b32_e32 v61, 7, v42
	v_ffbh_u32_e32 v65, v61
	v_min_u32_e32 v65, 32, v65
	v_subrev_u32_e32 v66, 28, v65
	v_lshlrev_b64 v[66:67], v66, v[42:43]
	v_lshrrev_b32_e32 v63, 3, v44
	v_sub_u32_e32 v42, 29, v65
	v_and_b32_e32 v65, 7, v66
	v_cmp_gt_u32_e32 vcc, 8, v44
	v_cndmask_b32_e32 v42, v63, v42, vcc
	v_cndmask_b32_e32 v44, v61, v65, vcc
	v_lshlrev_b32_e32 v43, 24, v43
	v_lshlrev_b32_e32 v44, 20, v44
	v_and_b32_e32 v43, 0x80000000, v43
	v_lshl_add_u32 v42, v42, 23, v56
	v_or3_b32 v61, v43, v42, v44
.LBB214_39:                             ;   in Loop: Header=BB214_14 Depth=1
	s_or_b64 exec, exec, s[50:51]
.LBB214_40:                             ;   in Loop: Header=BB214_14 Depth=1
	s_or_b64 exec, exec, s[48:49]
.LBB214_41:                             ;   in Loop: Header=BB214_14 Depth=1
	s_or_b64 exec, exec, s[46:47]
	global_load_ubyte v43, v[40:41], off offset:256
	v_mov_b32_e32 v63, 0
	v_mov_b32_e32 v65, 0
	s_waitcnt vmcnt(0)
	v_cmp_ne_u16_e32 vcc, 0, v43
	s_and_saveexec_b64 s[46:47], vcc
	s_cbranch_execz .LBB214_47
; %bb.42:                               ;   in Loop: Header=BB214_14 Depth=1
	v_cmp_ne_u16_e32 vcc, s60, v43
	v_bfrev_b32_e32 v65, 1
	s_and_saveexec_b64 s[48:49], vcc
	s_cbranch_execz .LBB214_46
; %bb.43:                               ;   in Loop: Header=BB214_14 Depth=1
	v_and_b32_e32 v42, 0xffff, v43
	v_and_b32_e32 v44, 0x7f, v42
	v_cmp_ne_u32_e32 vcc, s61, v44
	v_mov_b32_e32 v65, 0x7f800001
	s_and_saveexec_b64 s[50:51], vcc
	s_cbranch_execz .LBB214_45
; %bb.44:                               ;   in Loop: Header=BB214_14 Depth=1
	v_and_b32_e32 v65, 7, v42
	v_ffbh_u32_e32 v66, v65
	v_min_u32_e32 v69, 32, v66
	v_subrev_u32_e32 v66, 28, v69
	v_lshlrev_b64 v[66:67], v66, v[42:43]
	v_lshrrev_b32_e32 v68, 3, v44
	v_sub_u32_e32 v42, 29, v69
	v_and_b32_e32 v66, 7, v66
	v_cmp_gt_u32_e32 vcc, 8, v44
	v_cndmask_b32_e32 v42, v68, v42, vcc
	v_cndmask_b32_e32 v44, v65, v66, vcc
	v_lshlrev_b32_e32 v43, 24, v43
	v_lshlrev_b32_e32 v44, 20, v44
	v_and_b32_e32 v43, 0x80000000, v43
	v_lshl_add_u32 v42, v42, 23, v56
	v_or3_b32 v65, v43, v42, v44
.LBB214_45:                             ;   in Loop: Header=BB214_14 Depth=1
	s_or_b64 exec, exec, s[50:51]
.LBB214_46:                             ;   in Loop: Header=BB214_14 Depth=1
	s_or_b64 exec, exec, s[48:49]
.LBB214_47:                             ;   in Loop: Header=BB214_14 Depth=1
	s_or_b64 exec, exec, s[46:47]
	global_load_ubyte v43, v[40:41], off offset:260
	s_waitcnt vmcnt(0)
	v_cmp_ne_u16_e32 vcc, 0, v43
	s_and_saveexec_b64 s[46:47], vcc
	s_cbranch_execz .LBB214_53
; %bb.48:                               ;   in Loop: Header=BB214_14 Depth=1
	v_cmp_ne_u16_e32 vcc, s60, v43
	v_bfrev_b32_e32 v63, 1
	s_and_saveexec_b64 s[48:49], vcc
	s_cbranch_execz .LBB214_52
; %bb.49:                               ;   in Loop: Header=BB214_14 Depth=1
	v_and_b32_e32 v42, 0xffff, v43
	v_and_b32_e32 v44, 0x7f, v42
	v_cmp_ne_u32_e32 vcc, s61, v44
	v_mov_b32_e32 v63, 0x7f800001
	s_and_saveexec_b64 s[50:51], vcc
	s_cbranch_execz .LBB214_51
; %bb.50:                               ;   in Loop: Header=BB214_14 Depth=1
	v_and_b32_e32 v63, 7, v42
	v_ffbh_u32_e32 v66, v63
	v_min_u32_e32 v69, 32, v66
	v_subrev_u32_e32 v66, 28, v69
	v_lshlrev_b64 v[66:67], v66, v[42:43]
	v_lshrrev_b32_e32 v68, 3, v44
	v_sub_u32_e32 v42, 29, v69
	v_and_b32_e32 v66, 7, v66
	v_cmp_gt_u32_e32 vcc, 8, v44
	v_cndmask_b32_e32 v42, v68, v42, vcc
	v_cndmask_b32_e32 v44, v63, v66, vcc
	v_lshlrev_b32_e32 v43, 24, v43
	v_lshlrev_b32_e32 v44, 20, v44
	v_and_b32_e32 v43, 0x80000000, v43
	v_lshl_add_u32 v42, v42, 23, v56
	v_or3_b32 v63, v43, v42, v44
.LBB214_51:                             ;   in Loop: Header=BB214_14 Depth=1
	s_or_b64 exec, exec, s[50:51]
.LBB214_52:                             ;   in Loop: Header=BB214_14 Depth=1
	s_or_b64 exec, exec, s[48:49]
.LBB214_53:                             ;   in Loop: Header=BB214_14 Depth=1
	s_or_b64 exec, exec, s[46:47]
	v_add_co_u32_e32 v42, vcc, 0x100, v40
	v_addc_co_u32_e32 v43, vcc, 0, v41, vcc
	global_load_ubyte v68, v[42:43], off offset:8
	v_mov_b32_e32 v66, 0
	v_mov_b32_e32 v67, 0
	s_waitcnt vmcnt(0)
	v_cmp_ne_u16_e32 vcc, 0, v68
	s_and_saveexec_b64 s[46:47], vcc
	s_cbranch_execz .LBB214_59
; %bb.54:                               ;   in Loop: Header=BB214_14 Depth=1
	v_cmp_ne_u16_e32 vcc, s60, v68
	v_bfrev_b32_e32 v67, 1
	s_and_saveexec_b64 s[48:49], vcc
	s_cbranch_execz .LBB214_58
; %bb.55:                               ;   in Loop: Header=BB214_14 Depth=1
	v_and_b32_e32 v44, 0xffff, v68
	v_and_b32_e32 v69, 0x7f, v44
	v_cmp_ne_u32_e32 vcc, s61, v69
	v_mov_b32_e32 v67, 0x7f800001
	s_and_saveexec_b64 s[50:51], vcc
	s_cbranch_execz .LBB214_57
; %bb.56:                               ;   in Loop: Header=BB214_14 Depth=1
	v_and_b32_e32 v67, 7, v44
	v_ffbh_u32_e32 v70, v67
	v_min_u32_e32 v73, 32, v70
	v_subrev_u32_e32 v70, 28, v73
	v_lshlrev_b64 v[70:71], v70, v[44:45]
	v_lshrrev_b32_e32 v72, 3, v69
	v_sub_u32_e32 v44, 29, v73
	v_and_b32_e32 v70, 7, v70
	v_cmp_gt_u32_e32 vcc, 8, v69
	v_cndmask_b32_e32 v44, v72, v44, vcc
	v_cndmask_b32_e32 v67, v67, v70, vcc
	v_lshlrev_b32_e32 v68, 24, v68
	v_lshlrev_b32_e32 v67, 20, v67
	v_and_b32_e32 v68, 0x80000000, v68
	v_lshl_add_u32 v44, v44, 23, v56
	v_or3_b32 v67, v68, v44, v67
.LBB214_57:                             ;   in Loop: Header=BB214_14 Depth=1
	s_or_b64 exec, exec, s[50:51]
.LBB214_58:                             ;   in Loop: Header=BB214_14 Depth=1
	s_or_b64 exec, exec, s[48:49]
.LBB214_59:                             ;   in Loop: Header=BB214_14 Depth=1
	s_or_b64 exec, exec, s[46:47]
	global_load_ubyte v43, v[42:43], off offset:12
	s_waitcnt vmcnt(0)
	v_cmp_ne_u16_e32 vcc, 0, v43
	s_and_saveexec_b64 s[46:47], vcc
	s_cbranch_execz .LBB214_65
; %bb.60:                               ;   in Loop: Header=BB214_14 Depth=1
	v_cmp_ne_u16_e32 vcc, s60, v43
	v_bfrev_b32_e32 v66, 1
	s_and_saveexec_b64 s[48:49], vcc
	s_cbranch_execz .LBB214_64
; %bb.61:                               ;   in Loop: Header=BB214_14 Depth=1
	v_and_b32_e32 v42, 0xffff, v43
	v_and_b32_e32 v44, 0x7f, v42
	v_cmp_ne_u32_e32 vcc, s61, v44
	v_mov_b32_e32 v66, 0x7f800001
	s_and_saveexec_b64 s[50:51], vcc
	s_cbranch_execz .LBB214_63
; %bb.62:                               ;   in Loop: Header=BB214_14 Depth=1
	v_and_b32_e32 v66, 7, v42
	v_ffbh_u32_e32 v68, v66
	v_min_u32_e32 v71, 32, v68
	v_subrev_u32_e32 v68, 28, v71
	v_lshlrev_b64 v[68:69], v68, v[42:43]
	v_lshrrev_b32_e32 v70, 3, v44
	v_sub_u32_e32 v42, 29, v71
	v_and_b32_e32 v68, 7, v68
	v_cmp_gt_u32_e32 vcc, 8, v44
	v_cndmask_b32_e32 v42, v70, v42, vcc
	v_cndmask_b32_e32 v44, v66, v68, vcc
	v_lshlrev_b32_e32 v43, 24, v43
	v_lshlrev_b32_e32 v44, 20, v44
	v_and_b32_e32 v43, 0x80000000, v43
	v_lshl_add_u32 v42, v42, 23, v56
	v_or3_b32 v66, v43, v42, v44
.LBB214_63:                             ;   in Loop: Header=BB214_14 Depth=1
	s_or_b64 exec, exec, s[50:51]
.LBB214_64:                             ;   in Loop: Header=BB214_14 Depth=1
	s_or_b64 exec, exec, s[48:49]
.LBB214_65:                             ;   in Loop: Header=BB214_14 Depth=1
	s_or_b64 exec, exec, s[46:47]
	global_load_ubyte v43, v[40:41], off offset:512
	v_mov_b32_e32 v68, 0
	v_mov_b32_e32 v69, 0
	s_waitcnt vmcnt(0)
	v_cmp_ne_u16_e32 vcc, 0, v43
	s_and_saveexec_b64 s[46:47], vcc
	s_cbranch_execz .LBB214_71
; %bb.66:                               ;   in Loop: Header=BB214_14 Depth=1
	v_cmp_ne_u16_e32 vcc, s60, v43
	v_bfrev_b32_e32 v69, 1
	s_and_saveexec_b64 s[48:49], vcc
	s_cbranch_execz .LBB214_70
; %bb.67:                               ;   in Loop: Header=BB214_14 Depth=1
	v_and_b32_e32 v42, 0xffff, v43
	v_and_b32_e32 v44, 0x7f, v42
	v_cmp_ne_u32_e32 vcc, s61, v44
	v_mov_b32_e32 v69, 0x7f800001
	s_and_saveexec_b64 s[50:51], vcc
	s_cbranch_execz .LBB214_69
; %bb.68:                               ;   in Loop: Header=BB214_14 Depth=1
	v_and_b32_e32 v69, 7, v42
	v_ffbh_u32_e32 v70, v69
	v_min_u32_e32 v73, 32, v70
	v_subrev_u32_e32 v70, 28, v73
	v_lshlrev_b64 v[70:71], v70, v[42:43]
	v_lshrrev_b32_e32 v72, 3, v44
	v_sub_u32_e32 v42, 29, v73
	v_and_b32_e32 v70, 7, v70
	v_cmp_gt_u32_e32 vcc, 8, v44
	v_cndmask_b32_e32 v42, v72, v42, vcc
	v_cndmask_b32_e32 v44, v69, v70, vcc
	v_lshlrev_b32_e32 v43, 24, v43
	v_lshlrev_b32_e32 v44, 20, v44
	v_and_b32_e32 v43, 0x80000000, v43
	v_lshl_add_u32 v42, v42, 23, v56
	v_or3_b32 v69, v43, v42, v44
.LBB214_69:                             ;   in Loop: Header=BB214_14 Depth=1
	s_or_b64 exec, exec, s[50:51]
.LBB214_70:                             ;   in Loop: Header=BB214_14 Depth=1
	s_or_b64 exec, exec, s[48:49]
.LBB214_71:                             ;   in Loop: Header=BB214_14 Depth=1
	s_or_b64 exec, exec, s[46:47]
	global_load_ubyte v43, v[40:41], off offset:516
	s_waitcnt vmcnt(0)
	v_cmp_ne_u16_e32 vcc, 0, v43
	s_and_saveexec_b64 s[46:47], vcc
	s_cbranch_execz .LBB214_77
; %bb.72:                               ;   in Loop: Header=BB214_14 Depth=1
	v_cmp_ne_u16_e32 vcc, s60, v43
	v_bfrev_b32_e32 v68, 1
	s_and_saveexec_b64 s[48:49], vcc
	s_cbranch_execz .LBB214_76
; %bb.73:                               ;   in Loop: Header=BB214_14 Depth=1
	v_and_b32_e32 v42, 0xffff, v43
	v_and_b32_e32 v44, 0x7f, v42
	v_cmp_ne_u32_e32 vcc, s61, v44
	v_mov_b32_e32 v68, 0x7f800001
	s_and_saveexec_b64 s[50:51], vcc
	s_cbranch_execz .LBB214_75
; %bb.74:                               ;   in Loop: Header=BB214_14 Depth=1
	v_and_b32_e32 v68, 7, v42
	v_ffbh_u32_e32 v70, v68
	v_min_u32_e32 v73, 32, v70
	v_subrev_u32_e32 v70, 28, v73
	v_lshlrev_b64 v[70:71], v70, v[42:43]
	v_lshrrev_b32_e32 v72, 3, v44
	v_sub_u32_e32 v42, 29, v73
	v_and_b32_e32 v70, 7, v70
	v_cmp_gt_u32_e32 vcc, 8, v44
	v_cndmask_b32_e32 v42, v72, v42, vcc
	v_cndmask_b32_e32 v44, v68, v70, vcc
	v_lshlrev_b32_e32 v43, 24, v43
	v_lshlrev_b32_e32 v44, 20, v44
	v_and_b32_e32 v43, 0x80000000, v43
	v_lshl_add_u32 v42, v42, 23, v56
	v_or3_b32 v68, v43, v42, v44
.LBB214_75:                             ;   in Loop: Header=BB214_14 Depth=1
	s_or_b64 exec, exec, s[50:51]
.LBB214_76:                             ;   in Loop: Header=BB214_14 Depth=1
	s_or_b64 exec, exec, s[48:49]
.LBB214_77:                             ;   in Loop: Header=BB214_14 Depth=1
	s_or_b64 exec, exec, s[46:47]
	v_add_co_u32_e32 v42, vcc, 0x200, v40
	v_addc_co_u32_e32 v43, vcc, 0, v41, vcc
	global_load_ubyte v72, v[42:43], off offset:8
	v_mov_b32_e32 v70, 0
	v_mov_b32_e32 v71, 0
	s_waitcnt vmcnt(0)
	v_cmp_ne_u16_e32 vcc, 0, v72
	s_and_saveexec_b64 s[46:47], vcc
	s_cbranch_execz .LBB214_83
; %bb.78:                               ;   in Loop: Header=BB214_14 Depth=1
	v_cmp_ne_u16_e32 vcc, s60, v72
	v_bfrev_b32_e32 v71, 1
	s_and_saveexec_b64 s[48:49], vcc
	s_cbranch_execz .LBB214_82
; %bb.79:                               ;   in Loop: Header=BB214_14 Depth=1
	v_and_b32_e32 v44, 0xffff, v72
	v_and_b32_e32 v73, 0x7f, v44
	v_cmp_ne_u32_e32 vcc, s61, v73
	v_mov_b32_e32 v71, 0x7f800001
	s_and_saveexec_b64 s[50:51], vcc
	s_cbranch_execz .LBB214_81
; %bb.80:                               ;   in Loop: Header=BB214_14 Depth=1
	v_and_b32_e32 v71, 7, v44
	v_ffbh_u32_e32 v74, v71
	v_min_u32_e32 v77, 32, v74
	v_subrev_u32_e32 v74, 28, v77
	v_lshlrev_b64 v[74:75], v74, v[44:45]
	v_lshrrev_b32_e32 v76, 3, v73
	v_sub_u32_e32 v44, 29, v77
	v_and_b32_e32 v74, 7, v74
	v_cmp_gt_u32_e32 vcc, 8, v73
	v_cndmask_b32_e32 v44, v76, v44, vcc
	v_cndmask_b32_e32 v71, v71, v74, vcc
	v_lshlrev_b32_e32 v72, 24, v72
	v_lshlrev_b32_e32 v71, 20, v71
	v_and_b32_e32 v72, 0x80000000, v72
	v_lshl_add_u32 v44, v44, 23, v56
	v_or3_b32 v71, v72, v44, v71
.LBB214_81:                             ;   in Loop: Header=BB214_14 Depth=1
	s_or_b64 exec, exec, s[50:51]
.LBB214_82:                             ;   in Loop: Header=BB214_14 Depth=1
	s_or_b64 exec, exec, s[48:49]
.LBB214_83:                             ;   in Loop: Header=BB214_14 Depth=1
	s_or_b64 exec, exec, s[46:47]
	global_load_ubyte v43, v[42:43], off offset:12
	s_waitcnt vmcnt(0)
	v_cmp_ne_u16_e32 vcc, 0, v43
	s_and_saveexec_b64 s[46:47], vcc
	s_cbranch_execz .LBB214_89
; %bb.84:                               ;   in Loop: Header=BB214_14 Depth=1
	v_cmp_ne_u16_e32 vcc, s60, v43
	v_bfrev_b32_e32 v70, 1
	s_and_saveexec_b64 s[48:49], vcc
	s_cbranch_execz .LBB214_88
; %bb.85:                               ;   in Loop: Header=BB214_14 Depth=1
	v_and_b32_e32 v42, 0xffff, v43
	v_and_b32_e32 v44, 0x7f, v42
	v_cmp_ne_u32_e32 vcc, s61, v44
	v_mov_b32_e32 v70, 0x7f800001
	s_and_saveexec_b64 s[50:51], vcc
	s_cbranch_execz .LBB214_87
; %bb.86:                               ;   in Loop: Header=BB214_14 Depth=1
	v_and_b32_e32 v70, 7, v42
	v_ffbh_u32_e32 v72, v70
	v_min_u32_e32 v75, 32, v72
	v_subrev_u32_e32 v72, 28, v75
	v_lshlrev_b64 v[72:73], v72, v[42:43]
	v_lshrrev_b32_e32 v74, 3, v44
	v_sub_u32_e32 v42, 29, v75
	v_and_b32_e32 v72, 7, v72
	v_cmp_gt_u32_e32 vcc, 8, v44
	v_cndmask_b32_e32 v42, v74, v42, vcc
	v_cndmask_b32_e32 v44, v70, v72, vcc
	v_lshlrev_b32_e32 v43, 24, v43
	v_lshlrev_b32_e32 v44, 20, v44
	v_and_b32_e32 v43, 0x80000000, v43
	v_lshl_add_u32 v42, v42, 23, v56
	v_or3_b32 v70, v43, v42, v44
.LBB214_87:                             ;   in Loop: Header=BB214_14 Depth=1
	s_or_b64 exec, exec, s[50:51]
.LBB214_88:                             ;   in Loop: Header=BB214_14 Depth=1
	s_or_b64 exec, exec, s[48:49]
.LBB214_89:                             ;   in Loop: Header=BB214_14 Depth=1
	s_or_b64 exec, exec, s[46:47]
	global_load_ubyte v43, v[40:41], off offset:768
	v_mov_b32_e32 v72, 0
	v_mov_b32_e32 v73, 0
	s_waitcnt vmcnt(0)
	v_cmp_ne_u16_e32 vcc, 0, v43
	s_and_saveexec_b64 s[46:47], vcc
	s_cbranch_execz .LBB214_95
; %bb.90:                               ;   in Loop: Header=BB214_14 Depth=1
	v_cmp_ne_u16_e32 vcc, s60, v43
	v_bfrev_b32_e32 v73, 1
	s_and_saveexec_b64 s[48:49], vcc
	s_cbranch_execz .LBB214_94
; %bb.91:                               ;   in Loop: Header=BB214_14 Depth=1
	v_and_b32_e32 v42, 0xffff, v43
	v_and_b32_e32 v44, 0x7f, v42
	v_cmp_ne_u32_e32 vcc, s61, v44
	v_mov_b32_e32 v73, 0x7f800001
	s_and_saveexec_b64 s[50:51], vcc
	s_cbranch_execz .LBB214_93
; %bb.92:                               ;   in Loop: Header=BB214_14 Depth=1
	v_and_b32_e32 v73, 7, v42
	v_ffbh_u32_e32 v74, v73
	v_min_u32_e32 v77, 32, v74
	v_subrev_u32_e32 v74, 28, v77
	v_lshlrev_b64 v[74:75], v74, v[42:43]
	v_lshrrev_b32_e32 v76, 3, v44
	v_sub_u32_e32 v42, 29, v77
	v_and_b32_e32 v74, 7, v74
	v_cmp_gt_u32_e32 vcc, 8, v44
	v_cndmask_b32_e32 v42, v76, v42, vcc
	v_cndmask_b32_e32 v44, v73, v74, vcc
	v_lshlrev_b32_e32 v43, 24, v43
	v_lshlrev_b32_e32 v44, 20, v44
	v_and_b32_e32 v43, 0x80000000, v43
	v_lshl_add_u32 v42, v42, 23, v56
	v_or3_b32 v73, v43, v42, v44
.LBB214_93:                             ;   in Loop: Header=BB214_14 Depth=1
	s_or_b64 exec, exec, s[50:51]
.LBB214_94:                             ;   in Loop: Header=BB214_14 Depth=1
	s_or_b64 exec, exec, s[48:49]
.LBB214_95:                             ;   in Loop: Header=BB214_14 Depth=1
	s_or_b64 exec, exec, s[46:47]
	global_load_ubyte v43, v[40:41], off offset:772
	s_waitcnt vmcnt(0)
	v_cmp_ne_u16_e32 vcc, 0, v43
	s_and_saveexec_b64 s[46:47], vcc
	s_cbranch_execz .LBB214_101
; %bb.96:                               ;   in Loop: Header=BB214_14 Depth=1
	v_cmp_ne_u16_e32 vcc, s60, v43
	v_bfrev_b32_e32 v72, 1
	s_and_saveexec_b64 s[48:49], vcc
	s_cbranch_execz .LBB214_100
; %bb.97:                               ;   in Loop: Header=BB214_14 Depth=1
	v_and_b32_e32 v42, 0xffff, v43
	v_and_b32_e32 v44, 0x7f, v42
	v_cmp_ne_u32_e32 vcc, s61, v44
	v_mov_b32_e32 v72, 0x7f800001
	s_and_saveexec_b64 s[50:51], vcc
	s_cbranch_execz .LBB214_99
; %bb.98:                               ;   in Loop: Header=BB214_14 Depth=1
	v_and_b32_e32 v72, 7, v42
	v_ffbh_u32_e32 v74, v72
	v_min_u32_e32 v77, 32, v74
	v_subrev_u32_e32 v74, 28, v77
	v_lshlrev_b64 v[74:75], v74, v[42:43]
	v_lshrrev_b32_e32 v76, 3, v44
	v_sub_u32_e32 v42, 29, v77
	v_and_b32_e32 v74, 7, v74
	v_cmp_gt_u32_e32 vcc, 8, v44
	v_cndmask_b32_e32 v42, v76, v42, vcc
	v_cndmask_b32_e32 v44, v72, v74, vcc
	v_lshlrev_b32_e32 v43, 24, v43
	v_lshlrev_b32_e32 v44, 20, v44
	v_and_b32_e32 v43, 0x80000000, v43
	v_lshl_add_u32 v42, v42, 23, v56
	v_or3_b32 v72, v43, v42, v44
.LBB214_99:                             ;   in Loop: Header=BB214_14 Depth=1
	s_or_b64 exec, exec, s[50:51]
.LBB214_100:                            ;   in Loop: Header=BB214_14 Depth=1
	s_or_b64 exec, exec, s[48:49]
.LBB214_101:                            ;   in Loop: Header=BB214_14 Depth=1
	s_or_b64 exec, exec, s[46:47]
	v_add_co_u32_e32 v42, vcc, 0x300, v40
	v_addc_co_u32_e32 v43, vcc, 0, v41, vcc
	global_load_ubyte v76, v[42:43], off offset:8
	v_mov_b32_e32 v74, 0
	v_mov_b32_e32 v75, 0
	s_waitcnt vmcnt(0)
	v_cmp_ne_u16_e32 vcc, 0, v76
	s_and_saveexec_b64 s[46:47], vcc
	s_cbranch_execz .LBB214_107
; %bb.102:                              ;   in Loop: Header=BB214_14 Depth=1
	v_cmp_ne_u16_e32 vcc, s60, v76
	v_bfrev_b32_e32 v75, 1
	s_and_saveexec_b64 s[48:49], vcc
	s_cbranch_execz .LBB214_106
; %bb.103:                              ;   in Loop: Header=BB214_14 Depth=1
	v_and_b32_e32 v44, 0xffff, v76
	v_and_b32_e32 v77, 0x7f, v44
	v_cmp_ne_u32_e32 vcc, s61, v77
	v_mov_b32_e32 v75, 0x7f800001
	s_and_saveexec_b64 s[50:51], vcc
	s_cbranch_execz .LBB214_105
; %bb.104:                              ;   in Loop: Header=BB214_14 Depth=1
	v_and_b32_e32 v75, 7, v44
	v_ffbh_u32_e32 v78, v75
	v_min_u32_e32 v81, 32, v78
	v_subrev_u32_e32 v78, 28, v81
	v_lshlrev_b64 v[78:79], v78, v[44:45]
	v_lshrrev_b32_e32 v80, 3, v77
	v_sub_u32_e32 v44, 29, v81
	v_and_b32_e32 v78, 7, v78
	v_cmp_gt_u32_e32 vcc, 8, v77
	v_cndmask_b32_e32 v44, v80, v44, vcc
	v_cndmask_b32_e32 v75, v75, v78, vcc
	v_lshlrev_b32_e32 v76, 24, v76
	v_lshlrev_b32_e32 v75, 20, v75
	v_and_b32_e32 v76, 0x80000000, v76
	v_lshl_add_u32 v44, v44, 23, v56
	v_or3_b32 v75, v76, v44, v75
.LBB214_105:                            ;   in Loop: Header=BB214_14 Depth=1
	s_or_b64 exec, exec, s[50:51]
.LBB214_106:                            ;   in Loop: Header=BB214_14 Depth=1
	s_or_b64 exec, exec, s[48:49]
.LBB214_107:                            ;   in Loop: Header=BB214_14 Depth=1
	s_or_b64 exec, exec, s[46:47]
	global_load_ubyte v43, v[42:43], off offset:12
	s_waitcnt vmcnt(0)
	v_cmp_ne_u16_e32 vcc, 0, v43
	s_and_saveexec_b64 s[46:47], vcc
	s_cbranch_execz .LBB214_113
; %bb.108:                              ;   in Loop: Header=BB214_14 Depth=1
	v_cmp_ne_u16_e32 vcc, s60, v43
	v_bfrev_b32_e32 v74, 1
	s_and_saveexec_b64 s[48:49], vcc
	s_cbranch_execz .LBB214_112
; %bb.109:                              ;   in Loop: Header=BB214_14 Depth=1
	v_and_b32_e32 v42, 0xffff, v43
	v_and_b32_e32 v44, 0x7f, v42
	v_cmp_ne_u32_e32 vcc, s61, v44
	v_mov_b32_e32 v74, 0x7f800001
	s_and_saveexec_b64 s[50:51], vcc
	s_cbranch_execz .LBB214_111
; %bb.110:                              ;   in Loop: Header=BB214_14 Depth=1
	v_and_b32_e32 v74, 7, v42
	v_ffbh_u32_e32 v76, v74
	v_min_u32_e32 v79, 32, v76
	v_subrev_u32_e32 v76, 28, v79
	v_lshlrev_b64 v[76:77], v76, v[42:43]
	v_lshrrev_b32_e32 v78, 3, v44
	v_sub_u32_e32 v42, 29, v79
	v_and_b32_e32 v76, 7, v76
	v_cmp_gt_u32_e32 vcc, 8, v44
	v_cndmask_b32_e32 v42, v78, v42, vcc
	v_cndmask_b32_e32 v44, v74, v76, vcc
	v_lshlrev_b32_e32 v43, 24, v43
	v_lshlrev_b32_e32 v44, 20, v44
	v_and_b32_e32 v43, 0x80000000, v43
	v_lshl_add_u32 v42, v42, 23, v56
	v_or3_b32 v74, v43, v42, v44
.LBB214_111:                            ;   in Loop: Header=BB214_14 Depth=1
	s_or_b64 exec, exec, s[50:51]
.LBB214_112:                            ;   in Loop: Header=BB214_14 Depth=1
	s_or_b64 exec, exec, s[48:49]
.LBB214_113:                            ;   in Loop: Header=BB214_14 Depth=1
	s_or_b64 exec, exec, s[46:47]
	global_load_ubyte v43, v[40:41], off offset:1024
	v_mov_b32_e32 v76, 0
	v_mov_b32_e32 v77, 0
	s_waitcnt vmcnt(0)
	v_cmp_ne_u16_e32 vcc, 0, v43
	s_and_saveexec_b64 s[46:47], vcc
	s_cbranch_execz .LBB214_119
; %bb.114:                              ;   in Loop: Header=BB214_14 Depth=1
	v_cmp_ne_u16_e32 vcc, s60, v43
	v_bfrev_b32_e32 v77, 1
	s_and_saveexec_b64 s[48:49], vcc
	s_cbranch_execz .LBB214_118
; %bb.115:                              ;   in Loop: Header=BB214_14 Depth=1
	v_and_b32_e32 v42, 0xffff, v43
	v_and_b32_e32 v44, 0x7f, v42
	v_cmp_ne_u32_e32 vcc, s61, v44
	v_mov_b32_e32 v77, 0x7f800001
	s_and_saveexec_b64 s[50:51], vcc
	s_cbranch_execz .LBB214_117
; %bb.116:                              ;   in Loop: Header=BB214_14 Depth=1
	v_and_b32_e32 v77, 7, v42
	v_ffbh_u32_e32 v78, v77
	v_min_u32_e32 v81, 32, v78
	v_subrev_u32_e32 v78, 28, v81
	v_lshlrev_b64 v[78:79], v78, v[42:43]
	v_lshrrev_b32_e32 v80, 3, v44
	v_sub_u32_e32 v42, 29, v81
	v_and_b32_e32 v78, 7, v78
	v_cmp_gt_u32_e32 vcc, 8, v44
	v_cndmask_b32_e32 v42, v80, v42, vcc
	v_cndmask_b32_e32 v44, v77, v78, vcc
	v_lshlrev_b32_e32 v43, 24, v43
	v_lshlrev_b32_e32 v44, 20, v44
	v_and_b32_e32 v43, 0x80000000, v43
	v_lshl_add_u32 v42, v42, 23, v56
	v_or3_b32 v77, v43, v42, v44
.LBB214_117:                            ;   in Loop: Header=BB214_14 Depth=1
	s_or_b64 exec, exec, s[50:51]
.LBB214_118:                            ;   in Loop: Header=BB214_14 Depth=1
	s_or_b64 exec, exec, s[48:49]
.LBB214_119:                            ;   in Loop: Header=BB214_14 Depth=1
	s_or_b64 exec, exec, s[46:47]
	global_load_ubyte v43, v[40:41], off offset:1028
	s_waitcnt vmcnt(0)
	v_cmp_ne_u16_e32 vcc, 0, v43
	s_and_saveexec_b64 s[46:47], vcc
	s_cbranch_execz .LBB214_125
; %bb.120:                              ;   in Loop: Header=BB214_14 Depth=1
	v_cmp_ne_u16_e32 vcc, s60, v43
	v_bfrev_b32_e32 v76, 1
	s_and_saveexec_b64 s[48:49], vcc
	s_cbranch_execz .LBB214_124
; %bb.121:                              ;   in Loop: Header=BB214_14 Depth=1
	v_and_b32_e32 v42, 0xffff, v43
	v_and_b32_e32 v44, 0x7f, v42
	v_cmp_ne_u32_e32 vcc, s61, v44
	v_mov_b32_e32 v76, 0x7f800001
	s_and_saveexec_b64 s[50:51], vcc
	s_cbranch_execz .LBB214_123
; %bb.122:                              ;   in Loop: Header=BB214_14 Depth=1
	v_and_b32_e32 v76, 7, v42
	v_ffbh_u32_e32 v78, v76
	v_min_u32_e32 v81, 32, v78
	v_subrev_u32_e32 v78, 28, v81
	v_lshlrev_b64 v[78:79], v78, v[42:43]
	v_lshrrev_b32_e32 v80, 3, v44
	v_sub_u32_e32 v42, 29, v81
	v_and_b32_e32 v78, 7, v78
	v_cmp_gt_u32_e32 vcc, 8, v44
	v_cndmask_b32_e32 v42, v80, v42, vcc
	v_cndmask_b32_e32 v44, v76, v78, vcc
	v_lshlrev_b32_e32 v43, 24, v43
	v_lshlrev_b32_e32 v44, 20, v44
	v_and_b32_e32 v43, 0x80000000, v43
	v_lshl_add_u32 v42, v42, 23, v56
	v_or3_b32 v76, v43, v42, v44
.LBB214_123:                            ;   in Loop: Header=BB214_14 Depth=1
	s_or_b64 exec, exec, s[50:51]
.LBB214_124:                            ;   in Loop: Header=BB214_14 Depth=1
	s_or_b64 exec, exec, s[48:49]
.LBB214_125:                            ;   in Loop: Header=BB214_14 Depth=1
	s_or_b64 exec, exec, s[46:47]
	v_add_co_u32_e32 v42, vcc, 0x400, v40
	v_addc_co_u32_e32 v43, vcc, 0, v41, vcc
	global_load_ubyte v80, v[42:43], off offset:8
	v_mov_b32_e32 v78, 0
	v_mov_b32_e32 v79, 0
	s_waitcnt vmcnt(0)
	v_cmp_ne_u16_e32 vcc, 0, v80
	s_and_saveexec_b64 s[46:47], vcc
	s_cbranch_execz .LBB214_131
; %bb.126:                              ;   in Loop: Header=BB214_14 Depth=1
	v_cmp_ne_u16_e32 vcc, s60, v80
	v_bfrev_b32_e32 v79, 1
	s_and_saveexec_b64 s[48:49], vcc
	s_cbranch_execz .LBB214_130
; %bb.127:                              ;   in Loop: Header=BB214_14 Depth=1
	v_and_b32_e32 v44, 0xffff, v80
	v_and_b32_e32 v81, 0x7f, v44
	v_cmp_ne_u32_e32 vcc, s61, v81
	v_mov_b32_e32 v79, 0x7f800001
	s_and_saveexec_b64 s[50:51], vcc
	s_cbranch_execz .LBB214_129
; %bb.128:                              ;   in Loop: Header=BB214_14 Depth=1
	v_and_b32_e32 v79, 7, v44
	v_ffbh_u32_e32 v82, v79
	v_min_u32_e32 v85, 32, v82
	v_subrev_u32_e32 v82, 28, v85
	v_lshlrev_b64 v[82:83], v82, v[44:45]
	v_lshrrev_b32_e32 v84, 3, v81
	v_sub_u32_e32 v44, 29, v85
	v_and_b32_e32 v82, 7, v82
	v_cmp_gt_u32_e32 vcc, 8, v81
	v_cndmask_b32_e32 v44, v84, v44, vcc
	v_cndmask_b32_e32 v79, v79, v82, vcc
	v_lshlrev_b32_e32 v80, 24, v80
	v_lshlrev_b32_e32 v79, 20, v79
	v_and_b32_e32 v80, 0x80000000, v80
	v_lshl_add_u32 v44, v44, 23, v56
	v_or3_b32 v79, v80, v44, v79
.LBB214_129:                            ;   in Loop: Header=BB214_14 Depth=1
	s_or_b64 exec, exec, s[50:51]
.LBB214_130:                            ;   in Loop: Header=BB214_14 Depth=1
	s_or_b64 exec, exec, s[48:49]
.LBB214_131:                            ;   in Loop: Header=BB214_14 Depth=1
	s_or_b64 exec, exec, s[46:47]
	global_load_ubyte v43, v[42:43], off offset:12
	s_waitcnt vmcnt(0)
	v_cmp_ne_u16_e32 vcc, 0, v43
	s_and_saveexec_b64 s[46:47], vcc
	s_cbranch_execz .LBB214_137
; %bb.132:                              ;   in Loop: Header=BB214_14 Depth=1
	v_cmp_ne_u16_e32 vcc, s60, v43
	v_bfrev_b32_e32 v78, 1
	s_and_saveexec_b64 s[48:49], vcc
	s_cbranch_execz .LBB214_136
; %bb.133:                              ;   in Loop: Header=BB214_14 Depth=1
	v_and_b32_e32 v42, 0xffff, v43
	v_and_b32_e32 v44, 0x7f, v42
	v_cmp_ne_u32_e32 vcc, s61, v44
	v_mov_b32_e32 v78, 0x7f800001
	s_and_saveexec_b64 s[50:51], vcc
	s_cbranch_execz .LBB214_135
; %bb.134:                              ;   in Loop: Header=BB214_14 Depth=1
	v_and_b32_e32 v78, 7, v42
	v_ffbh_u32_e32 v80, v78
	v_min_u32_e32 v83, 32, v80
	v_subrev_u32_e32 v80, 28, v83
	v_lshlrev_b64 v[80:81], v80, v[42:43]
	v_lshrrev_b32_e32 v82, 3, v44
	v_sub_u32_e32 v42, 29, v83
	v_and_b32_e32 v80, 7, v80
	v_cmp_gt_u32_e32 vcc, 8, v44
	v_cndmask_b32_e32 v42, v82, v42, vcc
	v_cndmask_b32_e32 v44, v78, v80, vcc
	v_lshlrev_b32_e32 v43, 24, v43
	v_lshlrev_b32_e32 v44, 20, v44
	v_and_b32_e32 v43, 0x80000000, v43
	v_lshl_add_u32 v42, v42, 23, v56
	v_or3_b32 v78, v43, v42, v44
.LBB214_135:                            ;   in Loop: Header=BB214_14 Depth=1
	s_or_b64 exec, exec, s[50:51]
.LBB214_136:                            ;   in Loop: Header=BB214_14 Depth=1
	s_or_b64 exec, exec, s[48:49]
.LBB214_137:                            ;   in Loop: Header=BB214_14 Depth=1
	s_or_b64 exec, exec, s[46:47]
	global_load_ubyte v43, v[40:41], off offset:1280
	v_mov_b32_e32 v80, 0
	v_mov_b32_e32 v81, 0
	s_waitcnt vmcnt(0)
	v_cmp_ne_u16_e32 vcc, 0, v43
	s_and_saveexec_b64 s[46:47], vcc
	s_cbranch_execz .LBB214_143
; %bb.138:                              ;   in Loop: Header=BB214_14 Depth=1
	v_cmp_ne_u16_e32 vcc, s60, v43
	v_bfrev_b32_e32 v81, 1
	s_and_saveexec_b64 s[48:49], vcc
	s_cbranch_execz .LBB214_142
; %bb.139:                              ;   in Loop: Header=BB214_14 Depth=1
	v_and_b32_e32 v42, 0xffff, v43
	v_and_b32_e32 v44, 0x7f, v42
	v_cmp_ne_u32_e32 vcc, s61, v44
	v_mov_b32_e32 v81, 0x7f800001
	s_and_saveexec_b64 s[50:51], vcc
	s_cbranch_execz .LBB214_141
; %bb.140:                              ;   in Loop: Header=BB214_14 Depth=1
	v_and_b32_e32 v81, 7, v42
	v_ffbh_u32_e32 v82, v81
	v_min_u32_e32 v85, 32, v82
	v_subrev_u32_e32 v82, 28, v85
	v_lshlrev_b64 v[82:83], v82, v[42:43]
	v_lshrrev_b32_e32 v84, 3, v44
	v_sub_u32_e32 v42, 29, v85
	v_and_b32_e32 v82, 7, v82
	v_cmp_gt_u32_e32 vcc, 8, v44
	v_cndmask_b32_e32 v42, v84, v42, vcc
	v_cndmask_b32_e32 v44, v81, v82, vcc
	v_lshlrev_b32_e32 v43, 24, v43
	v_lshlrev_b32_e32 v44, 20, v44
	v_and_b32_e32 v43, 0x80000000, v43
	v_lshl_add_u32 v42, v42, 23, v56
	v_or3_b32 v81, v43, v42, v44
.LBB214_141:                            ;   in Loop: Header=BB214_14 Depth=1
	s_or_b64 exec, exec, s[50:51]
.LBB214_142:                            ;   in Loop: Header=BB214_14 Depth=1
	s_or_b64 exec, exec, s[48:49]
.LBB214_143:                            ;   in Loop: Header=BB214_14 Depth=1
	s_or_b64 exec, exec, s[46:47]
	global_load_ubyte v43, v[40:41], off offset:1284
	s_waitcnt vmcnt(0)
	v_cmp_ne_u16_e32 vcc, 0, v43
	s_and_saveexec_b64 s[46:47], vcc
	s_cbranch_execz .LBB214_149
; %bb.144:                              ;   in Loop: Header=BB214_14 Depth=1
	v_cmp_ne_u16_e32 vcc, s60, v43
	v_bfrev_b32_e32 v80, 1
	s_and_saveexec_b64 s[48:49], vcc
	s_cbranch_execz .LBB214_148
; %bb.145:                              ;   in Loop: Header=BB214_14 Depth=1
	v_and_b32_e32 v42, 0xffff, v43
	v_and_b32_e32 v44, 0x7f, v42
	v_cmp_ne_u32_e32 vcc, s61, v44
	v_mov_b32_e32 v80, 0x7f800001
	s_and_saveexec_b64 s[50:51], vcc
	s_cbranch_execz .LBB214_147
; %bb.146:                              ;   in Loop: Header=BB214_14 Depth=1
	v_and_b32_e32 v80, 7, v42
	v_ffbh_u32_e32 v82, v80
	v_min_u32_e32 v85, 32, v82
	v_subrev_u32_e32 v82, 28, v85
	v_lshlrev_b64 v[82:83], v82, v[42:43]
	v_lshrrev_b32_e32 v84, 3, v44
	v_sub_u32_e32 v42, 29, v85
	v_and_b32_e32 v82, 7, v82
	v_cmp_gt_u32_e32 vcc, 8, v44
	v_cndmask_b32_e32 v42, v84, v42, vcc
	v_cndmask_b32_e32 v44, v80, v82, vcc
	v_lshlrev_b32_e32 v43, 24, v43
	v_lshlrev_b32_e32 v44, 20, v44
	v_and_b32_e32 v43, 0x80000000, v43
	v_lshl_add_u32 v42, v42, 23, v56
	v_or3_b32 v80, v43, v42, v44
.LBB214_147:                            ;   in Loop: Header=BB214_14 Depth=1
	s_or_b64 exec, exec, s[50:51]
.LBB214_148:                            ;   in Loop: Header=BB214_14 Depth=1
	s_or_b64 exec, exec, s[48:49]
.LBB214_149:                            ;   in Loop: Header=BB214_14 Depth=1
	s_or_b64 exec, exec, s[46:47]
	v_add_co_u32_e32 v42, vcc, 0x500, v40
	v_addc_co_u32_e32 v43, vcc, 0, v41, vcc
	global_load_ubyte v84, v[42:43], off offset:8
	v_mov_b32_e32 v82, 0
	v_mov_b32_e32 v83, 0
	s_waitcnt vmcnt(0)
	v_cmp_ne_u16_e32 vcc, 0, v84
	s_and_saveexec_b64 s[46:47], vcc
	s_cbranch_execz .LBB214_155
; %bb.150:                              ;   in Loop: Header=BB214_14 Depth=1
	v_cmp_ne_u16_e32 vcc, s60, v84
	v_bfrev_b32_e32 v83, 1
	s_and_saveexec_b64 s[48:49], vcc
	s_cbranch_execz .LBB214_154
; %bb.151:                              ;   in Loop: Header=BB214_14 Depth=1
	v_and_b32_e32 v44, 0xffff, v84
	v_and_b32_e32 v85, 0x7f, v44
	v_cmp_ne_u32_e32 vcc, s61, v85
	v_mov_b32_e32 v83, 0x7f800001
	s_and_saveexec_b64 s[50:51], vcc
	s_cbranch_execz .LBB214_153
; %bb.152:                              ;   in Loop: Header=BB214_14 Depth=1
	v_and_b32_e32 v83, 7, v44
	v_ffbh_u32_e32 v86, v83
	v_min_u32_e32 v89, 32, v86
	v_subrev_u32_e32 v86, 28, v89
	v_lshlrev_b64 v[86:87], v86, v[44:45]
	v_lshrrev_b32_e32 v88, 3, v85
	v_sub_u32_e32 v44, 29, v89
	v_and_b32_e32 v86, 7, v86
	v_cmp_gt_u32_e32 vcc, 8, v85
	v_cndmask_b32_e32 v44, v88, v44, vcc
	v_cndmask_b32_e32 v83, v83, v86, vcc
	v_lshlrev_b32_e32 v84, 24, v84
	v_lshlrev_b32_e32 v83, 20, v83
	v_and_b32_e32 v84, 0x80000000, v84
	v_lshl_add_u32 v44, v44, 23, v56
	v_or3_b32 v83, v84, v44, v83
.LBB214_153:                            ;   in Loop: Header=BB214_14 Depth=1
	s_or_b64 exec, exec, s[50:51]
.LBB214_154:                            ;   in Loop: Header=BB214_14 Depth=1
	s_or_b64 exec, exec, s[48:49]
.LBB214_155:                            ;   in Loop: Header=BB214_14 Depth=1
	s_or_b64 exec, exec, s[46:47]
	global_load_ubyte v43, v[42:43], off offset:12
	s_waitcnt vmcnt(0)
	v_cmp_ne_u16_e32 vcc, 0, v43
	s_and_saveexec_b64 s[46:47], vcc
	s_cbranch_execz .LBB214_161
; %bb.156:                              ;   in Loop: Header=BB214_14 Depth=1
	v_cmp_ne_u16_e32 vcc, s60, v43
	v_bfrev_b32_e32 v82, 1
	s_and_saveexec_b64 s[48:49], vcc
	s_cbranch_execz .LBB214_160
; %bb.157:                              ;   in Loop: Header=BB214_14 Depth=1
	v_and_b32_e32 v42, 0xffff, v43
	v_and_b32_e32 v44, 0x7f, v42
	v_cmp_ne_u32_e32 vcc, s61, v44
	v_mov_b32_e32 v82, 0x7f800001
	s_and_saveexec_b64 s[50:51], vcc
	s_cbranch_execz .LBB214_159
; %bb.158:                              ;   in Loop: Header=BB214_14 Depth=1
	v_and_b32_e32 v82, 7, v42
	v_ffbh_u32_e32 v84, v82
	v_min_u32_e32 v87, 32, v84
	v_subrev_u32_e32 v84, 28, v87
	v_lshlrev_b64 v[84:85], v84, v[42:43]
	v_lshrrev_b32_e32 v86, 3, v44
	v_sub_u32_e32 v42, 29, v87
	v_and_b32_e32 v84, 7, v84
	v_cmp_gt_u32_e32 vcc, 8, v44
	v_cndmask_b32_e32 v42, v86, v42, vcc
	v_cndmask_b32_e32 v44, v82, v84, vcc
	v_lshlrev_b32_e32 v43, 24, v43
	v_lshlrev_b32_e32 v44, 20, v44
	v_and_b32_e32 v43, 0x80000000, v43
	v_lshl_add_u32 v42, v42, 23, v56
	v_or3_b32 v82, v43, v42, v44
.LBB214_159:                            ;   in Loop: Header=BB214_14 Depth=1
	s_or_b64 exec, exec, s[50:51]
.LBB214_160:                            ;   in Loop: Header=BB214_14 Depth=1
	s_or_b64 exec, exec, s[48:49]
.LBB214_161:                            ;   in Loop: Header=BB214_14 Depth=1
	s_or_b64 exec, exec, s[46:47]
	global_load_ubyte v43, v[40:41], off offset:1536
	v_mov_b32_e32 v84, 0
	v_mov_b32_e32 v85, 0
	s_waitcnt vmcnt(0)
	v_cmp_ne_u16_e32 vcc, 0, v43
	s_and_saveexec_b64 s[46:47], vcc
	s_cbranch_execz .LBB214_167
; %bb.162:                              ;   in Loop: Header=BB214_14 Depth=1
	v_cmp_ne_u16_e32 vcc, s60, v43
	v_bfrev_b32_e32 v85, 1
	s_and_saveexec_b64 s[48:49], vcc
	s_cbranch_execz .LBB214_166
; %bb.163:                              ;   in Loop: Header=BB214_14 Depth=1
	v_and_b32_e32 v42, 0xffff, v43
	v_and_b32_e32 v44, 0x7f, v42
	v_cmp_ne_u32_e32 vcc, s61, v44
	v_mov_b32_e32 v85, 0x7f800001
	s_and_saveexec_b64 s[50:51], vcc
	s_cbranch_execz .LBB214_165
; %bb.164:                              ;   in Loop: Header=BB214_14 Depth=1
	v_and_b32_e32 v85, 7, v42
	v_ffbh_u32_e32 v86, v85
	v_min_u32_e32 v89, 32, v86
	v_subrev_u32_e32 v86, 28, v89
	v_lshlrev_b64 v[86:87], v86, v[42:43]
	v_lshrrev_b32_e32 v88, 3, v44
	v_sub_u32_e32 v42, 29, v89
	v_and_b32_e32 v86, 7, v86
	v_cmp_gt_u32_e32 vcc, 8, v44
	v_cndmask_b32_e32 v42, v88, v42, vcc
	v_cndmask_b32_e32 v44, v85, v86, vcc
	v_lshlrev_b32_e32 v43, 24, v43
	v_lshlrev_b32_e32 v44, 20, v44
	v_and_b32_e32 v43, 0x80000000, v43
	v_lshl_add_u32 v42, v42, 23, v56
	v_or3_b32 v85, v43, v42, v44
.LBB214_165:                            ;   in Loop: Header=BB214_14 Depth=1
	s_or_b64 exec, exec, s[50:51]
.LBB214_166:                            ;   in Loop: Header=BB214_14 Depth=1
	s_or_b64 exec, exec, s[48:49]
.LBB214_167:                            ;   in Loop: Header=BB214_14 Depth=1
	s_or_b64 exec, exec, s[46:47]
	global_load_ubyte v43, v[40:41], off offset:1540
	s_waitcnt vmcnt(0)
	v_cmp_ne_u16_e32 vcc, 0, v43
	s_and_saveexec_b64 s[46:47], vcc
	s_cbranch_execz .LBB214_173
; %bb.168:                              ;   in Loop: Header=BB214_14 Depth=1
	v_cmp_ne_u16_e32 vcc, s60, v43
	v_bfrev_b32_e32 v84, 1
	s_and_saveexec_b64 s[48:49], vcc
	s_cbranch_execz .LBB214_172
; %bb.169:                              ;   in Loop: Header=BB214_14 Depth=1
	v_and_b32_e32 v42, 0xffff, v43
	v_and_b32_e32 v44, 0x7f, v42
	v_cmp_ne_u32_e32 vcc, s61, v44
	v_mov_b32_e32 v84, 0x7f800001
	s_and_saveexec_b64 s[50:51], vcc
	s_cbranch_execz .LBB214_171
; %bb.170:                              ;   in Loop: Header=BB214_14 Depth=1
	v_and_b32_e32 v84, 7, v42
	v_ffbh_u32_e32 v86, v84
	v_min_u32_e32 v89, 32, v86
	v_subrev_u32_e32 v86, 28, v89
	v_lshlrev_b64 v[86:87], v86, v[42:43]
	v_lshrrev_b32_e32 v88, 3, v44
	v_sub_u32_e32 v42, 29, v89
	v_and_b32_e32 v86, 7, v86
	v_cmp_gt_u32_e32 vcc, 8, v44
	v_cndmask_b32_e32 v42, v88, v42, vcc
	v_cndmask_b32_e32 v44, v84, v86, vcc
	v_lshlrev_b32_e32 v43, 24, v43
	v_lshlrev_b32_e32 v44, 20, v44
	v_and_b32_e32 v43, 0x80000000, v43
	v_lshl_add_u32 v42, v42, 23, v56
	v_or3_b32 v84, v43, v42, v44
.LBB214_171:                            ;   in Loop: Header=BB214_14 Depth=1
	s_or_b64 exec, exec, s[50:51]
.LBB214_172:                            ;   in Loop: Header=BB214_14 Depth=1
	s_or_b64 exec, exec, s[48:49]
.LBB214_173:                            ;   in Loop: Header=BB214_14 Depth=1
	s_or_b64 exec, exec, s[46:47]
	v_add_co_u32_e32 v42, vcc, 0x600, v40
	v_addc_co_u32_e32 v43, vcc, 0, v41, vcc
	global_load_ubyte v88, v[42:43], off offset:8
	v_mov_b32_e32 v86, 0
	v_mov_b32_e32 v87, 0
	s_waitcnt vmcnt(0)
	v_cmp_ne_u16_e32 vcc, 0, v88
	s_and_saveexec_b64 s[46:47], vcc
	s_cbranch_execz .LBB214_179
; %bb.174:                              ;   in Loop: Header=BB214_14 Depth=1
	v_cmp_ne_u16_e32 vcc, s60, v88
	v_bfrev_b32_e32 v87, 1
	s_and_saveexec_b64 s[48:49], vcc
	s_cbranch_execz .LBB214_178
; %bb.175:                              ;   in Loop: Header=BB214_14 Depth=1
	v_and_b32_e32 v44, 0xffff, v88
	v_and_b32_e32 v89, 0x7f, v44
	v_cmp_ne_u32_e32 vcc, s61, v89
	v_mov_b32_e32 v87, 0x7f800001
	s_and_saveexec_b64 s[50:51], vcc
	s_cbranch_execz .LBB214_177
; %bb.176:                              ;   in Loop: Header=BB214_14 Depth=1
	v_and_b32_e32 v87, 7, v44
	v_ffbh_u32_e32 v90, v87
	v_min_u32_e32 v93, 32, v90
	v_subrev_u32_e32 v90, 28, v93
	v_lshlrev_b64 v[90:91], v90, v[44:45]
	v_lshrrev_b32_e32 v92, 3, v89
	v_sub_u32_e32 v44, 29, v93
	v_and_b32_e32 v90, 7, v90
	v_cmp_gt_u32_e32 vcc, 8, v89
	v_cndmask_b32_e32 v44, v92, v44, vcc
	v_cndmask_b32_e32 v87, v87, v90, vcc
	v_lshlrev_b32_e32 v88, 24, v88
	v_lshlrev_b32_e32 v87, 20, v87
	v_and_b32_e32 v88, 0x80000000, v88
	v_lshl_add_u32 v44, v44, 23, v56
	v_or3_b32 v87, v88, v44, v87
.LBB214_177:                            ;   in Loop: Header=BB214_14 Depth=1
	s_or_b64 exec, exec, s[50:51]
.LBB214_178:                            ;   in Loop: Header=BB214_14 Depth=1
	s_or_b64 exec, exec, s[48:49]
.LBB214_179:                            ;   in Loop: Header=BB214_14 Depth=1
	s_or_b64 exec, exec, s[46:47]
	global_load_ubyte v43, v[42:43], off offset:12
	s_waitcnt vmcnt(0)
	v_cmp_ne_u16_e32 vcc, 0, v43
	s_and_saveexec_b64 s[46:47], vcc
	s_cbranch_execz .LBB214_185
; %bb.180:                              ;   in Loop: Header=BB214_14 Depth=1
	v_cmp_ne_u16_e32 vcc, s60, v43
	v_bfrev_b32_e32 v86, 1
	s_and_saveexec_b64 s[48:49], vcc
	s_cbranch_execz .LBB214_184
; %bb.181:                              ;   in Loop: Header=BB214_14 Depth=1
	v_and_b32_e32 v42, 0xffff, v43
	v_and_b32_e32 v44, 0x7f, v42
	v_cmp_ne_u32_e32 vcc, s61, v44
	v_mov_b32_e32 v86, 0x7f800001
	s_and_saveexec_b64 s[50:51], vcc
	s_cbranch_execz .LBB214_183
; %bb.182:                              ;   in Loop: Header=BB214_14 Depth=1
	v_and_b32_e32 v86, 7, v42
	v_ffbh_u32_e32 v88, v86
	v_min_u32_e32 v91, 32, v88
	v_subrev_u32_e32 v88, 28, v91
	v_lshlrev_b64 v[88:89], v88, v[42:43]
	v_lshrrev_b32_e32 v90, 3, v44
	v_sub_u32_e32 v42, 29, v91
	v_and_b32_e32 v88, 7, v88
	v_cmp_gt_u32_e32 vcc, 8, v44
	v_cndmask_b32_e32 v42, v90, v42, vcc
	v_cndmask_b32_e32 v44, v86, v88, vcc
	v_lshlrev_b32_e32 v43, 24, v43
	v_lshlrev_b32_e32 v44, 20, v44
	v_and_b32_e32 v43, 0x80000000, v43
	v_lshl_add_u32 v42, v42, 23, v56
	v_or3_b32 v86, v43, v42, v44
.LBB214_183:                            ;   in Loop: Header=BB214_14 Depth=1
	s_or_b64 exec, exec, s[50:51]
.LBB214_184:                            ;   in Loop: Header=BB214_14 Depth=1
	s_or_b64 exec, exec, s[48:49]
.LBB214_185:                            ;   in Loop: Header=BB214_14 Depth=1
	s_or_b64 exec, exec, s[46:47]
	global_load_ubyte v88, v[40:41], off offset:1792
	v_mov_b32_e32 v43, 0
	v_mov_b32_e32 v44, 0
	s_waitcnt vmcnt(0)
	v_cmp_ne_u16_e32 vcc, 0, v88
	s_and_saveexec_b64 s[46:47], vcc
	s_cbranch_execz .LBB214_191
; %bb.186:                              ;   in Loop: Header=BB214_14 Depth=1
	v_cmp_ne_u16_e32 vcc, s60, v88
	v_bfrev_b32_e32 v44, 1
	s_and_saveexec_b64 s[48:49], vcc
	s_cbranch_execz .LBB214_190
; %bb.187:                              ;   in Loop: Header=BB214_14 Depth=1
	v_and_b32_e32 v42, 0xffff, v88
	v_and_b32_e32 v89, 0x7f, v42
	v_cmp_ne_u32_e32 vcc, s61, v89
	v_mov_b32_e32 v44, 0x7f800001
	s_and_saveexec_b64 s[50:51], vcc
	s_cbranch_execz .LBB214_189
; %bb.188:                              ;   in Loop: Header=BB214_14 Depth=1
	v_and_b32_e32 v44, 7, v42
	v_ffbh_u32_e32 v90, v44
	v_min_u32_e32 v93, 32, v90
	v_subrev_u32_e32 v90, 28, v93
	v_lshlrev_b64 v[90:91], v90, v[42:43]
	v_lshrrev_b32_e32 v92, 3, v89
	v_sub_u32_e32 v42, 29, v93
	v_and_b32_e32 v90, 7, v90
	v_cmp_gt_u32_e32 vcc, 8, v89
	v_cndmask_b32_e32 v42, v92, v42, vcc
	v_cndmask_b32_e32 v44, v44, v90, vcc
	v_lshlrev_b32_e32 v88, 24, v88
	v_lshlrev_b32_e32 v44, 20, v44
	v_and_b32_e32 v88, 0x80000000, v88
	v_lshl_add_u32 v42, v42, 23, v56
	v_or3_b32 v44, v88, v42, v44
.LBB214_189:                            ;   in Loop: Header=BB214_14 Depth=1
	s_or_b64 exec, exec, s[50:51]
.LBB214_190:                            ;   in Loop: Header=BB214_14 Depth=1
	s_or_b64 exec, exec, s[48:49]
.LBB214_191:                            ;   in Loop: Header=BB214_14 Depth=1
	s_or_b64 exec, exec, s[46:47]
	global_load_ubyte v41, v[40:41], off offset:1796
	s_waitcnt vmcnt(0)
	v_cmp_ne_u16_e32 vcc, 0, v41
	s_and_saveexec_b64 s[46:47], vcc
	s_cbranch_execz .LBB214_197
; %bb.192:                              ;   in Loop: Header=BB214_14 Depth=1
	v_cmp_ne_u16_e32 vcc, s60, v41
	v_bfrev_b32_e32 v43, 1
	s_and_saveexec_b64 s[48:49], vcc
	s_cbranch_execz .LBB214_196
; %bb.193:                              ;   in Loop: Header=BB214_14 Depth=1
	v_and_b32_e32 v40, 0xffff, v41
	v_and_b32_e32 v42, 0x7f, v40
	v_cmp_ne_u32_e32 vcc, s61, v42
	v_mov_b32_e32 v43, 0x7f800001
	s_and_saveexec_b64 s[50:51], vcc
	s_cbranch_execz .LBB214_195
; %bb.194:                              ;   in Loop: Header=BB214_14 Depth=1
	v_and_b32_e32 v43, 7, v40
	v_ffbh_u32_e32 v88, v43
	v_min_u32_e32 v91, 32, v88
	v_subrev_u32_e32 v88, 28, v91
	v_lshlrev_b64 v[88:89], v88, v[40:41]
	v_lshrrev_b32_e32 v90, 3, v42
	v_sub_u32_e32 v40, 29, v91
	v_and_b32_e32 v88, 7, v88
	v_cmp_gt_u32_e32 vcc, 8, v42
	v_cndmask_b32_e32 v40, v90, v40, vcc
	v_cndmask_b32_e32 v42, v43, v88, vcc
	v_lshlrev_b32_e32 v41, 24, v41
	v_lshlrev_b32_e32 v42, 20, v42
	v_and_b32_e32 v41, 0x80000000, v41
	v_lshl_add_u32 v40, v40, 23, v56
	v_or3_b32 v43, v41, v40, v42
.LBB214_195:                            ;   in Loop: Header=BB214_14 Depth=1
	s_or_b64 exec, exec, s[50:51]
.LBB214_196:                            ;   in Loop: Header=BB214_14 Depth=1
	s_or_b64 exec, exec, s[48:49]
.LBB214_197:                            ;   in Loop: Header=BB214_14 Depth=1
	s_or_b64 exec, exec, s[46:47]
	s_waitcnt lgkmcnt(0)
	v_mul_f32_e32 v59, s62, v59
	v_mul_f32_e32 v60, s62, v60
	;; [unrolled: 1-line block ×4, first 2 shown]
	v_fmac_f32_e32 v27, v26, v60
	v_mul_f32_e32 v61, s62, v61
	v_fmac_f32_e32 v27, v28, v62
	v_mul_f32_e32 v65, s62, v65
	v_fmac_f32_e32 v27, v29, v61
	v_mul_f32_e32 v63, s62, v63
	v_fmac_f32_e32 v27, v22, v65
	v_mul_f32_e32 v67, s62, v67
	v_fmac_f32_e32 v27, v23, v63
	v_mul_f32_e32 v66, s62, v66
	v_fmac_f32_e32 v27, v24, v67
	v_mul_f32_e32 v69, s62, v69
	v_fmac_f32_e32 v27, v25, v66
	v_mul_f32_e32 v68, s62, v68
	v_fmac_f32_e32 v27, v18, v69
	v_mul_f32_e32 v71, s62, v71
	v_fmac_f32_e32 v27, v19, v68
	v_mul_f32_e32 v70, s62, v70
	v_fmac_f32_e32 v27, v20, v71
	v_mul_f32_e32 v73, s62, v73
	v_fmac_f32_e32 v27, v21, v70
	v_mul_f32_e32 v72, s62, v72
	v_fmac_f32_e32 v27, v14, v73
	v_mul_f32_e32 v75, s62, v75
	v_fmac_f32_e32 v27, v15, v72
	v_mul_f32_e32 v74, s62, v74
	v_fmac_f32_e32 v27, v16, v75
	v_mul_f32_e32 v77, s62, v77
	v_fmac_f32_e32 v27, v17, v74
	v_mul_f32_e32 v76, s62, v76
	v_fmac_f32_e32 v27, v10, v77
	v_mul_f32_e32 v79, s62, v79
	v_fmac_f32_e32 v27, v11, v76
	v_mul_f32_e32 v78, s62, v78
	v_fmac_f32_e32 v27, v12, v79
	v_mul_f32_e32 v81, s62, v81
	v_fmac_f32_e32 v27, v13, v78
	v_mul_f32_e32 v80, s62, v80
	v_fmac_f32_e32 v27, v6, v81
	v_mul_f32_e32 v83, s62, v83
	v_fmac_f32_e32 v27, v7, v80
	v_mul_f32_e32 v82, s62, v82
	v_fmac_f32_e32 v27, v8, v83
	v_mul_f32_e32 v40, s62, v44
	v_mul_f32_e32 v44, s62, v84
	v_mul_f32_e32 v84, s62, v85
	v_fmac_f32_e32 v27, v9, v82
	v_fmac_f32_e32 v27, v2, v84
	v_mul_f32_e32 v42, s62, v87
	v_and_b32_e32 v85, 64, v57
	v_fmac_f32_e32 v27, v3, v44
	v_mul_f32_e32 v41, s62, v86
	v_add_u32_e32 v85, 64, v85
	v_xor_b32_e32 v86, 2, v57
	v_fmac_f32_e32 v27, v4, v42
	v_cmp_lt_i32_e32 vcc, v86, v85
	v_fmac_f32_e32 v27, v5, v41
	v_cndmask_b32_e32 v86, v57, v86, vcc
	v_mul_f32_e32 v43, s62, v43
	v_fmac_f32_e32 v27, v38, v40
	v_lshlrev_b32_e32 v86, 2, v86
	v_fmac_f32_e32 v27, v39, v43
	ds_bpermute_b32 v2, v86, v27
	v_xor_b32_e32 v3, 1, v57
	v_cmp_lt_i32_e32 vcc, v3, v85
	v_cndmask_b32_e32 v3, v57, v3, vcc
	v_lshlrev_b32_e32 v3, 2, v3
	s_waitcnt lgkmcnt(0)
	v_add_f32_e32 v2, v27, v2
	ds_bpermute_b32 v3, v3, v2
	s_and_saveexec_b64 s[46:47], s[2:3]
	s_cbranch_execz .LBB214_12
; %bb.198:                              ;   in Loop: Header=BB214_14 Depth=1
	v_add_u32_e32 v4, v54, v52
	v_cvt_f32_i32_e32 v4, v4
	s_waitcnt lgkmcnt(0)
	v_add_f32_e32 v2, v2, v3
	v_add_u32_e32 v5, v48, v52
	v_cmp_gt_i32_e32 vcc, s33, v5
	v_mul_f32_e32 v3, s7, v4
	v_cndmask_b32_e64 v3, 0, v3, s[4:5]
	v_fmac_f32_e32 v3, s43, v2
	v_cndmask_b32_e32 v2, 0, v3, vcc
	ds_write_b32 v53, v2
	v_max_f32_e32 v2, v50, v50
	v_max_f32_e32 v2, v2, v3
	v_cndmask_b32_e32 v50, v50, v2, vcc
	s_branch .LBB214_12
.LBB214_199:
	s_or_b64 exec, exec, s[44:45]
.LBB214_200:
	s_or_b64 exec, exec, s[18:19]
	v_mbcnt_hi_u32_b32 v2, -1, v47
	s_waitcnt lgkmcnt(0)
	v_and_b32_e32 v3, 64, v2
	v_add_u32_e32 v3, 64, v3
	v_xor_b32_e32 v4, 32, v2
	v_cmp_lt_i32_e32 vcc, v4, v3
	v_cndmask_b32_e32 v4, v2, v4, vcc
	v_lshlrev_b32_e32 v6, 2, v4
	ds_bpermute_b32 v4, v6, v50
	v_xor_b32_e32 v7, 16, v2
	v_max_f32_e32 v5, v50, v50
	v_cmp_lt_i32_e32 vcc, v7, v3
	v_xor_b32_e32 v8, 8, v2
	s_waitcnt lgkmcnt(0)
	v_max_f32_e32 v4, v4, v4
	v_max_f32_e32 v4, v5, v4
	v_cndmask_b32_e32 v5, v2, v7, vcc
	v_lshlrev_b32_e32 v7, 2, v5
	ds_bpermute_b32 v5, v7, v4
	v_cmp_lt_i32_e32 vcc, v8, v3
	s_waitcnt lgkmcnt(0)
	v_max_f32_e32 v5, v5, v5
	v_max_f32_e32 v4, v4, v5
	v_cndmask_b32_e32 v5, v2, v8, vcc
	v_lshlrev_b32_e32 v10, 2, v5
	ds_bpermute_b32 v5, v10, v4
	v_xor_b32_e32 v8, 4, v2
	v_cmp_lt_i32_e32 vcc, v8, v3
	s_waitcnt lgkmcnt(0)
	v_max_f32_e32 v5, v5, v5
	v_max_f32_e32 v5, v4, v5
	v_cndmask_b32_e32 v4, v2, v8, vcc
	v_lshlrev_b32_e32 v11, 2, v4
	ds_bpermute_b32 v9, v11, v5
	v_and_b32_e32 v4, 63, v0
	v_cmp_eq_u32_e32 vcc, 0, v4
	v_lshlrev_b32_e32 v8, 2, v46
	s_and_saveexec_b64 s[2:3], vcc
	s_cbranch_execz .LBB214_202
; %bb.201:
	s_waitcnt lgkmcnt(0)
	v_max_f32_e32 v9, v9, v9
	v_max_f32_e32 v5, v5, v5
	;; [unrolled: 1-line block ×3, first 2 shown]
	ds_write_b32 v8, v5 offset:480
.LBB214_202:
	s_or_b64 exec, exec, s[2:3]
	v_cmp_gt_u32_e64 s[2:3], 2, v4
	v_mov_b32_e32 v5, 0xff7fffff
	s_waitcnt lgkmcnt(0)
	v_lshlrev_b32_e32 v9, 2, v4
	s_barrier
	s_and_saveexec_b64 s[4:5], s[2:3]
	s_cbranch_execz .LBB214_204
; %bb.203:
	ds_read_b32 v5, v9 offset:480
.LBB214_204:
	s_or_b64 exec, exec, s[4:5]
	v_xor_b32_e32 v12, 1, v2
	v_cmp_lt_i32_e64 s[4:5], v12, v3
	v_cndmask_b32_e64 v12, v2, v12, s[4:5]
	v_lshlrev_b32_e32 v15, 2, v12
	s_waitcnt lgkmcnt(0)
	ds_bpermute_b32 v12, v15, v5
	v_max_f32_e32 v5, v5, v5
	s_sub_i32 s4, s55, s56
	s_lshl_b32 s4, s4, 4
	s_add_i32 s4, s4, s35
	s_waitcnt lgkmcnt(0)
	v_max_f32_e32 v12, v12, v12
	v_max_f32_e32 v5, v5, v12
	v_lshlrev_b32_e32 v12, 2, v2
	v_and_b32_e32 v12, 0x100, v12
	ds_bpermute_b32 v5, v12, v5
	s_min_i32 s43, s4, s33
	s_sub_i32 s7, s43, s35
	v_cmp_gt_i32_e64 s[4:5], s7, v0
	v_mov_b32_e32 v13, 0
	s_and_saveexec_b64 s[12:13], s[4:5]
	s_cbranch_execz .LBB214_208
; %bb.205:
	v_mov_b32_e32 v13, 0x1f0
	v_lshl_add_u32 v14, v0, 2, v13
	s_mov_b64 s[18:19], 0
	v_mov_b32_e32 v13, 0
	v_mov_b32_e32 v16, v0
.LBB214_206:                            ; =>This Inner Loop Header: Depth=1
	ds_read_b32 v17, v14
	v_add_u32_e32 v16, 0x80, v16
	v_cmp_le_i32_e64 s[10:11], s7, v16
	s_or_b64 s[18:19], s[10:11], s[18:19]
	s_waitcnt lgkmcnt(0)
	v_sub_f32_e32 v17, v17, v5
	v_mul_f32_e32 v17, 0x3fb8aa3b, v17
	v_exp_f32_e32 v17, v17
	ds_write_b32 v14, v17
	v_add_f32_e32 v13, v13, v17
	v_add_u32_e32 v14, 0x200, v14
	s_andn2_b64 exec, exec, s[18:19]
	s_cbranch_execnz .LBB214_206
; %bb.207:
	s_or_b64 exec, exec, s[18:19]
.LBB214_208:
	s_or_b64 exec, exec, s[12:13]
	ds_bpermute_b32 v6, v6, v13
	s_waitcnt lgkmcnt(0)
	v_add_f32_e32 v6, v13, v6
	ds_bpermute_b32 v7, v7, v6
	s_waitcnt lgkmcnt(0)
	v_add_f32_e32 v6, v6, v7
	ds_bpermute_b32 v7, v10, v6
	v_xor_b32_e32 v10, 2, v2
	v_cmp_lt_i32_e64 s[10:11], v10, v3
	v_cndmask_b32_e64 v2, v2, v10, s[10:11]
	v_lshlrev_b32_e32 v19, 2, v2
	s_waitcnt lgkmcnt(0)
	v_add_f32_e32 v6, v6, v7
	ds_bpermute_b32 v7, v11, v6
	s_waitcnt lgkmcnt(0)
	v_add_f32_e32 v3, v6, v7
	ds_bpermute_b32 v2, v19, v3
	;; [unrolled: 3-line block ×3, first 2 shown]
	s_waitcnt lgkmcnt(0)
	v_add_f32_e32 v2, v2, v3
	s_and_saveexec_b64 s[10:11], vcc
	s_cbranch_execz .LBB214_210
; %bb.209:
	ds_write_b32 v8, v2 offset:488
.LBB214_210:
	s_or_b64 exec, exec, s[10:11]
	s_waitcnt lgkmcnt(0)
	s_barrier
	s_and_saveexec_b64 s[10:11], s[2:3]
	s_cbranch_execz .LBB214_212
; %bb.211:
	ds_read_b32 v2, v9 offset:488
.LBB214_212:
	s_or_b64 exec, exec, s[10:11]
	s_waitcnt lgkmcnt(0)
	ds_bpermute_b32 v3, v15, v2
	s_waitcnt lgkmcnt(0)
	v_add_f32_e32 v2, v2, v3
	ds_bpermute_b32 v6, v12, v2
	s_and_saveexec_b64 s[2:3], s[4:5]
	s_cbranch_execz .LBB214_225
; %bb.213:
	s_waitcnt lgkmcnt(0)
	v_add_f32_e32 v2, 0x358637bd, v6
	v_div_scale_f32 v3, s[4:5], v2, v2, 1.0
	v_rcp_f32_e32 v7, v3
	v_div_scale_f32 v8, vcc, 1.0, v2, 1.0
	s_movk_i32 s4, 0x7f
	v_fma_f32 v9, -v3, v7, 1.0
	v_fmac_f32_e32 v7, v9, v7
	v_mul_f32_e32 v9, v8, v7
	v_fma_f32 v10, -v3, v9, v8
	v_fmac_f32_e32 v9, v10, v7
	v_fma_f32 v3, -v3, v9, v8
	v_div_fmas_f32 v3, v3, v7, v9
	v_div_fixup_f32 v2, v3, v2, 1.0
	v_xad_u32 v3, v0, -1, s43
	v_subrev_u32_e32 v7, s35, v3
	v_cmp_lt_u32_e32 vcc, s4, v7
	s_mov_b64 s[10:11], -1
	v_mov_b32_e32 v3, v0
	s_and_saveexec_b64 s[4:5], vcc
	s_cbranch_execz .LBB214_222
; %bb.214:
	v_lshrrev_b32_e32 v7, 7, v7
	v_add_u32_e32 v9, -1, v7
	v_lshrrev_b32_e32 v8, 1, v9
	v_mov_b32_e32 v3, v2
	v_add_u32_e32 v8, 1, v8
	v_cmp_lt_u32_e32 vcc, 13, v9
	v_mov_b32_e32 v11, 0
	s_and_saveexec_b64 s[10:11], vcc
	s_cbranch_execz .LBB214_218
; %bb.215:
	v_mov_b32_e32 v10, 0x1f0
	v_and_b32_e32 v9, -8, v8
	v_lshl_add_u32 v10, v0, 2, v10
	s_mov_b32 s18, 0
	s_mov_b64 s[12:13], 0
.LBB214_216:                            ; =>This Inner Loop Header: Depth=1
	ds_read2st64_b32 v[12:13], v10 offset1:2
	ds_read2st64_b32 v[16:17], v10 offset0:4 offset1:6
	ds_read2st64_b32 v[20:21], v10 offset0:8 offset1:10
	;; [unrolled: 1-line block ×3, first 2 shown]
	v_add_u32_e32 v9, -8, v9
	s_waitcnt lgkmcnt(3)
	v_pk_mul_f32 v[12:13], v[2:3], v[12:13]
	s_waitcnt lgkmcnt(2)
	v_pk_mul_f32 v[16:17], v[2:3], v[16:17]
	ds_write2st64_b32 v10, v12, v13 offset1:2
	ds_write2st64_b32 v10, v16, v17 offset0:4 offset1:6
	ds_read2st64_b32 v[16:17], v10 offset0:16 offset1:18
	s_waitcnt lgkmcnt(4)
	v_pk_mul_f32 v[12:13], v[2:3], v[20:21]
	ds_write2st64_b32 v10, v12, v13 offset0:8 offset1:10
	s_waitcnt lgkmcnt(4)
	v_pk_mul_f32 v[12:13], v[2:3], v[22:23]
	ds_write2st64_b32 v10, v12, v13 offset0:12 offset1:14
	ds_read2st64_b32 v[12:13], v10 offset0:20 offset1:22
	s_waitcnt lgkmcnt(3)
	v_pk_mul_f32 v[16:17], v[2:3], v[16:17]
	ds_read2st64_b32 v[20:21], v10 offset0:24 offset1:26
	ds_write2st64_b32 v10, v16, v17 offset0:16 offset1:18
	ds_read2st64_b32 v[16:17], v10 offset0:28 offset1:30
	s_waitcnt lgkmcnt(3)
	v_pk_mul_f32 v[12:13], v[2:3], v[12:13]
	ds_write2st64_b32 v10, v12, v13 offset0:20 offset1:22
	s_waitcnt lgkmcnt(3)
	v_pk_mul_f32 v[12:13], v[2:3], v[20:21]
	ds_write2st64_b32 v10, v12, v13 offset0:24 offset1:26
	s_waitcnt lgkmcnt(2)
	v_pk_mul_f32 v[12:13], v[2:3], v[16:17]
	s_add_i32 s18, s18, 16
	v_cmp_eq_u32_e32 vcc, 0, v9
	ds_write2st64_b32 v10, v12, v13 offset0:28 offset1:30
	v_add_u32_e32 v10, 0x2000, v10
	s_or_b64 s[12:13], vcc, s[12:13]
	v_mov_b32_e32 v11, s18
	s_andn2_b64 exec, exec, s[12:13]
	s_cbranch_execnz .LBB214_216
; %bb.217:
	s_or_b64 exec, exec, s[12:13]
.LBB214_218:
	s_or_b64 exec, exec, s[10:11]
	v_and_b32_e32 v8, 7, v8
	v_cmp_ne_u32_e32 vcc, 0, v8
	s_and_saveexec_b64 s[10:11], vcc
	s_cbranch_execz .LBB214_221
; %bb.219:
	v_lshlrev_b32_e32 v9, 9, v11
	s_movk_i32 s12, 0x1f0
	v_add3_u32 v9, v9, v45, s12
	s_mov_b64 s[12:13], 0
.LBB214_220:                            ; =>This Inner Loop Header: Depth=1
	ds_read2st64_b32 v[10:11], v9 offset1:2
	v_add_u32_e32 v8, -1, v8
	v_cmp_eq_u32_e32 vcc, 0, v8
	s_or_b64 s[12:13], vcc, s[12:13]
	s_waitcnt lgkmcnt(0)
	v_pk_mul_f32 v[10:11], v[2:3], v[10:11]
	ds_write2st64_b32 v9, v10, v11 offset1:2
	v_add_u32_e32 v9, 0x400, v9
	s_andn2_b64 exec, exec, s[12:13]
	s_cbranch_execnz .LBB214_220
.LBB214_221:
	s_or_b64 exec, exec, s[10:11]
	v_add_u32_e32 v7, 1, v7
	v_and_b32_e32 v8, 0x3fffffe, v7
	v_cmp_ne_u32_e32 vcc, v7, v8
	v_lshl_add_u32 v3, v8, 7, v0
	s_orn2_b64 s[10:11], vcc, exec
.LBB214_222:
	s_or_b64 exec, exec, s[4:5]
	s_and_b64 exec, exec, s[10:11]
	s_cbranch_execz .LBB214_225
; %bb.223:
	v_mov_b32_e32 v7, 0x1f0
	v_lshl_add_u32 v7, v3, 2, v7
	s_mov_b64 s[4:5], 0
.LBB214_224:                            ; =>This Inner Loop Header: Depth=1
	ds_read_b32 v8, v7
	v_add_u32_e32 v3, 0x80, v3
	v_cmp_le_i32_e32 vcc, s7, v3
	s_or_b64 s[4:5], vcc, s[4:5]
	s_waitcnt lgkmcnt(0)
	v_mul_f32_e32 v8, v2, v8
	ds_write_b32 v7, v8
	v_add_u32_e32 v7, 0x200, v7
	s_andn2_b64 exec, exec, s[4:5]
	s_cbranch_execnz .LBB214_224
.LBB214_225:
	s_or_b64 exec, exec, s[2:3]
	s_mul_i32 s2, s29, s34
	v_cmp_eq_u32_e32 vcc, 0, v0
	s_mul_i32 s4, s2, s9
	s_waitcnt lgkmcnt(0)
	s_barrier
	s_and_saveexec_b64 s[2:3], vcc
	s_cbranch_execz .LBB214_227
; %bb.226:
	s_ashr_i32 s5, s4, 31
	s_lshl_b64 s[10:11], s[4:5], 2
	s_add_u32 s5, s26, s10
	s_mul_i32 s6, s29, s6
	s_addc_u32 s9, s27, s11
	s_ashr_i32 s7, s6, 31
	s_lshl_b64 s[6:7], s[6:7], 2
	s_add_u32 s5, s5, s6
	s_addc_u32 s19, s9, s7
	s_ashr_i32 s9, s8, 31
	s_lshl_b64 s[12:13], s[8:9], 2
	s_add_u32 s18, s5, s12
	s_addc_u32 s19, s19, s13
	s_add_u32 s5, s24, s10
	s_addc_u32 s9, s25, s11
	;; [unrolled: 2-line block ×3, first 2 shown]
	s_add_u32 s6, s5, s12
	v_mov_b32_e32 v2, 0
	s_addc_u32 s7, s7, s13
	global_store_dword v2, v5, s[18:19]
	global_store_dword v2, v6, s[6:7]
.LBB214_227:
	s_or_b64 exec, exec, s[2:3]
	s_mov_b32 s10, 0
	v_mov_b32_e32 v7, 0
	v_lshrrev_b32_e32 v65, 2, v4
	v_mov_b32_e32 v6, 0
	v_mov_b32_e32 v9, 0
	;; [unrolled: 1-line block ×7, first 2 shown]
	s_and_saveexec_b64 s[6:7], s[0:1]
	s_cbranch_execz .LBB214_443
; %bb.228:
	s_sub_i32 s5, s20, s21
	s_ashr_i32 s0, s23, 31
	s_add_u32 s12, s40, s23
	s_addc_u32 s13, s41, s0
	s_abs_i32 s9, s22
	v_cvt_f32_u32_e32 v2, s9
	v_or_b32_e32 v3, 0x70, v65
	s_movk_i32 s0, 0x78
	v_and_b32_e32 v66, 12, v45
	v_rcp_iflag_f32_e32 v2, v2
	v_cmp_gt_u32_e32 vcc, s0, v3
	s_sub_i32 s0, 0, s9
	s_add_i32 s41, s16, -1
	v_mul_f32_e32 v2, 0x4f7ffffe, v2
	v_cvt_u32_f32_e32 v2, v2
	v_lshl_or_b32 v18, v3, 4, v66
	s_mov_b32 s40, s17
	v_lshl_or_b32 v14, v65, 4, v66
	v_mul_lo_u32 v3, s0, v2
	s_lshl_b64 s[0:1], s[38:39], 2
	v_mul_hi_u32 v3, v2, v3
	s_add_u32 s0, s36, s0
	v_add_u32_e32 v67, v2, v3
	v_lshlrev_b64 v[2:3], 2, v[32:33]
	s_addc_u32 s1, s37, s1
	v_mov_b32_e32 v4, s1
	v_add_co_u32_e64 v20, s[0:1], s0, v2
	v_lshlrev_b32_e32 v2, 4, v30
	v_lshl_or_b32 v2, v46, 6, v2
	v_mov_b32_e32 v17, 0
	v_addc_co_u32_e64 v21, s[0:1], v4, v3, s[0:1]
	v_add_u32_e32 v33, 0x1f0, v2
	s_mov_b64 s[16:17], 0
	s_movk_i32 s38, 0x80
	s_movk_i32 s39, 0x7f
	s_brev_b32 s11, 1
	s_mov_b32 s19, 0x7f800001
	s_mov_b32 s43, 0xffffff
	v_bfrev_b32_e32 v68, 60
	v_mov_b32_e32 v69, 7
	v_mov_b32_e32 v70, 24
	;; [unrolled: 1-line block ×10, first 2 shown]
	s_branch .LBB214_232
.LBB214_229:                            ;   in Loop: Header=BB214_232 Depth=1
	s_or_b64 exec, exec, s[2:3]
	v_mul_f32_e32 v16, v3, v27
	v_fmac_f32_e32 v16, v2, v26
	v_fmac_f32_e32 v16, v4, v56
	;; [unrolled: 1-line block ×3, first 2 shown]
	v_add_f32_e32 v7, v7, v16
.LBB214_230:                            ;   in Loop: Header=BB214_232 Depth=1
	s_or_b64 exec, exec, s[24:25]
	v_mul_f32_e32 v16, v3, v23
	v_fmac_f32_e32 v16, v2, v22
	v_fmac_f32_e32 v16, v4, v24
	v_fmac_f32_e32 v16, v5, v25
	v_add_f32_e32 v12, v12, v16
	v_mul_f32_e32 v16, v3, v29
	v_fmac_f32_e32 v16, v2, v28
	v_fmac_f32_e32 v16, v4, v34
	v_fmac_f32_e32 v16, v5, v35
	v_add_f32_e32 v13, v13, v16
	v_mul_f32_e32 v16, v3, v39
	v_fmac_f32_e32 v16, v2, v38
	v_fmac_f32_e32 v16, v4, v40
	v_fmac_f32_e32 v16, v5, v41
	v_add_f32_e32 v10, v10, v16
	v_mul_f32_e32 v16, v3, v43
	v_fmac_f32_e32 v16, v2, v42
	v_fmac_f32_e32 v16, v4, v44
	v_fmac_f32_e32 v16, v5, v45
	v_add_f32_e32 v11, v11, v16
	v_mul_f32_e32 v16, v3, v47
	v_fmac_f32_e32 v16, v2, v46
	v_fmac_f32_e32 v16, v4, v48
	v_fmac_f32_e32 v16, v5, v49
	v_add_f32_e32 v8, v8, v16
	v_mul_f32_e32 v16, v3, v51
	v_mul_f32_e32 v3, v3, v37
	v_fmac_f32_e32 v16, v2, v50
	v_fmac_f32_e32 v3, v2, v36
	;; [unrolled: 1-line block ×6, first 2 shown]
	v_add_f32_e32 v9, v9, v16
	v_add_f32_e32 v6, v6, v3
.LBB214_231:                            ;   in Loop: Header=BB214_232 Depth=1
	s_or_b64 exec, exec, s[20:21]
	v_add_co_u32_e64 v20, s[0:1], 8, v20
	v_add_u32_e32 v32, 2, v32
	v_addc_co_u32_e64 v21, s[0:1], 0, v21, s[0:1]
	v_cmp_le_i32_e64 s[0:1], s55, v32
	v_add_u32_e32 v64, 32, v64
	s_or_b64 s[16:17], s[0:1], s[16:17]
	v_add_u32_e32 v33, 0x80, v33
	s_andn2_b64 exec, exec, s[16:17]
	s_cbranch_execz .LBB214_442
.LBB214_232:                            ; =>This Inner Loop Header: Depth=1
	v_sub_u32_e32 v3, 0, v64
	v_max_i32_e32 v3, v64, v3
	v_mul_hi_u32 v4, v3, s53
	v_mul_lo_u32 v5, v4, s52
	v_sub_u32_e32 v3, v3, v5
	v_add_u32_e32 v5, 1, v4
	v_cmp_le_u32_e64 s[0:1], s52, v3
	v_cndmask_b32_e64 v4, v4, v5, s[0:1]
	v_subrev_u32_e32 v5, s52, v3
	v_cndmask_b32_e64 v3, v3, v5, s[0:1]
	v_ashrrev_i32_e32 v2, 31, v64
	v_add_u32_e32 v5, 1, v4
	v_cmp_le_u32_e64 s[0:1], s52, v3
	v_xor_b32_e32 v2, s54, v2
	v_cndmask_b32_e64 v3, v4, v5, s[0:1]
	v_xor_b32_e32 v3, v3, v2
	v_sub_u32_e32 v2, v3, v2
	v_add_u32_e32 v3, s42, v2
	v_sub_u32_e32 v5, 0, v3
	v_ashrrev_i32_e32 v4, 31, v3
	v_max_i32_e32 v3, v3, v5
	v_mul_hi_u32 v5, v3, v67
	v_mul_lo_u32 v5, v5, s9
	v_sub_u32_e32 v3, v3, v5
	v_subrev_u32_e32 v5, s9, v3
	v_cmp_le_u32_e64 s[0:1], s9, v3
	v_cndmask_b32_e64 v3, v3, v5, s[0:1]
	v_subrev_u32_e32 v5, s9, v3
	v_cmp_le_u32_e64 s[0:1], s9, v3
	v_cndmask_b32_e64 v3, v3, v5, s[0:1]
	v_xor_b32_e32 v3, v3, v4
	v_sub_u32_e32 v3, v3, v4
	v_cmp_eq_u32_e64 s[0:1], 0, v3
	v_cmp_lt_i32_e64 s[2:3], s5, v2
	s_or_b64 s[0:1], s[0:1], s[2:3]
	s_and_saveexec_b64 s[20:21], s[0:1]
	s_cbranch_execz .LBB214_231
; %bb.233:                              ;   in Loop: Header=BB214_232 Depth=1
	global_load_dword v4, v[20:21], off
	v_pk_mov_b32 v[2:3], s[12:13], s[12:13] op_sel:[0,1]
	s_load_dword s22, s[14:15], 0x0
	v_pk_mov_b32 v[28:29], 0, 0
	v_pk_mov_b32 v[24:25], v[28:29], v[28:29] op_sel:[0,1]
	s_waitcnt vmcnt(0)
	v_mad_i64_i32 v[26:27], s[0:1], v4, s40, v[2:3]
	v_add_co_u32_e64 v36, s[0:1], v26, v14
	v_addc_co_u32_e64 v37, s[0:1], 0, v27, s[0:1]
	global_load_dword v22, v[36:37], off
	ds_read_b128 v[2:5], v33
	s_waitcnt vmcnt(0)
	v_cmp_ne_u16_sdwa s[0:1], v22, v17 src0_sel:BYTE_0 src1_sel:DWORD
	s_and_saveexec_b64 s[2:3], s[0:1]
	s_cbranch_execz .LBB214_239
; %bb.234:                              ;   in Loop: Header=BB214_232 Depth=1
	v_bfrev_b32_e32 v24, 1
	v_cmp_ne_u16_sdwa s[0:1], v22, s38 src0_sel:BYTE_0 src1_sel:DWORD
	v_mov_b32_e32 v25, 0
	s_and_saveexec_b64 s[24:25], s[0:1]
	s_cbranch_execz .LBB214_238
; %bb.235:                              ;   in Loop: Header=BB214_232 Depth=1
	v_and_b32_e32 v16, 0x7f, v22
	v_mov_b32_e32 v24, 0x7f800001
	v_cmp_ne_u32_e64 s[0:1], s39, v16
	v_mov_b32_e32 v25, 0
	s_and_saveexec_b64 s[26:27], s[0:1]
	s_cbranch_execz .LBB214_237
; %bb.236:                              ;   in Loop: Header=BB214_232 Depth=1
	v_and_b32_e32 v23, 7, v22
	v_ffbh_u32_e32 v24, v23
	v_min_u32_e32 v35, 32, v24
	v_subrev_u32_e32 v24, 28, v35
	v_lshlrev_b64 v[24:25], v24, v[22:23]
	v_lshrrev_b32_e32 v34, 3, v16
	v_sub_u32_e32 v25, 29, v35
	v_and_b32_e32 v24, 7, v24
	v_cmp_gt_u32_e64 s[0:1], 8, v16
	v_cndmask_b32_e64 v16, v34, v25, s[0:1]
	v_cndmask_b32_e64 v23, v23, v24, s[0:1]
	v_lshlrev_b32_e32 v23, 20, v23
	v_and_b32_sdwa v24, sext(v22), s11 dst_sel:DWORD dst_unused:UNUSED_PAD src0_sel:BYTE_0 src1_sel:DWORD
	v_lshl_add_u32 v16, v16, 23, v68
	v_or3_b32 v16, v24, v16, v23
	v_pk_mov_b32 v[24:25], v[16:17], v[16:17] op_sel:[0,1]
.LBB214_237:                            ;   in Loop: Header=BB214_232 Depth=1
	s_or_b64 exec, exec, s[26:27]
.LBB214_238:                            ;   in Loop: Header=BB214_232 Depth=1
	s_or_b64 exec, exec, s[24:25]
.LBB214_239:                            ;   in Loop: Header=BB214_232 Depth=1
	s_or_b64 exec, exec, s[2:3]
	v_cmp_ne_u16_sdwa s[0:1], v22, v17 src0_sel:BYTE_1 src1_sel:DWORD
	s_and_saveexec_b64 s[2:3], s[0:1]
	s_cbranch_execz .LBB214_245
; %bb.240:                              ;   in Loop: Header=BB214_232 Depth=1
	v_cmp_ne_u16_sdwa s[0:1], v22, s38 src0_sel:BYTE_1 src1_sel:DWORD
	v_pk_mov_b32 v[28:29], s[10:11], s[10:11] op_sel:[0,1]
	s_and_saveexec_b64 s[24:25], s[0:1]
	s_cbranch_execz .LBB214_244
; %bb.241:                              ;   in Loop: Header=BB214_232 Depth=1
	v_and_b32_sdwa v23, v22, s39 dst_sel:DWORD dst_unused:UNUSED_PAD src0_sel:BYTE_1 src1_sel:DWORD
	s_mov_b32 s18, s10
	v_cmp_ne_u32_e64 s[0:1], s39, v23
	v_pk_mov_b32 v[28:29], s[18:19], s[18:19] op_sel:[0,1]
	s_and_saveexec_b64 s[26:27], s[0:1]
	s_cbranch_execz .LBB214_243
; %bb.242:                              ;   in Loop: Header=BB214_232 Depth=1
	v_and_b32_sdwa v16, v22, v69 dst_sel:DWORD dst_unused:UNUSED_PAD src0_sel:BYTE_1 src1_sel:DWORD
	v_ffbh_u32_e32 v28, v16
	v_min_u32_e32 v35, 32, v28
	v_subrev_u32_e32 v28, 28, v35
	v_lshlrev_b64 v[28:29], v28, v[16:17]
	v_lshrrev_b32_e32 v34, 3, v23
	v_sub_u32_e32 v29, 29, v35
	v_cmp_gt_u32_e64 s[0:1], 8, v23
	v_and_b32_e32 v28, 7, v28
	v_cndmask_b32_e64 v23, v34, v29, s[0:1]
	v_cndmask_b32_e64 v16, v16, v28, s[0:1]
	v_lshlrev_b32_e32 v28, 16, v22
	v_lshl_add_u32 v23, v23, 23, v68
	v_and_or_b32 v23, v28, s11, v23
	v_lshlrev_b32_e32 v16, 20, v16
	v_or_b32_e32 v29, v23, v16
	v_mov_b32_e32 v28, v17
.LBB214_243:                            ;   in Loop: Header=BB214_232 Depth=1
	s_or_b64 exec, exec, s[26:27]
.LBB214_244:                            ;   in Loop: Header=BB214_232 Depth=1
	s_or_b64 exec, exec, s[24:25]
.LBB214_245:                            ;   in Loop: Header=BB214_232 Depth=1
	s_or_b64 exec, exec, s[2:3]
	v_lshrrev_b32_e32 v16, 16, v22
	v_pk_mov_b32 v[38:39], 0, 0
	v_cmp_ne_u16_sdwa s[0:1], v16, v17 src0_sel:BYTE_0 src1_sel:DWORD
	v_pk_mov_b32 v[34:35], v[38:39], v[38:39] op_sel:[0,1]
	s_and_saveexec_b64 s[2:3], s[0:1]
	s_cbranch_execz .LBB214_251
; %bb.246:                              ;   in Loop: Header=BB214_232 Depth=1
	v_bfrev_b32_e32 v34, 1
	v_cmp_ne_u16_sdwa s[0:1], v16, s38 src0_sel:BYTE_0 src1_sel:DWORD
	v_mov_b32_e32 v35, 0
	s_and_saveexec_b64 s[24:25], s[0:1]
	s_cbranch_execz .LBB214_250
; %bb.247:                              ;   in Loop: Header=BB214_232 Depth=1
	v_bfe_u32 v23, v22, 16, 7
	v_mov_b32_e32 v34, 0x7f800001
	v_cmp_ne_u32_e64 s[0:1], s39, v23
	v_mov_b32_e32 v35, 0
	s_and_saveexec_b64 s[26:27], s[0:1]
	s_cbranch_execz .LBB214_249
; %bb.248:                              ;   in Loop: Header=BB214_232 Depth=1
	v_and_b32_e32 v40, 7, v16
	v_ffbh_u32_e32 v34, v40
	v_min_u32_e32 v42, 32, v34
	v_subrev_u32_e32 v34, 28, v42
	v_lshlrev_b64 v[34:35], v34, v[16:17]
	v_lshrrev_b32_e32 v41, 3, v23
	v_sub_u32_e32 v35, 29, v42
	v_and_b32_e32 v34, 7, v34
	v_cmp_gt_u32_e64 s[0:1], 8, v23
	v_cndmask_b32_e64 v23, v41, v35, s[0:1]
	v_cndmask_b32_e64 v34, v40, v34, s[0:1]
	v_lshlrev_b32_e32 v34, 20, v34
	v_and_b32_sdwa v16, sext(v16), s11 dst_sel:DWORD dst_unused:UNUSED_PAD src0_sel:BYTE_0 src1_sel:DWORD
	v_lshl_add_u32 v23, v23, 23, v68
	v_or3_b32 v16, v16, v23, v34
	v_pk_mov_b32 v[34:35], v[16:17], v[16:17] op_sel:[0,1]
.LBB214_249:                            ;   in Loop: Header=BB214_232 Depth=1
	s_or_b64 exec, exec, s[26:27]
.LBB214_250:                            ;   in Loop: Header=BB214_232 Depth=1
	s_or_b64 exec, exec, s[24:25]
.LBB214_251:                            ;   in Loop: Header=BB214_232 Depth=1
	s_or_b64 exec, exec, s[2:3]
	v_cmp_lt_u32_e64 s[0:1], s43, v22
	s_and_saveexec_b64 s[2:3], s[0:1]
	s_cbranch_execz .LBB214_257
; %bb.252:                              ;   in Loop: Header=BB214_232 Depth=1
	v_cmp_ne_u32_sdwa s[0:1], v22, s38 src0_sel:BYTE_3 src1_sel:DWORD
	v_pk_mov_b32 v[38:39], s[10:11], s[10:11] op_sel:[0,1]
	s_and_saveexec_b64 s[24:25], s[0:1]
	s_cbranch_execz .LBB214_256
; %bb.253:                              ;   in Loop: Header=BB214_232 Depth=1
	v_bfe_u32 v23, v22, 24, 7
	s_mov_b32 s18, s10
	v_cmp_ne_u32_e64 s[0:1], s39, v23
	v_pk_mov_b32 v[38:39], s[18:19], s[18:19] op_sel:[0,1]
	s_and_saveexec_b64 s[26:27], s[0:1]
	s_cbranch_execz .LBB214_255
; %bb.254:                              ;   in Loop: Header=BB214_232 Depth=1
	v_and_b32_sdwa v16, v22, v69 dst_sel:DWORD dst_unused:UNUSED_PAD src0_sel:BYTE_3 src1_sel:DWORD
	v_ffbh_u32_e32 v38, v16
	v_min_u32_e32 v41, 32, v38
	v_subrev_u32_e32 v38, 28, v41
	v_lshlrev_b64 v[38:39], v38, v[16:17]
	v_lshrrev_b32_e32 v40, 3, v23
	v_sub_u32_e32 v39, 29, v41
	v_cmp_gt_u32_e64 s[0:1], 8, v23
	v_and_b32_e32 v38, 7, v38
	v_cndmask_b32_e64 v23, v40, v39, s[0:1]
	v_cndmask_b32_e64 v16, v16, v38, s[0:1]
	v_lshlrev_b32_sdwa v22, v70, v22 dst_sel:DWORD dst_unused:UNUSED_PAD src0_sel:DWORD src1_sel:BYTE_3
	v_lshl_add_u32 v23, v23, 23, v68
	v_and_or_b32 v22, v22, s11, v23
	v_lshlrev_b32_e32 v16, 20, v16
	v_or_b32_e32 v39, v22, v16
	v_mov_b32_e32 v38, v17
.LBB214_255:                            ;   in Loop: Header=BB214_232 Depth=1
	s_or_b64 exec, exec, s[26:27]
.LBB214_256:                            ;   in Loop: Header=BB214_232 Depth=1
	s_or_b64 exec, exec, s[24:25]
.LBB214_257:                            ;   in Loop: Header=BB214_232 Depth=1
	s_or_b64 exec, exec, s[2:3]
	v_or_b32_e32 v23, v29, v25
	v_or_b32_e32 v22, v28, v24
	;; [unrolled: 1-line block ×4, first 2 shown]
	v_add_u32_e32 v71, v66, v64
	v_cmp_eq_u32_e64 s[0:1], s41, v32
	s_waitcnt lgkmcnt(0)
	v_pk_mul_f32 v[22:23], s[22:23], v[22:23] op_sel_hi:[0,1]
	v_pk_mul_f32 v[24:25], s[22:23], v[24:25] op_sel_hi:[0,1]
	s_and_saveexec_b64 s[24:25], s[0:1]
; %bb.258:                              ;   in Loop: Header=BB214_232 Depth=1
	v_cmp_gt_i32_e64 s[2:3], s33, v71
	v_add_u32_e32 v16, 1, v71
	v_cndmask_b32_e64 v22, 0, v22, s[2:3]
	v_cmp_gt_i32_e64 s[2:3], s33, v16
	v_add_u32_e32 v16, 2, v71
	v_cndmask_b32_e64 v23, 0, v23, s[2:3]
	;; [unrolled: 3-line block ×3, first 2 shown]
	v_cmp_gt_i32_e64 s[2:3], s33, v16
	v_cndmask_b32_e64 v25, 0, v25, s[2:3]
; %bb.259:                              ;   in Loop: Header=BB214_232 Depth=1
	s_or_b64 exec, exec, s[24:25]
	global_load_dword v28, v[36:37], off offset:256
	v_pk_mov_b32 v[38:39], 0, 0
	v_pk_mov_b32 v[34:35], v[38:39], v[38:39] op_sel:[0,1]
	s_waitcnt vmcnt(0)
	v_cmp_ne_u16_sdwa s[2:3], v28, v17 src0_sel:BYTE_0 src1_sel:DWORD
	s_and_saveexec_b64 s[24:25], s[2:3]
	s_cbranch_execz .LBB214_265
; %bb.260:                              ;   in Loop: Header=BB214_232 Depth=1
	v_bfrev_b32_e32 v34, 1
	v_cmp_ne_u16_sdwa s[2:3], v28, s38 src0_sel:BYTE_0 src1_sel:DWORD
	v_mov_b32_e32 v35, 0
	s_and_saveexec_b64 s[26:27], s[2:3]
	s_cbranch_execz .LBB214_264
; %bb.261:                              ;   in Loop: Header=BB214_232 Depth=1
	v_and_b32_e32 v16, 0x7f, v28
	v_mov_b32_e32 v34, 0x7f800001
	v_cmp_ne_u32_e64 s[2:3], s39, v16
	v_mov_b32_e32 v35, 0
	s_and_saveexec_b64 s[34:35], s[2:3]
	s_cbranch_execz .LBB214_263
; %bb.262:                              ;   in Loop: Header=BB214_232 Depth=1
	v_and_b32_e32 v29, 7, v28
	v_ffbh_u32_e32 v34, v29
	v_min_u32_e32 v41, 32, v34
	v_subrev_u32_e32 v34, 28, v41
	v_lshlrev_b64 v[34:35], v34, v[28:29]
	v_lshrrev_b32_e32 v40, 3, v16
	v_sub_u32_e32 v35, 29, v41
	v_and_b32_e32 v34, 7, v34
	v_cmp_gt_u32_e64 s[2:3], 8, v16
	v_cndmask_b32_e64 v16, v40, v35, s[2:3]
	v_cndmask_b32_e64 v29, v29, v34, s[2:3]
	v_lshlrev_b32_e32 v29, 20, v29
	v_and_b32_sdwa v34, sext(v28), s11 dst_sel:DWORD dst_unused:UNUSED_PAD src0_sel:BYTE_0 src1_sel:DWORD
	v_lshl_add_u32 v16, v16, 23, v68
	v_or3_b32 v16, v34, v16, v29
	v_pk_mov_b32 v[34:35], v[16:17], v[16:17] op_sel:[0,1]
.LBB214_263:                            ;   in Loop: Header=BB214_232 Depth=1
	s_or_b64 exec, exec, s[34:35]
.LBB214_264:                            ;   in Loop: Header=BB214_232 Depth=1
	s_or_b64 exec, exec, s[26:27]
.LBB214_265:                            ;   in Loop: Header=BB214_232 Depth=1
	s_or_b64 exec, exec, s[24:25]
	v_cmp_ne_u16_sdwa s[2:3], v28, v17 src0_sel:BYTE_1 src1_sel:DWORD
	s_and_saveexec_b64 s[24:25], s[2:3]
	s_cbranch_execz .LBB214_271
; %bb.266:                              ;   in Loop: Header=BB214_232 Depth=1
	v_cmp_ne_u16_sdwa s[2:3], v28, s38 src0_sel:BYTE_1 src1_sel:DWORD
	v_pk_mov_b32 v[38:39], s[10:11], s[10:11] op_sel:[0,1]
	s_and_saveexec_b64 s[26:27], s[2:3]
	s_cbranch_execz .LBB214_270
; %bb.267:                              ;   in Loop: Header=BB214_232 Depth=1
	v_and_b32_sdwa v29, v28, s39 dst_sel:DWORD dst_unused:UNUSED_PAD src0_sel:BYTE_1 src1_sel:DWORD
	s_mov_b32 s18, s10
	v_cmp_ne_u32_e64 s[2:3], s39, v29
	v_pk_mov_b32 v[38:39], s[18:19], s[18:19] op_sel:[0,1]
	s_and_saveexec_b64 s[34:35], s[2:3]
	s_cbranch_execz .LBB214_269
; %bb.268:                              ;   in Loop: Header=BB214_232 Depth=1
	v_and_b32_sdwa v16, v28, v69 dst_sel:DWORD dst_unused:UNUSED_PAD src0_sel:BYTE_1 src1_sel:DWORD
	v_ffbh_u32_e32 v38, v16
	v_min_u32_e32 v41, 32, v38
	v_subrev_u32_e32 v38, 28, v41
	v_lshlrev_b64 v[38:39], v38, v[16:17]
	v_lshrrev_b32_e32 v40, 3, v29
	v_sub_u32_e32 v39, 29, v41
	v_cmp_gt_u32_e64 s[2:3], 8, v29
	v_and_b32_e32 v38, 7, v38
	v_cndmask_b32_e64 v29, v40, v39, s[2:3]
	v_cndmask_b32_e64 v16, v16, v38, s[2:3]
	v_lshlrev_b32_e32 v38, 16, v28
	v_lshl_add_u32 v29, v29, 23, v68
	v_and_or_b32 v29, v38, s11, v29
	v_lshlrev_b32_e32 v16, 20, v16
	v_or_b32_e32 v39, v29, v16
	v_mov_b32_e32 v38, v17
.LBB214_269:                            ;   in Loop: Header=BB214_232 Depth=1
	s_or_b64 exec, exec, s[34:35]
.LBB214_270:                            ;   in Loop: Header=BB214_232 Depth=1
	s_or_b64 exec, exec, s[26:27]
.LBB214_271:                            ;   in Loop: Header=BB214_232 Depth=1
	s_or_b64 exec, exec, s[24:25]
	v_lshrrev_b32_e32 v16, 16, v28
	v_pk_mov_b32 v[42:43], 0, 0
	v_cmp_ne_u16_sdwa s[2:3], v16, v17 src0_sel:BYTE_0 src1_sel:DWORD
	v_pk_mov_b32 v[40:41], v[42:43], v[42:43] op_sel:[0,1]
	s_and_saveexec_b64 s[24:25], s[2:3]
	s_cbranch_execz .LBB214_277
; %bb.272:                              ;   in Loop: Header=BB214_232 Depth=1
	v_bfrev_b32_e32 v40, 1
	v_cmp_ne_u16_sdwa s[2:3], v16, s38 src0_sel:BYTE_0 src1_sel:DWORD
	v_mov_b32_e32 v41, 0
	s_and_saveexec_b64 s[26:27], s[2:3]
	s_cbranch_execz .LBB214_276
; %bb.273:                              ;   in Loop: Header=BB214_232 Depth=1
	v_bfe_u32 v29, v28, 16, 7
	v_mov_b32_e32 v40, 0x7f800001
	v_cmp_ne_u32_e64 s[2:3], s39, v29
	v_mov_b32_e32 v41, 0
	s_and_saveexec_b64 s[34:35], s[2:3]
	s_cbranch_execz .LBB214_275
; %bb.274:                              ;   in Loop: Header=BB214_232 Depth=1
	v_and_b32_e32 v44, 7, v16
	v_ffbh_u32_e32 v40, v44
	v_min_u32_e32 v46, 32, v40
	v_subrev_u32_e32 v40, 28, v46
	v_lshlrev_b64 v[40:41], v40, v[16:17]
	v_lshrrev_b32_e32 v45, 3, v29
	v_sub_u32_e32 v41, 29, v46
	v_and_b32_e32 v40, 7, v40
	v_cmp_gt_u32_e64 s[2:3], 8, v29
	v_cndmask_b32_e64 v29, v45, v41, s[2:3]
	v_cndmask_b32_e64 v40, v44, v40, s[2:3]
	v_lshlrev_b32_e32 v40, 20, v40
	v_and_b32_sdwa v16, sext(v16), s11 dst_sel:DWORD dst_unused:UNUSED_PAD src0_sel:BYTE_0 src1_sel:DWORD
	v_lshl_add_u32 v29, v29, 23, v68
	v_or3_b32 v16, v16, v29, v40
	v_pk_mov_b32 v[40:41], v[16:17], v[16:17] op_sel:[0,1]
.LBB214_275:                            ;   in Loop: Header=BB214_232 Depth=1
	s_or_b64 exec, exec, s[34:35]
.LBB214_276:                            ;   in Loop: Header=BB214_232 Depth=1
	s_or_b64 exec, exec, s[26:27]
.LBB214_277:                            ;   in Loop: Header=BB214_232 Depth=1
	s_or_b64 exec, exec, s[24:25]
	v_cmp_lt_u32_e64 s[2:3], s43, v28
	s_and_saveexec_b64 s[24:25], s[2:3]
	s_cbranch_execz .LBB214_283
; %bb.278:                              ;   in Loop: Header=BB214_232 Depth=1
	v_cmp_ne_u32_sdwa s[2:3], v28, s38 src0_sel:BYTE_3 src1_sel:DWORD
	v_pk_mov_b32 v[42:43], s[10:11], s[10:11] op_sel:[0,1]
	s_and_saveexec_b64 s[26:27], s[2:3]
	s_cbranch_execz .LBB214_282
; %bb.279:                              ;   in Loop: Header=BB214_232 Depth=1
	v_bfe_u32 v29, v28, 24, 7
	s_mov_b32 s18, s10
	v_cmp_ne_u32_e64 s[2:3], s39, v29
	v_pk_mov_b32 v[42:43], s[18:19], s[18:19] op_sel:[0,1]
	s_and_saveexec_b64 s[34:35], s[2:3]
	s_cbranch_execz .LBB214_281
; %bb.280:                              ;   in Loop: Header=BB214_232 Depth=1
	v_and_b32_sdwa v16, v28, v69 dst_sel:DWORD dst_unused:UNUSED_PAD src0_sel:BYTE_3 src1_sel:DWORD
	v_ffbh_u32_e32 v42, v16
	v_min_u32_e32 v45, 32, v42
	v_subrev_u32_e32 v42, 28, v45
	v_lshlrev_b64 v[42:43], v42, v[16:17]
	v_lshrrev_b32_e32 v44, 3, v29
	v_sub_u32_e32 v43, 29, v45
	v_cmp_gt_u32_e64 s[2:3], 8, v29
	v_and_b32_e32 v42, 7, v42
	v_cndmask_b32_e64 v29, v44, v43, s[2:3]
	v_cndmask_b32_e64 v16, v16, v42, s[2:3]
	v_lshlrev_b32_sdwa v28, v70, v28 dst_sel:DWORD dst_unused:UNUSED_PAD src0_sel:DWORD src1_sel:BYTE_3
	v_lshl_add_u32 v29, v29, 23, v68
	v_and_or_b32 v28, v28, s11, v29
	v_lshlrev_b32_e32 v16, 20, v16
	v_or_b32_e32 v43, v28, v16
	v_mov_b32_e32 v42, v17
.LBB214_281:                            ;   in Loop: Header=BB214_232 Depth=1
	s_or_b64 exec, exec, s[34:35]
.LBB214_282:                            ;   in Loop: Header=BB214_232 Depth=1
	s_or_b64 exec, exec, s[26:27]
.LBB214_283:                            ;   in Loop: Header=BB214_232 Depth=1
	s_or_b64 exec, exec, s[24:25]
	s_mov_b32 s23, s22
	v_or_b32_e32 v29, v39, v35
	v_or_b32_e32 v28, v38, v34
	v_or_b32_e32 v35, v43, v41
	v_or_b32_e32 v34, v42, v40
	v_pk_mul_f32 v[28:29], s[22:23], v[28:29]
	v_pk_mul_f32 v[34:35], s[22:23], v[34:35]
	s_and_saveexec_b64 s[24:25], s[0:1]
; %bb.284:                              ;   in Loop: Header=BB214_232 Depth=1
	v_cmp_gt_i32_e64 s[2:3], s33, v71
	v_add_u32_e32 v16, 1, v71
	v_cndmask_b32_e64 v28, 0, v28, s[2:3]
	v_cmp_gt_i32_e64 s[2:3], s33, v16
	v_add_u32_e32 v16, 2, v71
	v_cndmask_b32_e64 v29, 0, v29, s[2:3]
	;; [unrolled: 3-line block ×3, first 2 shown]
	v_cmp_gt_i32_e64 s[2:3], s33, v16
	v_cndmask_b32_e64 v35, 0, v35, s[2:3]
; %bb.285:                              ;   in Loop: Header=BB214_232 Depth=1
	s_or_b64 exec, exec, s[24:25]
	global_load_dword v38, v[36:37], off offset:512
	v_pk_mov_b32 v[42:43], 0, 0
	v_pk_mov_b32 v[40:41], v[42:43], v[42:43] op_sel:[0,1]
	s_waitcnt vmcnt(0)
	v_cmp_ne_u16_sdwa s[2:3], v38, v17 src0_sel:BYTE_0 src1_sel:DWORD
	s_and_saveexec_b64 s[24:25], s[2:3]
	s_cbranch_execz .LBB214_291
; %bb.286:                              ;   in Loop: Header=BB214_232 Depth=1
	v_bfrev_b32_e32 v40, 1
	v_cmp_ne_u16_sdwa s[2:3], v38, s38 src0_sel:BYTE_0 src1_sel:DWORD
	v_mov_b32_e32 v41, 0
	s_and_saveexec_b64 s[26:27], s[2:3]
	s_cbranch_execz .LBB214_290
; %bb.287:                              ;   in Loop: Header=BB214_232 Depth=1
	v_and_b32_e32 v16, 0x7f, v38
	v_mov_b32_e32 v40, 0x7f800001
	v_cmp_ne_u32_e64 s[2:3], s39, v16
	v_mov_b32_e32 v41, 0
	s_and_saveexec_b64 s[34:35], s[2:3]
	s_cbranch_execz .LBB214_289
; %bb.288:                              ;   in Loop: Header=BB214_232 Depth=1
	v_and_b32_e32 v39, 7, v38
	v_ffbh_u32_e32 v40, v39
	v_min_u32_e32 v45, 32, v40
	v_subrev_u32_e32 v40, 28, v45
	v_lshlrev_b64 v[40:41], v40, v[38:39]
	v_lshrrev_b32_e32 v44, 3, v16
	v_sub_u32_e32 v41, 29, v45
	v_and_b32_e32 v40, 7, v40
	v_cmp_gt_u32_e64 s[2:3], 8, v16
	v_cndmask_b32_e64 v16, v44, v41, s[2:3]
	v_cndmask_b32_e64 v39, v39, v40, s[2:3]
	v_lshlrev_b32_e32 v39, 20, v39
	v_and_b32_sdwa v40, sext(v38), s11 dst_sel:DWORD dst_unused:UNUSED_PAD src0_sel:BYTE_0 src1_sel:DWORD
	v_lshl_add_u32 v16, v16, 23, v68
	v_or3_b32 v16, v40, v16, v39
	v_pk_mov_b32 v[40:41], v[16:17], v[16:17] op_sel:[0,1]
.LBB214_289:                            ;   in Loop: Header=BB214_232 Depth=1
	s_or_b64 exec, exec, s[34:35]
.LBB214_290:                            ;   in Loop: Header=BB214_232 Depth=1
	s_or_b64 exec, exec, s[26:27]
.LBB214_291:                            ;   in Loop: Header=BB214_232 Depth=1
	s_or_b64 exec, exec, s[24:25]
	v_cmp_ne_u16_sdwa s[2:3], v38, v17 src0_sel:BYTE_1 src1_sel:DWORD
	s_and_saveexec_b64 s[24:25], s[2:3]
	s_cbranch_execz .LBB214_297
; %bb.292:                              ;   in Loop: Header=BB214_232 Depth=1
	v_cmp_ne_u16_sdwa s[2:3], v38, s38 src0_sel:BYTE_1 src1_sel:DWORD
	v_pk_mov_b32 v[42:43], s[10:11], s[10:11] op_sel:[0,1]
	s_and_saveexec_b64 s[26:27], s[2:3]
	s_cbranch_execz .LBB214_296
; %bb.293:                              ;   in Loop: Header=BB214_232 Depth=1
	v_and_b32_sdwa v39, v38, s39 dst_sel:DWORD dst_unused:UNUSED_PAD src0_sel:BYTE_1 src1_sel:DWORD
	s_mov_b32 s18, s10
	v_cmp_ne_u32_e64 s[2:3], s39, v39
	v_pk_mov_b32 v[42:43], s[18:19], s[18:19] op_sel:[0,1]
	s_and_saveexec_b64 s[34:35], s[2:3]
	s_cbranch_execz .LBB214_295
; %bb.294:                              ;   in Loop: Header=BB214_232 Depth=1
	v_and_b32_sdwa v16, v38, v69 dst_sel:DWORD dst_unused:UNUSED_PAD src0_sel:BYTE_1 src1_sel:DWORD
	v_ffbh_u32_e32 v42, v16
	v_min_u32_e32 v45, 32, v42
	v_subrev_u32_e32 v42, 28, v45
	v_lshlrev_b64 v[42:43], v42, v[16:17]
	v_lshrrev_b32_e32 v44, 3, v39
	v_sub_u32_e32 v43, 29, v45
	v_cmp_gt_u32_e64 s[2:3], 8, v39
	v_and_b32_e32 v42, 7, v42
	v_cndmask_b32_e64 v39, v44, v43, s[2:3]
	v_cndmask_b32_e64 v16, v16, v42, s[2:3]
	v_lshlrev_b32_e32 v42, 16, v38
	v_lshl_add_u32 v39, v39, 23, v68
	v_and_or_b32 v39, v42, s11, v39
	v_lshlrev_b32_e32 v16, 20, v16
	v_or_b32_e32 v43, v39, v16
	v_mov_b32_e32 v42, v17
.LBB214_295:                            ;   in Loop: Header=BB214_232 Depth=1
	s_or_b64 exec, exec, s[34:35]
.LBB214_296:                            ;   in Loop: Header=BB214_232 Depth=1
	s_or_b64 exec, exec, s[26:27]
.LBB214_297:                            ;   in Loop: Header=BB214_232 Depth=1
	s_or_b64 exec, exec, s[24:25]
	v_lshrrev_b32_e32 v16, 16, v38
	v_pk_mov_b32 v[46:47], 0, 0
	v_cmp_ne_u16_sdwa s[2:3], v16, v17 src0_sel:BYTE_0 src1_sel:DWORD
	v_pk_mov_b32 v[44:45], v[46:47], v[46:47] op_sel:[0,1]
	s_and_saveexec_b64 s[24:25], s[2:3]
	s_cbranch_execz .LBB214_303
; %bb.298:                              ;   in Loop: Header=BB214_232 Depth=1
	v_bfrev_b32_e32 v44, 1
	v_cmp_ne_u16_sdwa s[2:3], v16, s38 src0_sel:BYTE_0 src1_sel:DWORD
	v_mov_b32_e32 v45, 0
	s_and_saveexec_b64 s[26:27], s[2:3]
	s_cbranch_execz .LBB214_302
; %bb.299:                              ;   in Loop: Header=BB214_232 Depth=1
	v_bfe_u32 v39, v38, 16, 7
	v_mov_b32_e32 v44, 0x7f800001
	v_cmp_ne_u32_e64 s[2:3], s39, v39
	v_mov_b32_e32 v45, 0
	s_and_saveexec_b64 s[34:35], s[2:3]
	s_cbranch_execz .LBB214_301
; %bb.300:                              ;   in Loop: Header=BB214_232 Depth=1
	v_and_b32_e32 v48, 7, v16
	v_ffbh_u32_e32 v44, v48
	v_min_u32_e32 v50, 32, v44
	v_subrev_u32_e32 v44, 28, v50
	v_lshlrev_b64 v[44:45], v44, v[16:17]
	v_lshrrev_b32_e32 v49, 3, v39
	v_sub_u32_e32 v45, 29, v50
	v_and_b32_e32 v44, 7, v44
	v_cmp_gt_u32_e64 s[2:3], 8, v39
	v_cndmask_b32_e64 v39, v49, v45, s[2:3]
	v_cndmask_b32_e64 v44, v48, v44, s[2:3]
	v_lshlrev_b32_e32 v44, 20, v44
	v_and_b32_sdwa v16, sext(v16), s11 dst_sel:DWORD dst_unused:UNUSED_PAD src0_sel:BYTE_0 src1_sel:DWORD
	v_lshl_add_u32 v39, v39, 23, v68
	v_or3_b32 v16, v16, v39, v44
	v_pk_mov_b32 v[44:45], v[16:17], v[16:17] op_sel:[0,1]
.LBB214_301:                            ;   in Loop: Header=BB214_232 Depth=1
	s_or_b64 exec, exec, s[34:35]
.LBB214_302:                            ;   in Loop: Header=BB214_232 Depth=1
	s_or_b64 exec, exec, s[26:27]
.LBB214_303:                            ;   in Loop: Header=BB214_232 Depth=1
	s_or_b64 exec, exec, s[24:25]
	v_cmp_lt_u32_e64 s[2:3], s43, v38
	s_and_saveexec_b64 s[24:25], s[2:3]
	s_cbranch_execz .LBB214_309
; %bb.304:                              ;   in Loop: Header=BB214_232 Depth=1
	v_cmp_ne_u32_sdwa s[2:3], v38, s38 src0_sel:BYTE_3 src1_sel:DWORD
	v_pk_mov_b32 v[46:47], s[10:11], s[10:11] op_sel:[0,1]
	s_and_saveexec_b64 s[26:27], s[2:3]
	s_cbranch_execz .LBB214_308
; %bb.305:                              ;   in Loop: Header=BB214_232 Depth=1
	v_bfe_u32 v39, v38, 24, 7
	s_mov_b32 s18, s10
	v_cmp_ne_u32_e64 s[2:3], s39, v39
	v_pk_mov_b32 v[46:47], s[18:19], s[18:19] op_sel:[0,1]
	s_and_saveexec_b64 s[34:35], s[2:3]
	s_cbranch_execz .LBB214_307
; %bb.306:                              ;   in Loop: Header=BB214_232 Depth=1
	v_and_b32_sdwa v16, v38, v69 dst_sel:DWORD dst_unused:UNUSED_PAD src0_sel:BYTE_3 src1_sel:DWORD
	v_ffbh_u32_e32 v46, v16
	v_min_u32_e32 v49, 32, v46
	v_subrev_u32_e32 v46, 28, v49
	v_lshlrev_b64 v[46:47], v46, v[16:17]
	v_lshrrev_b32_e32 v48, 3, v39
	v_sub_u32_e32 v47, 29, v49
	v_cmp_gt_u32_e64 s[2:3], 8, v39
	v_and_b32_e32 v46, 7, v46
	v_cndmask_b32_e64 v39, v48, v47, s[2:3]
	v_cndmask_b32_e64 v16, v16, v46, s[2:3]
	v_lshlrev_b32_sdwa v38, v70, v38 dst_sel:DWORD dst_unused:UNUSED_PAD src0_sel:DWORD src1_sel:BYTE_3
	v_lshl_add_u32 v39, v39, 23, v68
	v_and_or_b32 v38, v38, s11, v39
	v_lshlrev_b32_e32 v16, 20, v16
	v_or_b32_e32 v47, v38, v16
	v_mov_b32_e32 v46, v17
.LBB214_307:                            ;   in Loop: Header=BB214_232 Depth=1
	s_or_b64 exec, exec, s[34:35]
.LBB214_308:                            ;   in Loop: Header=BB214_232 Depth=1
	s_or_b64 exec, exec, s[26:27]
.LBB214_309:                            ;   in Loop: Header=BB214_232 Depth=1
	s_or_b64 exec, exec, s[24:25]
	v_or_b32_e32 v39, v43, v41
	v_or_b32_e32 v38, v42, v40
	v_or_b32_e32 v41, v47, v45
	v_or_b32_e32 v40, v46, v44
	v_pk_mul_f32 v[38:39], s[22:23], v[38:39]
	v_pk_mul_f32 v[40:41], s[22:23], v[40:41]
	s_and_saveexec_b64 s[24:25], s[0:1]
; %bb.310:                              ;   in Loop: Header=BB214_232 Depth=1
	v_cmp_gt_i32_e64 s[2:3], s33, v71
	v_add_u32_e32 v16, 1, v71
	v_cndmask_b32_e64 v38, 0, v38, s[2:3]
	v_cmp_gt_i32_e64 s[2:3], s33, v16
	v_add_u32_e32 v16, 2, v71
	v_cndmask_b32_e64 v39, 0, v39, s[2:3]
	;; [unrolled: 3-line block ×3, first 2 shown]
	v_cmp_gt_i32_e64 s[2:3], s33, v16
	v_cndmask_b32_e64 v41, 0, v41, s[2:3]
; %bb.311:                              ;   in Loop: Header=BB214_232 Depth=1
	s_or_b64 exec, exec, s[24:25]
	global_load_dword v42, v[36:37], off offset:768
	v_pk_mov_b32 v[46:47], 0, 0
	v_pk_mov_b32 v[44:45], v[46:47], v[46:47] op_sel:[0,1]
	s_waitcnt vmcnt(0)
	v_cmp_ne_u16_sdwa s[2:3], v42, v17 src0_sel:BYTE_0 src1_sel:DWORD
	s_and_saveexec_b64 s[24:25], s[2:3]
	s_cbranch_execz .LBB214_317
; %bb.312:                              ;   in Loop: Header=BB214_232 Depth=1
	v_bfrev_b32_e32 v44, 1
	v_cmp_ne_u16_sdwa s[2:3], v42, s38 src0_sel:BYTE_0 src1_sel:DWORD
	v_mov_b32_e32 v45, 0
	s_and_saveexec_b64 s[26:27], s[2:3]
	s_cbranch_execz .LBB214_316
; %bb.313:                              ;   in Loop: Header=BB214_232 Depth=1
	v_and_b32_e32 v16, 0x7f, v42
	v_mov_b32_e32 v44, 0x7f800001
	v_cmp_ne_u32_e64 s[2:3], s39, v16
	v_mov_b32_e32 v45, 0
	s_and_saveexec_b64 s[34:35], s[2:3]
	s_cbranch_execz .LBB214_315
; %bb.314:                              ;   in Loop: Header=BB214_232 Depth=1
	v_and_b32_e32 v43, 7, v42
	v_ffbh_u32_e32 v44, v43
	v_min_u32_e32 v49, 32, v44
	v_subrev_u32_e32 v44, 28, v49
	v_lshlrev_b64 v[44:45], v44, v[42:43]
	v_lshrrev_b32_e32 v48, 3, v16
	v_sub_u32_e32 v45, 29, v49
	v_and_b32_e32 v44, 7, v44
	v_cmp_gt_u32_e64 s[2:3], 8, v16
	v_cndmask_b32_e64 v16, v48, v45, s[2:3]
	v_cndmask_b32_e64 v43, v43, v44, s[2:3]
	v_lshlrev_b32_e32 v43, 20, v43
	v_and_b32_sdwa v44, sext(v42), s11 dst_sel:DWORD dst_unused:UNUSED_PAD src0_sel:BYTE_0 src1_sel:DWORD
	v_lshl_add_u32 v16, v16, 23, v68
	v_or3_b32 v16, v44, v16, v43
	v_pk_mov_b32 v[44:45], v[16:17], v[16:17] op_sel:[0,1]
.LBB214_315:                            ;   in Loop: Header=BB214_232 Depth=1
	s_or_b64 exec, exec, s[34:35]
.LBB214_316:                            ;   in Loop: Header=BB214_232 Depth=1
	s_or_b64 exec, exec, s[26:27]
.LBB214_317:                            ;   in Loop: Header=BB214_232 Depth=1
	s_or_b64 exec, exec, s[24:25]
	v_cmp_ne_u16_sdwa s[2:3], v42, v17 src0_sel:BYTE_1 src1_sel:DWORD
	s_and_saveexec_b64 s[24:25], s[2:3]
	s_cbranch_execz .LBB214_323
; %bb.318:                              ;   in Loop: Header=BB214_232 Depth=1
	v_cmp_ne_u16_sdwa s[2:3], v42, s38 src0_sel:BYTE_1 src1_sel:DWORD
	v_pk_mov_b32 v[46:47], s[10:11], s[10:11] op_sel:[0,1]
	s_and_saveexec_b64 s[26:27], s[2:3]
	s_cbranch_execz .LBB214_322
; %bb.319:                              ;   in Loop: Header=BB214_232 Depth=1
	v_and_b32_sdwa v43, v42, s39 dst_sel:DWORD dst_unused:UNUSED_PAD src0_sel:BYTE_1 src1_sel:DWORD
	s_mov_b32 s18, s10
	v_cmp_ne_u32_e64 s[2:3], s39, v43
	v_pk_mov_b32 v[46:47], s[18:19], s[18:19] op_sel:[0,1]
	s_and_saveexec_b64 s[34:35], s[2:3]
	s_cbranch_execz .LBB214_321
; %bb.320:                              ;   in Loop: Header=BB214_232 Depth=1
	v_and_b32_sdwa v16, v42, v69 dst_sel:DWORD dst_unused:UNUSED_PAD src0_sel:BYTE_1 src1_sel:DWORD
	v_ffbh_u32_e32 v46, v16
	v_min_u32_e32 v49, 32, v46
	v_subrev_u32_e32 v46, 28, v49
	v_lshlrev_b64 v[46:47], v46, v[16:17]
	v_lshrrev_b32_e32 v48, 3, v43
	v_sub_u32_e32 v47, 29, v49
	v_cmp_gt_u32_e64 s[2:3], 8, v43
	v_and_b32_e32 v46, 7, v46
	v_cndmask_b32_e64 v43, v48, v47, s[2:3]
	v_cndmask_b32_e64 v16, v16, v46, s[2:3]
	v_lshlrev_b32_e32 v46, 16, v42
	v_lshl_add_u32 v43, v43, 23, v68
	v_and_or_b32 v43, v46, s11, v43
	v_lshlrev_b32_e32 v16, 20, v16
	v_or_b32_e32 v47, v43, v16
	v_mov_b32_e32 v46, v17
.LBB214_321:                            ;   in Loop: Header=BB214_232 Depth=1
	s_or_b64 exec, exec, s[34:35]
.LBB214_322:                            ;   in Loop: Header=BB214_232 Depth=1
	s_or_b64 exec, exec, s[26:27]
.LBB214_323:                            ;   in Loop: Header=BB214_232 Depth=1
	s_or_b64 exec, exec, s[24:25]
	v_lshrrev_b32_e32 v16, 16, v42
	v_pk_mov_b32 v[50:51], 0, 0
	v_cmp_ne_u16_sdwa s[2:3], v16, v17 src0_sel:BYTE_0 src1_sel:DWORD
	v_pk_mov_b32 v[48:49], v[50:51], v[50:51] op_sel:[0,1]
	s_and_saveexec_b64 s[24:25], s[2:3]
	s_cbranch_execz .LBB214_329
; %bb.324:                              ;   in Loop: Header=BB214_232 Depth=1
	v_bfrev_b32_e32 v48, 1
	v_cmp_ne_u16_sdwa s[2:3], v16, s38 src0_sel:BYTE_0 src1_sel:DWORD
	v_mov_b32_e32 v49, 0
	s_and_saveexec_b64 s[26:27], s[2:3]
	s_cbranch_execz .LBB214_328
; %bb.325:                              ;   in Loop: Header=BB214_232 Depth=1
	v_bfe_u32 v43, v42, 16, 7
	v_mov_b32_e32 v48, 0x7f800001
	v_cmp_ne_u32_e64 s[2:3], s39, v43
	v_mov_b32_e32 v49, 0
	s_and_saveexec_b64 s[34:35], s[2:3]
	s_cbranch_execz .LBB214_327
; %bb.326:                              ;   in Loop: Header=BB214_232 Depth=1
	v_and_b32_e32 v52, 7, v16
	v_ffbh_u32_e32 v48, v52
	v_min_u32_e32 v54, 32, v48
	v_subrev_u32_e32 v48, 28, v54
	v_lshlrev_b64 v[48:49], v48, v[16:17]
	v_lshrrev_b32_e32 v53, 3, v43
	v_sub_u32_e32 v49, 29, v54
	v_and_b32_e32 v48, 7, v48
	v_cmp_gt_u32_e64 s[2:3], 8, v43
	v_cndmask_b32_e64 v43, v53, v49, s[2:3]
	v_cndmask_b32_e64 v48, v52, v48, s[2:3]
	v_lshlrev_b32_e32 v48, 20, v48
	v_and_b32_sdwa v16, sext(v16), s11 dst_sel:DWORD dst_unused:UNUSED_PAD src0_sel:BYTE_0 src1_sel:DWORD
	v_lshl_add_u32 v43, v43, 23, v68
	v_or3_b32 v16, v16, v43, v48
	v_pk_mov_b32 v[48:49], v[16:17], v[16:17] op_sel:[0,1]
.LBB214_327:                            ;   in Loop: Header=BB214_232 Depth=1
	s_or_b64 exec, exec, s[34:35]
.LBB214_328:                            ;   in Loop: Header=BB214_232 Depth=1
	s_or_b64 exec, exec, s[26:27]
.LBB214_329:                            ;   in Loop: Header=BB214_232 Depth=1
	s_or_b64 exec, exec, s[24:25]
	v_cmp_lt_u32_e64 s[2:3], s43, v42
	s_and_saveexec_b64 s[24:25], s[2:3]
	s_cbranch_execz .LBB214_335
; %bb.330:                              ;   in Loop: Header=BB214_232 Depth=1
	v_cmp_ne_u32_sdwa s[2:3], v42, s38 src0_sel:BYTE_3 src1_sel:DWORD
	v_pk_mov_b32 v[50:51], s[10:11], s[10:11] op_sel:[0,1]
	s_and_saveexec_b64 s[26:27], s[2:3]
	s_cbranch_execz .LBB214_334
; %bb.331:                              ;   in Loop: Header=BB214_232 Depth=1
	v_bfe_u32 v43, v42, 24, 7
	s_mov_b32 s18, s10
	v_cmp_ne_u32_e64 s[2:3], s39, v43
	v_pk_mov_b32 v[50:51], s[18:19], s[18:19] op_sel:[0,1]
	s_and_saveexec_b64 s[34:35], s[2:3]
	s_cbranch_execz .LBB214_333
; %bb.332:                              ;   in Loop: Header=BB214_232 Depth=1
	v_and_b32_sdwa v16, v42, v69 dst_sel:DWORD dst_unused:UNUSED_PAD src0_sel:BYTE_3 src1_sel:DWORD
	v_ffbh_u32_e32 v50, v16
	v_min_u32_e32 v53, 32, v50
	v_subrev_u32_e32 v50, 28, v53
	v_lshlrev_b64 v[50:51], v50, v[16:17]
	v_lshrrev_b32_e32 v52, 3, v43
	v_sub_u32_e32 v51, 29, v53
	v_cmp_gt_u32_e64 s[2:3], 8, v43
	v_and_b32_e32 v50, 7, v50
	v_cndmask_b32_e64 v43, v52, v51, s[2:3]
	v_cndmask_b32_e64 v16, v16, v50, s[2:3]
	v_lshlrev_b32_sdwa v42, v70, v42 dst_sel:DWORD dst_unused:UNUSED_PAD src0_sel:DWORD src1_sel:BYTE_3
	v_lshl_add_u32 v43, v43, 23, v68
	v_and_or_b32 v42, v42, s11, v43
	v_lshlrev_b32_e32 v16, 20, v16
	v_or_b32_e32 v51, v42, v16
	v_mov_b32_e32 v50, v17
.LBB214_333:                            ;   in Loop: Header=BB214_232 Depth=1
	s_or_b64 exec, exec, s[34:35]
.LBB214_334:                            ;   in Loop: Header=BB214_232 Depth=1
	s_or_b64 exec, exec, s[26:27]
.LBB214_335:                            ;   in Loop: Header=BB214_232 Depth=1
	s_or_b64 exec, exec, s[24:25]
	v_or_b32_e32 v43, v47, v45
	v_or_b32_e32 v42, v46, v44
	v_or_b32_e32 v45, v51, v49
	v_or_b32_e32 v44, v50, v48
	v_pk_mul_f32 v[42:43], s[22:23], v[42:43]
	v_pk_mul_f32 v[44:45], s[22:23], v[44:45]
	s_and_saveexec_b64 s[24:25], s[0:1]
; %bb.336:                              ;   in Loop: Header=BB214_232 Depth=1
	v_cmp_gt_i32_e64 s[2:3], s33, v71
	v_add_u32_e32 v16, 1, v71
	v_cndmask_b32_e64 v42, 0, v42, s[2:3]
	v_cmp_gt_i32_e64 s[2:3], s33, v16
	v_add_u32_e32 v16, 2, v71
	v_cndmask_b32_e64 v43, 0, v43, s[2:3]
	;; [unrolled: 3-line block ×3, first 2 shown]
	v_cmp_gt_i32_e64 s[2:3], s33, v16
	v_cndmask_b32_e64 v45, 0, v45, s[2:3]
; %bb.337:                              ;   in Loop: Header=BB214_232 Depth=1
	s_or_b64 exec, exec, s[24:25]
	global_load_dword v46, v[36:37], off offset:1024
	v_pk_mov_b32 v[50:51], 0, 0
	v_pk_mov_b32 v[48:49], v[50:51], v[50:51] op_sel:[0,1]
	s_waitcnt vmcnt(0)
	v_cmp_ne_u16_sdwa s[2:3], v46, v17 src0_sel:BYTE_0 src1_sel:DWORD
	s_and_saveexec_b64 s[24:25], s[2:3]
	s_cbranch_execz .LBB214_343
; %bb.338:                              ;   in Loop: Header=BB214_232 Depth=1
	v_bfrev_b32_e32 v48, 1
	v_cmp_ne_u16_sdwa s[2:3], v46, s38 src0_sel:BYTE_0 src1_sel:DWORD
	v_mov_b32_e32 v49, 0
	s_and_saveexec_b64 s[26:27], s[2:3]
	s_cbranch_execz .LBB214_342
; %bb.339:                              ;   in Loop: Header=BB214_232 Depth=1
	v_and_b32_e32 v16, 0x7f, v46
	v_mov_b32_e32 v48, 0x7f800001
	v_cmp_ne_u32_e64 s[2:3], s39, v16
	v_mov_b32_e32 v49, 0
	s_and_saveexec_b64 s[34:35], s[2:3]
	s_cbranch_execz .LBB214_341
; %bb.340:                              ;   in Loop: Header=BB214_232 Depth=1
	v_and_b32_e32 v47, 7, v46
	v_ffbh_u32_e32 v48, v47
	v_min_u32_e32 v53, 32, v48
	v_subrev_u32_e32 v48, 28, v53
	v_lshlrev_b64 v[48:49], v48, v[46:47]
	v_lshrrev_b32_e32 v52, 3, v16
	v_sub_u32_e32 v49, 29, v53
	v_and_b32_e32 v48, 7, v48
	v_cmp_gt_u32_e64 s[2:3], 8, v16
	v_cndmask_b32_e64 v16, v52, v49, s[2:3]
	v_cndmask_b32_e64 v47, v47, v48, s[2:3]
	v_lshlrev_b32_e32 v47, 20, v47
	v_and_b32_sdwa v48, sext(v46), s11 dst_sel:DWORD dst_unused:UNUSED_PAD src0_sel:BYTE_0 src1_sel:DWORD
	v_lshl_add_u32 v16, v16, 23, v68
	v_or3_b32 v16, v48, v16, v47
	v_pk_mov_b32 v[48:49], v[16:17], v[16:17] op_sel:[0,1]
.LBB214_341:                            ;   in Loop: Header=BB214_232 Depth=1
	s_or_b64 exec, exec, s[34:35]
.LBB214_342:                            ;   in Loop: Header=BB214_232 Depth=1
	s_or_b64 exec, exec, s[26:27]
.LBB214_343:                            ;   in Loop: Header=BB214_232 Depth=1
	s_or_b64 exec, exec, s[24:25]
	v_cmp_ne_u16_sdwa s[2:3], v46, v17 src0_sel:BYTE_1 src1_sel:DWORD
	s_and_saveexec_b64 s[24:25], s[2:3]
	s_cbranch_execz .LBB214_349
; %bb.344:                              ;   in Loop: Header=BB214_232 Depth=1
	v_cmp_ne_u16_sdwa s[2:3], v46, s38 src0_sel:BYTE_1 src1_sel:DWORD
	v_pk_mov_b32 v[50:51], s[10:11], s[10:11] op_sel:[0,1]
	s_and_saveexec_b64 s[26:27], s[2:3]
	s_cbranch_execz .LBB214_348
; %bb.345:                              ;   in Loop: Header=BB214_232 Depth=1
	v_and_b32_sdwa v47, v46, s39 dst_sel:DWORD dst_unused:UNUSED_PAD src0_sel:BYTE_1 src1_sel:DWORD
	s_mov_b32 s18, s10
	v_cmp_ne_u32_e64 s[2:3], s39, v47
	v_pk_mov_b32 v[50:51], s[18:19], s[18:19] op_sel:[0,1]
	s_and_saveexec_b64 s[34:35], s[2:3]
	s_cbranch_execz .LBB214_347
; %bb.346:                              ;   in Loop: Header=BB214_232 Depth=1
	v_and_b32_sdwa v16, v46, v69 dst_sel:DWORD dst_unused:UNUSED_PAD src0_sel:BYTE_1 src1_sel:DWORD
	v_ffbh_u32_e32 v50, v16
	v_min_u32_e32 v53, 32, v50
	v_subrev_u32_e32 v50, 28, v53
	v_lshlrev_b64 v[50:51], v50, v[16:17]
	v_lshrrev_b32_e32 v52, 3, v47
	v_sub_u32_e32 v51, 29, v53
	v_cmp_gt_u32_e64 s[2:3], 8, v47
	v_and_b32_e32 v50, 7, v50
	v_cndmask_b32_e64 v47, v52, v51, s[2:3]
	v_cndmask_b32_e64 v16, v16, v50, s[2:3]
	v_lshlrev_b32_e32 v50, 16, v46
	v_lshl_add_u32 v47, v47, 23, v68
	v_and_or_b32 v47, v50, s11, v47
	v_lshlrev_b32_e32 v16, 20, v16
	v_or_b32_e32 v51, v47, v16
	v_mov_b32_e32 v50, v17
.LBB214_347:                            ;   in Loop: Header=BB214_232 Depth=1
	s_or_b64 exec, exec, s[34:35]
.LBB214_348:                            ;   in Loop: Header=BB214_232 Depth=1
	s_or_b64 exec, exec, s[26:27]
.LBB214_349:                            ;   in Loop: Header=BB214_232 Depth=1
	s_or_b64 exec, exec, s[24:25]
	v_lshrrev_b32_e32 v16, 16, v46
	v_pk_mov_b32 v[54:55], 0, 0
	v_cmp_ne_u16_sdwa s[2:3], v16, v17 src0_sel:BYTE_0 src1_sel:DWORD
	v_pk_mov_b32 v[52:53], v[54:55], v[54:55] op_sel:[0,1]
	s_and_saveexec_b64 s[24:25], s[2:3]
	s_cbranch_execz .LBB214_355
; %bb.350:                              ;   in Loop: Header=BB214_232 Depth=1
	v_bfrev_b32_e32 v52, 1
	v_cmp_ne_u16_sdwa s[2:3], v16, s38 src0_sel:BYTE_0 src1_sel:DWORD
	v_mov_b32_e32 v53, 0
	s_and_saveexec_b64 s[26:27], s[2:3]
	s_cbranch_execz .LBB214_354
; %bb.351:                              ;   in Loop: Header=BB214_232 Depth=1
	v_bfe_u32 v47, v46, 16, 7
	v_mov_b32_e32 v52, 0x7f800001
	v_cmp_ne_u32_e64 s[2:3], s39, v47
	v_mov_b32_e32 v53, 0
	s_and_saveexec_b64 s[34:35], s[2:3]
	s_cbranch_execz .LBB214_353
; %bb.352:                              ;   in Loop: Header=BB214_232 Depth=1
	v_and_b32_e32 v56, 7, v16
	v_ffbh_u32_e32 v52, v56
	v_min_u32_e32 v58, 32, v52
	v_subrev_u32_e32 v52, 28, v58
	v_lshlrev_b64 v[52:53], v52, v[16:17]
	v_lshrrev_b32_e32 v57, 3, v47
	v_sub_u32_e32 v53, 29, v58
	v_and_b32_e32 v52, 7, v52
	v_cmp_gt_u32_e64 s[2:3], 8, v47
	v_cndmask_b32_e64 v47, v57, v53, s[2:3]
	v_cndmask_b32_e64 v52, v56, v52, s[2:3]
	v_lshlrev_b32_e32 v52, 20, v52
	v_and_b32_sdwa v16, sext(v16), s11 dst_sel:DWORD dst_unused:UNUSED_PAD src0_sel:BYTE_0 src1_sel:DWORD
	v_lshl_add_u32 v47, v47, 23, v68
	v_or3_b32 v16, v16, v47, v52
	v_pk_mov_b32 v[52:53], v[16:17], v[16:17] op_sel:[0,1]
.LBB214_353:                            ;   in Loop: Header=BB214_232 Depth=1
	s_or_b64 exec, exec, s[34:35]
.LBB214_354:                            ;   in Loop: Header=BB214_232 Depth=1
	s_or_b64 exec, exec, s[26:27]
.LBB214_355:                            ;   in Loop: Header=BB214_232 Depth=1
	s_or_b64 exec, exec, s[24:25]
	v_cmp_lt_u32_e64 s[2:3], s43, v46
	s_and_saveexec_b64 s[24:25], s[2:3]
	s_cbranch_execz .LBB214_361
; %bb.356:                              ;   in Loop: Header=BB214_232 Depth=1
	v_cmp_ne_u32_sdwa s[2:3], v46, s38 src0_sel:BYTE_3 src1_sel:DWORD
	v_pk_mov_b32 v[54:55], s[10:11], s[10:11] op_sel:[0,1]
	s_and_saveexec_b64 s[26:27], s[2:3]
	s_cbranch_execz .LBB214_360
; %bb.357:                              ;   in Loop: Header=BB214_232 Depth=1
	v_bfe_u32 v47, v46, 24, 7
	s_mov_b32 s18, s10
	v_cmp_ne_u32_e64 s[2:3], s39, v47
	v_pk_mov_b32 v[54:55], s[18:19], s[18:19] op_sel:[0,1]
	s_and_saveexec_b64 s[34:35], s[2:3]
	s_cbranch_execz .LBB214_359
; %bb.358:                              ;   in Loop: Header=BB214_232 Depth=1
	v_and_b32_sdwa v16, v46, v69 dst_sel:DWORD dst_unused:UNUSED_PAD src0_sel:BYTE_3 src1_sel:DWORD
	v_ffbh_u32_e32 v54, v16
	v_min_u32_e32 v57, 32, v54
	v_subrev_u32_e32 v54, 28, v57
	v_lshlrev_b64 v[54:55], v54, v[16:17]
	v_lshrrev_b32_e32 v56, 3, v47
	v_sub_u32_e32 v55, 29, v57
	v_cmp_gt_u32_e64 s[2:3], 8, v47
	v_and_b32_e32 v54, 7, v54
	v_cndmask_b32_e64 v47, v56, v55, s[2:3]
	v_cndmask_b32_e64 v16, v16, v54, s[2:3]
	v_lshlrev_b32_sdwa v46, v70, v46 dst_sel:DWORD dst_unused:UNUSED_PAD src0_sel:DWORD src1_sel:BYTE_3
	v_lshl_add_u32 v47, v47, 23, v68
	v_and_or_b32 v46, v46, s11, v47
	v_lshlrev_b32_e32 v16, 20, v16
	v_or_b32_e32 v55, v46, v16
	v_mov_b32_e32 v54, v17
.LBB214_359:                            ;   in Loop: Header=BB214_232 Depth=1
	s_or_b64 exec, exec, s[34:35]
.LBB214_360:                            ;   in Loop: Header=BB214_232 Depth=1
	s_or_b64 exec, exec, s[26:27]
.LBB214_361:                            ;   in Loop: Header=BB214_232 Depth=1
	s_or_b64 exec, exec, s[24:25]
	v_or_b32_e32 v47, v51, v49
	v_or_b32_e32 v46, v50, v48
	;; [unrolled: 1-line block ×4, first 2 shown]
	v_pk_mul_f32 v[46:47], s[22:23], v[46:47]
	v_pk_mul_f32 v[48:49], s[22:23], v[48:49]
	s_and_saveexec_b64 s[24:25], s[0:1]
; %bb.362:                              ;   in Loop: Header=BB214_232 Depth=1
	v_cmp_gt_i32_e64 s[2:3], s33, v71
	v_add_u32_e32 v16, 1, v71
	v_cndmask_b32_e64 v46, 0, v46, s[2:3]
	v_cmp_gt_i32_e64 s[2:3], s33, v16
	v_add_u32_e32 v16, 2, v71
	v_cndmask_b32_e64 v47, 0, v47, s[2:3]
	;; [unrolled: 3-line block ×3, first 2 shown]
	v_cmp_gt_i32_e64 s[2:3], s33, v16
	v_cndmask_b32_e64 v49, 0, v49, s[2:3]
; %bb.363:                              ;   in Loop: Header=BB214_232 Depth=1
	s_or_b64 exec, exec, s[24:25]
	global_load_dword v50, v[36:37], off offset:1280
	v_pk_mov_b32 v[54:55], 0, 0
	v_pk_mov_b32 v[52:53], v[54:55], v[54:55] op_sel:[0,1]
	s_waitcnt vmcnt(0)
	v_cmp_ne_u16_sdwa s[2:3], v50, v17 src0_sel:BYTE_0 src1_sel:DWORD
	s_and_saveexec_b64 s[24:25], s[2:3]
	s_cbranch_execz .LBB214_369
; %bb.364:                              ;   in Loop: Header=BB214_232 Depth=1
	v_bfrev_b32_e32 v52, 1
	v_cmp_ne_u16_sdwa s[2:3], v50, s38 src0_sel:BYTE_0 src1_sel:DWORD
	v_mov_b32_e32 v53, 0
	s_and_saveexec_b64 s[26:27], s[2:3]
	s_cbranch_execz .LBB214_368
; %bb.365:                              ;   in Loop: Header=BB214_232 Depth=1
	v_and_b32_e32 v16, 0x7f, v50
	v_mov_b32_e32 v52, 0x7f800001
	v_cmp_ne_u32_e64 s[2:3], s39, v16
	v_mov_b32_e32 v53, 0
	s_and_saveexec_b64 s[34:35], s[2:3]
	s_cbranch_execz .LBB214_367
; %bb.366:                              ;   in Loop: Header=BB214_232 Depth=1
	v_and_b32_e32 v51, 7, v50
	v_ffbh_u32_e32 v52, v51
	v_min_u32_e32 v57, 32, v52
	v_subrev_u32_e32 v52, 28, v57
	v_lshlrev_b64 v[52:53], v52, v[50:51]
	v_lshrrev_b32_e32 v56, 3, v16
	v_sub_u32_e32 v53, 29, v57
	v_and_b32_e32 v52, 7, v52
	v_cmp_gt_u32_e64 s[2:3], 8, v16
	v_cndmask_b32_e64 v16, v56, v53, s[2:3]
	v_cndmask_b32_e64 v51, v51, v52, s[2:3]
	v_lshlrev_b32_e32 v51, 20, v51
	v_and_b32_sdwa v52, sext(v50), s11 dst_sel:DWORD dst_unused:UNUSED_PAD src0_sel:BYTE_0 src1_sel:DWORD
	v_lshl_add_u32 v16, v16, 23, v68
	v_or3_b32 v16, v52, v16, v51
	v_pk_mov_b32 v[52:53], v[16:17], v[16:17] op_sel:[0,1]
.LBB214_367:                            ;   in Loop: Header=BB214_232 Depth=1
	s_or_b64 exec, exec, s[34:35]
.LBB214_368:                            ;   in Loop: Header=BB214_232 Depth=1
	s_or_b64 exec, exec, s[26:27]
.LBB214_369:                            ;   in Loop: Header=BB214_232 Depth=1
	s_or_b64 exec, exec, s[24:25]
	v_cmp_ne_u16_sdwa s[2:3], v50, v17 src0_sel:BYTE_1 src1_sel:DWORD
	s_and_saveexec_b64 s[24:25], s[2:3]
	s_cbranch_execz .LBB214_375
; %bb.370:                              ;   in Loop: Header=BB214_232 Depth=1
	v_cmp_ne_u16_sdwa s[2:3], v50, s38 src0_sel:BYTE_1 src1_sel:DWORD
	v_pk_mov_b32 v[54:55], s[10:11], s[10:11] op_sel:[0,1]
	s_and_saveexec_b64 s[26:27], s[2:3]
	s_cbranch_execz .LBB214_374
; %bb.371:                              ;   in Loop: Header=BB214_232 Depth=1
	v_and_b32_sdwa v51, v50, s39 dst_sel:DWORD dst_unused:UNUSED_PAD src0_sel:BYTE_1 src1_sel:DWORD
	s_mov_b32 s18, s10
	v_cmp_ne_u32_e64 s[2:3], s39, v51
	v_pk_mov_b32 v[54:55], s[18:19], s[18:19] op_sel:[0,1]
	s_and_saveexec_b64 s[34:35], s[2:3]
	s_cbranch_execz .LBB214_373
; %bb.372:                              ;   in Loop: Header=BB214_232 Depth=1
	v_and_b32_sdwa v16, v50, v69 dst_sel:DWORD dst_unused:UNUSED_PAD src0_sel:BYTE_1 src1_sel:DWORD
	v_ffbh_u32_e32 v54, v16
	v_min_u32_e32 v57, 32, v54
	v_subrev_u32_e32 v54, 28, v57
	v_lshlrev_b64 v[54:55], v54, v[16:17]
	v_lshrrev_b32_e32 v56, 3, v51
	v_sub_u32_e32 v55, 29, v57
	v_cmp_gt_u32_e64 s[2:3], 8, v51
	v_and_b32_e32 v54, 7, v54
	v_cndmask_b32_e64 v51, v56, v55, s[2:3]
	v_cndmask_b32_e64 v16, v16, v54, s[2:3]
	v_lshlrev_b32_e32 v54, 16, v50
	v_lshl_add_u32 v51, v51, 23, v68
	v_and_or_b32 v51, v54, s11, v51
	v_lshlrev_b32_e32 v16, 20, v16
	v_or_b32_e32 v55, v51, v16
	v_mov_b32_e32 v54, v17
.LBB214_373:                            ;   in Loop: Header=BB214_232 Depth=1
	s_or_b64 exec, exec, s[34:35]
.LBB214_374:                            ;   in Loop: Header=BB214_232 Depth=1
	s_or_b64 exec, exec, s[26:27]
.LBB214_375:                            ;   in Loop: Header=BB214_232 Depth=1
	s_or_b64 exec, exec, s[24:25]
	v_lshrrev_b32_e32 v16, 16, v50
	v_pk_mov_b32 v[58:59], 0, 0
	v_cmp_ne_u16_sdwa s[2:3], v16, v17 src0_sel:BYTE_0 src1_sel:DWORD
	v_pk_mov_b32 v[56:57], v[58:59], v[58:59] op_sel:[0,1]
	s_and_saveexec_b64 s[24:25], s[2:3]
	s_cbranch_execz .LBB214_381
; %bb.376:                              ;   in Loop: Header=BB214_232 Depth=1
	v_bfrev_b32_e32 v56, 1
	v_cmp_ne_u16_sdwa s[2:3], v16, s38 src0_sel:BYTE_0 src1_sel:DWORD
	v_mov_b32_e32 v57, 0
	s_and_saveexec_b64 s[26:27], s[2:3]
	s_cbranch_execz .LBB214_380
; %bb.377:                              ;   in Loop: Header=BB214_232 Depth=1
	v_bfe_u32 v51, v50, 16, 7
	v_mov_b32_e32 v56, 0x7f800001
	v_cmp_ne_u32_e64 s[2:3], s39, v51
	v_mov_b32_e32 v57, 0
	s_and_saveexec_b64 s[34:35], s[2:3]
	s_cbranch_execz .LBB214_379
; %bb.378:                              ;   in Loop: Header=BB214_232 Depth=1
	v_and_b32_e32 v60, 7, v16
	v_ffbh_u32_e32 v56, v60
	v_min_u32_e32 v62, 32, v56
	v_subrev_u32_e32 v56, 28, v62
	v_lshlrev_b64 v[56:57], v56, v[16:17]
	v_lshrrev_b32_e32 v61, 3, v51
	v_sub_u32_e32 v57, 29, v62
	v_and_b32_e32 v56, 7, v56
	v_cmp_gt_u32_e64 s[2:3], 8, v51
	v_cndmask_b32_e64 v51, v61, v57, s[2:3]
	v_cndmask_b32_e64 v56, v60, v56, s[2:3]
	v_lshlrev_b32_e32 v56, 20, v56
	v_and_b32_sdwa v16, sext(v16), s11 dst_sel:DWORD dst_unused:UNUSED_PAD src0_sel:BYTE_0 src1_sel:DWORD
	v_lshl_add_u32 v51, v51, 23, v68
	v_or3_b32 v16, v16, v51, v56
	v_pk_mov_b32 v[56:57], v[16:17], v[16:17] op_sel:[0,1]
.LBB214_379:                            ;   in Loop: Header=BB214_232 Depth=1
	s_or_b64 exec, exec, s[34:35]
.LBB214_380:                            ;   in Loop: Header=BB214_232 Depth=1
	s_or_b64 exec, exec, s[26:27]
.LBB214_381:                            ;   in Loop: Header=BB214_232 Depth=1
	s_or_b64 exec, exec, s[24:25]
	v_cmp_lt_u32_e64 s[2:3], s43, v50
	s_and_saveexec_b64 s[24:25], s[2:3]
	s_cbranch_execz .LBB214_387
; %bb.382:                              ;   in Loop: Header=BB214_232 Depth=1
	v_cmp_ne_u32_sdwa s[2:3], v50, s38 src0_sel:BYTE_3 src1_sel:DWORD
	v_pk_mov_b32 v[58:59], s[10:11], s[10:11] op_sel:[0,1]
	s_and_saveexec_b64 s[26:27], s[2:3]
	s_cbranch_execz .LBB214_386
; %bb.383:                              ;   in Loop: Header=BB214_232 Depth=1
	v_bfe_u32 v51, v50, 24, 7
	s_mov_b32 s18, s10
	v_cmp_ne_u32_e64 s[2:3], s39, v51
	v_pk_mov_b32 v[58:59], s[18:19], s[18:19] op_sel:[0,1]
	s_and_saveexec_b64 s[34:35], s[2:3]
	s_cbranch_execz .LBB214_385
; %bb.384:                              ;   in Loop: Header=BB214_232 Depth=1
	v_and_b32_sdwa v16, v50, v69 dst_sel:DWORD dst_unused:UNUSED_PAD src0_sel:BYTE_3 src1_sel:DWORD
	v_ffbh_u32_e32 v58, v16
	v_min_u32_e32 v61, 32, v58
	v_subrev_u32_e32 v58, 28, v61
	v_lshlrev_b64 v[58:59], v58, v[16:17]
	v_lshrrev_b32_e32 v60, 3, v51
	v_sub_u32_e32 v59, 29, v61
	v_cmp_gt_u32_e64 s[2:3], 8, v51
	v_and_b32_e32 v58, 7, v58
	v_cndmask_b32_e64 v51, v60, v59, s[2:3]
	v_cndmask_b32_e64 v16, v16, v58, s[2:3]
	v_lshlrev_b32_sdwa v50, v70, v50 dst_sel:DWORD dst_unused:UNUSED_PAD src0_sel:DWORD src1_sel:BYTE_3
	v_lshl_add_u32 v51, v51, 23, v68
	v_and_or_b32 v50, v50, s11, v51
	v_lshlrev_b32_e32 v16, 20, v16
	v_or_b32_e32 v59, v50, v16
	v_mov_b32_e32 v58, v17
.LBB214_385:                            ;   in Loop: Header=BB214_232 Depth=1
	s_or_b64 exec, exec, s[34:35]
.LBB214_386:                            ;   in Loop: Header=BB214_232 Depth=1
	s_or_b64 exec, exec, s[26:27]
.LBB214_387:                            ;   in Loop: Header=BB214_232 Depth=1
	s_or_b64 exec, exec, s[24:25]
	v_or_b32_e32 v51, v55, v53
	v_or_b32_e32 v50, v54, v52
	;; [unrolled: 1-line block ×4, first 2 shown]
	v_pk_mul_f32 v[50:51], s[22:23], v[50:51]
	v_pk_mul_f32 v[52:53], s[22:23], v[52:53]
	s_and_saveexec_b64 s[24:25], s[0:1]
; %bb.388:                              ;   in Loop: Header=BB214_232 Depth=1
	v_cmp_gt_i32_e64 s[2:3], s33, v71
	v_add_u32_e32 v16, 1, v71
	v_cndmask_b32_e64 v50, 0, v50, s[2:3]
	v_cmp_gt_i32_e64 s[2:3], s33, v16
	v_add_u32_e32 v16, 2, v71
	v_cndmask_b32_e64 v51, 0, v51, s[2:3]
	;; [unrolled: 3-line block ×3, first 2 shown]
	v_cmp_gt_i32_e64 s[2:3], s33, v16
	v_cndmask_b32_e64 v53, 0, v53, s[2:3]
; %bb.389:                              ;   in Loop: Header=BB214_232 Depth=1
	s_or_b64 exec, exec, s[24:25]
	global_load_dword v36, v[36:37], off offset:1536
	v_pk_mov_b32 v[56:57], 0, 0
	v_pk_mov_b32 v[54:55], v[56:57], v[56:57] op_sel:[0,1]
	s_waitcnt vmcnt(0)
	v_cmp_ne_u16_sdwa s[2:3], v36, v17 src0_sel:BYTE_0 src1_sel:DWORD
	s_and_saveexec_b64 s[24:25], s[2:3]
	s_cbranch_execz .LBB214_395
; %bb.390:                              ;   in Loop: Header=BB214_232 Depth=1
	v_bfrev_b32_e32 v54, 1
	v_cmp_ne_u16_sdwa s[2:3], v36, s38 src0_sel:BYTE_0 src1_sel:DWORD
	v_mov_b32_e32 v55, 0
	s_and_saveexec_b64 s[26:27], s[2:3]
	s_cbranch_execz .LBB214_394
; %bb.391:                              ;   in Loop: Header=BB214_232 Depth=1
	v_and_b32_e32 v16, 0x7f, v36
	v_mov_b32_e32 v54, 0x7f800001
	v_cmp_ne_u32_e64 s[2:3], s39, v16
	v_mov_b32_e32 v55, 0
	s_and_saveexec_b64 s[34:35], s[2:3]
	s_cbranch_execz .LBB214_393
; %bb.392:                              ;   in Loop: Header=BB214_232 Depth=1
	v_and_b32_e32 v37, 7, v36
	v_ffbh_u32_e32 v54, v37
	v_min_u32_e32 v59, 32, v54
	v_subrev_u32_e32 v54, 28, v59
	v_lshlrev_b64 v[54:55], v54, v[36:37]
	v_lshrrev_b32_e32 v58, 3, v16
	v_sub_u32_e32 v55, 29, v59
	v_and_b32_e32 v54, 7, v54
	v_cmp_gt_u32_e64 s[2:3], 8, v16
	v_cndmask_b32_e64 v16, v58, v55, s[2:3]
	v_cndmask_b32_e64 v37, v37, v54, s[2:3]
	v_lshlrev_b32_e32 v37, 20, v37
	v_and_b32_sdwa v54, sext(v36), s11 dst_sel:DWORD dst_unused:UNUSED_PAD src0_sel:BYTE_0 src1_sel:DWORD
	v_lshl_add_u32 v16, v16, 23, v68
	v_or3_b32 v16, v54, v16, v37
	v_pk_mov_b32 v[54:55], v[16:17], v[16:17] op_sel:[0,1]
.LBB214_393:                            ;   in Loop: Header=BB214_232 Depth=1
	s_or_b64 exec, exec, s[34:35]
.LBB214_394:                            ;   in Loop: Header=BB214_232 Depth=1
	s_or_b64 exec, exec, s[26:27]
.LBB214_395:                            ;   in Loop: Header=BB214_232 Depth=1
	s_or_b64 exec, exec, s[24:25]
	v_cmp_ne_u16_sdwa s[2:3], v36, v17 src0_sel:BYTE_1 src1_sel:DWORD
	s_and_saveexec_b64 s[24:25], s[2:3]
	s_cbranch_execz .LBB214_401
; %bb.396:                              ;   in Loop: Header=BB214_232 Depth=1
	v_cmp_ne_u16_sdwa s[2:3], v36, s38 src0_sel:BYTE_1 src1_sel:DWORD
	v_pk_mov_b32 v[56:57], s[10:11], s[10:11] op_sel:[0,1]
	s_and_saveexec_b64 s[26:27], s[2:3]
	s_cbranch_execz .LBB214_400
; %bb.397:                              ;   in Loop: Header=BB214_232 Depth=1
	v_and_b32_sdwa v37, v36, s39 dst_sel:DWORD dst_unused:UNUSED_PAD src0_sel:BYTE_1 src1_sel:DWORD
	s_mov_b32 s18, s10
	v_cmp_ne_u32_e64 s[2:3], s39, v37
	v_pk_mov_b32 v[56:57], s[18:19], s[18:19] op_sel:[0,1]
	s_and_saveexec_b64 s[34:35], s[2:3]
	s_cbranch_execz .LBB214_399
; %bb.398:                              ;   in Loop: Header=BB214_232 Depth=1
	v_and_b32_sdwa v16, v36, v69 dst_sel:DWORD dst_unused:UNUSED_PAD src0_sel:BYTE_1 src1_sel:DWORD
	v_ffbh_u32_e32 v56, v16
	v_min_u32_e32 v59, 32, v56
	v_subrev_u32_e32 v56, 28, v59
	v_lshlrev_b64 v[56:57], v56, v[16:17]
	v_lshrrev_b32_e32 v58, 3, v37
	v_sub_u32_e32 v57, 29, v59
	v_cmp_gt_u32_e64 s[2:3], 8, v37
	v_and_b32_e32 v56, 7, v56
	v_cndmask_b32_e64 v37, v58, v57, s[2:3]
	v_cndmask_b32_e64 v16, v16, v56, s[2:3]
	v_lshlrev_b32_e32 v56, 16, v36
	v_lshl_add_u32 v37, v37, 23, v68
	v_and_or_b32 v37, v56, s11, v37
	v_lshlrev_b32_e32 v16, 20, v16
	v_or_b32_e32 v57, v37, v16
	v_mov_b32_e32 v56, v17
.LBB214_399:                            ;   in Loop: Header=BB214_232 Depth=1
	s_or_b64 exec, exec, s[34:35]
.LBB214_400:                            ;   in Loop: Header=BB214_232 Depth=1
	s_or_b64 exec, exec, s[26:27]
.LBB214_401:                            ;   in Loop: Header=BB214_232 Depth=1
	s_or_b64 exec, exec, s[24:25]
	v_lshrrev_b32_e32 v16, 16, v36
	v_pk_mov_b32 v[60:61], 0, 0
	v_cmp_ne_u16_sdwa s[2:3], v16, v17 src0_sel:BYTE_0 src1_sel:DWORD
	v_pk_mov_b32 v[58:59], v[60:61], v[60:61] op_sel:[0,1]
	s_and_saveexec_b64 s[24:25], s[2:3]
	s_cbranch_execz .LBB214_407
; %bb.402:                              ;   in Loop: Header=BB214_232 Depth=1
	v_bfrev_b32_e32 v58, 1
	v_cmp_ne_u16_sdwa s[2:3], v16, s38 src0_sel:BYTE_0 src1_sel:DWORD
	v_mov_b32_e32 v59, 0
	s_and_saveexec_b64 s[26:27], s[2:3]
	s_cbranch_execz .LBB214_406
; %bb.403:                              ;   in Loop: Header=BB214_232 Depth=1
	v_bfe_u32 v37, v36, 16, 7
	v_mov_b32_e32 v58, 0x7f800001
	v_cmp_ne_u32_e64 s[2:3], s39, v37
	v_mov_b32_e32 v59, 0
	s_and_saveexec_b64 s[34:35], s[2:3]
	s_cbranch_execz .LBB214_405
; %bb.404:                              ;   in Loop: Header=BB214_232 Depth=1
	v_and_b32_e32 v62, 7, v16
	v_ffbh_u32_e32 v58, v62
	v_min_u32_e32 v72, 32, v58
	v_subrev_u32_e32 v58, 28, v72
	v_lshlrev_b64 v[58:59], v58, v[16:17]
	v_lshrrev_b32_e32 v63, 3, v37
	v_sub_u32_e32 v59, 29, v72
	v_and_b32_e32 v58, 7, v58
	v_cmp_gt_u32_e64 s[2:3], 8, v37
	v_cndmask_b32_e64 v37, v63, v59, s[2:3]
	v_cndmask_b32_e64 v58, v62, v58, s[2:3]
	v_lshlrev_b32_e32 v58, 20, v58
	v_and_b32_sdwa v16, sext(v16), s11 dst_sel:DWORD dst_unused:UNUSED_PAD src0_sel:BYTE_0 src1_sel:DWORD
	v_lshl_add_u32 v37, v37, 23, v68
	v_or3_b32 v16, v16, v37, v58
	v_pk_mov_b32 v[58:59], v[16:17], v[16:17] op_sel:[0,1]
.LBB214_405:                            ;   in Loop: Header=BB214_232 Depth=1
	s_or_b64 exec, exec, s[34:35]
.LBB214_406:                            ;   in Loop: Header=BB214_232 Depth=1
	s_or_b64 exec, exec, s[26:27]
.LBB214_407:                            ;   in Loop: Header=BB214_232 Depth=1
	s_or_b64 exec, exec, s[24:25]
	v_cmp_lt_u32_e64 s[2:3], s43, v36
	s_and_saveexec_b64 s[24:25], s[2:3]
	s_cbranch_execz .LBB214_413
; %bb.408:                              ;   in Loop: Header=BB214_232 Depth=1
	v_cmp_ne_u32_sdwa s[2:3], v36, s38 src0_sel:BYTE_3 src1_sel:DWORD
	v_pk_mov_b32 v[60:61], s[10:11], s[10:11] op_sel:[0,1]
	s_and_saveexec_b64 s[26:27], s[2:3]
	s_cbranch_execz .LBB214_412
; %bb.409:                              ;   in Loop: Header=BB214_232 Depth=1
	v_bfe_u32 v37, v36, 24, 7
	s_mov_b32 s18, s10
	v_cmp_ne_u32_e64 s[2:3], s39, v37
	v_pk_mov_b32 v[60:61], s[18:19], s[18:19] op_sel:[0,1]
	s_and_saveexec_b64 s[34:35], s[2:3]
	s_cbranch_execz .LBB214_411
; %bb.410:                              ;   in Loop: Header=BB214_232 Depth=1
	v_and_b32_sdwa v16, v36, v69 dst_sel:DWORD dst_unused:UNUSED_PAD src0_sel:BYTE_3 src1_sel:DWORD
	v_ffbh_u32_e32 v60, v16
	v_min_u32_e32 v63, 32, v60
	v_subrev_u32_e32 v60, 28, v63
	v_lshlrev_b64 v[60:61], v60, v[16:17]
	v_lshrrev_b32_e32 v62, 3, v37
	v_sub_u32_e32 v61, 29, v63
	v_cmp_gt_u32_e64 s[2:3], 8, v37
	v_and_b32_e32 v60, 7, v60
	v_cndmask_b32_e64 v37, v62, v61, s[2:3]
	v_cndmask_b32_e64 v16, v16, v60, s[2:3]
	v_lshlrev_b32_sdwa v36, v70, v36 dst_sel:DWORD dst_unused:UNUSED_PAD src0_sel:DWORD src1_sel:BYTE_3
	v_lshl_add_u32 v37, v37, 23, v68
	v_and_or_b32 v36, v36, s11, v37
	v_lshlrev_b32_e32 v16, 20, v16
	v_or_b32_e32 v61, v36, v16
	v_mov_b32_e32 v60, v17
.LBB214_411:                            ;   in Loop: Header=BB214_232 Depth=1
	s_or_b64 exec, exec, s[34:35]
.LBB214_412:                            ;   in Loop: Header=BB214_232 Depth=1
	s_or_b64 exec, exec, s[26:27]
.LBB214_413:                            ;   in Loop: Header=BB214_232 Depth=1
	s_or_b64 exec, exec, s[24:25]
	v_or_b32_e32 v37, v57, v55
	v_or_b32_e32 v36, v56, v54
	;; [unrolled: 1-line block ×4, first 2 shown]
	v_pk_mul_f32 v[36:37], s[22:23], v[36:37]
	v_pk_mul_f32 v[54:55], s[22:23], v[54:55]
	s_and_saveexec_b64 s[24:25], s[0:1]
; %bb.414:                              ;   in Loop: Header=BB214_232 Depth=1
	v_cmp_gt_i32_e64 s[2:3], s33, v71
	v_add_u32_e32 v16, 1, v71
	v_cndmask_b32_e64 v36, 0, v36, s[2:3]
	v_cmp_gt_i32_e64 s[2:3], s33, v16
	v_add_u32_e32 v16, 2, v71
	v_cndmask_b32_e64 v37, 0, v37, s[2:3]
	;; [unrolled: 3-line block ×3, first 2 shown]
	v_cmp_gt_i32_e64 s[2:3], s33, v16
	v_cndmask_b32_e64 v55, 0, v55, s[2:3]
; %bb.415:                              ;   in Loop: Header=BB214_232 Depth=1
	s_or_b64 exec, exec, s[24:25]
	s_and_saveexec_b64 s[24:25], vcc
	s_cbranch_execz .LBB214_230
; %bb.416:                              ;   in Loop: Header=BB214_232 Depth=1
	v_add_co_u32_e64 v26, s[2:3], v26, v18
	v_addc_co_u32_e64 v27, s[2:3], 0, v27, s[2:3]
	global_load_dword v26, v[26:27], off
	v_pk_mov_b32 v[58:59], 0, 0
	v_pk_mov_b32 v[56:57], v[58:59], v[58:59] op_sel:[0,1]
	s_waitcnt vmcnt(0)
	v_cmp_ne_u16_sdwa s[2:3], v26, v17 src0_sel:BYTE_0 src1_sel:DWORD
	s_and_saveexec_b64 s[26:27], s[2:3]
	s_cbranch_execz .LBB214_422
; %bb.417:                              ;   in Loop: Header=BB214_232 Depth=1
	v_bfrev_b32_e32 v56, 1
	v_cmp_ne_u16_sdwa s[2:3], v26, s38 src0_sel:BYTE_0 src1_sel:DWORD
	v_mov_b32_e32 v57, 0
	s_and_saveexec_b64 s[34:35], s[2:3]
	s_cbranch_execz .LBB214_421
; %bb.418:                              ;   in Loop: Header=BB214_232 Depth=1
	v_and_b32_e32 v16, 0x7f, v26
	v_mov_b32_e32 v56, 0x7f800001
	v_cmp_ne_u32_e64 s[2:3], s39, v16
	v_mov_b32_e32 v57, 0
	s_and_saveexec_b64 s[36:37], s[2:3]
	s_cbranch_execz .LBB214_420
; %bb.419:                              ;   in Loop: Header=BB214_232 Depth=1
	v_and_b32_e32 v27, 7, v26
	v_ffbh_u32_e32 v56, v27
	v_min_u32_e32 v61, 32, v56
	v_subrev_u32_e32 v56, 28, v61
	v_lshlrev_b64 v[56:57], v56, v[26:27]
	v_lshrrev_b32_e32 v60, 3, v16
	v_sub_u32_e32 v57, 29, v61
	v_and_b32_e32 v56, 7, v56
	v_cmp_gt_u32_e64 s[2:3], 8, v16
	v_cndmask_b32_e64 v16, v60, v57, s[2:3]
	v_cndmask_b32_e64 v27, v27, v56, s[2:3]
	v_lshlrev_b32_e32 v27, 20, v27
	v_and_b32_sdwa v56, sext(v26), s11 dst_sel:DWORD dst_unused:UNUSED_PAD src0_sel:BYTE_0 src1_sel:DWORD
	v_lshl_add_u32 v16, v16, 23, v68
	v_or3_b32 v16, v56, v16, v27
	v_pk_mov_b32 v[56:57], v[16:17], v[16:17] op_sel:[0,1]
.LBB214_420:                            ;   in Loop: Header=BB214_232 Depth=1
	s_or_b64 exec, exec, s[36:37]
.LBB214_421:                            ;   in Loop: Header=BB214_232 Depth=1
	s_or_b64 exec, exec, s[34:35]
.LBB214_422:                            ;   in Loop: Header=BB214_232 Depth=1
	s_or_b64 exec, exec, s[26:27]
	v_cmp_ne_u16_sdwa s[2:3], v26, v17 src0_sel:BYTE_1 src1_sel:DWORD
	s_and_saveexec_b64 s[26:27], s[2:3]
	s_cbranch_execz .LBB214_428
; %bb.423:                              ;   in Loop: Header=BB214_232 Depth=1
	v_cmp_ne_u16_sdwa s[2:3], v26, s38 src0_sel:BYTE_1 src1_sel:DWORD
	v_pk_mov_b32 v[58:59], s[10:11], s[10:11] op_sel:[0,1]
	s_and_saveexec_b64 s[34:35], s[2:3]
	s_cbranch_execz .LBB214_427
; %bb.424:                              ;   in Loop: Header=BB214_232 Depth=1
	v_and_b32_sdwa v27, v26, s39 dst_sel:DWORD dst_unused:UNUSED_PAD src0_sel:BYTE_1 src1_sel:DWORD
	s_mov_b32 s18, s10
	v_cmp_ne_u32_e64 s[2:3], s39, v27
	v_pk_mov_b32 v[58:59], s[18:19], s[18:19] op_sel:[0,1]
	s_and_saveexec_b64 s[36:37], s[2:3]
	s_cbranch_execz .LBB214_426
; %bb.425:                              ;   in Loop: Header=BB214_232 Depth=1
	v_and_b32_sdwa v16, v26, v69 dst_sel:DWORD dst_unused:UNUSED_PAD src0_sel:BYTE_1 src1_sel:DWORD
	v_ffbh_u32_e32 v58, v16
	v_min_u32_e32 v61, 32, v58
	v_subrev_u32_e32 v58, 28, v61
	v_lshlrev_b64 v[58:59], v58, v[16:17]
	v_lshrrev_b32_e32 v60, 3, v27
	v_sub_u32_e32 v59, 29, v61
	v_cmp_gt_u32_e64 s[2:3], 8, v27
	v_and_b32_e32 v58, 7, v58
	v_cndmask_b32_e64 v27, v60, v59, s[2:3]
	v_cndmask_b32_e64 v16, v16, v58, s[2:3]
	v_lshlrev_b32_e32 v58, 16, v26
	v_lshl_add_u32 v27, v27, 23, v68
	v_and_or_b32 v27, v58, s11, v27
	v_lshlrev_b32_e32 v16, 20, v16
	v_or_b32_e32 v59, v27, v16
	v_mov_b32_e32 v58, v17
.LBB214_426:                            ;   in Loop: Header=BB214_232 Depth=1
	s_or_b64 exec, exec, s[36:37]
.LBB214_427:                            ;   in Loop: Header=BB214_232 Depth=1
	s_or_b64 exec, exec, s[34:35]
.LBB214_428:                            ;   in Loop: Header=BB214_232 Depth=1
	s_or_b64 exec, exec, s[26:27]
	v_lshrrev_b32_e32 v16, 16, v26
	v_pk_mov_b32 v[62:63], 0, 0
	v_cmp_ne_u16_sdwa s[2:3], v16, v17 src0_sel:BYTE_0 src1_sel:DWORD
	v_pk_mov_b32 v[60:61], v[62:63], v[62:63] op_sel:[0,1]
	s_and_saveexec_b64 s[26:27], s[2:3]
	s_cbranch_execz .LBB214_434
; %bb.429:                              ;   in Loop: Header=BB214_232 Depth=1
	v_bfrev_b32_e32 v60, 1
	v_cmp_ne_u16_sdwa s[2:3], v16, s38 src0_sel:BYTE_0 src1_sel:DWORD
	v_mov_b32_e32 v61, 0
	s_and_saveexec_b64 s[34:35], s[2:3]
	s_cbranch_execz .LBB214_433
; %bb.430:                              ;   in Loop: Header=BB214_232 Depth=1
	v_bfe_u32 v27, v26, 16, 7
	v_mov_b32_e32 v60, 0x7f800001
	v_cmp_ne_u32_e64 s[2:3], s39, v27
	v_mov_b32_e32 v61, 0
	s_and_saveexec_b64 s[36:37], s[2:3]
	s_cbranch_execz .LBB214_432
; %bb.431:                              ;   in Loop: Header=BB214_232 Depth=1
	v_and_b32_e32 v72, 7, v16
	v_ffbh_u32_e32 v60, v72
	v_min_u32_e32 v74, 32, v60
	v_subrev_u32_e32 v60, 28, v74
	v_lshlrev_b64 v[60:61], v60, v[16:17]
	v_lshrrev_b32_e32 v73, 3, v27
	v_sub_u32_e32 v61, 29, v74
	v_and_b32_e32 v60, 7, v60
	v_cmp_gt_u32_e64 s[2:3], 8, v27
	v_cndmask_b32_e64 v27, v73, v61, s[2:3]
	v_cndmask_b32_e64 v60, v72, v60, s[2:3]
	v_lshlrev_b32_e32 v60, 20, v60
	v_and_b32_sdwa v16, sext(v16), s11 dst_sel:DWORD dst_unused:UNUSED_PAD src0_sel:BYTE_0 src1_sel:DWORD
	v_lshl_add_u32 v27, v27, 23, v68
	v_or3_b32 v16, v16, v27, v60
	v_pk_mov_b32 v[60:61], v[16:17], v[16:17] op_sel:[0,1]
.LBB214_432:                            ;   in Loop: Header=BB214_232 Depth=1
	s_or_b64 exec, exec, s[36:37]
.LBB214_433:                            ;   in Loop: Header=BB214_232 Depth=1
	s_or_b64 exec, exec, s[34:35]
.LBB214_434:                            ;   in Loop: Header=BB214_232 Depth=1
	s_or_b64 exec, exec, s[26:27]
	v_cmp_lt_u32_e64 s[2:3], s43, v26
	s_and_saveexec_b64 s[26:27], s[2:3]
	s_cbranch_execz .LBB214_440
; %bb.435:                              ;   in Loop: Header=BB214_232 Depth=1
	v_cmp_ne_u32_sdwa s[2:3], v26, s38 src0_sel:BYTE_3 src1_sel:DWORD
	v_pk_mov_b32 v[62:63], s[10:11], s[10:11] op_sel:[0,1]
	s_and_saveexec_b64 s[34:35], s[2:3]
	s_cbranch_execz .LBB214_439
; %bb.436:                              ;   in Loop: Header=BB214_232 Depth=1
	v_bfe_u32 v27, v26, 24, 7
	s_mov_b32 s18, s10
	v_cmp_ne_u32_e64 s[2:3], s39, v27
	v_pk_mov_b32 v[62:63], s[18:19], s[18:19] op_sel:[0,1]
	s_and_saveexec_b64 s[36:37], s[2:3]
	s_cbranch_execz .LBB214_438
; %bb.437:                              ;   in Loop: Header=BB214_232 Depth=1
	v_and_b32_sdwa v16, v26, v69 dst_sel:DWORD dst_unused:UNUSED_PAD src0_sel:BYTE_3 src1_sel:DWORD
	v_ffbh_u32_e32 v62, v16
	v_min_u32_e32 v73, 32, v62
	v_subrev_u32_e32 v62, 28, v73
	v_lshlrev_b64 v[62:63], v62, v[16:17]
	v_lshrrev_b32_e32 v72, 3, v27
	v_sub_u32_e32 v63, 29, v73
	v_cmp_gt_u32_e64 s[2:3], 8, v27
	v_and_b32_e32 v62, 7, v62
	v_cndmask_b32_e64 v27, v72, v63, s[2:3]
	v_cndmask_b32_e64 v16, v16, v62, s[2:3]
	v_lshlrev_b32_sdwa v26, v70, v26 dst_sel:DWORD dst_unused:UNUSED_PAD src0_sel:DWORD src1_sel:BYTE_3
	v_lshl_add_u32 v27, v27, 23, v68
	v_and_or_b32 v26, v26, s11, v27
	v_lshlrev_b32_e32 v16, 20, v16
	v_or_b32_e32 v63, v26, v16
	v_mov_b32_e32 v62, v17
.LBB214_438:                            ;   in Loop: Header=BB214_232 Depth=1
	s_or_b64 exec, exec, s[36:37]
.LBB214_439:                            ;   in Loop: Header=BB214_232 Depth=1
	s_or_b64 exec, exec, s[34:35]
.LBB214_440:                            ;   in Loop: Header=BB214_232 Depth=1
	s_or_b64 exec, exec, s[26:27]
	v_or_b32_e32 v27, v59, v57
	v_or_b32_e32 v26, v58, v56
	;; [unrolled: 1-line block ×4, first 2 shown]
	v_pk_mul_f32 v[26:27], s[22:23], v[26:27]
	v_pk_mul_f32 v[56:57], s[22:23], v[56:57]
	s_and_saveexec_b64 s[2:3], s[0:1]
	s_cbranch_execz .LBB214_229
; %bb.441:                              ;   in Loop: Header=BB214_232 Depth=1
	v_cmp_gt_i32_e64 s[0:1], s33, v71
	v_add_u32_e32 v16, 1, v71
	v_cndmask_b32_e64 v26, 0, v26, s[0:1]
	v_cmp_gt_i32_e64 s[0:1], s33, v16
	v_add_u32_e32 v16, 2, v71
	v_cndmask_b32_e64 v27, 0, v27, s[0:1]
	;; [unrolled: 3-line block ×3, first 2 shown]
	v_cmp_gt_i32_e64 s[0:1], s33, v16
	v_cndmask_b32_e64 v57, 0, v57, s[0:1]
	s_branch .LBB214_229
.LBB214_442:
	s_or_b64 exec, exec, s[16:17]
.LBB214_443:
	s_or_b64 exec, exec, s[6:7]
	ds_bpermute_b32 v4, v19, v10
	ds_bpermute_b32 v5, v19, v11
	;; [unrolled: 1-line block ×5, first 2 shown]
	s_waitcnt lgkmcnt(0)
	v_pk_add_f32 v[4:5], v[10:11], v[4:5]
	ds_bpermute_b32 v10, v19, v8
	ds_bpermute_b32 v11, v19, v9
	;; [unrolled: 1-line block ×3, first 2 shown]
	v_pk_add_f32 v[2:3], v[12:13], v[2:3]
	ds_bpermute_b32 v16, v15, v4
	ds_bpermute_b32 v17, v15, v5
	s_waitcnt lgkmcnt(3)
	v_pk_add_f32 v[10:11], v[8:9], v[10:11]
	ds_bpermute_b32 v20, v15, v10
	ds_bpermute_b32 v21, v15, v11
	s_waitcnt lgkmcnt(4)
	v_pk_add_f32 v[18:19], v[6:7], v[18:19]
	ds_bpermute_b32 v12, v15, v2
	ds_bpermute_b32 v13, v15, v3
	;; [unrolled: 1-line block ×4, first 2 shown]
	s_waitcnt lgkmcnt(6)
	v_pk_add_f32 v[6:7], v[4:5], v[16:17]
	s_waitcnt lgkmcnt(4)
	v_pk_add_f32 v[4:5], v[10:11], v[20:21]
	v_and_b32_e32 v10, 0x3c0, v0
	s_waitcnt lgkmcnt(2)
	v_pk_add_f32 v[8:9], v[2:3], v[12:13]
	s_waitcnt lgkmcnt(0)
	v_pk_add_f32 v[2:3], v[18:19], v[14:15]
	v_cmp_eq_u32_e32 vcc, 64, v10
	s_barrier
	s_and_saveexec_b64 s[2:3], vcc
	s_cbranch_execz .LBB214_448
; %bb.444:
	v_cmp_eq_u32_e32 vcc, 0, v30
	s_and_saveexec_b64 s[0:1], vcc
	s_cbranch_execz .LBB214_446
; %bb.445:
	v_mov_b32_e32 v10, 0x1f0
	v_lshl_add_u32 v10, v65, 2, v10
	ds_write2_b32 v10, v8, v9 offset1:16
	ds_write2_b32 v10, v6, v7 offset0:32 offset1:48
	ds_write2_b32 v10, v4, v5 offset0:64 offset1:80
	ds_write_b32 v10, v2 offset:384
.LBB214_446:
	s_or_b64 exec, exec, s[0:1]
	v_or_b32_e32 v10, 0x70, v65
	s_movk_i32 s0, 0x78
	v_cmp_gt_u32_e64 s[0:1], s0, v10
	s_and_b64 s[0:1], vcc, s[0:1]
	s_and_b64 exec, exec, s[0:1]
	s_cbranch_execz .LBB214_448
; %bb.447:
	v_mov_b32_e32 v10, 0x1f0
	v_lshl_add_u32 v10, v65, 2, v10
	ds_write_b32 v10, v3 offset:448
.LBB214_448:
	s_or_b64 exec, exec, s[2:3]
	v_cmp_gt_u32_e32 vcc, 64, v0
	s_waitcnt lgkmcnt(0)
	s_barrier
	s_and_saveexec_b64 s[6:7], vcc
	s_cbranch_execz .LBB214_466
; %bb.449:
	v_cmp_eq_u32_e64 s[0:1], 0, v30
	s_and_saveexec_b64 s[2:3], s[0:1]
	s_cbranch_execz .LBB214_451
; %bb.450:
	v_mov_b32_e32 v0, 0x1f0
	v_lshl_add_u32 v0, v31, 2, v0
	ds_read_b32 v0, v0
	s_waitcnt lgkmcnt(0)
	v_add_f32_e32 v8, v8, v0
.LBB214_451:
	s_or_b64 exec, exec, s[2:3]
	v_or_b32_e32 v0, 16, v31
	s_movk_i32 s5, 0x78
	v_cmp_gt_u32_e64 s[2:3], s5, v0
	s_and_b64 s[10:11], s[0:1], s[2:3]
	s_and_saveexec_b64 s[2:3], s[10:11]
	s_cbranch_execz .LBB214_453
; %bb.452:
	v_mov_b32_e32 v0, 0x1f0
	v_lshl_add_u32 v0, v31, 2, v0
	ds_read_b32 v0, v0 offset:64
	s_waitcnt lgkmcnt(0)
	v_add_f32_e32 v9, v9, v0
.LBB214_453:
	s_or_b64 exec, exec, s[2:3]
	v_or_b32_e32 v0, 32, v31
	v_cmp_gt_u32_e64 s[2:3], s5, v0
	s_and_b64 s[10:11], s[0:1], s[2:3]
	s_and_saveexec_b64 s[2:3], s[10:11]
	s_cbranch_execz .LBB214_455
; %bb.454:
	v_mov_b32_e32 v0, 0x1f0
	v_lshl_add_u32 v0, v31, 2, v0
	ds_read_b32 v0, v0 offset:128
	s_waitcnt lgkmcnt(0)
	v_add_f32_e32 v6, v6, v0
.LBB214_455:
	s_or_b64 exec, exec, s[2:3]
	v_or_b32_e32 v0, 48, v31
	;; [unrolled: 13-line block ×6, first 2 shown]
	s_movk_i32 s2, 0x78
	v_cmp_gt_u32_e64 s[2:3], s2, v0
	s_and_b64 s[2:3], s[0:1], s[2:3]
	s_and_saveexec_b64 s[0:1], s[2:3]
	s_cbranch_execz .LBB214_465
; %bb.464:
	v_mov_b32_e32 v0, 0x1f0
	v_lshl_add_u32 v0, v31, 2, v0
	ds_read_b32 v0, v0 offset:448
	s_waitcnt lgkmcnt(0)
	v_add_f32_e32 v3, v3, v0
.LBB214_465:
	s_or_b64 exec, exec, s[0:1]
.LBB214_466:
	s_or_b64 exec, exec, s[6:7]
	s_barrier
	s_and_saveexec_b64 s[0:1], vcc
	s_cbranch_execz .LBB214_483
; %bb.467:
	s_mul_i32 s0, s4, 0x78
	s_ashr_i32 s1, s0, 31
	s_lshl_b64 s[0:1], s[0:1], 2
	s_add_u32 s2, s30, s0
	s_mul_i32 s0, s29, s28
	s_addc_u32 s3, s31, s1
	s_ashr_i32 s1, s0, 31
	s_lshl_b64 s[0:1], s[0:1], 2
	s_add_u32 s2, s2, s0
	s_mul_i32 s0, s8, 0x78
	s_addc_u32 s3, s3, s1
	s_ashr_i32 s1, s0, 31
	s_lshl_b64 s[0:1], s[0:1], 2
	s_add_u32 s2, s2, s0
	s_movk_i32 s5, 0x78
	s_addc_u32 s3, s3, s1
	v_cmp_eq_u32_e32 vcc, 0, v30
	s_and_saveexec_b64 s[0:1], vcc
	s_cbranch_execz .LBB214_469
; %bb.468:
	global_store_dword v1, v8, s[2:3]
.LBB214_469:
	s_or_b64 exec, exec, s[0:1]
	v_or_b32_e32 v0, 16, v31
	v_cmp_gt_u32_e64 s[0:1], s5, v0
	s_and_b64 s[4:5], vcc, s[0:1]
	s_and_saveexec_b64 s[0:1], s[4:5]
	s_cbranch_execz .LBB214_471
; %bb.470:
	global_store_dword v1, v9, s[2:3] offset:64
.LBB214_471:
	s_or_b64 exec, exec, s[0:1]
	v_or_b32_e32 v0, 32, v31
	s_movk_i32 s4, 0x78
	v_cmp_gt_u32_e64 s[0:1], s4, v0
	s_and_b64 s[6:7], vcc, s[0:1]
	s_and_saveexec_b64 s[0:1], s[6:7]
	s_cbranch_execz .LBB214_473
; %bb.472:
	global_store_dword v1, v6, s[2:3] offset:128
.LBB214_473:
	s_or_b64 exec, exec, s[0:1]
	v_or_b32_e32 v0, 48, v31
	v_cmp_gt_u32_e64 s[0:1], s4, v0
	s_and_b64 s[4:5], vcc, s[0:1]
	s_and_saveexec_b64 s[0:1], s[4:5]
	s_cbranch_execz .LBB214_475
; %bb.474:
	global_store_dword v1, v7, s[2:3] offset:192
.LBB214_475:
	s_or_b64 exec, exec, s[0:1]
	v_or_b32_e32 v0, 64, v31
	s_movk_i32 s4, 0x78
	v_cmp_gt_u32_e64 s[0:1], s4, v0
	s_and_b64 s[6:7], vcc, s[0:1]
	s_and_saveexec_b64 s[0:1], s[6:7]
	s_cbranch_execz .LBB214_477
; %bb.476:
	global_store_dword v1, v4, s[2:3] offset:256
.LBB214_477:
	;; [unrolled: 19-line block ×3, first 2 shown]
	s_or_b64 exec, exec, s[0:1]
	v_or_b32_e32 v0, 0x70, v31
	v_cmp_gt_u32_e64 s[0:1], s4, v0
	s_and_b64 s[0:1], vcc, s[0:1]
	s_and_b64 exec, exec, s[0:1]
	s_cbranch_execz .LBB214_483
; %bb.482:
	global_store_dword v1, v3, s[2:3] offset:448
.LBB214_483:
	s_endpgm
	.section	.rodata,"a",@progbits
	.p2align	6, 0x0
	.amdhsa_kernel _ZN4vllm25paged_attention_v2_kernelIfhLi120ELi16ELi128ELNS_18Fp8KVCacheDataTypeE1ELb1ELi512EEEvPfS2_PT_PKS3_PKT0_S9_ifPKiSB_iPKfiiiSD_SD_iiiii
		.amdhsa_group_segment_fixed_size 496
		.amdhsa_private_segment_fixed_size 0
		.amdhsa_kernarg_size 400
		.amdhsa_user_sgpr_count 6
		.amdhsa_user_sgpr_private_segment_buffer 1
		.amdhsa_user_sgpr_dispatch_ptr 0
		.amdhsa_user_sgpr_queue_ptr 0
		.amdhsa_user_sgpr_kernarg_segment_ptr 1
		.amdhsa_user_sgpr_dispatch_id 0
		.amdhsa_user_sgpr_flat_scratch_init 0
		.amdhsa_user_sgpr_kernarg_preload_length 0
		.amdhsa_user_sgpr_kernarg_preload_offset 0
		.amdhsa_user_sgpr_private_segment_size 0
		.amdhsa_uses_dynamic_stack 0
		.amdhsa_system_sgpr_private_segment_wavefront_offset 0
		.amdhsa_system_sgpr_workgroup_id_x 1
		.amdhsa_system_sgpr_workgroup_id_y 1
		.amdhsa_system_sgpr_workgroup_id_z 1
		.amdhsa_system_sgpr_workgroup_info 0
		.amdhsa_system_vgpr_workitem_id 0
		.amdhsa_next_free_vgpr 94
		.amdhsa_next_free_sgpr 63
		.amdhsa_accum_offset 96
		.amdhsa_reserve_vcc 1
		.amdhsa_reserve_flat_scratch 0
		.amdhsa_float_round_mode_32 0
		.amdhsa_float_round_mode_16_64 0
		.amdhsa_float_denorm_mode_32 3
		.amdhsa_float_denorm_mode_16_64 3
		.amdhsa_dx10_clamp 1
		.amdhsa_ieee_mode 1
		.amdhsa_fp16_overflow 0
		.amdhsa_tg_split 0
		.amdhsa_exception_fp_ieee_invalid_op 0
		.amdhsa_exception_fp_denorm_src 0
		.amdhsa_exception_fp_ieee_div_zero 0
		.amdhsa_exception_fp_ieee_overflow 0
		.amdhsa_exception_fp_ieee_underflow 0
		.amdhsa_exception_fp_ieee_inexact 0
		.amdhsa_exception_int_div_zero 0
	.end_amdhsa_kernel
	.section	.text._ZN4vllm25paged_attention_v2_kernelIfhLi120ELi16ELi128ELNS_18Fp8KVCacheDataTypeE1ELb1ELi512EEEvPfS2_PT_PKS3_PKT0_S9_ifPKiSB_iPKfiiiSD_SD_iiiii,"axG",@progbits,_ZN4vllm25paged_attention_v2_kernelIfhLi120ELi16ELi128ELNS_18Fp8KVCacheDataTypeE1ELb1ELi512EEEvPfS2_PT_PKS3_PKT0_S9_ifPKiSB_iPKfiiiSD_SD_iiiii,comdat
.Lfunc_end214:
	.size	_ZN4vllm25paged_attention_v2_kernelIfhLi120ELi16ELi128ELNS_18Fp8KVCacheDataTypeE1ELb1ELi512EEEvPfS2_PT_PKS3_PKT0_S9_ifPKiSB_iPKfiiiSD_SD_iiiii, .Lfunc_end214-_ZN4vllm25paged_attention_v2_kernelIfhLi120ELi16ELi128ELNS_18Fp8KVCacheDataTypeE1ELb1ELi512EEEvPfS2_PT_PKS3_PKT0_S9_ifPKiSB_iPKfiiiSD_SD_iiiii
                                        ; -- End function
	.section	.AMDGPU.csdata,"",@progbits
; Kernel info:
; codeLenInByte = 17868
; NumSgprs: 67
; NumVgprs: 94
; NumAgprs: 0
; TotalNumVgprs: 94
; ScratchSize: 0
; MemoryBound: 0
; FloatMode: 240
; IeeeMode: 1
; LDSByteSize: 496 bytes/workgroup (compile time only)
; SGPRBlocks: 8
; VGPRBlocks: 11
; NumSGPRsForWavesPerEU: 67
; NumVGPRsForWavesPerEU: 94
; AccumOffset: 96
; Occupancy: 5
; WaveLimiterHint : 1
; COMPUTE_PGM_RSRC2:SCRATCH_EN: 0
; COMPUTE_PGM_RSRC2:USER_SGPR: 6
; COMPUTE_PGM_RSRC2:TRAP_HANDLER: 0
; COMPUTE_PGM_RSRC2:TGID_X_EN: 1
; COMPUTE_PGM_RSRC2:TGID_Y_EN: 1
; COMPUTE_PGM_RSRC2:TGID_Z_EN: 1
; COMPUTE_PGM_RSRC2:TIDIG_COMP_CNT: 0
; COMPUTE_PGM_RSRC3_GFX90A:ACCUM_OFFSET: 23
; COMPUTE_PGM_RSRC3_GFX90A:TG_SPLIT: 0
	.section	.text._ZN4vllm25paged_attention_v2_kernelIfhLi128ELi16ELi128ELNS_18Fp8KVCacheDataTypeE1ELb1ELi512EEEvPfS2_PT_PKS3_PKT0_S9_ifPKiSB_iPKfiiiSD_SD_iiiii,"axG",@progbits,_ZN4vllm25paged_attention_v2_kernelIfhLi128ELi16ELi128ELNS_18Fp8KVCacheDataTypeE1ELb1ELi512EEEvPfS2_PT_PKS3_PKT0_S9_ifPKiSB_iPKfiiiSD_SD_iiiii,comdat
	.protected	_ZN4vllm25paged_attention_v2_kernelIfhLi128ELi16ELi128ELNS_18Fp8KVCacheDataTypeE1ELb1ELi512EEEvPfS2_PT_PKS3_PKT0_S9_ifPKiSB_iPKfiiiSD_SD_iiiii ; -- Begin function _ZN4vllm25paged_attention_v2_kernelIfhLi128ELi16ELi128ELNS_18Fp8KVCacheDataTypeE1ELb1ELi512EEEvPfS2_PT_PKS3_PKT0_S9_ifPKiSB_iPKfiiiSD_SD_iiiii
	.globl	_ZN4vllm25paged_attention_v2_kernelIfhLi128ELi16ELi128ELNS_18Fp8KVCacheDataTypeE1ELb1ELi512EEEvPfS2_PT_PKS3_PKT0_S9_ifPKiSB_iPKfiiiSD_SD_iiiii
	.p2align	8
	.type	_ZN4vllm25paged_attention_v2_kernelIfhLi128ELi16ELi128ELNS_18Fp8KVCacheDataTypeE1ELb1ELi512EEEvPfS2_PT_PKS3_PKT0_S9_ifPKiSB_iPKfiiiSD_SD_iiiii,@function
_ZN4vllm25paged_attention_v2_kernelIfhLi128ELi16ELi128ELNS_18Fp8KVCacheDataTypeE1ELb1ELi512EEEvPfS2_PT_PKS3_PKT0_S9_ifPKiSB_iPKfiiiSD_SD_iiiii: ; @_ZN4vllm25paged_attention_v2_kernelIfhLi128ELi16ELi128ELNS_18Fp8KVCacheDataTypeE1ELb1ELi512EEEvPfS2_PT_PKS3_PKT0_S9_ifPKiSB_iPKfiiiSD_SD_iiiii
; %bb.0:
	s_load_dwordx2 s[0:1], s[4:5], 0x40
	s_mov_b32 s34, s7
	s_ashr_i32 s35, s7, 31
	s_lshl_b64 s[2:3], s[34:35], 2
	s_waitcnt lgkmcnt(0)
	s_add_u32 s0, s0, s2
	s_addc_u32 s1, s1, s3
	s_load_dword s33, s[0:1], 0x0
	s_lshl_b32 s55, s8, 9
	s_waitcnt lgkmcnt(0)
	s_cmp_ge_i32 s55, s33
	s_cbranch_scc1 .LBB215_468
; %bb.1:
	s_load_dword s9, s[4:5], 0x90
	s_load_dwordx2 s[42:43], s[4:5], 0x30
	s_mov_b32 s56, 0
	s_waitcnt lgkmcnt(0)
	s_abs_i32 s2, s9
	s_abs_i32 s0, s42
	v_cvt_f32_u32_e32 v1, s0
	s_sub_i32 s3, 0, s0
	s_xor_b32 s1, s9, s42
	s_ashr_i32 s1, s1, 31
	v_rcp_iflag_f32_e32 v1, v1
	v_mul_f32_e32 v1, 0x4f7ffffe, v1
	v_cvt_u32_f32_e32 v1, v1
	v_readfirstlane_b32 s7, v1
	s_mul_i32 s3, s3, s7
	s_mul_hi_u32 s3, s7, s3
	s_add_i32 s7, s7, s3
	s_mul_hi_u32 s3, s2, s7
	s_mul_i32 s7, s3, s0
	s_sub_i32 s2, s2, s7
	s_add_i32 s10, s3, 1
	s_sub_i32 s7, s2, s0
	s_cmp_ge_u32 s2, s0
	s_cselect_b32 s3, s10, s3
	s_cselect_b32 s2, s7, s2
	s_add_i32 s7, s3, 1
	s_cmp_ge_u32 s2, s0
	s_cselect_b32 s0, s7, s3
	s_xor_b32 s0, s0, s1
	s_sub_i32 s11, s0, s1
	s_abs_i32 s2, s11
	v_cvt_f32_u32_e32 v1, s2
	s_load_dwordx2 s[0:1], s[4:5], 0x50
	s_sub_i32 s7, 0, s2
	s_abs_i32 s3, s6
	v_rcp_iflag_f32_e32 v1, v1
	v_mul_f32_e32 v1, 0x4f7ffffe, v1
	v_cvt_u32_f32_e32 v1, v1
	v_readfirstlane_b32 s10, v1
	s_mul_i32 s7, s7, s10
	s_mul_hi_u32 s7, s10, s7
	s_add_i32 s10, s10, s7
	s_waitcnt lgkmcnt(0)
	s_cmp_eq_u64 s[0:1], 0
	s_mul_hi_u32 s10, s3, s10
	s_cbranch_scc1 .LBB215_3
; %bb.2:
	s_ashr_i32 s7, s6, 31
	s_lshl_b64 s[12:13], s[6:7], 2
	s_add_u32 s0, s0, s12
	s_addc_u32 s1, s1, s13
	s_load_dword s56, s[0:1], 0x0
.LBB215_3:
	s_load_dwordx4 s[12:15], s[4:5], 0x58
	v_lshrrev_b32_e32 v35, 2, v0
	s_movk_i32 s0, 0x80
	s_ashr_i32 s7, s6, 31
	s_ashr_i32 s11, s11, 31
	v_and_b32_e32 v34, 3, v0
	s_lshl_b32 s28, s6, 7
	v_cmp_gt_u32_e32 vcc, s0, v0
	v_lshlrev_b32_e32 v47, 2, v0
	v_lshlrev_b32_e32 v1, 2, v35
	s_and_saveexec_b64 s[0:1], vcc
	s_cbranch_execz .LBB215_5
; %bb.4:
	s_load_dwordx2 s[16:17], s[4:5], 0x18
	s_waitcnt lgkmcnt(0)
	s_mul_i32 s18, s34, s12
	s_ashr_i32 s19, s18, 31
	s_lshl_b64 s[18:19], s[18:19], 2
	v_lshl_add_u32 v3, v34, 7, v1
	s_add_u32 s12, s16, s18
	s_addc_u32 s15, s17, s19
	s_ashr_i32 s29, s28, 31
	s_lshl_b64 s[16:17], s[28:29], 2
	s_add_u32 s16, s12, s16
	s_addc_u32 s17, s15, s17
	global_load_dword v2, v47, s[16:17]
	s_waitcnt vmcnt(0)
	ds_write_b32 v3, v2
.LBB215_5:
	s_or_b64 exec, exec, s[0:1]
	s_mul_i32 s1, s10, s2
	s_sub_i32 s1, s3, s1
	s_xor_b32 s0, s7, s11
	s_add_i32 s3, s10, 1
	s_sub_i32 s7, s1, s2
	s_load_dwordx4 s[16:19], s[4:5], 0x78
	s_cmp_ge_u32 s1, s2
	s_cselect_b32 s3, s3, s10
	s_load_dword s10, s[4:5], 0x88
	s_cselect_b32 s1, s7, s1
	s_add_i32 s7, s3, 1
	s_cmp_ge_u32 s1, s2
	s_cselect_b32 s1, s7, s3
	s_waitcnt lgkmcnt(0)
	s_abs_i32 s35, s19
	v_cvt_f32_u32_e32 v2, s35
	s_xor_b32 s1, s1, s0
	s_sub_i32 s2, s1, s0
	s_sub_i32 s0, 0, s35
	v_rcp_iflag_f32_e32 v2, v2
	s_add_i32 s11, s33, -1
	s_abs_i32 s3, s11
	v_mul_f32_e32 v2, 0x4f7ffffe, v2
	v_cvt_u32_f32_e32 v2, v2
	s_barrier
	v_readfirstlane_b32 s52, v2
	s_mul_i32 s0, s0, s52
	s_mul_hi_u32 s0, s52, s0
	s_add_i32 s52, s52, s0
	s_cmp_lt_i32 s10, 0
	s_mul_hi_u32 s7, s3, s52
	s_cbranch_scc0 .LBB215_7
; %bb.6:
	s_mul_i32 s0, s16, s42
	s_add_i32 s0, s2, s0
	s_mul_i32 s0, s0, s10
	s_sub_i32 s42, 1, s0
	s_mov_b64 s[0:1], 0
	s_branch .LBB215_8
.LBB215_7:
	s_mov_b64 s[0:1], -1
                                        ; implicit-def: $sgpr42
.LBB215_8:
	s_load_dwordx2 s[36:37], s[4:5], 0x38
	s_ashr_i32 s11, s11, 31
	s_andn2_b64 vcc, exec, s[0:1]
	s_ashr_i32 s53, s19, 31
	s_cbranch_vccnz .LBB215_10
; %bb.9:
	s_mul_i32 s0, s9, s16
	s_add_i32 s0, s0, s6
	s_mul_i32 s0, s0, s10
	s_add_i32 s42, s0, 1
.LBB215_10:
	s_load_dwordx2 s[40:41], s[4:5], 0x28
	s_load_dword s0, s[4:5], 0x48
	s_load_dwordx4 s[24:27], s[4:5], 0x0
	s_load_dwordx2 s[30:31], s[4:5], 0x10
	s_load_dword s29, s[4:5], 0x98
	s_load_dwordx4 s[20:23], s[4:5], 0x68
	s_mul_i32 s1, s7, s35
	s_waitcnt lgkmcnt(0)
	s_mul_i32 s38, s34, s0
	s_sub_i32 s1, s3, s1
	s_ashr_i32 s39, s38, 31
	s_xor_b32 s0, s11, s53
	s_add_i32 s3, s7, 1
	s_sub_i32 s10, s1, s35
	s_cmp_ge_u32 s1, s35
	s_cselect_b32 s3, s3, s7
	s_cselect_b32 s1, s10, s1
	s_add_i32 s7, s3, 1
	s_cmp_ge_u32 s1, s35
	s_cselect_b32 s1, s7, s3
	s_xor_b32 s1, s1, s0
	s_sub_i32 s16, s1, s0
	s_add_i32 s0, s33, 15
	s_ashr_i32 s1, s0, 31
	s_lshr_b32 s1, s1, 28
	s_add_i32 s0, s0, s1
	s_lshl_b32 s12, s8, 5
	s_ashr_i32 s7, s0, 4
	s_add_i32 s0, s12, 32
	v_lshrrev_b32_e32 v48, 6, v0
	s_min_i32 s54, s0, s7
	v_or_b32_e32 v36, s12, v48
	v_cmp_gt_i32_e64 s[0:1], s54, v36
	v_mov_b32_e32 v52, 0xff7fffff
	s_mul_i32 s19, s2, s14
	v_ashrrev_i32_e32 v37, 31, v36
	v_lshl_add_u32 v62, v48, 4, s55
	v_mbcnt_lo_u32_b32 v49, -1, 0
	s_and_saveexec_b64 s[14:15], s[0:1]
	s_cbranch_execz .LBB215_212
; %bb.11:
	s_load_dwordx2 s[4:5], s[4:5], 0x20
	s_sub_i32 s57, s16, s17
	s_ashr_i32 s10, s19, 31
	v_bfe_u32 v50, v0, 2, 4
	v_lshlrev_b32_e32 v3, 4, v50
	s_waitcnt lgkmcnt(0)
	s_add_u32 s4, s4, s19
	s_addc_u32 s5, s5, s10
	s_abs_i32 s58, s18
	v_cvt_f32_u32_e32 v2, s58
	s_sub_i32 s10, 0, s58
	v_add_co_u32_e32 v38, vcc, s4, v3
	v_rcp_iflag_f32_e32 v2, v2
	v_mov_b32_e32 v4, s5
	v_addc_co_u32_e32 v39, vcc, 0, v4, vcc
	v_mul_f32_e32 v2, 0x4f7ffffe, v2
	v_cvt_u32_f32_e32 v2, v2
	v_cmp_eq_u32_e64 s[2:3], 0, v34
	s_mov_b32 s59, s13
	v_lshlrev_b32_e32 v51, 7, v34
	v_mul_lo_u32 v3, s10, v2
	v_mul_hi_u32 v3, v2, v3
	s_lshl_b64 s[10:11], s[38:39], 2
	v_add_u32_e32 v53, v2, v3
	v_lshlrev_b64 v[2:3], 2, v[36:37]
	s_add_u32 s10, s36, s10
	v_add_co_u32_e32 v40, vcc, s10, v2
	v_lshlrev_b32_e32 v2, 2, v50
	s_addc_u32 s11, s37, s11
	v_lshl_or_b32 v2, v48, 6, v2
	v_mov_b32_e32 v4, s11
	v_add_u32_e32 v55, 0x210, v2
	v_subrev_u32_e32 v2, s33, v50
	v_cmp_neq_f32_e64 s[4:5], s56, 0
	v_addc_co_u32_e32 v41, vcc, v4, v3, vcc
	v_lshl_add_u32 v54, v48, 4, s55
	v_add_u32_e32 v56, 1, v2
	s_mov_b64 s[44:45], 0
	v_mov_b32_e32 v57, 0xff7fffff
	s_movk_i32 s60, 0x80
	s_movk_i32 s61, 0x7f
	v_bfrev_b32_e32 v58, 60
	v_mbcnt_hi_u32_b32 v59, -1, v49
	v_mov_b32_e32 v52, 0xff7fffff
	v_mov_b32_e32 v60, v36
	s_branch .LBB215_14
.LBB215_12:                             ;   in Loop: Header=BB215_14 Depth=1
	s_or_b64 exec, exec, s[46:47]
.LBB215_13:                             ;   in Loop: Header=BB215_14 Depth=1
	s_or_b64 exec, exec, s[10:11]
	v_add_co_u32_e32 v40, vcc, 8, v40
	v_add_u32_e32 v60, 2, v60
	v_addc_co_u32_e32 v41, vcc, 0, v41, vcc
	v_cmp_le_i32_e32 vcc, s54, v60
	v_add_u32_e32 v54, 32, v54
	s_or_b64 s[44:45], vcc, s[44:45]
	v_add_u32_e32 v55, 0x80, v55
	s_andn2_b64 exec, exec, s[44:45]
	s_cbranch_execz .LBB215_211
.LBB215_14:                             ; =>This Inner Loop Header: Depth=1
	s_waitcnt lgkmcnt(0)
	v_sub_u32_e32 v3, 0, v54
	v_max_i32_e32 v3, v54, v3
	v_mul_hi_u32 v4, v3, s52
	v_mul_lo_u32 v5, v4, s35
	v_sub_u32_e32 v3, v3, v5
	v_add_u32_e32 v5, 1, v4
	v_cmp_le_u32_e32 vcc, s35, v3
	v_cndmask_b32_e32 v4, v4, v5, vcc
	v_subrev_u32_e32 v5, s35, v3
	v_cndmask_b32_e32 v3, v3, v5, vcc
	v_ashrrev_i32_e32 v2, 31, v54
	v_add_u32_e32 v5, 1, v4
	v_cmp_le_u32_e32 vcc, s35, v3
	v_xor_b32_e32 v2, s53, v2
	v_cndmask_b32_e32 v3, v4, v5, vcc
	v_xor_b32_e32 v3, v3, v2
	v_sub_u32_e32 v2, v3, v2
	v_add_u32_e32 v3, s42, v2
	v_sub_u32_e32 v5, 0, v3
	v_ashrrev_i32_e32 v4, 31, v3
	v_max_i32_e32 v3, v3, v5
	v_mul_hi_u32 v5, v3, v53
	v_mul_lo_u32 v5, v5, s58
	v_sub_u32_e32 v3, v3, v5
	v_subrev_u32_e32 v5, s58, v3
	v_cmp_le_u32_e32 vcc, s58, v3
	v_cndmask_b32_e32 v3, v3, v5, vcc
	v_subrev_u32_e32 v5, s58, v3
	v_cmp_le_u32_e32 vcc, s58, v3
	v_cndmask_b32_e32 v3, v3, v5, vcc
	v_xor_b32_e32 v3, v3, v4
	v_sub_u32_e32 v3, v3, v4
	v_cmp_ne_u32_e32 vcc, 0, v3
	v_cmp_ge_i32_e64 s[10:11], s57, v2
	s_and_b64 s[10:11], vcc, s[10:11]
	s_and_b64 s[48:49], s[2:3], s[10:11]
	s_and_saveexec_b64 s[46:47], s[48:49]
	s_cbranch_execz .LBB215_16
; %bb.15:                               ;   in Loop: Header=BB215_14 Depth=1
	ds_write_b32 v55, v57
.LBB215_16:                             ;   in Loop: Header=BB215_14 Depth=1
	s_or_b64 exec, exec, s[46:47]
	s_xor_b64 s[46:47], s[10:11], -1
	s_and_saveexec_b64 s[10:11], s[46:47]
	s_cbranch_execz .LBB215_13
; %bb.17:                               ;   in Loop: Header=BB215_14 Depth=1
	global_load_dword v2, v[40:41], off
	v_mov_b32_e32 v61, 0
	v_mov_b32_e32 v63, 0
	s_waitcnt vmcnt(0)
	v_mad_i64_i32 v[2:3], s[46:47], v2, s59, v[38:39]
	v_add_co_u32_e32 v42, vcc, v2, v34
	v_addc_co_u32_e32 v43, vcc, 0, v3, vcc
	global_load_ubyte v45, v[42:43], off
	ds_read_b128 v[30:33], v51
	ds_read_b128 v[26:29], v51 offset:16
	ds_read_b128 v[22:25], v51 offset:32
	;; [unrolled: 1-line block ×7, first 2 shown]
	s_load_dword s62, s[20:21], 0x0
	s_waitcnt vmcnt(0)
	v_cmp_ne_u16_e32 vcc, 0, v45
	s_and_saveexec_b64 s[46:47], vcc
	s_cbranch_execz .LBB215_23
; %bb.18:                               ;   in Loop: Header=BB215_14 Depth=1
	v_cmp_ne_u16_e32 vcc, s60, v45
	v_bfrev_b32_e32 v63, 1
	s_and_saveexec_b64 s[48:49], vcc
	s_cbranch_execz .LBB215_22
; %bb.19:                               ;   in Loop: Header=BB215_14 Depth=1
	v_and_b32_e32 v44, 0xffff, v45
	v_and_b32_e32 v46, 0x7f, v44
	v_cmp_ne_u32_e32 vcc, s61, v46
	v_mov_b32_e32 v63, 0x7f800001
	s_and_saveexec_b64 s[50:51], vcc
	s_cbranch_execz .LBB215_21
; %bb.20:                               ;   in Loop: Header=BB215_14 Depth=1
	v_and_b32_e32 v63, 7, v44
	v_ffbh_u32_e32 v64, v63
	v_min_u32_e32 v67, 32, v64
	v_subrev_u32_e32 v64, 28, v67
	v_lshlrev_b64 v[64:65], v64, v[44:45]
	v_lshrrev_b32_e32 v66, 3, v46
	v_sub_u32_e32 v44, 29, v67
	v_and_b32_e32 v64, 7, v64
	v_cmp_gt_u32_e32 vcc, 8, v46
	v_cndmask_b32_e32 v44, v66, v44, vcc
	v_cndmask_b32_e32 v46, v63, v64, vcc
	v_lshlrev_b32_e32 v45, 24, v45
	v_lshlrev_b32_e32 v46, 20, v46
	v_and_b32_e32 v45, 0x80000000, v45
	v_lshl_add_u32 v44, v44, 23, v58
	v_or3_b32 v63, v45, v44, v46
.LBB215_21:                             ;   in Loop: Header=BB215_14 Depth=1
	s_or_b64 exec, exec, s[50:51]
.LBB215_22:                             ;   in Loop: Header=BB215_14 Depth=1
	s_or_b64 exec, exec, s[48:49]
.LBB215_23:                             ;   in Loop: Header=BB215_14 Depth=1
	s_or_b64 exec, exec, s[46:47]
	global_load_ubyte v45, v[42:43], off offset:4
	s_waitcnt vmcnt(0)
	v_cmp_ne_u16_e32 vcc, 0, v45
	s_and_saveexec_b64 s[46:47], vcc
	s_cbranch_execz .LBB215_29
; %bb.24:                               ;   in Loop: Header=BB215_14 Depth=1
	v_cmp_ne_u16_e32 vcc, s60, v45
	v_bfrev_b32_e32 v61, 1
	s_and_saveexec_b64 s[48:49], vcc
	s_cbranch_execz .LBB215_28
; %bb.25:                               ;   in Loop: Header=BB215_14 Depth=1
	v_and_b32_e32 v44, 0xffff, v45
	v_and_b32_e32 v46, 0x7f, v44
	v_cmp_ne_u32_e32 vcc, s61, v46
	v_mov_b32_e32 v61, 0x7f800001
	s_and_saveexec_b64 s[50:51], vcc
	s_cbranch_execz .LBB215_27
; %bb.26:                               ;   in Loop: Header=BB215_14 Depth=1
	v_and_b32_e32 v61, 7, v44
	v_ffbh_u32_e32 v64, v61
	v_min_u32_e32 v67, 32, v64
	v_subrev_u32_e32 v64, 28, v67
	v_lshlrev_b64 v[64:65], v64, v[44:45]
	v_lshrrev_b32_e32 v66, 3, v46
	v_sub_u32_e32 v44, 29, v67
	v_and_b32_e32 v64, 7, v64
	v_cmp_gt_u32_e32 vcc, 8, v46
	v_cndmask_b32_e32 v44, v66, v44, vcc
	v_cndmask_b32_e32 v46, v61, v64, vcc
	v_lshlrev_b32_e32 v45, 24, v45
	v_lshlrev_b32_e32 v46, 20, v46
	v_and_b32_e32 v45, 0x80000000, v45
	v_lshl_add_u32 v44, v44, 23, v58
	v_or3_b32 v61, v45, v44, v46
.LBB215_27:                             ;   in Loop: Header=BB215_14 Depth=1
	s_or_b64 exec, exec, s[50:51]
.LBB215_28:                             ;   in Loop: Header=BB215_14 Depth=1
	s_or_b64 exec, exec, s[48:49]
.LBB215_29:                             ;   in Loop: Header=BB215_14 Depth=1
	s_or_b64 exec, exec, s[46:47]
	global_load_ubyte v45, v[42:43], off offset:8
	v_mov_b32_e32 v64, 0
	v_mov_b32_e32 v65, 0
	s_waitcnt vmcnt(0)
	v_cmp_ne_u16_e32 vcc, 0, v45
	s_and_saveexec_b64 s[46:47], vcc
	s_cbranch_execz .LBB215_35
; %bb.30:                               ;   in Loop: Header=BB215_14 Depth=1
	v_cmp_ne_u16_e32 vcc, s60, v45
	v_bfrev_b32_e32 v65, 1
	s_and_saveexec_b64 s[48:49], vcc
	s_cbranch_execz .LBB215_34
; %bb.31:                               ;   in Loop: Header=BB215_14 Depth=1
	v_and_b32_e32 v44, 0xffff, v45
	v_and_b32_e32 v46, 0x7f, v44
	v_cmp_ne_u32_e32 vcc, s61, v46
	v_mov_b32_e32 v65, 0x7f800001
	s_and_saveexec_b64 s[50:51], vcc
	s_cbranch_execz .LBB215_33
; %bb.32:                               ;   in Loop: Header=BB215_14 Depth=1
	v_and_b32_e32 v65, 7, v44
	v_ffbh_u32_e32 v66, v65
	v_min_u32_e32 v69, 32, v66
	v_subrev_u32_e32 v66, 28, v69
	v_lshlrev_b64 v[66:67], v66, v[44:45]
	v_lshrrev_b32_e32 v68, 3, v46
	v_sub_u32_e32 v44, 29, v69
	v_and_b32_e32 v66, 7, v66
	v_cmp_gt_u32_e32 vcc, 8, v46
	v_cndmask_b32_e32 v44, v68, v44, vcc
	v_cndmask_b32_e32 v46, v65, v66, vcc
	v_lshlrev_b32_e32 v45, 24, v45
	v_lshlrev_b32_e32 v46, 20, v46
	v_and_b32_e32 v45, 0x80000000, v45
	v_lshl_add_u32 v44, v44, 23, v58
	v_or3_b32 v65, v45, v44, v46
.LBB215_33:                             ;   in Loop: Header=BB215_14 Depth=1
	s_or_b64 exec, exec, s[50:51]
.LBB215_34:                             ;   in Loop: Header=BB215_14 Depth=1
	s_or_b64 exec, exec, s[48:49]
.LBB215_35:                             ;   in Loop: Header=BB215_14 Depth=1
	s_or_b64 exec, exec, s[46:47]
	global_load_ubyte v45, v[42:43], off offset:12
	s_waitcnt vmcnt(0)
	v_cmp_ne_u16_e32 vcc, 0, v45
	s_and_saveexec_b64 s[46:47], vcc
	s_cbranch_execz .LBB215_41
; %bb.36:                               ;   in Loop: Header=BB215_14 Depth=1
	v_cmp_ne_u16_e32 vcc, s60, v45
	v_bfrev_b32_e32 v64, 1
	s_and_saveexec_b64 s[48:49], vcc
	s_cbranch_execz .LBB215_40
; %bb.37:                               ;   in Loop: Header=BB215_14 Depth=1
	v_and_b32_e32 v44, 0xffff, v45
	v_and_b32_e32 v46, 0x7f, v44
	v_cmp_ne_u32_e32 vcc, s61, v46
	v_mov_b32_e32 v64, 0x7f800001
	s_and_saveexec_b64 s[50:51], vcc
	s_cbranch_execz .LBB215_39
; %bb.38:                               ;   in Loop: Header=BB215_14 Depth=1
	v_and_b32_e32 v64, 7, v44
	v_ffbh_u32_e32 v66, v64
	v_min_u32_e32 v69, 32, v66
	v_subrev_u32_e32 v66, 28, v69
	v_lshlrev_b64 v[66:67], v66, v[44:45]
	v_lshrrev_b32_e32 v68, 3, v46
	v_sub_u32_e32 v44, 29, v69
	v_and_b32_e32 v66, 7, v66
	v_cmp_gt_u32_e32 vcc, 8, v46
	v_cndmask_b32_e32 v44, v68, v44, vcc
	v_cndmask_b32_e32 v46, v64, v66, vcc
	v_lshlrev_b32_e32 v45, 24, v45
	v_lshlrev_b32_e32 v46, 20, v46
	v_and_b32_e32 v45, 0x80000000, v45
	v_lshl_add_u32 v44, v44, 23, v58
	v_or3_b32 v64, v45, v44, v46
.LBB215_39:                             ;   in Loop: Header=BB215_14 Depth=1
	s_or_b64 exec, exec, s[50:51]
.LBB215_40:                             ;   in Loop: Header=BB215_14 Depth=1
	s_or_b64 exec, exec, s[48:49]
.LBB215_41:                             ;   in Loop: Header=BB215_14 Depth=1
	s_or_b64 exec, exec, s[46:47]
	global_load_ubyte v45, v[42:43], off offset:256
	v_mov_b32_e32 v66, 0
	v_mov_b32_e32 v67, 0
	s_waitcnt vmcnt(0)
	v_cmp_ne_u16_e32 vcc, 0, v45
	s_and_saveexec_b64 s[46:47], vcc
	s_cbranch_execz .LBB215_47
; %bb.42:                               ;   in Loop: Header=BB215_14 Depth=1
	v_cmp_ne_u16_e32 vcc, s60, v45
	v_bfrev_b32_e32 v67, 1
	s_and_saveexec_b64 s[48:49], vcc
	s_cbranch_execz .LBB215_46
; %bb.43:                               ;   in Loop: Header=BB215_14 Depth=1
	v_and_b32_e32 v44, 0xffff, v45
	v_and_b32_e32 v46, 0x7f, v44
	v_cmp_ne_u32_e32 vcc, s61, v46
	v_mov_b32_e32 v67, 0x7f800001
	s_and_saveexec_b64 s[50:51], vcc
	s_cbranch_execz .LBB215_45
; %bb.44:                               ;   in Loop: Header=BB215_14 Depth=1
	v_and_b32_e32 v67, 7, v44
	v_ffbh_u32_e32 v68, v67
	v_min_u32_e32 v71, 32, v68
	v_subrev_u32_e32 v68, 28, v71
	v_lshlrev_b64 v[68:69], v68, v[44:45]
	v_lshrrev_b32_e32 v70, 3, v46
	v_sub_u32_e32 v44, 29, v71
	v_and_b32_e32 v68, 7, v68
	v_cmp_gt_u32_e32 vcc, 8, v46
	v_cndmask_b32_e32 v44, v70, v44, vcc
	v_cndmask_b32_e32 v46, v67, v68, vcc
	v_lshlrev_b32_e32 v45, 24, v45
	v_lshlrev_b32_e32 v46, 20, v46
	v_and_b32_e32 v45, 0x80000000, v45
	v_lshl_add_u32 v44, v44, 23, v58
	v_or3_b32 v67, v45, v44, v46
.LBB215_45:                             ;   in Loop: Header=BB215_14 Depth=1
	s_or_b64 exec, exec, s[50:51]
.LBB215_46:                             ;   in Loop: Header=BB215_14 Depth=1
	s_or_b64 exec, exec, s[48:49]
.LBB215_47:                             ;   in Loop: Header=BB215_14 Depth=1
	s_or_b64 exec, exec, s[46:47]
	global_load_ubyte v45, v[42:43], off offset:260
	s_waitcnt vmcnt(0)
	v_cmp_ne_u16_e32 vcc, 0, v45
	s_and_saveexec_b64 s[46:47], vcc
	s_cbranch_execz .LBB215_53
; %bb.48:                               ;   in Loop: Header=BB215_14 Depth=1
	v_cmp_ne_u16_e32 vcc, s60, v45
	v_bfrev_b32_e32 v66, 1
	s_and_saveexec_b64 s[48:49], vcc
	s_cbranch_execz .LBB215_52
; %bb.49:                               ;   in Loop: Header=BB215_14 Depth=1
	v_and_b32_e32 v44, 0xffff, v45
	v_and_b32_e32 v46, 0x7f, v44
	v_cmp_ne_u32_e32 vcc, s61, v46
	v_mov_b32_e32 v66, 0x7f800001
	s_and_saveexec_b64 s[50:51], vcc
	s_cbranch_execz .LBB215_51
; %bb.50:                               ;   in Loop: Header=BB215_14 Depth=1
	v_and_b32_e32 v66, 7, v44
	v_ffbh_u32_e32 v68, v66
	v_min_u32_e32 v71, 32, v68
	v_subrev_u32_e32 v68, 28, v71
	v_lshlrev_b64 v[68:69], v68, v[44:45]
	v_lshrrev_b32_e32 v70, 3, v46
	v_sub_u32_e32 v44, 29, v71
	v_and_b32_e32 v68, 7, v68
	v_cmp_gt_u32_e32 vcc, 8, v46
	v_cndmask_b32_e32 v44, v70, v44, vcc
	v_cndmask_b32_e32 v46, v66, v68, vcc
	v_lshlrev_b32_e32 v45, 24, v45
	v_lshlrev_b32_e32 v46, 20, v46
	v_and_b32_e32 v45, 0x80000000, v45
	v_lshl_add_u32 v44, v44, 23, v58
	v_or3_b32 v66, v45, v44, v46
.LBB215_51:                             ;   in Loop: Header=BB215_14 Depth=1
	s_or_b64 exec, exec, s[50:51]
.LBB215_52:                             ;   in Loop: Header=BB215_14 Depth=1
	s_or_b64 exec, exec, s[48:49]
.LBB215_53:                             ;   in Loop: Header=BB215_14 Depth=1
	s_or_b64 exec, exec, s[46:47]
	v_add_co_u32_e32 v44, vcc, 0x100, v42
	v_addc_co_u32_e32 v45, vcc, 0, v43, vcc
	global_load_ubyte v70, v[44:45], off offset:8
	v_mov_b32_e32 v68, 0
	v_mov_b32_e32 v69, 0
	s_waitcnt vmcnt(0)
	v_cmp_ne_u16_e32 vcc, 0, v70
	s_and_saveexec_b64 s[46:47], vcc
	s_cbranch_execz .LBB215_59
; %bb.54:                               ;   in Loop: Header=BB215_14 Depth=1
	v_cmp_ne_u16_e32 vcc, s60, v70
	v_bfrev_b32_e32 v69, 1
	s_and_saveexec_b64 s[48:49], vcc
	s_cbranch_execz .LBB215_58
; %bb.55:                               ;   in Loop: Header=BB215_14 Depth=1
	v_and_b32_e32 v46, 0xffff, v70
	v_and_b32_e32 v71, 0x7f, v46
	v_cmp_ne_u32_e32 vcc, s61, v71
	v_mov_b32_e32 v69, 0x7f800001
	s_and_saveexec_b64 s[50:51], vcc
	s_cbranch_execz .LBB215_57
; %bb.56:                               ;   in Loop: Header=BB215_14 Depth=1
	v_and_b32_e32 v69, 7, v46
	v_ffbh_u32_e32 v72, v69
	v_min_u32_e32 v75, 32, v72
	v_subrev_u32_e32 v72, 28, v75
	v_lshlrev_b64 v[72:73], v72, v[46:47]
	v_lshrrev_b32_e32 v74, 3, v71
	v_sub_u32_e32 v46, 29, v75
	v_and_b32_e32 v72, 7, v72
	v_cmp_gt_u32_e32 vcc, 8, v71
	v_cndmask_b32_e32 v46, v74, v46, vcc
	v_cndmask_b32_e32 v69, v69, v72, vcc
	v_lshlrev_b32_e32 v70, 24, v70
	v_lshlrev_b32_e32 v69, 20, v69
	v_and_b32_e32 v70, 0x80000000, v70
	v_lshl_add_u32 v46, v46, 23, v58
	v_or3_b32 v69, v70, v46, v69
.LBB215_57:                             ;   in Loop: Header=BB215_14 Depth=1
	s_or_b64 exec, exec, s[50:51]
.LBB215_58:                             ;   in Loop: Header=BB215_14 Depth=1
	s_or_b64 exec, exec, s[48:49]
.LBB215_59:                             ;   in Loop: Header=BB215_14 Depth=1
	s_or_b64 exec, exec, s[46:47]
	global_load_ubyte v45, v[44:45], off offset:12
	s_waitcnt vmcnt(0)
	v_cmp_ne_u16_e32 vcc, 0, v45
	s_and_saveexec_b64 s[46:47], vcc
	s_cbranch_execz .LBB215_65
; %bb.60:                               ;   in Loop: Header=BB215_14 Depth=1
	v_cmp_ne_u16_e32 vcc, s60, v45
	v_bfrev_b32_e32 v68, 1
	s_and_saveexec_b64 s[48:49], vcc
	s_cbranch_execz .LBB215_64
; %bb.61:                               ;   in Loop: Header=BB215_14 Depth=1
	v_and_b32_e32 v44, 0xffff, v45
	v_and_b32_e32 v46, 0x7f, v44
	v_cmp_ne_u32_e32 vcc, s61, v46
	v_mov_b32_e32 v68, 0x7f800001
	s_and_saveexec_b64 s[50:51], vcc
	s_cbranch_execz .LBB215_63
; %bb.62:                               ;   in Loop: Header=BB215_14 Depth=1
	v_and_b32_e32 v68, 7, v44
	v_ffbh_u32_e32 v70, v68
	v_min_u32_e32 v73, 32, v70
	v_subrev_u32_e32 v70, 28, v73
	v_lshlrev_b64 v[70:71], v70, v[44:45]
	v_lshrrev_b32_e32 v72, 3, v46
	v_sub_u32_e32 v44, 29, v73
	v_and_b32_e32 v70, 7, v70
	v_cmp_gt_u32_e32 vcc, 8, v46
	v_cndmask_b32_e32 v44, v72, v44, vcc
	v_cndmask_b32_e32 v46, v68, v70, vcc
	v_lshlrev_b32_e32 v45, 24, v45
	v_lshlrev_b32_e32 v46, 20, v46
	v_and_b32_e32 v45, 0x80000000, v45
	v_lshl_add_u32 v44, v44, 23, v58
	v_or3_b32 v68, v45, v44, v46
.LBB215_63:                             ;   in Loop: Header=BB215_14 Depth=1
	s_or_b64 exec, exec, s[50:51]
.LBB215_64:                             ;   in Loop: Header=BB215_14 Depth=1
	s_or_b64 exec, exec, s[48:49]
.LBB215_65:                             ;   in Loop: Header=BB215_14 Depth=1
	s_or_b64 exec, exec, s[46:47]
	global_load_ubyte v45, v[42:43], off offset:512
	v_mov_b32_e32 v70, 0
	v_mov_b32_e32 v71, 0
	s_waitcnt vmcnt(0)
	v_cmp_ne_u16_e32 vcc, 0, v45
	s_and_saveexec_b64 s[46:47], vcc
	s_cbranch_execz .LBB215_71
; %bb.66:                               ;   in Loop: Header=BB215_14 Depth=1
	v_cmp_ne_u16_e32 vcc, s60, v45
	v_bfrev_b32_e32 v71, 1
	s_and_saveexec_b64 s[48:49], vcc
	s_cbranch_execz .LBB215_70
; %bb.67:                               ;   in Loop: Header=BB215_14 Depth=1
	v_and_b32_e32 v44, 0xffff, v45
	v_and_b32_e32 v46, 0x7f, v44
	v_cmp_ne_u32_e32 vcc, s61, v46
	v_mov_b32_e32 v71, 0x7f800001
	s_and_saveexec_b64 s[50:51], vcc
	s_cbranch_execz .LBB215_69
; %bb.68:                               ;   in Loop: Header=BB215_14 Depth=1
	v_and_b32_e32 v71, 7, v44
	v_ffbh_u32_e32 v72, v71
	v_min_u32_e32 v75, 32, v72
	v_subrev_u32_e32 v72, 28, v75
	v_lshlrev_b64 v[72:73], v72, v[44:45]
	v_lshrrev_b32_e32 v74, 3, v46
	v_sub_u32_e32 v44, 29, v75
	v_and_b32_e32 v72, 7, v72
	v_cmp_gt_u32_e32 vcc, 8, v46
	v_cndmask_b32_e32 v44, v74, v44, vcc
	v_cndmask_b32_e32 v46, v71, v72, vcc
	v_lshlrev_b32_e32 v45, 24, v45
	v_lshlrev_b32_e32 v46, 20, v46
	v_and_b32_e32 v45, 0x80000000, v45
	v_lshl_add_u32 v44, v44, 23, v58
	v_or3_b32 v71, v45, v44, v46
.LBB215_69:                             ;   in Loop: Header=BB215_14 Depth=1
	s_or_b64 exec, exec, s[50:51]
.LBB215_70:                             ;   in Loop: Header=BB215_14 Depth=1
	s_or_b64 exec, exec, s[48:49]
.LBB215_71:                             ;   in Loop: Header=BB215_14 Depth=1
	s_or_b64 exec, exec, s[46:47]
	global_load_ubyte v45, v[42:43], off offset:516
	s_waitcnt vmcnt(0)
	v_cmp_ne_u16_e32 vcc, 0, v45
	s_and_saveexec_b64 s[46:47], vcc
	s_cbranch_execz .LBB215_77
; %bb.72:                               ;   in Loop: Header=BB215_14 Depth=1
	v_cmp_ne_u16_e32 vcc, s60, v45
	v_bfrev_b32_e32 v70, 1
	s_and_saveexec_b64 s[48:49], vcc
	s_cbranch_execz .LBB215_76
; %bb.73:                               ;   in Loop: Header=BB215_14 Depth=1
	v_and_b32_e32 v44, 0xffff, v45
	v_and_b32_e32 v46, 0x7f, v44
	v_cmp_ne_u32_e32 vcc, s61, v46
	v_mov_b32_e32 v70, 0x7f800001
	s_and_saveexec_b64 s[50:51], vcc
	s_cbranch_execz .LBB215_75
; %bb.74:                               ;   in Loop: Header=BB215_14 Depth=1
	v_and_b32_e32 v70, 7, v44
	v_ffbh_u32_e32 v72, v70
	v_min_u32_e32 v75, 32, v72
	v_subrev_u32_e32 v72, 28, v75
	v_lshlrev_b64 v[72:73], v72, v[44:45]
	v_lshrrev_b32_e32 v74, 3, v46
	v_sub_u32_e32 v44, 29, v75
	v_and_b32_e32 v72, 7, v72
	v_cmp_gt_u32_e32 vcc, 8, v46
	v_cndmask_b32_e32 v44, v74, v44, vcc
	v_cndmask_b32_e32 v46, v70, v72, vcc
	v_lshlrev_b32_e32 v45, 24, v45
	v_lshlrev_b32_e32 v46, 20, v46
	v_and_b32_e32 v45, 0x80000000, v45
	v_lshl_add_u32 v44, v44, 23, v58
	v_or3_b32 v70, v45, v44, v46
.LBB215_75:                             ;   in Loop: Header=BB215_14 Depth=1
	s_or_b64 exec, exec, s[50:51]
.LBB215_76:                             ;   in Loop: Header=BB215_14 Depth=1
	s_or_b64 exec, exec, s[48:49]
.LBB215_77:                             ;   in Loop: Header=BB215_14 Depth=1
	s_or_b64 exec, exec, s[46:47]
	v_add_co_u32_e32 v44, vcc, 0x200, v42
	v_addc_co_u32_e32 v45, vcc, 0, v43, vcc
	global_load_ubyte v74, v[44:45], off offset:8
	v_mov_b32_e32 v72, 0
	v_mov_b32_e32 v73, 0
	s_waitcnt vmcnt(0)
	v_cmp_ne_u16_e32 vcc, 0, v74
	s_and_saveexec_b64 s[46:47], vcc
	s_cbranch_execz .LBB215_83
; %bb.78:                               ;   in Loop: Header=BB215_14 Depth=1
	v_cmp_ne_u16_e32 vcc, s60, v74
	v_bfrev_b32_e32 v73, 1
	s_and_saveexec_b64 s[48:49], vcc
	s_cbranch_execz .LBB215_82
; %bb.79:                               ;   in Loop: Header=BB215_14 Depth=1
	v_and_b32_e32 v46, 0xffff, v74
	v_and_b32_e32 v75, 0x7f, v46
	v_cmp_ne_u32_e32 vcc, s61, v75
	v_mov_b32_e32 v73, 0x7f800001
	s_and_saveexec_b64 s[50:51], vcc
	s_cbranch_execz .LBB215_81
; %bb.80:                               ;   in Loop: Header=BB215_14 Depth=1
	v_and_b32_e32 v73, 7, v46
	v_ffbh_u32_e32 v76, v73
	v_min_u32_e32 v79, 32, v76
	v_subrev_u32_e32 v76, 28, v79
	v_lshlrev_b64 v[76:77], v76, v[46:47]
	v_lshrrev_b32_e32 v78, 3, v75
	v_sub_u32_e32 v46, 29, v79
	v_and_b32_e32 v76, 7, v76
	v_cmp_gt_u32_e32 vcc, 8, v75
	v_cndmask_b32_e32 v46, v78, v46, vcc
	v_cndmask_b32_e32 v73, v73, v76, vcc
	v_lshlrev_b32_e32 v74, 24, v74
	v_lshlrev_b32_e32 v73, 20, v73
	v_and_b32_e32 v74, 0x80000000, v74
	v_lshl_add_u32 v46, v46, 23, v58
	v_or3_b32 v73, v74, v46, v73
.LBB215_81:                             ;   in Loop: Header=BB215_14 Depth=1
	s_or_b64 exec, exec, s[50:51]
.LBB215_82:                             ;   in Loop: Header=BB215_14 Depth=1
	s_or_b64 exec, exec, s[48:49]
.LBB215_83:                             ;   in Loop: Header=BB215_14 Depth=1
	s_or_b64 exec, exec, s[46:47]
	global_load_ubyte v45, v[44:45], off offset:12
	s_waitcnt vmcnt(0)
	v_cmp_ne_u16_e32 vcc, 0, v45
	s_and_saveexec_b64 s[46:47], vcc
	s_cbranch_execz .LBB215_89
; %bb.84:                               ;   in Loop: Header=BB215_14 Depth=1
	v_cmp_ne_u16_e32 vcc, s60, v45
	v_bfrev_b32_e32 v72, 1
	s_and_saveexec_b64 s[48:49], vcc
	s_cbranch_execz .LBB215_88
; %bb.85:                               ;   in Loop: Header=BB215_14 Depth=1
	v_and_b32_e32 v44, 0xffff, v45
	v_and_b32_e32 v46, 0x7f, v44
	v_cmp_ne_u32_e32 vcc, s61, v46
	v_mov_b32_e32 v72, 0x7f800001
	s_and_saveexec_b64 s[50:51], vcc
	s_cbranch_execz .LBB215_87
; %bb.86:                               ;   in Loop: Header=BB215_14 Depth=1
	v_and_b32_e32 v72, 7, v44
	v_ffbh_u32_e32 v74, v72
	v_min_u32_e32 v77, 32, v74
	v_subrev_u32_e32 v74, 28, v77
	v_lshlrev_b64 v[74:75], v74, v[44:45]
	v_lshrrev_b32_e32 v76, 3, v46
	v_sub_u32_e32 v44, 29, v77
	v_and_b32_e32 v74, 7, v74
	v_cmp_gt_u32_e32 vcc, 8, v46
	v_cndmask_b32_e32 v44, v76, v44, vcc
	v_cndmask_b32_e32 v46, v72, v74, vcc
	v_lshlrev_b32_e32 v45, 24, v45
	v_lshlrev_b32_e32 v46, 20, v46
	v_and_b32_e32 v45, 0x80000000, v45
	v_lshl_add_u32 v44, v44, 23, v58
	v_or3_b32 v72, v45, v44, v46
.LBB215_87:                             ;   in Loop: Header=BB215_14 Depth=1
	s_or_b64 exec, exec, s[50:51]
.LBB215_88:                             ;   in Loop: Header=BB215_14 Depth=1
	s_or_b64 exec, exec, s[48:49]
.LBB215_89:                             ;   in Loop: Header=BB215_14 Depth=1
	s_or_b64 exec, exec, s[46:47]
	global_load_ubyte v45, v[42:43], off offset:768
	v_mov_b32_e32 v74, 0
	v_mov_b32_e32 v75, 0
	s_waitcnt vmcnt(0)
	v_cmp_ne_u16_e32 vcc, 0, v45
	s_and_saveexec_b64 s[46:47], vcc
	s_cbranch_execz .LBB215_95
; %bb.90:                               ;   in Loop: Header=BB215_14 Depth=1
	v_cmp_ne_u16_e32 vcc, s60, v45
	v_bfrev_b32_e32 v75, 1
	s_and_saveexec_b64 s[48:49], vcc
	s_cbranch_execz .LBB215_94
; %bb.91:                               ;   in Loop: Header=BB215_14 Depth=1
	v_and_b32_e32 v44, 0xffff, v45
	v_and_b32_e32 v46, 0x7f, v44
	v_cmp_ne_u32_e32 vcc, s61, v46
	v_mov_b32_e32 v75, 0x7f800001
	s_and_saveexec_b64 s[50:51], vcc
	s_cbranch_execz .LBB215_93
; %bb.92:                               ;   in Loop: Header=BB215_14 Depth=1
	v_and_b32_e32 v75, 7, v44
	v_ffbh_u32_e32 v76, v75
	v_min_u32_e32 v79, 32, v76
	v_subrev_u32_e32 v76, 28, v79
	v_lshlrev_b64 v[76:77], v76, v[44:45]
	v_lshrrev_b32_e32 v78, 3, v46
	v_sub_u32_e32 v44, 29, v79
	v_and_b32_e32 v76, 7, v76
	v_cmp_gt_u32_e32 vcc, 8, v46
	v_cndmask_b32_e32 v44, v78, v44, vcc
	v_cndmask_b32_e32 v46, v75, v76, vcc
	v_lshlrev_b32_e32 v45, 24, v45
	v_lshlrev_b32_e32 v46, 20, v46
	v_and_b32_e32 v45, 0x80000000, v45
	v_lshl_add_u32 v44, v44, 23, v58
	v_or3_b32 v75, v45, v44, v46
.LBB215_93:                             ;   in Loop: Header=BB215_14 Depth=1
	s_or_b64 exec, exec, s[50:51]
.LBB215_94:                             ;   in Loop: Header=BB215_14 Depth=1
	s_or_b64 exec, exec, s[48:49]
.LBB215_95:                             ;   in Loop: Header=BB215_14 Depth=1
	s_or_b64 exec, exec, s[46:47]
	global_load_ubyte v45, v[42:43], off offset:772
	s_waitcnt vmcnt(0)
	v_cmp_ne_u16_e32 vcc, 0, v45
	s_and_saveexec_b64 s[46:47], vcc
	s_cbranch_execz .LBB215_101
; %bb.96:                               ;   in Loop: Header=BB215_14 Depth=1
	v_cmp_ne_u16_e32 vcc, s60, v45
	v_bfrev_b32_e32 v74, 1
	s_and_saveexec_b64 s[48:49], vcc
	s_cbranch_execz .LBB215_100
; %bb.97:                               ;   in Loop: Header=BB215_14 Depth=1
	v_and_b32_e32 v44, 0xffff, v45
	v_and_b32_e32 v46, 0x7f, v44
	v_cmp_ne_u32_e32 vcc, s61, v46
	v_mov_b32_e32 v74, 0x7f800001
	s_and_saveexec_b64 s[50:51], vcc
	s_cbranch_execz .LBB215_99
; %bb.98:                               ;   in Loop: Header=BB215_14 Depth=1
	v_and_b32_e32 v74, 7, v44
	v_ffbh_u32_e32 v76, v74
	v_min_u32_e32 v79, 32, v76
	v_subrev_u32_e32 v76, 28, v79
	v_lshlrev_b64 v[76:77], v76, v[44:45]
	v_lshrrev_b32_e32 v78, 3, v46
	v_sub_u32_e32 v44, 29, v79
	v_and_b32_e32 v76, 7, v76
	v_cmp_gt_u32_e32 vcc, 8, v46
	v_cndmask_b32_e32 v44, v78, v44, vcc
	v_cndmask_b32_e32 v46, v74, v76, vcc
	v_lshlrev_b32_e32 v45, 24, v45
	v_lshlrev_b32_e32 v46, 20, v46
	v_and_b32_e32 v45, 0x80000000, v45
	v_lshl_add_u32 v44, v44, 23, v58
	v_or3_b32 v74, v45, v44, v46
.LBB215_99:                             ;   in Loop: Header=BB215_14 Depth=1
	s_or_b64 exec, exec, s[50:51]
.LBB215_100:                            ;   in Loop: Header=BB215_14 Depth=1
	s_or_b64 exec, exec, s[48:49]
.LBB215_101:                            ;   in Loop: Header=BB215_14 Depth=1
	s_or_b64 exec, exec, s[46:47]
	v_add_co_u32_e32 v44, vcc, 0x300, v42
	v_addc_co_u32_e32 v45, vcc, 0, v43, vcc
	global_load_ubyte v78, v[44:45], off offset:8
	v_mov_b32_e32 v76, 0
	v_mov_b32_e32 v77, 0
	s_waitcnt vmcnt(0)
	v_cmp_ne_u16_e32 vcc, 0, v78
	s_and_saveexec_b64 s[46:47], vcc
	s_cbranch_execz .LBB215_107
; %bb.102:                              ;   in Loop: Header=BB215_14 Depth=1
	v_cmp_ne_u16_e32 vcc, s60, v78
	v_bfrev_b32_e32 v77, 1
	s_and_saveexec_b64 s[48:49], vcc
	s_cbranch_execz .LBB215_106
; %bb.103:                              ;   in Loop: Header=BB215_14 Depth=1
	v_and_b32_e32 v46, 0xffff, v78
	v_and_b32_e32 v79, 0x7f, v46
	v_cmp_ne_u32_e32 vcc, s61, v79
	v_mov_b32_e32 v77, 0x7f800001
	s_and_saveexec_b64 s[50:51], vcc
	s_cbranch_execz .LBB215_105
; %bb.104:                              ;   in Loop: Header=BB215_14 Depth=1
	v_and_b32_e32 v77, 7, v46
	v_ffbh_u32_e32 v80, v77
	v_min_u32_e32 v83, 32, v80
	v_subrev_u32_e32 v80, 28, v83
	v_lshlrev_b64 v[80:81], v80, v[46:47]
	v_lshrrev_b32_e32 v82, 3, v79
	v_sub_u32_e32 v46, 29, v83
	v_and_b32_e32 v80, 7, v80
	v_cmp_gt_u32_e32 vcc, 8, v79
	v_cndmask_b32_e32 v46, v82, v46, vcc
	v_cndmask_b32_e32 v77, v77, v80, vcc
	v_lshlrev_b32_e32 v78, 24, v78
	v_lshlrev_b32_e32 v77, 20, v77
	v_and_b32_e32 v78, 0x80000000, v78
	v_lshl_add_u32 v46, v46, 23, v58
	v_or3_b32 v77, v78, v46, v77
.LBB215_105:                            ;   in Loop: Header=BB215_14 Depth=1
	s_or_b64 exec, exec, s[50:51]
.LBB215_106:                            ;   in Loop: Header=BB215_14 Depth=1
	s_or_b64 exec, exec, s[48:49]
.LBB215_107:                            ;   in Loop: Header=BB215_14 Depth=1
	s_or_b64 exec, exec, s[46:47]
	global_load_ubyte v45, v[44:45], off offset:12
	s_waitcnt vmcnt(0)
	v_cmp_ne_u16_e32 vcc, 0, v45
	s_and_saveexec_b64 s[46:47], vcc
	s_cbranch_execz .LBB215_113
; %bb.108:                              ;   in Loop: Header=BB215_14 Depth=1
	v_cmp_ne_u16_e32 vcc, s60, v45
	v_bfrev_b32_e32 v76, 1
	s_and_saveexec_b64 s[48:49], vcc
	s_cbranch_execz .LBB215_112
; %bb.109:                              ;   in Loop: Header=BB215_14 Depth=1
	v_and_b32_e32 v44, 0xffff, v45
	v_and_b32_e32 v46, 0x7f, v44
	v_cmp_ne_u32_e32 vcc, s61, v46
	v_mov_b32_e32 v76, 0x7f800001
	s_and_saveexec_b64 s[50:51], vcc
	s_cbranch_execz .LBB215_111
; %bb.110:                              ;   in Loop: Header=BB215_14 Depth=1
	v_and_b32_e32 v76, 7, v44
	v_ffbh_u32_e32 v78, v76
	v_min_u32_e32 v81, 32, v78
	v_subrev_u32_e32 v78, 28, v81
	v_lshlrev_b64 v[78:79], v78, v[44:45]
	v_lshrrev_b32_e32 v80, 3, v46
	v_sub_u32_e32 v44, 29, v81
	v_and_b32_e32 v78, 7, v78
	v_cmp_gt_u32_e32 vcc, 8, v46
	v_cndmask_b32_e32 v44, v80, v44, vcc
	v_cndmask_b32_e32 v46, v76, v78, vcc
	v_lshlrev_b32_e32 v45, 24, v45
	v_lshlrev_b32_e32 v46, 20, v46
	v_and_b32_e32 v45, 0x80000000, v45
	v_lshl_add_u32 v44, v44, 23, v58
	v_or3_b32 v76, v45, v44, v46
.LBB215_111:                            ;   in Loop: Header=BB215_14 Depth=1
	s_or_b64 exec, exec, s[50:51]
.LBB215_112:                            ;   in Loop: Header=BB215_14 Depth=1
	s_or_b64 exec, exec, s[48:49]
.LBB215_113:                            ;   in Loop: Header=BB215_14 Depth=1
	s_or_b64 exec, exec, s[46:47]
	global_load_ubyte v45, v[42:43], off offset:1024
	v_mov_b32_e32 v78, 0
	v_mov_b32_e32 v79, 0
	s_waitcnt vmcnt(0)
	v_cmp_ne_u16_e32 vcc, 0, v45
	s_and_saveexec_b64 s[46:47], vcc
	s_cbranch_execz .LBB215_119
; %bb.114:                              ;   in Loop: Header=BB215_14 Depth=1
	v_cmp_ne_u16_e32 vcc, s60, v45
	v_bfrev_b32_e32 v79, 1
	s_and_saveexec_b64 s[48:49], vcc
	s_cbranch_execz .LBB215_118
; %bb.115:                              ;   in Loop: Header=BB215_14 Depth=1
	v_and_b32_e32 v44, 0xffff, v45
	v_and_b32_e32 v46, 0x7f, v44
	v_cmp_ne_u32_e32 vcc, s61, v46
	v_mov_b32_e32 v79, 0x7f800001
	s_and_saveexec_b64 s[50:51], vcc
	s_cbranch_execz .LBB215_117
; %bb.116:                              ;   in Loop: Header=BB215_14 Depth=1
	v_and_b32_e32 v79, 7, v44
	v_ffbh_u32_e32 v80, v79
	v_min_u32_e32 v83, 32, v80
	v_subrev_u32_e32 v80, 28, v83
	v_lshlrev_b64 v[80:81], v80, v[44:45]
	v_lshrrev_b32_e32 v82, 3, v46
	v_sub_u32_e32 v44, 29, v83
	v_and_b32_e32 v80, 7, v80
	v_cmp_gt_u32_e32 vcc, 8, v46
	v_cndmask_b32_e32 v44, v82, v44, vcc
	v_cndmask_b32_e32 v46, v79, v80, vcc
	v_lshlrev_b32_e32 v45, 24, v45
	v_lshlrev_b32_e32 v46, 20, v46
	v_and_b32_e32 v45, 0x80000000, v45
	v_lshl_add_u32 v44, v44, 23, v58
	v_or3_b32 v79, v45, v44, v46
.LBB215_117:                            ;   in Loop: Header=BB215_14 Depth=1
	s_or_b64 exec, exec, s[50:51]
.LBB215_118:                            ;   in Loop: Header=BB215_14 Depth=1
	s_or_b64 exec, exec, s[48:49]
.LBB215_119:                            ;   in Loop: Header=BB215_14 Depth=1
	s_or_b64 exec, exec, s[46:47]
	global_load_ubyte v45, v[42:43], off offset:1028
	s_waitcnt vmcnt(0)
	v_cmp_ne_u16_e32 vcc, 0, v45
	s_and_saveexec_b64 s[46:47], vcc
	s_cbranch_execz .LBB215_125
; %bb.120:                              ;   in Loop: Header=BB215_14 Depth=1
	v_cmp_ne_u16_e32 vcc, s60, v45
	v_bfrev_b32_e32 v78, 1
	s_and_saveexec_b64 s[48:49], vcc
	s_cbranch_execz .LBB215_124
; %bb.121:                              ;   in Loop: Header=BB215_14 Depth=1
	v_and_b32_e32 v44, 0xffff, v45
	v_and_b32_e32 v46, 0x7f, v44
	v_cmp_ne_u32_e32 vcc, s61, v46
	v_mov_b32_e32 v78, 0x7f800001
	s_and_saveexec_b64 s[50:51], vcc
	s_cbranch_execz .LBB215_123
; %bb.122:                              ;   in Loop: Header=BB215_14 Depth=1
	v_and_b32_e32 v78, 7, v44
	v_ffbh_u32_e32 v80, v78
	v_min_u32_e32 v83, 32, v80
	v_subrev_u32_e32 v80, 28, v83
	v_lshlrev_b64 v[80:81], v80, v[44:45]
	v_lshrrev_b32_e32 v82, 3, v46
	v_sub_u32_e32 v44, 29, v83
	v_and_b32_e32 v80, 7, v80
	v_cmp_gt_u32_e32 vcc, 8, v46
	v_cndmask_b32_e32 v44, v82, v44, vcc
	v_cndmask_b32_e32 v46, v78, v80, vcc
	v_lshlrev_b32_e32 v45, 24, v45
	v_lshlrev_b32_e32 v46, 20, v46
	v_and_b32_e32 v45, 0x80000000, v45
	v_lshl_add_u32 v44, v44, 23, v58
	v_or3_b32 v78, v45, v44, v46
.LBB215_123:                            ;   in Loop: Header=BB215_14 Depth=1
	s_or_b64 exec, exec, s[50:51]
.LBB215_124:                            ;   in Loop: Header=BB215_14 Depth=1
	s_or_b64 exec, exec, s[48:49]
.LBB215_125:                            ;   in Loop: Header=BB215_14 Depth=1
	s_or_b64 exec, exec, s[46:47]
	v_add_co_u32_e32 v44, vcc, 0x400, v42
	v_addc_co_u32_e32 v45, vcc, 0, v43, vcc
	global_load_ubyte v82, v[44:45], off offset:8
	v_mov_b32_e32 v80, 0
	v_mov_b32_e32 v81, 0
	s_waitcnt vmcnt(0)
	v_cmp_ne_u16_e32 vcc, 0, v82
	s_and_saveexec_b64 s[46:47], vcc
	s_cbranch_execz .LBB215_131
; %bb.126:                              ;   in Loop: Header=BB215_14 Depth=1
	v_cmp_ne_u16_e32 vcc, s60, v82
	v_bfrev_b32_e32 v81, 1
	s_and_saveexec_b64 s[48:49], vcc
	s_cbranch_execz .LBB215_130
; %bb.127:                              ;   in Loop: Header=BB215_14 Depth=1
	v_and_b32_e32 v46, 0xffff, v82
	v_and_b32_e32 v83, 0x7f, v46
	v_cmp_ne_u32_e32 vcc, s61, v83
	v_mov_b32_e32 v81, 0x7f800001
	s_and_saveexec_b64 s[50:51], vcc
	s_cbranch_execz .LBB215_129
; %bb.128:                              ;   in Loop: Header=BB215_14 Depth=1
	v_and_b32_e32 v81, 7, v46
	v_ffbh_u32_e32 v84, v81
	v_min_u32_e32 v87, 32, v84
	v_subrev_u32_e32 v84, 28, v87
	v_lshlrev_b64 v[84:85], v84, v[46:47]
	v_lshrrev_b32_e32 v86, 3, v83
	v_sub_u32_e32 v46, 29, v87
	v_and_b32_e32 v84, 7, v84
	v_cmp_gt_u32_e32 vcc, 8, v83
	v_cndmask_b32_e32 v46, v86, v46, vcc
	v_cndmask_b32_e32 v81, v81, v84, vcc
	v_lshlrev_b32_e32 v82, 24, v82
	v_lshlrev_b32_e32 v81, 20, v81
	v_and_b32_e32 v82, 0x80000000, v82
	v_lshl_add_u32 v46, v46, 23, v58
	v_or3_b32 v81, v82, v46, v81
.LBB215_129:                            ;   in Loop: Header=BB215_14 Depth=1
	s_or_b64 exec, exec, s[50:51]
.LBB215_130:                            ;   in Loop: Header=BB215_14 Depth=1
	s_or_b64 exec, exec, s[48:49]
.LBB215_131:                            ;   in Loop: Header=BB215_14 Depth=1
	s_or_b64 exec, exec, s[46:47]
	global_load_ubyte v45, v[44:45], off offset:12
	s_waitcnt vmcnt(0)
	v_cmp_ne_u16_e32 vcc, 0, v45
	s_and_saveexec_b64 s[46:47], vcc
	s_cbranch_execz .LBB215_137
; %bb.132:                              ;   in Loop: Header=BB215_14 Depth=1
	v_cmp_ne_u16_e32 vcc, s60, v45
	v_bfrev_b32_e32 v80, 1
	s_and_saveexec_b64 s[48:49], vcc
	s_cbranch_execz .LBB215_136
; %bb.133:                              ;   in Loop: Header=BB215_14 Depth=1
	v_and_b32_e32 v44, 0xffff, v45
	v_and_b32_e32 v46, 0x7f, v44
	v_cmp_ne_u32_e32 vcc, s61, v46
	v_mov_b32_e32 v80, 0x7f800001
	s_and_saveexec_b64 s[50:51], vcc
	s_cbranch_execz .LBB215_135
; %bb.134:                              ;   in Loop: Header=BB215_14 Depth=1
	v_and_b32_e32 v80, 7, v44
	v_ffbh_u32_e32 v82, v80
	v_min_u32_e32 v85, 32, v82
	v_subrev_u32_e32 v82, 28, v85
	v_lshlrev_b64 v[82:83], v82, v[44:45]
	v_lshrrev_b32_e32 v84, 3, v46
	v_sub_u32_e32 v44, 29, v85
	v_and_b32_e32 v82, 7, v82
	v_cmp_gt_u32_e32 vcc, 8, v46
	v_cndmask_b32_e32 v44, v84, v44, vcc
	v_cndmask_b32_e32 v46, v80, v82, vcc
	v_lshlrev_b32_e32 v45, 24, v45
	v_lshlrev_b32_e32 v46, 20, v46
	v_and_b32_e32 v45, 0x80000000, v45
	v_lshl_add_u32 v44, v44, 23, v58
	v_or3_b32 v80, v45, v44, v46
.LBB215_135:                            ;   in Loop: Header=BB215_14 Depth=1
	s_or_b64 exec, exec, s[50:51]
.LBB215_136:                            ;   in Loop: Header=BB215_14 Depth=1
	s_or_b64 exec, exec, s[48:49]
.LBB215_137:                            ;   in Loop: Header=BB215_14 Depth=1
	s_or_b64 exec, exec, s[46:47]
	global_load_ubyte v45, v[42:43], off offset:1280
	v_mov_b32_e32 v82, 0
	v_mov_b32_e32 v83, 0
	s_waitcnt vmcnt(0)
	v_cmp_ne_u16_e32 vcc, 0, v45
	s_and_saveexec_b64 s[46:47], vcc
	s_cbranch_execz .LBB215_143
; %bb.138:                              ;   in Loop: Header=BB215_14 Depth=1
	v_cmp_ne_u16_e32 vcc, s60, v45
	v_bfrev_b32_e32 v83, 1
	s_and_saveexec_b64 s[48:49], vcc
	s_cbranch_execz .LBB215_142
; %bb.139:                              ;   in Loop: Header=BB215_14 Depth=1
	v_and_b32_e32 v44, 0xffff, v45
	v_and_b32_e32 v46, 0x7f, v44
	v_cmp_ne_u32_e32 vcc, s61, v46
	v_mov_b32_e32 v83, 0x7f800001
	s_and_saveexec_b64 s[50:51], vcc
	s_cbranch_execz .LBB215_141
; %bb.140:                              ;   in Loop: Header=BB215_14 Depth=1
	v_and_b32_e32 v83, 7, v44
	v_ffbh_u32_e32 v84, v83
	v_min_u32_e32 v87, 32, v84
	v_subrev_u32_e32 v84, 28, v87
	v_lshlrev_b64 v[84:85], v84, v[44:45]
	v_lshrrev_b32_e32 v86, 3, v46
	v_sub_u32_e32 v44, 29, v87
	v_and_b32_e32 v84, 7, v84
	v_cmp_gt_u32_e32 vcc, 8, v46
	v_cndmask_b32_e32 v44, v86, v44, vcc
	v_cndmask_b32_e32 v46, v83, v84, vcc
	v_lshlrev_b32_e32 v45, 24, v45
	v_lshlrev_b32_e32 v46, 20, v46
	v_and_b32_e32 v45, 0x80000000, v45
	v_lshl_add_u32 v44, v44, 23, v58
	v_or3_b32 v83, v45, v44, v46
.LBB215_141:                            ;   in Loop: Header=BB215_14 Depth=1
	s_or_b64 exec, exec, s[50:51]
.LBB215_142:                            ;   in Loop: Header=BB215_14 Depth=1
	s_or_b64 exec, exec, s[48:49]
.LBB215_143:                            ;   in Loop: Header=BB215_14 Depth=1
	s_or_b64 exec, exec, s[46:47]
	global_load_ubyte v45, v[42:43], off offset:1284
	s_waitcnt vmcnt(0)
	v_cmp_ne_u16_e32 vcc, 0, v45
	s_and_saveexec_b64 s[46:47], vcc
	s_cbranch_execz .LBB215_149
; %bb.144:                              ;   in Loop: Header=BB215_14 Depth=1
	v_cmp_ne_u16_e32 vcc, s60, v45
	v_bfrev_b32_e32 v82, 1
	s_and_saveexec_b64 s[48:49], vcc
	s_cbranch_execz .LBB215_148
; %bb.145:                              ;   in Loop: Header=BB215_14 Depth=1
	v_and_b32_e32 v44, 0xffff, v45
	v_and_b32_e32 v46, 0x7f, v44
	v_cmp_ne_u32_e32 vcc, s61, v46
	v_mov_b32_e32 v82, 0x7f800001
	s_and_saveexec_b64 s[50:51], vcc
	s_cbranch_execz .LBB215_147
; %bb.146:                              ;   in Loop: Header=BB215_14 Depth=1
	v_and_b32_e32 v82, 7, v44
	v_ffbh_u32_e32 v84, v82
	v_min_u32_e32 v87, 32, v84
	v_subrev_u32_e32 v84, 28, v87
	v_lshlrev_b64 v[84:85], v84, v[44:45]
	v_lshrrev_b32_e32 v86, 3, v46
	v_sub_u32_e32 v44, 29, v87
	v_and_b32_e32 v84, 7, v84
	v_cmp_gt_u32_e32 vcc, 8, v46
	v_cndmask_b32_e32 v44, v86, v44, vcc
	v_cndmask_b32_e32 v46, v82, v84, vcc
	v_lshlrev_b32_e32 v45, 24, v45
	v_lshlrev_b32_e32 v46, 20, v46
	v_and_b32_e32 v45, 0x80000000, v45
	v_lshl_add_u32 v44, v44, 23, v58
	v_or3_b32 v82, v45, v44, v46
.LBB215_147:                            ;   in Loop: Header=BB215_14 Depth=1
	s_or_b64 exec, exec, s[50:51]
.LBB215_148:                            ;   in Loop: Header=BB215_14 Depth=1
	s_or_b64 exec, exec, s[48:49]
.LBB215_149:                            ;   in Loop: Header=BB215_14 Depth=1
	s_or_b64 exec, exec, s[46:47]
	v_add_co_u32_e32 v44, vcc, 0x500, v42
	v_addc_co_u32_e32 v45, vcc, 0, v43, vcc
	global_load_ubyte v86, v[44:45], off offset:8
	v_mov_b32_e32 v84, 0
	v_mov_b32_e32 v85, 0
	s_waitcnt vmcnt(0)
	v_cmp_ne_u16_e32 vcc, 0, v86
	s_and_saveexec_b64 s[46:47], vcc
	s_cbranch_execz .LBB215_155
; %bb.150:                              ;   in Loop: Header=BB215_14 Depth=1
	v_cmp_ne_u16_e32 vcc, s60, v86
	v_bfrev_b32_e32 v85, 1
	s_and_saveexec_b64 s[48:49], vcc
	s_cbranch_execz .LBB215_154
; %bb.151:                              ;   in Loop: Header=BB215_14 Depth=1
	v_and_b32_e32 v46, 0xffff, v86
	v_and_b32_e32 v87, 0x7f, v46
	v_cmp_ne_u32_e32 vcc, s61, v87
	v_mov_b32_e32 v85, 0x7f800001
	s_and_saveexec_b64 s[50:51], vcc
	s_cbranch_execz .LBB215_153
; %bb.152:                              ;   in Loop: Header=BB215_14 Depth=1
	v_and_b32_e32 v85, 7, v46
	v_ffbh_u32_e32 v88, v85
	v_min_u32_e32 v91, 32, v88
	v_subrev_u32_e32 v88, 28, v91
	v_lshlrev_b64 v[88:89], v88, v[46:47]
	v_lshrrev_b32_e32 v90, 3, v87
	v_sub_u32_e32 v46, 29, v91
	v_and_b32_e32 v88, 7, v88
	v_cmp_gt_u32_e32 vcc, 8, v87
	v_cndmask_b32_e32 v46, v90, v46, vcc
	v_cndmask_b32_e32 v85, v85, v88, vcc
	v_lshlrev_b32_e32 v86, 24, v86
	v_lshlrev_b32_e32 v85, 20, v85
	v_and_b32_e32 v86, 0x80000000, v86
	v_lshl_add_u32 v46, v46, 23, v58
	v_or3_b32 v85, v86, v46, v85
.LBB215_153:                            ;   in Loop: Header=BB215_14 Depth=1
	s_or_b64 exec, exec, s[50:51]
.LBB215_154:                            ;   in Loop: Header=BB215_14 Depth=1
	s_or_b64 exec, exec, s[48:49]
.LBB215_155:                            ;   in Loop: Header=BB215_14 Depth=1
	s_or_b64 exec, exec, s[46:47]
	global_load_ubyte v45, v[44:45], off offset:12
	s_waitcnt vmcnt(0)
	v_cmp_ne_u16_e32 vcc, 0, v45
	s_and_saveexec_b64 s[46:47], vcc
	s_cbranch_execz .LBB215_161
; %bb.156:                              ;   in Loop: Header=BB215_14 Depth=1
	v_cmp_ne_u16_e32 vcc, s60, v45
	v_bfrev_b32_e32 v84, 1
	s_and_saveexec_b64 s[48:49], vcc
	s_cbranch_execz .LBB215_160
; %bb.157:                              ;   in Loop: Header=BB215_14 Depth=1
	v_and_b32_e32 v44, 0xffff, v45
	v_and_b32_e32 v46, 0x7f, v44
	v_cmp_ne_u32_e32 vcc, s61, v46
	v_mov_b32_e32 v84, 0x7f800001
	s_and_saveexec_b64 s[50:51], vcc
	s_cbranch_execz .LBB215_159
; %bb.158:                              ;   in Loop: Header=BB215_14 Depth=1
	v_and_b32_e32 v84, 7, v44
	v_ffbh_u32_e32 v86, v84
	v_min_u32_e32 v89, 32, v86
	v_subrev_u32_e32 v86, 28, v89
	v_lshlrev_b64 v[86:87], v86, v[44:45]
	v_lshrrev_b32_e32 v88, 3, v46
	v_sub_u32_e32 v44, 29, v89
	v_and_b32_e32 v86, 7, v86
	v_cmp_gt_u32_e32 vcc, 8, v46
	v_cndmask_b32_e32 v44, v88, v44, vcc
	v_cndmask_b32_e32 v46, v84, v86, vcc
	v_lshlrev_b32_e32 v45, 24, v45
	v_lshlrev_b32_e32 v46, 20, v46
	v_and_b32_e32 v45, 0x80000000, v45
	v_lshl_add_u32 v44, v44, 23, v58
	v_or3_b32 v84, v45, v44, v46
.LBB215_159:                            ;   in Loop: Header=BB215_14 Depth=1
	s_or_b64 exec, exec, s[50:51]
.LBB215_160:                            ;   in Loop: Header=BB215_14 Depth=1
	s_or_b64 exec, exec, s[48:49]
.LBB215_161:                            ;   in Loop: Header=BB215_14 Depth=1
	s_or_b64 exec, exec, s[46:47]
	global_load_ubyte v45, v[42:43], off offset:1536
	v_mov_b32_e32 v86, 0
	v_mov_b32_e32 v87, 0
	s_waitcnt vmcnt(0)
	v_cmp_ne_u16_e32 vcc, 0, v45
	s_and_saveexec_b64 s[46:47], vcc
	s_cbranch_execz .LBB215_167
; %bb.162:                              ;   in Loop: Header=BB215_14 Depth=1
	v_cmp_ne_u16_e32 vcc, s60, v45
	v_bfrev_b32_e32 v87, 1
	s_and_saveexec_b64 s[48:49], vcc
	s_cbranch_execz .LBB215_166
; %bb.163:                              ;   in Loop: Header=BB215_14 Depth=1
	v_and_b32_e32 v44, 0xffff, v45
	v_and_b32_e32 v46, 0x7f, v44
	v_cmp_ne_u32_e32 vcc, s61, v46
	v_mov_b32_e32 v87, 0x7f800001
	s_and_saveexec_b64 s[50:51], vcc
	s_cbranch_execz .LBB215_165
; %bb.164:                              ;   in Loop: Header=BB215_14 Depth=1
	v_and_b32_e32 v87, 7, v44
	v_ffbh_u32_e32 v88, v87
	v_min_u32_e32 v91, 32, v88
	v_subrev_u32_e32 v88, 28, v91
	v_lshlrev_b64 v[88:89], v88, v[44:45]
	v_lshrrev_b32_e32 v90, 3, v46
	v_sub_u32_e32 v44, 29, v91
	v_and_b32_e32 v88, 7, v88
	v_cmp_gt_u32_e32 vcc, 8, v46
	v_cndmask_b32_e32 v44, v90, v44, vcc
	v_cndmask_b32_e32 v46, v87, v88, vcc
	v_lshlrev_b32_e32 v45, 24, v45
	v_lshlrev_b32_e32 v46, 20, v46
	v_and_b32_e32 v45, 0x80000000, v45
	v_lshl_add_u32 v44, v44, 23, v58
	v_or3_b32 v87, v45, v44, v46
.LBB215_165:                            ;   in Loop: Header=BB215_14 Depth=1
	s_or_b64 exec, exec, s[50:51]
.LBB215_166:                            ;   in Loop: Header=BB215_14 Depth=1
	s_or_b64 exec, exec, s[48:49]
.LBB215_167:                            ;   in Loop: Header=BB215_14 Depth=1
	s_or_b64 exec, exec, s[46:47]
	global_load_ubyte v45, v[42:43], off offset:1540
	s_waitcnt vmcnt(0)
	v_cmp_ne_u16_e32 vcc, 0, v45
	s_and_saveexec_b64 s[46:47], vcc
	s_cbranch_execz .LBB215_173
; %bb.168:                              ;   in Loop: Header=BB215_14 Depth=1
	v_cmp_ne_u16_e32 vcc, s60, v45
	v_bfrev_b32_e32 v86, 1
	s_and_saveexec_b64 s[48:49], vcc
	s_cbranch_execz .LBB215_172
; %bb.169:                              ;   in Loop: Header=BB215_14 Depth=1
	v_and_b32_e32 v44, 0xffff, v45
	v_and_b32_e32 v46, 0x7f, v44
	v_cmp_ne_u32_e32 vcc, s61, v46
	v_mov_b32_e32 v86, 0x7f800001
	s_and_saveexec_b64 s[50:51], vcc
	s_cbranch_execz .LBB215_171
; %bb.170:                              ;   in Loop: Header=BB215_14 Depth=1
	v_and_b32_e32 v86, 7, v44
	v_ffbh_u32_e32 v88, v86
	v_min_u32_e32 v91, 32, v88
	v_subrev_u32_e32 v88, 28, v91
	v_lshlrev_b64 v[88:89], v88, v[44:45]
	v_lshrrev_b32_e32 v90, 3, v46
	v_sub_u32_e32 v44, 29, v91
	v_and_b32_e32 v88, 7, v88
	v_cmp_gt_u32_e32 vcc, 8, v46
	v_cndmask_b32_e32 v44, v90, v44, vcc
	v_cndmask_b32_e32 v46, v86, v88, vcc
	v_lshlrev_b32_e32 v45, 24, v45
	v_lshlrev_b32_e32 v46, 20, v46
	v_and_b32_e32 v45, 0x80000000, v45
	v_lshl_add_u32 v44, v44, 23, v58
	v_or3_b32 v86, v45, v44, v46
.LBB215_171:                            ;   in Loop: Header=BB215_14 Depth=1
	s_or_b64 exec, exec, s[50:51]
.LBB215_172:                            ;   in Loop: Header=BB215_14 Depth=1
	s_or_b64 exec, exec, s[48:49]
.LBB215_173:                            ;   in Loop: Header=BB215_14 Depth=1
	s_or_b64 exec, exec, s[46:47]
	v_add_co_u32_e32 v44, vcc, 0x600, v42
	v_addc_co_u32_e32 v45, vcc, 0, v43, vcc
	global_load_ubyte v90, v[44:45], off offset:8
	v_mov_b32_e32 v88, 0
	v_mov_b32_e32 v89, 0
	s_waitcnt vmcnt(0)
	v_cmp_ne_u16_e32 vcc, 0, v90
	s_and_saveexec_b64 s[46:47], vcc
	s_cbranch_execz .LBB215_179
; %bb.174:                              ;   in Loop: Header=BB215_14 Depth=1
	v_cmp_ne_u16_e32 vcc, s60, v90
	v_bfrev_b32_e32 v89, 1
	s_and_saveexec_b64 s[48:49], vcc
	s_cbranch_execz .LBB215_178
; %bb.175:                              ;   in Loop: Header=BB215_14 Depth=1
	v_and_b32_e32 v46, 0xffff, v90
	v_and_b32_e32 v91, 0x7f, v46
	v_cmp_ne_u32_e32 vcc, s61, v91
	v_mov_b32_e32 v89, 0x7f800001
	s_and_saveexec_b64 s[50:51], vcc
	s_cbranch_execz .LBB215_177
; %bb.176:                              ;   in Loop: Header=BB215_14 Depth=1
	v_and_b32_e32 v89, 7, v46
	v_ffbh_u32_e32 v92, v89
	v_min_u32_e32 v95, 32, v92
	v_subrev_u32_e32 v92, 28, v95
	v_lshlrev_b64 v[92:93], v92, v[46:47]
	v_lshrrev_b32_e32 v94, 3, v91
	v_sub_u32_e32 v46, 29, v95
	v_and_b32_e32 v92, 7, v92
	v_cmp_gt_u32_e32 vcc, 8, v91
	v_cndmask_b32_e32 v46, v94, v46, vcc
	v_cndmask_b32_e32 v89, v89, v92, vcc
	v_lshlrev_b32_e32 v90, 24, v90
	v_lshlrev_b32_e32 v89, 20, v89
	v_and_b32_e32 v90, 0x80000000, v90
	v_lshl_add_u32 v46, v46, 23, v58
	v_or3_b32 v89, v90, v46, v89
.LBB215_177:                            ;   in Loop: Header=BB215_14 Depth=1
	s_or_b64 exec, exec, s[50:51]
.LBB215_178:                            ;   in Loop: Header=BB215_14 Depth=1
	s_or_b64 exec, exec, s[48:49]
.LBB215_179:                            ;   in Loop: Header=BB215_14 Depth=1
	s_or_b64 exec, exec, s[46:47]
	global_load_ubyte v45, v[44:45], off offset:12
	s_waitcnt vmcnt(0)
	v_cmp_ne_u16_e32 vcc, 0, v45
	s_and_saveexec_b64 s[46:47], vcc
	s_cbranch_execz .LBB215_185
; %bb.180:                              ;   in Loop: Header=BB215_14 Depth=1
	v_cmp_ne_u16_e32 vcc, s60, v45
	v_bfrev_b32_e32 v88, 1
	s_and_saveexec_b64 s[48:49], vcc
	s_cbranch_execz .LBB215_184
; %bb.181:                              ;   in Loop: Header=BB215_14 Depth=1
	v_and_b32_e32 v44, 0xffff, v45
	v_and_b32_e32 v46, 0x7f, v44
	v_cmp_ne_u32_e32 vcc, s61, v46
	v_mov_b32_e32 v88, 0x7f800001
	s_and_saveexec_b64 s[50:51], vcc
	s_cbranch_execz .LBB215_183
; %bb.182:                              ;   in Loop: Header=BB215_14 Depth=1
	v_and_b32_e32 v88, 7, v44
	v_ffbh_u32_e32 v90, v88
	v_min_u32_e32 v93, 32, v90
	v_subrev_u32_e32 v90, 28, v93
	v_lshlrev_b64 v[90:91], v90, v[44:45]
	v_lshrrev_b32_e32 v92, 3, v46
	v_sub_u32_e32 v44, 29, v93
	v_and_b32_e32 v90, 7, v90
	v_cmp_gt_u32_e32 vcc, 8, v46
	v_cndmask_b32_e32 v44, v92, v44, vcc
	v_cndmask_b32_e32 v46, v88, v90, vcc
	v_lshlrev_b32_e32 v45, 24, v45
	v_lshlrev_b32_e32 v46, 20, v46
	v_and_b32_e32 v45, 0x80000000, v45
	v_lshl_add_u32 v44, v44, 23, v58
	v_or3_b32 v88, v45, v44, v46
.LBB215_183:                            ;   in Loop: Header=BB215_14 Depth=1
	s_or_b64 exec, exec, s[50:51]
.LBB215_184:                            ;   in Loop: Header=BB215_14 Depth=1
	s_or_b64 exec, exec, s[48:49]
.LBB215_185:                            ;   in Loop: Header=BB215_14 Depth=1
	s_or_b64 exec, exec, s[46:47]
	global_load_ubyte v90, v[42:43], off offset:1792
	v_mov_b32_e32 v45, 0
	v_mov_b32_e32 v46, 0
	s_waitcnt vmcnt(0)
	v_cmp_ne_u16_e32 vcc, 0, v90
	s_and_saveexec_b64 s[46:47], vcc
	s_cbranch_execz .LBB215_191
; %bb.186:                              ;   in Loop: Header=BB215_14 Depth=1
	v_cmp_ne_u16_e32 vcc, s60, v90
	v_bfrev_b32_e32 v46, 1
	s_and_saveexec_b64 s[48:49], vcc
	s_cbranch_execz .LBB215_190
; %bb.187:                              ;   in Loop: Header=BB215_14 Depth=1
	v_and_b32_e32 v44, 0xffff, v90
	v_and_b32_e32 v91, 0x7f, v44
	v_cmp_ne_u32_e32 vcc, s61, v91
	v_mov_b32_e32 v46, 0x7f800001
	s_and_saveexec_b64 s[50:51], vcc
	s_cbranch_execz .LBB215_189
; %bb.188:                              ;   in Loop: Header=BB215_14 Depth=1
	v_and_b32_e32 v46, 7, v44
	v_ffbh_u32_e32 v92, v46
	v_min_u32_e32 v95, 32, v92
	v_subrev_u32_e32 v92, 28, v95
	v_lshlrev_b64 v[92:93], v92, v[44:45]
	v_lshrrev_b32_e32 v94, 3, v91
	v_sub_u32_e32 v44, 29, v95
	v_and_b32_e32 v92, 7, v92
	v_cmp_gt_u32_e32 vcc, 8, v91
	v_cndmask_b32_e32 v44, v94, v44, vcc
	v_cndmask_b32_e32 v46, v46, v92, vcc
	v_lshlrev_b32_e32 v90, 24, v90
	v_lshlrev_b32_e32 v46, 20, v46
	v_and_b32_e32 v90, 0x80000000, v90
	v_lshl_add_u32 v44, v44, 23, v58
	v_or3_b32 v46, v90, v44, v46
.LBB215_189:                            ;   in Loop: Header=BB215_14 Depth=1
	s_or_b64 exec, exec, s[50:51]
.LBB215_190:                            ;   in Loop: Header=BB215_14 Depth=1
	s_or_b64 exec, exec, s[48:49]
.LBB215_191:                            ;   in Loop: Header=BB215_14 Depth=1
	s_or_b64 exec, exec, s[46:47]
	global_load_ubyte v90, v[42:43], off offset:1796
	s_waitcnt vmcnt(0)
	v_cmp_ne_u16_e32 vcc, 0, v90
	s_and_saveexec_b64 s[46:47], vcc
	s_cbranch_execz .LBB215_197
; %bb.192:                              ;   in Loop: Header=BB215_14 Depth=1
	v_cmp_ne_u16_e32 vcc, s60, v90
	v_bfrev_b32_e32 v45, 1
	s_and_saveexec_b64 s[48:49], vcc
	s_cbranch_execz .LBB215_196
; %bb.193:                              ;   in Loop: Header=BB215_14 Depth=1
	v_and_b32_e32 v44, 0xffff, v90
	v_and_b32_e32 v91, 0x7f, v44
	v_cmp_ne_u32_e32 vcc, s61, v91
	v_mov_b32_e32 v45, 0x7f800001
	s_and_saveexec_b64 s[50:51], vcc
	s_cbranch_execz .LBB215_195
; %bb.194:                              ;   in Loop: Header=BB215_14 Depth=1
	v_and_b32_e32 v92, 7, v44
	v_ffbh_u32_e32 v45, v92
	v_min_u32_e32 v94, 32, v45
	v_subrev_u32_e32 v45, 28, v94
	v_lshlrev_b64 v[44:45], v45, v[44:45]
	v_lshrrev_b32_e32 v93, 3, v91
	v_sub_u32_e32 v45, 29, v94
	v_and_b32_e32 v44, 7, v44
	v_cmp_gt_u32_e32 vcc, 8, v91
	v_cndmask_b32_e32 v45, v93, v45, vcc
	v_cndmask_b32_e32 v44, v92, v44, vcc
	v_lshlrev_b32_e32 v90, 24, v90
	v_lshlrev_b32_e32 v44, 20, v44
	v_and_b32_e32 v90, 0x80000000, v90
	v_lshl_add_u32 v45, v45, 23, v58
	v_or3_b32 v45, v90, v45, v44
.LBB215_195:                            ;   in Loop: Header=BB215_14 Depth=1
	s_or_b64 exec, exec, s[50:51]
.LBB215_196:                            ;   in Loop: Header=BB215_14 Depth=1
	s_or_b64 exec, exec, s[48:49]
.LBB215_197:                            ;   in Loop: Header=BB215_14 Depth=1
	s_or_b64 exec, exec, s[46:47]
	v_add_co_u32_e32 v42, vcc, 0x700, v42
	v_addc_co_u32_e32 v43, vcc, 0, v43, vcc
	global_load_ubyte v92, v[42:43], off offset:8
	v_mov_b32_e32 v90, 0
	v_mov_b32_e32 v91, 0
	s_waitcnt vmcnt(0)
	v_cmp_ne_u16_e32 vcc, 0, v92
	s_and_saveexec_b64 s[46:47], vcc
	s_cbranch_execz .LBB215_203
; %bb.198:                              ;   in Loop: Header=BB215_14 Depth=1
	v_cmp_ne_u16_e32 vcc, s60, v92
	v_bfrev_b32_e32 v91, 1
	s_and_saveexec_b64 s[48:49], vcc
	s_cbranch_execz .LBB215_202
; %bb.199:                              ;   in Loop: Header=BB215_14 Depth=1
	v_and_b32_e32 v44, 0xffff, v92
	v_and_b32_e32 v93, 0x7f, v44
	v_cmp_ne_u32_e32 vcc, s61, v93
	v_mov_b32_e32 v91, 0x7f800001
	s_and_saveexec_b64 s[50:51], vcc
	s_cbranch_execz .LBB215_201
; %bb.200:                              ;   in Loop: Header=BB215_14 Depth=1
	v_and_b32_e32 v91, 7, v44
	v_ffbh_u32_e32 v94, v91
	v_min_u32_e32 v97, 32, v94
	v_subrev_u32_e32 v94, 28, v97
	v_lshlrev_b64 v[94:95], v94, v[44:45]
	v_lshrrev_b32_e32 v96, 3, v93
	v_sub_u32_e32 v44, 29, v97
	v_and_b32_e32 v94, 7, v94
	v_cmp_gt_u32_e32 vcc, 8, v93
	v_cndmask_b32_e32 v44, v96, v44, vcc
	v_cndmask_b32_e32 v91, v91, v94, vcc
	v_lshlrev_b32_e32 v92, 24, v92
	v_lshlrev_b32_e32 v91, 20, v91
	v_and_b32_e32 v92, 0x80000000, v92
	v_lshl_add_u32 v44, v44, 23, v58
	v_or3_b32 v91, v92, v44, v91
.LBB215_201:                            ;   in Loop: Header=BB215_14 Depth=1
	s_or_b64 exec, exec, s[50:51]
.LBB215_202:                            ;   in Loop: Header=BB215_14 Depth=1
	s_or_b64 exec, exec, s[48:49]
.LBB215_203:                            ;   in Loop: Header=BB215_14 Depth=1
	s_or_b64 exec, exec, s[46:47]
	global_load_ubyte v43, v[42:43], off offset:12
	s_waitcnt vmcnt(0)
	v_cmp_ne_u16_e32 vcc, 0, v43
	s_and_saveexec_b64 s[46:47], vcc
	s_cbranch_execz .LBB215_209
; %bb.204:                              ;   in Loop: Header=BB215_14 Depth=1
	v_cmp_ne_u16_e32 vcc, s60, v43
	v_bfrev_b32_e32 v90, 1
	s_and_saveexec_b64 s[48:49], vcc
	s_cbranch_execz .LBB215_208
; %bb.205:                              ;   in Loop: Header=BB215_14 Depth=1
	v_and_b32_e32 v42, 0xffff, v43
	v_and_b32_e32 v44, 0x7f, v42
	v_cmp_ne_u32_e32 vcc, s61, v44
	v_mov_b32_e32 v90, 0x7f800001
	s_and_saveexec_b64 s[50:51], vcc
	s_cbranch_execz .LBB215_207
; %bb.206:                              ;   in Loop: Header=BB215_14 Depth=1
	v_and_b32_e32 v90, 7, v42
	v_ffbh_u32_e32 v92, v90
	v_min_u32_e32 v95, 32, v92
	v_subrev_u32_e32 v92, 28, v95
	v_lshlrev_b64 v[92:93], v92, v[42:43]
	v_lshrrev_b32_e32 v94, 3, v44
	v_sub_u32_e32 v42, 29, v95
	v_and_b32_e32 v92, 7, v92
	v_cmp_gt_u32_e32 vcc, 8, v44
	v_cndmask_b32_e32 v42, v94, v42, vcc
	v_cndmask_b32_e32 v44, v90, v92, vcc
	v_lshlrev_b32_e32 v43, 24, v43
	v_lshlrev_b32_e32 v44, 20, v44
	v_and_b32_e32 v43, 0x80000000, v43
	v_lshl_add_u32 v42, v42, 23, v58
	v_or3_b32 v90, v43, v42, v44
.LBB215_207:                            ;   in Loop: Header=BB215_14 Depth=1
	s_or_b64 exec, exec, s[50:51]
.LBB215_208:                            ;   in Loop: Header=BB215_14 Depth=1
	s_or_b64 exec, exec, s[48:49]
.LBB215_209:                            ;   in Loop: Header=BB215_14 Depth=1
	s_or_b64 exec, exec, s[46:47]
	s_waitcnt lgkmcnt(0)
	v_mul_f32_e32 v61, s62, v61
	v_mul_f32_e32 v63, s62, v63
	v_mul_f32_e32 v31, v31, v61
	v_mul_f32_e32 v65, s62, v65
	v_fmac_f32_e32 v31, v30, v63
	v_mul_f32_e32 v64, s62, v64
	v_fmac_f32_e32 v31, v32, v65
	v_mul_f32_e32 v67, s62, v67
	;; [unrolled: 2-line block ×24, first 2 shown]
	v_mul_f32_e32 v46, s62, v89
	v_fmac_f32_e32 v31, v7, v86
	v_mul_f32_e32 v43, s62, v45
	v_mul_f32_e32 v45, s62, v88
	v_fmac_f32_e32 v31, v8, v46
	v_and_b32_e32 v88, 64, v59
	v_fmac_f32_e32 v31, v9, v45
	v_add_u32_e32 v88, 64, v88
	v_xor_b32_e32 v89, 2, v59
	v_fmac_f32_e32 v31, v2, v44
	v_mul_f32_e32 v42, s62, v91
	v_cmp_lt_i32_e32 vcc, v89, v88
	v_fmac_f32_e32 v31, v3, v43
	v_cndmask_b32_e32 v89, v59, v89, vcc
	v_mul_f32_e32 v90, s62, v90
	v_fmac_f32_e32 v31, v4, v42
	v_lshlrev_b32_e32 v89, 2, v89
	v_fmac_f32_e32 v31, v5, v90
	ds_bpermute_b32 v2, v89, v31
	v_xor_b32_e32 v3, 1, v59
	v_cmp_lt_i32_e32 vcc, v3, v88
	v_cndmask_b32_e32 v3, v59, v3, vcc
	v_lshlrev_b32_e32 v3, 2, v3
	s_waitcnt lgkmcnt(0)
	v_add_f32_e32 v2, v31, v2
	ds_bpermute_b32 v3, v3, v2
	s_and_saveexec_b64 s[46:47], s[2:3]
	s_cbranch_execz .LBB215_12
; %bb.210:                              ;   in Loop: Header=BB215_14 Depth=1
	v_add_u32_e32 v4, v56, v54
	v_cvt_f32_i32_e32 v4, v4
	s_waitcnt lgkmcnt(0)
	v_add_f32_e32 v2, v2, v3
	v_add_u32_e32 v5, v50, v54
	v_cmp_gt_i32_e32 vcc, s33, v5
	v_mul_f32_e32 v3, s56, v4
	v_cndmask_b32_e64 v3, 0, v3, s[4:5]
	v_fmac_f32_e32 v3, s43, v2
	v_cndmask_b32_e32 v2, 0, v3, vcc
	ds_write_b32 v55, v2
	v_max_f32_e32 v2, v52, v52
	v_max_f32_e32 v2, v2, v3
	v_cndmask_b32_e32 v52, v52, v2, vcc
	s_branch .LBB215_12
.LBB215_211:
	s_or_b64 exec, exec, s[44:45]
.LBB215_212:
	s_or_b64 exec, exec, s[14:15]
	v_mbcnt_hi_u32_b32 v2, -1, v49
	s_waitcnt lgkmcnt(0)
	v_and_b32_e32 v3, 64, v2
	v_add_u32_e32 v3, 64, v3
	v_xor_b32_e32 v4, 32, v2
	v_cmp_lt_i32_e32 vcc, v4, v3
	v_cndmask_b32_e32 v4, v2, v4, vcc
	v_lshlrev_b32_e32 v5, 2, v4
	ds_bpermute_b32 v4, v5, v52
	v_xor_b32_e32 v7, 16, v2
	v_max_f32_e32 v6, v52, v52
	v_cmp_lt_i32_e32 vcc, v7, v3
	v_xor_b32_e32 v8, 8, v2
	s_waitcnt lgkmcnt(0)
	v_max_f32_e32 v4, v4, v4
	v_max_f32_e32 v4, v6, v4
	v_cndmask_b32_e32 v6, v2, v7, vcc
	v_lshlrev_b32_e32 v6, 2, v6
	ds_bpermute_b32 v7, v6, v4
	v_cmp_lt_i32_e32 vcc, v8, v3
	v_and_b32_e32 v63, 63, v0
	s_waitcnt lgkmcnt(0)
	v_max_f32_e32 v7, v7, v7
	v_max_f32_e32 v4, v4, v7
	v_cndmask_b32_e32 v7, v2, v8, vcc
	v_lshlrev_b32_e32 v9, 2, v7
	ds_bpermute_b32 v7, v9, v4
	v_xor_b32_e32 v8, 4, v2
	v_cmp_lt_i32_e32 vcc, v8, v3
	s_waitcnt lgkmcnt(0)
	v_max_f32_e32 v7, v7, v7
	v_max_f32_e32 v4, v4, v7
	v_cndmask_b32_e32 v7, v2, v8, vcc
	v_lshlrev_b32_e32 v10, 2, v7
	ds_bpermute_b32 v8, v10, v4
	v_cmp_eq_u32_e32 vcc, 0, v63
	v_lshlrev_b32_e32 v7, 2, v48
	s_and_saveexec_b64 s[2:3], vcc
	s_cbranch_execz .LBB215_214
; %bb.213:
	s_waitcnt lgkmcnt(0)
	v_max_f32_e32 v8, v8, v8
	v_max_f32_e32 v4, v4, v4
	v_max_f32_e32 v4, v4, v8
	ds_write_b32 v7, v4 offset:512
.LBB215_214:
	s_or_b64 exec, exec, s[2:3]
	v_cmp_gt_u32_e64 s[2:3], 2, v63
	v_mov_b32_e32 v4, 0xff7fffff
	s_waitcnt lgkmcnt(0)
	v_lshlrev_b32_e32 v8, 2, v63
	s_barrier
	s_and_saveexec_b64 s[4:5], s[2:3]
	s_cbranch_execz .LBB215_216
; %bb.215:
	ds_read_b32 v4, v8 offset:512
.LBB215_216:
	s_or_b64 exec, exec, s[4:5]
	v_xor_b32_e32 v11, 1, v2
	v_cmp_lt_i32_e64 s[4:5], v11, v3
	v_cndmask_b32_e64 v11, v2, v11, s[4:5]
	v_lshlrev_b32_e32 v64, 2, v11
	s_waitcnt lgkmcnt(0)
	ds_bpermute_b32 v11, v64, v4
	v_max_f32_e32 v4, v4, v4
	s_sub_i32 s4, s54, s12
	s_lshl_b32 s4, s4, 4
	s_add_i32 s4, s4, s55
	s_waitcnt lgkmcnt(0)
	v_max_f32_e32 v11, v11, v11
	v_max_f32_e32 v4, v4, v11
	v_lshlrev_b32_e32 v11, 2, v2
	v_and_b32_e32 v11, 0x100, v11
	ds_bpermute_b32 v4, v11, v4
	s_min_i32 s43, s4, s33
	s_sub_i32 s12, s43, s55
	v_cmp_gt_i32_e64 s[4:5], s12, v0
	v_mov_b32_e32 v12, 0
	s_and_saveexec_b64 s[14:15], s[4:5]
	s_cbranch_execz .LBB215_220
; %bb.217:
	v_mov_b32_e32 v12, 0x210
	v_lshl_add_u32 v13, v0, 2, v12
	s_mov_b64 s[20:21], 0
	v_mov_b32_e32 v12, 0
	v_mov_b32_e32 v14, v0
.LBB215_218:                            ; =>This Inner Loop Header: Depth=1
	ds_read_b32 v15, v13
	v_add_u32_e32 v14, 0x80, v14
	v_cmp_le_i32_e64 s[10:11], s12, v14
	s_or_b64 s[20:21], s[10:11], s[20:21]
	s_waitcnt lgkmcnt(0)
	v_sub_f32_e32 v15, v15, v4
	v_mul_f32_e32 v15, 0x3fb8aa3b, v15
	v_exp_f32_e32 v15, v15
	ds_write_b32 v13, v15
	v_add_f32_e32 v12, v12, v15
	v_add_u32_e32 v13, 0x200, v13
	s_andn2_b64 exec, exec, s[20:21]
	s_cbranch_execnz .LBB215_218
; %bb.219:
	s_or_b64 exec, exec, s[20:21]
.LBB215_220:
	s_or_b64 exec, exec, s[14:15]
	ds_bpermute_b32 v5, v5, v12
	s_waitcnt lgkmcnt(0)
	v_add_f32_e32 v5, v12, v5
	ds_bpermute_b32 v6, v6, v5
	s_waitcnt lgkmcnt(0)
	v_add_f32_e32 v5, v5, v6
	ds_bpermute_b32 v6, v9, v5
	v_xor_b32_e32 v9, 2, v2
	v_cmp_lt_i32_e64 s[10:11], v9, v3
	v_cndmask_b32_e64 v2, v2, v9, s[10:11]
	v_lshlrev_b32_e32 v65, 2, v2
	s_waitcnt lgkmcnt(0)
	v_add_f32_e32 v5, v5, v6
	ds_bpermute_b32 v6, v10, v5
	s_waitcnt lgkmcnt(0)
	v_add_f32_e32 v3, v5, v6
	ds_bpermute_b32 v2, v65, v3
	;; [unrolled: 3-line block ×3, first 2 shown]
	s_waitcnt lgkmcnt(0)
	v_add_f32_e32 v2, v2, v3
	s_and_saveexec_b64 s[10:11], vcc
	s_cbranch_execz .LBB215_222
; %bb.221:
	ds_write_b32 v7, v2 offset:520
.LBB215_222:
	s_or_b64 exec, exec, s[10:11]
	s_waitcnt lgkmcnt(0)
	s_barrier
	s_and_saveexec_b64 s[10:11], s[2:3]
	s_cbranch_execz .LBB215_224
; %bb.223:
	ds_read_b32 v2, v8 offset:520
.LBB215_224:
	s_or_b64 exec, exec, s[10:11]
	s_waitcnt lgkmcnt(0)
	ds_bpermute_b32 v3, v64, v2
	s_waitcnt lgkmcnt(0)
	v_add_f32_e32 v2, v2, v3
	ds_bpermute_b32 v5, v11, v2
	s_and_saveexec_b64 s[2:3], s[4:5]
	s_cbranch_execz .LBB215_237
; %bb.225:
	s_waitcnt lgkmcnt(0)
	v_add_f32_e32 v2, 0x358637bd, v5
	v_div_scale_f32 v3, s[4:5], v2, v2, 1.0
	v_rcp_f32_e32 v6, v3
	v_div_scale_f32 v7, vcc, 1.0, v2, 1.0
	s_movk_i32 s4, 0x7f
	v_fma_f32 v8, -v3, v6, 1.0
	v_fmac_f32_e32 v6, v8, v6
	v_mul_f32_e32 v8, v7, v6
	v_fma_f32 v9, -v3, v8, v7
	v_fmac_f32_e32 v8, v9, v6
	v_fma_f32 v3, -v3, v8, v7
	v_div_fmas_f32 v3, v3, v6, v8
	v_div_fixup_f32 v2, v3, v2, 1.0
	v_xad_u32 v3, v0, -1, s43
	v_subrev_u32_e32 v6, s55, v3
	v_cmp_lt_u32_e32 vcc, s4, v6
	s_mov_b64 s[10:11], -1
	v_mov_b32_e32 v3, v0
	s_and_saveexec_b64 s[4:5], vcc
	s_cbranch_execz .LBB215_234
; %bb.226:
	v_lshrrev_b32_e32 v6, 7, v6
	v_add_u32_e32 v8, -1, v6
	v_lshrrev_b32_e32 v7, 1, v8
	v_mov_b32_e32 v3, v2
	v_add_u32_e32 v7, 1, v7
	v_cmp_lt_u32_e32 vcc, 13, v8
	v_mov_b32_e32 v10, 0
	s_and_saveexec_b64 s[10:11], vcc
	s_cbranch_execz .LBB215_230
; %bb.227:
	v_mov_b32_e32 v9, 0x210
	v_and_b32_e32 v8, -8, v7
	v_lshl_add_u32 v9, v0, 2, v9
	s_mov_b32 s20, 0
	s_mov_b64 s[14:15], 0
.LBB215_228:                            ; =>This Inner Loop Header: Depth=1
	ds_read2st64_b32 v[10:11], v9 offset1:2
	ds_read2st64_b32 v[12:13], v9 offset0:4 offset1:6
	ds_read2st64_b32 v[14:15], v9 offset0:8 offset1:10
	;; [unrolled: 1-line block ×3, first 2 shown]
	v_add_u32_e32 v8, -8, v8
	s_waitcnt lgkmcnt(3)
	v_pk_mul_f32 v[10:11], v[2:3], v[10:11]
	s_waitcnt lgkmcnt(2)
	v_pk_mul_f32 v[12:13], v[2:3], v[12:13]
	ds_write2st64_b32 v9, v10, v11 offset1:2
	ds_write2st64_b32 v9, v12, v13 offset0:4 offset1:6
	ds_read2st64_b32 v[12:13], v9 offset0:16 offset1:18
	s_waitcnt lgkmcnt(4)
	v_pk_mul_f32 v[10:11], v[2:3], v[14:15]
	ds_write2st64_b32 v9, v10, v11 offset0:8 offset1:10
	s_waitcnt lgkmcnt(4)
	v_pk_mul_f32 v[10:11], v[2:3], v[16:17]
	ds_write2st64_b32 v9, v10, v11 offset0:12 offset1:14
	ds_read2st64_b32 v[10:11], v9 offset0:20 offset1:22
	s_waitcnt lgkmcnt(3)
	v_pk_mul_f32 v[12:13], v[2:3], v[12:13]
	ds_read2st64_b32 v[14:15], v9 offset0:24 offset1:26
	ds_write2st64_b32 v9, v12, v13 offset0:16 offset1:18
	ds_read2st64_b32 v[12:13], v9 offset0:28 offset1:30
	s_waitcnt lgkmcnt(3)
	v_pk_mul_f32 v[10:11], v[2:3], v[10:11]
	ds_write2st64_b32 v9, v10, v11 offset0:20 offset1:22
	s_waitcnt lgkmcnt(3)
	v_pk_mul_f32 v[10:11], v[2:3], v[14:15]
	ds_write2st64_b32 v9, v10, v11 offset0:24 offset1:26
	s_waitcnt lgkmcnt(2)
	v_pk_mul_f32 v[10:11], v[2:3], v[12:13]
	s_add_i32 s20, s20, 16
	v_cmp_eq_u32_e32 vcc, 0, v8
	ds_write2st64_b32 v9, v10, v11 offset0:28 offset1:30
	v_add_u32_e32 v9, 0x2000, v9
	s_or_b64 s[14:15], vcc, s[14:15]
	v_mov_b32_e32 v10, s20
	s_andn2_b64 exec, exec, s[14:15]
	s_cbranch_execnz .LBB215_228
; %bb.229:
	s_or_b64 exec, exec, s[14:15]
.LBB215_230:
	s_or_b64 exec, exec, s[10:11]
	v_and_b32_e32 v7, 7, v7
	v_cmp_ne_u32_e32 vcc, 0, v7
	s_and_saveexec_b64 s[10:11], vcc
	s_cbranch_execz .LBB215_233
; %bb.231:
	v_lshlrev_b32_e32 v8, 9, v10
	s_movk_i32 s14, 0x210
	v_add3_u32 v8, v8, v47, s14
	s_mov_b64 s[14:15], 0
.LBB215_232:                            ; =>This Inner Loop Header: Depth=1
	ds_read2st64_b32 v[10:11], v8 offset1:2
	v_add_u32_e32 v7, -1, v7
	v_cmp_eq_u32_e32 vcc, 0, v7
	s_or_b64 s[14:15], vcc, s[14:15]
	s_waitcnt lgkmcnt(0)
	v_pk_mul_f32 v[10:11], v[2:3], v[10:11]
	ds_write2st64_b32 v8, v10, v11 offset1:2
	v_add_u32_e32 v8, 0x400, v8
	s_andn2_b64 exec, exec, s[14:15]
	s_cbranch_execnz .LBB215_232
.LBB215_233:
	s_or_b64 exec, exec, s[10:11]
	v_add_u32_e32 v6, 1, v6
	v_and_b32_e32 v7, 0x3fffffe, v6
	v_cmp_ne_u32_e32 vcc, v6, v7
	v_lshl_add_u32 v3, v7, 7, v0
	s_orn2_b64 s[10:11], vcc, exec
.LBB215_234:
	s_or_b64 exec, exec, s[4:5]
	s_and_b64 exec, exec, s[10:11]
	s_cbranch_execz .LBB215_237
; %bb.235:
	v_mov_b32_e32 v6, 0x210
	v_lshl_add_u32 v6, v3, 2, v6
	s_mov_b64 s[4:5], 0
.LBB215_236:                            ; =>This Inner Loop Header: Depth=1
	ds_read_b32 v7, v6
	v_add_u32_e32 v3, 0x80, v3
	v_cmp_le_i32_e32 vcc, s12, v3
	s_or_b64 s[4:5], vcc, s[4:5]
	s_waitcnt lgkmcnt(0)
	v_mul_f32_e32 v7, v2, v7
	ds_write_b32 v6, v7
	v_add_u32_e32 v6, 0x200, v6
	s_andn2_b64 exec, exec, s[4:5]
	s_cbranch_execnz .LBB215_236
.LBB215_237:
	s_or_b64 exec, exec, s[2:3]
	s_mul_i32 s2, s29, s34
	v_cmp_eq_u32_e32 vcc, 0, v0
	s_mul_i32 s2, s2, s9
	s_waitcnt lgkmcnt(0)
	s_barrier
	s_and_saveexec_b64 s[4:5], vcc
	s_cbranch_execz .LBB215_239
; %bb.238:
	s_ashr_i32 s3, s2, 31
	s_lshl_b64 s[10:11], s[2:3], 2
	s_add_u32 s3, s26, s10
	s_mul_i32 s14, s29, s6
	s_addc_u32 s9, s27, s11
	s_ashr_i32 s15, s14, 31
	s_lshl_b64 s[14:15], s[14:15], 2
	s_add_u32 s3, s3, s14
	s_addc_u32 s6, s9, s15
	s_ashr_i32 s9, s8, 31
	s_lshl_b64 s[20:21], s[8:9], 2
	s_add_u32 s26, s3, s20
	s_addc_u32 s27, s6, s21
	s_add_u32 s3, s24, s10
	s_addc_u32 s6, s25, s11
	;; [unrolled: 2-line block ×3, first 2 shown]
	s_add_u32 s10, s3, s20
	v_mov_b32_e32 v2, 0
	s_addc_u32 s11, s6, s21
	global_store_dword v2, v4, s[26:27]
	global_store_dword v2, v5, s[10:11]
.LBB215_239:
	s_or_b64 exec, exec, s[4:5]
	s_mov_b32 s12, 0
	v_mov_b32_e32 v9, 0
	v_mov_b32_e32 v8, 0
	v_mov_b32_e32 v7, 0
	v_mov_b32_e32 v6, 0
	v_mov_b32_e32 v5, 0
	v_mov_b32_e32 v4, 0
	v_mov_b32_e32 v3, 0
	v_mov_b32_e32 v2, 0
	s_and_saveexec_b64 s[4:5], s[0:1]
	s_cbranch_execz .LBB215_453
; %bb.240:
	s_sub_i32 s3, s16, s17
	s_ashr_i32 s0, s19, 31
	s_add_u32 s1, s40, s19
	s_addc_u32 s0, s41, s0
	s_abs_i32 s9, s18
	v_cvt_f32_u32_e32 v2, s9
	s_sub_i32 s6, 0, s9
	v_and_b32_e32 v3, 0xfc, v47
	s_add_i32 s27, s7, -1
	v_rcp_iflag_f32_e32 v2, v2
	v_mov_b32_e32 v4, s0
	v_add_co_u32_e32 v14, vcc, s1, v3
	v_mul_f32_e32 v2, 0x4f7ffffe, v2
	v_cvt_u32_f32_e32 v2, v2
	s_lshl_b64 s[0:1], s[38:39], 2
	v_addc_co_u32_e32 v15, vcc, 0, v4, vcc
	v_mul_lo_u32 v5, s6, v2
	v_mul_hi_u32 v5, v2, v5
	v_add_u32_e32 v67, v2, v5
	v_lshlrev_b64 v[2:3], 2, v[36:37]
	s_add_u32 s0, s36, s0
	s_addc_u32 s1, s37, s1
	v_add_co_u32_e32 v16, vcc, s0, v2
	v_lshlrev_b32_e32 v2, 4, v34
	s_mov_b32 s26, s13
	v_mov_b32_e32 v4, s1
	v_lshl_or_b32 v2, v48, 6, v2
	s_mov_b32 s13, s12
	v_addc_co_u32_e32 v17, vcc, v4, v3, vcc
	v_add_u32_e32 v37, 0x210, v2
	s_mov_b32 s14, s12
	s_mov_b32 s15, s12
	;; [unrolled: 1-line block ×6, first 2 shown]
	v_pk_mov_b32 v[2:3], s[12:13], s[12:13] op_sel:[0,1]
	v_and_b32_e32 v66, 12, v47
	s_mov_b64 s[6:7], 0
	v_pk_mov_b32 v[4:5], s[14:15], s[14:15] op_sel:[0,1]
	v_pk_mov_b32 v[6:7], s[16:17], s[16:17] op_sel:[0,1]
	;; [unrolled: 1-line block ×3, first 2 shown]
	s_movk_i32 s34, 0x80
	s_movk_i32 s36, 0x7f
	v_mov_b32_e32 v19, 0
	s_brev_b32 s13, 1
	s_mov_b32 s11, 0x7f800001
	s_mov_b32 s37, 0xffffff
	v_bfrev_b32_e32 v68, 60
	v_mov_b32_e32 v69, 7
	v_mov_b32_e32 v70, 24
	s_branch .LBB215_243
.LBB215_241:                            ;   in Loop: Header=BB215_243 Depth=1
	s_or_b64 exec, exec, s[0:1]
	v_mul_f32_e32 v18, v11, v21
	v_fmac_f32_e32 v18, v10, v20
	v_fmac_f32_e32 v18, v12, v22
	v_fmac_f32_e32 v18, v13, v23
	v_add_f32_e32 v2, v2, v18
	v_mul_f32_e32 v18, v11, v27
	v_fmac_f32_e32 v18, v10, v26
	v_fmac_f32_e32 v18, v12, v28
	v_fmac_f32_e32 v18, v13, v29
	v_add_f32_e32 v3, v3, v18
	;; [unrolled: 5-line block ×6, first 2 shown]
	v_mul_f32_e32 v18, v11, v51
	v_mul_f32_e32 v11, v11, v25
	v_fmac_f32_e32 v18, v10, v50
	v_fmac_f32_e32 v11, v10, v24
	;; [unrolled: 1-line block ×6, first 2 shown]
	v_add_f32_e32 v8, v8, v18
	v_add_f32_e32 v9, v9, v11
.LBB215_242:                            ;   in Loop: Header=BB215_243 Depth=1
	s_or_b64 exec, exec, s[14:15]
	v_add_co_u32_e32 v16, vcc, 8, v16
	v_add_u32_e32 v36, 2, v36
	v_addc_co_u32_e32 v17, vcc, 0, v17, vcc
	v_cmp_le_i32_e32 vcc, s54, v36
	v_add_u32_e32 v62, 32, v62
	s_or_b64 s[6:7], vcc, s[6:7]
	v_add_u32_e32 v37, 0x80, v37
	s_andn2_b64 exec, exec, s[6:7]
	s_cbranch_execz .LBB215_452
.LBB215_243:                            ; =>This Inner Loop Header: Depth=1
	v_sub_u32_e32 v11, 0, v62
	v_max_i32_e32 v11, v62, v11
	v_mul_hi_u32 v12, v11, s52
	v_mul_lo_u32 v13, v12, s35
	v_sub_u32_e32 v11, v11, v13
	v_add_u32_e32 v13, 1, v12
	v_cmp_le_u32_e32 vcc, s35, v11
	v_cndmask_b32_e32 v12, v12, v13, vcc
	v_subrev_u32_e32 v13, s35, v11
	v_cndmask_b32_e32 v11, v11, v13, vcc
	v_ashrrev_i32_e32 v10, 31, v62
	v_add_u32_e32 v13, 1, v12
	v_cmp_le_u32_e32 vcc, s35, v11
	v_xor_b32_e32 v10, s53, v10
	v_cndmask_b32_e32 v11, v12, v13, vcc
	v_xor_b32_e32 v11, v11, v10
	v_sub_u32_e32 v10, v11, v10
	v_add_u32_e32 v11, s42, v10
	v_sub_u32_e32 v13, 0, v11
	v_ashrrev_i32_e32 v12, 31, v11
	v_max_i32_e32 v11, v11, v13
	v_mul_hi_u32 v13, v11, v67
	v_mul_lo_u32 v13, v13, s9
	v_sub_u32_e32 v11, v11, v13
	v_subrev_u32_e32 v13, s9, v11
	v_cmp_le_u32_e32 vcc, s9, v11
	v_cndmask_b32_e32 v11, v11, v13, vcc
	v_subrev_u32_e32 v13, s9, v11
	v_cmp_le_u32_e32 vcc, s9, v11
	v_cndmask_b32_e32 v11, v11, v13, vcc
	v_xor_b32_e32 v11, v11, v12
	v_sub_u32_e32 v11, v11, v12
	v_cmp_eq_u32_e32 vcc, 0, v11
	v_cmp_lt_i32_e64 s[0:1], s3, v10
	s_or_b64 s[0:1], vcc, s[0:1]
	s_and_saveexec_b64 s[14:15], s[0:1]
	s_cbranch_execz .LBB215_242
; %bb.244:                              ;   in Loop: Header=BB215_243 Depth=1
	global_load_dword v10, v[16:17], off
	s_load_dword s16, s[22:23], 0x0
	v_pk_mov_b32 v[26:27], 0, 0
	v_pk_mov_b32 v[22:23], v[26:27], v[26:27] op_sel:[0,1]
	s_waitcnt vmcnt(0)
	v_mad_i64_i32 v[24:25], s[0:1], v10, s26, v[14:15]
	global_load_dword v20, v[24:25], off
	ds_read_b128 v[10:13], v37
	s_waitcnt vmcnt(0)
	v_cmp_ne_u16_sdwa s[18:19], v20, v19 src0_sel:BYTE_0 src1_sel:DWORD
	s_and_saveexec_b64 s[0:1], s[18:19]
	s_cbranch_execz .LBB215_250
; %bb.245:                              ;   in Loop: Header=BB215_243 Depth=1
	v_bfrev_b32_e32 v22, 1
	v_cmp_ne_u16_sdwa s[20:21], v20, s34 src0_sel:BYTE_0 src1_sel:DWORD
	v_mov_b32_e32 v23, 0
	s_and_saveexec_b64 s[18:19], s[20:21]
	s_cbranch_execz .LBB215_249
; %bb.246:                              ;   in Loop: Header=BB215_243 Depth=1
	v_and_b32_e32 v18, 0x7f, v20
	v_mov_b32_e32 v22, 0x7f800001
	v_cmp_ne_u32_e32 vcc, s36, v18
	v_mov_b32_e32 v23, 0
	s_and_saveexec_b64 s[20:21], vcc
	s_cbranch_execz .LBB215_248
; %bb.247:                              ;   in Loop: Header=BB215_243 Depth=1
	v_and_b32_e32 v21, 7, v20
	v_ffbh_u32_e32 v22, v21
	v_min_u32_e32 v29, 32, v22
	v_subrev_u32_e32 v22, 28, v29
	v_lshlrev_b64 v[22:23], v22, v[20:21]
	v_lshrrev_b32_e32 v28, 3, v18
	v_sub_u32_e32 v23, 29, v29
	v_and_b32_e32 v22, 7, v22
	v_cmp_gt_u32_e32 vcc, 8, v18
	v_cndmask_b32_e32 v18, v28, v23, vcc
	v_cndmask_b32_e32 v21, v21, v22, vcc
	v_lshlrev_b32_e32 v21, 20, v21
	v_and_b32_sdwa v22, sext(v20), s13 dst_sel:DWORD dst_unused:UNUSED_PAD src0_sel:BYTE_0 src1_sel:DWORD
	v_lshl_add_u32 v18, v18, 23, v68
	v_or3_b32 v18, v22, v18, v21
	v_pk_mov_b32 v[22:23], v[18:19], v[18:19] op_sel:[0,1]
.LBB215_248:                            ;   in Loop: Header=BB215_243 Depth=1
	s_or_b64 exec, exec, s[20:21]
.LBB215_249:                            ;   in Loop: Header=BB215_243 Depth=1
	s_or_b64 exec, exec, s[18:19]
.LBB215_250:                            ;   in Loop: Header=BB215_243 Depth=1
	s_or_b64 exec, exec, s[0:1]
	v_cmp_ne_u16_sdwa s[18:19], v20, v19 src0_sel:BYTE_1 src1_sel:DWORD
	s_and_saveexec_b64 s[0:1], s[18:19]
	s_cbranch_execz .LBB215_256
; %bb.251:                              ;   in Loop: Header=BB215_243 Depth=1
	v_cmp_ne_u16_sdwa s[20:21], v20, s34 src0_sel:BYTE_1 src1_sel:DWORD
	v_pk_mov_b32 v[26:27], s[12:13], s[12:13] op_sel:[0,1]
	s_and_saveexec_b64 s[18:19], s[20:21]
	s_cbranch_execz .LBB215_255
; %bb.252:                              ;   in Loop: Header=BB215_243 Depth=1
	v_and_b32_sdwa v21, v20, s36 dst_sel:DWORD dst_unused:UNUSED_PAD src0_sel:BYTE_1 src1_sel:DWORD
	s_mov_b32 s10, s12
	v_cmp_ne_u32_e32 vcc, s36, v21
	v_pk_mov_b32 v[26:27], s[10:11], s[10:11] op_sel:[0,1]
	s_and_saveexec_b64 s[20:21], vcc
	s_cbranch_execz .LBB215_254
; %bb.253:                              ;   in Loop: Header=BB215_243 Depth=1
	v_and_b32_sdwa v18, v20, v69 dst_sel:DWORD dst_unused:UNUSED_PAD src0_sel:BYTE_1 src1_sel:DWORD
	v_ffbh_u32_e32 v26, v18
	v_min_u32_e32 v29, 32, v26
	v_subrev_u32_e32 v26, 28, v29
	v_lshlrev_b64 v[26:27], v26, v[18:19]
	v_lshrrev_b32_e32 v28, 3, v21
	v_sub_u32_e32 v27, 29, v29
	v_cmp_gt_u32_e32 vcc, 8, v21
	v_and_b32_e32 v26, 7, v26
	v_cndmask_b32_e32 v21, v28, v27, vcc
	v_cndmask_b32_e32 v18, v18, v26, vcc
	v_lshlrev_b32_e32 v26, 16, v20
	v_lshl_add_u32 v21, v21, 23, v68
	v_and_or_b32 v21, v26, s13, v21
	v_lshlrev_b32_e32 v18, 20, v18
	v_or_b32_e32 v27, v21, v18
	v_mov_b32_e32 v26, v19
.LBB215_254:                            ;   in Loop: Header=BB215_243 Depth=1
	s_or_b64 exec, exec, s[20:21]
.LBB215_255:                            ;   in Loop: Header=BB215_243 Depth=1
	s_or_b64 exec, exec, s[18:19]
.LBB215_256:                            ;   in Loop: Header=BB215_243 Depth=1
	s_or_b64 exec, exec, s[0:1]
	v_lshrrev_b32_e32 v18, 16, v20
	v_pk_mov_b32 v[30:31], 0, 0
	v_cmp_ne_u16_sdwa s[18:19], v18, v19 src0_sel:BYTE_0 src1_sel:DWORD
	v_pk_mov_b32 v[28:29], v[30:31], v[30:31] op_sel:[0,1]
	s_and_saveexec_b64 s[0:1], s[18:19]
	s_cbranch_execz .LBB215_262
; %bb.257:                              ;   in Loop: Header=BB215_243 Depth=1
	v_bfrev_b32_e32 v28, 1
	v_cmp_ne_u16_sdwa s[20:21], v18, s34 src0_sel:BYTE_0 src1_sel:DWORD
	v_mov_b32_e32 v29, 0
	s_and_saveexec_b64 s[18:19], s[20:21]
	s_cbranch_execz .LBB215_261
; %bb.258:                              ;   in Loop: Header=BB215_243 Depth=1
	v_bfe_u32 v21, v20, 16, 7
	v_mov_b32_e32 v28, 0x7f800001
	v_cmp_ne_u32_e32 vcc, s36, v21
	v_mov_b32_e32 v29, 0
	s_and_saveexec_b64 s[20:21], vcc
	s_cbranch_execz .LBB215_260
; %bb.259:                              ;   in Loop: Header=BB215_243 Depth=1
	v_and_b32_e32 v32, 7, v18
	v_ffbh_u32_e32 v28, v32
	v_min_u32_e32 v38, 32, v28
	v_subrev_u32_e32 v28, 28, v38
	v_lshlrev_b64 v[28:29], v28, v[18:19]
	v_lshrrev_b32_e32 v33, 3, v21
	v_sub_u32_e32 v29, 29, v38
	v_and_b32_e32 v28, 7, v28
	v_cmp_gt_u32_e32 vcc, 8, v21
	v_cndmask_b32_e32 v21, v33, v29, vcc
	v_cndmask_b32_e32 v28, v32, v28, vcc
	v_lshlrev_b32_e32 v28, 20, v28
	v_and_b32_sdwa v18, sext(v18), s13 dst_sel:DWORD dst_unused:UNUSED_PAD src0_sel:BYTE_0 src1_sel:DWORD
	v_lshl_add_u32 v21, v21, 23, v68
	v_or3_b32 v18, v18, v21, v28
	v_pk_mov_b32 v[28:29], v[18:19], v[18:19] op_sel:[0,1]
.LBB215_260:                            ;   in Loop: Header=BB215_243 Depth=1
	s_or_b64 exec, exec, s[20:21]
.LBB215_261:                            ;   in Loop: Header=BB215_243 Depth=1
	s_or_b64 exec, exec, s[18:19]
.LBB215_262:                            ;   in Loop: Header=BB215_243 Depth=1
	s_or_b64 exec, exec, s[0:1]
	v_cmp_lt_u32_e32 vcc, s37, v20
	s_and_saveexec_b64 s[0:1], vcc
	s_cbranch_execz .LBB215_268
; %bb.263:                              ;   in Loop: Header=BB215_243 Depth=1
	v_cmp_ne_u32_sdwa s[20:21], v20, s34 src0_sel:BYTE_3 src1_sel:DWORD
	v_pk_mov_b32 v[30:31], s[12:13], s[12:13] op_sel:[0,1]
	s_and_saveexec_b64 s[18:19], s[20:21]
	s_cbranch_execz .LBB215_267
; %bb.264:                              ;   in Loop: Header=BB215_243 Depth=1
	v_bfe_u32 v21, v20, 24, 7
	s_mov_b32 s10, s12
	v_cmp_ne_u32_e32 vcc, s36, v21
	v_pk_mov_b32 v[30:31], s[10:11], s[10:11] op_sel:[0,1]
	s_and_saveexec_b64 s[20:21], vcc
	s_cbranch_execz .LBB215_266
; %bb.265:                              ;   in Loop: Header=BB215_243 Depth=1
	v_and_b32_sdwa v18, v20, v69 dst_sel:DWORD dst_unused:UNUSED_PAD src0_sel:BYTE_3 src1_sel:DWORD
	v_ffbh_u32_e32 v30, v18
	v_min_u32_e32 v33, 32, v30
	v_subrev_u32_e32 v30, 28, v33
	v_lshlrev_b64 v[30:31], v30, v[18:19]
	v_lshrrev_b32_e32 v32, 3, v21
	v_sub_u32_e32 v31, 29, v33
	v_cmp_gt_u32_e32 vcc, 8, v21
	v_and_b32_e32 v30, 7, v30
	v_cndmask_b32_e32 v21, v32, v31, vcc
	v_cndmask_b32_e32 v18, v18, v30, vcc
	v_lshlrev_b32_sdwa v20, v70, v20 dst_sel:DWORD dst_unused:UNUSED_PAD src0_sel:DWORD src1_sel:BYTE_3
	v_lshl_add_u32 v21, v21, 23, v68
	v_and_or_b32 v20, v20, s13, v21
	v_lshlrev_b32_e32 v18, 20, v18
	v_or_b32_e32 v31, v20, v18
	v_mov_b32_e32 v30, v19
.LBB215_266:                            ;   in Loop: Header=BB215_243 Depth=1
	s_or_b64 exec, exec, s[20:21]
.LBB215_267:                            ;   in Loop: Header=BB215_243 Depth=1
	s_or_b64 exec, exec, s[18:19]
.LBB215_268:                            ;   in Loop: Header=BB215_243 Depth=1
	s_or_b64 exec, exec, s[0:1]
	v_add_u32_e32 v71, v66, v62
	v_or_b32_e32 v21, v27, v23
	v_or_b32_e32 v20, v26, v22
	;; [unrolled: 1-line block ×4, first 2 shown]
	v_cmp_eq_u32_e32 vcc, s27, v36
	s_waitcnt lgkmcnt(0)
	v_pk_mul_f32 v[20:21], s[16:17], v[20:21] op_sel_hi:[0,1]
	v_pk_mul_f32 v[22:23], s[16:17], v[22:23] op_sel_hi:[0,1]
	v_add_u32_e32 v74, 1, v71
	v_add_u32_e32 v73, 2, v71
	;; [unrolled: 1-line block ×3, first 2 shown]
	s_and_saveexec_b64 s[18:19], vcc
; %bb.269:                              ;   in Loop: Header=BB215_243 Depth=1
	v_cmp_gt_i32_e64 s[0:1], s33, v71
	v_cndmask_b32_e64 v20, 0, v20, s[0:1]
	v_cmp_gt_i32_e64 s[0:1], s33, v74
	v_cndmask_b32_e64 v21, 0, v21, s[0:1]
	;; [unrolled: 2-line block ×4, first 2 shown]
; %bb.270:                              ;   in Loop: Header=BB215_243 Depth=1
	s_or_b64 exec, exec, s[18:19]
	global_load_dword v26, v[24:25], off offset:256
	v_pk_mov_b32 v[30:31], 0, 0
	v_pk_mov_b32 v[28:29], v[30:31], v[30:31] op_sel:[0,1]
	s_waitcnt vmcnt(0)
	v_cmp_ne_u16_sdwa s[0:1], v26, v19 src0_sel:BYTE_0 src1_sel:DWORD
	s_and_saveexec_b64 s[18:19], s[0:1]
	s_cbranch_execz .LBB215_276
; %bb.271:                              ;   in Loop: Header=BB215_243 Depth=1
	v_bfrev_b32_e32 v28, 1
	v_cmp_ne_u16_sdwa s[0:1], v26, s34 src0_sel:BYTE_0 src1_sel:DWORD
	v_mov_b32_e32 v29, 0
	s_and_saveexec_b64 s[20:21], s[0:1]
	s_cbranch_execz .LBB215_275
; %bb.272:                              ;   in Loop: Header=BB215_243 Depth=1
	v_and_b32_e32 v18, 0x7f, v26
	v_mov_b32_e32 v28, 0x7f800001
	v_cmp_ne_u32_e64 s[0:1], s36, v18
	v_mov_b32_e32 v29, 0
	s_and_saveexec_b64 s[24:25], s[0:1]
	s_cbranch_execz .LBB215_274
; %bb.273:                              ;   in Loop: Header=BB215_243 Depth=1
	v_and_b32_e32 v27, 7, v26
	v_ffbh_u32_e32 v28, v27
	v_min_u32_e32 v33, 32, v28
	v_subrev_u32_e32 v28, 28, v33
	v_lshlrev_b64 v[28:29], v28, v[26:27]
	v_lshrrev_b32_e32 v32, 3, v18
	v_sub_u32_e32 v29, 29, v33
	v_and_b32_e32 v28, 7, v28
	v_cmp_gt_u32_e64 s[0:1], 8, v18
	v_cndmask_b32_e64 v18, v32, v29, s[0:1]
	v_cndmask_b32_e64 v27, v27, v28, s[0:1]
	v_lshlrev_b32_e32 v27, 20, v27
	v_and_b32_sdwa v28, sext(v26), s13 dst_sel:DWORD dst_unused:UNUSED_PAD src0_sel:BYTE_0 src1_sel:DWORD
	v_lshl_add_u32 v18, v18, 23, v68
	v_or3_b32 v18, v28, v18, v27
	v_pk_mov_b32 v[28:29], v[18:19], v[18:19] op_sel:[0,1]
.LBB215_274:                            ;   in Loop: Header=BB215_243 Depth=1
	s_or_b64 exec, exec, s[24:25]
.LBB215_275:                            ;   in Loop: Header=BB215_243 Depth=1
	s_or_b64 exec, exec, s[20:21]
.LBB215_276:                            ;   in Loop: Header=BB215_243 Depth=1
	s_or_b64 exec, exec, s[18:19]
	v_cmp_ne_u16_sdwa s[0:1], v26, v19 src0_sel:BYTE_1 src1_sel:DWORD
	s_and_saveexec_b64 s[18:19], s[0:1]
	s_cbranch_execz .LBB215_282
; %bb.277:                              ;   in Loop: Header=BB215_243 Depth=1
	v_cmp_ne_u16_sdwa s[0:1], v26, s34 src0_sel:BYTE_1 src1_sel:DWORD
	v_pk_mov_b32 v[30:31], s[12:13], s[12:13] op_sel:[0,1]
	s_and_saveexec_b64 s[20:21], s[0:1]
	s_cbranch_execz .LBB215_281
; %bb.278:                              ;   in Loop: Header=BB215_243 Depth=1
	v_and_b32_sdwa v27, v26, s36 dst_sel:DWORD dst_unused:UNUSED_PAD src0_sel:BYTE_1 src1_sel:DWORD
	s_mov_b32 s10, s12
	v_cmp_ne_u32_e64 s[0:1], s36, v27
	v_pk_mov_b32 v[30:31], s[10:11], s[10:11] op_sel:[0,1]
	s_and_saveexec_b64 s[24:25], s[0:1]
	s_cbranch_execz .LBB215_280
; %bb.279:                              ;   in Loop: Header=BB215_243 Depth=1
	v_and_b32_sdwa v18, v26, v69 dst_sel:DWORD dst_unused:UNUSED_PAD src0_sel:BYTE_1 src1_sel:DWORD
	v_ffbh_u32_e32 v30, v18
	v_min_u32_e32 v33, 32, v30
	v_subrev_u32_e32 v30, 28, v33
	v_lshlrev_b64 v[30:31], v30, v[18:19]
	v_lshrrev_b32_e32 v32, 3, v27
	v_sub_u32_e32 v31, 29, v33
	v_cmp_gt_u32_e64 s[0:1], 8, v27
	v_and_b32_e32 v30, 7, v30
	v_cndmask_b32_e64 v27, v32, v31, s[0:1]
	v_cndmask_b32_e64 v18, v18, v30, s[0:1]
	v_lshlrev_b32_e32 v30, 16, v26
	v_lshl_add_u32 v27, v27, 23, v68
	v_and_or_b32 v27, v30, s13, v27
	v_lshlrev_b32_e32 v18, 20, v18
	v_or_b32_e32 v31, v27, v18
	v_mov_b32_e32 v30, v19
.LBB215_280:                            ;   in Loop: Header=BB215_243 Depth=1
	s_or_b64 exec, exec, s[24:25]
.LBB215_281:                            ;   in Loop: Header=BB215_243 Depth=1
	s_or_b64 exec, exec, s[20:21]
.LBB215_282:                            ;   in Loop: Header=BB215_243 Depth=1
	s_or_b64 exec, exec, s[18:19]
	v_lshrrev_b32_e32 v18, 16, v26
	v_pk_mov_b32 v[38:39], 0, 0
	v_cmp_ne_u16_sdwa s[0:1], v18, v19 src0_sel:BYTE_0 src1_sel:DWORD
	v_pk_mov_b32 v[32:33], v[38:39], v[38:39] op_sel:[0,1]
	s_and_saveexec_b64 s[18:19], s[0:1]
	s_cbranch_execz .LBB215_288
; %bb.283:                              ;   in Loop: Header=BB215_243 Depth=1
	v_bfrev_b32_e32 v32, 1
	v_cmp_ne_u16_sdwa s[0:1], v18, s34 src0_sel:BYTE_0 src1_sel:DWORD
	v_mov_b32_e32 v33, 0
	s_and_saveexec_b64 s[20:21], s[0:1]
	s_cbranch_execz .LBB215_287
; %bb.284:                              ;   in Loop: Header=BB215_243 Depth=1
	v_bfe_u32 v27, v26, 16, 7
	v_mov_b32_e32 v32, 0x7f800001
	v_cmp_ne_u32_e64 s[0:1], s36, v27
	v_mov_b32_e32 v33, 0
	s_and_saveexec_b64 s[24:25], s[0:1]
	s_cbranch_execz .LBB215_286
; %bb.285:                              ;   in Loop: Header=BB215_243 Depth=1
	v_and_b32_e32 v40, 7, v18
	v_ffbh_u32_e32 v32, v40
	v_min_u32_e32 v42, 32, v32
	v_subrev_u32_e32 v32, 28, v42
	v_lshlrev_b64 v[32:33], v32, v[18:19]
	v_lshrrev_b32_e32 v41, 3, v27
	v_sub_u32_e32 v33, 29, v42
	v_and_b32_e32 v32, 7, v32
	v_cmp_gt_u32_e64 s[0:1], 8, v27
	v_cndmask_b32_e64 v27, v41, v33, s[0:1]
	v_cndmask_b32_e64 v32, v40, v32, s[0:1]
	v_lshlrev_b32_e32 v32, 20, v32
	v_and_b32_sdwa v18, sext(v18), s13 dst_sel:DWORD dst_unused:UNUSED_PAD src0_sel:BYTE_0 src1_sel:DWORD
	v_lshl_add_u32 v27, v27, 23, v68
	v_or3_b32 v18, v18, v27, v32
	v_pk_mov_b32 v[32:33], v[18:19], v[18:19] op_sel:[0,1]
.LBB215_286:                            ;   in Loop: Header=BB215_243 Depth=1
	s_or_b64 exec, exec, s[24:25]
.LBB215_287:                            ;   in Loop: Header=BB215_243 Depth=1
	s_or_b64 exec, exec, s[20:21]
.LBB215_288:                            ;   in Loop: Header=BB215_243 Depth=1
	s_or_b64 exec, exec, s[18:19]
	v_cmp_lt_u32_e64 s[0:1], s37, v26
	s_and_saveexec_b64 s[18:19], s[0:1]
	s_cbranch_execz .LBB215_294
; %bb.289:                              ;   in Loop: Header=BB215_243 Depth=1
	v_cmp_ne_u32_sdwa s[0:1], v26, s34 src0_sel:BYTE_3 src1_sel:DWORD
	v_pk_mov_b32 v[38:39], s[12:13], s[12:13] op_sel:[0,1]
	s_and_saveexec_b64 s[20:21], s[0:1]
	s_cbranch_execz .LBB215_293
; %bb.290:                              ;   in Loop: Header=BB215_243 Depth=1
	v_bfe_u32 v27, v26, 24, 7
	s_mov_b32 s10, s12
	v_cmp_ne_u32_e64 s[0:1], s36, v27
	v_pk_mov_b32 v[38:39], s[10:11], s[10:11] op_sel:[0,1]
	s_and_saveexec_b64 s[24:25], s[0:1]
	s_cbranch_execz .LBB215_292
; %bb.291:                              ;   in Loop: Header=BB215_243 Depth=1
	v_and_b32_sdwa v18, v26, v69 dst_sel:DWORD dst_unused:UNUSED_PAD src0_sel:BYTE_3 src1_sel:DWORD
	v_ffbh_u32_e32 v38, v18
	v_min_u32_e32 v41, 32, v38
	v_subrev_u32_e32 v38, 28, v41
	v_lshlrev_b64 v[38:39], v38, v[18:19]
	v_lshrrev_b32_e32 v40, 3, v27
	v_sub_u32_e32 v39, 29, v41
	v_cmp_gt_u32_e64 s[0:1], 8, v27
	v_and_b32_e32 v38, 7, v38
	v_cndmask_b32_e64 v27, v40, v39, s[0:1]
	v_cndmask_b32_e64 v18, v18, v38, s[0:1]
	v_lshlrev_b32_sdwa v26, v70, v26 dst_sel:DWORD dst_unused:UNUSED_PAD src0_sel:DWORD src1_sel:BYTE_3
	v_lshl_add_u32 v27, v27, 23, v68
	v_and_or_b32 v26, v26, s13, v27
	v_lshlrev_b32_e32 v18, 20, v18
	v_or_b32_e32 v39, v26, v18
	v_mov_b32_e32 v38, v19
.LBB215_292:                            ;   in Loop: Header=BB215_243 Depth=1
	s_or_b64 exec, exec, s[24:25]
.LBB215_293:                            ;   in Loop: Header=BB215_243 Depth=1
	s_or_b64 exec, exec, s[20:21]
.LBB215_294:                            ;   in Loop: Header=BB215_243 Depth=1
	s_or_b64 exec, exec, s[18:19]
	s_mov_b32 s17, s16
	v_or_b32_e32 v27, v31, v29
	v_or_b32_e32 v26, v30, v28
	;; [unrolled: 1-line block ×4, first 2 shown]
	v_pk_mul_f32 v[26:27], s[16:17], v[26:27]
	v_pk_mul_f32 v[28:29], s[16:17], v[28:29]
	s_and_saveexec_b64 s[18:19], vcc
; %bb.295:                              ;   in Loop: Header=BB215_243 Depth=1
	v_cmp_gt_i32_e64 s[0:1], s33, v71
	v_cndmask_b32_e64 v26, 0, v26, s[0:1]
	v_cmp_gt_i32_e64 s[0:1], s33, v74
	v_cndmask_b32_e64 v27, 0, v27, s[0:1]
	v_cmp_gt_i32_e64 s[0:1], s33, v73
	v_cndmask_b32_e64 v28, 0, v28, s[0:1]
	v_cmp_gt_i32_e64 s[0:1], s33, v72
	v_cndmask_b32_e64 v29, 0, v29, s[0:1]
; %bb.296:                              ;   in Loop: Header=BB215_243 Depth=1
	s_or_b64 exec, exec, s[18:19]
	global_load_dword v30, v[24:25], off offset:512
	v_pk_mov_b32 v[38:39], 0, 0
	v_pk_mov_b32 v[32:33], v[38:39], v[38:39] op_sel:[0,1]
	s_waitcnt vmcnt(0)
	v_cmp_ne_u16_sdwa s[0:1], v30, v19 src0_sel:BYTE_0 src1_sel:DWORD
	s_and_saveexec_b64 s[18:19], s[0:1]
	s_cbranch_execz .LBB215_302
; %bb.297:                              ;   in Loop: Header=BB215_243 Depth=1
	v_bfrev_b32_e32 v32, 1
	v_cmp_ne_u16_sdwa s[0:1], v30, s34 src0_sel:BYTE_0 src1_sel:DWORD
	v_mov_b32_e32 v33, 0
	s_and_saveexec_b64 s[20:21], s[0:1]
	s_cbranch_execz .LBB215_301
; %bb.298:                              ;   in Loop: Header=BB215_243 Depth=1
	v_and_b32_e32 v18, 0x7f, v30
	v_mov_b32_e32 v32, 0x7f800001
	v_cmp_ne_u32_e64 s[0:1], s36, v18
	v_mov_b32_e32 v33, 0
	s_and_saveexec_b64 s[24:25], s[0:1]
	s_cbranch_execz .LBB215_300
; %bb.299:                              ;   in Loop: Header=BB215_243 Depth=1
	v_and_b32_e32 v31, 7, v30
	v_ffbh_u32_e32 v32, v31
	v_min_u32_e32 v41, 32, v32
	v_subrev_u32_e32 v32, 28, v41
	v_lshlrev_b64 v[32:33], v32, v[30:31]
	v_lshrrev_b32_e32 v40, 3, v18
	v_sub_u32_e32 v33, 29, v41
	v_and_b32_e32 v32, 7, v32
	v_cmp_gt_u32_e64 s[0:1], 8, v18
	v_cndmask_b32_e64 v18, v40, v33, s[0:1]
	v_cndmask_b32_e64 v31, v31, v32, s[0:1]
	v_lshlrev_b32_e32 v31, 20, v31
	v_and_b32_sdwa v32, sext(v30), s13 dst_sel:DWORD dst_unused:UNUSED_PAD src0_sel:BYTE_0 src1_sel:DWORD
	v_lshl_add_u32 v18, v18, 23, v68
	v_or3_b32 v18, v32, v18, v31
	v_pk_mov_b32 v[32:33], v[18:19], v[18:19] op_sel:[0,1]
.LBB215_300:                            ;   in Loop: Header=BB215_243 Depth=1
	s_or_b64 exec, exec, s[24:25]
.LBB215_301:                            ;   in Loop: Header=BB215_243 Depth=1
	s_or_b64 exec, exec, s[20:21]
.LBB215_302:                            ;   in Loop: Header=BB215_243 Depth=1
	s_or_b64 exec, exec, s[18:19]
	v_cmp_ne_u16_sdwa s[0:1], v30, v19 src0_sel:BYTE_1 src1_sel:DWORD
	s_and_saveexec_b64 s[18:19], s[0:1]
	s_cbranch_execz .LBB215_308
; %bb.303:                              ;   in Loop: Header=BB215_243 Depth=1
	v_cmp_ne_u16_sdwa s[0:1], v30, s34 src0_sel:BYTE_1 src1_sel:DWORD
	v_pk_mov_b32 v[38:39], s[12:13], s[12:13] op_sel:[0,1]
	s_and_saveexec_b64 s[20:21], s[0:1]
	s_cbranch_execz .LBB215_307
; %bb.304:                              ;   in Loop: Header=BB215_243 Depth=1
	v_and_b32_sdwa v31, v30, s36 dst_sel:DWORD dst_unused:UNUSED_PAD src0_sel:BYTE_1 src1_sel:DWORD
	s_mov_b32 s10, s12
	v_cmp_ne_u32_e64 s[0:1], s36, v31
	v_pk_mov_b32 v[38:39], s[10:11], s[10:11] op_sel:[0,1]
	s_and_saveexec_b64 s[24:25], s[0:1]
	s_cbranch_execz .LBB215_306
; %bb.305:                              ;   in Loop: Header=BB215_243 Depth=1
	v_and_b32_sdwa v18, v30, v69 dst_sel:DWORD dst_unused:UNUSED_PAD src0_sel:BYTE_1 src1_sel:DWORD
	v_ffbh_u32_e32 v38, v18
	v_min_u32_e32 v41, 32, v38
	v_subrev_u32_e32 v38, 28, v41
	v_lshlrev_b64 v[38:39], v38, v[18:19]
	v_lshrrev_b32_e32 v40, 3, v31
	v_sub_u32_e32 v39, 29, v41
	v_cmp_gt_u32_e64 s[0:1], 8, v31
	v_and_b32_e32 v38, 7, v38
	v_cndmask_b32_e64 v31, v40, v39, s[0:1]
	v_cndmask_b32_e64 v18, v18, v38, s[0:1]
	v_lshlrev_b32_e32 v38, 16, v30
	v_lshl_add_u32 v31, v31, 23, v68
	v_and_or_b32 v31, v38, s13, v31
	v_lshlrev_b32_e32 v18, 20, v18
	v_or_b32_e32 v39, v31, v18
	v_mov_b32_e32 v38, v19
.LBB215_306:                            ;   in Loop: Header=BB215_243 Depth=1
	s_or_b64 exec, exec, s[24:25]
.LBB215_307:                            ;   in Loop: Header=BB215_243 Depth=1
	s_or_b64 exec, exec, s[20:21]
.LBB215_308:                            ;   in Loop: Header=BB215_243 Depth=1
	s_or_b64 exec, exec, s[18:19]
	v_lshrrev_b32_e32 v18, 16, v30
	v_pk_mov_b32 v[42:43], 0, 0
	v_cmp_ne_u16_sdwa s[0:1], v18, v19 src0_sel:BYTE_0 src1_sel:DWORD
	v_pk_mov_b32 v[40:41], v[42:43], v[42:43] op_sel:[0,1]
	s_and_saveexec_b64 s[18:19], s[0:1]
	s_cbranch_execz .LBB215_314
; %bb.309:                              ;   in Loop: Header=BB215_243 Depth=1
	v_bfrev_b32_e32 v40, 1
	v_cmp_ne_u16_sdwa s[0:1], v18, s34 src0_sel:BYTE_0 src1_sel:DWORD
	v_mov_b32_e32 v41, 0
	s_and_saveexec_b64 s[20:21], s[0:1]
	s_cbranch_execz .LBB215_313
; %bb.310:                              ;   in Loop: Header=BB215_243 Depth=1
	v_bfe_u32 v31, v30, 16, 7
	v_mov_b32_e32 v40, 0x7f800001
	v_cmp_ne_u32_e64 s[0:1], s36, v31
	v_mov_b32_e32 v41, 0
	s_and_saveexec_b64 s[24:25], s[0:1]
	s_cbranch_execz .LBB215_312
; %bb.311:                              ;   in Loop: Header=BB215_243 Depth=1
	v_and_b32_e32 v44, 7, v18
	v_ffbh_u32_e32 v40, v44
	v_min_u32_e32 v46, 32, v40
	v_subrev_u32_e32 v40, 28, v46
	v_lshlrev_b64 v[40:41], v40, v[18:19]
	v_lshrrev_b32_e32 v45, 3, v31
	v_sub_u32_e32 v41, 29, v46
	v_and_b32_e32 v40, 7, v40
	v_cmp_gt_u32_e64 s[0:1], 8, v31
	v_cndmask_b32_e64 v31, v45, v41, s[0:1]
	v_cndmask_b32_e64 v40, v44, v40, s[0:1]
	v_lshlrev_b32_e32 v40, 20, v40
	v_and_b32_sdwa v18, sext(v18), s13 dst_sel:DWORD dst_unused:UNUSED_PAD src0_sel:BYTE_0 src1_sel:DWORD
	v_lshl_add_u32 v31, v31, 23, v68
	v_or3_b32 v18, v18, v31, v40
	v_pk_mov_b32 v[40:41], v[18:19], v[18:19] op_sel:[0,1]
.LBB215_312:                            ;   in Loop: Header=BB215_243 Depth=1
	s_or_b64 exec, exec, s[24:25]
.LBB215_313:                            ;   in Loop: Header=BB215_243 Depth=1
	s_or_b64 exec, exec, s[20:21]
.LBB215_314:                            ;   in Loop: Header=BB215_243 Depth=1
	s_or_b64 exec, exec, s[18:19]
	v_cmp_lt_u32_e64 s[0:1], s37, v30
	s_and_saveexec_b64 s[18:19], s[0:1]
	s_cbranch_execz .LBB215_320
; %bb.315:                              ;   in Loop: Header=BB215_243 Depth=1
	v_cmp_ne_u32_sdwa s[0:1], v30, s34 src0_sel:BYTE_3 src1_sel:DWORD
	v_pk_mov_b32 v[42:43], s[12:13], s[12:13] op_sel:[0,1]
	s_and_saveexec_b64 s[20:21], s[0:1]
	s_cbranch_execz .LBB215_319
; %bb.316:                              ;   in Loop: Header=BB215_243 Depth=1
	v_bfe_u32 v31, v30, 24, 7
	s_mov_b32 s10, s12
	v_cmp_ne_u32_e64 s[0:1], s36, v31
	v_pk_mov_b32 v[42:43], s[10:11], s[10:11] op_sel:[0,1]
	s_and_saveexec_b64 s[24:25], s[0:1]
	s_cbranch_execz .LBB215_318
; %bb.317:                              ;   in Loop: Header=BB215_243 Depth=1
	v_and_b32_sdwa v18, v30, v69 dst_sel:DWORD dst_unused:UNUSED_PAD src0_sel:BYTE_3 src1_sel:DWORD
	v_ffbh_u32_e32 v42, v18
	v_min_u32_e32 v45, 32, v42
	v_subrev_u32_e32 v42, 28, v45
	v_lshlrev_b64 v[42:43], v42, v[18:19]
	v_lshrrev_b32_e32 v44, 3, v31
	v_sub_u32_e32 v43, 29, v45
	v_cmp_gt_u32_e64 s[0:1], 8, v31
	v_and_b32_e32 v42, 7, v42
	v_cndmask_b32_e64 v31, v44, v43, s[0:1]
	v_cndmask_b32_e64 v18, v18, v42, s[0:1]
	v_lshlrev_b32_sdwa v30, v70, v30 dst_sel:DWORD dst_unused:UNUSED_PAD src0_sel:DWORD src1_sel:BYTE_3
	v_lshl_add_u32 v31, v31, 23, v68
	v_and_or_b32 v30, v30, s13, v31
	v_lshlrev_b32_e32 v18, 20, v18
	v_or_b32_e32 v43, v30, v18
	v_mov_b32_e32 v42, v19
.LBB215_318:                            ;   in Loop: Header=BB215_243 Depth=1
	s_or_b64 exec, exec, s[24:25]
.LBB215_319:                            ;   in Loop: Header=BB215_243 Depth=1
	s_or_b64 exec, exec, s[20:21]
.LBB215_320:                            ;   in Loop: Header=BB215_243 Depth=1
	s_or_b64 exec, exec, s[18:19]
	v_or_b32_e32 v31, v39, v33
	v_or_b32_e32 v30, v38, v32
	;; [unrolled: 1-line block ×4, first 2 shown]
	v_pk_mul_f32 v[30:31], s[16:17], v[30:31]
	v_pk_mul_f32 v[32:33], s[16:17], v[32:33]
	s_and_saveexec_b64 s[18:19], vcc
; %bb.321:                              ;   in Loop: Header=BB215_243 Depth=1
	v_cmp_gt_i32_e64 s[0:1], s33, v71
	v_cndmask_b32_e64 v30, 0, v30, s[0:1]
	v_cmp_gt_i32_e64 s[0:1], s33, v74
	v_cndmask_b32_e64 v31, 0, v31, s[0:1]
	;; [unrolled: 2-line block ×4, first 2 shown]
; %bb.322:                              ;   in Loop: Header=BB215_243 Depth=1
	s_or_b64 exec, exec, s[18:19]
	global_load_dword v38, v[24:25], off offset:768
	v_pk_mov_b32 v[42:43], 0, 0
	v_pk_mov_b32 v[40:41], v[42:43], v[42:43] op_sel:[0,1]
	s_waitcnt vmcnt(0)
	v_cmp_ne_u16_sdwa s[0:1], v38, v19 src0_sel:BYTE_0 src1_sel:DWORD
	s_and_saveexec_b64 s[18:19], s[0:1]
	s_cbranch_execz .LBB215_328
; %bb.323:                              ;   in Loop: Header=BB215_243 Depth=1
	v_bfrev_b32_e32 v40, 1
	v_cmp_ne_u16_sdwa s[0:1], v38, s34 src0_sel:BYTE_0 src1_sel:DWORD
	v_mov_b32_e32 v41, 0
	s_and_saveexec_b64 s[20:21], s[0:1]
	s_cbranch_execz .LBB215_327
; %bb.324:                              ;   in Loop: Header=BB215_243 Depth=1
	v_and_b32_e32 v18, 0x7f, v38
	v_mov_b32_e32 v40, 0x7f800001
	v_cmp_ne_u32_e64 s[0:1], s36, v18
	v_mov_b32_e32 v41, 0
	s_and_saveexec_b64 s[24:25], s[0:1]
	s_cbranch_execz .LBB215_326
; %bb.325:                              ;   in Loop: Header=BB215_243 Depth=1
	v_and_b32_e32 v39, 7, v38
	v_ffbh_u32_e32 v40, v39
	v_min_u32_e32 v45, 32, v40
	v_subrev_u32_e32 v40, 28, v45
	v_lshlrev_b64 v[40:41], v40, v[38:39]
	v_lshrrev_b32_e32 v44, 3, v18
	v_sub_u32_e32 v41, 29, v45
	v_and_b32_e32 v40, 7, v40
	v_cmp_gt_u32_e64 s[0:1], 8, v18
	v_cndmask_b32_e64 v18, v44, v41, s[0:1]
	v_cndmask_b32_e64 v39, v39, v40, s[0:1]
	v_lshlrev_b32_e32 v39, 20, v39
	v_and_b32_sdwa v40, sext(v38), s13 dst_sel:DWORD dst_unused:UNUSED_PAD src0_sel:BYTE_0 src1_sel:DWORD
	v_lshl_add_u32 v18, v18, 23, v68
	v_or3_b32 v18, v40, v18, v39
	v_pk_mov_b32 v[40:41], v[18:19], v[18:19] op_sel:[0,1]
.LBB215_326:                            ;   in Loop: Header=BB215_243 Depth=1
	s_or_b64 exec, exec, s[24:25]
.LBB215_327:                            ;   in Loop: Header=BB215_243 Depth=1
	s_or_b64 exec, exec, s[20:21]
.LBB215_328:                            ;   in Loop: Header=BB215_243 Depth=1
	s_or_b64 exec, exec, s[18:19]
	v_cmp_ne_u16_sdwa s[0:1], v38, v19 src0_sel:BYTE_1 src1_sel:DWORD
	s_and_saveexec_b64 s[18:19], s[0:1]
	s_cbranch_execz .LBB215_334
; %bb.329:                              ;   in Loop: Header=BB215_243 Depth=1
	v_cmp_ne_u16_sdwa s[0:1], v38, s34 src0_sel:BYTE_1 src1_sel:DWORD
	v_pk_mov_b32 v[42:43], s[12:13], s[12:13] op_sel:[0,1]
	s_and_saveexec_b64 s[20:21], s[0:1]
	s_cbranch_execz .LBB215_333
; %bb.330:                              ;   in Loop: Header=BB215_243 Depth=1
	v_and_b32_sdwa v39, v38, s36 dst_sel:DWORD dst_unused:UNUSED_PAD src0_sel:BYTE_1 src1_sel:DWORD
	s_mov_b32 s10, s12
	v_cmp_ne_u32_e64 s[0:1], s36, v39
	v_pk_mov_b32 v[42:43], s[10:11], s[10:11] op_sel:[0,1]
	s_and_saveexec_b64 s[24:25], s[0:1]
	s_cbranch_execz .LBB215_332
; %bb.331:                              ;   in Loop: Header=BB215_243 Depth=1
	v_and_b32_sdwa v18, v38, v69 dst_sel:DWORD dst_unused:UNUSED_PAD src0_sel:BYTE_1 src1_sel:DWORD
	v_ffbh_u32_e32 v42, v18
	v_min_u32_e32 v45, 32, v42
	v_subrev_u32_e32 v42, 28, v45
	v_lshlrev_b64 v[42:43], v42, v[18:19]
	v_lshrrev_b32_e32 v44, 3, v39
	v_sub_u32_e32 v43, 29, v45
	v_cmp_gt_u32_e64 s[0:1], 8, v39
	v_and_b32_e32 v42, 7, v42
	v_cndmask_b32_e64 v39, v44, v43, s[0:1]
	v_cndmask_b32_e64 v18, v18, v42, s[0:1]
	v_lshlrev_b32_e32 v42, 16, v38
	v_lshl_add_u32 v39, v39, 23, v68
	v_and_or_b32 v39, v42, s13, v39
	v_lshlrev_b32_e32 v18, 20, v18
	v_or_b32_e32 v43, v39, v18
	v_mov_b32_e32 v42, v19
.LBB215_332:                            ;   in Loop: Header=BB215_243 Depth=1
	s_or_b64 exec, exec, s[24:25]
.LBB215_333:                            ;   in Loop: Header=BB215_243 Depth=1
	s_or_b64 exec, exec, s[20:21]
.LBB215_334:                            ;   in Loop: Header=BB215_243 Depth=1
	s_or_b64 exec, exec, s[18:19]
	v_lshrrev_b32_e32 v18, 16, v38
	v_pk_mov_b32 v[46:47], 0, 0
	v_cmp_ne_u16_sdwa s[0:1], v18, v19 src0_sel:BYTE_0 src1_sel:DWORD
	v_pk_mov_b32 v[44:45], v[46:47], v[46:47] op_sel:[0,1]
	s_and_saveexec_b64 s[18:19], s[0:1]
	s_cbranch_execz .LBB215_340
; %bb.335:                              ;   in Loop: Header=BB215_243 Depth=1
	v_bfrev_b32_e32 v44, 1
	v_cmp_ne_u16_sdwa s[0:1], v18, s34 src0_sel:BYTE_0 src1_sel:DWORD
	v_mov_b32_e32 v45, 0
	s_and_saveexec_b64 s[20:21], s[0:1]
	s_cbranch_execz .LBB215_339
; %bb.336:                              ;   in Loop: Header=BB215_243 Depth=1
	v_bfe_u32 v39, v38, 16, 7
	v_mov_b32_e32 v44, 0x7f800001
	v_cmp_ne_u32_e64 s[0:1], s36, v39
	v_mov_b32_e32 v45, 0
	s_and_saveexec_b64 s[24:25], s[0:1]
	s_cbranch_execz .LBB215_338
; %bb.337:                              ;   in Loop: Header=BB215_243 Depth=1
	v_and_b32_e32 v48, 7, v18
	v_ffbh_u32_e32 v44, v48
	v_min_u32_e32 v50, 32, v44
	v_subrev_u32_e32 v44, 28, v50
	v_lshlrev_b64 v[44:45], v44, v[18:19]
	v_lshrrev_b32_e32 v49, 3, v39
	v_sub_u32_e32 v45, 29, v50
	v_and_b32_e32 v44, 7, v44
	v_cmp_gt_u32_e64 s[0:1], 8, v39
	v_cndmask_b32_e64 v39, v49, v45, s[0:1]
	v_cndmask_b32_e64 v44, v48, v44, s[0:1]
	v_lshlrev_b32_e32 v44, 20, v44
	v_and_b32_sdwa v18, sext(v18), s13 dst_sel:DWORD dst_unused:UNUSED_PAD src0_sel:BYTE_0 src1_sel:DWORD
	v_lshl_add_u32 v39, v39, 23, v68
	v_or3_b32 v18, v18, v39, v44
	v_pk_mov_b32 v[44:45], v[18:19], v[18:19] op_sel:[0,1]
.LBB215_338:                            ;   in Loop: Header=BB215_243 Depth=1
	s_or_b64 exec, exec, s[24:25]
.LBB215_339:                            ;   in Loop: Header=BB215_243 Depth=1
	s_or_b64 exec, exec, s[20:21]
.LBB215_340:                            ;   in Loop: Header=BB215_243 Depth=1
	s_or_b64 exec, exec, s[18:19]
	v_cmp_lt_u32_e64 s[0:1], s37, v38
	s_and_saveexec_b64 s[18:19], s[0:1]
	s_cbranch_execz .LBB215_346
; %bb.341:                              ;   in Loop: Header=BB215_243 Depth=1
	v_cmp_ne_u32_sdwa s[0:1], v38, s34 src0_sel:BYTE_3 src1_sel:DWORD
	v_pk_mov_b32 v[46:47], s[12:13], s[12:13] op_sel:[0,1]
	s_and_saveexec_b64 s[20:21], s[0:1]
	s_cbranch_execz .LBB215_345
; %bb.342:                              ;   in Loop: Header=BB215_243 Depth=1
	v_bfe_u32 v39, v38, 24, 7
	s_mov_b32 s10, s12
	v_cmp_ne_u32_e64 s[0:1], s36, v39
	v_pk_mov_b32 v[46:47], s[10:11], s[10:11] op_sel:[0,1]
	s_and_saveexec_b64 s[24:25], s[0:1]
	s_cbranch_execz .LBB215_344
; %bb.343:                              ;   in Loop: Header=BB215_243 Depth=1
	v_and_b32_sdwa v18, v38, v69 dst_sel:DWORD dst_unused:UNUSED_PAD src0_sel:BYTE_3 src1_sel:DWORD
	v_ffbh_u32_e32 v46, v18
	v_min_u32_e32 v49, 32, v46
	v_subrev_u32_e32 v46, 28, v49
	v_lshlrev_b64 v[46:47], v46, v[18:19]
	v_lshrrev_b32_e32 v48, 3, v39
	v_sub_u32_e32 v47, 29, v49
	v_cmp_gt_u32_e64 s[0:1], 8, v39
	v_and_b32_e32 v46, 7, v46
	v_cndmask_b32_e64 v39, v48, v47, s[0:1]
	v_cndmask_b32_e64 v18, v18, v46, s[0:1]
	v_lshlrev_b32_sdwa v38, v70, v38 dst_sel:DWORD dst_unused:UNUSED_PAD src0_sel:DWORD src1_sel:BYTE_3
	v_lshl_add_u32 v39, v39, 23, v68
	v_and_or_b32 v38, v38, s13, v39
	v_lshlrev_b32_e32 v18, 20, v18
	v_or_b32_e32 v47, v38, v18
	v_mov_b32_e32 v46, v19
.LBB215_344:                            ;   in Loop: Header=BB215_243 Depth=1
	s_or_b64 exec, exec, s[24:25]
.LBB215_345:                            ;   in Loop: Header=BB215_243 Depth=1
	s_or_b64 exec, exec, s[20:21]
.LBB215_346:                            ;   in Loop: Header=BB215_243 Depth=1
	s_or_b64 exec, exec, s[18:19]
	v_or_b32_e32 v39, v43, v41
	v_or_b32_e32 v38, v42, v40
	;; [unrolled: 1-line block ×4, first 2 shown]
	v_pk_mul_f32 v[38:39], s[16:17], v[38:39]
	v_pk_mul_f32 v[40:41], s[16:17], v[40:41]
	s_and_saveexec_b64 s[18:19], vcc
; %bb.347:                              ;   in Loop: Header=BB215_243 Depth=1
	v_cmp_gt_i32_e64 s[0:1], s33, v71
	v_cndmask_b32_e64 v38, 0, v38, s[0:1]
	v_cmp_gt_i32_e64 s[0:1], s33, v74
	v_cndmask_b32_e64 v39, 0, v39, s[0:1]
	;; [unrolled: 2-line block ×4, first 2 shown]
; %bb.348:                              ;   in Loop: Header=BB215_243 Depth=1
	s_or_b64 exec, exec, s[18:19]
	global_load_dword v42, v[24:25], off offset:1024
	v_pk_mov_b32 v[46:47], 0, 0
	v_pk_mov_b32 v[44:45], v[46:47], v[46:47] op_sel:[0,1]
	s_waitcnt vmcnt(0)
	v_cmp_ne_u16_sdwa s[0:1], v42, v19 src0_sel:BYTE_0 src1_sel:DWORD
	s_and_saveexec_b64 s[18:19], s[0:1]
	s_cbranch_execz .LBB215_354
; %bb.349:                              ;   in Loop: Header=BB215_243 Depth=1
	v_bfrev_b32_e32 v44, 1
	v_cmp_ne_u16_sdwa s[0:1], v42, s34 src0_sel:BYTE_0 src1_sel:DWORD
	v_mov_b32_e32 v45, 0
	s_and_saveexec_b64 s[20:21], s[0:1]
	s_cbranch_execz .LBB215_353
; %bb.350:                              ;   in Loop: Header=BB215_243 Depth=1
	v_and_b32_e32 v18, 0x7f, v42
	v_mov_b32_e32 v44, 0x7f800001
	v_cmp_ne_u32_e64 s[0:1], s36, v18
	v_mov_b32_e32 v45, 0
	s_and_saveexec_b64 s[24:25], s[0:1]
	s_cbranch_execz .LBB215_352
; %bb.351:                              ;   in Loop: Header=BB215_243 Depth=1
	v_and_b32_e32 v43, 7, v42
	v_ffbh_u32_e32 v44, v43
	v_min_u32_e32 v49, 32, v44
	v_subrev_u32_e32 v44, 28, v49
	v_lshlrev_b64 v[44:45], v44, v[42:43]
	v_lshrrev_b32_e32 v48, 3, v18
	v_sub_u32_e32 v45, 29, v49
	v_and_b32_e32 v44, 7, v44
	v_cmp_gt_u32_e64 s[0:1], 8, v18
	v_cndmask_b32_e64 v18, v48, v45, s[0:1]
	v_cndmask_b32_e64 v43, v43, v44, s[0:1]
	v_lshlrev_b32_e32 v43, 20, v43
	v_and_b32_sdwa v44, sext(v42), s13 dst_sel:DWORD dst_unused:UNUSED_PAD src0_sel:BYTE_0 src1_sel:DWORD
	v_lshl_add_u32 v18, v18, 23, v68
	v_or3_b32 v18, v44, v18, v43
	v_pk_mov_b32 v[44:45], v[18:19], v[18:19] op_sel:[0,1]
.LBB215_352:                            ;   in Loop: Header=BB215_243 Depth=1
	s_or_b64 exec, exec, s[24:25]
.LBB215_353:                            ;   in Loop: Header=BB215_243 Depth=1
	s_or_b64 exec, exec, s[20:21]
.LBB215_354:                            ;   in Loop: Header=BB215_243 Depth=1
	s_or_b64 exec, exec, s[18:19]
	v_cmp_ne_u16_sdwa s[0:1], v42, v19 src0_sel:BYTE_1 src1_sel:DWORD
	s_and_saveexec_b64 s[18:19], s[0:1]
	s_cbranch_execz .LBB215_360
; %bb.355:                              ;   in Loop: Header=BB215_243 Depth=1
	v_cmp_ne_u16_sdwa s[0:1], v42, s34 src0_sel:BYTE_1 src1_sel:DWORD
	v_pk_mov_b32 v[46:47], s[12:13], s[12:13] op_sel:[0,1]
	s_and_saveexec_b64 s[20:21], s[0:1]
	s_cbranch_execz .LBB215_359
; %bb.356:                              ;   in Loop: Header=BB215_243 Depth=1
	v_and_b32_sdwa v43, v42, s36 dst_sel:DWORD dst_unused:UNUSED_PAD src0_sel:BYTE_1 src1_sel:DWORD
	s_mov_b32 s10, s12
	v_cmp_ne_u32_e64 s[0:1], s36, v43
	v_pk_mov_b32 v[46:47], s[10:11], s[10:11] op_sel:[0,1]
	s_and_saveexec_b64 s[24:25], s[0:1]
	s_cbranch_execz .LBB215_358
; %bb.357:                              ;   in Loop: Header=BB215_243 Depth=1
	v_and_b32_sdwa v18, v42, v69 dst_sel:DWORD dst_unused:UNUSED_PAD src0_sel:BYTE_1 src1_sel:DWORD
	v_ffbh_u32_e32 v46, v18
	v_min_u32_e32 v49, 32, v46
	v_subrev_u32_e32 v46, 28, v49
	v_lshlrev_b64 v[46:47], v46, v[18:19]
	v_lshrrev_b32_e32 v48, 3, v43
	v_sub_u32_e32 v47, 29, v49
	v_cmp_gt_u32_e64 s[0:1], 8, v43
	v_and_b32_e32 v46, 7, v46
	v_cndmask_b32_e64 v43, v48, v47, s[0:1]
	v_cndmask_b32_e64 v18, v18, v46, s[0:1]
	v_lshlrev_b32_e32 v46, 16, v42
	v_lshl_add_u32 v43, v43, 23, v68
	v_and_or_b32 v43, v46, s13, v43
	v_lshlrev_b32_e32 v18, 20, v18
	v_or_b32_e32 v47, v43, v18
	v_mov_b32_e32 v46, v19
.LBB215_358:                            ;   in Loop: Header=BB215_243 Depth=1
	s_or_b64 exec, exec, s[24:25]
.LBB215_359:                            ;   in Loop: Header=BB215_243 Depth=1
	s_or_b64 exec, exec, s[20:21]
.LBB215_360:                            ;   in Loop: Header=BB215_243 Depth=1
	s_or_b64 exec, exec, s[18:19]
	v_lshrrev_b32_e32 v18, 16, v42
	v_pk_mov_b32 v[50:51], 0, 0
	v_cmp_ne_u16_sdwa s[0:1], v18, v19 src0_sel:BYTE_0 src1_sel:DWORD
	v_pk_mov_b32 v[48:49], v[50:51], v[50:51] op_sel:[0,1]
	s_and_saveexec_b64 s[18:19], s[0:1]
	s_cbranch_execz .LBB215_366
; %bb.361:                              ;   in Loop: Header=BB215_243 Depth=1
	v_bfrev_b32_e32 v48, 1
	v_cmp_ne_u16_sdwa s[0:1], v18, s34 src0_sel:BYTE_0 src1_sel:DWORD
	v_mov_b32_e32 v49, 0
	s_and_saveexec_b64 s[20:21], s[0:1]
	s_cbranch_execz .LBB215_365
; %bb.362:                              ;   in Loop: Header=BB215_243 Depth=1
	v_bfe_u32 v43, v42, 16, 7
	v_mov_b32_e32 v48, 0x7f800001
	v_cmp_ne_u32_e64 s[0:1], s36, v43
	v_mov_b32_e32 v49, 0
	s_and_saveexec_b64 s[24:25], s[0:1]
	s_cbranch_execz .LBB215_364
; %bb.363:                              ;   in Loop: Header=BB215_243 Depth=1
	v_and_b32_e32 v52, 7, v18
	v_ffbh_u32_e32 v48, v52
	v_min_u32_e32 v54, 32, v48
	v_subrev_u32_e32 v48, 28, v54
	v_lshlrev_b64 v[48:49], v48, v[18:19]
	v_lshrrev_b32_e32 v53, 3, v43
	v_sub_u32_e32 v49, 29, v54
	v_and_b32_e32 v48, 7, v48
	v_cmp_gt_u32_e64 s[0:1], 8, v43
	v_cndmask_b32_e64 v43, v53, v49, s[0:1]
	v_cndmask_b32_e64 v48, v52, v48, s[0:1]
	v_lshlrev_b32_e32 v48, 20, v48
	v_and_b32_sdwa v18, sext(v18), s13 dst_sel:DWORD dst_unused:UNUSED_PAD src0_sel:BYTE_0 src1_sel:DWORD
	v_lshl_add_u32 v43, v43, 23, v68
	v_or3_b32 v18, v18, v43, v48
	v_pk_mov_b32 v[48:49], v[18:19], v[18:19] op_sel:[0,1]
.LBB215_364:                            ;   in Loop: Header=BB215_243 Depth=1
	s_or_b64 exec, exec, s[24:25]
.LBB215_365:                            ;   in Loop: Header=BB215_243 Depth=1
	s_or_b64 exec, exec, s[20:21]
.LBB215_366:                            ;   in Loop: Header=BB215_243 Depth=1
	s_or_b64 exec, exec, s[18:19]
	v_cmp_lt_u32_e64 s[0:1], s37, v42
	s_and_saveexec_b64 s[18:19], s[0:1]
	s_cbranch_execz .LBB215_372
; %bb.367:                              ;   in Loop: Header=BB215_243 Depth=1
	v_cmp_ne_u32_sdwa s[0:1], v42, s34 src0_sel:BYTE_3 src1_sel:DWORD
	v_pk_mov_b32 v[50:51], s[12:13], s[12:13] op_sel:[0,1]
	s_and_saveexec_b64 s[20:21], s[0:1]
	s_cbranch_execz .LBB215_371
; %bb.368:                              ;   in Loop: Header=BB215_243 Depth=1
	v_bfe_u32 v43, v42, 24, 7
	s_mov_b32 s10, s12
	v_cmp_ne_u32_e64 s[0:1], s36, v43
	v_pk_mov_b32 v[50:51], s[10:11], s[10:11] op_sel:[0,1]
	s_and_saveexec_b64 s[24:25], s[0:1]
	s_cbranch_execz .LBB215_370
; %bb.369:                              ;   in Loop: Header=BB215_243 Depth=1
	v_and_b32_sdwa v18, v42, v69 dst_sel:DWORD dst_unused:UNUSED_PAD src0_sel:BYTE_3 src1_sel:DWORD
	v_ffbh_u32_e32 v50, v18
	v_min_u32_e32 v53, 32, v50
	v_subrev_u32_e32 v50, 28, v53
	v_lshlrev_b64 v[50:51], v50, v[18:19]
	v_lshrrev_b32_e32 v52, 3, v43
	v_sub_u32_e32 v51, 29, v53
	v_cmp_gt_u32_e64 s[0:1], 8, v43
	v_and_b32_e32 v50, 7, v50
	v_cndmask_b32_e64 v43, v52, v51, s[0:1]
	v_cndmask_b32_e64 v18, v18, v50, s[0:1]
	v_lshlrev_b32_sdwa v42, v70, v42 dst_sel:DWORD dst_unused:UNUSED_PAD src0_sel:DWORD src1_sel:BYTE_3
	v_lshl_add_u32 v43, v43, 23, v68
	v_and_or_b32 v42, v42, s13, v43
	v_lshlrev_b32_e32 v18, 20, v18
	v_or_b32_e32 v51, v42, v18
	v_mov_b32_e32 v50, v19
.LBB215_370:                            ;   in Loop: Header=BB215_243 Depth=1
	s_or_b64 exec, exec, s[24:25]
.LBB215_371:                            ;   in Loop: Header=BB215_243 Depth=1
	s_or_b64 exec, exec, s[20:21]
.LBB215_372:                            ;   in Loop: Header=BB215_243 Depth=1
	s_or_b64 exec, exec, s[18:19]
	v_or_b32_e32 v43, v47, v45
	v_or_b32_e32 v42, v46, v44
	v_or_b32_e32 v45, v51, v49
	v_or_b32_e32 v44, v50, v48
	v_pk_mul_f32 v[42:43], s[16:17], v[42:43]
	v_pk_mul_f32 v[44:45], s[16:17], v[44:45]
	s_and_saveexec_b64 s[18:19], vcc
; %bb.373:                              ;   in Loop: Header=BB215_243 Depth=1
	v_cmp_gt_i32_e64 s[0:1], s33, v71
	v_cndmask_b32_e64 v42, 0, v42, s[0:1]
	v_cmp_gt_i32_e64 s[0:1], s33, v74
	v_cndmask_b32_e64 v43, 0, v43, s[0:1]
	;; [unrolled: 2-line block ×4, first 2 shown]
; %bb.374:                              ;   in Loop: Header=BB215_243 Depth=1
	s_or_b64 exec, exec, s[18:19]
	global_load_dword v46, v[24:25], off offset:1280
	v_pk_mov_b32 v[50:51], 0, 0
	v_pk_mov_b32 v[48:49], v[50:51], v[50:51] op_sel:[0,1]
	s_waitcnt vmcnt(0)
	v_cmp_ne_u16_sdwa s[0:1], v46, v19 src0_sel:BYTE_0 src1_sel:DWORD
	s_and_saveexec_b64 s[18:19], s[0:1]
	s_cbranch_execz .LBB215_380
; %bb.375:                              ;   in Loop: Header=BB215_243 Depth=1
	v_bfrev_b32_e32 v48, 1
	v_cmp_ne_u16_sdwa s[0:1], v46, s34 src0_sel:BYTE_0 src1_sel:DWORD
	v_mov_b32_e32 v49, 0
	s_and_saveexec_b64 s[20:21], s[0:1]
	s_cbranch_execz .LBB215_379
; %bb.376:                              ;   in Loop: Header=BB215_243 Depth=1
	v_and_b32_e32 v18, 0x7f, v46
	v_mov_b32_e32 v48, 0x7f800001
	v_cmp_ne_u32_e64 s[0:1], s36, v18
	v_mov_b32_e32 v49, 0
	s_and_saveexec_b64 s[24:25], s[0:1]
	s_cbranch_execz .LBB215_378
; %bb.377:                              ;   in Loop: Header=BB215_243 Depth=1
	v_and_b32_e32 v47, 7, v46
	v_ffbh_u32_e32 v48, v47
	v_min_u32_e32 v53, 32, v48
	v_subrev_u32_e32 v48, 28, v53
	v_lshlrev_b64 v[48:49], v48, v[46:47]
	v_lshrrev_b32_e32 v52, 3, v18
	v_sub_u32_e32 v49, 29, v53
	v_and_b32_e32 v48, 7, v48
	v_cmp_gt_u32_e64 s[0:1], 8, v18
	v_cndmask_b32_e64 v18, v52, v49, s[0:1]
	v_cndmask_b32_e64 v47, v47, v48, s[0:1]
	v_lshlrev_b32_e32 v47, 20, v47
	v_and_b32_sdwa v48, sext(v46), s13 dst_sel:DWORD dst_unused:UNUSED_PAD src0_sel:BYTE_0 src1_sel:DWORD
	v_lshl_add_u32 v18, v18, 23, v68
	v_or3_b32 v18, v48, v18, v47
	v_pk_mov_b32 v[48:49], v[18:19], v[18:19] op_sel:[0,1]
.LBB215_378:                            ;   in Loop: Header=BB215_243 Depth=1
	s_or_b64 exec, exec, s[24:25]
.LBB215_379:                            ;   in Loop: Header=BB215_243 Depth=1
	s_or_b64 exec, exec, s[20:21]
.LBB215_380:                            ;   in Loop: Header=BB215_243 Depth=1
	s_or_b64 exec, exec, s[18:19]
	v_cmp_ne_u16_sdwa s[0:1], v46, v19 src0_sel:BYTE_1 src1_sel:DWORD
	s_and_saveexec_b64 s[18:19], s[0:1]
	s_cbranch_execz .LBB215_386
; %bb.381:                              ;   in Loop: Header=BB215_243 Depth=1
	v_cmp_ne_u16_sdwa s[0:1], v46, s34 src0_sel:BYTE_1 src1_sel:DWORD
	v_pk_mov_b32 v[50:51], s[12:13], s[12:13] op_sel:[0,1]
	s_and_saveexec_b64 s[20:21], s[0:1]
	s_cbranch_execz .LBB215_385
; %bb.382:                              ;   in Loop: Header=BB215_243 Depth=1
	v_and_b32_sdwa v47, v46, s36 dst_sel:DWORD dst_unused:UNUSED_PAD src0_sel:BYTE_1 src1_sel:DWORD
	s_mov_b32 s10, s12
	v_cmp_ne_u32_e64 s[0:1], s36, v47
	v_pk_mov_b32 v[50:51], s[10:11], s[10:11] op_sel:[0,1]
	s_and_saveexec_b64 s[24:25], s[0:1]
	s_cbranch_execz .LBB215_384
; %bb.383:                              ;   in Loop: Header=BB215_243 Depth=1
	v_and_b32_sdwa v18, v46, v69 dst_sel:DWORD dst_unused:UNUSED_PAD src0_sel:BYTE_1 src1_sel:DWORD
	v_ffbh_u32_e32 v50, v18
	v_min_u32_e32 v53, 32, v50
	v_subrev_u32_e32 v50, 28, v53
	v_lshlrev_b64 v[50:51], v50, v[18:19]
	v_lshrrev_b32_e32 v52, 3, v47
	v_sub_u32_e32 v51, 29, v53
	v_cmp_gt_u32_e64 s[0:1], 8, v47
	v_and_b32_e32 v50, 7, v50
	v_cndmask_b32_e64 v47, v52, v51, s[0:1]
	v_cndmask_b32_e64 v18, v18, v50, s[0:1]
	v_lshlrev_b32_e32 v50, 16, v46
	v_lshl_add_u32 v47, v47, 23, v68
	v_and_or_b32 v47, v50, s13, v47
	v_lshlrev_b32_e32 v18, 20, v18
	v_or_b32_e32 v51, v47, v18
	v_mov_b32_e32 v50, v19
.LBB215_384:                            ;   in Loop: Header=BB215_243 Depth=1
	s_or_b64 exec, exec, s[24:25]
.LBB215_385:                            ;   in Loop: Header=BB215_243 Depth=1
	s_or_b64 exec, exec, s[20:21]
.LBB215_386:                            ;   in Loop: Header=BB215_243 Depth=1
	s_or_b64 exec, exec, s[18:19]
	v_lshrrev_b32_e32 v18, 16, v46
	v_pk_mov_b32 v[54:55], 0, 0
	v_cmp_ne_u16_sdwa s[0:1], v18, v19 src0_sel:BYTE_0 src1_sel:DWORD
	v_pk_mov_b32 v[52:53], v[54:55], v[54:55] op_sel:[0,1]
	s_and_saveexec_b64 s[18:19], s[0:1]
	s_cbranch_execz .LBB215_392
; %bb.387:                              ;   in Loop: Header=BB215_243 Depth=1
	v_bfrev_b32_e32 v52, 1
	v_cmp_ne_u16_sdwa s[0:1], v18, s34 src0_sel:BYTE_0 src1_sel:DWORD
	v_mov_b32_e32 v53, 0
	s_and_saveexec_b64 s[20:21], s[0:1]
	s_cbranch_execz .LBB215_391
; %bb.388:                              ;   in Loop: Header=BB215_243 Depth=1
	v_bfe_u32 v47, v46, 16, 7
	v_mov_b32_e32 v52, 0x7f800001
	v_cmp_ne_u32_e64 s[0:1], s36, v47
	v_mov_b32_e32 v53, 0
	s_and_saveexec_b64 s[24:25], s[0:1]
	s_cbranch_execz .LBB215_390
; %bb.389:                              ;   in Loop: Header=BB215_243 Depth=1
	v_and_b32_e32 v56, 7, v18
	v_ffbh_u32_e32 v52, v56
	v_min_u32_e32 v58, 32, v52
	v_subrev_u32_e32 v52, 28, v58
	v_lshlrev_b64 v[52:53], v52, v[18:19]
	v_lshrrev_b32_e32 v57, 3, v47
	v_sub_u32_e32 v53, 29, v58
	v_and_b32_e32 v52, 7, v52
	v_cmp_gt_u32_e64 s[0:1], 8, v47
	v_cndmask_b32_e64 v47, v57, v53, s[0:1]
	v_cndmask_b32_e64 v52, v56, v52, s[0:1]
	v_lshlrev_b32_e32 v52, 20, v52
	v_and_b32_sdwa v18, sext(v18), s13 dst_sel:DWORD dst_unused:UNUSED_PAD src0_sel:BYTE_0 src1_sel:DWORD
	v_lshl_add_u32 v47, v47, 23, v68
	v_or3_b32 v18, v18, v47, v52
	v_pk_mov_b32 v[52:53], v[18:19], v[18:19] op_sel:[0,1]
.LBB215_390:                            ;   in Loop: Header=BB215_243 Depth=1
	s_or_b64 exec, exec, s[24:25]
.LBB215_391:                            ;   in Loop: Header=BB215_243 Depth=1
	s_or_b64 exec, exec, s[20:21]
.LBB215_392:                            ;   in Loop: Header=BB215_243 Depth=1
	s_or_b64 exec, exec, s[18:19]
	v_cmp_lt_u32_e64 s[0:1], s37, v46
	s_and_saveexec_b64 s[18:19], s[0:1]
	s_cbranch_execz .LBB215_398
; %bb.393:                              ;   in Loop: Header=BB215_243 Depth=1
	v_cmp_ne_u32_sdwa s[0:1], v46, s34 src0_sel:BYTE_3 src1_sel:DWORD
	v_pk_mov_b32 v[54:55], s[12:13], s[12:13] op_sel:[0,1]
	s_and_saveexec_b64 s[20:21], s[0:1]
	s_cbranch_execz .LBB215_397
; %bb.394:                              ;   in Loop: Header=BB215_243 Depth=1
	v_bfe_u32 v47, v46, 24, 7
	s_mov_b32 s10, s12
	v_cmp_ne_u32_e64 s[0:1], s36, v47
	v_pk_mov_b32 v[54:55], s[10:11], s[10:11] op_sel:[0,1]
	s_and_saveexec_b64 s[24:25], s[0:1]
	s_cbranch_execz .LBB215_396
; %bb.395:                              ;   in Loop: Header=BB215_243 Depth=1
	v_and_b32_sdwa v18, v46, v69 dst_sel:DWORD dst_unused:UNUSED_PAD src0_sel:BYTE_3 src1_sel:DWORD
	v_ffbh_u32_e32 v54, v18
	v_min_u32_e32 v57, 32, v54
	v_subrev_u32_e32 v54, 28, v57
	v_lshlrev_b64 v[54:55], v54, v[18:19]
	v_lshrrev_b32_e32 v56, 3, v47
	v_sub_u32_e32 v55, 29, v57
	v_cmp_gt_u32_e64 s[0:1], 8, v47
	v_and_b32_e32 v54, 7, v54
	v_cndmask_b32_e64 v47, v56, v55, s[0:1]
	v_cndmask_b32_e64 v18, v18, v54, s[0:1]
	v_lshlrev_b32_sdwa v46, v70, v46 dst_sel:DWORD dst_unused:UNUSED_PAD src0_sel:DWORD src1_sel:BYTE_3
	v_lshl_add_u32 v47, v47, 23, v68
	v_and_or_b32 v46, v46, s13, v47
	v_lshlrev_b32_e32 v18, 20, v18
	v_or_b32_e32 v55, v46, v18
	v_mov_b32_e32 v54, v19
.LBB215_396:                            ;   in Loop: Header=BB215_243 Depth=1
	s_or_b64 exec, exec, s[24:25]
.LBB215_397:                            ;   in Loop: Header=BB215_243 Depth=1
	s_or_b64 exec, exec, s[20:21]
.LBB215_398:                            ;   in Loop: Header=BB215_243 Depth=1
	s_or_b64 exec, exec, s[18:19]
	v_or_b32_e32 v47, v51, v49
	v_or_b32_e32 v46, v50, v48
	;; [unrolled: 1-line block ×4, first 2 shown]
	v_pk_mul_f32 v[46:47], s[16:17], v[46:47]
	v_pk_mul_f32 v[48:49], s[16:17], v[48:49]
	s_and_saveexec_b64 s[18:19], vcc
; %bb.399:                              ;   in Loop: Header=BB215_243 Depth=1
	v_cmp_gt_i32_e64 s[0:1], s33, v71
	v_cndmask_b32_e64 v46, 0, v46, s[0:1]
	v_cmp_gt_i32_e64 s[0:1], s33, v74
	v_cndmask_b32_e64 v47, 0, v47, s[0:1]
	v_cmp_gt_i32_e64 s[0:1], s33, v73
	v_cndmask_b32_e64 v48, 0, v48, s[0:1]
	v_cmp_gt_i32_e64 s[0:1], s33, v72
	v_cndmask_b32_e64 v49, 0, v49, s[0:1]
; %bb.400:                              ;   in Loop: Header=BB215_243 Depth=1
	s_or_b64 exec, exec, s[18:19]
	global_load_dword v50, v[24:25], off offset:1536
	v_pk_mov_b32 v[54:55], 0, 0
	v_pk_mov_b32 v[52:53], v[54:55], v[54:55] op_sel:[0,1]
	s_waitcnt vmcnt(0)
	v_cmp_ne_u16_sdwa s[0:1], v50, v19 src0_sel:BYTE_0 src1_sel:DWORD
	s_and_saveexec_b64 s[18:19], s[0:1]
	s_cbranch_execz .LBB215_406
; %bb.401:                              ;   in Loop: Header=BB215_243 Depth=1
	v_bfrev_b32_e32 v52, 1
	v_cmp_ne_u16_sdwa s[0:1], v50, s34 src0_sel:BYTE_0 src1_sel:DWORD
	v_mov_b32_e32 v53, 0
	s_and_saveexec_b64 s[20:21], s[0:1]
	s_cbranch_execz .LBB215_405
; %bb.402:                              ;   in Loop: Header=BB215_243 Depth=1
	v_and_b32_e32 v18, 0x7f, v50
	v_mov_b32_e32 v52, 0x7f800001
	v_cmp_ne_u32_e64 s[0:1], s36, v18
	v_mov_b32_e32 v53, 0
	s_and_saveexec_b64 s[24:25], s[0:1]
	s_cbranch_execz .LBB215_404
; %bb.403:                              ;   in Loop: Header=BB215_243 Depth=1
	v_and_b32_e32 v51, 7, v50
	v_ffbh_u32_e32 v52, v51
	v_min_u32_e32 v57, 32, v52
	v_subrev_u32_e32 v52, 28, v57
	v_lshlrev_b64 v[52:53], v52, v[50:51]
	v_lshrrev_b32_e32 v56, 3, v18
	v_sub_u32_e32 v53, 29, v57
	v_and_b32_e32 v52, 7, v52
	v_cmp_gt_u32_e64 s[0:1], 8, v18
	v_cndmask_b32_e64 v18, v56, v53, s[0:1]
	v_cndmask_b32_e64 v51, v51, v52, s[0:1]
	v_lshlrev_b32_e32 v51, 20, v51
	v_and_b32_sdwa v52, sext(v50), s13 dst_sel:DWORD dst_unused:UNUSED_PAD src0_sel:BYTE_0 src1_sel:DWORD
	v_lshl_add_u32 v18, v18, 23, v68
	v_or3_b32 v18, v52, v18, v51
	v_pk_mov_b32 v[52:53], v[18:19], v[18:19] op_sel:[0,1]
.LBB215_404:                            ;   in Loop: Header=BB215_243 Depth=1
	s_or_b64 exec, exec, s[24:25]
.LBB215_405:                            ;   in Loop: Header=BB215_243 Depth=1
	s_or_b64 exec, exec, s[20:21]
.LBB215_406:                            ;   in Loop: Header=BB215_243 Depth=1
	s_or_b64 exec, exec, s[18:19]
	v_cmp_ne_u16_sdwa s[0:1], v50, v19 src0_sel:BYTE_1 src1_sel:DWORD
	s_and_saveexec_b64 s[18:19], s[0:1]
	s_cbranch_execz .LBB215_412
; %bb.407:                              ;   in Loop: Header=BB215_243 Depth=1
	v_cmp_ne_u16_sdwa s[0:1], v50, s34 src0_sel:BYTE_1 src1_sel:DWORD
	v_pk_mov_b32 v[54:55], s[12:13], s[12:13] op_sel:[0,1]
	s_and_saveexec_b64 s[20:21], s[0:1]
	s_cbranch_execz .LBB215_411
; %bb.408:                              ;   in Loop: Header=BB215_243 Depth=1
	v_and_b32_sdwa v51, v50, s36 dst_sel:DWORD dst_unused:UNUSED_PAD src0_sel:BYTE_1 src1_sel:DWORD
	s_mov_b32 s10, s12
	v_cmp_ne_u32_e64 s[0:1], s36, v51
	v_pk_mov_b32 v[54:55], s[10:11], s[10:11] op_sel:[0,1]
	s_and_saveexec_b64 s[24:25], s[0:1]
	s_cbranch_execz .LBB215_410
; %bb.409:                              ;   in Loop: Header=BB215_243 Depth=1
	v_and_b32_sdwa v18, v50, v69 dst_sel:DWORD dst_unused:UNUSED_PAD src0_sel:BYTE_1 src1_sel:DWORD
	v_ffbh_u32_e32 v54, v18
	v_min_u32_e32 v57, 32, v54
	v_subrev_u32_e32 v54, 28, v57
	v_lshlrev_b64 v[54:55], v54, v[18:19]
	v_lshrrev_b32_e32 v56, 3, v51
	v_sub_u32_e32 v55, 29, v57
	v_cmp_gt_u32_e64 s[0:1], 8, v51
	v_and_b32_e32 v54, 7, v54
	v_cndmask_b32_e64 v51, v56, v55, s[0:1]
	v_cndmask_b32_e64 v18, v18, v54, s[0:1]
	v_lshlrev_b32_e32 v54, 16, v50
	v_lshl_add_u32 v51, v51, 23, v68
	v_and_or_b32 v51, v54, s13, v51
	v_lshlrev_b32_e32 v18, 20, v18
	v_or_b32_e32 v55, v51, v18
	v_mov_b32_e32 v54, v19
.LBB215_410:                            ;   in Loop: Header=BB215_243 Depth=1
	s_or_b64 exec, exec, s[24:25]
.LBB215_411:                            ;   in Loop: Header=BB215_243 Depth=1
	s_or_b64 exec, exec, s[20:21]
.LBB215_412:                            ;   in Loop: Header=BB215_243 Depth=1
	s_or_b64 exec, exec, s[18:19]
	v_lshrrev_b32_e32 v18, 16, v50
	v_pk_mov_b32 v[58:59], 0, 0
	v_cmp_ne_u16_sdwa s[0:1], v18, v19 src0_sel:BYTE_0 src1_sel:DWORD
	v_pk_mov_b32 v[56:57], v[58:59], v[58:59] op_sel:[0,1]
	s_and_saveexec_b64 s[18:19], s[0:1]
	s_cbranch_execz .LBB215_418
; %bb.413:                              ;   in Loop: Header=BB215_243 Depth=1
	v_bfrev_b32_e32 v56, 1
	v_cmp_ne_u16_sdwa s[0:1], v18, s34 src0_sel:BYTE_0 src1_sel:DWORD
	v_mov_b32_e32 v57, 0
	s_and_saveexec_b64 s[20:21], s[0:1]
	s_cbranch_execz .LBB215_417
; %bb.414:                              ;   in Loop: Header=BB215_243 Depth=1
	v_bfe_u32 v51, v50, 16, 7
	v_mov_b32_e32 v56, 0x7f800001
	v_cmp_ne_u32_e64 s[0:1], s36, v51
	v_mov_b32_e32 v57, 0
	s_and_saveexec_b64 s[24:25], s[0:1]
	s_cbranch_execz .LBB215_416
; %bb.415:                              ;   in Loop: Header=BB215_243 Depth=1
	v_and_b32_e32 v60, 7, v18
	v_ffbh_u32_e32 v56, v60
	v_min_u32_e32 v75, 32, v56
	v_subrev_u32_e32 v56, 28, v75
	v_lshlrev_b64 v[56:57], v56, v[18:19]
	v_lshrrev_b32_e32 v61, 3, v51
	v_sub_u32_e32 v57, 29, v75
	v_and_b32_e32 v56, 7, v56
	v_cmp_gt_u32_e64 s[0:1], 8, v51
	v_cndmask_b32_e64 v51, v61, v57, s[0:1]
	v_cndmask_b32_e64 v56, v60, v56, s[0:1]
	v_lshlrev_b32_e32 v56, 20, v56
	v_and_b32_sdwa v18, sext(v18), s13 dst_sel:DWORD dst_unused:UNUSED_PAD src0_sel:BYTE_0 src1_sel:DWORD
	v_lshl_add_u32 v51, v51, 23, v68
	v_or3_b32 v18, v18, v51, v56
	v_pk_mov_b32 v[56:57], v[18:19], v[18:19] op_sel:[0,1]
.LBB215_416:                            ;   in Loop: Header=BB215_243 Depth=1
	s_or_b64 exec, exec, s[24:25]
.LBB215_417:                            ;   in Loop: Header=BB215_243 Depth=1
	s_or_b64 exec, exec, s[20:21]
.LBB215_418:                            ;   in Loop: Header=BB215_243 Depth=1
	s_or_b64 exec, exec, s[18:19]
	v_cmp_lt_u32_e64 s[0:1], s37, v50
	s_and_saveexec_b64 s[18:19], s[0:1]
	s_cbranch_execz .LBB215_424
; %bb.419:                              ;   in Loop: Header=BB215_243 Depth=1
	v_cmp_ne_u32_sdwa s[0:1], v50, s34 src0_sel:BYTE_3 src1_sel:DWORD
	v_pk_mov_b32 v[58:59], s[12:13], s[12:13] op_sel:[0,1]
	s_and_saveexec_b64 s[20:21], s[0:1]
	s_cbranch_execz .LBB215_423
; %bb.420:                              ;   in Loop: Header=BB215_243 Depth=1
	v_bfe_u32 v51, v50, 24, 7
	s_mov_b32 s10, s12
	v_cmp_ne_u32_e64 s[0:1], s36, v51
	v_pk_mov_b32 v[58:59], s[10:11], s[10:11] op_sel:[0,1]
	s_and_saveexec_b64 s[24:25], s[0:1]
	s_cbranch_execz .LBB215_422
; %bb.421:                              ;   in Loop: Header=BB215_243 Depth=1
	v_and_b32_sdwa v18, v50, v69 dst_sel:DWORD dst_unused:UNUSED_PAD src0_sel:BYTE_3 src1_sel:DWORD
	v_ffbh_u32_e32 v58, v18
	v_min_u32_e32 v61, 32, v58
	v_subrev_u32_e32 v58, 28, v61
	v_lshlrev_b64 v[58:59], v58, v[18:19]
	v_lshrrev_b32_e32 v60, 3, v51
	v_sub_u32_e32 v59, 29, v61
	v_cmp_gt_u32_e64 s[0:1], 8, v51
	v_and_b32_e32 v58, 7, v58
	v_cndmask_b32_e64 v51, v60, v59, s[0:1]
	v_cndmask_b32_e64 v18, v18, v58, s[0:1]
	v_lshlrev_b32_sdwa v50, v70, v50 dst_sel:DWORD dst_unused:UNUSED_PAD src0_sel:DWORD src1_sel:BYTE_3
	v_lshl_add_u32 v51, v51, 23, v68
	v_and_or_b32 v50, v50, s13, v51
	v_lshlrev_b32_e32 v18, 20, v18
	v_or_b32_e32 v59, v50, v18
	v_mov_b32_e32 v58, v19
.LBB215_422:                            ;   in Loop: Header=BB215_243 Depth=1
	s_or_b64 exec, exec, s[24:25]
.LBB215_423:                            ;   in Loop: Header=BB215_243 Depth=1
	s_or_b64 exec, exec, s[20:21]
.LBB215_424:                            ;   in Loop: Header=BB215_243 Depth=1
	s_or_b64 exec, exec, s[18:19]
	v_or_b32_e32 v51, v55, v53
	v_or_b32_e32 v50, v54, v52
	;; [unrolled: 1-line block ×4, first 2 shown]
	v_pk_mul_f32 v[50:51], s[16:17], v[50:51]
	v_pk_mul_f32 v[52:53], s[16:17], v[52:53]
	s_and_saveexec_b64 s[18:19], vcc
; %bb.425:                              ;   in Loop: Header=BB215_243 Depth=1
	v_cmp_gt_i32_e64 s[0:1], s33, v71
	v_cndmask_b32_e64 v50, 0, v50, s[0:1]
	v_cmp_gt_i32_e64 s[0:1], s33, v74
	v_cndmask_b32_e64 v51, 0, v51, s[0:1]
	;; [unrolled: 2-line block ×4, first 2 shown]
; %bb.426:                              ;   in Loop: Header=BB215_243 Depth=1
	s_or_b64 exec, exec, s[18:19]
	global_load_dword v24, v[24:25], off offset:1792
	v_pk_mov_b32 v[56:57], 0, 0
	v_pk_mov_b32 v[54:55], v[56:57], v[56:57] op_sel:[0,1]
	s_waitcnt vmcnt(0)
	v_cmp_ne_u16_sdwa s[0:1], v24, v19 src0_sel:BYTE_0 src1_sel:DWORD
	s_and_saveexec_b64 s[18:19], s[0:1]
	s_cbranch_execz .LBB215_432
; %bb.427:                              ;   in Loop: Header=BB215_243 Depth=1
	v_bfrev_b32_e32 v54, 1
	v_cmp_ne_u16_sdwa s[0:1], v24, s34 src0_sel:BYTE_0 src1_sel:DWORD
	v_mov_b32_e32 v55, 0
	s_and_saveexec_b64 s[20:21], s[0:1]
	s_cbranch_execz .LBB215_431
; %bb.428:                              ;   in Loop: Header=BB215_243 Depth=1
	v_and_b32_e32 v18, 0x7f, v24
	v_mov_b32_e32 v54, 0x7f800001
	v_cmp_ne_u32_e64 s[0:1], s36, v18
	v_mov_b32_e32 v55, 0
	s_and_saveexec_b64 s[24:25], s[0:1]
	s_cbranch_execz .LBB215_430
; %bb.429:                              ;   in Loop: Header=BB215_243 Depth=1
	v_and_b32_e32 v25, 7, v24
	v_ffbh_u32_e32 v54, v25
	v_min_u32_e32 v59, 32, v54
	v_subrev_u32_e32 v54, 28, v59
	v_lshlrev_b64 v[54:55], v54, v[24:25]
	v_lshrrev_b32_e32 v58, 3, v18
	v_sub_u32_e32 v55, 29, v59
	v_and_b32_e32 v54, 7, v54
	v_cmp_gt_u32_e64 s[0:1], 8, v18
	v_cndmask_b32_e64 v18, v58, v55, s[0:1]
	v_cndmask_b32_e64 v25, v25, v54, s[0:1]
	v_lshlrev_b32_e32 v25, 20, v25
	v_and_b32_sdwa v54, sext(v24), s13 dst_sel:DWORD dst_unused:UNUSED_PAD src0_sel:BYTE_0 src1_sel:DWORD
	v_lshl_add_u32 v18, v18, 23, v68
	v_or3_b32 v18, v54, v18, v25
	v_pk_mov_b32 v[54:55], v[18:19], v[18:19] op_sel:[0,1]
.LBB215_430:                            ;   in Loop: Header=BB215_243 Depth=1
	s_or_b64 exec, exec, s[24:25]
.LBB215_431:                            ;   in Loop: Header=BB215_243 Depth=1
	s_or_b64 exec, exec, s[20:21]
.LBB215_432:                            ;   in Loop: Header=BB215_243 Depth=1
	s_or_b64 exec, exec, s[18:19]
	v_cmp_ne_u16_sdwa s[0:1], v24, v19 src0_sel:BYTE_1 src1_sel:DWORD
	s_and_saveexec_b64 s[18:19], s[0:1]
	s_cbranch_execz .LBB215_438
; %bb.433:                              ;   in Loop: Header=BB215_243 Depth=1
	v_cmp_ne_u16_sdwa s[0:1], v24, s34 src0_sel:BYTE_1 src1_sel:DWORD
	v_pk_mov_b32 v[56:57], s[12:13], s[12:13] op_sel:[0,1]
	s_and_saveexec_b64 s[20:21], s[0:1]
	s_cbranch_execz .LBB215_437
; %bb.434:                              ;   in Loop: Header=BB215_243 Depth=1
	v_and_b32_sdwa v25, v24, s36 dst_sel:DWORD dst_unused:UNUSED_PAD src0_sel:BYTE_1 src1_sel:DWORD
	s_mov_b32 s10, s12
	v_cmp_ne_u32_e64 s[0:1], s36, v25
	v_pk_mov_b32 v[56:57], s[10:11], s[10:11] op_sel:[0,1]
	s_and_saveexec_b64 s[24:25], s[0:1]
	s_cbranch_execz .LBB215_436
; %bb.435:                              ;   in Loop: Header=BB215_243 Depth=1
	v_and_b32_sdwa v18, v24, v69 dst_sel:DWORD dst_unused:UNUSED_PAD src0_sel:BYTE_1 src1_sel:DWORD
	v_ffbh_u32_e32 v56, v18
	v_min_u32_e32 v59, 32, v56
	v_subrev_u32_e32 v56, 28, v59
	v_lshlrev_b64 v[56:57], v56, v[18:19]
	v_lshrrev_b32_e32 v58, 3, v25
	v_sub_u32_e32 v57, 29, v59
	v_cmp_gt_u32_e64 s[0:1], 8, v25
	v_and_b32_e32 v56, 7, v56
	v_cndmask_b32_e64 v25, v58, v57, s[0:1]
	v_cndmask_b32_e64 v18, v18, v56, s[0:1]
	v_lshlrev_b32_e32 v56, 16, v24
	v_lshl_add_u32 v25, v25, 23, v68
	v_and_or_b32 v25, v56, s13, v25
	v_lshlrev_b32_e32 v18, 20, v18
	v_or_b32_e32 v57, v25, v18
	v_mov_b32_e32 v56, v19
.LBB215_436:                            ;   in Loop: Header=BB215_243 Depth=1
	s_or_b64 exec, exec, s[24:25]
.LBB215_437:                            ;   in Loop: Header=BB215_243 Depth=1
	s_or_b64 exec, exec, s[20:21]
.LBB215_438:                            ;   in Loop: Header=BB215_243 Depth=1
	s_or_b64 exec, exec, s[18:19]
	v_lshrrev_b32_e32 v18, 16, v24
	v_pk_mov_b32 v[60:61], 0, 0
	v_cmp_ne_u16_sdwa s[0:1], v18, v19 src0_sel:BYTE_0 src1_sel:DWORD
	v_pk_mov_b32 v[58:59], v[60:61], v[60:61] op_sel:[0,1]
	s_and_saveexec_b64 s[18:19], s[0:1]
	s_cbranch_execz .LBB215_444
; %bb.439:                              ;   in Loop: Header=BB215_243 Depth=1
	v_bfrev_b32_e32 v58, 1
	v_cmp_ne_u16_sdwa s[0:1], v18, s34 src0_sel:BYTE_0 src1_sel:DWORD
	v_mov_b32_e32 v59, 0
	s_and_saveexec_b64 s[20:21], s[0:1]
	s_cbranch_execz .LBB215_443
; %bb.440:                              ;   in Loop: Header=BB215_243 Depth=1
	v_bfe_u32 v25, v24, 16, 7
	v_mov_b32_e32 v58, 0x7f800001
	v_cmp_ne_u32_e64 s[0:1], s36, v25
	v_mov_b32_e32 v59, 0
	s_and_saveexec_b64 s[24:25], s[0:1]
	s_cbranch_execz .LBB215_442
; %bb.441:                              ;   in Loop: Header=BB215_243 Depth=1
	v_and_b32_e32 v75, 7, v18
	v_ffbh_u32_e32 v58, v75
	v_min_u32_e32 v77, 32, v58
	v_subrev_u32_e32 v58, 28, v77
	v_lshlrev_b64 v[58:59], v58, v[18:19]
	v_lshrrev_b32_e32 v76, 3, v25
	v_sub_u32_e32 v59, 29, v77
	v_and_b32_e32 v58, 7, v58
	v_cmp_gt_u32_e64 s[0:1], 8, v25
	v_cndmask_b32_e64 v25, v76, v59, s[0:1]
	v_cndmask_b32_e64 v58, v75, v58, s[0:1]
	v_lshlrev_b32_e32 v58, 20, v58
	v_and_b32_sdwa v18, sext(v18), s13 dst_sel:DWORD dst_unused:UNUSED_PAD src0_sel:BYTE_0 src1_sel:DWORD
	v_lshl_add_u32 v25, v25, 23, v68
	v_or3_b32 v18, v18, v25, v58
	v_pk_mov_b32 v[58:59], v[18:19], v[18:19] op_sel:[0,1]
.LBB215_442:                            ;   in Loop: Header=BB215_243 Depth=1
	s_or_b64 exec, exec, s[24:25]
.LBB215_443:                            ;   in Loop: Header=BB215_243 Depth=1
	s_or_b64 exec, exec, s[20:21]
.LBB215_444:                            ;   in Loop: Header=BB215_243 Depth=1
	s_or_b64 exec, exec, s[18:19]
	v_cmp_lt_u32_e64 s[0:1], s37, v24
	s_and_saveexec_b64 s[18:19], s[0:1]
	s_cbranch_execz .LBB215_450
; %bb.445:                              ;   in Loop: Header=BB215_243 Depth=1
	v_cmp_ne_u32_sdwa s[0:1], v24, s34 src0_sel:BYTE_3 src1_sel:DWORD
	v_pk_mov_b32 v[60:61], s[12:13], s[12:13] op_sel:[0,1]
	s_and_saveexec_b64 s[20:21], s[0:1]
	s_cbranch_execz .LBB215_449
; %bb.446:                              ;   in Loop: Header=BB215_243 Depth=1
	v_bfe_u32 v25, v24, 24, 7
	s_mov_b32 s10, s12
	v_cmp_ne_u32_e64 s[0:1], s36, v25
	v_pk_mov_b32 v[60:61], s[10:11], s[10:11] op_sel:[0,1]
	s_and_saveexec_b64 s[24:25], s[0:1]
	s_cbranch_execz .LBB215_448
; %bb.447:                              ;   in Loop: Header=BB215_243 Depth=1
	v_and_b32_sdwa v18, v24, v69 dst_sel:DWORD dst_unused:UNUSED_PAD src0_sel:BYTE_3 src1_sel:DWORD
	v_ffbh_u32_e32 v60, v18
	v_min_u32_e32 v76, 32, v60
	v_subrev_u32_e32 v60, 28, v76
	v_lshlrev_b64 v[60:61], v60, v[18:19]
	v_lshrrev_b32_e32 v75, 3, v25
	v_sub_u32_e32 v61, 29, v76
	v_cmp_gt_u32_e64 s[0:1], 8, v25
	v_and_b32_e32 v60, 7, v60
	v_cndmask_b32_e64 v25, v75, v61, s[0:1]
	v_cndmask_b32_e64 v18, v18, v60, s[0:1]
	v_lshlrev_b32_sdwa v24, v70, v24 dst_sel:DWORD dst_unused:UNUSED_PAD src0_sel:DWORD src1_sel:BYTE_3
	v_lshl_add_u32 v25, v25, 23, v68
	v_and_or_b32 v24, v24, s13, v25
	v_lshlrev_b32_e32 v18, 20, v18
	v_or_b32_e32 v61, v24, v18
	v_mov_b32_e32 v60, v19
.LBB215_448:                            ;   in Loop: Header=BB215_243 Depth=1
	s_or_b64 exec, exec, s[24:25]
.LBB215_449:                            ;   in Loop: Header=BB215_243 Depth=1
	s_or_b64 exec, exec, s[20:21]
.LBB215_450:                            ;   in Loop: Header=BB215_243 Depth=1
	s_or_b64 exec, exec, s[18:19]
	v_or_b32_e32 v25, v57, v55
	v_or_b32_e32 v24, v56, v54
	;; [unrolled: 1-line block ×4, first 2 shown]
	v_pk_mul_f32 v[24:25], s[16:17], v[24:25]
	v_pk_mul_f32 v[54:55], s[16:17], v[54:55]
	s_and_saveexec_b64 s[0:1], vcc
	s_cbranch_execz .LBB215_241
; %bb.451:                              ;   in Loop: Header=BB215_243 Depth=1
	v_cmp_gt_i32_e32 vcc, s33, v71
	v_cndmask_b32_e32 v24, 0, v24, vcc
	v_cmp_gt_i32_e32 vcc, s33, v74
	v_cndmask_b32_e32 v25, 0, v25, vcc
	;; [unrolled: 2-line block ×4, first 2 shown]
	s_branch .LBB215_241
.LBB215_452:
	s_or_b64 exec, exec, s[6:7]
.LBB215_453:
	s_or_b64 exec, exec, s[4:5]
	ds_bpermute_b32 v12, v65, v4
	ds_bpermute_b32 v13, v65, v5
	ds_bpermute_b32 v10, v65, v2
	ds_bpermute_b32 v11, v65, v3
	ds_bpermute_b32 v16, v65, v8
	ds_bpermute_b32 v17, v65, v9
	s_waitcnt lgkmcnt(4)
	v_pk_add_f32 v[4:5], v[4:5], v[12:13]
	ds_bpermute_b32 v12, v65, v6
	ds_bpermute_b32 v13, v65, v7
	s_waitcnt lgkmcnt(4)
	v_pk_add_f32 v[2:3], v[2:3], v[10:11]
	ds_bpermute_b32 v10, v64, v2
	ds_bpermute_b32 v11, v64, v3
	s_waitcnt lgkmcnt(4)
	v_pk_add_f32 v[16:17], v[8:9], v[16:17]
	s_waitcnt lgkmcnt(2)
	v_pk_add_f32 v[12:13], v[6:7], v[12:13]
	ds_bpermute_b32 v14, v64, v4
	ds_bpermute_b32 v15, v64, v5
	;; [unrolled: 1-line block ×6, first 2 shown]
	s_waitcnt lgkmcnt(6)
	v_pk_add_f32 v[8:9], v[2:3], v[10:11]
	v_and_b32_e32 v10, 0x3c3, v0
	s_waitcnt lgkmcnt(4)
	v_pk_add_f32 v[6:7], v[4:5], v[14:15]
	s_waitcnt lgkmcnt(2)
	v_pk_add_f32 v[2:3], v[12:13], v[18:19]
	;; [unrolled: 2-line block ×3, first 2 shown]
	v_cmp_eq_u32_e32 vcc, 64, v10
	s_barrier
	s_and_saveexec_b64 s[0:1], vcc
	s_cbranch_execz .LBB215_455
; %bb.454:
	v_add_u32_e32 v11, 0x210, v63
	ds_write2_b32 v11, v8, v9 offset1:16
	ds_write2_b32 v11, v6, v7 offset0:32 offset1:48
	ds_write2_b32 v11, v2, v3 offset0:64 offset1:80
	;; [unrolled: 1-line block ×3, first 2 shown]
.LBB215_455:
	s_or_b64 exec, exec, s[0:1]
	v_cmp_gt_u32_e32 vcc, 64, v0
	s_waitcnt lgkmcnt(0)
	s_barrier
	s_and_saveexec_b64 s[0:1], vcc
	s_cbranch_execz .LBB215_466
; %bb.456:
	v_cmp_eq_u32_e32 vcc, 0, v34
	s_and_saveexec_b64 s[4:5], vcc
	s_cbranch_execnz .LBB215_469
; %bb.457:
	s_or_b64 exec, exec, s[4:5]
	s_and_saveexec_b64 s[4:5], vcc
	s_cbranch_execnz .LBB215_470
.LBB215_458:
	s_or_b64 exec, exec, s[4:5]
	s_and_saveexec_b64 s[4:5], vcc
	s_cbranch_execnz .LBB215_471
.LBB215_459:
	s_or_b64 exec, exec, s[4:5]
	s_and_saveexec_b64 s[4:5], vcc
	s_cbranch_execnz .LBB215_472
.LBB215_460:
	s_or_b64 exec, exec, s[4:5]
	s_and_saveexec_b64 s[4:5], vcc
	s_cbranch_execnz .LBB215_473
.LBB215_461:
	s_or_b64 exec, exec, s[4:5]
	s_and_saveexec_b64 s[4:5], vcc
	s_cbranch_execnz .LBB215_474
.LBB215_462:
	s_or_b64 exec, exec, s[4:5]
	s_and_saveexec_b64 s[4:5], vcc
	s_cbranch_execnz .LBB215_475
.LBB215_463:
	s_or_b64 exec, exec, s[4:5]
	s_and_saveexec_b64 s[4:5], vcc
	s_cbranch_execz .LBB215_465
.LBB215_464:
	v_mov_b32_e32 v0, 0x210
	v_lshl_add_u32 v0, v35, 2, v0
	ds_read_b32 v0, v0 offset:448
	s_waitcnt lgkmcnt(0)
	v_add_f32_e32 v5, v5, v0
.LBB215_465:
	s_or_b64 exec, exec, s[4:5]
.LBB215_466:
	s_or_b64 exec, exec, s[0:1]
	v_cmp_eq_u32_e32 vcc, 0, v10
	s_barrier
	s_and_saveexec_b64 s[0:1], vcc
	s_cbranch_execz .LBB215_468
; %bb.467:
	s_lshl_b32 s0, s2, 7
	s_ashr_i32 s1, s0, 31
	s_lshl_b64 s[0:1], s[0:1], 2
	s_add_u32 s2, s30, s0
	s_mul_i32 s0, s29, s28
	s_addc_u32 s3, s31, s1
	s_ashr_i32 s1, s0, 31
	s_lshl_b64 s[0:1], s[0:1], 2
	s_add_u32 s2, s2, s0
	s_addc_u32 s3, s3, s1
	s_lshl_b32 s0, s8, 7
	s_ashr_i32 s1, s0, 31
	s_lshl_b64 s[0:1], s[0:1], 2
	s_add_u32 s0, s2, s0
	s_addc_u32 s1, s3, s1
	global_store_dword v1, v8, s[0:1]
	global_store_dword v1, v9, s[0:1] offset:64
	global_store_dword v1, v6, s[0:1] offset:128
	;; [unrolled: 1-line block ×7, first 2 shown]
.LBB215_468:
	s_endpgm
.LBB215_469:
	v_mov_b32_e32 v0, 0x210
	v_lshl_add_u32 v0, v35, 2, v0
	ds_read_b32 v0, v0
	s_waitcnt lgkmcnt(0)
	v_add_f32_e32 v8, v8, v0
	s_or_b64 exec, exec, s[4:5]
	s_and_saveexec_b64 s[4:5], vcc
	s_cbranch_execz .LBB215_458
.LBB215_470:
	v_mov_b32_e32 v0, 0x210
	v_lshl_add_u32 v0, v35, 2, v0
	ds_read_b32 v0, v0 offset:64
	s_waitcnt lgkmcnt(0)
	v_add_f32_e32 v9, v9, v0
	s_or_b64 exec, exec, s[4:5]
	s_and_saveexec_b64 s[4:5], vcc
	s_cbranch_execz .LBB215_459
.LBB215_471:
	v_mov_b32_e32 v0, 0x210
	v_lshl_add_u32 v0, v35, 2, v0
	ds_read_b32 v0, v0 offset:128
	s_waitcnt lgkmcnt(0)
	v_add_f32_e32 v6, v6, v0
	s_or_b64 exec, exec, s[4:5]
	s_and_saveexec_b64 s[4:5], vcc
	s_cbranch_execz .LBB215_460
.LBB215_472:
	v_mov_b32_e32 v0, 0x210
	v_lshl_add_u32 v0, v35, 2, v0
	ds_read_b32 v0, v0 offset:192
	s_waitcnt lgkmcnt(0)
	v_add_f32_e32 v7, v7, v0
	s_or_b64 exec, exec, s[4:5]
	s_and_saveexec_b64 s[4:5], vcc
	s_cbranch_execz .LBB215_461
.LBB215_473:
	v_mov_b32_e32 v0, 0x210
	v_lshl_add_u32 v0, v35, 2, v0
	ds_read_b32 v0, v0 offset:256
	s_waitcnt lgkmcnt(0)
	v_add_f32_e32 v2, v2, v0
	s_or_b64 exec, exec, s[4:5]
	s_and_saveexec_b64 s[4:5], vcc
	s_cbranch_execz .LBB215_462
.LBB215_474:
	v_mov_b32_e32 v0, 0x210
	v_lshl_add_u32 v0, v35, 2, v0
	ds_read_b32 v0, v0 offset:320
	s_waitcnt lgkmcnt(0)
	v_add_f32_e32 v3, v3, v0
	s_or_b64 exec, exec, s[4:5]
	s_and_saveexec_b64 s[4:5], vcc
	s_cbranch_execz .LBB215_463
.LBB215_475:
	v_mov_b32_e32 v0, 0x210
	v_lshl_add_u32 v0, v35, 2, v0
	ds_read_b32 v0, v0 offset:384
	s_waitcnt lgkmcnt(0)
	v_add_f32_e32 v4, v4, v0
	s_or_b64 exec, exec, s[4:5]
	s_and_saveexec_b64 s[4:5], vcc
	s_cbranch_execnz .LBB215_464
	s_branch .LBB215_465
	.section	.rodata,"a",@progbits
	.p2align	6, 0x0
	.amdhsa_kernel _ZN4vllm25paged_attention_v2_kernelIfhLi128ELi16ELi128ELNS_18Fp8KVCacheDataTypeE1ELb1ELi512EEEvPfS2_PT_PKS3_PKT0_S9_ifPKiSB_iPKfiiiSD_SD_iiiii
		.amdhsa_group_segment_fixed_size 528
		.amdhsa_private_segment_fixed_size 0
		.amdhsa_kernarg_size 400
		.amdhsa_user_sgpr_count 6
		.amdhsa_user_sgpr_private_segment_buffer 1
		.amdhsa_user_sgpr_dispatch_ptr 0
		.amdhsa_user_sgpr_queue_ptr 0
		.amdhsa_user_sgpr_kernarg_segment_ptr 1
		.amdhsa_user_sgpr_dispatch_id 0
		.amdhsa_user_sgpr_flat_scratch_init 0
		.amdhsa_user_sgpr_kernarg_preload_length 0
		.amdhsa_user_sgpr_kernarg_preload_offset 0
		.amdhsa_user_sgpr_private_segment_size 0
		.amdhsa_uses_dynamic_stack 0
		.amdhsa_system_sgpr_private_segment_wavefront_offset 0
		.amdhsa_system_sgpr_workgroup_id_x 1
		.amdhsa_system_sgpr_workgroup_id_y 1
		.amdhsa_system_sgpr_workgroup_id_z 1
		.amdhsa_system_sgpr_workgroup_info 0
		.amdhsa_system_vgpr_workitem_id 0
		.amdhsa_next_free_vgpr 98
		.amdhsa_next_free_sgpr 63
		.amdhsa_accum_offset 100
		.amdhsa_reserve_vcc 1
		.amdhsa_reserve_flat_scratch 0
		.amdhsa_float_round_mode_32 0
		.amdhsa_float_round_mode_16_64 0
		.amdhsa_float_denorm_mode_32 3
		.amdhsa_float_denorm_mode_16_64 3
		.amdhsa_dx10_clamp 1
		.amdhsa_ieee_mode 1
		.amdhsa_fp16_overflow 0
		.amdhsa_tg_split 0
		.amdhsa_exception_fp_ieee_invalid_op 0
		.amdhsa_exception_fp_denorm_src 0
		.amdhsa_exception_fp_ieee_div_zero 0
		.amdhsa_exception_fp_ieee_overflow 0
		.amdhsa_exception_fp_ieee_underflow 0
		.amdhsa_exception_fp_ieee_inexact 0
		.amdhsa_exception_int_div_zero 0
	.end_amdhsa_kernel
	.section	.text._ZN4vllm25paged_attention_v2_kernelIfhLi128ELi16ELi128ELNS_18Fp8KVCacheDataTypeE1ELb1ELi512EEEvPfS2_PT_PKS3_PKT0_S9_ifPKiSB_iPKfiiiSD_SD_iiiii,"axG",@progbits,_ZN4vllm25paged_attention_v2_kernelIfhLi128ELi16ELi128ELNS_18Fp8KVCacheDataTypeE1ELb1ELi512EEEvPfS2_PT_PKS3_PKT0_S9_ifPKiSB_iPKfiiiSD_SD_iiiii,comdat
.Lfunc_end215:
	.size	_ZN4vllm25paged_attention_v2_kernelIfhLi128ELi16ELi128ELNS_18Fp8KVCacheDataTypeE1ELb1ELi512EEEvPfS2_PT_PKS3_PKT0_S9_ifPKiSB_iPKfiiiSD_SD_iiiii, .Lfunc_end215-_ZN4vllm25paged_attention_v2_kernelIfhLi128ELi16ELi128ELNS_18Fp8KVCacheDataTypeE1ELb1ELi512EEEvPfS2_PT_PKS3_PKT0_S9_ifPKiSB_iPKfiiiSD_SD_iiiii
                                        ; -- End function
	.section	.AMDGPU.csdata,"",@progbits
; Kernel info:
; codeLenInByte = 17580
; NumSgprs: 67
; NumVgprs: 98
; NumAgprs: 0
; TotalNumVgprs: 98
; ScratchSize: 0
; MemoryBound: 0
; FloatMode: 240
; IeeeMode: 1
; LDSByteSize: 528 bytes/workgroup (compile time only)
; SGPRBlocks: 8
; VGPRBlocks: 12
; NumSGPRsForWavesPerEU: 67
; NumVGPRsForWavesPerEU: 98
; AccumOffset: 100
; Occupancy: 4
; WaveLimiterHint : 1
; COMPUTE_PGM_RSRC2:SCRATCH_EN: 0
; COMPUTE_PGM_RSRC2:USER_SGPR: 6
; COMPUTE_PGM_RSRC2:TRAP_HANDLER: 0
; COMPUTE_PGM_RSRC2:TGID_X_EN: 1
; COMPUTE_PGM_RSRC2:TGID_Y_EN: 1
; COMPUTE_PGM_RSRC2:TGID_Z_EN: 1
; COMPUTE_PGM_RSRC2:TIDIG_COMP_CNT: 0
; COMPUTE_PGM_RSRC3_GFX90A:ACCUM_OFFSET: 24
; COMPUTE_PGM_RSRC3_GFX90A:TG_SPLIT: 0
	.section	.text._ZN4vllm25paged_attention_v2_kernelIfhLi192ELi16ELi128ELNS_18Fp8KVCacheDataTypeE1ELb1ELi512EEEvPfS2_PT_PKS3_PKT0_S9_ifPKiSB_iPKfiiiSD_SD_iiiii,"axG",@progbits,_ZN4vllm25paged_attention_v2_kernelIfhLi192ELi16ELi128ELNS_18Fp8KVCacheDataTypeE1ELb1ELi512EEEvPfS2_PT_PKS3_PKT0_S9_ifPKiSB_iPKfiiiSD_SD_iiiii,comdat
	.protected	_ZN4vllm25paged_attention_v2_kernelIfhLi192ELi16ELi128ELNS_18Fp8KVCacheDataTypeE1ELb1ELi512EEEvPfS2_PT_PKS3_PKT0_S9_ifPKiSB_iPKfiiiSD_SD_iiiii ; -- Begin function _ZN4vllm25paged_attention_v2_kernelIfhLi192ELi16ELi128ELNS_18Fp8KVCacheDataTypeE1ELb1ELi512EEEvPfS2_PT_PKS3_PKT0_S9_ifPKiSB_iPKfiiiSD_SD_iiiii
	.globl	_ZN4vllm25paged_attention_v2_kernelIfhLi192ELi16ELi128ELNS_18Fp8KVCacheDataTypeE1ELb1ELi512EEEvPfS2_PT_PKS3_PKT0_S9_ifPKiSB_iPKfiiiSD_SD_iiiii
	.p2align	8
	.type	_ZN4vllm25paged_attention_v2_kernelIfhLi192ELi16ELi128ELNS_18Fp8KVCacheDataTypeE1ELb1ELi512EEEvPfS2_PT_PKS3_PKT0_S9_ifPKiSB_iPKfiiiSD_SD_iiiii,@function
_ZN4vllm25paged_attention_v2_kernelIfhLi192ELi16ELi128ELNS_18Fp8KVCacheDataTypeE1ELb1ELi512EEEvPfS2_PT_PKS3_PKT0_S9_ifPKiSB_iPKfiiiSD_SD_iiiii: ; @_ZN4vllm25paged_attention_v2_kernelIfhLi192ELi16ELi128ELNS_18Fp8KVCacheDataTypeE1ELb1ELi512EEEvPfS2_PT_PKS3_PKT0_S9_ifPKiSB_iPKfiiiSD_SD_iiiii
; %bb.0:
	s_load_dwordx2 s[0:1], s[4:5], 0x40
	s_mov_b32 s40, s7
	s_ashr_i32 s41, s7, 31
	s_lshl_b64 s[2:3], s[40:41], 2
	s_waitcnt lgkmcnt(0)
	s_add_u32 s0, s0, s2
	s_addc_u32 s1, s1, s3
	s_load_dword s41, s[0:1], 0x0
	s_lshl_b32 s54, s8, 9
	s_waitcnt lgkmcnt(0)
	s_cmp_ge_i32 s54, s41
	s_cbranch_scc1 .LBB216_674
; %bb.1:
	s_load_dword s9, s[4:5], 0x90
	s_load_dwordx2 s[44:45], s[4:5], 0x30
	s_mov_b32 s55, 0
	s_waitcnt lgkmcnt(0)
	s_abs_i32 s2, s9
	s_abs_i32 s0, s44
	v_cvt_f32_u32_e32 v1, s0
	s_sub_i32 s3, 0, s0
	s_xor_b32 s1, s9, s44
	s_ashr_i32 s1, s1, 31
	v_rcp_iflag_f32_e32 v1, v1
	v_mul_f32_e32 v1, 0x4f7ffffe, v1
	v_cvt_u32_f32_e32 v1, v1
	v_readfirstlane_b32 s7, v1
	s_mul_i32 s3, s3, s7
	s_mul_hi_u32 s3, s7, s3
	s_add_i32 s7, s7, s3
	s_mul_hi_u32 s3, s2, s7
	s_mul_i32 s7, s3, s0
	s_sub_i32 s2, s2, s7
	s_add_i32 s10, s3, 1
	s_sub_i32 s7, s2, s0
	s_cmp_ge_u32 s2, s0
	s_cselect_b32 s3, s10, s3
	s_cselect_b32 s2, s7, s2
	s_add_i32 s7, s3, 1
	s_cmp_ge_u32 s2, s0
	s_cselect_b32 s0, s7, s3
	s_xor_b32 s0, s0, s1
	s_sub_i32 s11, s0, s1
	s_abs_i32 s10, s11
	v_cvt_f32_u32_e32 v1, s10
	s_load_dwordx2 s[0:1], s[4:5], 0x50
	s_sub_i32 s2, 0, s10
	s_abs_i32 s12, s6
	v_rcp_iflag_f32_e32 v1, v1
	v_mul_f32_e32 v1, 0x4f7ffffe, v1
	v_cvt_u32_f32_e32 v1, v1
	v_readfirstlane_b32 s3, v1
	s_mul_i32 s2, s2, s3
	s_mul_hi_u32 s2, s3, s2
	s_add_i32 s2, s3, s2
	s_waitcnt lgkmcnt(0)
	s_cmp_eq_u64 s[0:1], 0
	s_cbranch_scc1 .LBB216_3
; %bb.2:
	s_ashr_i32 s7, s6, 31
	s_lshl_b64 s[14:15], s[6:7], 2
	s_add_u32 s0, s0, s14
	s_addc_u32 s1, s1, s15
	s_load_dword s55, s[0:1], 0x0
.LBB216_3:
	s_load_dwordx4 s[24:27], s[4:5], 0x0
	s_load_dwordx2 s[34:35], s[4:5], 0x10
	s_load_dwordx4 s[20:23], s[4:5], 0x20
	s_load_dwordx2 s[38:39], s[4:5], 0x38
	s_load_dword s33, s[4:5], 0x98
	s_load_dwordx4 s[16:19], s[4:5], 0x58
	s_mul_hi_u32 s7, s12, s2
	v_lshrrev_b32_e32 v51, 2, v0
	s_movk_i32 s2, 0xc0
	s_mul_i32 s36, s6, 0xc0
	v_and_b32_e32 v50, 3, v0
	s_ashr_i32 s37, s36, 31
	v_cmp_gt_u32_e32 vcc, s2, v0
	v_lshlrev_b32_e32 v1, 2, v51
	s_and_saveexec_b64 s[0:1], vcc
	s_cbranch_execz .LBB216_6
; %bb.4:
	s_load_dwordx2 s[14:15], s[4:5], 0x18
	s_waitcnt lgkmcnt(0)
	s_mul_i32 s28, s40, s16
	s_ashr_i32 s29, s28, 31
	v_mad_u32_u24 v5, v50, s2, v1
	s_lshl_b64 s[2:3], s[28:29], 2
	s_lshl_b64 s[28:29], s[36:37], 2
	s_add_u32 s2, s2, s28
	s_addc_u32 s3, s3, s29
	v_or_b32_e32 v2, v1, v50
	s_add_u32 s2, s14, s2
	v_lshlrev_b32_e32 v2, 2, v2
	s_addc_u32 s3, s15, s3
	v_mov_b32_e32 v3, s3
	v_add_co_u32_e32 v2, vcc, s2, v2
	v_subrev_u32_e32 v4, 32, v51
	v_addc_co_u32_e32 v3, vcc, 0, v3, vcc
	s_mov_b64 s[2:3], 0
.LBB216_5:                              ; =>This Inner Loop Header: Depth=1
	global_load_dword v6, v[2:3], off
	v_add_co_u32_e32 v2, vcc, 0x200, v2
	v_add_u32_e32 v4, 32, v4
	v_addc_co_u32_e32 v3, vcc, 0, v3, vcc
	v_cmp_lt_u32_e32 vcc, 15, v4
	s_or_b64 s[2:3], vcc, s[2:3]
	s_waitcnt vmcnt(0)
	ds_write_b32 v5, v6
	v_add_u32_e32 v5, 0x80, v5
	s_andn2_b64 exec, exec, s[2:3]
	s_cbranch_execnz .LBB216_5
.LBB216_6:
	s_or_b64 exec, exec, s[0:1]
	s_ashr_i32 s0, s6, 31
	s_ashr_i32 s1, s11, 31
	s_xor_b32 s0, s0, s1
	s_mul_i32 s1, s7, s10
	s_sub_i32 s1, s12, s1
	s_add_i32 s2, s7, 1
	s_sub_i32 s3, s1, s10
	s_load_dwordx4 s[28:31], s[4:5], 0x78
	s_cmp_ge_u32 s1, s10
	s_cselect_b32 s2, s2, s7
	s_cselect_b32 s1, s3, s1
	s_add_i32 s3, s2, 1
	s_cmp_ge_u32 s1, s10
	s_cselect_b32 s1, s3, s2
	s_load_dword s2, s[4:5], 0x88
	s_waitcnt lgkmcnt(0)
	s_abs_i32 s37, s31
	v_cvt_f32_u32_e32 v2, s37
	s_xor_b32 s1, s1, s0
	s_sub_i32 s53, s1, s0
	s_sub_i32 s0, 0, s37
	v_rcp_iflag_f32_e32 v2, v2
	s_add_i32 s10, s41, -1
	s_abs_i32 s3, s10
	v_mul_f32_e32 v2, 0x4f7ffffe, v2
	v_cvt_u32_f32_e32 v2, v2
	s_barrier
	v_readfirstlane_b32 s52, v2
	s_mul_i32 s0, s0, s52
	s_mul_hi_u32 s0, s52, s0
	s_add_i32 s52, s52, s0
	s_cmp_lt_i32 s2, 0
	s_mul_hi_u32 s7, s3, s52
	s_cbranch_scc0 .LBB216_8
; %bb.7:
	s_mul_i32 s0, s28, s44
	s_add_i32 s0, s53, s0
	s_mul_i32 s0, s0, s2
	s_sub_i32 s44, 1, s0
	s_ashr_i32 s10, s10, 31
	s_ashr_i32 s31, s31, 31
	s_cbranch_execz .LBB216_9
	s_branch .LBB216_10
.LBB216_8:
                                        ; implicit-def: $sgpr44
	s_ashr_i32 s10, s10, 31
	s_ashr_i32 s31, s31, 31
.LBB216_9:
	s_mul_i32 s0, s9, s28
	s_add_i32 s0, s0, s6
	s_mul_i32 s0, s0, s2
	s_add_i32 s44, s0, 1
.LBB216_10:
	s_load_dword s0, s[4:5], 0x48
	s_load_dwordx4 s[12:15], s[4:5], 0x68
	s_mul_i32 s2, s7, s37
	s_sub_i32 s2, s3, s2
	s_xor_b32 s1, s10, s31
	s_waitcnt lgkmcnt(0)
	s_mul_i32 s42, s40, s0
	s_ashr_i32 s43, s42, 31
	s_add_i32 s0, s7, 1
	s_sub_i32 s3, s2, s37
	s_cmp_ge_u32 s2, s37
	s_cselect_b32 s0, s0, s7
	s_cselect_b32 s2, s3, s2
	s_add_i32 s3, s0, 1
	s_cmp_ge_u32 s2, s37
	s_cselect_b32 s0, s3, s0
	s_xor_b32 s0, s0, s1
	s_sub_i32 s16, s0, s1
	s_add_i32 s0, s41, 15
	s_ashr_i32 s1, s0, 31
	s_lshr_b32 s1, s1, 28
	s_add_i32 s0, s0, s1
	s_lshl_b32 s56, s8, 5
	s_ashr_i32 s7, s0, 4
	s_add_i32 s0, s56, 32
	v_lshrrev_b32_e32 v63, 6, v0
	s_min_i32 s28, s0, s7
	v_or_b32_e32 v52, s56, v63
	v_cmp_gt_i32_e64 s[0:1], s28, v52
	v_mov_b32_e32 v67, 0xff7fffff
	s_mul_i32 s53, s53, s18
	v_ashrrev_i32_e32 v53, 31, v52
	v_lshl_add_u32 v84, v63, 4, s54
	v_mbcnt_lo_u32_b32 v64, -1, 0
	s_and_saveexec_b64 s[18:19], s[0:1]
	s_cbranch_execz .LBB216_308
; %bb.11:
	s_sub_i32 s57, s16, s29
	s_ashr_i32 s4, s53, 31
	s_add_u32 s5, s20, s53
	s_addc_u32 s4, s21, s4
	s_abs_i32 s58, s30
	v_cvt_f32_u32_e32 v2, s58
	v_bfe_u32 v65, v0, 2, 4
	v_lshlrev_b32_e32 v3, 4, v65
	s_sub_i32 s10, 0, s58
	v_rcp_iflag_f32_e32 v2, v2
	v_add_co_u32_e32 v54, vcc, s5, v3
	v_mov_b32_e32 v4, s4
	v_mul_f32_e32 v2, 0x4f7ffffe, v2
	v_cvt_u32_f32_e32 v2, v2
	v_addc_co_u32_e32 v55, vcc, 0, v4, vcc
	v_cmp_eq_u32_e64 s[2:3], 0, v50
	v_mul_lo_u32 v3, s10, v2
	v_mul_hi_u32 v3, v2, v3
	s_lshl_b64 s[10:11], s[42:43], 2
	v_add_u32_e32 v68, v2, v3
	v_lshlrev_b64 v[2:3], 2, v[52:53]
	s_add_u32 s10, s38, s10
	v_add_co_u32_e32 v56, vcc, s10, v2
	v_lshlrev_b32_e32 v2, 2, v65
	s_addc_u32 s11, s39, s11
	v_lshl_or_b32 v2, v63, 6, v2
	v_mov_b32_e32 v4, s11
	v_add_u32_e32 v70, 0x310, v2
	v_subrev_u32_e32 v2, s41, v65
	s_mov_b32 s59, s17
	v_mul_u32_u24_e32 v66, 0xc0, v50
	v_cmp_neq_f32_e64 s[4:5], s55, 0
	v_addc_co_u32_e32 v57, vcc, v4, v3, vcc
	v_lshl_add_u32 v69, v63, 4, s54
	v_add_u32_e32 v71, 1, v2
	s_mov_b64 s[20:21], 0
	s_movk_i32 s60, 0x80
	s_movk_i32 s61, 0x7f
	v_bfrev_b32_e32 v72, 60
	v_mbcnt_hi_u32_b32 v73, -1, v64
	v_mov_b32_e32 v67, 0xff7fffff
	v_mov_b32_e32 v74, v52
	s_branch .LBB216_14
.LBB216_12:                             ;   in Loop: Header=BB216_14 Depth=1
	s_or_b64 exec, exec, s[46:47]
.LBB216_13:                             ;   in Loop: Header=BB216_14 Depth=1
	s_or_b64 exec, exec, s[10:11]
	v_add_co_u32_e32 v56, vcc, 8, v56
	v_add_u32_e32 v74, 2, v74
	v_addc_co_u32_e32 v57, vcc, 0, v57, vcc
	v_cmp_le_i32_e32 vcc, s28, v74
	v_add_u32_e32 v69, 32, v69
	s_or_b64 s[20:21], vcc, s[20:21]
	v_add_u32_e32 v70, 0x80, v70
	s_andn2_b64 exec, exec, s[20:21]
	s_cbranch_execz .LBB216_307
.LBB216_14:                             ; =>This Inner Loop Header: Depth=1
	s_waitcnt lgkmcnt(0)
	v_sub_u32_e32 v3, 0, v69
	v_max_i32_e32 v3, v69, v3
	v_mul_hi_u32 v4, v3, s52
	v_mul_lo_u32 v5, v4, s37
	v_sub_u32_e32 v3, v3, v5
	v_add_u32_e32 v5, 1, v4
	v_cmp_le_u32_e32 vcc, s37, v3
	v_cndmask_b32_e32 v4, v4, v5, vcc
	v_subrev_u32_e32 v5, s37, v3
	v_cndmask_b32_e32 v3, v3, v5, vcc
	v_ashrrev_i32_e32 v2, 31, v69
	v_add_u32_e32 v5, 1, v4
	v_cmp_le_u32_e32 vcc, s37, v3
	v_xor_b32_e32 v2, s31, v2
	v_cndmask_b32_e32 v3, v4, v5, vcc
	v_xor_b32_e32 v3, v3, v2
	v_sub_u32_e32 v2, v3, v2
	v_add_u32_e32 v3, s44, v2
	v_sub_u32_e32 v5, 0, v3
	v_ashrrev_i32_e32 v4, 31, v3
	v_max_i32_e32 v3, v3, v5
	v_mul_hi_u32 v5, v3, v68
	v_mul_lo_u32 v5, v5, s58
	v_sub_u32_e32 v3, v3, v5
	v_subrev_u32_e32 v5, s58, v3
	v_cmp_le_u32_e32 vcc, s58, v3
	v_cndmask_b32_e32 v3, v3, v5, vcc
	v_subrev_u32_e32 v5, s58, v3
	v_cmp_le_u32_e32 vcc, s58, v3
	v_cndmask_b32_e32 v3, v3, v5, vcc
	v_xor_b32_e32 v3, v3, v4
	v_sub_u32_e32 v3, v3, v4
	v_cmp_ne_u32_e32 vcc, 0, v3
	v_cmp_ge_i32_e64 s[10:11], s57, v2
	s_and_b64 s[10:11], vcc, s[10:11]
	s_and_b64 s[48:49], s[2:3], s[10:11]
	s_and_saveexec_b64 s[46:47], s[48:49]
	s_cbranch_execz .LBB216_16
; %bb.15:                               ;   in Loop: Header=BB216_14 Depth=1
	v_mov_b32_e32 v2, 0xff7fffff
	ds_write_b32 v70, v2
.LBB216_16:                             ;   in Loop: Header=BB216_14 Depth=1
	s_or_b64 exec, exec, s[46:47]
	s_xor_b64 s[46:47], s[10:11], -1
	s_and_saveexec_b64 s[10:11], s[46:47]
	s_cbranch_execz .LBB216_13
; %bb.17:                               ;   in Loop: Header=BB216_14 Depth=1
	global_load_dword v2, v[56:57], off
	v_mov_b32_e32 v75, 0
	v_mov_b32_e32 v76, 0
	s_waitcnt vmcnt(0)
	v_mad_i64_i32 v[2:3], s[46:47], v2, s59, v[54:55]
	v_add_co_u32_e32 v58, vcc, v2, v50
	v_addc_co_u32_e32 v59, vcc, 0, v3, vcc
	global_load_ubyte v61, v[58:59], off
	ds_read_b128 v[46:49], v66
	ds_read_b128 v[42:45], v66 offset:16
	ds_read_b128 v[38:41], v66 offset:32
	ds_read_b128 v[34:37], v66 offset:48
	ds_read_b128 v[30:33], v66 offset:64
	ds_read_b128 v[26:29], v66 offset:80
	ds_read_b128 v[22:25], v66 offset:96
	ds_read_b128 v[18:21], v66 offset:112
	ds_read_b128 v[14:17], v66 offset:128
	ds_read_b128 v[10:13], v66 offset:144
	ds_read_b128 v[6:9], v66 offset:160
	ds_read_b128 v[2:5], v66 offset:176
	s_load_dword s62, s[12:13], 0x0
	s_waitcnt vmcnt(0)
	v_cmp_ne_u16_e32 vcc, 0, v61
	s_and_saveexec_b64 s[46:47], vcc
	s_cbranch_execz .LBB216_23
; %bb.18:                               ;   in Loop: Header=BB216_14 Depth=1
	v_cmp_ne_u16_e32 vcc, s60, v61
	v_bfrev_b32_e32 v76, 1
	s_and_saveexec_b64 s[48:49], vcc
	s_cbranch_execz .LBB216_22
; %bb.19:                               ;   in Loop: Header=BB216_14 Depth=1
	v_and_b32_e32 v60, 0xffff, v61
	v_and_b32_e32 v62, 0x7f, v60
	v_cmp_ne_u32_e32 vcc, s61, v62
	v_mov_b32_e32 v76, 0x7f800001
	s_and_saveexec_b64 s[50:51], vcc
	s_cbranch_execz .LBB216_21
; %bb.20:                               ;   in Loop: Header=BB216_14 Depth=1
	v_and_b32_e32 v78, 7, v60
	v_ffbh_u32_e32 v76, v78
	v_min_u32_e32 v80, 32, v76
	v_subrev_u32_e32 v76, 28, v80
	v_lshlrev_b64 v[76:77], v76, v[60:61]
	v_lshrrev_b32_e32 v79, 3, v62
	v_sub_u32_e32 v60, 29, v80
	v_and_b32_e32 v76, 7, v76
	v_cmp_gt_u32_e32 vcc, 8, v62
	v_cndmask_b32_e32 v60, v79, v60, vcc
	v_cndmask_b32_e32 v62, v78, v76, vcc
	v_lshlrev_b32_e32 v61, 24, v61
	v_lshlrev_b32_e32 v62, 20, v62
	v_and_b32_e32 v61, 0x80000000, v61
	v_lshl_add_u32 v60, v60, 23, v72
	v_or3_b32 v76, v61, v60, v62
.LBB216_21:                             ;   in Loop: Header=BB216_14 Depth=1
	s_or_b64 exec, exec, s[50:51]
.LBB216_22:                             ;   in Loop: Header=BB216_14 Depth=1
	s_or_b64 exec, exec, s[48:49]
.LBB216_23:                             ;   in Loop: Header=BB216_14 Depth=1
	s_or_b64 exec, exec, s[46:47]
	global_load_ubyte v61, v[58:59], off offset:4
	s_waitcnt vmcnt(0)
	v_cmp_ne_u16_e32 vcc, 0, v61
	s_and_saveexec_b64 s[46:47], vcc
	s_cbranch_execz .LBB216_29
; %bb.24:                               ;   in Loop: Header=BB216_14 Depth=1
	v_cmp_ne_u16_e32 vcc, s60, v61
	v_bfrev_b32_e32 v75, 1
	s_and_saveexec_b64 s[48:49], vcc
	s_cbranch_execz .LBB216_28
; %bb.25:                               ;   in Loop: Header=BB216_14 Depth=1
	v_and_b32_e32 v60, 0xffff, v61
	v_and_b32_e32 v62, 0x7f, v60
	v_cmp_ne_u32_e32 vcc, s61, v62
	v_mov_b32_e32 v75, 0x7f800001
	s_and_saveexec_b64 s[50:51], vcc
	s_cbranch_execz .LBB216_27
; %bb.26:                               ;   in Loop: Header=BB216_14 Depth=1
	v_and_b32_e32 v75, 7, v60
	v_ffbh_u32_e32 v78, v75
	v_min_u32_e32 v80, 32, v78
	v_subrev_u32_e32 v78, 28, v80
	v_lshlrev_b64 v[78:79], v78, v[60:61]
	v_lshrrev_b32_e32 v77, 3, v62
	v_sub_u32_e32 v60, 29, v80
	v_and_b32_e32 v78, 7, v78
	v_cmp_gt_u32_e32 vcc, 8, v62
	v_cndmask_b32_e32 v60, v77, v60, vcc
	v_cndmask_b32_e32 v62, v75, v78, vcc
	v_lshlrev_b32_e32 v61, 24, v61
	v_lshlrev_b32_e32 v62, 20, v62
	v_and_b32_e32 v61, 0x80000000, v61
	v_lshl_add_u32 v60, v60, 23, v72
	v_or3_b32 v75, v61, v60, v62
.LBB216_27:                             ;   in Loop: Header=BB216_14 Depth=1
	s_or_b64 exec, exec, s[50:51]
.LBB216_28:                             ;   in Loop: Header=BB216_14 Depth=1
	s_or_b64 exec, exec, s[48:49]
.LBB216_29:                             ;   in Loop: Header=BB216_14 Depth=1
	s_or_b64 exec, exec, s[46:47]
	global_load_ubyte v61, v[58:59], off offset:8
	v_mov_b32_e32 v77, 0
	v_mov_b32_e32 v78, 0
	s_waitcnt vmcnt(0)
	v_cmp_ne_u16_e32 vcc, 0, v61
	s_and_saveexec_b64 s[46:47], vcc
	s_cbranch_execz .LBB216_35
; %bb.30:                               ;   in Loop: Header=BB216_14 Depth=1
	v_cmp_ne_u16_e32 vcc, s60, v61
	v_bfrev_b32_e32 v78, 1
	s_and_saveexec_b64 s[48:49], vcc
	s_cbranch_execz .LBB216_34
; %bb.31:                               ;   in Loop: Header=BB216_14 Depth=1
	v_and_b32_e32 v60, 0xffff, v61
	v_and_b32_e32 v62, 0x7f, v60
	v_cmp_ne_u32_e32 vcc, s61, v62
	v_mov_b32_e32 v78, 0x7f800001
	s_and_saveexec_b64 s[50:51], vcc
	s_cbranch_execz .LBB216_33
; %bb.32:                               ;   in Loop: Header=BB216_14 Depth=1
	v_and_b32_e32 v80, 7, v60
	v_ffbh_u32_e32 v78, v80
	v_min_u32_e32 v82, 32, v78
	v_subrev_u32_e32 v78, 28, v82
	v_lshlrev_b64 v[78:79], v78, v[60:61]
	v_lshrrev_b32_e32 v81, 3, v62
	v_sub_u32_e32 v60, 29, v82
	v_and_b32_e32 v78, 7, v78
	v_cmp_gt_u32_e32 vcc, 8, v62
	v_cndmask_b32_e32 v60, v81, v60, vcc
	v_cndmask_b32_e32 v62, v80, v78, vcc
	v_lshlrev_b32_e32 v61, 24, v61
	v_lshlrev_b32_e32 v62, 20, v62
	v_and_b32_e32 v61, 0x80000000, v61
	v_lshl_add_u32 v60, v60, 23, v72
	v_or3_b32 v78, v61, v60, v62
.LBB216_33:                             ;   in Loop: Header=BB216_14 Depth=1
	s_or_b64 exec, exec, s[50:51]
.LBB216_34:                             ;   in Loop: Header=BB216_14 Depth=1
	s_or_b64 exec, exec, s[48:49]
.LBB216_35:                             ;   in Loop: Header=BB216_14 Depth=1
	s_or_b64 exec, exec, s[46:47]
	global_load_ubyte v61, v[58:59], off offset:12
	s_waitcnt vmcnt(0)
	v_cmp_ne_u16_e32 vcc, 0, v61
	s_and_saveexec_b64 s[46:47], vcc
	s_cbranch_execz .LBB216_41
; %bb.36:                               ;   in Loop: Header=BB216_14 Depth=1
	v_cmp_ne_u16_e32 vcc, s60, v61
	v_bfrev_b32_e32 v77, 1
	s_and_saveexec_b64 s[48:49], vcc
	s_cbranch_execz .LBB216_40
; %bb.37:                               ;   in Loop: Header=BB216_14 Depth=1
	v_and_b32_e32 v60, 0xffff, v61
	v_and_b32_e32 v62, 0x7f, v60
	v_cmp_ne_u32_e32 vcc, s61, v62
	v_mov_b32_e32 v77, 0x7f800001
	s_and_saveexec_b64 s[50:51], vcc
	s_cbranch_execz .LBB216_39
; %bb.38:                               ;   in Loop: Header=BB216_14 Depth=1
	v_and_b32_e32 v77, 7, v60
	v_ffbh_u32_e32 v80, v77
	v_min_u32_e32 v82, 32, v80
	v_subrev_u32_e32 v80, 28, v82
	v_lshlrev_b64 v[80:81], v80, v[60:61]
	v_lshrrev_b32_e32 v79, 3, v62
	v_sub_u32_e32 v60, 29, v82
	v_and_b32_e32 v80, 7, v80
	v_cmp_gt_u32_e32 vcc, 8, v62
	v_cndmask_b32_e32 v60, v79, v60, vcc
	v_cndmask_b32_e32 v62, v77, v80, vcc
	v_lshlrev_b32_e32 v61, 24, v61
	v_lshlrev_b32_e32 v62, 20, v62
	v_and_b32_e32 v61, 0x80000000, v61
	v_lshl_add_u32 v60, v60, 23, v72
	v_or3_b32 v77, v61, v60, v62
.LBB216_39:                             ;   in Loop: Header=BB216_14 Depth=1
	s_or_b64 exec, exec, s[50:51]
.LBB216_40:                             ;   in Loop: Header=BB216_14 Depth=1
	s_or_b64 exec, exec, s[48:49]
.LBB216_41:                             ;   in Loop: Header=BB216_14 Depth=1
	s_or_b64 exec, exec, s[46:47]
	global_load_ubyte v61, v[58:59], off offset:256
	v_mov_b32_e32 v79, 0
	v_mov_b32_e32 v80, 0
	s_waitcnt vmcnt(0)
	v_cmp_ne_u16_e32 vcc, 0, v61
	s_and_saveexec_b64 s[46:47], vcc
	s_cbranch_execz .LBB216_47
; %bb.42:                               ;   in Loop: Header=BB216_14 Depth=1
	v_cmp_ne_u16_e32 vcc, s60, v61
	v_bfrev_b32_e32 v80, 1
	s_and_saveexec_b64 s[48:49], vcc
	s_cbranch_execz .LBB216_46
; %bb.43:                               ;   in Loop: Header=BB216_14 Depth=1
	v_and_b32_e32 v60, 0xffff, v61
	v_and_b32_e32 v62, 0x7f, v60
	v_cmp_ne_u32_e32 vcc, s61, v62
	v_mov_b32_e32 v80, 0x7f800001
	s_and_saveexec_b64 s[50:51], vcc
	s_cbranch_execz .LBB216_45
; %bb.44:                               ;   in Loop: Header=BB216_14 Depth=1
	v_and_b32_e32 v82, 7, v60
	v_ffbh_u32_e32 v80, v82
	v_min_u32_e32 v85, 32, v80
	v_subrev_u32_e32 v80, 28, v85
	v_lshlrev_b64 v[80:81], v80, v[60:61]
	v_lshrrev_b32_e32 v83, 3, v62
	v_sub_u32_e32 v60, 29, v85
	v_and_b32_e32 v80, 7, v80
	v_cmp_gt_u32_e32 vcc, 8, v62
	v_cndmask_b32_e32 v60, v83, v60, vcc
	v_cndmask_b32_e32 v62, v82, v80, vcc
	v_lshlrev_b32_e32 v61, 24, v61
	v_lshlrev_b32_e32 v62, 20, v62
	v_and_b32_e32 v61, 0x80000000, v61
	v_lshl_add_u32 v60, v60, 23, v72
	v_or3_b32 v80, v61, v60, v62
.LBB216_45:                             ;   in Loop: Header=BB216_14 Depth=1
	s_or_b64 exec, exec, s[50:51]
.LBB216_46:                             ;   in Loop: Header=BB216_14 Depth=1
	s_or_b64 exec, exec, s[48:49]
.LBB216_47:                             ;   in Loop: Header=BB216_14 Depth=1
	s_or_b64 exec, exec, s[46:47]
	global_load_ubyte v61, v[58:59], off offset:260
	s_waitcnt vmcnt(0)
	v_cmp_ne_u16_e32 vcc, 0, v61
	s_and_saveexec_b64 s[46:47], vcc
	s_cbranch_execz .LBB216_53
; %bb.48:                               ;   in Loop: Header=BB216_14 Depth=1
	v_cmp_ne_u16_e32 vcc, s60, v61
	v_bfrev_b32_e32 v79, 1
	s_and_saveexec_b64 s[48:49], vcc
	s_cbranch_execz .LBB216_52
; %bb.49:                               ;   in Loop: Header=BB216_14 Depth=1
	v_and_b32_e32 v60, 0xffff, v61
	v_and_b32_e32 v62, 0x7f, v60
	v_cmp_ne_u32_e32 vcc, s61, v62
	v_mov_b32_e32 v79, 0x7f800001
	s_and_saveexec_b64 s[50:51], vcc
	s_cbranch_execz .LBB216_51
; %bb.50:                               ;   in Loop: Header=BB216_14 Depth=1
	v_and_b32_e32 v79, 7, v60
	v_ffbh_u32_e32 v82, v79
	v_min_u32_e32 v85, 32, v82
	v_subrev_u32_e32 v82, 28, v85
	v_lshlrev_b64 v[82:83], v82, v[60:61]
	v_lshrrev_b32_e32 v81, 3, v62
	v_sub_u32_e32 v60, 29, v85
	v_and_b32_e32 v82, 7, v82
	v_cmp_gt_u32_e32 vcc, 8, v62
	v_cndmask_b32_e32 v60, v81, v60, vcc
	v_cndmask_b32_e32 v62, v79, v82, vcc
	v_lshlrev_b32_e32 v61, 24, v61
	v_lshlrev_b32_e32 v62, 20, v62
	v_and_b32_e32 v61, 0x80000000, v61
	v_lshl_add_u32 v60, v60, 23, v72
	v_or3_b32 v79, v61, v60, v62
.LBB216_51:                             ;   in Loop: Header=BB216_14 Depth=1
	s_or_b64 exec, exec, s[50:51]
.LBB216_52:                             ;   in Loop: Header=BB216_14 Depth=1
	s_or_b64 exec, exec, s[48:49]
.LBB216_53:                             ;   in Loop: Header=BB216_14 Depth=1
	s_or_b64 exec, exec, s[46:47]
	v_add_co_u32_e32 v60, vcc, 0x100, v58
	v_addc_co_u32_e32 v61, vcc, 0, v59, vcc
	global_load_ubyte v83, v[60:61], off offset:8
	v_mov_b32_e32 v81, 0
	v_mov_b32_e32 v82, 0
	s_waitcnt vmcnt(0)
	v_cmp_ne_u16_e32 vcc, 0, v83
	s_and_saveexec_b64 s[46:47], vcc
	s_cbranch_execz .LBB216_59
; %bb.54:                               ;   in Loop: Header=BB216_14 Depth=1
	v_cmp_ne_u16_e32 vcc, s60, v83
	v_bfrev_b32_e32 v82, 1
	s_and_saveexec_b64 s[48:49], vcc
	s_cbranch_execz .LBB216_58
; %bb.55:                               ;   in Loop: Header=BB216_14 Depth=1
	v_and_b32_e32 v62, 0xffff, v83
	v_and_b32_e32 v85, 0x7f, v62
	v_cmp_ne_u32_e32 vcc, s61, v85
	v_mov_b32_e32 v82, 0x7f800001
	s_and_saveexec_b64 s[50:51], vcc
	s_cbranch_execz .LBB216_57
; %bb.56:                               ;   in Loop: Header=BB216_14 Depth=1
	v_and_b32_e32 v82, 7, v62
	v_ffbh_u32_e32 v86, v82
	v_min_u32_e32 v89, 32, v86
	v_subrev_u32_e32 v86, 28, v89
	v_lshlrev_b64 v[86:87], v86, v[62:63]
	v_lshrrev_b32_e32 v88, 3, v85
	v_sub_u32_e32 v62, 29, v89
	v_and_b32_e32 v86, 7, v86
	v_cmp_gt_u32_e32 vcc, 8, v85
	v_cndmask_b32_e32 v62, v88, v62, vcc
	v_cndmask_b32_e32 v82, v82, v86, vcc
	v_lshlrev_b32_e32 v83, 24, v83
	v_lshlrev_b32_e32 v82, 20, v82
	v_and_b32_e32 v83, 0x80000000, v83
	v_lshl_add_u32 v62, v62, 23, v72
	v_or3_b32 v82, v83, v62, v82
.LBB216_57:                             ;   in Loop: Header=BB216_14 Depth=1
	s_or_b64 exec, exec, s[50:51]
.LBB216_58:                             ;   in Loop: Header=BB216_14 Depth=1
	s_or_b64 exec, exec, s[48:49]
.LBB216_59:                             ;   in Loop: Header=BB216_14 Depth=1
	s_or_b64 exec, exec, s[46:47]
	global_load_ubyte v61, v[60:61], off offset:12
	s_waitcnt vmcnt(0)
	v_cmp_ne_u16_e32 vcc, 0, v61
	s_and_saveexec_b64 s[46:47], vcc
	s_cbranch_execz .LBB216_65
; %bb.60:                               ;   in Loop: Header=BB216_14 Depth=1
	v_cmp_ne_u16_e32 vcc, s60, v61
	v_bfrev_b32_e32 v81, 1
	s_and_saveexec_b64 s[48:49], vcc
	s_cbranch_execz .LBB216_64
; %bb.61:                               ;   in Loop: Header=BB216_14 Depth=1
	v_and_b32_e32 v60, 0xffff, v61
	v_and_b32_e32 v62, 0x7f, v60
	v_cmp_ne_u32_e32 vcc, s61, v62
	v_mov_b32_e32 v81, 0x7f800001
	s_and_saveexec_b64 s[50:51], vcc
	s_cbranch_execz .LBB216_63
; %bb.62:                               ;   in Loop: Header=BB216_14 Depth=1
	v_and_b32_e32 v81, 7, v60
	v_ffbh_u32_e32 v85, v81
	v_min_u32_e32 v85, 32, v85
	v_subrev_u32_e32 v86, 28, v85
	v_lshlrev_b64 v[86:87], v86, v[60:61]
	v_lshrrev_b32_e32 v83, 3, v62
	v_sub_u32_e32 v60, 29, v85
	v_and_b32_e32 v85, 7, v86
	v_cmp_gt_u32_e32 vcc, 8, v62
	v_cndmask_b32_e32 v60, v83, v60, vcc
	v_cndmask_b32_e32 v62, v81, v85, vcc
	v_lshlrev_b32_e32 v61, 24, v61
	v_lshlrev_b32_e32 v62, 20, v62
	v_and_b32_e32 v61, 0x80000000, v61
	v_lshl_add_u32 v60, v60, 23, v72
	v_or3_b32 v81, v61, v60, v62
.LBB216_63:                             ;   in Loop: Header=BB216_14 Depth=1
	s_or_b64 exec, exec, s[50:51]
.LBB216_64:                             ;   in Loop: Header=BB216_14 Depth=1
	s_or_b64 exec, exec, s[48:49]
.LBB216_65:                             ;   in Loop: Header=BB216_14 Depth=1
	s_or_b64 exec, exec, s[46:47]
	global_load_ubyte v61, v[58:59], off offset:512
	v_mov_b32_e32 v83, 0
	v_mov_b32_e32 v85, 0
	s_waitcnt vmcnt(0)
	v_cmp_ne_u16_e32 vcc, 0, v61
	s_and_saveexec_b64 s[46:47], vcc
	s_cbranch_execz .LBB216_71
; %bb.66:                               ;   in Loop: Header=BB216_14 Depth=1
	v_cmp_ne_u16_e32 vcc, s60, v61
	v_bfrev_b32_e32 v85, 1
	s_and_saveexec_b64 s[48:49], vcc
	s_cbranch_execz .LBB216_70
; %bb.67:                               ;   in Loop: Header=BB216_14 Depth=1
	v_and_b32_e32 v60, 0xffff, v61
	v_and_b32_e32 v62, 0x7f, v60
	v_cmp_ne_u32_e32 vcc, s61, v62
	v_mov_b32_e32 v85, 0x7f800001
	s_and_saveexec_b64 s[50:51], vcc
	s_cbranch_execz .LBB216_69
; %bb.68:                               ;   in Loop: Header=BB216_14 Depth=1
	v_and_b32_e32 v85, 7, v60
	v_ffbh_u32_e32 v86, v85
	v_min_u32_e32 v89, 32, v86
	v_subrev_u32_e32 v86, 28, v89
	v_lshlrev_b64 v[86:87], v86, v[60:61]
	v_lshrrev_b32_e32 v88, 3, v62
	v_sub_u32_e32 v60, 29, v89
	v_and_b32_e32 v86, 7, v86
	v_cmp_gt_u32_e32 vcc, 8, v62
	v_cndmask_b32_e32 v60, v88, v60, vcc
	v_cndmask_b32_e32 v62, v85, v86, vcc
	v_lshlrev_b32_e32 v61, 24, v61
	v_lshlrev_b32_e32 v62, 20, v62
	v_and_b32_e32 v61, 0x80000000, v61
	v_lshl_add_u32 v60, v60, 23, v72
	v_or3_b32 v85, v61, v60, v62
.LBB216_69:                             ;   in Loop: Header=BB216_14 Depth=1
	s_or_b64 exec, exec, s[50:51]
.LBB216_70:                             ;   in Loop: Header=BB216_14 Depth=1
	s_or_b64 exec, exec, s[48:49]
.LBB216_71:                             ;   in Loop: Header=BB216_14 Depth=1
	s_or_b64 exec, exec, s[46:47]
	global_load_ubyte v61, v[58:59], off offset:516
	s_waitcnt vmcnt(0)
	v_cmp_ne_u16_e32 vcc, 0, v61
	s_and_saveexec_b64 s[46:47], vcc
	s_cbranch_execz .LBB216_77
; %bb.72:                               ;   in Loop: Header=BB216_14 Depth=1
	v_cmp_ne_u16_e32 vcc, s60, v61
	v_bfrev_b32_e32 v83, 1
	s_and_saveexec_b64 s[48:49], vcc
	s_cbranch_execz .LBB216_76
; %bb.73:                               ;   in Loop: Header=BB216_14 Depth=1
	v_and_b32_e32 v60, 0xffff, v61
	v_and_b32_e32 v62, 0x7f, v60
	v_cmp_ne_u32_e32 vcc, s61, v62
	v_mov_b32_e32 v83, 0x7f800001
	s_and_saveexec_b64 s[50:51], vcc
	s_cbranch_execz .LBB216_75
; %bb.74:                               ;   in Loop: Header=BB216_14 Depth=1
	v_and_b32_e32 v83, 7, v60
	v_ffbh_u32_e32 v86, v83
	v_min_u32_e32 v89, 32, v86
	v_subrev_u32_e32 v86, 28, v89
	v_lshlrev_b64 v[86:87], v86, v[60:61]
	v_lshrrev_b32_e32 v88, 3, v62
	v_sub_u32_e32 v60, 29, v89
	v_and_b32_e32 v86, 7, v86
	v_cmp_gt_u32_e32 vcc, 8, v62
	v_cndmask_b32_e32 v60, v88, v60, vcc
	v_cndmask_b32_e32 v62, v83, v86, vcc
	v_lshlrev_b32_e32 v61, 24, v61
	v_lshlrev_b32_e32 v62, 20, v62
	v_and_b32_e32 v61, 0x80000000, v61
	v_lshl_add_u32 v60, v60, 23, v72
	v_or3_b32 v83, v61, v60, v62
.LBB216_75:                             ;   in Loop: Header=BB216_14 Depth=1
	s_or_b64 exec, exec, s[50:51]
.LBB216_76:                             ;   in Loop: Header=BB216_14 Depth=1
	s_or_b64 exec, exec, s[48:49]
.LBB216_77:                             ;   in Loop: Header=BB216_14 Depth=1
	s_or_b64 exec, exec, s[46:47]
	v_add_co_u32_e32 v60, vcc, 0x200, v58
	v_addc_co_u32_e32 v61, vcc, 0, v59, vcc
	global_load_ubyte v88, v[60:61], off offset:8
	v_mov_b32_e32 v86, 0
	v_mov_b32_e32 v87, 0
	s_waitcnt vmcnt(0)
	v_cmp_ne_u16_e32 vcc, 0, v88
	s_and_saveexec_b64 s[46:47], vcc
	s_cbranch_execz .LBB216_83
; %bb.78:                               ;   in Loop: Header=BB216_14 Depth=1
	v_cmp_ne_u16_e32 vcc, s60, v88
	v_bfrev_b32_e32 v87, 1
	s_and_saveexec_b64 s[48:49], vcc
	s_cbranch_execz .LBB216_82
; %bb.79:                               ;   in Loop: Header=BB216_14 Depth=1
	v_and_b32_e32 v62, 0xffff, v88
	v_and_b32_e32 v89, 0x7f, v62
	v_cmp_ne_u32_e32 vcc, s61, v89
	v_mov_b32_e32 v87, 0x7f800001
	s_and_saveexec_b64 s[50:51], vcc
	s_cbranch_execz .LBB216_81
; %bb.80:                               ;   in Loop: Header=BB216_14 Depth=1
	v_and_b32_e32 v87, 7, v62
	v_ffbh_u32_e32 v90, v87
	v_min_u32_e32 v93, 32, v90
	v_subrev_u32_e32 v90, 28, v93
	v_lshlrev_b64 v[90:91], v90, v[62:63]
	v_lshrrev_b32_e32 v92, 3, v89
	v_sub_u32_e32 v62, 29, v93
	v_and_b32_e32 v90, 7, v90
	v_cmp_gt_u32_e32 vcc, 8, v89
	v_cndmask_b32_e32 v62, v92, v62, vcc
	v_cndmask_b32_e32 v87, v87, v90, vcc
	v_lshlrev_b32_e32 v88, 24, v88
	v_lshlrev_b32_e32 v87, 20, v87
	v_and_b32_e32 v88, 0x80000000, v88
	v_lshl_add_u32 v62, v62, 23, v72
	v_or3_b32 v87, v88, v62, v87
.LBB216_81:                             ;   in Loop: Header=BB216_14 Depth=1
	s_or_b64 exec, exec, s[50:51]
.LBB216_82:                             ;   in Loop: Header=BB216_14 Depth=1
	s_or_b64 exec, exec, s[48:49]
.LBB216_83:                             ;   in Loop: Header=BB216_14 Depth=1
	s_or_b64 exec, exec, s[46:47]
	global_load_ubyte v61, v[60:61], off offset:12
	s_waitcnt vmcnt(0)
	v_cmp_ne_u16_e32 vcc, 0, v61
	s_and_saveexec_b64 s[46:47], vcc
	s_cbranch_execz .LBB216_89
; %bb.84:                               ;   in Loop: Header=BB216_14 Depth=1
	v_cmp_ne_u16_e32 vcc, s60, v61
	v_bfrev_b32_e32 v86, 1
	s_and_saveexec_b64 s[48:49], vcc
	s_cbranch_execz .LBB216_88
; %bb.85:                               ;   in Loop: Header=BB216_14 Depth=1
	v_and_b32_e32 v60, 0xffff, v61
	v_and_b32_e32 v62, 0x7f, v60
	v_cmp_ne_u32_e32 vcc, s61, v62
	v_mov_b32_e32 v86, 0x7f800001
	s_and_saveexec_b64 s[50:51], vcc
	s_cbranch_execz .LBB216_87
; %bb.86:                               ;   in Loop: Header=BB216_14 Depth=1
	v_and_b32_e32 v86, 7, v60
	v_ffbh_u32_e32 v88, v86
	v_min_u32_e32 v91, 32, v88
	v_subrev_u32_e32 v88, 28, v91
	v_lshlrev_b64 v[88:89], v88, v[60:61]
	v_lshrrev_b32_e32 v90, 3, v62
	v_sub_u32_e32 v60, 29, v91
	v_and_b32_e32 v88, 7, v88
	v_cmp_gt_u32_e32 vcc, 8, v62
	v_cndmask_b32_e32 v60, v90, v60, vcc
	v_cndmask_b32_e32 v62, v86, v88, vcc
	v_lshlrev_b32_e32 v61, 24, v61
	v_lshlrev_b32_e32 v62, 20, v62
	v_and_b32_e32 v61, 0x80000000, v61
	v_lshl_add_u32 v60, v60, 23, v72
	v_or3_b32 v86, v61, v60, v62
.LBB216_87:                             ;   in Loop: Header=BB216_14 Depth=1
	s_or_b64 exec, exec, s[50:51]
.LBB216_88:                             ;   in Loop: Header=BB216_14 Depth=1
	s_or_b64 exec, exec, s[48:49]
.LBB216_89:                             ;   in Loop: Header=BB216_14 Depth=1
	s_or_b64 exec, exec, s[46:47]
	global_load_ubyte v61, v[58:59], off offset:768
	v_mov_b32_e32 v88, 0
	v_mov_b32_e32 v89, 0
	s_waitcnt vmcnt(0)
	v_cmp_ne_u16_e32 vcc, 0, v61
	s_and_saveexec_b64 s[46:47], vcc
	s_cbranch_execz .LBB216_95
; %bb.90:                               ;   in Loop: Header=BB216_14 Depth=1
	v_cmp_ne_u16_e32 vcc, s60, v61
	v_bfrev_b32_e32 v89, 1
	s_and_saveexec_b64 s[48:49], vcc
	s_cbranch_execz .LBB216_94
; %bb.91:                               ;   in Loop: Header=BB216_14 Depth=1
	v_and_b32_e32 v60, 0xffff, v61
	v_and_b32_e32 v62, 0x7f, v60
	v_cmp_ne_u32_e32 vcc, s61, v62
	v_mov_b32_e32 v89, 0x7f800001
	s_and_saveexec_b64 s[50:51], vcc
	s_cbranch_execz .LBB216_93
; %bb.92:                               ;   in Loop: Header=BB216_14 Depth=1
	v_and_b32_e32 v89, 7, v60
	v_ffbh_u32_e32 v90, v89
	v_min_u32_e32 v93, 32, v90
	v_subrev_u32_e32 v90, 28, v93
	v_lshlrev_b64 v[90:91], v90, v[60:61]
	v_lshrrev_b32_e32 v92, 3, v62
	v_sub_u32_e32 v60, 29, v93
	v_and_b32_e32 v90, 7, v90
	v_cmp_gt_u32_e32 vcc, 8, v62
	v_cndmask_b32_e32 v60, v92, v60, vcc
	v_cndmask_b32_e32 v62, v89, v90, vcc
	v_lshlrev_b32_e32 v61, 24, v61
	v_lshlrev_b32_e32 v62, 20, v62
	v_and_b32_e32 v61, 0x80000000, v61
	v_lshl_add_u32 v60, v60, 23, v72
	v_or3_b32 v89, v61, v60, v62
.LBB216_93:                             ;   in Loop: Header=BB216_14 Depth=1
	s_or_b64 exec, exec, s[50:51]
.LBB216_94:                             ;   in Loop: Header=BB216_14 Depth=1
	s_or_b64 exec, exec, s[48:49]
.LBB216_95:                             ;   in Loop: Header=BB216_14 Depth=1
	s_or_b64 exec, exec, s[46:47]
	global_load_ubyte v61, v[58:59], off offset:772
	s_waitcnt vmcnt(0)
	v_cmp_ne_u16_e32 vcc, 0, v61
	s_and_saveexec_b64 s[46:47], vcc
	s_cbranch_execz .LBB216_101
; %bb.96:                               ;   in Loop: Header=BB216_14 Depth=1
	v_cmp_ne_u16_e32 vcc, s60, v61
	v_bfrev_b32_e32 v88, 1
	s_and_saveexec_b64 s[48:49], vcc
	s_cbranch_execz .LBB216_100
; %bb.97:                               ;   in Loop: Header=BB216_14 Depth=1
	v_and_b32_e32 v60, 0xffff, v61
	v_and_b32_e32 v62, 0x7f, v60
	v_cmp_ne_u32_e32 vcc, s61, v62
	v_mov_b32_e32 v88, 0x7f800001
	s_and_saveexec_b64 s[50:51], vcc
	s_cbranch_execz .LBB216_99
; %bb.98:                               ;   in Loop: Header=BB216_14 Depth=1
	v_and_b32_e32 v88, 7, v60
	v_ffbh_u32_e32 v90, v88
	v_min_u32_e32 v93, 32, v90
	v_subrev_u32_e32 v90, 28, v93
	v_lshlrev_b64 v[90:91], v90, v[60:61]
	v_lshrrev_b32_e32 v92, 3, v62
	v_sub_u32_e32 v60, 29, v93
	v_and_b32_e32 v90, 7, v90
	v_cmp_gt_u32_e32 vcc, 8, v62
	v_cndmask_b32_e32 v60, v92, v60, vcc
	v_cndmask_b32_e32 v62, v88, v90, vcc
	v_lshlrev_b32_e32 v61, 24, v61
	v_lshlrev_b32_e32 v62, 20, v62
	v_and_b32_e32 v61, 0x80000000, v61
	v_lshl_add_u32 v60, v60, 23, v72
	v_or3_b32 v88, v61, v60, v62
.LBB216_99:                             ;   in Loop: Header=BB216_14 Depth=1
	s_or_b64 exec, exec, s[50:51]
.LBB216_100:                            ;   in Loop: Header=BB216_14 Depth=1
	s_or_b64 exec, exec, s[48:49]
.LBB216_101:                            ;   in Loop: Header=BB216_14 Depth=1
	s_or_b64 exec, exec, s[46:47]
	v_add_co_u32_e32 v60, vcc, 0x300, v58
	v_addc_co_u32_e32 v61, vcc, 0, v59, vcc
	global_load_ubyte v92, v[60:61], off offset:8
	v_mov_b32_e32 v90, 0
	v_mov_b32_e32 v91, 0
	s_waitcnt vmcnt(0)
	v_cmp_ne_u16_e32 vcc, 0, v92
	s_and_saveexec_b64 s[46:47], vcc
	s_cbranch_execz .LBB216_107
; %bb.102:                              ;   in Loop: Header=BB216_14 Depth=1
	v_cmp_ne_u16_e32 vcc, s60, v92
	v_bfrev_b32_e32 v91, 1
	s_and_saveexec_b64 s[48:49], vcc
	s_cbranch_execz .LBB216_106
; %bb.103:                              ;   in Loop: Header=BB216_14 Depth=1
	v_and_b32_e32 v62, 0xffff, v92
	v_and_b32_e32 v93, 0x7f, v62
	v_cmp_ne_u32_e32 vcc, s61, v93
	v_mov_b32_e32 v91, 0x7f800001
	s_and_saveexec_b64 s[50:51], vcc
	s_cbranch_execz .LBB216_105
; %bb.104:                              ;   in Loop: Header=BB216_14 Depth=1
	v_and_b32_e32 v91, 7, v62
	v_ffbh_u32_e32 v94, v91
	v_min_u32_e32 v97, 32, v94
	v_subrev_u32_e32 v94, 28, v97
	v_lshlrev_b64 v[94:95], v94, v[62:63]
	v_lshrrev_b32_e32 v96, 3, v93
	v_sub_u32_e32 v62, 29, v97
	v_and_b32_e32 v94, 7, v94
	v_cmp_gt_u32_e32 vcc, 8, v93
	v_cndmask_b32_e32 v62, v96, v62, vcc
	v_cndmask_b32_e32 v91, v91, v94, vcc
	v_lshlrev_b32_e32 v92, 24, v92
	v_lshlrev_b32_e32 v91, 20, v91
	v_and_b32_e32 v92, 0x80000000, v92
	v_lshl_add_u32 v62, v62, 23, v72
	v_or3_b32 v91, v92, v62, v91
.LBB216_105:                            ;   in Loop: Header=BB216_14 Depth=1
	s_or_b64 exec, exec, s[50:51]
.LBB216_106:                            ;   in Loop: Header=BB216_14 Depth=1
	s_or_b64 exec, exec, s[48:49]
.LBB216_107:                            ;   in Loop: Header=BB216_14 Depth=1
	s_or_b64 exec, exec, s[46:47]
	global_load_ubyte v61, v[60:61], off offset:12
	s_waitcnt vmcnt(0)
	v_cmp_ne_u16_e32 vcc, 0, v61
	s_and_saveexec_b64 s[46:47], vcc
	s_cbranch_execz .LBB216_113
; %bb.108:                              ;   in Loop: Header=BB216_14 Depth=1
	v_cmp_ne_u16_e32 vcc, s60, v61
	v_bfrev_b32_e32 v90, 1
	s_and_saveexec_b64 s[48:49], vcc
	s_cbranch_execz .LBB216_112
; %bb.109:                              ;   in Loop: Header=BB216_14 Depth=1
	v_and_b32_e32 v60, 0xffff, v61
	v_and_b32_e32 v62, 0x7f, v60
	v_cmp_ne_u32_e32 vcc, s61, v62
	v_mov_b32_e32 v90, 0x7f800001
	s_and_saveexec_b64 s[50:51], vcc
	s_cbranch_execz .LBB216_111
; %bb.110:                              ;   in Loop: Header=BB216_14 Depth=1
	v_and_b32_e32 v90, 7, v60
	v_ffbh_u32_e32 v92, v90
	v_min_u32_e32 v95, 32, v92
	v_subrev_u32_e32 v92, 28, v95
	v_lshlrev_b64 v[92:93], v92, v[60:61]
	v_lshrrev_b32_e32 v94, 3, v62
	v_sub_u32_e32 v60, 29, v95
	v_and_b32_e32 v92, 7, v92
	v_cmp_gt_u32_e32 vcc, 8, v62
	v_cndmask_b32_e32 v60, v94, v60, vcc
	v_cndmask_b32_e32 v62, v90, v92, vcc
	v_lshlrev_b32_e32 v61, 24, v61
	v_lshlrev_b32_e32 v62, 20, v62
	v_and_b32_e32 v61, 0x80000000, v61
	v_lshl_add_u32 v60, v60, 23, v72
	v_or3_b32 v90, v61, v60, v62
.LBB216_111:                            ;   in Loop: Header=BB216_14 Depth=1
	s_or_b64 exec, exec, s[50:51]
.LBB216_112:                            ;   in Loop: Header=BB216_14 Depth=1
	s_or_b64 exec, exec, s[48:49]
.LBB216_113:                            ;   in Loop: Header=BB216_14 Depth=1
	s_or_b64 exec, exec, s[46:47]
	global_load_ubyte v61, v[58:59], off offset:1024
	v_mov_b32_e32 v92, 0
	v_mov_b32_e32 v93, 0
	s_waitcnt vmcnt(0)
	v_cmp_ne_u16_e32 vcc, 0, v61
	s_and_saveexec_b64 s[46:47], vcc
	s_cbranch_execz .LBB216_119
; %bb.114:                              ;   in Loop: Header=BB216_14 Depth=1
	v_cmp_ne_u16_e32 vcc, s60, v61
	v_bfrev_b32_e32 v93, 1
	s_and_saveexec_b64 s[48:49], vcc
	s_cbranch_execz .LBB216_118
; %bb.115:                              ;   in Loop: Header=BB216_14 Depth=1
	v_and_b32_e32 v60, 0xffff, v61
	v_and_b32_e32 v62, 0x7f, v60
	v_cmp_ne_u32_e32 vcc, s61, v62
	v_mov_b32_e32 v93, 0x7f800001
	s_and_saveexec_b64 s[50:51], vcc
	s_cbranch_execz .LBB216_117
; %bb.116:                              ;   in Loop: Header=BB216_14 Depth=1
	v_and_b32_e32 v93, 7, v60
	v_ffbh_u32_e32 v94, v93
	v_min_u32_e32 v97, 32, v94
	v_subrev_u32_e32 v94, 28, v97
	v_lshlrev_b64 v[94:95], v94, v[60:61]
	v_lshrrev_b32_e32 v96, 3, v62
	v_sub_u32_e32 v60, 29, v97
	v_and_b32_e32 v94, 7, v94
	v_cmp_gt_u32_e32 vcc, 8, v62
	v_cndmask_b32_e32 v60, v96, v60, vcc
	v_cndmask_b32_e32 v62, v93, v94, vcc
	v_lshlrev_b32_e32 v61, 24, v61
	v_lshlrev_b32_e32 v62, 20, v62
	v_and_b32_e32 v61, 0x80000000, v61
	v_lshl_add_u32 v60, v60, 23, v72
	v_or3_b32 v93, v61, v60, v62
.LBB216_117:                            ;   in Loop: Header=BB216_14 Depth=1
	s_or_b64 exec, exec, s[50:51]
.LBB216_118:                            ;   in Loop: Header=BB216_14 Depth=1
	s_or_b64 exec, exec, s[48:49]
.LBB216_119:                            ;   in Loop: Header=BB216_14 Depth=1
	s_or_b64 exec, exec, s[46:47]
	global_load_ubyte v61, v[58:59], off offset:1028
	s_waitcnt vmcnt(0)
	v_cmp_ne_u16_e32 vcc, 0, v61
	s_and_saveexec_b64 s[46:47], vcc
	s_cbranch_execz .LBB216_125
; %bb.120:                              ;   in Loop: Header=BB216_14 Depth=1
	v_cmp_ne_u16_e32 vcc, s60, v61
	v_bfrev_b32_e32 v92, 1
	s_and_saveexec_b64 s[48:49], vcc
	s_cbranch_execz .LBB216_124
; %bb.121:                              ;   in Loop: Header=BB216_14 Depth=1
	v_and_b32_e32 v60, 0xffff, v61
	v_and_b32_e32 v62, 0x7f, v60
	v_cmp_ne_u32_e32 vcc, s61, v62
	v_mov_b32_e32 v92, 0x7f800001
	s_and_saveexec_b64 s[50:51], vcc
	s_cbranch_execz .LBB216_123
; %bb.122:                              ;   in Loop: Header=BB216_14 Depth=1
	v_and_b32_e32 v92, 7, v60
	v_ffbh_u32_e32 v94, v92
	v_min_u32_e32 v97, 32, v94
	v_subrev_u32_e32 v94, 28, v97
	v_lshlrev_b64 v[94:95], v94, v[60:61]
	v_lshrrev_b32_e32 v96, 3, v62
	v_sub_u32_e32 v60, 29, v97
	v_and_b32_e32 v94, 7, v94
	v_cmp_gt_u32_e32 vcc, 8, v62
	v_cndmask_b32_e32 v60, v96, v60, vcc
	v_cndmask_b32_e32 v62, v92, v94, vcc
	v_lshlrev_b32_e32 v61, 24, v61
	v_lshlrev_b32_e32 v62, 20, v62
	v_and_b32_e32 v61, 0x80000000, v61
	v_lshl_add_u32 v60, v60, 23, v72
	v_or3_b32 v92, v61, v60, v62
.LBB216_123:                            ;   in Loop: Header=BB216_14 Depth=1
	s_or_b64 exec, exec, s[50:51]
.LBB216_124:                            ;   in Loop: Header=BB216_14 Depth=1
	s_or_b64 exec, exec, s[48:49]
.LBB216_125:                            ;   in Loop: Header=BB216_14 Depth=1
	s_or_b64 exec, exec, s[46:47]
	v_add_co_u32_e32 v60, vcc, 0x400, v58
	v_addc_co_u32_e32 v61, vcc, 0, v59, vcc
	global_load_ubyte v96, v[60:61], off offset:8
	v_mov_b32_e32 v94, 0
	v_mov_b32_e32 v95, 0
	s_waitcnt vmcnt(0)
	v_cmp_ne_u16_e32 vcc, 0, v96
	s_and_saveexec_b64 s[46:47], vcc
	s_cbranch_execz .LBB216_131
; %bb.126:                              ;   in Loop: Header=BB216_14 Depth=1
	v_cmp_ne_u16_e32 vcc, s60, v96
	v_bfrev_b32_e32 v95, 1
	s_and_saveexec_b64 s[48:49], vcc
	s_cbranch_execz .LBB216_130
; %bb.127:                              ;   in Loop: Header=BB216_14 Depth=1
	v_and_b32_e32 v62, 0xffff, v96
	v_and_b32_e32 v97, 0x7f, v62
	v_cmp_ne_u32_e32 vcc, s61, v97
	v_mov_b32_e32 v95, 0x7f800001
	s_and_saveexec_b64 s[50:51], vcc
	s_cbranch_execz .LBB216_129
; %bb.128:                              ;   in Loop: Header=BB216_14 Depth=1
	v_and_b32_e32 v95, 7, v62
	v_ffbh_u32_e32 v98, v95
	v_min_u32_e32 v101, 32, v98
	v_subrev_u32_e32 v98, 28, v101
	v_lshlrev_b64 v[98:99], v98, v[62:63]
	v_lshrrev_b32_e32 v100, 3, v97
	v_sub_u32_e32 v62, 29, v101
	v_and_b32_e32 v98, 7, v98
	v_cmp_gt_u32_e32 vcc, 8, v97
	v_cndmask_b32_e32 v62, v100, v62, vcc
	v_cndmask_b32_e32 v95, v95, v98, vcc
	v_lshlrev_b32_e32 v96, 24, v96
	v_lshlrev_b32_e32 v95, 20, v95
	v_and_b32_e32 v96, 0x80000000, v96
	v_lshl_add_u32 v62, v62, 23, v72
	v_or3_b32 v95, v96, v62, v95
.LBB216_129:                            ;   in Loop: Header=BB216_14 Depth=1
	s_or_b64 exec, exec, s[50:51]
.LBB216_130:                            ;   in Loop: Header=BB216_14 Depth=1
	s_or_b64 exec, exec, s[48:49]
.LBB216_131:                            ;   in Loop: Header=BB216_14 Depth=1
	s_or_b64 exec, exec, s[46:47]
	global_load_ubyte v61, v[60:61], off offset:12
	s_waitcnt vmcnt(0)
	v_cmp_ne_u16_e32 vcc, 0, v61
	s_and_saveexec_b64 s[46:47], vcc
	s_cbranch_execz .LBB216_137
; %bb.132:                              ;   in Loop: Header=BB216_14 Depth=1
	v_cmp_ne_u16_e32 vcc, s60, v61
	v_bfrev_b32_e32 v94, 1
	s_and_saveexec_b64 s[48:49], vcc
	s_cbranch_execz .LBB216_136
; %bb.133:                              ;   in Loop: Header=BB216_14 Depth=1
	v_and_b32_e32 v60, 0xffff, v61
	v_and_b32_e32 v62, 0x7f, v60
	v_cmp_ne_u32_e32 vcc, s61, v62
	v_mov_b32_e32 v94, 0x7f800001
	s_and_saveexec_b64 s[50:51], vcc
	s_cbranch_execz .LBB216_135
; %bb.134:                              ;   in Loop: Header=BB216_14 Depth=1
	v_and_b32_e32 v94, 7, v60
	v_ffbh_u32_e32 v96, v94
	v_min_u32_e32 v99, 32, v96
	v_subrev_u32_e32 v96, 28, v99
	v_lshlrev_b64 v[96:97], v96, v[60:61]
	v_lshrrev_b32_e32 v98, 3, v62
	v_sub_u32_e32 v60, 29, v99
	v_and_b32_e32 v96, 7, v96
	v_cmp_gt_u32_e32 vcc, 8, v62
	v_cndmask_b32_e32 v60, v98, v60, vcc
	v_cndmask_b32_e32 v62, v94, v96, vcc
	v_lshlrev_b32_e32 v61, 24, v61
	v_lshlrev_b32_e32 v62, 20, v62
	v_and_b32_e32 v61, 0x80000000, v61
	v_lshl_add_u32 v60, v60, 23, v72
	v_or3_b32 v94, v61, v60, v62
.LBB216_135:                            ;   in Loop: Header=BB216_14 Depth=1
	s_or_b64 exec, exec, s[50:51]
.LBB216_136:                            ;   in Loop: Header=BB216_14 Depth=1
	s_or_b64 exec, exec, s[48:49]
.LBB216_137:                            ;   in Loop: Header=BB216_14 Depth=1
	s_or_b64 exec, exec, s[46:47]
	global_load_ubyte v61, v[58:59], off offset:1280
	v_mov_b32_e32 v96, 0
	v_mov_b32_e32 v97, 0
	s_waitcnt vmcnt(0)
	v_cmp_ne_u16_e32 vcc, 0, v61
	s_and_saveexec_b64 s[46:47], vcc
	s_cbranch_execz .LBB216_143
; %bb.138:                              ;   in Loop: Header=BB216_14 Depth=1
	v_cmp_ne_u16_e32 vcc, s60, v61
	v_bfrev_b32_e32 v97, 1
	s_and_saveexec_b64 s[48:49], vcc
	s_cbranch_execz .LBB216_142
; %bb.139:                              ;   in Loop: Header=BB216_14 Depth=1
	v_and_b32_e32 v60, 0xffff, v61
	v_and_b32_e32 v62, 0x7f, v60
	v_cmp_ne_u32_e32 vcc, s61, v62
	v_mov_b32_e32 v97, 0x7f800001
	s_and_saveexec_b64 s[50:51], vcc
	s_cbranch_execz .LBB216_141
; %bb.140:                              ;   in Loop: Header=BB216_14 Depth=1
	v_and_b32_e32 v97, 7, v60
	v_ffbh_u32_e32 v98, v97
	v_min_u32_e32 v101, 32, v98
	v_subrev_u32_e32 v98, 28, v101
	v_lshlrev_b64 v[98:99], v98, v[60:61]
	v_lshrrev_b32_e32 v100, 3, v62
	v_sub_u32_e32 v60, 29, v101
	v_and_b32_e32 v98, 7, v98
	v_cmp_gt_u32_e32 vcc, 8, v62
	v_cndmask_b32_e32 v60, v100, v60, vcc
	v_cndmask_b32_e32 v62, v97, v98, vcc
	v_lshlrev_b32_e32 v61, 24, v61
	v_lshlrev_b32_e32 v62, 20, v62
	v_and_b32_e32 v61, 0x80000000, v61
	v_lshl_add_u32 v60, v60, 23, v72
	v_or3_b32 v97, v61, v60, v62
.LBB216_141:                            ;   in Loop: Header=BB216_14 Depth=1
	s_or_b64 exec, exec, s[50:51]
.LBB216_142:                            ;   in Loop: Header=BB216_14 Depth=1
	s_or_b64 exec, exec, s[48:49]
.LBB216_143:                            ;   in Loop: Header=BB216_14 Depth=1
	s_or_b64 exec, exec, s[46:47]
	global_load_ubyte v61, v[58:59], off offset:1284
	s_waitcnt vmcnt(0)
	v_cmp_ne_u16_e32 vcc, 0, v61
	s_and_saveexec_b64 s[46:47], vcc
	s_cbranch_execz .LBB216_149
; %bb.144:                              ;   in Loop: Header=BB216_14 Depth=1
	v_cmp_ne_u16_e32 vcc, s60, v61
	v_bfrev_b32_e32 v96, 1
	s_and_saveexec_b64 s[48:49], vcc
	s_cbranch_execz .LBB216_148
; %bb.145:                              ;   in Loop: Header=BB216_14 Depth=1
	v_and_b32_e32 v60, 0xffff, v61
	v_and_b32_e32 v62, 0x7f, v60
	v_cmp_ne_u32_e32 vcc, s61, v62
	v_mov_b32_e32 v96, 0x7f800001
	s_and_saveexec_b64 s[50:51], vcc
	s_cbranch_execz .LBB216_147
; %bb.146:                              ;   in Loop: Header=BB216_14 Depth=1
	v_and_b32_e32 v96, 7, v60
	v_ffbh_u32_e32 v98, v96
	v_min_u32_e32 v101, 32, v98
	v_subrev_u32_e32 v98, 28, v101
	v_lshlrev_b64 v[98:99], v98, v[60:61]
	v_lshrrev_b32_e32 v100, 3, v62
	v_sub_u32_e32 v60, 29, v101
	v_and_b32_e32 v98, 7, v98
	v_cmp_gt_u32_e32 vcc, 8, v62
	v_cndmask_b32_e32 v60, v100, v60, vcc
	v_cndmask_b32_e32 v62, v96, v98, vcc
	v_lshlrev_b32_e32 v61, 24, v61
	v_lshlrev_b32_e32 v62, 20, v62
	v_and_b32_e32 v61, 0x80000000, v61
	v_lshl_add_u32 v60, v60, 23, v72
	v_or3_b32 v96, v61, v60, v62
.LBB216_147:                            ;   in Loop: Header=BB216_14 Depth=1
	s_or_b64 exec, exec, s[50:51]
.LBB216_148:                            ;   in Loop: Header=BB216_14 Depth=1
	s_or_b64 exec, exec, s[48:49]
.LBB216_149:                            ;   in Loop: Header=BB216_14 Depth=1
	s_or_b64 exec, exec, s[46:47]
	v_add_co_u32_e32 v60, vcc, 0x500, v58
	v_addc_co_u32_e32 v61, vcc, 0, v59, vcc
	global_load_ubyte v100, v[60:61], off offset:8
	v_mov_b32_e32 v98, 0
	v_mov_b32_e32 v99, 0
	s_waitcnt vmcnt(0)
	v_cmp_ne_u16_e32 vcc, 0, v100
	s_and_saveexec_b64 s[46:47], vcc
	s_cbranch_execz .LBB216_155
; %bb.150:                              ;   in Loop: Header=BB216_14 Depth=1
	v_cmp_ne_u16_e32 vcc, s60, v100
	v_bfrev_b32_e32 v99, 1
	s_and_saveexec_b64 s[48:49], vcc
	s_cbranch_execz .LBB216_154
; %bb.151:                              ;   in Loop: Header=BB216_14 Depth=1
	v_and_b32_e32 v62, 0xffff, v100
	v_and_b32_e32 v101, 0x7f, v62
	v_cmp_ne_u32_e32 vcc, s61, v101
	v_mov_b32_e32 v99, 0x7f800001
	s_and_saveexec_b64 s[50:51], vcc
	s_cbranch_execz .LBB216_153
; %bb.152:                              ;   in Loop: Header=BB216_14 Depth=1
	v_and_b32_e32 v99, 7, v62
	v_ffbh_u32_e32 v102, v99
	v_min_u32_e32 v105, 32, v102
	v_subrev_u32_e32 v102, 28, v105
	v_lshlrev_b64 v[102:103], v102, v[62:63]
	v_lshrrev_b32_e32 v104, 3, v101
	v_sub_u32_e32 v62, 29, v105
	v_and_b32_e32 v102, 7, v102
	v_cmp_gt_u32_e32 vcc, 8, v101
	v_cndmask_b32_e32 v62, v104, v62, vcc
	v_cndmask_b32_e32 v99, v99, v102, vcc
	v_lshlrev_b32_e32 v100, 24, v100
	v_lshlrev_b32_e32 v99, 20, v99
	v_and_b32_e32 v100, 0x80000000, v100
	v_lshl_add_u32 v62, v62, 23, v72
	v_or3_b32 v99, v100, v62, v99
.LBB216_153:                            ;   in Loop: Header=BB216_14 Depth=1
	s_or_b64 exec, exec, s[50:51]
.LBB216_154:                            ;   in Loop: Header=BB216_14 Depth=1
	s_or_b64 exec, exec, s[48:49]
.LBB216_155:                            ;   in Loop: Header=BB216_14 Depth=1
	s_or_b64 exec, exec, s[46:47]
	global_load_ubyte v61, v[60:61], off offset:12
	s_waitcnt vmcnt(0)
	v_cmp_ne_u16_e32 vcc, 0, v61
	s_and_saveexec_b64 s[46:47], vcc
	s_cbranch_execz .LBB216_161
; %bb.156:                              ;   in Loop: Header=BB216_14 Depth=1
	v_cmp_ne_u16_e32 vcc, s60, v61
	v_bfrev_b32_e32 v98, 1
	s_and_saveexec_b64 s[48:49], vcc
	s_cbranch_execz .LBB216_160
; %bb.157:                              ;   in Loop: Header=BB216_14 Depth=1
	v_and_b32_e32 v60, 0xffff, v61
	v_and_b32_e32 v62, 0x7f, v60
	v_cmp_ne_u32_e32 vcc, s61, v62
	v_mov_b32_e32 v98, 0x7f800001
	s_and_saveexec_b64 s[50:51], vcc
	s_cbranch_execz .LBB216_159
; %bb.158:                              ;   in Loop: Header=BB216_14 Depth=1
	v_and_b32_e32 v98, 7, v60
	v_ffbh_u32_e32 v100, v98
	v_min_u32_e32 v103, 32, v100
	v_subrev_u32_e32 v100, 28, v103
	v_lshlrev_b64 v[100:101], v100, v[60:61]
	v_lshrrev_b32_e32 v102, 3, v62
	v_sub_u32_e32 v60, 29, v103
	v_and_b32_e32 v100, 7, v100
	v_cmp_gt_u32_e32 vcc, 8, v62
	v_cndmask_b32_e32 v60, v102, v60, vcc
	v_cndmask_b32_e32 v62, v98, v100, vcc
	v_lshlrev_b32_e32 v61, 24, v61
	v_lshlrev_b32_e32 v62, 20, v62
	v_and_b32_e32 v61, 0x80000000, v61
	v_lshl_add_u32 v60, v60, 23, v72
	v_or3_b32 v98, v61, v60, v62
.LBB216_159:                            ;   in Loop: Header=BB216_14 Depth=1
	s_or_b64 exec, exec, s[50:51]
.LBB216_160:                            ;   in Loop: Header=BB216_14 Depth=1
	s_or_b64 exec, exec, s[48:49]
.LBB216_161:                            ;   in Loop: Header=BB216_14 Depth=1
	s_or_b64 exec, exec, s[46:47]
	global_load_ubyte v61, v[58:59], off offset:1536
	v_mov_b32_e32 v100, 0
	v_mov_b32_e32 v101, 0
	s_waitcnt vmcnt(0)
	v_cmp_ne_u16_e32 vcc, 0, v61
	s_and_saveexec_b64 s[46:47], vcc
	s_cbranch_execz .LBB216_167
; %bb.162:                              ;   in Loop: Header=BB216_14 Depth=1
	v_cmp_ne_u16_e32 vcc, s60, v61
	v_bfrev_b32_e32 v101, 1
	s_and_saveexec_b64 s[48:49], vcc
	s_cbranch_execz .LBB216_166
; %bb.163:                              ;   in Loop: Header=BB216_14 Depth=1
	v_and_b32_e32 v60, 0xffff, v61
	v_and_b32_e32 v62, 0x7f, v60
	v_cmp_ne_u32_e32 vcc, s61, v62
	v_mov_b32_e32 v101, 0x7f800001
	s_and_saveexec_b64 s[50:51], vcc
	s_cbranch_execz .LBB216_165
; %bb.164:                              ;   in Loop: Header=BB216_14 Depth=1
	v_and_b32_e32 v101, 7, v60
	v_ffbh_u32_e32 v102, v101
	v_min_u32_e32 v105, 32, v102
	v_subrev_u32_e32 v102, 28, v105
	v_lshlrev_b64 v[102:103], v102, v[60:61]
	v_lshrrev_b32_e32 v104, 3, v62
	v_sub_u32_e32 v60, 29, v105
	v_and_b32_e32 v102, 7, v102
	v_cmp_gt_u32_e32 vcc, 8, v62
	v_cndmask_b32_e32 v60, v104, v60, vcc
	v_cndmask_b32_e32 v62, v101, v102, vcc
	v_lshlrev_b32_e32 v61, 24, v61
	v_lshlrev_b32_e32 v62, 20, v62
	v_and_b32_e32 v61, 0x80000000, v61
	v_lshl_add_u32 v60, v60, 23, v72
	v_or3_b32 v101, v61, v60, v62
.LBB216_165:                            ;   in Loop: Header=BB216_14 Depth=1
	s_or_b64 exec, exec, s[50:51]
.LBB216_166:                            ;   in Loop: Header=BB216_14 Depth=1
	s_or_b64 exec, exec, s[48:49]
.LBB216_167:                            ;   in Loop: Header=BB216_14 Depth=1
	s_or_b64 exec, exec, s[46:47]
	global_load_ubyte v61, v[58:59], off offset:1540
	s_waitcnt vmcnt(0)
	v_cmp_ne_u16_e32 vcc, 0, v61
	s_and_saveexec_b64 s[46:47], vcc
	s_cbranch_execz .LBB216_173
; %bb.168:                              ;   in Loop: Header=BB216_14 Depth=1
	v_cmp_ne_u16_e32 vcc, s60, v61
	v_bfrev_b32_e32 v100, 1
	s_and_saveexec_b64 s[48:49], vcc
	s_cbranch_execz .LBB216_172
; %bb.169:                              ;   in Loop: Header=BB216_14 Depth=1
	v_and_b32_e32 v60, 0xffff, v61
	v_and_b32_e32 v62, 0x7f, v60
	v_cmp_ne_u32_e32 vcc, s61, v62
	v_mov_b32_e32 v100, 0x7f800001
	s_and_saveexec_b64 s[50:51], vcc
	s_cbranch_execz .LBB216_171
; %bb.170:                              ;   in Loop: Header=BB216_14 Depth=1
	v_and_b32_e32 v100, 7, v60
	v_ffbh_u32_e32 v102, v100
	v_min_u32_e32 v105, 32, v102
	v_subrev_u32_e32 v102, 28, v105
	v_lshlrev_b64 v[102:103], v102, v[60:61]
	v_lshrrev_b32_e32 v104, 3, v62
	v_sub_u32_e32 v60, 29, v105
	v_and_b32_e32 v102, 7, v102
	v_cmp_gt_u32_e32 vcc, 8, v62
	v_cndmask_b32_e32 v60, v104, v60, vcc
	v_cndmask_b32_e32 v62, v100, v102, vcc
	v_lshlrev_b32_e32 v61, 24, v61
	v_lshlrev_b32_e32 v62, 20, v62
	v_and_b32_e32 v61, 0x80000000, v61
	v_lshl_add_u32 v60, v60, 23, v72
	v_or3_b32 v100, v61, v60, v62
.LBB216_171:                            ;   in Loop: Header=BB216_14 Depth=1
	s_or_b64 exec, exec, s[50:51]
.LBB216_172:                            ;   in Loop: Header=BB216_14 Depth=1
	s_or_b64 exec, exec, s[48:49]
.LBB216_173:                            ;   in Loop: Header=BB216_14 Depth=1
	s_or_b64 exec, exec, s[46:47]
	v_add_co_u32_e32 v60, vcc, 0x600, v58
	v_addc_co_u32_e32 v61, vcc, 0, v59, vcc
	global_load_ubyte v104, v[60:61], off offset:8
	v_mov_b32_e32 v102, 0
	v_mov_b32_e32 v103, 0
	s_waitcnt vmcnt(0)
	v_cmp_ne_u16_e32 vcc, 0, v104
	s_and_saveexec_b64 s[46:47], vcc
	s_cbranch_execz .LBB216_179
; %bb.174:                              ;   in Loop: Header=BB216_14 Depth=1
	v_cmp_ne_u16_e32 vcc, s60, v104
	v_bfrev_b32_e32 v103, 1
	s_and_saveexec_b64 s[48:49], vcc
	s_cbranch_execz .LBB216_178
; %bb.175:                              ;   in Loop: Header=BB216_14 Depth=1
	v_and_b32_e32 v62, 0xffff, v104
	v_and_b32_e32 v105, 0x7f, v62
	v_cmp_ne_u32_e32 vcc, s61, v105
	v_mov_b32_e32 v103, 0x7f800001
	s_and_saveexec_b64 s[50:51], vcc
	s_cbranch_execz .LBB216_177
; %bb.176:                              ;   in Loop: Header=BB216_14 Depth=1
	v_and_b32_e32 v103, 7, v62
	v_ffbh_u32_e32 v106, v103
	v_min_u32_e32 v109, 32, v106
	v_subrev_u32_e32 v106, 28, v109
	v_lshlrev_b64 v[106:107], v106, v[62:63]
	v_lshrrev_b32_e32 v108, 3, v105
	v_sub_u32_e32 v62, 29, v109
	v_and_b32_e32 v106, 7, v106
	v_cmp_gt_u32_e32 vcc, 8, v105
	v_cndmask_b32_e32 v62, v108, v62, vcc
	v_cndmask_b32_e32 v103, v103, v106, vcc
	v_lshlrev_b32_e32 v104, 24, v104
	v_lshlrev_b32_e32 v103, 20, v103
	v_and_b32_e32 v104, 0x80000000, v104
	v_lshl_add_u32 v62, v62, 23, v72
	v_or3_b32 v103, v104, v62, v103
.LBB216_177:                            ;   in Loop: Header=BB216_14 Depth=1
	s_or_b64 exec, exec, s[50:51]
.LBB216_178:                            ;   in Loop: Header=BB216_14 Depth=1
	s_or_b64 exec, exec, s[48:49]
.LBB216_179:                            ;   in Loop: Header=BB216_14 Depth=1
	s_or_b64 exec, exec, s[46:47]
	global_load_ubyte v61, v[60:61], off offset:12
	s_waitcnt vmcnt(0)
	v_cmp_ne_u16_e32 vcc, 0, v61
	s_and_saveexec_b64 s[46:47], vcc
	s_cbranch_execz .LBB216_185
; %bb.180:                              ;   in Loop: Header=BB216_14 Depth=1
	v_cmp_ne_u16_e32 vcc, s60, v61
	v_bfrev_b32_e32 v102, 1
	s_and_saveexec_b64 s[48:49], vcc
	s_cbranch_execz .LBB216_184
; %bb.181:                              ;   in Loop: Header=BB216_14 Depth=1
	v_and_b32_e32 v60, 0xffff, v61
	v_and_b32_e32 v62, 0x7f, v60
	v_cmp_ne_u32_e32 vcc, s61, v62
	v_mov_b32_e32 v102, 0x7f800001
	s_and_saveexec_b64 s[50:51], vcc
	s_cbranch_execz .LBB216_183
; %bb.182:                              ;   in Loop: Header=BB216_14 Depth=1
	v_and_b32_e32 v102, 7, v60
	v_ffbh_u32_e32 v104, v102
	v_min_u32_e32 v107, 32, v104
	v_subrev_u32_e32 v104, 28, v107
	v_lshlrev_b64 v[104:105], v104, v[60:61]
	v_lshrrev_b32_e32 v106, 3, v62
	v_sub_u32_e32 v60, 29, v107
	v_and_b32_e32 v104, 7, v104
	v_cmp_gt_u32_e32 vcc, 8, v62
	v_cndmask_b32_e32 v60, v106, v60, vcc
	v_cndmask_b32_e32 v62, v102, v104, vcc
	v_lshlrev_b32_e32 v61, 24, v61
	v_lshlrev_b32_e32 v62, 20, v62
	v_and_b32_e32 v61, 0x80000000, v61
	v_lshl_add_u32 v60, v60, 23, v72
	v_or3_b32 v102, v61, v60, v62
.LBB216_183:                            ;   in Loop: Header=BB216_14 Depth=1
	s_or_b64 exec, exec, s[50:51]
.LBB216_184:                            ;   in Loop: Header=BB216_14 Depth=1
	s_or_b64 exec, exec, s[48:49]
.LBB216_185:                            ;   in Loop: Header=BB216_14 Depth=1
	s_or_b64 exec, exec, s[46:47]
	global_load_ubyte v61, v[58:59], off offset:1792
	v_mov_b32_e32 v104, 0
	v_mov_b32_e32 v105, 0
	s_waitcnt vmcnt(0)
	v_cmp_ne_u16_e32 vcc, 0, v61
	s_and_saveexec_b64 s[46:47], vcc
	s_cbranch_execz .LBB216_191
; %bb.186:                              ;   in Loop: Header=BB216_14 Depth=1
	v_cmp_ne_u16_e32 vcc, s60, v61
	v_bfrev_b32_e32 v105, 1
	s_and_saveexec_b64 s[48:49], vcc
	s_cbranch_execz .LBB216_190
; %bb.187:                              ;   in Loop: Header=BB216_14 Depth=1
	v_and_b32_e32 v60, 0xffff, v61
	v_and_b32_e32 v62, 0x7f, v60
	v_cmp_ne_u32_e32 vcc, s61, v62
	v_mov_b32_e32 v105, 0x7f800001
	s_and_saveexec_b64 s[50:51], vcc
	s_cbranch_execz .LBB216_189
; %bb.188:                              ;   in Loop: Header=BB216_14 Depth=1
	v_and_b32_e32 v105, 7, v60
	v_ffbh_u32_e32 v106, v105
	v_min_u32_e32 v109, 32, v106
	v_subrev_u32_e32 v106, 28, v109
	v_lshlrev_b64 v[106:107], v106, v[60:61]
	v_lshrrev_b32_e32 v108, 3, v62
	v_sub_u32_e32 v60, 29, v109
	v_and_b32_e32 v106, 7, v106
	v_cmp_gt_u32_e32 vcc, 8, v62
	v_cndmask_b32_e32 v60, v108, v60, vcc
	v_cndmask_b32_e32 v62, v105, v106, vcc
	v_lshlrev_b32_e32 v61, 24, v61
	v_lshlrev_b32_e32 v62, 20, v62
	v_and_b32_e32 v61, 0x80000000, v61
	v_lshl_add_u32 v60, v60, 23, v72
	v_or3_b32 v105, v61, v60, v62
.LBB216_189:                            ;   in Loop: Header=BB216_14 Depth=1
	s_or_b64 exec, exec, s[50:51]
.LBB216_190:                            ;   in Loop: Header=BB216_14 Depth=1
	s_or_b64 exec, exec, s[48:49]
.LBB216_191:                            ;   in Loop: Header=BB216_14 Depth=1
	s_or_b64 exec, exec, s[46:47]
	global_load_ubyte v61, v[58:59], off offset:1796
	s_waitcnt vmcnt(0)
	v_cmp_ne_u16_e32 vcc, 0, v61
	s_and_saveexec_b64 s[46:47], vcc
	s_cbranch_execz .LBB216_197
; %bb.192:                              ;   in Loop: Header=BB216_14 Depth=1
	v_cmp_ne_u16_e32 vcc, s60, v61
	v_bfrev_b32_e32 v104, 1
	s_and_saveexec_b64 s[48:49], vcc
	s_cbranch_execz .LBB216_196
; %bb.193:                              ;   in Loop: Header=BB216_14 Depth=1
	v_and_b32_e32 v60, 0xffff, v61
	v_and_b32_e32 v62, 0x7f, v60
	v_cmp_ne_u32_e32 vcc, s61, v62
	v_mov_b32_e32 v104, 0x7f800001
	s_and_saveexec_b64 s[50:51], vcc
	s_cbranch_execz .LBB216_195
; %bb.194:                              ;   in Loop: Header=BB216_14 Depth=1
	v_and_b32_e32 v104, 7, v60
	v_ffbh_u32_e32 v106, v104
	v_min_u32_e32 v109, 32, v106
	v_subrev_u32_e32 v106, 28, v109
	v_lshlrev_b64 v[106:107], v106, v[60:61]
	v_lshrrev_b32_e32 v108, 3, v62
	v_sub_u32_e32 v60, 29, v109
	v_and_b32_e32 v106, 7, v106
	v_cmp_gt_u32_e32 vcc, 8, v62
	v_cndmask_b32_e32 v60, v108, v60, vcc
	v_cndmask_b32_e32 v62, v104, v106, vcc
	v_lshlrev_b32_e32 v61, 24, v61
	v_lshlrev_b32_e32 v62, 20, v62
	v_and_b32_e32 v61, 0x80000000, v61
	v_lshl_add_u32 v60, v60, 23, v72
	v_or3_b32 v104, v61, v60, v62
.LBB216_195:                            ;   in Loop: Header=BB216_14 Depth=1
	s_or_b64 exec, exec, s[50:51]
.LBB216_196:                            ;   in Loop: Header=BB216_14 Depth=1
	s_or_b64 exec, exec, s[48:49]
.LBB216_197:                            ;   in Loop: Header=BB216_14 Depth=1
	s_or_b64 exec, exec, s[46:47]
	v_add_co_u32_e32 v60, vcc, 0x700, v58
	v_addc_co_u32_e32 v61, vcc, 0, v59, vcc
	global_load_ubyte v108, v[60:61], off offset:8
	v_mov_b32_e32 v106, 0
	v_mov_b32_e32 v107, 0
	s_waitcnt vmcnt(0)
	v_cmp_ne_u16_e32 vcc, 0, v108
	s_and_saveexec_b64 s[46:47], vcc
	s_cbranch_execz .LBB216_203
; %bb.198:                              ;   in Loop: Header=BB216_14 Depth=1
	v_cmp_ne_u16_e32 vcc, s60, v108
	v_bfrev_b32_e32 v107, 1
	s_and_saveexec_b64 s[48:49], vcc
	s_cbranch_execz .LBB216_202
; %bb.199:                              ;   in Loop: Header=BB216_14 Depth=1
	v_and_b32_e32 v62, 0xffff, v108
	v_and_b32_e32 v109, 0x7f, v62
	v_cmp_ne_u32_e32 vcc, s61, v109
	v_mov_b32_e32 v107, 0x7f800001
	s_and_saveexec_b64 s[50:51], vcc
	s_cbranch_execz .LBB216_201
; %bb.200:                              ;   in Loop: Header=BB216_14 Depth=1
	v_and_b32_e32 v107, 7, v62
	v_ffbh_u32_e32 v110, v107
	v_min_u32_e32 v113, 32, v110
	v_subrev_u32_e32 v110, 28, v113
	v_lshlrev_b64 v[110:111], v110, v[62:63]
	v_lshrrev_b32_e32 v112, 3, v109
	v_sub_u32_e32 v62, 29, v113
	v_and_b32_e32 v110, 7, v110
	v_cmp_gt_u32_e32 vcc, 8, v109
	v_cndmask_b32_e32 v62, v112, v62, vcc
	v_cndmask_b32_e32 v107, v107, v110, vcc
	v_lshlrev_b32_e32 v108, 24, v108
	v_lshlrev_b32_e32 v107, 20, v107
	v_and_b32_e32 v108, 0x80000000, v108
	v_lshl_add_u32 v62, v62, 23, v72
	v_or3_b32 v107, v108, v62, v107
.LBB216_201:                            ;   in Loop: Header=BB216_14 Depth=1
	s_or_b64 exec, exec, s[50:51]
.LBB216_202:                            ;   in Loop: Header=BB216_14 Depth=1
	s_or_b64 exec, exec, s[48:49]
.LBB216_203:                            ;   in Loop: Header=BB216_14 Depth=1
	s_or_b64 exec, exec, s[46:47]
	global_load_ubyte v61, v[60:61], off offset:12
	s_waitcnt vmcnt(0)
	v_cmp_ne_u16_e32 vcc, 0, v61
	s_and_saveexec_b64 s[46:47], vcc
	s_cbranch_execz .LBB216_209
; %bb.204:                              ;   in Loop: Header=BB216_14 Depth=1
	v_cmp_ne_u16_e32 vcc, s60, v61
	v_bfrev_b32_e32 v106, 1
	s_and_saveexec_b64 s[48:49], vcc
	s_cbranch_execz .LBB216_208
; %bb.205:                              ;   in Loop: Header=BB216_14 Depth=1
	v_and_b32_e32 v60, 0xffff, v61
	v_and_b32_e32 v62, 0x7f, v60
	v_cmp_ne_u32_e32 vcc, s61, v62
	v_mov_b32_e32 v106, 0x7f800001
	s_and_saveexec_b64 s[50:51], vcc
	s_cbranch_execz .LBB216_207
; %bb.206:                              ;   in Loop: Header=BB216_14 Depth=1
	v_and_b32_e32 v106, 7, v60
	v_ffbh_u32_e32 v108, v106
	v_min_u32_e32 v111, 32, v108
	v_subrev_u32_e32 v108, 28, v111
	v_lshlrev_b64 v[108:109], v108, v[60:61]
	v_lshrrev_b32_e32 v110, 3, v62
	v_sub_u32_e32 v60, 29, v111
	v_and_b32_e32 v108, 7, v108
	v_cmp_gt_u32_e32 vcc, 8, v62
	v_cndmask_b32_e32 v60, v110, v60, vcc
	v_cndmask_b32_e32 v62, v106, v108, vcc
	v_lshlrev_b32_e32 v61, 24, v61
	v_lshlrev_b32_e32 v62, 20, v62
	v_and_b32_e32 v61, 0x80000000, v61
	v_lshl_add_u32 v60, v60, 23, v72
	v_or3_b32 v106, v61, v60, v62
.LBB216_207:                            ;   in Loop: Header=BB216_14 Depth=1
	s_or_b64 exec, exec, s[50:51]
.LBB216_208:                            ;   in Loop: Header=BB216_14 Depth=1
	s_or_b64 exec, exec, s[48:49]
.LBB216_209:                            ;   in Loop: Header=BB216_14 Depth=1
	s_or_b64 exec, exec, s[46:47]
	global_load_ubyte v61, v[58:59], off offset:2048
	v_mov_b32_e32 v108, 0
	v_mov_b32_e32 v109, 0
	s_waitcnt vmcnt(0)
	v_cmp_ne_u16_e32 vcc, 0, v61
	s_and_saveexec_b64 s[46:47], vcc
	s_cbranch_execz .LBB216_215
; %bb.210:                              ;   in Loop: Header=BB216_14 Depth=1
	v_cmp_ne_u16_e32 vcc, s60, v61
	v_bfrev_b32_e32 v109, 1
	s_and_saveexec_b64 s[48:49], vcc
	s_cbranch_execz .LBB216_214
; %bb.211:                              ;   in Loop: Header=BB216_14 Depth=1
	v_and_b32_e32 v60, 0xffff, v61
	v_and_b32_e32 v62, 0x7f, v60
	v_cmp_ne_u32_e32 vcc, s61, v62
	v_mov_b32_e32 v109, 0x7f800001
	s_and_saveexec_b64 s[50:51], vcc
	s_cbranch_execz .LBB216_213
; %bb.212:                              ;   in Loop: Header=BB216_14 Depth=1
	v_and_b32_e32 v109, 7, v60
	v_ffbh_u32_e32 v110, v109
	v_min_u32_e32 v113, 32, v110
	v_subrev_u32_e32 v110, 28, v113
	v_lshlrev_b64 v[110:111], v110, v[60:61]
	v_lshrrev_b32_e32 v112, 3, v62
	v_sub_u32_e32 v60, 29, v113
	v_and_b32_e32 v110, 7, v110
	v_cmp_gt_u32_e32 vcc, 8, v62
	v_cndmask_b32_e32 v60, v112, v60, vcc
	v_cndmask_b32_e32 v62, v109, v110, vcc
	v_lshlrev_b32_e32 v61, 24, v61
	v_lshlrev_b32_e32 v62, 20, v62
	v_and_b32_e32 v61, 0x80000000, v61
	v_lshl_add_u32 v60, v60, 23, v72
	v_or3_b32 v109, v61, v60, v62
.LBB216_213:                            ;   in Loop: Header=BB216_14 Depth=1
	s_or_b64 exec, exec, s[50:51]
.LBB216_214:                            ;   in Loop: Header=BB216_14 Depth=1
	s_or_b64 exec, exec, s[48:49]
.LBB216_215:                            ;   in Loop: Header=BB216_14 Depth=1
	s_or_b64 exec, exec, s[46:47]
	global_load_ubyte v61, v[58:59], off offset:2052
	s_waitcnt vmcnt(0)
	v_cmp_ne_u16_e32 vcc, 0, v61
	s_and_saveexec_b64 s[46:47], vcc
	s_cbranch_execz .LBB216_221
; %bb.216:                              ;   in Loop: Header=BB216_14 Depth=1
	v_cmp_ne_u16_e32 vcc, s60, v61
	v_bfrev_b32_e32 v108, 1
	s_and_saveexec_b64 s[48:49], vcc
	s_cbranch_execz .LBB216_220
; %bb.217:                              ;   in Loop: Header=BB216_14 Depth=1
	v_and_b32_e32 v60, 0xffff, v61
	v_and_b32_e32 v62, 0x7f, v60
	v_cmp_ne_u32_e32 vcc, s61, v62
	v_mov_b32_e32 v108, 0x7f800001
	s_and_saveexec_b64 s[50:51], vcc
	s_cbranch_execz .LBB216_219
; %bb.218:                              ;   in Loop: Header=BB216_14 Depth=1
	v_and_b32_e32 v108, 7, v60
	v_ffbh_u32_e32 v110, v108
	v_min_u32_e32 v113, 32, v110
	v_subrev_u32_e32 v110, 28, v113
	v_lshlrev_b64 v[110:111], v110, v[60:61]
	v_lshrrev_b32_e32 v112, 3, v62
	v_sub_u32_e32 v60, 29, v113
	v_and_b32_e32 v110, 7, v110
	v_cmp_gt_u32_e32 vcc, 8, v62
	v_cndmask_b32_e32 v60, v112, v60, vcc
	v_cndmask_b32_e32 v62, v108, v110, vcc
	v_lshlrev_b32_e32 v61, 24, v61
	v_lshlrev_b32_e32 v62, 20, v62
	v_and_b32_e32 v61, 0x80000000, v61
	v_lshl_add_u32 v60, v60, 23, v72
	v_or3_b32 v108, v61, v60, v62
.LBB216_219:                            ;   in Loop: Header=BB216_14 Depth=1
	s_or_b64 exec, exec, s[50:51]
.LBB216_220:                            ;   in Loop: Header=BB216_14 Depth=1
	s_or_b64 exec, exec, s[48:49]
.LBB216_221:                            ;   in Loop: Header=BB216_14 Depth=1
	s_or_b64 exec, exec, s[46:47]
	v_add_co_u32_e32 v60, vcc, 0x800, v58
	v_addc_co_u32_e32 v61, vcc, 0, v59, vcc
	global_load_ubyte v112, v[60:61], off offset:8
	v_mov_b32_e32 v110, 0
	v_mov_b32_e32 v111, 0
	s_waitcnt vmcnt(0)
	v_cmp_ne_u16_e32 vcc, 0, v112
	s_and_saveexec_b64 s[46:47], vcc
	s_cbranch_execz .LBB216_227
; %bb.222:                              ;   in Loop: Header=BB216_14 Depth=1
	v_cmp_ne_u16_e32 vcc, s60, v112
	v_bfrev_b32_e32 v111, 1
	s_and_saveexec_b64 s[48:49], vcc
	s_cbranch_execz .LBB216_226
; %bb.223:                              ;   in Loop: Header=BB216_14 Depth=1
	v_and_b32_e32 v62, 0xffff, v112
	v_and_b32_e32 v113, 0x7f, v62
	v_cmp_ne_u32_e32 vcc, s61, v113
	v_mov_b32_e32 v111, 0x7f800001
	s_and_saveexec_b64 s[50:51], vcc
	s_cbranch_execz .LBB216_225
; %bb.224:                              ;   in Loop: Header=BB216_14 Depth=1
	v_and_b32_e32 v111, 7, v62
	v_ffbh_u32_e32 v114, v111
	v_min_u32_e32 v117, 32, v114
	v_subrev_u32_e32 v114, 28, v117
	v_lshlrev_b64 v[114:115], v114, v[62:63]
	v_lshrrev_b32_e32 v116, 3, v113
	v_sub_u32_e32 v62, 29, v117
	v_and_b32_e32 v114, 7, v114
	v_cmp_gt_u32_e32 vcc, 8, v113
	v_cndmask_b32_e32 v62, v116, v62, vcc
	v_cndmask_b32_e32 v111, v111, v114, vcc
	v_lshlrev_b32_e32 v112, 24, v112
	v_lshlrev_b32_e32 v111, 20, v111
	v_and_b32_e32 v112, 0x80000000, v112
	v_lshl_add_u32 v62, v62, 23, v72
	v_or3_b32 v111, v112, v62, v111
.LBB216_225:                            ;   in Loop: Header=BB216_14 Depth=1
	s_or_b64 exec, exec, s[50:51]
.LBB216_226:                            ;   in Loop: Header=BB216_14 Depth=1
	s_or_b64 exec, exec, s[48:49]
.LBB216_227:                            ;   in Loop: Header=BB216_14 Depth=1
	s_or_b64 exec, exec, s[46:47]
	global_load_ubyte v61, v[60:61], off offset:12
	s_waitcnt vmcnt(0)
	v_cmp_ne_u16_e32 vcc, 0, v61
	s_and_saveexec_b64 s[46:47], vcc
	s_cbranch_execz .LBB216_233
; %bb.228:                              ;   in Loop: Header=BB216_14 Depth=1
	v_cmp_ne_u16_e32 vcc, s60, v61
	v_bfrev_b32_e32 v110, 1
	s_and_saveexec_b64 s[48:49], vcc
	s_cbranch_execz .LBB216_232
; %bb.229:                              ;   in Loop: Header=BB216_14 Depth=1
	v_and_b32_e32 v60, 0xffff, v61
	v_and_b32_e32 v62, 0x7f, v60
	v_cmp_ne_u32_e32 vcc, s61, v62
	v_mov_b32_e32 v110, 0x7f800001
	s_and_saveexec_b64 s[50:51], vcc
	s_cbranch_execz .LBB216_231
; %bb.230:                              ;   in Loop: Header=BB216_14 Depth=1
	v_and_b32_e32 v110, 7, v60
	v_ffbh_u32_e32 v112, v110
	v_min_u32_e32 v115, 32, v112
	v_subrev_u32_e32 v112, 28, v115
	v_lshlrev_b64 v[112:113], v112, v[60:61]
	v_lshrrev_b32_e32 v114, 3, v62
	v_sub_u32_e32 v60, 29, v115
	v_and_b32_e32 v112, 7, v112
	v_cmp_gt_u32_e32 vcc, 8, v62
	v_cndmask_b32_e32 v60, v114, v60, vcc
	v_cndmask_b32_e32 v62, v110, v112, vcc
	v_lshlrev_b32_e32 v61, 24, v61
	v_lshlrev_b32_e32 v62, 20, v62
	v_and_b32_e32 v61, 0x80000000, v61
	v_lshl_add_u32 v60, v60, 23, v72
	v_or3_b32 v110, v61, v60, v62
.LBB216_231:                            ;   in Loop: Header=BB216_14 Depth=1
	s_or_b64 exec, exec, s[50:51]
.LBB216_232:                            ;   in Loop: Header=BB216_14 Depth=1
	s_or_b64 exec, exec, s[48:49]
.LBB216_233:                            ;   in Loop: Header=BB216_14 Depth=1
	s_or_b64 exec, exec, s[46:47]
	global_load_ubyte v61, v[58:59], off offset:2304
	v_mov_b32_e32 v112, 0
	v_mov_b32_e32 v113, 0
	s_waitcnt vmcnt(0)
	v_cmp_ne_u16_e32 vcc, 0, v61
	s_and_saveexec_b64 s[46:47], vcc
	s_cbranch_execz .LBB216_239
; %bb.234:                              ;   in Loop: Header=BB216_14 Depth=1
	v_cmp_ne_u16_e32 vcc, s60, v61
	v_bfrev_b32_e32 v113, 1
	s_and_saveexec_b64 s[48:49], vcc
	s_cbranch_execz .LBB216_238
; %bb.235:                              ;   in Loop: Header=BB216_14 Depth=1
	v_and_b32_e32 v60, 0xffff, v61
	v_and_b32_e32 v62, 0x7f, v60
	v_cmp_ne_u32_e32 vcc, s61, v62
	v_mov_b32_e32 v113, 0x7f800001
	s_and_saveexec_b64 s[50:51], vcc
	s_cbranch_execz .LBB216_237
; %bb.236:                              ;   in Loop: Header=BB216_14 Depth=1
	v_and_b32_e32 v113, 7, v60
	v_ffbh_u32_e32 v114, v113
	v_min_u32_e32 v117, 32, v114
	v_subrev_u32_e32 v114, 28, v117
	v_lshlrev_b64 v[114:115], v114, v[60:61]
	v_lshrrev_b32_e32 v116, 3, v62
	v_sub_u32_e32 v60, 29, v117
	v_and_b32_e32 v114, 7, v114
	v_cmp_gt_u32_e32 vcc, 8, v62
	v_cndmask_b32_e32 v60, v116, v60, vcc
	v_cndmask_b32_e32 v62, v113, v114, vcc
	v_lshlrev_b32_e32 v61, 24, v61
	v_lshlrev_b32_e32 v62, 20, v62
	v_and_b32_e32 v61, 0x80000000, v61
	v_lshl_add_u32 v60, v60, 23, v72
	v_or3_b32 v113, v61, v60, v62
.LBB216_237:                            ;   in Loop: Header=BB216_14 Depth=1
	s_or_b64 exec, exec, s[50:51]
.LBB216_238:                            ;   in Loop: Header=BB216_14 Depth=1
	s_or_b64 exec, exec, s[48:49]
.LBB216_239:                            ;   in Loop: Header=BB216_14 Depth=1
	s_or_b64 exec, exec, s[46:47]
	global_load_ubyte v61, v[58:59], off offset:2308
	s_waitcnt vmcnt(0)
	v_cmp_ne_u16_e32 vcc, 0, v61
	s_and_saveexec_b64 s[46:47], vcc
	s_cbranch_execz .LBB216_245
; %bb.240:                              ;   in Loop: Header=BB216_14 Depth=1
	v_cmp_ne_u16_e32 vcc, s60, v61
	v_bfrev_b32_e32 v112, 1
	s_and_saveexec_b64 s[48:49], vcc
	s_cbranch_execz .LBB216_244
; %bb.241:                              ;   in Loop: Header=BB216_14 Depth=1
	v_and_b32_e32 v60, 0xffff, v61
	v_and_b32_e32 v62, 0x7f, v60
	v_cmp_ne_u32_e32 vcc, s61, v62
	v_mov_b32_e32 v112, 0x7f800001
	s_and_saveexec_b64 s[50:51], vcc
	s_cbranch_execz .LBB216_243
; %bb.242:                              ;   in Loop: Header=BB216_14 Depth=1
	v_and_b32_e32 v112, 7, v60
	v_ffbh_u32_e32 v114, v112
	v_min_u32_e32 v117, 32, v114
	v_subrev_u32_e32 v114, 28, v117
	v_lshlrev_b64 v[114:115], v114, v[60:61]
	v_lshrrev_b32_e32 v116, 3, v62
	v_sub_u32_e32 v60, 29, v117
	v_and_b32_e32 v114, 7, v114
	v_cmp_gt_u32_e32 vcc, 8, v62
	v_cndmask_b32_e32 v60, v116, v60, vcc
	v_cndmask_b32_e32 v62, v112, v114, vcc
	v_lshlrev_b32_e32 v61, 24, v61
	v_lshlrev_b32_e32 v62, 20, v62
	v_and_b32_e32 v61, 0x80000000, v61
	v_lshl_add_u32 v60, v60, 23, v72
	v_or3_b32 v112, v61, v60, v62
.LBB216_243:                            ;   in Loop: Header=BB216_14 Depth=1
	s_or_b64 exec, exec, s[50:51]
.LBB216_244:                            ;   in Loop: Header=BB216_14 Depth=1
	s_or_b64 exec, exec, s[48:49]
.LBB216_245:                            ;   in Loop: Header=BB216_14 Depth=1
	s_or_b64 exec, exec, s[46:47]
	v_add_co_u32_e32 v60, vcc, 0x900, v58
	v_addc_co_u32_e32 v61, vcc, 0, v59, vcc
	global_load_ubyte v116, v[60:61], off offset:8
	v_mov_b32_e32 v114, 0
	v_mov_b32_e32 v115, 0
	s_waitcnt vmcnt(0)
	v_cmp_ne_u16_e32 vcc, 0, v116
	s_and_saveexec_b64 s[46:47], vcc
	s_cbranch_execz .LBB216_251
; %bb.246:                              ;   in Loop: Header=BB216_14 Depth=1
	v_cmp_ne_u16_e32 vcc, s60, v116
	v_bfrev_b32_e32 v115, 1
	s_and_saveexec_b64 s[48:49], vcc
	s_cbranch_execz .LBB216_250
; %bb.247:                              ;   in Loop: Header=BB216_14 Depth=1
	v_and_b32_e32 v62, 0xffff, v116
	v_and_b32_e32 v117, 0x7f, v62
	v_cmp_ne_u32_e32 vcc, s61, v117
	v_mov_b32_e32 v115, 0x7f800001
	s_and_saveexec_b64 s[50:51], vcc
	s_cbranch_execz .LBB216_249
; %bb.248:                              ;   in Loop: Header=BB216_14 Depth=1
	v_and_b32_e32 v115, 7, v62
	v_ffbh_u32_e32 v118, v115
	v_min_u32_e32 v121, 32, v118
	v_subrev_u32_e32 v118, 28, v121
	v_lshlrev_b64 v[118:119], v118, v[62:63]
	v_lshrrev_b32_e32 v120, 3, v117
	v_sub_u32_e32 v62, 29, v121
	v_and_b32_e32 v118, 7, v118
	v_cmp_gt_u32_e32 vcc, 8, v117
	v_cndmask_b32_e32 v62, v120, v62, vcc
	v_cndmask_b32_e32 v115, v115, v118, vcc
	v_lshlrev_b32_e32 v116, 24, v116
	v_lshlrev_b32_e32 v115, 20, v115
	v_and_b32_e32 v116, 0x80000000, v116
	v_lshl_add_u32 v62, v62, 23, v72
	v_or3_b32 v115, v116, v62, v115
.LBB216_249:                            ;   in Loop: Header=BB216_14 Depth=1
	s_or_b64 exec, exec, s[50:51]
.LBB216_250:                            ;   in Loop: Header=BB216_14 Depth=1
	s_or_b64 exec, exec, s[48:49]
.LBB216_251:                            ;   in Loop: Header=BB216_14 Depth=1
	s_or_b64 exec, exec, s[46:47]
	global_load_ubyte v61, v[60:61], off offset:12
	s_waitcnt vmcnt(0)
	v_cmp_ne_u16_e32 vcc, 0, v61
	s_and_saveexec_b64 s[46:47], vcc
	s_cbranch_execz .LBB216_257
; %bb.252:                              ;   in Loop: Header=BB216_14 Depth=1
	v_cmp_ne_u16_e32 vcc, s60, v61
	v_bfrev_b32_e32 v114, 1
	s_and_saveexec_b64 s[48:49], vcc
	s_cbranch_execz .LBB216_256
; %bb.253:                              ;   in Loop: Header=BB216_14 Depth=1
	v_and_b32_e32 v60, 0xffff, v61
	v_and_b32_e32 v62, 0x7f, v60
	v_cmp_ne_u32_e32 vcc, s61, v62
	v_mov_b32_e32 v114, 0x7f800001
	s_and_saveexec_b64 s[50:51], vcc
	s_cbranch_execz .LBB216_255
; %bb.254:                              ;   in Loop: Header=BB216_14 Depth=1
	v_and_b32_e32 v114, 7, v60
	v_ffbh_u32_e32 v116, v114
	v_min_u32_e32 v119, 32, v116
	v_subrev_u32_e32 v116, 28, v119
	v_lshlrev_b64 v[116:117], v116, v[60:61]
	v_lshrrev_b32_e32 v118, 3, v62
	v_sub_u32_e32 v60, 29, v119
	v_and_b32_e32 v116, 7, v116
	v_cmp_gt_u32_e32 vcc, 8, v62
	v_cndmask_b32_e32 v60, v118, v60, vcc
	v_cndmask_b32_e32 v62, v114, v116, vcc
	v_lshlrev_b32_e32 v61, 24, v61
	v_lshlrev_b32_e32 v62, 20, v62
	v_and_b32_e32 v61, 0x80000000, v61
	v_lshl_add_u32 v60, v60, 23, v72
	v_or3_b32 v114, v61, v60, v62
.LBB216_255:                            ;   in Loop: Header=BB216_14 Depth=1
	s_or_b64 exec, exec, s[50:51]
.LBB216_256:                            ;   in Loop: Header=BB216_14 Depth=1
	s_or_b64 exec, exec, s[48:49]
.LBB216_257:                            ;   in Loop: Header=BB216_14 Depth=1
	s_or_b64 exec, exec, s[46:47]
	global_load_ubyte v61, v[58:59], off offset:2560
	v_mov_b32_e32 v116, 0
	v_mov_b32_e32 v117, 0
	s_waitcnt vmcnt(0)
	v_cmp_ne_u16_e32 vcc, 0, v61
	s_and_saveexec_b64 s[46:47], vcc
	s_cbranch_execz .LBB216_263
; %bb.258:                              ;   in Loop: Header=BB216_14 Depth=1
	v_cmp_ne_u16_e32 vcc, s60, v61
	v_bfrev_b32_e32 v117, 1
	s_and_saveexec_b64 s[48:49], vcc
	s_cbranch_execz .LBB216_262
; %bb.259:                              ;   in Loop: Header=BB216_14 Depth=1
	v_and_b32_e32 v60, 0xffff, v61
	v_and_b32_e32 v62, 0x7f, v60
	v_cmp_ne_u32_e32 vcc, s61, v62
	v_mov_b32_e32 v117, 0x7f800001
	s_and_saveexec_b64 s[50:51], vcc
	s_cbranch_execz .LBB216_261
; %bb.260:                              ;   in Loop: Header=BB216_14 Depth=1
	v_and_b32_e32 v117, 7, v60
	v_ffbh_u32_e32 v118, v117
	v_min_u32_e32 v121, 32, v118
	v_subrev_u32_e32 v118, 28, v121
	v_lshlrev_b64 v[118:119], v118, v[60:61]
	v_lshrrev_b32_e32 v120, 3, v62
	v_sub_u32_e32 v60, 29, v121
	v_and_b32_e32 v118, 7, v118
	v_cmp_gt_u32_e32 vcc, 8, v62
	v_cndmask_b32_e32 v60, v120, v60, vcc
	v_cndmask_b32_e32 v62, v117, v118, vcc
	v_lshlrev_b32_e32 v61, 24, v61
	v_lshlrev_b32_e32 v62, 20, v62
	v_and_b32_e32 v61, 0x80000000, v61
	v_lshl_add_u32 v60, v60, 23, v72
	v_or3_b32 v117, v61, v60, v62
.LBB216_261:                            ;   in Loop: Header=BB216_14 Depth=1
	s_or_b64 exec, exec, s[50:51]
.LBB216_262:                            ;   in Loop: Header=BB216_14 Depth=1
	s_or_b64 exec, exec, s[48:49]
.LBB216_263:                            ;   in Loop: Header=BB216_14 Depth=1
	s_or_b64 exec, exec, s[46:47]
	global_load_ubyte v61, v[58:59], off offset:2564
	s_waitcnt vmcnt(0)
	v_cmp_ne_u16_e32 vcc, 0, v61
	s_and_saveexec_b64 s[46:47], vcc
	s_cbranch_execz .LBB216_269
; %bb.264:                              ;   in Loop: Header=BB216_14 Depth=1
	v_cmp_ne_u16_e32 vcc, s60, v61
	v_bfrev_b32_e32 v116, 1
	s_and_saveexec_b64 s[48:49], vcc
	s_cbranch_execz .LBB216_268
; %bb.265:                              ;   in Loop: Header=BB216_14 Depth=1
	v_and_b32_e32 v60, 0xffff, v61
	v_and_b32_e32 v62, 0x7f, v60
	v_cmp_ne_u32_e32 vcc, s61, v62
	v_mov_b32_e32 v116, 0x7f800001
	s_and_saveexec_b64 s[50:51], vcc
	s_cbranch_execz .LBB216_267
; %bb.266:                              ;   in Loop: Header=BB216_14 Depth=1
	v_and_b32_e32 v116, 7, v60
	v_ffbh_u32_e32 v118, v116
	v_min_u32_e32 v121, 32, v118
	v_subrev_u32_e32 v118, 28, v121
	v_lshlrev_b64 v[118:119], v118, v[60:61]
	v_lshrrev_b32_e32 v120, 3, v62
	v_sub_u32_e32 v60, 29, v121
	v_and_b32_e32 v118, 7, v118
	v_cmp_gt_u32_e32 vcc, 8, v62
	v_cndmask_b32_e32 v60, v120, v60, vcc
	v_cndmask_b32_e32 v62, v116, v118, vcc
	v_lshlrev_b32_e32 v61, 24, v61
	v_lshlrev_b32_e32 v62, 20, v62
	v_and_b32_e32 v61, 0x80000000, v61
	v_lshl_add_u32 v60, v60, 23, v72
	v_or3_b32 v116, v61, v60, v62
.LBB216_267:                            ;   in Loop: Header=BB216_14 Depth=1
	s_or_b64 exec, exec, s[50:51]
.LBB216_268:                            ;   in Loop: Header=BB216_14 Depth=1
	s_or_b64 exec, exec, s[48:49]
.LBB216_269:                            ;   in Loop: Header=BB216_14 Depth=1
	s_or_b64 exec, exec, s[46:47]
	v_add_co_u32_e32 v60, vcc, 0xa00, v58
	v_addc_co_u32_e32 v61, vcc, 0, v59, vcc
	global_load_ubyte v120, v[60:61], off offset:8
	v_mov_b32_e32 v118, 0
	v_mov_b32_e32 v119, 0
	s_waitcnt vmcnt(0)
	v_cmp_ne_u16_e32 vcc, 0, v120
	s_and_saveexec_b64 s[46:47], vcc
	s_cbranch_execz .LBB216_275
; %bb.270:                              ;   in Loop: Header=BB216_14 Depth=1
	v_cmp_ne_u16_e32 vcc, s60, v120
	v_bfrev_b32_e32 v119, 1
	s_and_saveexec_b64 s[48:49], vcc
	s_cbranch_execz .LBB216_274
; %bb.271:                              ;   in Loop: Header=BB216_14 Depth=1
	v_and_b32_e32 v62, 0xffff, v120
	v_and_b32_e32 v121, 0x7f, v62
	v_cmp_ne_u32_e32 vcc, s61, v121
	v_mov_b32_e32 v119, 0x7f800001
	s_and_saveexec_b64 s[50:51], vcc
	s_cbranch_execz .LBB216_273
; %bb.272:                              ;   in Loop: Header=BB216_14 Depth=1
	v_and_b32_e32 v119, 7, v62
	v_ffbh_u32_e32 v122, v119
	v_min_u32_e32 v125, 32, v122
	v_subrev_u32_e32 v122, 28, v125
	v_lshlrev_b64 v[122:123], v122, v[62:63]
	v_lshrrev_b32_e32 v124, 3, v121
	v_sub_u32_e32 v62, 29, v125
	v_and_b32_e32 v122, 7, v122
	v_cmp_gt_u32_e32 vcc, 8, v121
	v_cndmask_b32_e32 v62, v124, v62, vcc
	v_cndmask_b32_e32 v119, v119, v122, vcc
	v_lshlrev_b32_e32 v120, 24, v120
	v_lshlrev_b32_e32 v119, 20, v119
	v_and_b32_e32 v120, 0x80000000, v120
	v_lshl_add_u32 v62, v62, 23, v72
	v_or3_b32 v119, v120, v62, v119
.LBB216_273:                            ;   in Loop: Header=BB216_14 Depth=1
	s_or_b64 exec, exec, s[50:51]
.LBB216_274:                            ;   in Loop: Header=BB216_14 Depth=1
	s_or_b64 exec, exec, s[48:49]
.LBB216_275:                            ;   in Loop: Header=BB216_14 Depth=1
	s_or_b64 exec, exec, s[46:47]
	global_load_ubyte v61, v[60:61], off offset:12
	s_waitcnt vmcnt(0)
	v_cmp_ne_u16_e32 vcc, 0, v61
	s_and_saveexec_b64 s[46:47], vcc
	s_cbranch_execz .LBB216_281
; %bb.276:                              ;   in Loop: Header=BB216_14 Depth=1
	v_cmp_ne_u16_e32 vcc, s60, v61
	v_bfrev_b32_e32 v118, 1
	s_and_saveexec_b64 s[48:49], vcc
	s_cbranch_execz .LBB216_280
; %bb.277:                              ;   in Loop: Header=BB216_14 Depth=1
	v_and_b32_e32 v60, 0xffff, v61
	v_and_b32_e32 v62, 0x7f, v60
	v_cmp_ne_u32_e32 vcc, s61, v62
	v_mov_b32_e32 v118, 0x7f800001
	s_and_saveexec_b64 s[50:51], vcc
	s_cbranch_execz .LBB216_279
; %bb.278:                              ;   in Loop: Header=BB216_14 Depth=1
	v_and_b32_e32 v118, 7, v60
	v_ffbh_u32_e32 v120, v118
	v_min_u32_e32 v123, 32, v120
	v_subrev_u32_e32 v120, 28, v123
	v_lshlrev_b64 v[120:121], v120, v[60:61]
	v_lshrrev_b32_e32 v122, 3, v62
	v_sub_u32_e32 v60, 29, v123
	v_and_b32_e32 v120, 7, v120
	v_cmp_gt_u32_e32 vcc, 8, v62
	v_cndmask_b32_e32 v60, v122, v60, vcc
	v_cndmask_b32_e32 v62, v118, v120, vcc
	v_lshlrev_b32_e32 v61, 24, v61
	v_lshlrev_b32_e32 v62, 20, v62
	v_and_b32_e32 v61, 0x80000000, v61
	v_lshl_add_u32 v60, v60, 23, v72
	v_or3_b32 v118, v61, v60, v62
.LBB216_279:                            ;   in Loop: Header=BB216_14 Depth=1
	s_or_b64 exec, exec, s[50:51]
.LBB216_280:                            ;   in Loop: Header=BB216_14 Depth=1
	s_or_b64 exec, exec, s[48:49]
.LBB216_281:                            ;   in Loop: Header=BB216_14 Depth=1
	s_or_b64 exec, exec, s[46:47]
	global_load_ubyte v120, v[58:59], off offset:2816
	v_mov_b32_e32 v61, 0
	v_mov_b32_e32 v62, 0
	s_waitcnt vmcnt(0)
	v_cmp_ne_u16_e32 vcc, 0, v120
	s_and_saveexec_b64 s[46:47], vcc
	s_cbranch_execz .LBB216_287
; %bb.282:                              ;   in Loop: Header=BB216_14 Depth=1
	v_cmp_ne_u16_e32 vcc, s60, v120
	v_bfrev_b32_e32 v62, 1
	s_and_saveexec_b64 s[48:49], vcc
	s_cbranch_execz .LBB216_286
; %bb.283:                              ;   in Loop: Header=BB216_14 Depth=1
	v_and_b32_e32 v60, 0xffff, v120
	v_and_b32_e32 v121, 0x7f, v60
	v_cmp_ne_u32_e32 vcc, s61, v121
	v_mov_b32_e32 v62, 0x7f800001
	s_and_saveexec_b64 s[50:51], vcc
	s_cbranch_execz .LBB216_285
; %bb.284:                              ;   in Loop: Header=BB216_14 Depth=1
	v_and_b32_e32 v62, 7, v60
	v_ffbh_u32_e32 v122, v62
	v_min_u32_e32 v125, 32, v122
	v_subrev_u32_e32 v122, 28, v125
	v_lshlrev_b64 v[122:123], v122, v[60:61]
	v_lshrrev_b32_e32 v124, 3, v121
	v_sub_u32_e32 v60, 29, v125
	v_and_b32_e32 v122, 7, v122
	v_cmp_gt_u32_e32 vcc, 8, v121
	v_cndmask_b32_e32 v60, v124, v60, vcc
	v_cndmask_b32_e32 v62, v62, v122, vcc
	v_lshlrev_b32_e32 v120, 24, v120
	v_lshlrev_b32_e32 v62, 20, v62
	v_and_b32_e32 v120, 0x80000000, v120
	v_lshl_add_u32 v60, v60, 23, v72
	v_or3_b32 v62, v120, v60, v62
.LBB216_285:                            ;   in Loop: Header=BB216_14 Depth=1
	s_or_b64 exec, exec, s[50:51]
.LBB216_286:                            ;   in Loop: Header=BB216_14 Depth=1
	s_or_b64 exec, exec, s[48:49]
.LBB216_287:                            ;   in Loop: Header=BB216_14 Depth=1
	s_or_b64 exec, exec, s[46:47]
	global_load_ubyte v120, v[58:59], off offset:2820
	s_waitcnt vmcnt(0)
	v_cmp_ne_u16_e32 vcc, 0, v120
	s_and_saveexec_b64 s[46:47], vcc
	s_cbranch_execz .LBB216_293
; %bb.288:                              ;   in Loop: Header=BB216_14 Depth=1
	v_cmp_ne_u16_e32 vcc, s60, v120
	v_bfrev_b32_e32 v61, 1
	s_and_saveexec_b64 s[48:49], vcc
	s_cbranch_execz .LBB216_292
; %bb.289:                              ;   in Loop: Header=BB216_14 Depth=1
	v_and_b32_e32 v60, 0xffff, v120
	v_and_b32_e32 v121, 0x7f, v60
	v_cmp_ne_u32_e32 vcc, s61, v121
	v_mov_b32_e32 v61, 0x7f800001
	s_and_saveexec_b64 s[50:51], vcc
	s_cbranch_execz .LBB216_291
; %bb.290:                              ;   in Loop: Header=BB216_14 Depth=1
	v_and_b32_e32 v122, 7, v60
	v_ffbh_u32_e32 v61, v122
	v_min_u32_e32 v124, 32, v61
	v_subrev_u32_e32 v61, 28, v124
	v_lshlrev_b64 v[60:61], v61, v[60:61]
	v_lshrrev_b32_e32 v123, 3, v121
	v_sub_u32_e32 v61, 29, v124
	v_and_b32_e32 v60, 7, v60
	v_cmp_gt_u32_e32 vcc, 8, v121
	v_cndmask_b32_e32 v61, v123, v61, vcc
	v_cndmask_b32_e32 v60, v122, v60, vcc
	v_lshlrev_b32_e32 v120, 24, v120
	v_lshlrev_b32_e32 v60, 20, v60
	v_and_b32_e32 v120, 0x80000000, v120
	v_lshl_add_u32 v61, v61, 23, v72
	v_or3_b32 v61, v120, v61, v60
.LBB216_291:                            ;   in Loop: Header=BB216_14 Depth=1
	s_or_b64 exec, exec, s[50:51]
.LBB216_292:                            ;   in Loop: Header=BB216_14 Depth=1
	s_or_b64 exec, exec, s[48:49]
.LBB216_293:                            ;   in Loop: Header=BB216_14 Depth=1
	s_or_b64 exec, exec, s[46:47]
	v_add_co_u32_e32 v58, vcc, 0xb00, v58
	v_addc_co_u32_e32 v59, vcc, 0, v59, vcc
	global_load_ubyte v122, v[58:59], off offset:8
	v_mov_b32_e32 v120, 0
	v_mov_b32_e32 v121, 0
	s_waitcnt vmcnt(0)
	v_cmp_ne_u16_e32 vcc, 0, v122
	s_and_saveexec_b64 s[46:47], vcc
	s_cbranch_execz .LBB216_299
; %bb.294:                              ;   in Loop: Header=BB216_14 Depth=1
	v_cmp_ne_u16_e32 vcc, s60, v122
	v_bfrev_b32_e32 v121, 1
	s_and_saveexec_b64 s[48:49], vcc
	s_cbranch_execz .LBB216_298
; %bb.295:                              ;   in Loop: Header=BB216_14 Depth=1
	v_and_b32_e32 v60, 0xffff, v122
	v_and_b32_e32 v123, 0x7f, v60
	v_cmp_ne_u32_e32 vcc, s61, v123
	v_mov_b32_e32 v121, 0x7f800001
	s_and_saveexec_b64 s[50:51], vcc
	s_cbranch_execz .LBB216_297
; %bb.296:                              ;   in Loop: Header=BB216_14 Depth=1
	v_and_b32_e32 v121, 7, v60
	v_lshrrev_b32_e32 v126, 3, v123
	v_cmp_gt_u32_e32 vcc, 8, v123
	v_ffbh_u32_e32 v123, v121
	v_min_u32_e32 v123, 32, v123
	v_subrev_u32_e32 v124, 28, v123
	v_lshlrev_b64 v[124:125], v124, v[60:61]
	v_sub_u32_e32 v60, 29, v123
	v_and_b32_e32 v123, 7, v124
	v_cndmask_b32_e32 v60, v126, v60, vcc
	v_cndmask_b32_e32 v121, v121, v123, vcc
	v_lshlrev_b32_e32 v122, 24, v122
	v_lshlrev_b32_e32 v121, 20, v121
	v_and_b32_e32 v122, 0x80000000, v122
	v_lshl_add_u32 v60, v60, 23, v72
	v_or3_b32 v121, v122, v60, v121
.LBB216_297:                            ;   in Loop: Header=BB216_14 Depth=1
	s_or_b64 exec, exec, s[50:51]
.LBB216_298:                            ;   in Loop: Header=BB216_14 Depth=1
	s_or_b64 exec, exec, s[48:49]
.LBB216_299:                            ;   in Loop: Header=BB216_14 Depth=1
	s_or_b64 exec, exec, s[46:47]
	global_load_ubyte v59, v[58:59], off offset:12
	s_waitcnt vmcnt(0)
	v_cmp_ne_u16_e32 vcc, 0, v59
	s_and_saveexec_b64 s[46:47], vcc
	s_cbranch_execz .LBB216_305
; %bb.300:                              ;   in Loop: Header=BB216_14 Depth=1
	v_cmp_ne_u16_e32 vcc, s60, v59
	v_bfrev_b32_e32 v120, 1
	s_and_saveexec_b64 s[48:49], vcc
	s_cbranch_execz .LBB216_304
; %bb.301:                              ;   in Loop: Header=BB216_14 Depth=1
	v_and_b32_e32 v58, 0xffff, v59
	v_and_b32_e32 v60, 0x7f, v58
	v_cmp_ne_u32_e32 vcc, s61, v60
	v_mov_b32_e32 v120, 0x7f800001
	s_and_saveexec_b64 s[50:51], vcc
	s_cbranch_execz .LBB216_303
; %bb.302:                              ;   in Loop: Header=BB216_14 Depth=1
	v_and_b32_e32 v120, 7, v58
	v_ffbh_u32_e32 v122, v120
	v_min_u32_e32 v125, 32, v122
	v_subrev_u32_e32 v122, 28, v125
	v_lshlrev_b64 v[122:123], v122, v[58:59]
	v_lshrrev_b32_e32 v124, 3, v60
	v_sub_u32_e32 v58, 29, v125
	v_and_b32_e32 v122, 7, v122
	v_cmp_gt_u32_e32 vcc, 8, v60
	v_cndmask_b32_e32 v58, v124, v58, vcc
	v_cndmask_b32_e32 v60, v120, v122, vcc
	v_lshlrev_b32_e32 v59, 24, v59
	v_lshlrev_b32_e32 v60, 20, v60
	v_and_b32_e32 v59, 0x80000000, v59
	v_lshl_add_u32 v58, v58, 23, v72
	v_or3_b32 v120, v59, v58, v60
.LBB216_303:                            ;   in Loop: Header=BB216_14 Depth=1
	s_or_b64 exec, exec, s[50:51]
.LBB216_304:                            ;   in Loop: Header=BB216_14 Depth=1
	s_or_b64 exec, exec, s[48:49]
.LBB216_305:                            ;   in Loop: Header=BB216_14 Depth=1
	s_or_b64 exec, exec, s[46:47]
	s_waitcnt lgkmcnt(0)
	v_mul_f32_e32 v75, s62, v75
	v_mul_f32_e32 v76, s62, v76
	;; [unrolled: 1-line block ×4, first 2 shown]
	v_fmac_f32_e32 v47, v46, v76
	v_mul_f32_e32 v77, s62, v77
	v_fmac_f32_e32 v47, v48, v78
	v_mul_f32_e32 v80, s62, v80
	;; [unrolled: 2-line block ×40, first 2 shown]
	v_mul_f32_e32 v62, s62, v119
	v_fmac_f32_e32 v47, v7, v116
	v_mul_f32_e32 v59, s62, v61
	v_mul_f32_e32 v61, s62, v118
	v_fmac_f32_e32 v47, v8, v62
	v_and_b32_e32 v118, 64, v73
	v_fmac_f32_e32 v47, v9, v61
	v_add_u32_e32 v118, 64, v118
	v_xor_b32_e32 v119, 2, v73
	v_fmac_f32_e32 v47, v2, v60
	v_mul_f32_e32 v58, s62, v121
	v_cmp_lt_i32_e32 vcc, v119, v118
	v_fmac_f32_e32 v47, v3, v59
	v_cndmask_b32_e32 v119, v73, v119, vcc
	v_mul_f32_e32 v120, s62, v120
	v_fmac_f32_e32 v47, v4, v58
	v_lshlrev_b32_e32 v119, 2, v119
	v_fmac_f32_e32 v47, v5, v120
	ds_bpermute_b32 v2, v119, v47
	v_xor_b32_e32 v3, 1, v73
	v_cmp_lt_i32_e32 vcc, v3, v118
	v_cndmask_b32_e32 v3, v73, v3, vcc
	v_lshlrev_b32_e32 v3, 2, v3
	s_waitcnt lgkmcnt(0)
	v_add_f32_e32 v2, v47, v2
	ds_bpermute_b32 v3, v3, v2
	s_and_saveexec_b64 s[46:47], s[2:3]
	s_cbranch_execz .LBB216_12
; %bb.306:                              ;   in Loop: Header=BB216_14 Depth=1
	v_add_u32_e32 v4, v71, v69
	v_cvt_f32_i32_e32 v4, v4
	s_waitcnt lgkmcnt(0)
	v_add_f32_e32 v2, v2, v3
	v_add_u32_e32 v5, v65, v69
	v_cmp_gt_i32_e32 vcc, s41, v5
	v_mul_f32_e32 v3, s55, v4
	v_cndmask_b32_e64 v3, 0, v3, s[4:5]
	v_fmac_f32_e32 v3, s45, v2
	v_cndmask_b32_e32 v2, 0, v3, vcc
	ds_write_b32 v70, v2
	v_max_f32_e32 v2, v67, v67
	v_max_f32_e32 v2, v2, v3
	v_cndmask_b32_e32 v67, v67, v2, vcc
	s_branch .LBB216_12
.LBB216_307:
	s_or_b64 exec, exec, s[20:21]
.LBB216_308:
	s_or_b64 exec, exec, s[18:19]
	v_mbcnt_hi_u32_b32 v2, -1, v64
	s_waitcnt lgkmcnt(0)
	v_and_b32_e32 v3, 64, v2
	v_add_u32_e32 v3, 64, v3
	v_xor_b32_e32 v4, 32, v2
	v_cmp_lt_i32_e32 vcc, v4, v3
	v_cndmask_b32_e32 v4, v2, v4, vcc
	v_lshlrev_b32_e32 v5, 2, v4
	ds_bpermute_b32 v4, v5, v67
	v_xor_b32_e32 v7, 16, v2
	v_max_f32_e32 v6, v67, v67
	v_cmp_lt_i32_e32 vcc, v7, v3
	v_xor_b32_e32 v8, 8, v2
	s_waitcnt lgkmcnt(0)
	v_max_f32_e32 v4, v4, v4
	v_max_f32_e32 v4, v6, v4
	v_cndmask_b32_e32 v6, v2, v7, vcc
	v_lshlrev_b32_e32 v6, 2, v6
	ds_bpermute_b32 v7, v6, v4
	v_cmp_lt_i32_e32 vcc, v8, v3
	v_and_b32_e32 v85, 63, v0
	s_waitcnt lgkmcnt(0)
	v_max_f32_e32 v7, v7, v7
	v_max_f32_e32 v4, v4, v7
	v_cndmask_b32_e32 v7, v2, v8, vcc
	v_lshlrev_b32_e32 v9, 2, v7
	ds_bpermute_b32 v7, v9, v4
	v_xor_b32_e32 v8, 4, v2
	v_cmp_lt_i32_e32 vcc, v8, v3
	s_waitcnt lgkmcnt(0)
	v_max_f32_e32 v7, v7, v7
	v_max_f32_e32 v4, v4, v7
	v_cndmask_b32_e32 v7, v2, v8, vcc
	v_lshlrev_b32_e32 v10, 2, v7
	ds_bpermute_b32 v8, v10, v4
	v_cmp_eq_u32_e32 vcc, 0, v85
	v_lshlrev_b32_e32 v7, 2, v63
	s_and_saveexec_b64 s[2:3], vcc
	s_cbranch_execz .LBB216_310
; %bb.309:
	s_waitcnt lgkmcnt(0)
	v_max_f32_e32 v8, v8, v8
	v_max_f32_e32 v4, v4, v4
	;; [unrolled: 1-line block ×3, first 2 shown]
	ds_write_b32 v7, v4 offset:768
.LBB216_310:
	s_or_b64 exec, exec, s[2:3]
	v_cmp_gt_u32_e64 s[2:3], 2, v85
	v_mov_b32_e32 v4, 0xff7fffff
	s_waitcnt lgkmcnt(0)
	v_lshlrev_b32_e32 v8, 2, v85
	s_barrier
	s_and_saveexec_b64 s[4:5], s[2:3]
	s_cbranch_execz .LBB216_312
; %bb.311:
	ds_read_b32 v4, v8 offset:768
.LBB216_312:
	s_or_b64 exec, exec, s[4:5]
	v_xor_b32_e32 v11, 1, v2
	v_cmp_lt_i32_e64 s[4:5], v11, v3
	v_cndmask_b32_e64 v11, v2, v11, s[4:5]
	v_lshlrev_b32_e32 v86, 2, v11
	s_waitcnt lgkmcnt(0)
	ds_bpermute_b32 v11, v86, v4
	v_max_f32_e32 v4, v4, v4
	s_sub_i32 s4, s28, s56
	s_lshl_b32 s4, s4, 4
	s_add_i32 s4, s4, s54
	s_waitcnt lgkmcnt(0)
	v_max_f32_e32 v11, v11, v11
	v_max_f32_e32 v4, v4, v11
	v_lshlrev_b32_e32 v11, 2, v2
	v_and_b32_e32 v11, 0x100, v11
	ds_bpermute_b32 v4, v11, v4
	s_min_i32 s21, s4, s41
	s_sub_i32 s20, s21, s54
	v_cmp_gt_i32_e64 s[4:5], s20, v0
	v_mov_b32_e32 v12, 0
	s_and_saveexec_b64 s[12:13], s[4:5]
	s_cbranch_execz .LBB216_316
; %bb.313:
	v_mov_b32_e32 v12, 0x310
	v_lshl_add_u32 v13, v0, 2, v12
	s_mov_b64 s[18:19], 0
	v_mov_b32_e32 v12, 0
	v_mov_b32_e32 v14, v0
.LBB216_314:                            ; =>This Inner Loop Header: Depth=1
	ds_read_b32 v15, v13
	v_add_u32_e32 v14, 0x80, v14
	v_cmp_le_i32_e64 s[10:11], s20, v14
	s_or_b64 s[18:19], s[10:11], s[18:19]
	s_waitcnt lgkmcnt(0)
	v_sub_f32_e32 v15, v15, v4
	v_mul_f32_e32 v15, 0x3fb8aa3b, v15
	v_exp_f32_e32 v15, v15
	ds_write_b32 v13, v15
	v_add_f32_e32 v12, v12, v15
	v_add_u32_e32 v13, 0x200, v13
	s_andn2_b64 exec, exec, s[18:19]
	s_cbranch_execnz .LBB216_314
; %bb.315:
	s_or_b64 exec, exec, s[18:19]
.LBB216_316:
	s_or_b64 exec, exec, s[12:13]
	ds_bpermute_b32 v5, v5, v12
	s_waitcnt lgkmcnt(0)
	v_add_f32_e32 v5, v12, v5
	ds_bpermute_b32 v6, v6, v5
	s_waitcnt lgkmcnt(0)
	v_add_f32_e32 v5, v5, v6
	ds_bpermute_b32 v6, v9, v5
	v_xor_b32_e32 v9, 2, v2
	v_cmp_lt_i32_e64 s[10:11], v9, v3
	v_cndmask_b32_e64 v2, v2, v9, s[10:11]
	v_lshlrev_b32_e32 v87, 2, v2
	s_waitcnt lgkmcnt(0)
	v_add_f32_e32 v5, v5, v6
	ds_bpermute_b32 v6, v10, v5
	s_waitcnt lgkmcnt(0)
	v_add_f32_e32 v3, v5, v6
	ds_bpermute_b32 v2, v87, v3
	;; [unrolled: 3-line block ×3, first 2 shown]
	s_waitcnt lgkmcnt(0)
	v_add_f32_e32 v2, v2, v3
	s_and_saveexec_b64 s[10:11], vcc
	s_cbranch_execz .LBB216_318
; %bb.317:
	ds_write_b32 v7, v2 offset:776
.LBB216_318:
	s_or_b64 exec, exec, s[10:11]
	s_waitcnt lgkmcnt(0)
	s_barrier
	s_and_saveexec_b64 s[10:11], s[2:3]
	s_cbranch_execz .LBB216_320
; %bb.319:
	ds_read_b32 v2, v8 offset:776
.LBB216_320:
	s_or_b64 exec, exec, s[10:11]
	s_waitcnt lgkmcnt(0)
	ds_bpermute_b32 v3, v86, v2
	s_waitcnt lgkmcnt(0)
	v_add_f32_e32 v2, v2, v3
	ds_bpermute_b32 v5, v11, v2
	s_and_saveexec_b64 s[2:3], s[4:5]
	s_cbranch_execz .LBB216_333
; %bb.321:
	s_waitcnt lgkmcnt(0)
	v_add_f32_e32 v2, 0x358637bd, v5
	v_div_scale_f32 v3, s[4:5], v2, v2, 1.0
	v_rcp_f32_e32 v6, v3
	v_div_scale_f32 v7, vcc, 1.0, v2, 1.0
	s_movk_i32 s4, 0x7f
	v_fma_f32 v8, -v3, v6, 1.0
	v_fmac_f32_e32 v6, v8, v6
	v_mul_f32_e32 v8, v7, v6
	v_fma_f32 v9, -v3, v8, v7
	v_fmac_f32_e32 v8, v9, v6
	v_fma_f32 v3, -v3, v8, v7
	v_div_fmas_f32 v3, v3, v6, v8
	v_div_fixup_f32 v2, v3, v2, 1.0
	v_xad_u32 v3, v0, -1, s21
	v_subrev_u32_e32 v6, s54, v3
	v_cmp_lt_u32_e32 vcc, s4, v6
	s_mov_b64 s[10:11], -1
	v_mov_b32_e32 v3, v0
	s_and_saveexec_b64 s[4:5], vcc
	s_cbranch_execz .LBB216_330
; %bb.322:
	v_lshrrev_b32_e32 v6, 7, v6
	v_add_u32_e32 v8, -1, v6
	v_lshrrev_b32_e32 v7, 1, v8
	v_mov_b32_e32 v3, v2
	v_add_u32_e32 v7, 1, v7
	v_cmp_lt_u32_e32 vcc, 13, v8
	v_mov_b32_e32 v10, 0
	s_and_saveexec_b64 s[10:11], vcc
	s_cbranch_execz .LBB216_326
; %bb.323:
	v_mov_b32_e32 v9, 0x310
	v_and_b32_e32 v8, -8, v7
	v_lshl_add_u32 v9, v0, 2, v9
	s_mov_b32 s18, 0
	s_mov_b64 s[12:13], 0
.LBB216_324:                            ; =>This Inner Loop Header: Depth=1
	ds_read2st64_b32 v[10:11], v9 offset1:2
	ds_read2st64_b32 v[12:13], v9 offset0:4 offset1:6
	ds_read2st64_b32 v[14:15], v9 offset0:8 offset1:10
	;; [unrolled: 1-line block ×3, first 2 shown]
	v_add_u32_e32 v8, -8, v8
	s_waitcnt lgkmcnt(3)
	v_pk_mul_f32 v[10:11], v[2:3], v[10:11]
	s_waitcnt lgkmcnt(2)
	v_pk_mul_f32 v[12:13], v[2:3], v[12:13]
	ds_write2st64_b32 v9, v10, v11 offset1:2
	ds_write2st64_b32 v9, v12, v13 offset0:4 offset1:6
	ds_read2st64_b32 v[12:13], v9 offset0:16 offset1:18
	s_waitcnt lgkmcnt(4)
	v_pk_mul_f32 v[10:11], v[2:3], v[14:15]
	ds_write2st64_b32 v9, v10, v11 offset0:8 offset1:10
	s_waitcnt lgkmcnt(4)
	v_pk_mul_f32 v[10:11], v[2:3], v[16:17]
	ds_write2st64_b32 v9, v10, v11 offset0:12 offset1:14
	ds_read2st64_b32 v[10:11], v9 offset0:20 offset1:22
	s_waitcnt lgkmcnt(3)
	v_pk_mul_f32 v[12:13], v[2:3], v[12:13]
	ds_read2st64_b32 v[14:15], v9 offset0:24 offset1:26
	ds_write2st64_b32 v9, v12, v13 offset0:16 offset1:18
	ds_read2st64_b32 v[12:13], v9 offset0:28 offset1:30
	s_waitcnt lgkmcnt(3)
	v_pk_mul_f32 v[10:11], v[2:3], v[10:11]
	ds_write2st64_b32 v9, v10, v11 offset0:20 offset1:22
	s_waitcnt lgkmcnt(3)
	v_pk_mul_f32 v[10:11], v[2:3], v[14:15]
	ds_write2st64_b32 v9, v10, v11 offset0:24 offset1:26
	s_waitcnt lgkmcnt(2)
	v_pk_mul_f32 v[10:11], v[2:3], v[12:13]
	s_add_i32 s18, s18, 16
	v_cmp_eq_u32_e32 vcc, 0, v8
	ds_write2st64_b32 v9, v10, v11 offset0:28 offset1:30
	v_add_u32_e32 v9, 0x2000, v9
	s_or_b64 s[12:13], vcc, s[12:13]
	v_mov_b32_e32 v10, s18
	s_andn2_b64 exec, exec, s[12:13]
	s_cbranch_execnz .LBB216_324
; %bb.325:
	s_or_b64 exec, exec, s[12:13]
.LBB216_326:
	s_or_b64 exec, exec, s[10:11]
	v_and_b32_e32 v7, 7, v7
	v_cmp_ne_u32_e32 vcc, 0, v7
	s_and_saveexec_b64 s[10:11], vcc
	s_cbranch_execz .LBB216_329
; %bb.327:
	v_lshlrev_b32_e32 v8, 9, v10
	v_lshlrev_b32_e32 v9, 2, v0
	s_movk_i32 s12, 0x310
	v_add3_u32 v8, v8, v9, s12
	s_mov_b64 s[12:13], 0
.LBB216_328:                            ; =>This Inner Loop Header: Depth=1
	ds_read2st64_b32 v[10:11], v8 offset1:2
	v_add_u32_e32 v7, -1, v7
	v_cmp_eq_u32_e32 vcc, 0, v7
	s_or_b64 s[12:13], vcc, s[12:13]
	s_waitcnt lgkmcnt(0)
	v_pk_mul_f32 v[10:11], v[2:3], v[10:11]
	ds_write2st64_b32 v8, v10, v11 offset1:2
	v_add_u32_e32 v8, 0x400, v8
	s_andn2_b64 exec, exec, s[12:13]
	s_cbranch_execnz .LBB216_328
.LBB216_329:
	s_or_b64 exec, exec, s[10:11]
	v_add_u32_e32 v6, 1, v6
	v_and_b32_e32 v7, 0x3fffffe, v6
	v_cmp_ne_u32_e32 vcc, v6, v7
	v_lshl_add_u32 v3, v7, 7, v0
	s_orn2_b64 s[10:11], vcc, exec
.LBB216_330:
	s_or_b64 exec, exec, s[4:5]
	s_and_b64 exec, exec, s[10:11]
	s_cbranch_execz .LBB216_333
; %bb.331:
	v_mov_b32_e32 v6, 0x310
	v_lshl_add_u32 v6, v3, 2, v6
	s_mov_b64 s[4:5], 0
.LBB216_332:                            ; =>This Inner Loop Header: Depth=1
	ds_read_b32 v7, v6
	v_add_u32_e32 v3, 0x80, v3
	v_cmp_le_i32_e32 vcc, s20, v3
	s_or_b64 s[4:5], vcc, s[4:5]
	s_waitcnt lgkmcnt(0)
	v_mul_f32_e32 v7, v2, v7
	ds_write_b32 v6, v7
	v_add_u32_e32 v6, 0x200, v6
	s_andn2_b64 exec, exec, s[4:5]
	s_cbranch_execnz .LBB216_332
.LBB216_333:
	s_or_b64 exec, exec, s[2:3]
	s_mul_i32 s2, s33, s40
	v_cmp_eq_u32_e32 vcc, 0, v0
	s_mul_i32 s2, s2, s9
	s_waitcnt lgkmcnt(0)
	s_barrier
	s_and_saveexec_b64 s[4:5], vcc
	s_cbranch_execz .LBB216_335
; %bb.334:
	s_ashr_i32 s3, s2, 31
	s_lshl_b64 s[10:11], s[2:3], 2
	s_add_u32 s3, s26, s10
	s_mul_i32 s12, s33, s6
	s_addc_u32 s9, s27, s11
	s_ashr_i32 s13, s12, 31
	s_lshl_b64 s[12:13], s[12:13], 2
	s_add_u32 s3, s3, s12
	s_addc_u32 s6, s9, s13
	s_ashr_i32 s9, s8, 31
	s_lshl_b64 s[18:19], s[8:9], 2
	s_add_u32 s20, s3, s18
	s_addc_u32 s21, s6, s19
	s_add_u32 s3, s24, s10
	s_addc_u32 s6, s25, s11
	s_add_u32 s3, s3, s12
	s_addc_u32 s6, s6, s13
	s_add_u32 s10, s3, s18
	v_mov_b32_e32 v2, 0
	s_addc_u32 s11, s6, s19
	global_store_dword v2, v4, s[20:21]
	global_store_dword v2, v5, s[10:11]
.LBB216_335:
	s_or_b64 exec, exec, s[4:5]
	s_mov_b32 s6, 0
	v_mov_b32_e32 v7, 0
	v_mov_b32_e32 v6, 0
	;; [unrolled: 1-line block ×12, first 2 shown]
	s_and_saveexec_b64 s[4:5], s[0:1]
	s_cbranch_execz .LBB216_653
; %bb.336:
	s_sub_i32 s3, s16, s29
	s_ashr_i32 s0, s53, 31
	s_add_u32 s1, s22, s53
	s_addc_u32 s0, s23, s0
	s_abs_i32 s9, s30
	v_cvt_f32_u32_e32 v2, s9
	v_lshlrev_b32_e32 v3, 2, v0
	s_add_i32 s27, s7, -1
	s_sub_i32 s7, 0, s9
	v_rcp_iflag_f32_e32 v2, v2
	v_and_b32_e32 v88, 12, v3
	v_and_b32_e32 v3, 0xfc, v3
	v_mov_b32_e32 v4, s0
	v_mul_f32_e32 v2, 0x4f7ffffe, v2
	v_cvt_u32_f32_e32 v2, v2
	v_add_co_u32_e32 v18, vcc, s1, v3
	s_lshl_b64 s[0:1], s[42:43], 2
	v_mul_lo_u32 v5, s7, v2
	v_mul_hi_u32 v5, v2, v5
	v_add_u32_e32 v89, v2, v5
	v_addc_co_u32_e32 v19, vcc, 0, v4, vcc
	v_lshlrev_b64 v[2:3], 2, v[52:53]
	s_add_u32 s0, s38, s0
	s_addc_u32 s1, s39, s1
	v_add_co_u32_e32 v20, vcc, s0, v2
	v_lshlrev_b32_e32 v2, 4, v50
	v_mov_b32_e32 v4, s1
	v_lshl_or_b32 v2, v63, 6, v2
	s_mov_b32 s26, s17
	v_addc_co_u32_e32 v21, vcc, v4, v3, vcc
	v_add_u32_e32 v53, 0x310, v2
	s_mov_b64 s[10:11], 0
	v_mov_b32_e32 v22, 0
	s_movk_i32 s29, 0x80
	s_movk_i32 s30, 0x7f
	v_mov_b32_e32 v25, 0
	s_brev_b32 s7, 1
	s_mov_b32 s13, 0x7f800001
	s_mov_b32 s38, 0xffffff
	v_bfrev_b32_e32 v90, 60
	v_mov_b32_e32 v91, 7
	v_mov_b32_e32 v92, 24
	;; [unrolled: 1-line block ×14, first 2 shown]
	s_branch .LBB216_339
.LBB216_337:                            ;   in Loop: Header=BB216_339 Depth=1
	s_or_b64 exec, exec, s[0:1]
	v_mul_f32_e32 v23, v3, v73
	v_fmac_f32_e32 v23, v2, v72
	v_fmac_f32_e32 v23, v4, v74
	v_fmac_f32_e32 v23, v5, v75
	v_add_f32_e32 v6, v6, v23
	v_mul_f32_e32 v23, v3, v69
	v_fmac_f32_e32 v23, v2, v68
	v_fmac_f32_e32 v23, v4, v70
	v_fmac_f32_e32 v23, v5, v71
	v_add_f32_e32 v9, v9, v23
	;; [unrolled: 5-line block ×10, first 2 shown]
	v_mul_f32_e32 v23, v3, v27
	v_mul_f32_e32 v3, v3, v31
	v_fmac_f32_e32 v23, v2, v26
	v_fmac_f32_e32 v3, v2, v30
	;; [unrolled: 1-line block ×6, first 2 shown]
	v_add_f32_e32 v16, v16, v23
	v_add_f32_e32 v7, v7, v3
.LBB216_338:                            ;   in Loop: Header=BB216_339 Depth=1
	s_or_b64 exec, exec, s[16:17]
	v_add_co_u32_e32 v20, vcc, 8, v20
	v_add_u32_e32 v52, 2, v52
	v_addc_co_u32_e32 v21, vcc, 0, v21, vcc
	v_cmp_le_i32_e32 vcc, s28, v52
	v_add_u32_e32 v84, 32, v84
	s_or_b64 s[10:11], vcc, s[10:11]
	v_add_u32_e32 v53, 0x80, v53
	s_andn2_b64 exec, exec, s[10:11]
	s_cbranch_execz .LBB216_652
.LBB216_339:                            ; =>This Inner Loop Header: Depth=1
	v_sub_u32_e32 v3, 0, v84
	v_max_i32_e32 v3, v84, v3
	v_mul_hi_u32 v4, v3, s52
	v_mul_lo_u32 v5, v4, s37
	v_sub_u32_e32 v3, v3, v5
	v_add_u32_e32 v5, 1, v4
	v_cmp_le_u32_e32 vcc, s37, v3
	v_cndmask_b32_e32 v4, v4, v5, vcc
	v_subrev_u32_e32 v5, s37, v3
	v_cndmask_b32_e32 v3, v3, v5, vcc
	v_ashrrev_i32_e32 v2, 31, v84
	v_add_u32_e32 v5, 1, v4
	v_cmp_le_u32_e32 vcc, s37, v3
	v_xor_b32_e32 v2, s31, v2
	v_cndmask_b32_e32 v3, v4, v5, vcc
	v_xor_b32_e32 v3, v3, v2
	v_sub_u32_e32 v2, v3, v2
	v_add_u32_e32 v3, s44, v2
	v_sub_u32_e32 v5, 0, v3
	v_ashrrev_i32_e32 v4, 31, v3
	v_max_i32_e32 v3, v3, v5
	v_mul_hi_u32 v5, v3, v89
	v_mul_lo_u32 v5, v5, s9
	v_sub_u32_e32 v3, v3, v5
	v_subrev_u32_e32 v5, s9, v3
	v_cmp_le_u32_e32 vcc, s9, v3
	v_cndmask_b32_e32 v3, v3, v5, vcc
	v_subrev_u32_e32 v5, s9, v3
	v_cmp_le_u32_e32 vcc, s9, v3
	v_cndmask_b32_e32 v3, v3, v5, vcc
	v_xor_b32_e32 v3, v3, v4
	v_sub_u32_e32 v3, v3, v4
	v_cmp_eq_u32_e32 vcc, 0, v3
	v_cmp_lt_i32_e64 s[0:1], s3, v2
	s_or_b64 s[0:1], vcc, s[0:1]
	s_and_saveexec_b64 s[16:17], s[0:1]
	s_cbranch_execz .LBB216_338
; %bb.340:                              ;   in Loop: Header=BB216_339 Depth=1
	global_load_dword v2, v[20:21], off
	s_load_dword s18, s[14:15], 0x0
	v_pk_mov_b32 v[32:33], 0, 0
	v_pk_mov_b32 v[28:29], v[32:33], v[32:33] op_sel:[0,1]
	s_waitcnt vmcnt(0)
	v_mad_i64_i32 v[30:31], s[0:1], v2, s26, v[18:19]
	global_load_dword v26, v[30:31], off
	ds_read_b128 v[2:5], v53
	s_waitcnt vmcnt(0)
	v_cmp_ne_u16_sdwa s[20:21], v26, v22 src0_sel:BYTE_0 src1_sel:DWORD
	s_and_saveexec_b64 s[0:1], s[20:21]
	s_cbranch_execz .LBB216_346
; %bb.341:                              ;   in Loop: Header=BB216_339 Depth=1
	v_bfrev_b32_e32 v28, 1
	v_cmp_ne_u16_sdwa s[22:23], v26, s29 src0_sel:BYTE_0 src1_sel:DWORD
	v_mov_b32_e32 v29, 0
	s_and_saveexec_b64 s[20:21], s[22:23]
	s_cbranch_execz .LBB216_345
; %bb.342:                              ;   in Loop: Header=BB216_339 Depth=1
	v_and_b32_e32 v23, 0x7f, v26
	v_mov_b32_e32 v28, 0x7f800001
	v_cmp_ne_u32_e32 vcc, s30, v23
	v_mov_b32_e32 v29, 0
	s_and_saveexec_b64 s[22:23], vcc
	s_cbranch_execz .LBB216_344
; %bb.343:                              ;   in Loop: Header=BB216_339 Depth=1
	v_and_b32_e32 v24, 7, v26
	v_ffbh_u32_e32 v28, v24
	v_min_u32_e32 v34, 32, v28
	v_lshrrev_b32_e32 v27, 3, v23
	v_subrev_u32_e32 v28, 28, v34
	v_lshlrev_b64 v[28:29], v28, v[26:27]
	v_sub_u32_e32 v29, 29, v34
	v_and_b32_e32 v28, 7, v28
	v_cmp_gt_u32_e32 vcc, 8, v23
	v_cndmask_b32_e32 v23, v27, v29, vcc
	v_cndmask_b32_e32 v24, v24, v28, vcc
	v_lshlrev_b32_e32 v24, 20, v24
	v_and_b32_sdwa v27, sext(v26), s7 dst_sel:DWORD dst_unused:UNUSED_PAD src0_sel:BYTE_0 src1_sel:DWORD
	v_lshl_add_u32 v23, v23, 23, v90
	v_or3_b32 v24, v27, v23, v24
	v_pk_mov_b32 v[28:29], v[24:25], v[24:25] op_sel:[0,1]
.LBB216_344:                            ;   in Loop: Header=BB216_339 Depth=1
	s_or_b64 exec, exec, s[22:23]
.LBB216_345:                            ;   in Loop: Header=BB216_339 Depth=1
	s_or_b64 exec, exec, s[20:21]
.LBB216_346:                            ;   in Loop: Header=BB216_339 Depth=1
	s_or_b64 exec, exec, s[0:1]
	v_cmp_ne_u16_sdwa s[20:21], v26, v22 src0_sel:BYTE_1 src1_sel:DWORD
	s_and_saveexec_b64 s[0:1], s[20:21]
	s_cbranch_execz .LBB216_352
; %bb.347:                              ;   in Loop: Header=BB216_339 Depth=1
	v_cmp_ne_u16_sdwa s[22:23], v26, s29 src0_sel:BYTE_1 src1_sel:DWORD
	v_pk_mov_b32 v[32:33], s[6:7], s[6:7] op_sel:[0,1]
	s_and_saveexec_b64 s[20:21], s[22:23]
	s_cbranch_execz .LBB216_351
; %bb.348:                              ;   in Loop: Header=BB216_339 Depth=1
	v_and_b32_sdwa v23, v26, s30 dst_sel:DWORD dst_unused:UNUSED_PAD src0_sel:BYTE_1 src1_sel:DWORD
	s_mov_b32 s12, s6
	v_cmp_ne_u32_e32 vcc, s30, v23
	v_pk_mov_b32 v[32:33], s[12:13], s[12:13] op_sel:[0,1]
	s_and_saveexec_b64 s[22:23], vcc
	s_cbranch_execz .LBB216_350
; %bb.349:                              ;   in Loop: Header=BB216_339 Depth=1
	v_and_b32_sdwa v24, v26, v91 dst_sel:DWORD dst_unused:UNUSED_PAD src0_sel:BYTE_1 src1_sel:DWORD
	v_ffbh_u32_e32 v32, v24
	v_min_u32_e32 v34, 32, v32
	v_subrev_u32_e32 v32, 28, v34
	v_lshlrev_b64 v[32:33], v32, v[24:25]
	v_lshrrev_b32_e32 v27, 3, v23
	v_sub_u32_e32 v33, 29, v34
	v_cmp_gt_u32_e32 vcc, 8, v23
	v_and_b32_e32 v32, 7, v32
	v_cndmask_b32_e32 v23, v27, v33, vcc
	v_cndmask_b32_e32 v24, v24, v32, vcc
	v_lshlrev_b32_e32 v27, 16, v26
	v_lshl_add_u32 v23, v23, 23, v90
	v_and_or_b32 v23, v27, s7, v23
	v_lshlrev_b32_e32 v24, 20, v24
	v_or_b32_e32 v23, v23, v24
	v_pk_mov_b32 v[32:33], v[22:23], v[22:23] op_sel:[0,1]
.LBB216_350:                            ;   in Loop: Header=BB216_339 Depth=1
	s_or_b64 exec, exec, s[22:23]
.LBB216_351:                            ;   in Loop: Header=BB216_339 Depth=1
	s_or_b64 exec, exec, s[20:21]
.LBB216_352:                            ;   in Loop: Header=BB216_339 Depth=1
	s_or_b64 exec, exec, s[0:1]
	v_lshrrev_b32_e32 v24, 16, v26
	v_pk_mov_b32 v[36:37], 0, 0
	v_cmp_ne_u16_sdwa s[20:21], v24, v22 src0_sel:BYTE_0 src1_sel:DWORD
	v_pk_mov_b32 v[34:35], v[36:37], v[36:37] op_sel:[0,1]
	s_and_saveexec_b64 s[0:1], s[20:21]
	s_cbranch_execz .LBB216_358
; %bb.353:                              ;   in Loop: Header=BB216_339 Depth=1
	v_bfrev_b32_e32 v34, 1
	v_cmp_ne_u16_sdwa s[22:23], v24, s29 src0_sel:BYTE_0 src1_sel:DWORD
	v_mov_b32_e32 v35, 0
	s_and_saveexec_b64 s[20:21], s[22:23]
	s_cbranch_execz .LBB216_357
; %bb.354:                              ;   in Loop: Header=BB216_339 Depth=1
	v_bfe_u32 v23, v26, 16, 7
	v_mov_b32_e32 v34, 0x7f800001
	v_cmp_ne_u32_e32 vcc, s30, v23
	v_mov_b32_e32 v35, 0
	s_and_saveexec_b64 s[22:23], vcc
	s_cbranch_execz .LBB216_356
; %bb.355:                              ;   in Loop: Header=BB216_339 Depth=1
	v_and_b32_e32 v27, 7, v24
	v_ffbh_u32_e32 v34, v27
	v_min_u32_e32 v39, 32, v34
	v_subrev_u32_e32 v34, 28, v39
	v_lshlrev_b64 v[34:35], v34, v[24:25]
	v_lshrrev_b32_e32 v38, 3, v23
	v_sub_u32_e32 v35, 29, v39
	v_and_b32_e32 v34, 7, v34
	v_cmp_gt_u32_e32 vcc, 8, v23
	v_cndmask_b32_e32 v23, v38, v35, vcc
	v_cndmask_b32_e32 v27, v27, v34, vcc
	v_lshlrev_b32_e32 v27, 20, v27
	v_and_b32_sdwa v24, sext(v24), s7 dst_sel:DWORD dst_unused:UNUSED_PAD src0_sel:BYTE_0 src1_sel:DWORD
	v_lshl_add_u32 v23, v23, 23, v90
	v_or3_b32 v24, v24, v23, v27
	v_pk_mov_b32 v[34:35], v[24:25], v[24:25] op_sel:[0,1]
.LBB216_356:                            ;   in Loop: Header=BB216_339 Depth=1
	s_or_b64 exec, exec, s[22:23]
.LBB216_357:                            ;   in Loop: Header=BB216_339 Depth=1
	s_or_b64 exec, exec, s[20:21]
.LBB216_358:                            ;   in Loop: Header=BB216_339 Depth=1
	s_or_b64 exec, exec, s[0:1]
	v_cmp_lt_u32_e32 vcc, s38, v26
	s_and_saveexec_b64 s[0:1], vcc
	s_cbranch_execz .LBB216_364
; %bb.359:                              ;   in Loop: Header=BB216_339 Depth=1
	v_cmp_ne_u32_sdwa s[22:23], v26, s29 src0_sel:BYTE_3 src1_sel:DWORD
	v_pk_mov_b32 v[36:37], s[6:7], s[6:7] op_sel:[0,1]
	s_and_saveexec_b64 s[20:21], s[22:23]
	s_cbranch_execz .LBB216_363
; %bb.360:                              ;   in Loop: Header=BB216_339 Depth=1
	v_bfe_u32 v23, v26, 24, 7
	s_mov_b32 s12, s6
	v_cmp_ne_u32_e32 vcc, s30, v23
	v_pk_mov_b32 v[36:37], s[12:13], s[12:13] op_sel:[0,1]
	s_and_saveexec_b64 s[22:23], vcc
	s_cbranch_execz .LBB216_362
; %bb.361:                              ;   in Loop: Header=BB216_339 Depth=1
	v_and_b32_sdwa v24, v26, v91 dst_sel:DWORD dst_unused:UNUSED_PAD src0_sel:BYTE_3 src1_sel:DWORD
	v_ffbh_u32_e32 v36, v24
	v_min_u32_e32 v38, 32, v36
	v_subrev_u32_e32 v36, 28, v38
	v_lshlrev_b64 v[36:37], v36, v[24:25]
	v_lshrrev_b32_e32 v27, 3, v23
	v_sub_u32_e32 v37, 29, v38
	v_cmp_gt_u32_e32 vcc, 8, v23
	v_and_b32_e32 v36, 7, v36
	v_cndmask_b32_e32 v23, v27, v37, vcc
	v_cndmask_b32_e32 v24, v24, v36, vcc
	v_lshlrev_b32_sdwa v26, v92, v26 dst_sel:DWORD dst_unused:UNUSED_PAD src0_sel:DWORD src1_sel:BYTE_3
	v_lshl_add_u32 v23, v23, 23, v90
	v_and_or_b32 v23, v26, s7, v23
	v_lshlrev_b32_e32 v24, 20, v24
	v_or_b32_e32 v23, v23, v24
	v_pk_mov_b32 v[36:37], v[22:23], v[22:23] op_sel:[0,1]
.LBB216_362:                            ;   in Loop: Header=BB216_339 Depth=1
	s_or_b64 exec, exec, s[22:23]
.LBB216_363:                            ;   in Loop: Header=BB216_339 Depth=1
	s_or_b64 exec, exec, s[20:21]
.LBB216_364:                            ;   in Loop: Header=BB216_339 Depth=1
	s_or_b64 exec, exec, s[0:1]
	v_add_u32_e32 v93, v88, v84
	v_or_b32_e32 v27, v33, v29
	v_or_b32_e32 v26, v32, v28
	;; [unrolled: 1-line block ×4, first 2 shown]
	v_cmp_eq_u32_e32 vcc, s27, v52
	s_waitcnt lgkmcnt(0)
	v_pk_mul_f32 v[26:27], s[18:19], v[26:27] op_sel_hi:[0,1]
	v_pk_mul_f32 v[28:29], s[18:19], v[28:29] op_sel_hi:[0,1]
	v_add_u32_e32 v96, 1, v93
	v_add_u32_e32 v95, 2, v93
	;; [unrolled: 1-line block ×3, first 2 shown]
	s_and_saveexec_b64 s[20:21], vcc
; %bb.365:                              ;   in Loop: Header=BB216_339 Depth=1
	v_cmp_gt_i32_e64 s[0:1], s41, v93
	v_cndmask_b32_e64 v26, 0, v26, s[0:1]
	v_cmp_gt_i32_e64 s[0:1], s41, v96
	v_cndmask_b32_e64 v27, 0, v27, s[0:1]
	;; [unrolled: 2-line block ×4, first 2 shown]
; %bb.366:                              ;   in Loop: Header=BB216_339 Depth=1
	s_or_b64 exec, exec, s[20:21]
	global_load_dword v32, v[30:31], off offset:256
	v_pk_mov_b32 v[36:37], 0, 0
	v_pk_mov_b32 v[34:35], v[36:37], v[36:37] op_sel:[0,1]
	s_waitcnt vmcnt(0)
	v_cmp_ne_u16_sdwa s[0:1], v32, v22 src0_sel:BYTE_0 src1_sel:DWORD
	s_and_saveexec_b64 s[20:21], s[0:1]
	s_cbranch_execz .LBB216_372
; %bb.367:                              ;   in Loop: Header=BB216_339 Depth=1
	v_bfrev_b32_e32 v34, 1
	v_cmp_ne_u16_sdwa s[0:1], v32, s29 src0_sel:BYTE_0 src1_sel:DWORD
	v_mov_b32_e32 v35, 0
	s_and_saveexec_b64 s[22:23], s[0:1]
	s_cbranch_execz .LBB216_371
; %bb.368:                              ;   in Loop: Header=BB216_339 Depth=1
	v_and_b32_e32 v23, 0x7f, v32
	v_mov_b32_e32 v34, 0x7f800001
	v_cmp_ne_u32_e64 s[0:1], s30, v23
	v_mov_b32_e32 v35, 0
	s_and_saveexec_b64 s[24:25], s[0:1]
	s_cbranch_execz .LBB216_370
; %bb.369:                              ;   in Loop: Header=BB216_339 Depth=1
	v_and_b32_e32 v24, 7, v32
	v_ffbh_u32_e32 v34, v24
	v_min_u32_e32 v38, 32, v34
	v_lshrrev_b32_e32 v33, 3, v23
	v_subrev_u32_e32 v34, 28, v38
	v_lshlrev_b64 v[34:35], v34, v[32:33]
	v_sub_u32_e32 v35, 29, v38
	v_and_b32_e32 v34, 7, v34
	v_cmp_gt_u32_e64 s[0:1], 8, v23
	v_cndmask_b32_e64 v23, v33, v35, s[0:1]
	v_cndmask_b32_e64 v24, v24, v34, s[0:1]
	v_lshlrev_b32_e32 v24, 20, v24
	v_and_b32_sdwa v33, sext(v32), s7 dst_sel:DWORD dst_unused:UNUSED_PAD src0_sel:BYTE_0 src1_sel:DWORD
	v_lshl_add_u32 v23, v23, 23, v90
	v_or3_b32 v24, v33, v23, v24
	v_pk_mov_b32 v[34:35], v[24:25], v[24:25] op_sel:[0,1]
.LBB216_370:                            ;   in Loop: Header=BB216_339 Depth=1
	s_or_b64 exec, exec, s[24:25]
.LBB216_371:                            ;   in Loop: Header=BB216_339 Depth=1
	s_or_b64 exec, exec, s[22:23]
.LBB216_372:                            ;   in Loop: Header=BB216_339 Depth=1
	s_or_b64 exec, exec, s[20:21]
	v_cmp_ne_u16_sdwa s[0:1], v32, v22 src0_sel:BYTE_1 src1_sel:DWORD
	s_and_saveexec_b64 s[20:21], s[0:1]
	s_cbranch_execz .LBB216_378
; %bb.373:                              ;   in Loop: Header=BB216_339 Depth=1
	v_cmp_ne_u16_sdwa s[0:1], v32, s29 src0_sel:BYTE_1 src1_sel:DWORD
	v_pk_mov_b32 v[36:37], s[6:7], s[6:7] op_sel:[0,1]
	s_and_saveexec_b64 s[22:23], s[0:1]
	s_cbranch_execz .LBB216_377
; %bb.374:                              ;   in Loop: Header=BB216_339 Depth=1
	v_and_b32_sdwa v23, v32, s30 dst_sel:DWORD dst_unused:UNUSED_PAD src0_sel:BYTE_1 src1_sel:DWORD
	s_mov_b32 s12, s6
	v_cmp_ne_u32_e64 s[0:1], s30, v23
	v_pk_mov_b32 v[36:37], s[12:13], s[12:13] op_sel:[0,1]
	s_and_saveexec_b64 s[24:25], s[0:1]
	s_cbranch_execz .LBB216_376
; %bb.375:                              ;   in Loop: Header=BB216_339 Depth=1
	v_and_b32_sdwa v24, v32, v91 dst_sel:DWORD dst_unused:UNUSED_PAD src0_sel:BYTE_1 src1_sel:DWORD
	v_ffbh_u32_e32 v36, v24
	v_min_u32_e32 v38, 32, v36
	v_subrev_u32_e32 v36, 28, v38
	v_lshlrev_b64 v[36:37], v36, v[24:25]
	v_lshrrev_b32_e32 v33, 3, v23
	v_sub_u32_e32 v37, 29, v38
	v_cmp_gt_u32_e64 s[0:1], 8, v23
	v_and_b32_e32 v36, 7, v36
	v_cndmask_b32_e64 v23, v33, v37, s[0:1]
	v_cndmask_b32_e64 v24, v24, v36, s[0:1]
	v_lshlrev_b32_e32 v33, 16, v32
	v_lshl_add_u32 v23, v23, 23, v90
	v_and_or_b32 v23, v33, s7, v23
	v_lshlrev_b32_e32 v24, 20, v24
	v_or_b32_e32 v23, v23, v24
	v_pk_mov_b32 v[36:37], v[22:23], v[22:23] op_sel:[0,1]
.LBB216_376:                            ;   in Loop: Header=BB216_339 Depth=1
	s_or_b64 exec, exec, s[24:25]
.LBB216_377:                            ;   in Loop: Header=BB216_339 Depth=1
	s_or_b64 exec, exec, s[22:23]
.LBB216_378:                            ;   in Loop: Header=BB216_339 Depth=1
	s_or_b64 exec, exec, s[20:21]
	v_lshrrev_b32_e32 v24, 16, v32
	v_pk_mov_b32 v[40:41], 0, 0
	v_cmp_ne_u16_sdwa s[0:1], v24, v22 src0_sel:BYTE_0 src1_sel:DWORD
	v_pk_mov_b32 v[38:39], v[40:41], v[40:41] op_sel:[0,1]
	s_and_saveexec_b64 s[20:21], s[0:1]
	s_cbranch_execz .LBB216_384
; %bb.379:                              ;   in Loop: Header=BB216_339 Depth=1
	v_bfrev_b32_e32 v38, 1
	v_cmp_ne_u16_sdwa s[0:1], v24, s29 src0_sel:BYTE_0 src1_sel:DWORD
	v_mov_b32_e32 v39, 0
	s_and_saveexec_b64 s[22:23], s[0:1]
	s_cbranch_execz .LBB216_383
; %bb.380:                              ;   in Loop: Header=BB216_339 Depth=1
	v_bfe_u32 v23, v32, 16, 7
	v_mov_b32_e32 v38, 0x7f800001
	v_cmp_ne_u32_e64 s[0:1], s30, v23
	v_mov_b32_e32 v39, 0
	s_and_saveexec_b64 s[24:25], s[0:1]
	s_cbranch_execz .LBB216_382
; %bb.381:                              ;   in Loop: Header=BB216_339 Depth=1
	v_and_b32_e32 v33, 7, v24
	v_ffbh_u32_e32 v38, v33
	v_min_u32_e32 v43, 32, v38
	v_subrev_u32_e32 v38, 28, v43
	v_lshlrev_b64 v[38:39], v38, v[24:25]
	v_lshrrev_b32_e32 v42, 3, v23
	v_sub_u32_e32 v39, 29, v43
	v_and_b32_e32 v38, 7, v38
	v_cmp_gt_u32_e64 s[0:1], 8, v23
	v_cndmask_b32_e64 v23, v42, v39, s[0:1]
	v_cndmask_b32_e64 v33, v33, v38, s[0:1]
	v_lshlrev_b32_e32 v33, 20, v33
	v_and_b32_sdwa v24, sext(v24), s7 dst_sel:DWORD dst_unused:UNUSED_PAD src0_sel:BYTE_0 src1_sel:DWORD
	v_lshl_add_u32 v23, v23, 23, v90
	v_or3_b32 v24, v24, v23, v33
	v_pk_mov_b32 v[38:39], v[24:25], v[24:25] op_sel:[0,1]
.LBB216_382:                            ;   in Loop: Header=BB216_339 Depth=1
	s_or_b64 exec, exec, s[24:25]
.LBB216_383:                            ;   in Loop: Header=BB216_339 Depth=1
	s_or_b64 exec, exec, s[22:23]
.LBB216_384:                            ;   in Loop: Header=BB216_339 Depth=1
	s_or_b64 exec, exec, s[20:21]
	v_cmp_lt_u32_e64 s[0:1], s38, v32
	s_and_saveexec_b64 s[20:21], s[0:1]
	s_cbranch_execz .LBB216_390
; %bb.385:                              ;   in Loop: Header=BB216_339 Depth=1
	v_cmp_ne_u32_sdwa s[0:1], v32, s29 src0_sel:BYTE_3 src1_sel:DWORD
	v_pk_mov_b32 v[40:41], s[6:7], s[6:7] op_sel:[0,1]
	s_and_saveexec_b64 s[22:23], s[0:1]
	s_cbranch_execz .LBB216_389
; %bb.386:                              ;   in Loop: Header=BB216_339 Depth=1
	v_bfe_u32 v23, v32, 24, 7
	s_mov_b32 s12, s6
	v_cmp_ne_u32_e64 s[0:1], s30, v23
	v_pk_mov_b32 v[40:41], s[12:13], s[12:13] op_sel:[0,1]
	s_and_saveexec_b64 s[24:25], s[0:1]
	s_cbranch_execz .LBB216_388
; %bb.387:                              ;   in Loop: Header=BB216_339 Depth=1
	v_and_b32_sdwa v24, v32, v91 dst_sel:DWORD dst_unused:UNUSED_PAD src0_sel:BYTE_3 src1_sel:DWORD
	v_ffbh_u32_e32 v40, v24
	v_min_u32_e32 v42, 32, v40
	v_subrev_u32_e32 v40, 28, v42
	v_lshlrev_b64 v[40:41], v40, v[24:25]
	v_lshrrev_b32_e32 v33, 3, v23
	v_sub_u32_e32 v41, 29, v42
	v_cmp_gt_u32_e64 s[0:1], 8, v23
	v_and_b32_e32 v40, 7, v40
	v_cndmask_b32_e64 v23, v33, v41, s[0:1]
	v_cndmask_b32_e64 v24, v24, v40, s[0:1]
	v_lshlrev_b32_sdwa v32, v92, v32 dst_sel:DWORD dst_unused:UNUSED_PAD src0_sel:DWORD src1_sel:BYTE_3
	v_lshl_add_u32 v23, v23, 23, v90
	v_and_or_b32 v23, v32, s7, v23
	v_lshlrev_b32_e32 v24, 20, v24
	v_or_b32_e32 v23, v23, v24
	v_pk_mov_b32 v[40:41], v[22:23], v[22:23] op_sel:[0,1]
.LBB216_388:                            ;   in Loop: Header=BB216_339 Depth=1
	s_or_b64 exec, exec, s[24:25]
.LBB216_389:                            ;   in Loop: Header=BB216_339 Depth=1
	s_or_b64 exec, exec, s[22:23]
.LBB216_390:                            ;   in Loop: Header=BB216_339 Depth=1
	s_or_b64 exec, exec, s[20:21]
	s_mov_b32 s19, s18
	v_or_b32_e32 v33, v37, v35
	v_or_b32_e32 v32, v36, v34
	v_or_b32_e32 v35, v41, v39
	v_or_b32_e32 v34, v40, v38
	v_pk_mul_f32 v[32:33], s[18:19], v[32:33]
	v_pk_mul_f32 v[34:35], s[18:19], v[34:35]
	s_and_saveexec_b64 s[20:21], vcc
; %bb.391:                              ;   in Loop: Header=BB216_339 Depth=1
	v_cmp_gt_i32_e64 s[0:1], s41, v93
	v_cndmask_b32_e64 v32, 0, v32, s[0:1]
	v_cmp_gt_i32_e64 s[0:1], s41, v96
	v_cndmask_b32_e64 v33, 0, v33, s[0:1]
	;; [unrolled: 2-line block ×4, first 2 shown]
; %bb.392:                              ;   in Loop: Header=BB216_339 Depth=1
	s_or_b64 exec, exec, s[20:21]
	global_load_dword v36, v[30:31], off offset:512
	v_pk_mov_b32 v[40:41], 0, 0
	v_pk_mov_b32 v[38:39], v[40:41], v[40:41] op_sel:[0,1]
	s_waitcnt vmcnt(0)
	v_cmp_ne_u16_sdwa s[0:1], v36, v22 src0_sel:BYTE_0 src1_sel:DWORD
	s_and_saveexec_b64 s[20:21], s[0:1]
	s_cbranch_execz .LBB216_398
; %bb.393:                              ;   in Loop: Header=BB216_339 Depth=1
	v_bfrev_b32_e32 v38, 1
	v_cmp_ne_u16_sdwa s[0:1], v36, s29 src0_sel:BYTE_0 src1_sel:DWORD
	v_mov_b32_e32 v39, 0
	s_and_saveexec_b64 s[22:23], s[0:1]
	s_cbranch_execz .LBB216_397
; %bb.394:                              ;   in Loop: Header=BB216_339 Depth=1
	v_and_b32_e32 v23, 0x7f, v36
	v_mov_b32_e32 v38, 0x7f800001
	v_cmp_ne_u32_e64 s[0:1], s30, v23
	v_mov_b32_e32 v39, 0
	s_and_saveexec_b64 s[24:25], s[0:1]
	s_cbranch_execz .LBB216_396
; %bb.395:                              ;   in Loop: Header=BB216_339 Depth=1
	v_and_b32_e32 v24, 7, v36
	v_ffbh_u32_e32 v38, v24
	v_min_u32_e32 v42, 32, v38
	v_lshrrev_b32_e32 v37, 3, v23
	v_subrev_u32_e32 v38, 28, v42
	v_lshlrev_b64 v[38:39], v38, v[36:37]
	v_sub_u32_e32 v39, 29, v42
	v_and_b32_e32 v38, 7, v38
	v_cmp_gt_u32_e64 s[0:1], 8, v23
	v_cndmask_b32_e64 v23, v37, v39, s[0:1]
	v_cndmask_b32_e64 v24, v24, v38, s[0:1]
	v_lshlrev_b32_e32 v24, 20, v24
	v_and_b32_sdwa v37, sext(v36), s7 dst_sel:DWORD dst_unused:UNUSED_PAD src0_sel:BYTE_0 src1_sel:DWORD
	v_lshl_add_u32 v23, v23, 23, v90
	v_or3_b32 v24, v37, v23, v24
	v_pk_mov_b32 v[38:39], v[24:25], v[24:25] op_sel:[0,1]
.LBB216_396:                            ;   in Loop: Header=BB216_339 Depth=1
	s_or_b64 exec, exec, s[24:25]
.LBB216_397:                            ;   in Loop: Header=BB216_339 Depth=1
	s_or_b64 exec, exec, s[22:23]
.LBB216_398:                            ;   in Loop: Header=BB216_339 Depth=1
	s_or_b64 exec, exec, s[20:21]
	v_cmp_ne_u16_sdwa s[0:1], v36, v22 src0_sel:BYTE_1 src1_sel:DWORD
	s_and_saveexec_b64 s[20:21], s[0:1]
	s_cbranch_execz .LBB216_404
; %bb.399:                              ;   in Loop: Header=BB216_339 Depth=1
	v_cmp_ne_u16_sdwa s[0:1], v36, s29 src0_sel:BYTE_1 src1_sel:DWORD
	v_pk_mov_b32 v[40:41], s[6:7], s[6:7] op_sel:[0,1]
	s_and_saveexec_b64 s[22:23], s[0:1]
	s_cbranch_execz .LBB216_403
; %bb.400:                              ;   in Loop: Header=BB216_339 Depth=1
	v_and_b32_sdwa v23, v36, s30 dst_sel:DWORD dst_unused:UNUSED_PAD src0_sel:BYTE_1 src1_sel:DWORD
	s_mov_b32 s12, s6
	v_cmp_ne_u32_e64 s[0:1], s30, v23
	v_pk_mov_b32 v[40:41], s[12:13], s[12:13] op_sel:[0,1]
	s_and_saveexec_b64 s[24:25], s[0:1]
	s_cbranch_execz .LBB216_402
; %bb.401:                              ;   in Loop: Header=BB216_339 Depth=1
	v_and_b32_sdwa v24, v36, v91 dst_sel:DWORD dst_unused:UNUSED_PAD src0_sel:BYTE_1 src1_sel:DWORD
	v_ffbh_u32_e32 v40, v24
	v_min_u32_e32 v42, 32, v40
	v_subrev_u32_e32 v40, 28, v42
	v_lshlrev_b64 v[40:41], v40, v[24:25]
	v_lshrrev_b32_e32 v37, 3, v23
	v_sub_u32_e32 v41, 29, v42
	v_cmp_gt_u32_e64 s[0:1], 8, v23
	v_and_b32_e32 v40, 7, v40
	v_cndmask_b32_e64 v23, v37, v41, s[0:1]
	v_cndmask_b32_e64 v24, v24, v40, s[0:1]
	v_lshlrev_b32_e32 v37, 16, v36
	v_lshl_add_u32 v23, v23, 23, v90
	v_and_or_b32 v23, v37, s7, v23
	v_lshlrev_b32_e32 v24, 20, v24
	v_or_b32_e32 v23, v23, v24
	v_pk_mov_b32 v[40:41], v[22:23], v[22:23] op_sel:[0,1]
.LBB216_402:                            ;   in Loop: Header=BB216_339 Depth=1
	s_or_b64 exec, exec, s[24:25]
.LBB216_403:                            ;   in Loop: Header=BB216_339 Depth=1
	s_or_b64 exec, exec, s[22:23]
.LBB216_404:                            ;   in Loop: Header=BB216_339 Depth=1
	s_or_b64 exec, exec, s[20:21]
	v_lshrrev_b32_e32 v24, 16, v36
	v_pk_mov_b32 v[44:45], 0, 0
	v_cmp_ne_u16_sdwa s[0:1], v24, v22 src0_sel:BYTE_0 src1_sel:DWORD
	v_pk_mov_b32 v[42:43], v[44:45], v[44:45] op_sel:[0,1]
	s_and_saveexec_b64 s[20:21], s[0:1]
	s_cbranch_execz .LBB216_410
; %bb.405:                              ;   in Loop: Header=BB216_339 Depth=1
	v_bfrev_b32_e32 v42, 1
	v_cmp_ne_u16_sdwa s[0:1], v24, s29 src0_sel:BYTE_0 src1_sel:DWORD
	v_mov_b32_e32 v43, 0
	s_and_saveexec_b64 s[22:23], s[0:1]
	s_cbranch_execz .LBB216_409
; %bb.406:                              ;   in Loop: Header=BB216_339 Depth=1
	v_bfe_u32 v23, v36, 16, 7
	v_mov_b32_e32 v42, 0x7f800001
	v_cmp_ne_u32_e64 s[0:1], s30, v23
	v_mov_b32_e32 v43, 0
	s_and_saveexec_b64 s[24:25], s[0:1]
	s_cbranch_execz .LBB216_408
; %bb.407:                              ;   in Loop: Header=BB216_339 Depth=1
	v_and_b32_e32 v37, 7, v24
	v_ffbh_u32_e32 v42, v37
	v_min_u32_e32 v47, 32, v42
	v_subrev_u32_e32 v42, 28, v47
	v_lshlrev_b64 v[42:43], v42, v[24:25]
	v_lshrrev_b32_e32 v46, 3, v23
	v_sub_u32_e32 v43, 29, v47
	v_and_b32_e32 v42, 7, v42
	v_cmp_gt_u32_e64 s[0:1], 8, v23
	v_cndmask_b32_e64 v23, v46, v43, s[0:1]
	v_cndmask_b32_e64 v37, v37, v42, s[0:1]
	v_lshlrev_b32_e32 v37, 20, v37
	v_and_b32_sdwa v24, sext(v24), s7 dst_sel:DWORD dst_unused:UNUSED_PAD src0_sel:BYTE_0 src1_sel:DWORD
	v_lshl_add_u32 v23, v23, 23, v90
	v_or3_b32 v24, v24, v23, v37
	v_pk_mov_b32 v[42:43], v[24:25], v[24:25] op_sel:[0,1]
.LBB216_408:                            ;   in Loop: Header=BB216_339 Depth=1
	s_or_b64 exec, exec, s[24:25]
.LBB216_409:                            ;   in Loop: Header=BB216_339 Depth=1
	s_or_b64 exec, exec, s[22:23]
.LBB216_410:                            ;   in Loop: Header=BB216_339 Depth=1
	s_or_b64 exec, exec, s[20:21]
	v_cmp_lt_u32_e64 s[0:1], s38, v36
	s_and_saveexec_b64 s[20:21], s[0:1]
	s_cbranch_execz .LBB216_416
; %bb.411:                              ;   in Loop: Header=BB216_339 Depth=1
	v_cmp_ne_u32_sdwa s[0:1], v36, s29 src0_sel:BYTE_3 src1_sel:DWORD
	v_pk_mov_b32 v[44:45], s[6:7], s[6:7] op_sel:[0,1]
	s_and_saveexec_b64 s[22:23], s[0:1]
	s_cbranch_execz .LBB216_415
; %bb.412:                              ;   in Loop: Header=BB216_339 Depth=1
	v_bfe_u32 v23, v36, 24, 7
	s_mov_b32 s12, s6
	v_cmp_ne_u32_e64 s[0:1], s30, v23
	v_pk_mov_b32 v[44:45], s[12:13], s[12:13] op_sel:[0,1]
	s_and_saveexec_b64 s[24:25], s[0:1]
	s_cbranch_execz .LBB216_414
; %bb.413:                              ;   in Loop: Header=BB216_339 Depth=1
	v_and_b32_sdwa v24, v36, v91 dst_sel:DWORD dst_unused:UNUSED_PAD src0_sel:BYTE_3 src1_sel:DWORD
	v_ffbh_u32_e32 v44, v24
	v_min_u32_e32 v46, 32, v44
	v_subrev_u32_e32 v44, 28, v46
	v_lshlrev_b64 v[44:45], v44, v[24:25]
	v_lshrrev_b32_e32 v37, 3, v23
	v_sub_u32_e32 v45, 29, v46
	v_cmp_gt_u32_e64 s[0:1], 8, v23
	v_and_b32_e32 v44, 7, v44
	v_cndmask_b32_e64 v23, v37, v45, s[0:1]
	v_cndmask_b32_e64 v24, v24, v44, s[0:1]
	v_lshlrev_b32_sdwa v36, v92, v36 dst_sel:DWORD dst_unused:UNUSED_PAD src0_sel:DWORD src1_sel:BYTE_3
	v_lshl_add_u32 v23, v23, 23, v90
	v_and_or_b32 v23, v36, s7, v23
	v_lshlrev_b32_e32 v24, 20, v24
	v_or_b32_e32 v23, v23, v24
	v_pk_mov_b32 v[44:45], v[22:23], v[22:23] op_sel:[0,1]
.LBB216_414:                            ;   in Loop: Header=BB216_339 Depth=1
	s_or_b64 exec, exec, s[24:25]
.LBB216_415:                            ;   in Loop: Header=BB216_339 Depth=1
	s_or_b64 exec, exec, s[22:23]
.LBB216_416:                            ;   in Loop: Header=BB216_339 Depth=1
	s_or_b64 exec, exec, s[20:21]
	v_or_b32_e32 v37, v41, v39
	v_or_b32_e32 v36, v40, v38
	v_or_b32_e32 v39, v45, v43
	v_or_b32_e32 v38, v44, v42
	v_pk_mul_f32 v[36:37], s[18:19], v[36:37]
	v_pk_mul_f32 v[38:39], s[18:19], v[38:39]
	s_and_saveexec_b64 s[20:21], vcc
; %bb.417:                              ;   in Loop: Header=BB216_339 Depth=1
	v_cmp_gt_i32_e64 s[0:1], s41, v93
	v_cndmask_b32_e64 v36, 0, v36, s[0:1]
	v_cmp_gt_i32_e64 s[0:1], s41, v96
	v_cndmask_b32_e64 v37, 0, v37, s[0:1]
	;; [unrolled: 2-line block ×4, first 2 shown]
; %bb.418:                              ;   in Loop: Header=BB216_339 Depth=1
	s_or_b64 exec, exec, s[20:21]
	global_load_dword v40, v[30:31], off offset:768
	v_pk_mov_b32 v[44:45], 0, 0
	v_pk_mov_b32 v[42:43], v[44:45], v[44:45] op_sel:[0,1]
	s_waitcnt vmcnt(0)
	v_cmp_ne_u16_sdwa s[0:1], v40, v22 src0_sel:BYTE_0 src1_sel:DWORD
	s_and_saveexec_b64 s[20:21], s[0:1]
	s_cbranch_execz .LBB216_424
; %bb.419:                              ;   in Loop: Header=BB216_339 Depth=1
	v_bfrev_b32_e32 v42, 1
	v_cmp_ne_u16_sdwa s[0:1], v40, s29 src0_sel:BYTE_0 src1_sel:DWORD
	v_mov_b32_e32 v43, 0
	s_and_saveexec_b64 s[22:23], s[0:1]
	s_cbranch_execz .LBB216_423
; %bb.420:                              ;   in Loop: Header=BB216_339 Depth=1
	v_and_b32_e32 v23, 0x7f, v40
	v_mov_b32_e32 v42, 0x7f800001
	v_cmp_ne_u32_e64 s[0:1], s30, v23
	v_mov_b32_e32 v43, 0
	s_and_saveexec_b64 s[24:25], s[0:1]
	s_cbranch_execz .LBB216_422
; %bb.421:                              ;   in Loop: Header=BB216_339 Depth=1
	v_and_b32_e32 v24, 7, v40
	v_ffbh_u32_e32 v42, v24
	v_min_u32_e32 v46, 32, v42
	v_lshrrev_b32_e32 v41, 3, v23
	v_subrev_u32_e32 v42, 28, v46
	v_lshlrev_b64 v[42:43], v42, v[40:41]
	v_sub_u32_e32 v43, 29, v46
	v_and_b32_e32 v42, 7, v42
	v_cmp_gt_u32_e64 s[0:1], 8, v23
	v_cndmask_b32_e64 v23, v41, v43, s[0:1]
	v_cndmask_b32_e64 v24, v24, v42, s[0:1]
	v_lshlrev_b32_e32 v24, 20, v24
	v_and_b32_sdwa v41, sext(v40), s7 dst_sel:DWORD dst_unused:UNUSED_PAD src0_sel:BYTE_0 src1_sel:DWORD
	v_lshl_add_u32 v23, v23, 23, v90
	v_or3_b32 v24, v41, v23, v24
	v_pk_mov_b32 v[42:43], v[24:25], v[24:25] op_sel:[0,1]
.LBB216_422:                            ;   in Loop: Header=BB216_339 Depth=1
	s_or_b64 exec, exec, s[24:25]
.LBB216_423:                            ;   in Loop: Header=BB216_339 Depth=1
	s_or_b64 exec, exec, s[22:23]
.LBB216_424:                            ;   in Loop: Header=BB216_339 Depth=1
	s_or_b64 exec, exec, s[20:21]
	v_cmp_ne_u16_sdwa s[0:1], v40, v22 src0_sel:BYTE_1 src1_sel:DWORD
	s_and_saveexec_b64 s[20:21], s[0:1]
	s_cbranch_execz .LBB216_430
; %bb.425:                              ;   in Loop: Header=BB216_339 Depth=1
	v_cmp_ne_u16_sdwa s[0:1], v40, s29 src0_sel:BYTE_1 src1_sel:DWORD
	v_pk_mov_b32 v[44:45], s[6:7], s[6:7] op_sel:[0,1]
	s_and_saveexec_b64 s[22:23], s[0:1]
	s_cbranch_execz .LBB216_429
; %bb.426:                              ;   in Loop: Header=BB216_339 Depth=1
	v_and_b32_sdwa v23, v40, s30 dst_sel:DWORD dst_unused:UNUSED_PAD src0_sel:BYTE_1 src1_sel:DWORD
	s_mov_b32 s12, s6
	v_cmp_ne_u32_e64 s[0:1], s30, v23
	v_pk_mov_b32 v[44:45], s[12:13], s[12:13] op_sel:[0,1]
	s_and_saveexec_b64 s[24:25], s[0:1]
	s_cbranch_execz .LBB216_428
; %bb.427:                              ;   in Loop: Header=BB216_339 Depth=1
	v_and_b32_sdwa v24, v40, v91 dst_sel:DWORD dst_unused:UNUSED_PAD src0_sel:BYTE_1 src1_sel:DWORD
	v_ffbh_u32_e32 v44, v24
	v_min_u32_e32 v46, 32, v44
	v_subrev_u32_e32 v44, 28, v46
	v_lshlrev_b64 v[44:45], v44, v[24:25]
	v_lshrrev_b32_e32 v41, 3, v23
	v_sub_u32_e32 v45, 29, v46
	v_cmp_gt_u32_e64 s[0:1], 8, v23
	v_and_b32_e32 v44, 7, v44
	v_cndmask_b32_e64 v23, v41, v45, s[0:1]
	v_cndmask_b32_e64 v24, v24, v44, s[0:1]
	v_lshlrev_b32_e32 v41, 16, v40
	v_lshl_add_u32 v23, v23, 23, v90
	v_and_or_b32 v23, v41, s7, v23
	v_lshlrev_b32_e32 v24, 20, v24
	v_or_b32_e32 v23, v23, v24
	v_pk_mov_b32 v[44:45], v[22:23], v[22:23] op_sel:[0,1]
.LBB216_428:                            ;   in Loop: Header=BB216_339 Depth=1
	s_or_b64 exec, exec, s[24:25]
.LBB216_429:                            ;   in Loop: Header=BB216_339 Depth=1
	s_or_b64 exec, exec, s[22:23]
.LBB216_430:                            ;   in Loop: Header=BB216_339 Depth=1
	s_or_b64 exec, exec, s[20:21]
	v_lshrrev_b32_e32 v24, 16, v40
	v_pk_mov_b32 v[48:49], 0, 0
	v_cmp_ne_u16_sdwa s[0:1], v24, v22 src0_sel:BYTE_0 src1_sel:DWORD
	v_pk_mov_b32 v[46:47], v[48:49], v[48:49] op_sel:[0,1]
	s_and_saveexec_b64 s[20:21], s[0:1]
	s_cbranch_execz .LBB216_436
; %bb.431:                              ;   in Loop: Header=BB216_339 Depth=1
	v_bfrev_b32_e32 v46, 1
	v_cmp_ne_u16_sdwa s[0:1], v24, s29 src0_sel:BYTE_0 src1_sel:DWORD
	v_mov_b32_e32 v47, 0
	s_and_saveexec_b64 s[22:23], s[0:1]
	s_cbranch_execz .LBB216_435
; %bb.432:                              ;   in Loop: Header=BB216_339 Depth=1
	v_bfe_u32 v23, v40, 16, 7
	v_mov_b32_e32 v46, 0x7f800001
	v_cmp_ne_u32_e64 s[0:1], s30, v23
	v_mov_b32_e32 v47, 0
	s_and_saveexec_b64 s[24:25], s[0:1]
	s_cbranch_execz .LBB216_434
; %bb.433:                              ;   in Loop: Header=BB216_339 Depth=1
	v_and_b32_e32 v41, 7, v24
	v_ffbh_u32_e32 v46, v41
	v_min_u32_e32 v55, 32, v46
	v_subrev_u32_e32 v46, 28, v55
	v_lshlrev_b64 v[46:47], v46, v[24:25]
	v_lshrrev_b32_e32 v54, 3, v23
	v_sub_u32_e32 v47, 29, v55
	v_and_b32_e32 v46, 7, v46
	v_cmp_gt_u32_e64 s[0:1], 8, v23
	v_cndmask_b32_e64 v23, v54, v47, s[0:1]
	v_cndmask_b32_e64 v41, v41, v46, s[0:1]
	v_lshlrev_b32_e32 v41, 20, v41
	v_and_b32_sdwa v24, sext(v24), s7 dst_sel:DWORD dst_unused:UNUSED_PAD src0_sel:BYTE_0 src1_sel:DWORD
	v_lshl_add_u32 v23, v23, 23, v90
	v_or3_b32 v24, v24, v23, v41
	v_pk_mov_b32 v[46:47], v[24:25], v[24:25] op_sel:[0,1]
.LBB216_434:                            ;   in Loop: Header=BB216_339 Depth=1
	s_or_b64 exec, exec, s[24:25]
.LBB216_435:                            ;   in Loop: Header=BB216_339 Depth=1
	s_or_b64 exec, exec, s[22:23]
.LBB216_436:                            ;   in Loop: Header=BB216_339 Depth=1
	s_or_b64 exec, exec, s[20:21]
	v_cmp_lt_u32_e64 s[0:1], s38, v40
	s_and_saveexec_b64 s[20:21], s[0:1]
	s_cbranch_execz .LBB216_442
; %bb.437:                              ;   in Loop: Header=BB216_339 Depth=1
	v_cmp_ne_u32_sdwa s[0:1], v40, s29 src0_sel:BYTE_3 src1_sel:DWORD
	v_pk_mov_b32 v[48:49], s[6:7], s[6:7] op_sel:[0,1]
	s_and_saveexec_b64 s[22:23], s[0:1]
	s_cbranch_execz .LBB216_441
; %bb.438:                              ;   in Loop: Header=BB216_339 Depth=1
	v_bfe_u32 v23, v40, 24, 7
	s_mov_b32 s12, s6
	v_cmp_ne_u32_e64 s[0:1], s30, v23
	v_pk_mov_b32 v[48:49], s[12:13], s[12:13] op_sel:[0,1]
	s_and_saveexec_b64 s[24:25], s[0:1]
	s_cbranch_execz .LBB216_440
; %bb.439:                              ;   in Loop: Header=BB216_339 Depth=1
	v_and_b32_sdwa v24, v40, v91 dst_sel:DWORD dst_unused:UNUSED_PAD src0_sel:BYTE_3 src1_sel:DWORD
	v_ffbh_u32_e32 v48, v24
	v_min_u32_e32 v54, 32, v48
	v_subrev_u32_e32 v48, 28, v54
	v_lshlrev_b64 v[48:49], v48, v[24:25]
	v_lshrrev_b32_e32 v41, 3, v23
	v_sub_u32_e32 v49, 29, v54
	v_cmp_gt_u32_e64 s[0:1], 8, v23
	v_and_b32_e32 v48, 7, v48
	v_cndmask_b32_e64 v23, v41, v49, s[0:1]
	v_cndmask_b32_e64 v24, v24, v48, s[0:1]
	v_lshlrev_b32_sdwa v40, v92, v40 dst_sel:DWORD dst_unused:UNUSED_PAD src0_sel:DWORD src1_sel:BYTE_3
	v_lshl_add_u32 v23, v23, 23, v90
	v_and_or_b32 v23, v40, s7, v23
	v_lshlrev_b32_e32 v24, 20, v24
	v_or_b32_e32 v23, v23, v24
	v_pk_mov_b32 v[48:49], v[22:23], v[22:23] op_sel:[0,1]
.LBB216_440:                            ;   in Loop: Header=BB216_339 Depth=1
	s_or_b64 exec, exec, s[24:25]
.LBB216_441:                            ;   in Loop: Header=BB216_339 Depth=1
	s_or_b64 exec, exec, s[22:23]
.LBB216_442:                            ;   in Loop: Header=BB216_339 Depth=1
	s_or_b64 exec, exec, s[20:21]
	v_or_b32_e32 v41, v45, v43
	v_or_b32_e32 v40, v44, v42
	;; [unrolled: 1-line block ×4, first 2 shown]
	v_pk_mul_f32 v[40:41], s[18:19], v[40:41]
	v_pk_mul_f32 v[42:43], s[18:19], v[42:43]
	s_and_saveexec_b64 s[20:21], vcc
; %bb.443:                              ;   in Loop: Header=BB216_339 Depth=1
	v_cmp_gt_i32_e64 s[0:1], s41, v93
	v_cndmask_b32_e64 v40, 0, v40, s[0:1]
	v_cmp_gt_i32_e64 s[0:1], s41, v96
	v_cndmask_b32_e64 v41, 0, v41, s[0:1]
	;; [unrolled: 2-line block ×4, first 2 shown]
; %bb.444:                              ;   in Loop: Header=BB216_339 Depth=1
	s_or_b64 exec, exec, s[20:21]
	global_load_dword v44, v[30:31], off offset:1024
	v_pk_mov_b32 v[48:49], 0, 0
	v_pk_mov_b32 v[46:47], v[48:49], v[48:49] op_sel:[0,1]
	s_waitcnt vmcnt(0)
	v_cmp_ne_u16_sdwa s[0:1], v44, v22 src0_sel:BYTE_0 src1_sel:DWORD
	s_and_saveexec_b64 s[20:21], s[0:1]
	s_cbranch_execz .LBB216_450
; %bb.445:                              ;   in Loop: Header=BB216_339 Depth=1
	v_bfrev_b32_e32 v46, 1
	v_cmp_ne_u16_sdwa s[0:1], v44, s29 src0_sel:BYTE_0 src1_sel:DWORD
	v_mov_b32_e32 v47, 0
	s_and_saveexec_b64 s[22:23], s[0:1]
	s_cbranch_execz .LBB216_449
; %bb.446:                              ;   in Loop: Header=BB216_339 Depth=1
	v_and_b32_e32 v23, 0x7f, v44
	v_mov_b32_e32 v46, 0x7f800001
	v_cmp_ne_u32_e64 s[0:1], s30, v23
	v_mov_b32_e32 v47, 0
	s_and_saveexec_b64 s[24:25], s[0:1]
	s_cbranch_execz .LBB216_448
; %bb.447:                              ;   in Loop: Header=BB216_339 Depth=1
	v_and_b32_e32 v24, 7, v44
	v_ffbh_u32_e32 v46, v24
	v_min_u32_e32 v54, 32, v46
	v_lshrrev_b32_e32 v45, 3, v23
	v_subrev_u32_e32 v46, 28, v54
	v_lshlrev_b64 v[46:47], v46, v[44:45]
	v_sub_u32_e32 v47, 29, v54
	v_and_b32_e32 v46, 7, v46
	v_cmp_gt_u32_e64 s[0:1], 8, v23
	v_cndmask_b32_e64 v23, v45, v47, s[0:1]
	v_cndmask_b32_e64 v24, v24, v46, s[0:1]
	v_lshlrev_b32_e32 v24, 20, v24
	v_and_b32_sdwa v45, sext(v44), s7 dst_sel:DWORD dst_unused:UNUSED_PAD src0_sel:BYTE_0 src1_sel:DWORD
	v_lshl_add_u32 v23, v23, 23, v90
	v_or3_b32 v24, v45, v23, v24
	v_pk_mov_b32 v[46:47], v[24:25], v[24:25] op_sel:[0,1]
.LBB216_448:                            ;   in Loop: Header=BB216_339 Depth=1
	s_or_b64 exec, exec, s[24:25]
.LBB216_449:                            ;   in Loop: Header=BB216_339 Depth=1
	s_or_b64 exec, exec, s[22:23]
.LBB216_450:                            ;   in Loop: Header=BB216_339 Depth=1
	s_or_b64 exec, exec, s[20:21]
	v_cmp_ne_u16_sdwa s[0:1], v44, v22 src0_sel:BYTE_1 src1_sel:DWORD
	s_and_saveexec_b64 s[20:21], s[0:1]
	s_cbranch_execz .LBB216_456
; %bb.451:                              ;   in Loop: Header=BB216_339 Depth=1
	v_cmp_ne_u16_sdwa s[0:1], v44, s29 src0_sel:BYTE_1 src1_sel:DWORD
	v_pk_mov_b32 v[48:49], s[6:7], s[6:7] op_sel:[0,1]
	s_and_saveexec_b64 s[22:23], s[0:1]
	s_cbranch_execz .LBB216_455
; %bb.452:                              ;   in Loop: Header=BB216_339 Depth=1
	v_and_b32_sdwa v23, v44, s30 dst_sel:DWORD dst_unused:UNUSED_PAD src0_sel:BYTE_1 src1_sel:DWORD
	s_mov_b32 s12, s6
	v_cmp_ne_u32_e64 s[0:1], s30, v23
	v_pk_mov_b32 v[48:49], s[12:13], s[12:13] op_sel:[0,1]
	s_and_saveexec_b64 s[24:25], s[0:1]
	s_cbranch_execz .LBB216_454
; %bb.453:                              ;   in Loop: Header=BB216_339 Depth=1
	v_and_b32_sdwa v24, v44, v91 dst_sel:DWORD dst_unused:UNUSED_PAD src0_sel:BYTE_1 src1_sel:DWORD
	v_ffbh_u32_e32 v48, v24
	v_min_u32_e32 v54, 32, v48
	v_subrev_u32_e32 v48, 28, v54
	v_lshlrev_b64 v[48:49], v48, v[24:25]
	v_lshrrev_b32_e32 v45, 3, v23
	v_sub_u32_e32 v49, 29, v54
	v_cmp_gt_u32_e64 s[0:1], 8, v23
	v_and_b32_e32 v48, 7, v48
	v_cndmask_b32_e64 v23, v45, v49, s[0:1]
	v_cndmask_b32_e64 v24, v24, v48, s[0:1]
	v_lshlrev_b32_e32 v45, 16, v44
	v_lshl_add_u32 v23, v23, 23, v90
	v_and_or_b32 v23, v45, s7, v23
	v_lshlrev_b32_e32 v24, 20, v24
	v_or_b32_e32 v23, v23, v24
	v_pk_mov_b32 v[48:49], v[22:23], v[22:23] op_sel:[0,1]
.LBB216_454:                            ;   in Loop: Header=BB216_339 Depth=1
	s_or_b64 exec, exec, s[24:25]
.LBB216_455:                            ;   in Loop: Header=BB216_339 Depth=1
	s_or_b64 exec, exec, s[22:23]
.LBB216_456:                            ;   in Loop: Header=BB216_339 Depth=1
	s_or_b64 exec, exec, s[20:21]
	v_lshrrev_b32_e32 v24, 16, v44
	v_pk_mov_b32 v[56:57], 0, 0
	v_cmp_ne_u16_sdwa s[0:1], v24, v22 src0_sel:BYTE_0 src1_sel:DWORD
	v_pk_mov_b32 v[54:55], v[56:57], v[56:57] op_sel:[0,1]
	s_and_saveexec_b64 s[20:21], s[0:1]
	s_cbranch_execz .LBB216_462
; %bb.457:                              ;   in Loop: Header=BB216_339 Depth=1
	v_bfrev_b32_e32 v54, 1
	v_cmp_ne_u16_sdwa s[0:1], v24, s29 src0_sel:BYTE_0 src1_sel:DWORD
	v_mov_b32_e32 v55, 0
	s_and_saveexec_b64 s[22:23], s[0:1]
	s_cbranch_execz .LBB216_461
; %bb.458:                              ;   in Loop: Header=BB216_339 Depth=1
	v_bfe_u32 v23, v44, 16, 7
	v_mov_b32_e32 v54, 0x7f800001
	v_cmp_ne_u32_e64 s[0:1], s30, v23
	v_mov_b32_e32 v55, 0
	s_and_saveexec_b64 s[24:25], s[0:1]
	s_cbranch_execz .LBB216_460
; %bb.459:                              ;   in Loop: Header=BB216_339 Depth=1
	v_and_b32_e32 v45, 7, v24
	v_ffbh_u32_e32 v54, v45
	v_min_u32_e32 v59, 32, v54
	v_subrev_u32_e32 v54, 28, v59
	v_lshlrev_b64 v[54:55], v54, v[24:25]
	v_lshrrev_b32_e32 v58, 3, v23
	v_sub_u32_e32 v55, 29, v59
	v_and_b32_e32 v54, 7, v54
	v_cmp_gt_u32_e64 s[0:1], 8, v23
	v_cndmask_b32_e64 v23, v58, v55, s[0:1]
	v_cndmask_b32_e64 v45, v45, v54, s[0:1]
	v_lshlrev_b32_e32 v45, 20, v45
	v_and_b32_sdwa v24, sext(v24), s7 dst_sel:DWORD dst_unused:UNUSED_PAD src0_sel:BYTE_0 src1_sel:DWORD
	v_lshl_add_u32 v23, v23, 23, v90
	v_or3_b32 v24, v24, v23, v45
	v_pk_mov_b32 v[54:55], v[24:25], v[24:25] op_sel:[0,1]
.LBB216_460:                            ;   in Loop: Header=BB216_339 Depth=1
	s_or_b64 exec, exec, s[24:25]
.LBB216_461:                            ;   in Loop: Header=BB216_339 Depth=1
	s_or_b64 exec, exec, s[22:23]
.LBB216_462:                            ;   in Loop: Header=BB216_339 Depth=1
	s_or_b64 exec, exec, s[20:21]
	v_cmp_lt_u32_e64 s[0:1], s38, v44
	s_and_saveexec_b64 s[20:21], s[0:1]
	s_cbranch_execz .LBB216_468
; %bb.463:                              ;   in Loop: Header=BB216_339 Depth=1
	v_cmp_ne_u32_sdwa s[0:1], v44, s29 src0_sel:BYTE_3 src1_sel:DWORD
	v_pk_mov_b32 v[56:57], s[6:7], s[6:7] op_sel:[0,1]
	s_and_saveexec_b64 s[22:23], s[0:1]
	s_cbranch_execz .LBB216_467
; %bb.464:                              ;   in Loop: Header=BB216_339 Depth=1
	v_bfe_u32 v23, v44, 24, 7
	s_mov_b32 s12, s6
	v_cmp_ne_u32_e64 s[0:1], s30, v23
	v_pk_mov_b32 v[56:57], s[12:13], s[12:13] op_sel:[0,1]
	s_and_saveexec_b64 s[24:25], s[0:1]
	s_cbranch_execz .LBB216_466
; %bb.465:                              ;   in Loop: Header=BB216_339 Depth=1
	v_and_b32_sdwa v24, v44, v91 dst_sel:DWORD dst_unused:UNUSED_PAD src0_sel:BYTE_3 src1_sel:DWORD
	v_ffbh_u32_e32 v56, v24
	v_min_u32_e32 v58, 32, v56
	v_subrev_u32_e32 v56, 28, v58
	v_lshlrev_b64 v[56:57], v56, v[24:25]
	v_lshrrev_b32_e32 v45, 3, v23
	v_sub_u32_e32 v57, 29, v58
	v_cmp_gt_u32_e64 s[0:1], 8, v23
	v_and_b32_e32 v56, 7, v56
	v_cndmask_b32_e64 v23, v45, v57, s[0:1]
	v_cndmask_b32_e64 v24, v24, v56, s[0:1]
	v_lshlrev_b32_sdwa v44, v92, v44 dst_sel:DWORD dst_unused:UNUSED_PAD src0_sel:DWORD src1_sel:BYTE_3
	v_lshl_add_u32 v23, v23, 23, v90
	v_and_or_b32 v23, v44, s7, v23
	v_lshlrev_b32_e32 v24, 20, v24
	v_or_b32_e32 v23, v23, v24
	v_pk_mov_b32 v[56:57], v[22:23], v[22:23] op_sel:[0,1]
.LBB216_466:                            ;   in Loop: Header=BB216_339 Depth=1
	s_or_b64 exec, exec, s[24:25]
.LBB216_467:                            ;   in Loop: Header=BB216_339 Depth=1
	s_or_b64 exec, exec, s[22:23]
.LBB216_468:                            ;   in Loop: Header=BB216_339 Depth=1
	s_or_b64 exec, exec, s[20:21]
	v_or_b32_e32 v45, v49, v47
	v_or_b32_e32 v44, v48, v46
	;; [unrolled: 1-line block ×4, first 2 shown]
	v_pk_mul_f32 v[44:45], s[18:19], v[44:45]
	v_pk_mul_f32 v[46:47], s[18:19], v[46:47]
	s_and_saveexec_b64 s[20:21], vcc
; %bb.469:                              ;   in Loop: Header=BB216_339 Depth=1
	v_cmp_gt_i32_e64 s[0:1], s41, v93
	v_cndmask_b32_e64 v44, 0, v44, s[0:1]
	v_cmp_gt_i32_e64 s[0:1], s41, v96
	v_cndmask_b32_e64 v45, 0, v45, s[0:1]
	;; [unrolled: 2-line block ×4, first 2 shown]
; %bb.470:                              ;   in Loop: Header=BB216_339 Depth=1
	s_or_b64 exec, exec, s[20:21]
	global_load_dword v48, v[30:31], off offset:1280
	v_pk_mov_b32 v[56:57], 0, 0
	v_pk_mov_b32 v[54:55], v[56:57], v[56:57] op_sel:[0,1]
	s_waitcnt vmcnt(0)
	v_cmp_ne_u16_sdwa s[0:1], v48, v22 src0_sel:BYTE_0 src1_sel:DWORD
	s_and_saveexec_b64 s[20:21], s[0:1]
	s_cbranch_execz .LBB216_476
; %bb.471:                              ;   in Loop: Header=BB216_339 Depth=1
	v_bfrev_b32_e32 v54, 1
	v_cmp_ne_u16_sdwa s[0:1], v48, s29 src0_sel:BYTE_0 src1_sel:DWORD
	v_mov_b32_e32 v55, 0
	s_and_saveexec_b64 s[22:23], s[0:1]
	s_cbranch_execz .LBB216_475
; %bb.472:                              ;   in Loop: Header=BB216_339 Depth=1
	v_and_b32_e32 v23, 0x7f, v48
	v_mov_b32_e32 v54, 0x7f800001
	v_cmp_ne_u32_e64 s[0:1], s30, v23
	v_mov_b32_e32 v55, 0
	s_and_saveexec_b64 s[24:25], s[0:1]
	s_cbranch_execz .LBB216_474
; %bb.473:                              ;   in Loop: Header=BB216_339 Depth=1
	v_and_b32_e32 v24, 7, v48
	v_ffbh_u32_e32 v54, v24
	v_min_u32_e32 v58, 32, v54
	v_lshrrev_b32_e32 v49, 3, v23
	v_subrev_u32_e32 v54, 28, v58
	v_lshlrev_b64 v[54:55], v54, v[48:49]
	v_sub_u32_e32 v55, 29, v58
	v_and_b32_e32 v54, 7, v54
	v_cmp_gt_u32_e64 s[0:1], 8, v23
	v_cndmask_b32_e64 v23, v49, v55, s[0:1]
	v_cndmask_b32_e64 v24, v24, v54, s[0:1]
	v_lshlrev_b32_e32 v24, 20, v24
	v_and_b32_sdwa v49, sext(v48), s7 dst_sel:DWORD dst_unused:UNUSED_PAD src0_sel:BYTE_0 src1_sel:DWORD
	v_lshl_add_u32 v23, v23, 23, v90
	v_or3_b32 v24, v49, v23, v24
	v_pk_mov_b32 v[54:55], v[24:25], v[24:25] op_sel:[0,1]
.LBB216_474:                            ;   in Loop: Header=BB216_339 Depth=1
	s_or_b64 exec, exec, s[24:25]
.LBB216_475:                            ;   in Loop: Header=BB216_339 Depth=1
	s_or_b64 exec, exec, s[22:23]
.LBB216_476:                            ;   in Loop: Header=BB216_339 Depth=1
	s_or_b64 exec, exec, s[20:21]
	v_cmp_ne_u16_sdwa s[0:1], v48, v22 src0_sel:BYTE_1 src1_sel:DWORD
	s_and_saveexec_b64 s[20:21], s[0:1]
	s_cbranch_execz .LBB216_482
; %bb.477:                              ;   in Loop: Header=BB216_339 Depth=1
	v_cmp_ne_u16_sdwa s[0:1], v48, s29 src0_sel:BYTE_1 src1_sel:DWORD
	v_pk_mov_b32 v[56:57], s[6:7], s[6:7] op_sel:[0,1]
	s_and_saveexec_b64 s[22:23], s[0:1]
	s_cbranch_execz .LBB216_481
; %bb.478:                              ;   in Loop: Header=BB216_339 Depth=1
	v_and_b32_sdwa v23, v48, s30 dst_sel:DWORD dst_unused:UNUSED_PAD src0_sel:BYTE_1 src1_sel:DWORD
	s_mov_b32 s12, s6
	v_cmp_ne_u32_e64 s[0:1], s30, v23
	v_pk_mov_b32 v[56:57], s[12:13], s[12:13] op_sel:[0,1]
	s_and_saveexec_b64 s[24:25], s[0:1]
	s_cbranch_execz .LBB216_480
; %bb.479:                              ;   in Loop: Header=BB216_339 Depth=1
	v_and_b32_sdwa v24, v48, v91 dst_sel:DWORD dst_unused:UNUSED_PAD src0_sel:BYTE_1 src1_sel:DWORD
	v_ffbh_u32_e32 v56, v24
	v_min_u32_e32 v58, 32, v56
	v_subrev_u32_e32 v56, 28, v58
	v_lshlrev_b64 v[56:57], v56, v[24:25]
	v_lshrrev_b32_e32 v49, 3, v23
	v_sub_u32_e32 v57, 29, v58
	v_cmp_gt_u32_e64 s[0:1], 8, v23
	v_and_b32_e32 v56, 7, v56
	v_cndmask_b32_e64 v23, v49, v57, s[0:1]
	v_cndmask_b32_e64 v24, v24, v56, s[0:1]
	v_lshlrev_b32_e32 v49, 16, v48
	v_lshl_add_u32 v23, v23, 23, v90
	v_and_or_b32 v23, v49, s7, v23
	v_lshlrev_b32_e32 v24, 20, v24
	v_or_b32_e32 v23, v23, v24
	v_pk_mov_b32 v[56:57], v[22:23], v[22:23] op_sel:[0,1]
.LBB216_480:                            ;   in Loop: Header=BB216_339 Depth=1
	s_or_b64 exec, exec, s[24:25]
.LBB216_481:                            ;   in Loop: Header=BB216_339 Depth=1
	s_or_b64 exec, exec, s[22:23]
.LBB216_482:                            ;   in Loop: Header=BB216_339 Depth=1
	s_or_b64 exec, exec, s[20:21]
	v_lshrrev_b32_e32 v24, 16, v48
	v_pk_mov_b32 v[60:61], 0, 0
	v_cmp_ne_u16_sdwa s[0:1], v24, v22 src0_sel:BYTE_0 src1_sel:DWORD
	v_pk_mov_b32 v[58:59], v[60:61], v[60:61] op_sel:[0,1]
	s_and_saveexec_b64 s[20:21], s[0:1]
	s_cbranch_execz .LBB216_488
; %bb.483:                              ;   in Loop: Header=BB216_339 Depth=1
	v_bfrev_b32_e32 v58, 1
	v_cmp_ne_u16_sdwa s[0:1], v24, s29 src0_sel:BYTE_0 src1_sel:DWORD
	v_mov_b32_e32 v59, 0
	s_and_saveexec_b64 s[22:23], s[0:1]
	s_cbranch_execz .LBB216_487
; %bb.484:                              ;   in Loop: Header=BB216_339 Depth=1
	v_bfe_u32 v23, v48, 16, 7
	v_mov_b32_e32 v58, 0x7f800001
	v_cmp_ne_u32_e64 s[0:1], s30, v23
	v_mov_b32_e32 v59, 0
	s_and_saveexec_b64 s[24:25], s[0:1]
	s_cbranch_execz .LBB216_486
; %bb.485:                              ;   in Loop: Header=BB216_339 Depth=1
	v_and_b32_e32 v49, 7, v24
	v_ffbh_u32_e32 v58, v49
	v_min_u32_e32 v63, 32, v58
	v_subrev_u32_e32 v58, 28, v63
	v_lshlrev_b64 v[58:59], v58, v[24:25]
	v_lshrrev_b32_e32 v62, 3, v23
	v_sub_u32_e32 v59, 29, v63
	v_and_b32_e32 v58, 7, v58
	v_cmp_gt_u32_e64 s[0:1], 8, v23
	v_cndmask_b32_e64 v23, v62, v59, s[0:1]
	v_cndmask_b32_e64 v49, v49, v58, s[0:1]
	v_lshlrev_b32_e32 v49, 20, v49
	v_and_b32_sdwa v24, sext(v24), s7 dst_sel:DWORD dst_unused:UNUSED_PAD src0_sel:BYTE_0 src1_sel:DWORD
	v_lshl_add_u32 v23, v23, 23, v90
	v_or3_b32 v24, v24, v23, v49
	v_pk_mov_b32 v[58:59], v[24:25], v[24:25] op_sel:[0,1]
.LBB216_486:                            ;   in Loop: Header=BB216_339 Depth=1
	s_or_b64 exec, exec, s[24:25]
.LBB216_487:                            ;   in Loop: Header=BB216_339 Depth=1
	s_or_b64 exec, exec, s[22:23]
.LBB216_488:                            ;   in Loop: Header=BB216_339 Depth=1
	s_or_b64 exec, exec, s[20:21]
	v_cmp_lt_u32_e64 s[0:1], s38, v48
	s_and_saveexec_b64 s[20:21], s[0:1]
	s_cbranch_execz .LBB216_494
; %bb.489:                              ;   in Loop: Header=BB216_339 Depth=1
	v_cmp_ne_u32_sdwa s[0:1], v48, s29 src0_sel:BYTE_3 src1_sel:DWORD
	v_pk_mov_b32 v[60:61], s[6:7], s[6:7] op_sel:[0,1]
	s_and_saveexec_b64 s[22:23], s[0:1]
	s_cbranch_execz .LBB216_493
; %bb.490:                              ;   in Loop: Header=BB216_339 Depth=1
	v_bfe_u32 v23, v48, 24, 7
	s_mov_b32 s12, s6
	v_cmp_ne_u32_e64 s[0:1], s30, v23
	v_pk_mov_b32 v[60:61], s[12:13], s[12:13] op_sel:[0,1]
	s_and_saveexec_b64 s[24:25], s[0:1]
	s_cbranch_execz .LBB216_492
; %bb.491:                              ;   in Loop: Header=BB216_339 Depth=1
	v_and_b32_sdwa v24, v48, v91 dst_sel:DWORD dst_unused:UNUSED_PAD src0_sel:BYTE_3 src1_sel:DWORD
	v_ffbh_u32_e32 v60, v24
	v_min_u32_e32 v62, 32, v60
	v_subrev_u32_e32 v60, 28, v62
	v_lshlrev_b64 v[60:61], v60, v[24:25]
	v_lshrrev_b32_e32 v49, 3, v23
	v_sub_u32_e32 v61, 29, v62
	v_cmp_gt_u32_e64 s[0:1], 8, v23
	v_and_b32_e32 v60, 7, v60
	v_cndmask_b32_e64 v23, v49, v61, s[0:1]
	v_cndmask_b32_e64 v24, v24, v60, s[0:1]
	v_lshlrev_b32_sdwa v48, v92, v48 dst_sel:DWORD dst_unused:UNUSED_PAD src0_sel:DWORD src1_sel:BYTE_3
	v_lshl_add_u32 v23, v23, 23, v90
	v_and_or_b32 v23, v48, s7, v23
	v_lshlrev_b32_e32 v24, 20, v24
	v_or_b32_e32 v23, v23, v24
	v_pk_mov_b32 v[60:61], v[22:23], v[22:23] op_sel:[0,1]
.LBB216_492:                            ;   in Loop: Header=BB216_339 Depth=1
	s_or_b64 exec, exec, s[24:25]
.LBB216_493:                            ;   in Loop: Header=BB216_339 Depth=1
	s_or_b64 exec, exec, s[22:23]
.LBB216_494:                            ;   in Loop: Header=BB216_339 Depth=1
	s_or_b64 exec, exec, s[20:21]
	v_or_b32_e32 v49, v57, v55
	v_or_b32_e32 v48, v56, v54
	v_or_b32_e32 v55, v61, v59
	v_or_b32_e32 v54, v60, v58
	v_pk_mul_f32 v[48:49], s[18:19], v[48:49]
	v_pk_mul_f32 v[54:55], s[18:19], v[54:55]
	s_and_saveexec_b64 s[20:21], vcc
; %bb.495:                              ;   in Loop: Header=BB216_339 Depth=1
	v_cmp_gt_i32_e64 s[0:1], s41, v93
	v_cndmask_b32_e64 v48, 0, v48, s[0:1]
	v_cmp_gt_i32_e64 s[0:1], s41, v96
	v_cndmask_b32_e64 v49, 0, v49, s[0:1]
	v_cmp_gt_i32_e64 s[0:1], s41, v95
	v_cndmask_b32_e64 v54, 0, v54, s[0:1]
	v_cmp_gt_i32_e64 s[0:1], s41, v94
	v_cndmask_b32_e64 v55, 0, v55, s[0:1]
; %bb.496:                              ;   in Loop: Header=BB216_339 Depth=1
	s_or_b64 exec, exec, s[20:21]
	global_load_dword v56, v[30:31], off offset:1536
	v_pk_mov_b32 v[60:61], 0, 0
	v_pk_mov_b32 v[58:59], v[60:61], v[60:61] op_sel:[0,1]
	s_waitcnt vmcnt(0)
	v_cmp_ne_u16_sdwa s[0:1], v56, v22 src0_sel:BYTE_0 src1_sel:DWORD
	s_and_saveexec_b64 s[20:21], s[0:1]
	s_cbranch_execz .LBB216_502
; %bb.497:                              ;   in Loop: Header=BB216_339 Depth=1
	v_bfrev_b32_e32 v58, 1
	v_cmp_ne_u16_sdwa s[0:1], v56, s29 src0_sel:BYTE_0 src1_sel:DWORD
	v_mov_b32_e32 v59, 0
	s_and_saveexec_b64 s[22:23], s[0:1]
	s_cbranch_execz .LBB216_501
; %bb.498:                              ;   in Loop: Header=BB216_339 Depth=1
	v_and_b32_e32 v23, 0x7f, v56
	v_mov_b32_e32 v58, 0x7f800001
	v_cmp_ne_u32_e64 s[0:1], s30, v23
	v_mov_b32_e32 v59, 0
	s_and_saveexec_b64 s[24:25], s[0:1]
	s_cbranch_execz .LBB216_500
; %bb.499:                              ;   in Loop: Header=BB216_339 Depth=1
	v_and_b32_e32 v24, 7, v56
	v_ffbh_u32_e32 v58, v24
	v_min_u32_e32 v62, 32, v58
	v_lshrrev_b32_e32 v57, 3, v23
	v_subrev_u32_e32 v58, 28, v62
	v_lshlrev_b64 v[58:59], v58, v[56:57]
	v_sub_u32_e32 v59, 29, v62
	v_and_b32_e32 v58, 7, v58
	v_cmp_gt_u32_e64 s[0:1], 8, v23
	v_cndmask_b32_e64 v23, v57, v59, s[0:1]
	v_cndmask_b32_e64 v24, v24, v58, s[0:1]
	v_lshlrev_b32_e32 v24, 20, v24
	v_and_b32_sdwa v57, sext(v56), s7 dst_sel:DWORD dst_unused:UNUSED_PAD src0_sel:BYTE_0 src1_sel:DWORD
	v_lshl_add_u32 v23, v23, 23, v90
	v_or3_b32 v24, v57, v23, v24
	v_pk_mov_b32 v[58:59], v[24:25], v[24:25] op_sel:[0,1]
.LBB216_500:                            ;   in Loop: Header=BB216_339 Depth=1
	s_or_b64 exec, exec, s[24:25]
.LBB216_501:                            ;   in Loop: Header=BB216_339 Depth=1
	s_or_b64 exec, exec, s[22:23]
.LBB216_502:                            ;   in Loop: Header=BB216_339 Depth=1
	s_or_b64 exec, exec, s[20:21]
	v_cmp_ne_u16_sdwa s[0:1], v56, v22 src0_sel:BYTE_1 src1_sel:DWORD
	s_and_saveexec_b64 s[20:21], s[0:1]
	s_cbranch_execz .LBB216_508
; %bb.503:                              ;   in Loop: Header=BB216_339 Depth=1
	v_cmp_ne_u16_sdwa s[0:1], v56, s29 src0_sel:BYTE_1 src1_sel:DWORD
	v_pk_mov_b32 v[60:61], s[6:7], s[6:7] op_sel:[0,1]
	s_and_saveexec_b64 s[22:23], s[0:1]
	s_cbranch_execz .LBB216_507
; %bb.504:                              ;   in Loop: Header=BB216_339 Depth=1
	v_and_b32_sdwa v23, v56, s30 dst_sel:DWORD dst_unused:UNUSED_PAD src0_sel:BYTE_1 src1_sel:DWORD
	s_mov_b32 s12, s6
	v_cmp_ne_u32_e64 s[0:1], s30, v23
	v_pk_mov_b32 v[60:61], s[12:13], s[12:13] op_sel:[0,1]
	s_and_saveexec_b64 s[24:25], s[0:1]
	s_cbranch_execz .LBB216_506
; %bb.505:                              ;   in Loop: Header=BB216_339 Depth=1
	v_and_b32_sdwa v24, v56, v91 dst_sel:DWORD dst_unused:UNUSED_PAD src0_sel:BYTE_1 src1_sel:DWORD
	v_ffbh_u32_e32 v60, v24
	v_min_u32_e32 v62, 32, v60
	v_subrev_u32_e32 v60, 28, v62
	v_lshlrev_b64 v[60:61], v60, v[24:25]
	v_lshrrev_b32_e32 v57, 3, v23
	v_sub_u32_e32 v61, 29, v62
	v_cmp_gt_u32_e64 s[0:1], 8, v23
	v_and_b32_e32 v60, 7, v60
	v_cndmask_b32_e64 v23, v57, v61, s[0:1]
	v_cndmask_b32_e64 v24, v24, v60, s[0:1]
	v_lshlrev_b32_e32 v57, 16, v56
	v_lshl_add_u32 v23, v23, 23, v90
	v_and_or_b32 v23, v57, s7, v23
	v_lshlrev_b32_e32 v24, 20, v24
	v_or_b32_e32 v23, v23, v24
	v_pk_mov_b32 v[60:61], v[22:23], v[22:23] op_sel:[0,1]
.LBB216_506:                            ;   in Loop: Header=BB216_339 Depth=1
	s_or_b64 exec, exec, s[24:25]
.LBB216_507:                            ;   in Loop: Header=BB216_339 Depth=1
	s_or_b64 exec, exec, s[22:23]
.LBB216_508:                            ;   in Loop: Header=BB216_339 Depth=1
	s_or_b64 exec, exec, s[20:21]
	v_lshrrev_b32_e32 v24, 16, v56
	v_pk_mov_b32 v[64:65], 0, 0
	v_cmp_ne_u16_sdwa s[0:1], v24, v22 src0_sel:BYTE_0 src1_sel:DWORD
	v_pk_mov_b32 v[62:63], v[64:65], v[64:65] op_sel:[0,1]
	s_and_saveexec_b64 s[20:21], s[0:1]
	s_cbranch_execz .LBB216_514
; %bb.509:                              ;   in Loop: Header=BB216_339 Depth=1
	v_bfrev_b32_e32 v62, 1
	v_cmp_ne_u16_sdwa s[0:1], v24, s29 src0_sel:BYTE_0 src1_sel:DWORD
	v_mov_b32_e32 v63, 0
	s_and_saveexec_b64 s[22:23], s[0:1]
	s_cbranch_execz .LBB216_513
; %bb.510:                              ;   in Loop: Header=BB216_339 Depth=1
	v_bfe_u32 v23, v56, 16, 7
	v_mov_b32_e32 v62, 0x7f800001
	v_cmp_ne_u32_e64 s[0:1], s30, v23
	v_mov_b32_e32 v63, 0
	s_and_saveexec_b64 s[24:25], s[0:1]
	s_cbranch_execz .LBB216_512
; %bb.511:                              ;   in Loop: Header=BB216_339 Depth=1
	v_and_b32_e32 v57, 7, v24
	v_ffbh_u32_e32 v62, v57
	v_min_u32_e32 v67, 32, v62
	v_subrev_u32_e32 v62, 28, v67
	v_lshlrev_b64 v[62:63], v62, v[24:25]
	v_lshrrev_b32_e32 v66, 3, v23
	v_sub_u32_e32 v63, 29, v67
	v_and_b32_e32 v62, 7, v62
	v_cmp_gt_u32_e64 s[0:1], 8, v23
	v_cndmask_b32_e64 v23, v66, v63, s[0:1]
	v_cndmask_b32_e64 v57, v57, v62, s[0:1]
	v_lshlrev_b32_e32 v57, 20, v57
	v_and_b32_sdwa v24, sext(v24), s7 dst_sel:DWORD dst_unused:UNUSED_PAD src0_sel:BYTE_0 src1_sel:DWORD
	v_lshl_add_u32 v23, v23, 23, v90
	v_or3_b32 v24, v24, v23, v57
	v_pk_mov_b32 v[62:63], v[24:25], v[24:25] op_sel:[0,1]
.LBB216_512:                            ;   in Loop: Header=BB216_339 Depth=1
	s_or_b64 exec, exec, s[24:25]
.LBB216_513:                            ;   in Loop: Header=BB216_339 Depth=1
	s_or_b64 exec, exec, s[22:23]
.LBB216_514:                            ;   in Loop: Header=BB216_339 Depth=1
	s_or_b64 exec, exec, s[20:21]
	v_cmp_lt_u32_e64 s[0:1], s38, v56
	s_and_saveexec_b64 s[20:21], s[0:1]
	s_cbranch_execz .LBB216_520
; %bb.515:                              ;   in Loop: Header=BB216_339 Depth=1
	v_cmp_ne_u32_sdwa s[0:1], v56, s29 src0_sel:BYTE_3 src1_sel:DWORD
	v_pk_mov_b32 v[64:65], s[6:7], s[6:7] op_sel:[0,1]
	s_and_saveexec_b64 s[22:23], s[0:1]
	s_cbranch_execz .LBB216_519
; %bb.516:                              ;   in Loop: Header=BB216_339 Depth=1
	v_bfe_u32 v23, v56, 24, 7
	s_mov_b32 s12, s6
	v_cmp_ne_u32_e64 s[0:1], s30, v23
	v_pk_mov_b32 v[64:65], s[12:13], s[12:13] op_sel:[0,1]
	s_and_saveexec_b64 s[24:25], s[0:1]
	s_cbranch_execz .LBB216_518
; %bb.517:                              ;   in Loop: Header=BB216_339 Depth=1
	v_and_b32_sdwa v24, v56, v91 dst_sel:DWORD dst_unused:UNUSED_PAD src0_sel:BYTE_3 src1_sel:DWORD
	v_ffbh_u32_e32 v64, v24
	v_min_u32_e32 v66, 32, v64
	v_subrev_u32_e32 v64, 28, v66
	v_lshlrev_b64 v[64:65], v64, v[24:25]
	v_lshrrev_b32_e32 v57, 3, v23
	v_sub_u32_e32 v65, 29, v66
	v_cmp_gt_u32_e64 s[0:1], 8, v23
	v_and_b32_e32 v64, 7, v64
	v_cndmask_b32_e64 v23, v57, v65, s[0:1]
	v_cndmask_b32_e64 v24, v24, v64, s[0:1]
	v_lshlrev_b32_sdwa v56, v92, v56 dst_sel:DWORD dst_unused:UNUSED_PAD src0_sel:DWORD src1_sel:BYTE_3
	v_lshl_add_u32 v23, v23, 23, v90
	v_and_or_b32 v23, v56, s7, v23
	v_lshlrev_b32_e32 v24, 20, v24
	v_or_b32_e32 v23, v23, v24
	v_pk_mov_b32 v[64:65], v[22:23], v[22:23] op_sel:[0,1]
.LBB216_518:                            ;   in Loop: Header=BB216_339 Depth=1
	s_or_b64 exec, exec, s[24:25]
.LBB216_519:                            ;   in Loop: Header=BB216_339 Depth=1
	s_or_b64 exec, exec, s[22:23]
.LBB216_520:                            ;   in Loop: Header=BB216_339 Depth=1
	s_or_b64 exec, exec, s[20:21]
	v_or_b32_e32 v57, v61, v59
	v_or_b32_e32 v56, v60, v58
	;; [unrolled: 1-line block ×4, first 2 shown]
	v_pk_mul_f32 v[56:57], s[18:19], v[56:57]
	v_pk_mul_f32 v[58:59], s[18:19], v[58:59]
	s_and_saveexec_b64 s[20:21], vcc
; %bb.521:                              ;   in Loop: Header=BB216_339 Depth=1
	v_cmp_gt_i32_e64 s[0:1], s41, v93
	v_cndmask_b32_e64 v56, 0, v56, s[0:1]
	v_cmp_gt_i32_e64 s[0:1], s41, v96
	v_cndmask_b32_e64 v57, 0, v57, s[0:1]
	;; [unrolled: 2-line block ×4, first 2 shown]
; %bb.522:                              ;   in Loop: Header=BB216_339 Depth=1
	s_or_b64 exec, exec, s[20:21]
	global_load_dword v60, v[30:31], off offset:1792
	v_pk_mov_b32 v[64:65], 0, 0
	v_pk_mov_b32 v[62:63], v[64:65], v[64:65] op_sel:[0,1]
	s_waitcnt vmcnt(0)
	v_cmp_ne_u16_sdwa s[0:1], v60, v22 src0_sel:BYTE_0 src1_sel:DWORD
	s_and_saveexec_b64 s[20:21], s[0:1]
	s_cbranch_execz .LBB216_528
; %bb.523:                              ;   in Loop: Header=BB216_339 Depth=1
	v_bfrev_b32_e32 v62, 1
	v_cmp_ne_u16_sdwa s[0:1], v60, s29 src0_sel:BYTE_0 src1_sel:DWORD
	v_mov_b32_e32 v63, 0
	s_and_saveexec_b64 s[22:23], s[0:1]
	s_cbranch_execz .LBB216_527
; %bb.524:                              ;   in Loop: Header=BB216_339 Depth=1
	v_and_b32_e32 v23, 0x7f, v60
	v_mov_b32_e32 v62, 0x7f800001
	v_cmp_ne_u32_e64 s[0:1], s30, v23
	v_mov_b32_e32 v63, 0
	s_and_saveexec_b64 s[24:25], s[0:1]
	s_cbranch_execz .LBB216_526
; %bb.525:                              ;   in Loop: Header=BB216_339 Depth=1
	v_and_b32_e32 v24, 7, v60
	v_ffbh_u32_e32 v62, v24
	v_min_u32_e32 v66, 32, v62
	v_lshrrev_b32_e32 v61, 3, v23
	v_subrev_u32_e32 v62, 28, v66
	v_lshlrev_b64 v[62:63], v62, v[60:61]
	v_sub_u32_e32 v63, 29, v66
	v_and_b32_e32 v62, 7, v62
	v_cmp_gt_u32_e64 s[0:1], 8, v23
	v_cndmask_b32_e64 v23, v61, v63, s[0:1]
	v_cndmask_b32_e64 v24, v24, v62, s[0:1]
	v_lshlrev_b32_e32 v24, 20, v24
	v_and_b32_sdwa v61, sext(v60), s7 dst_sel:DWORD dst_unused:UNUSED_PAD src0_sel:BYTE_0 src1_sel:DWORD
	v_lshl_add_u32 v23, v23, 23, v90
	v_or3_b32 v24, v61, v23, v24
	v_pk_mov_b32 v[62:63], v[24:25], v[24:25] op_sel:[0,1]
.LBB216_526:                            ;   in Loop: Header=BB216_339 Depth=1
	s_or_b64 exec, exec, s[24:25]
.LBB216_527:                            ;   in Loop: Header=BB216_339 Depth=1
	s_or_b64 exec, exec, s[22:23]
.LBB216_528:                            ;   in Loop: Header=BB216_339 Depth=1
	s_or_b64 exec, exec, s[20:21]
	v_cmp_ne_u16_sdwa s[0:1], v60, v22 src0_sel:BYTE_1 src1_sel:DWORD
	s_and_saveexec_b64 s[20:21], s[0:1]
	s_cbranch_execz .LBB216_534
; %bb.529:                              ;   in Loop: Header=BB216_339 Depth=1
	v_cmp_ne_u16_sdwa s[0:1], v60, s29 src0_sel:BYTE_1 src1_sel:DWORD
	v_pk_mov_b32 v[64:65], s[6:7], s[6:7] op_sel:[0,1]
	s_and_saveexec_b64 s[22:23], s[0:1]
	s_cbranch_execz .LBB216_533
; %bb.530:                              ;   in Loop: Header=BB216_339 Depth=1
	v_and_b32_sdwa v23, v60, s30 dst_sel:DWORD dst_unused:UNUSED_PAD src0_sel:BYTE_1 src1_sel:DWORD
	s_mov_b32 s12, s6
	v_cmp_ne_u32_e64 s[0:1], s30, v23
	v_pk_mov_b32 v[64:65], s[12:13], s[12:13] op_sel:[0,1]
	s_and_saveexec_b64 s[24:25], s[0:1]
	s_cbranch_execz .LBB216_532
; %bb.531:                              ;   in Loop: Header=BB216_339 Depth=1
	v_and_b32_sdwa v24, v60, v91 dst_sel:DWORD dst_unused:UNUSED_PAD src0_sel:BYTE_1 src1_sel:DWORD
	v_ffbh_u32_e32 v64, v24
	v_min_u32_e32 v66, 32, v64
	v_subrev_u32_e32 v64, 28, v66
	v_lshlrev_b64 v[64:65], v64, v[24:25]
	v_lshrrev_b32_e32 v61, 3, v23
	v_sub_u32_e32 v65, 29, v66
	v_cmp_gt_u32_e64 s[0:1], 8, v23
	v_and_b32_e32 v64, 7, v64
	v_cndmask_b32_e64 v23, v61, v65, s[0:1]
	v_cndmask_b32_e64 v24, v24, v64, s[0:1]
	v_lshlrev_b32_e32 v61, 16, v60
	v_lshl_add_u32 v23, v23, 23, v90
	v_and_or_b32 v23, v61, s7, v23
	v_lshlrev_b32_e32 v24, 20, v24
	v_or_b32_e32 v23, v23, v24
	v_pk_mov_b32 v[64:65], v[22:23], v[22:23] op_sel:[0,1]
.LBB216_532:                            ;   in Loop: Header=BB216_339 Depth=1
	s_or_b64 exec, exec, s[24:25]
.LBB216_533:                            ;   in Loop: Header=BB216_339 Depth=1
	s_or_b64 exec, exec, s[22:23]
.LBB216_534:                            ;   in Loop: Header=BB216_339 Depth=1
	s_or_b64 exec, exec, s[20:21]
	v_lshrrev_b32_e32 v24, 16, v60
	v_pk_mov_b32 v[68:69], 0, 0
	v_cmp_ne_u16_sdwa s[0:1], v24, v22 src0_sel:BYTE_0 src1_sel:DWORD
	v_pk_mov_b32 v[66:67], v[68:69], v[68:69] op_sel:[0,1]
	s_and_saveexec_b64 s[20:21], s[0:1]
	s_cbranch_execz .LBB216_540
; %bb.535:                              ;   in Loop: Header=BB216_339 Depth=1
	v_bfrev_b32_e32 v66, 1
	v_cmp_ne_u16_sdwa s[0:1], v24, s29 src0_sel:BYTE_0 src1_sel:DWORD
	v_mov_b32_e32 v67, 0
	s_and_saveexec_b64 s[22:23], s[0:1]
	s_cbranch_execz .LBB216_539
; %bb.536:                              ;   in Loop: Header=BB216_339 Depth=1
	v_bfe_u32 v23, v60, 16, 7
	v_mov_b32_e32 v66, 0x7f800001
	v_cmp_ne_u32_e64 s[0:1], s30, v23
	v_mov_b32_e32 v67, 0
	s_and_saveexec_b64 s[24:25], s[0:1]
	s_cbranch_execz .LBB216_538
; %bb.537:                              ;   in Loop: Header=BB216_339 Depth=1
	v_and_b32_e32 v61, 7, v24
	v_ffbh_u32_e32 v66, v61
	v_min_u32_e32 v71, 32, v66
	v_subrev_u32_e32 v66, 28, v71
	v_lshlrev_b64 v[66:67], v66, v[24:25]
	v_lshrrev_b32_e32 v70, 3, v23
	v_sub_u32_e32 v67, 29, v71
	v_and_b32_e32 v66, 7, v66
	v_cmp_gt_u32_e64 s[0:1], 8, v23
	v_cndmask_b32_e64 v23, v70, v67, s[0:1]
	v_cndmask_b32_e64 v61, v61, v66, s[0:1]
	v_lshlrev_b32_e32 v61, 20, v61
	v_and_b32_sdwa v24, sext(v24), s7 dst_sel:DWORD dst_unused:UNUSED_PAD src0_sel:BYTE_0 src1_sel:DWORD
	v_lshl_add_u32 v23, v23, 23, v90
	v_or3_b32 v24, v24, v23, v61
	v_pk_mov_b32 v[66:67], v[24:25], v[24:25] op_sel:[0,1]
.LBB216_538:                            ;   in Loop: Header=BB216_339 Depth=1
	s_or_b64 exec, exec, s[24:25]
.LBB216_539:                            ;   in Loop: Header=BB216_339 Depth=1
	s_or_b64 exec, exec, s[22:23]
.LBB216_540:                            ;   in Loop: Header=BB216_339 Depth=1
	s_or_b64 exec, exec, s[20:21]
	v_cmp_lt_u32_e64 s[0:1], s38, v60
	s_and_saveexec_b64 s[20:21], s[0:1]
	s_cbranch_execz .LBB216_546
; %bb.541:                              ;   in Loop: Header=BB216_339 Depth=1
	v_cmp_ne_u32_sdwa s[0:1], v60, s29 src0_sel:BYTE_3 src1_sel:DWORD
	v_pk_mov_b32 v[68:69], s[6:7], s[6:7] op_sel:[0,1]
	s_and_saveexec_b64 s[22:23], s[0:1]
	s_cbranch_execz .LBB216_545
; %bb.542:                              ;   in Loop: Header=BB216_339 Depth=1
	v_bfe_u32 v23, v60, 24, 7
	s_mov_b32 s12, s6
	v_cmp_ne_u32_e64 s[0:1], s30, v23
	v_pk_mov_b32 v[68:69], s[12:13], s[12:13] op_sel:[0,1]
	s_and_saveexec_b64 s[24:25], s[0:1]
	s_cbranch_execz .LBB216_544
; %bb.543:                              ;   in Loop: Header=BB216_339 Depth=1
	v_and_b32_sdwa v24, v60, v91 dst_sel:DWORD dst_unused:UNUSED_PAD src0_sel:BYTE_3 src1_sel:DWORD
	v_ffbh_u32_e32 v68, v24
	v_min_u32_e32 v70, 32, v68
	v_subrev_u32_e32 v68, 28, v70
	v_lshlrev_b64 v[68:69], v68, v[24:25]
	v_lshrrev_b32_e32 v61, 3, v23
	v_sub_u32_e32 v69, 29, v70
	v_cmp_gt_u32_e64 s[0:1], 8, v23
	v_and_b32_e32 v68, 7, v68
	v_cndmask_b32_e64 v23, v61, v69, s[0:1]
	v_cndmask_b32_e64 v24, v24, v68, s[0:1]
	v_lshlrev_b32_sdwa v60, v92, v60 dst_sel:DWORD dst_unused:UNUSED_PAD src0_sel:DWORD src1_sel:BYTE_3
	v_lshl_add_u32 v23, v23, 23, v90
	v_and_or_b32 v23, v60, s7, v23
	v_lshlrev_b32_e32 v24, 20, v24
	v_or_b32_e32 v23, v23, v24
	v_pk_mov_b32 v[68:69], v[22:23], v[22:23] op_sel:[0,1]
.LBB216_544:                            ;   in Loop: Header=BB216_339 Depth=1
	s_or_b64 exec, exec, s[24:25]
.LBB216_545:                            ;   in Loop: Header=BB216_339 Depth=1
	s_or_b64 exec, exec, s[22:23]
.LBB216_546:                            ;   in Loop: Header=BB216_339 Depth=1
	s_or_b64 exec, exec, s[20:21]
	v_or_b32_e32 v61, v65, v63
	v_or_b32_e32 v60, v64, v62
	;; [unrolled: 1-line block ×4, first 2 shown]
	v_pk_mul_f32 v[60:61], s[18:19], v[60:61]
	v_pk_mul_f32 v[62:63], s[18:19], v[62:63]
	s_and_saveexec_b64 s[20:21], vcc
; %bb.547:                              ;   in Loop: Header=BB216_339 Depth=1
	v_cmp_gt_i32_e64 s[0:1], s41, v93
	v_cndmask_b32_e64 v60, 0, v60, s[0:1]
	v_cmp_gt_i32_e64 s[0:1], s41, v96
	v_cndmask_b32_e64 v61, 0, v61, s[0:1]
	;; [unrolled: 2-line block ×4, first 2 shown]
; %bb.548:                              ;   in Loop: Header=BB216_339 Depth=1
	s_or_b64 exec, exec, s[20:21]
	global_load_dword v64, v[30:31], off offset:2048
	v_pk_mov_b32 v[68:69], 0, 0
	v_pk_mov_b32 v[66:67], v[68:69], v[68:69] op_sel:[0,1]
	s_waitcnt vmcnt(0)
	v_cmp_ne_u16_sdwa s[0:1], v64, v22 src0_sel:BYTE_0 src1_sel:DWORD
	s_and_saveexec_b64 s[20:21], s[0:1]
	s_cbranch_execz .LBB216_554
; %bb.549:                              ;   in Loop: Header=BB216_339 Depth=1
	v_bfrev_b32_e32 v66, 1
	v_cmp_ne_u16_sdwa s[0:1], v64, s29 src0_sel:BYTE_0 src1_sel:DWORD
	v_mov_b32_e32 v67, 0
	s_and_saveexec_b64 s[22:23], s[0:1]
	s_cbranch_execz .LBB216_553
; %bb.550:                              ;   in Loop: Header=BB216_339 Depth=1
	v_and_b32_e32 v23, 0x7f, v64
	v_mov_b32_e32 v66, 0x7f800001
	v_cmp_ne_u32_e64 s[0:1], s30, v23
	v_mov_b32_e32 v67, 0
	s_and_saveexec_b64 s[24:25], s[0:1]
	s_cbranch_execz .LBB216_552
; %bb.551:                              ;   in Loop: Header=BB216_339 Depth=1
	v_and_b32_e32 v24, 7, v64
	v_ffbh_u32_e32 v66, v24
	v_min_u32_e32 v70, 32, v66
	v_lshrrev_b32_e32 v65, 3, v23
	v_subrev_u32_e32 v66, 28, v70
	v_lshlrev_b64 v[66:67], v66, v[64:65]
	v_sub_u32_e32 v67, 29, v70
	v_and_b32_e32 v66, 7, v66
	v_cmp_gt_u32_e64 s[0:1], 8, v23
	v_cndmask_b32_e64 v23, v65, v67, s[0:1]
	v_cndmask_b32_e64 v24, v24, v66, s[0:1]
	v_lshlrev_b32_e32 v24, 20, v24
	v_and_b32_sdwa v65, sext(v64), s7 dst_sel:DWORD dst_unused:UNUSED_PAD src0_sel:BYTE_0 src1_sel:DWORD
	v_lshl_add_u32 v23, v23, 23, v90
	v_or3_b32 v24, v65, v23, v24
	v_pk_mov_b32 v[66:67], v[24:25], v[24:25] op_sel:[0,1]
.LBB216_552:                            ;   in Loop: Header=BB216_339 Depth=1
	s_or_b64 exec, exec, s[24:25]
.LBB216_553:                            ;   in Loop: Header=BB216_339 Depth=1
	s_or_b64 exec, exec, s[22:23]
.LBB216_554:                            ;   in Loop: Header=BB216_339 Depth=1
	s_or_b64 exec, exec, s[20:21]
	v_cmp_ne_u16_sdwa s[0:1], v64, v22 src0_sel:BYTE_1 src1_sel:DWORD
	s_and_saveexec_b64 s[20:21], s[0:1]
	s_cbranch_execz .LBB216_560
; %bb.555:                              ;   in Loop: Header=BB216_339 Depth=1
	v_cmp_ne_u16_sdwa s[0:1], v64, s29 src0_sel:BYTE_1 src1_sel:DWORD
	v_pk_mov_b32 v[68:69], s[6:7], s[6:7] op_sel:[0,1]
	s_and_saveexec_b64 s[22:23], s[0:1]
	s_cbranch_execz .LBB216_559
; %bb.556:                              ;   in Loop: Header=BB216_339 Depth=1
	v_and_b32_sdwa v23, v64, s30 dst_sel:DWORD dst_unused:UNUSED_PAD src0_sel:BYTE_1 src1_sel:DWORD
	s_mov_b32 s12, s6
	v_cmp_ne_u32_e64 s[0:1], s30, v23
	v_pk_mov_b32 v[68:69], s[12:13], s[12:13] op_sel:[0,1]
	s_and_saveexec_b64 s[24:25], s[0:1]
	s_cbranch_execz .LBB216_558
; %bb.557:                              ;   in Loop: Header=BB216_339 Depth=1
	v_and_b32_sdwa v24, v64, v91 dst_sel:DWORD dst_unused:UNUSED_PAD src0_sel:BYTE_1 src1_sel:DWORD
	v_ffbh_u32_e32 v68, v24
	v_min_u32_e32 v70, 32, v68
	v_subrev_u32_e32 v68, 28, v70
	v_lshlrev_b64 v[68:69], v68, v[24:25]
	v_lshrrev_b32_e32 v65, 3, v23
	v_sub_u32_e32 v69, 29, v70
	v_cmp_gt_u32_e64 s[0:1], 8, v23
	v_and_b32_e32 v68, 7, v68
	v_cndmask_b32_e64 v23, v65, v69, s[0:1]
	v_cndmask_b32_e64 v24, v24, v68, s[0:1]
	v_lshlrev_b32_e32 v65, 16, v64
	v_lshl_add_u32 v23, v23, 23, v90
	v_and_or_b32 v23, v65, s7, v23
	v_lshlrev_b32_e32 v24, 20, v24
	v_or_b32_e32 v23, v23, v24
	v_pk_mov_b32 v[68:69], v[22:23], v[22:23] op_sel:[0,1]
.LBB216_558:                            ;   in Loop: Header=BB216_339 Depth=1
	s_or_b64 exec, exec, s[24:25]
.LBB216_559:                            ;   in Loop: Header=BB216_339 Depth=1
	s_or_b64 exec, exec, s[22:23]
.LBB216_560:                            ;   in Loop: Header=BB216_339 Depth=1
	s_or_b64 exec, exec, s[20:21]
	v_lshrrev_b32_e32 v24, 16, v64
	v_pk_mov_b32 v[72:73], 0, 0
	v_cmp_ne_u16_sdwa s[0:1], v24, v22 src0_sel:BYTE_0 src1_sel:DWORD
	v_pk_mov_b32 v[70:71], v[72:73], v[72:73] op_sel:[0,1]
	s_and_saveexec_b64 s[20:21], s[0:1]
	s_cbranch_execz .LBB216_566
; %bb.561:                              ;   in Loop: Header=BB216_339 Depth=1
	v_bfrev_b32_e32 v70, 1
	v_cmp_ne_u16_sdwa s[0:1], v24, s29 src0_sel:BYTE_0 src1_sel:DWORD
	v_mov_b32_e32 v71, 0
	s_and_saveexec_b64 s[22:23], s[0:1]
	s_cbranch_execz .LBB216_565
; %bb.562:                              ;   in Loop: Header=BB216_339 Depth=1
	v_bfe_u32 v23, v64, 16, 7
	v_mov_b32_e32 v70, 0x7f800001
	v_cmp_ne_u32_e64 s[0:1], s30, v23
	v_mov_b32_e32 v71, 0
	s_and_saveexec_b64 s[24:25], s[0:1]
	s_cbranch_execz .LBB216_564
; %bb.563:                              ;   in Loop: Header=BB216_339 Depth=1
	v_and_b32_e32 v65, 7, v24
	v_ffbh_u32_e32 v70, v65
	v_min_u32_e32 v75, 32, v70
	v_subrev_u32_e32 v70, 28, v75
	v_lshlrev_b64 v[70:71], v70, v[24:25]
	v_lshrrev_b32_e32 v74, 3, v23
	v_sub_u32_e32 v71, 29, v75
	v_and_b32_e32 v70, 7, v70
	v_cmp_gt_u32_e64 s[0:1], 8, v23
	v_cndmask_b32_e64 v23, v74, v71, s[0:1]
	v_cndmask_b32_e64 v65, v65, v70, s[0:1]
	v_lshlrev_b32_e32 v65, 20, v65
	v_and_b32_sdwa v24, sext(v24), s7 dst_sel:DWORD dst_unused:UNUSED_PAD src0_sel:BYTE_0 src1_sel:DWORD
	v_lshl_add_u32 v23, v23, 23, v90
	v_or3_b32 v24, v24, v23, v65
	v_pk_mov_b32 v[70:71], v[24:25], v[24:25] op_sel:[0,1]
.LBB216_564:                            ;   in Loop: Header=BB216_339 Depth=1
	s_or_b64 exec, exec, s[24:25]
.LBB216_565:                            ;   in Loop: Header=BB216_339 Depth=1
	s_or_b64 exec, exec, s[22:23]
.LBB216_566:                            ;   in Loop: Header=BB216_339 Depth=1
	s_or_b64 exec, exec, s[20:21]
	v_cmp_lt_u32_e64 s[0:1], s38, v64
	s_and_saveexec_b64 s[20:21], s[0:1]
	s_cbranch_execz .LBB216_572
; %bb.567:                              ;   in Loop: Header=BB216_339 Depth=1
	v_cmp_ne_u32_sdwa s[0:1], v64, s29 src0_sel:BYTE_3 src1_sel:DWORD
	v_pk_mov_b32 v[72:73], s[6:7], s[6:7] op_sel:[0,1]
	s_and_saveexec_b64 s[22:23], s[0:1]
	s_cbranch_execz .LBB216_571
; %bb.568:                              ;   in Loop: Header=BB216_339 Depth=1
	v_bfe_u32 v23, v64, 24, 7
	s_mov_b32 s12, s6
	v_cmp_ne_u32_e64 s[0:1], s30, v23
	v_pk_mov_b32 v[72:73], s[12:13], s[12:13] op_sel:[0,1]
	s_and_saveexec_b64 s[24:25], s[0:1]
	s_cbranch_execz .LBB216_570
; %bb.569:                              ;   in Loop: Header=BB216_339 Depth=1
	v_and_b32_sdwa v24, v64, v91 dst_sel:DWORD dst_unused:UNUSED_PAD src0_sel:BYTE_3 src1_sel:DWORD
	v_ffbh_u32_e32 v72, v24
	v_min_u32_e32 v74, 32, v72
	v_subrev_u32_e32 v72, 28, v74
	v_lshlrev_b64 v[72:73], v72, v[24:25]
	v_lshrrev_b32_e32 v65, 3, v23
	v_sub_u32_e32 v73, 29, v74
	v_cmp_gt_u32_e64 s[0:1], 8, v23
	v_and_b32_e32 v72, 7, v72
	v_cndmask_b32_e64 v23, v65, v73, s[0:1]
	v_cndmask_b32_e64 v24, v24, v72, s[0:1]
	v_lshlrev_b32_sdwa v64, v92, v64 dst_sel:DWORD dst_unused:UNUSED_PAD src0_sel:DWORD src1_sel:BYTE_3
	v_lshl_add_u32 v23, v23, 23, v90
	v_and_or_b32 v23, v64, s7, v23
	v_lshlrev_b32_e32 v24, 20, v24
	v_or_b32_e32 v23, v23, v24
	v_pk_mov_b32 v[72:73], v[22:23], v[22:23] op_sel:[0,1]
.LBB216_570:                            ;   in Loop: Header=BB216_339 Depth=1
	s_or_b64 exec, exec, s[24:25]
.LBB216_571:                            ;   in Loop: Header=BB216_339 Depth=1
	s_or_b64 exec, exec, s[22:23]
.LBB216_572:                            ;   in Loop: Header=BB216_339 Depth=1
	s_or_b64 exec, exec, s[20:21]
	v_or_b32_e32 v65, v69, v67
	v_or_b32_e32 v64, v68, v66
	;; [unrolled: 1-line block ×4, first 2 shown]
	v_pk_mul_f32 v[64:65], s[18:19], v[64:65]
	v_pk_mul_f32 v[66:67], s[18:19], v[66:67]
	s_and_saveexec_b64 s[20:21], vcc
; %bb.573:                              ;   in Loop: Header=BB216_339 Depth=1
	v_cmp_gt_i32_e64 s[0:1], s41, v93
	v_cndmask_b32_e64 v64, 0, v64, s[0:1]
	v_cmp_gt_i32_e64 s[0:1], s41, v96
	v_cndmask_b32_e64 v65, 0, v65, s[0:1]
	;; [unrolled: 2-line block ×4, first 2 shown]
; %bb.574:                              ;   in Loop: Header=BB216_339 Depth=1
	s_or_b64 exec, exec, s[20:21]
	global_load_dword v68, v[30:31], off offset:2304
	v_pk_mov_b32 v[72:73], 0, 0
	v_pk_mov_b32 v[70:71], v[72:73], v[72:73] op_sel:[0,1]
	s_waitcnt vmcnt(0)
	v_cmp_ne_u16_sdwa s[0:1], v68, v22 src0_sel:BYTE_0 src1_sel:DWORD
	s_and_saveexec_b64 s[20:21], s[0:1]
	s_cbranch_execz .LBB216_580
; %bb.575:                              ;   in Loop: Header=BB216_339 Depth=1
	v_bfrev_b32_e32 v70, 1
	v_cmp_ne_u16_sdwa s[0:1], v68, s29 src0_sel:BYTE_0 src1_sel:DWORD
	v_mov_b32_e32 v71, 0
	s_and_saveexec_b64 s[22:23], s[0:1]
	s_cbranch_execz .LBB216_579
; %bb.576:                              ;   in Loop: Header=BB216_339 Depth=1
	v_and_b32_e32 v23, 0x7f, v68
	v_mov_b32_e32 v70, 0x7f800001
	v_cmp_ne_u32_e64 s[0:1], s30, v23
	v_mov_b32_e32 v71, 0
	s_and_saveexec_b64 s[24:25], s[0:1]
	s_cbranch_execz .LBB216_578
; %bb.577:                              ;   in Loop: Header=BB216_339 Depth=1
	v_and_b32_e32 v24, 7, v68
	v_ffbh_u32_e32 v70, v24
	v_min_u32_e32 v74, 32, v70
	v_lshrrev_b32_e32 v69, 3, v23
	v_subrev_u32_e32 v70, 28, v74
	v_lshlrev_b64 v[70:71], v70, v[68:69]
	v_sub_u32_e32 v71, 29, v74
	v_and_b32_e32 v70, 7, v70
	v_cmp_gt_u32_e64 s[0:1], 8, v23
	v_cndmask_b32_e64 v23, v69, v71, s[0:1]
	v_cndmask_b32_e64 v24, v24, v70, s[0:1]
	v_lshlrev_b32_e32 v24, 20, v24
	v_and_b32_sdwa v69, sext(v68), s7 dst_sel:DWORD dst_unused:UNUSED_PAD src0_sel:BYTE_0 src1_sel:DWORD
	v_lshl_add_u32 v23, v23, 23, v90
	v_or3_b32 v24, v69, v23, v24
	v_pk_mov_b32 v[70:71], v[24:25], v[24:25] op_sel:[0,1]
.LBB216_578:                            ;   in Loop: Header=BB216_339 Depth=1
	s_or_b64 exec, exec, s[24:25]
.LBB216_579:                            ;   in Loop: Header=BB216_339 Depth=1
	s_or_b64 exec, exec, s[22:23]
.LBB216_580:                            ;   in Loop: Header=BB216_339 Depth=1
	s_or_b64 exec, exec, s[20:21]
	v_cmp_ne_u16_sdwa s[0:1], v68, v22 src0_sel:BYTE_1 src1_sel:DWORD
	s_and_saveexec_b64 s[20:21], s[0:1]
	s_cbranch_execz .LBB216_586
; %bb.581:                              ;   in Loop: Header=BB216_339 Depth=1
	v_cmp_ne_u16_sdwa s[0:1], v68, s29 src0_sel:BYTE_1 src1_sel:DWORD
	v_pk_mov_b32 v[72:73], s[6:7], s[6:7] op_sel:[0,1]
	s_and_saveexec_b64 s[22:23], s[0:1]
	s_cbranch_execz .LBB216_585
; %bb.582:                              ;   in Loop: Header=BB216_339 Depth=1
	v_and_b32_sdwa v23, v68, s30 dst_sel:DWORD dst_unused:UNUSED_PAD src0_sel:BYTE_1 src1_sel:DWORD
	s_mov_b32 s12, s6
	v_cmp_ne_u32_e64 s[0:1], s30, v23
	v_pk_mov_b32 v[72:73], s[12:13], s[12:13] op_sel:[0,1]
	s_and_saveexec_b64 s[24:25], s[0:1]
	s_cbranch_execz .LBB216_584
; %bb.583:                              ;   in Loop: Header=BB216_339 Depth=1
	v_and_b32_sdwa v24, v68, v91 dst_sel:DWORD dst_unused:UNUSED_PAD src0_sel:BYTE_1 src1_sel:DWORD
	v_ffbh_u32_e32 v72, v24
	v_min_u32_e32 v74, 32, v72
	v_subrev_u32_e32 v72, 28, v74
	v_lshlrev_b64 v[72:73], v72, v[24:25]
	v_lshrrev_b32_e32 v69, 3, v23
	v_sub_u32_e32 v73, 29, v74
	v_cmp_gt_u32_e64 s[0:1], 8, v23
	v_and_b32_e32 v72, 7, v72
	v_cndmask_b32_e64 v23, v69, v73, s[0:1]
	v_cndmask_b32_e64 v24, v24, v72, s[0:1]
	v_lshlrev_b32_e32 v69, 16, v68
	v_lshl_add_u32 v23, v23, 23, v90
	v_and_or_b32 v23, v69, s7, v23
	v_lshlrev_b32_e32 v24, 20, v24
	v_or_b32_e32 v23, v23, v24
	v_pk_mov_b32 v[72:73], v[22:23], v[22:23] op_sel:[0,1]
.LBB216_584:                            ;   in Loop: Header=BB216_339 Depth=1
	s_or_b64 exec, exec, s[24:25]
.LBB216_585:                            ;   in Loop: Header=BB216_339 Depth=1
	s_or_b64 exec, exec, s[22:23]
.LBB216_586:                            ;   in Loop: Header=BB216_339 Depth=1
	s_or_b64 exec, exec, s[20:21]
	v_lshrrev_b32_e32 v24, 16, v68
	v_pk_mov_b32 v[76:77], 0, 0
	v_cmp_ne_u16_sdwa s[0:1], v24, v22 src0_sel:BYTE_0 src1_sel:DWORD
	v_pk_mov_b32 v[74:75], v[76:77], v[76:77] op_sel:[0,1]
	s_and_saveexec_b64 s[20:21], s[0:1]
	s_cbranch_execz .LBB216_592
; %bb.587:                              ;   in Loop: Header=BB216_339 Depth=1
	v_bfrev_b32_e32 v74, 1
	v_cmp_ne_u16_sdwa s[0:1], v24, s29 src0_sel:BYTE_0 src1_sel:DWORD
	v_mov_b32_e32 v75, 0
	s_and_saveexec_b64 s[22:23], s[0:1]
	s_cbranch_execz .LBB216_591
; %bb.588:                              ;   in Loop: Header=BB216_339 Depth=1
	v_bfe_u32 v23, v68, 16, 7
	v_mov_b32_e32 v74, 0x7f800001
	v_cmp_ne_u32_e64 s[0:1], s30, v23
	v_mov_b32_e32 v75, 0
	s_and_saveexec_b64 s[24:25], s[0:1]
	s_cbranch_execz .LBB216_590
; %bb.589:                              ;   in Loop: Header=BB216_339 Depth=1
	v_and_b32_e32 v69, 7, v24
	v_ffbh_u32_e32 v74, v69
	v_min_u32_e32 v79, 32, v74
	v_subrev_u32_e32 v74, 28, v79
	v_lshlrev_b64 v[74:75], v74, v[24:25]
	v_lshrrev_b32_e32 v78, 3, v23
	v_sub_u32_e32 v75, 29, v79
	v_and_b32_e32 v74, 7, v74
	v_cmp_gt_u32_e64 s[0:1], 8, v23
	v_cndmask_b32_e64 v23, v78, v75, s[0:1]
	v_cndmask_b32_e64 v69, v69, v74, s[0:1]
	v_lshlrev_b32_e32 v69, 20, v69
	v_and_b32_sdwa v24, sext(v24), s7 dst_sel:DWORD dst_unused:UNUSED_PAD src0_sel:BYTE_0 src1_sel:DWORD
	v_lshl_add_u32 v23, v23, 23, v90
	v_or3_b32 v24, v24, v23, v69
	v_pk_mov_b32 v[74:75], v[24:25], v[24:25] op_sel:[0,1]
.LBB216_590:                            ;   in Loop: Header=BB216_339 Depth=1
	s_or_b64 exec, exec, s[24:25]
.LBB216_591:                            ;   in Loop: Header=BB216_339 Depth=1
	s_or_b64 exec, exec, s[22:23]
.LBB216_592:                            ;   in Loop: Header=BB216_339 Depth=1
	s_or_b64 exec, exec, s[20:21]
	v_cmp_lt_u32_e64 s[0:1], s38, v68
	s_and_saveexec_b64 s[20:21], s[0:1]
	s_cbranch_execz .LBB216_598
; %bb.593:                              ;   in Loop: Header=BB216_339 Depth=1
	v_cmp_ne_u32_sdwa s[0:1], v68, s29 src0_sel:BYTE_3 src1_sel:DWORD
	v_pk_mov_b32 v[76:77], s[6:7], s[6:7] op_sel:[0,1]
	s_and_saveexec_b64 s[22:23], s[0:1]
	s_cbranch_execz .LBB216_597
; %bb.594:                              ;   in Loop: Header=BB216_339 Depth=1
	v_bfe_u32 v23, v68, 24, 7
	s_mov_b32 s12, s6
	v_cmp_ne_u32_e64 s[0:1], s30, v23
	v_pk_mov_b32 v[76:77], s[12:13], s[12:13] op_sel:[0,1]
	s_and_saveexec_b64 s[24:25], s[0:1]
	s_cbranch_execz .LBB216_596
; %bb.595:                              ;   in Loop: Header=BB216_339 Depth=1
	v_and_b32_sdwa v24, v68, v91 dst_sel:DWORD dst_unused:UNUSED_PAD src0_sel:BYTE_3 src1_sel:DWORD
	v_ffbh_u32_e32 v76, v24
	v_min_u32_e32 v78, 32, v76
	v_subrev_u32_e32 v76, 28, v78
	v_lshlrev_b64 v[76:77], v76, v[24:25]
	v_lshrrev_b32_e32 v69, 3, v23
	v_sub_u32_e32 v77, 29, v78
	v_cmp_gt_u32_e64 s[0:1], 8, v23
	v_and_b32_e32 v76, 7, v76
	v_cndmask_b32_e64 v23, v69, v77, s[0:1]
	v_cndmask_b32_e64 v24, v24, v76, s[0:1]
	v_lshlrev_b32_sdwa v68, v92, v68 dst_sel:DWORD dst_unused:UNUSED_PAD src0_sel:DWORD src1_sel:BYTE_3
	v_lshl_add_u32 v23, v23, 23, v90
	v_and_or_b32 v23, v68, s7, v23
	v_lshlrev_b32_e32 v24, 20, v24
	v_or_b32_e32 v23, v23, v24
	v_pk_mov_b32 v[76:77], v[22:23], v[22:23] op_sel:[0,1]
.LBB216_596:                            ;   in Loop: Header=BB216_339 Depth=1
	s_or_b64 exec, exec, s[24:25]
.LBB216_597:                            ;   in Loop: Header=BB216_339 Depth=1
	s_or_b64 exec, exec, s[22:23]
.LBB216_598:                            ;   in Loop: Header=BB216_339 Depth=1
	s_or_b64 exec, exec, s[20:21]
	v_or_b32_e32 v69, v73, v71
	v_or_b32_e32 v68, v72, v70
	;; [unrolled: 1-line block ×4, first 2 shown]
	v_pk_mul_f32 v[68:69], s[18:19], v[68:69]
	v_pk_mul_f32 v[70:71], s[18:19], v[70:71]
	s_and_saveexec_b64 s[20:21], vcc
; %bb.599:                              ;   in Loop: Header=BB216_339 Depth=1
	v_cmp_gt_i32_e64 s[0:1], s41, v93
	v_cndmask_b32_e64 v68, 0, v68, s[0:1]
	v_cmp_gt_i32_e64 s[0:1], s41, v96
	v_cndmask_b32_e64 v69, 0, v69, s[0:1]
	;; [unrolled: 2-line block ×4, first 2 shown]
; %bb.600:                              ;   in Loop: Header=BB216_339 Depth=1
	s_or_b64 exec, exec, s[20:21]
	global_load_dword v72, v[30:31], off offset:2560
	v_pk_mov_b32 v[76:77], 0, 0
	v_pk_mov_b32 v[74:75], v[76:77], v[76:77] op_sel:[0,1]
	s_waitcnt vmcnt(0)
	v_cmp_ne_u16_sdwa s[0:1], v72, v22 src0_sel:BYTE_0 src1_sel:DWORD
	s_and_saveexec_b64 s[20:21], s[0:1]
	s_cbranch_execz .LBB216_606
; %bb.601:                              ;   in Loop: Header=BB216_339 Depth=1
	v_bfrev_b32_e32 v74, 1
	v_cmp_ne_u16_sdwa s[0:1], v72, s29 src0_sel:BYTE_0 src1_sel:DWORD
	v_mov_b32_e32 v75, 0
	s_and_saveexec_b64 s[22:23], s[0:1]
	s_cbranch_execz .LBB216_605
; %bb.602:                              ;   in Loop: Header=BB216_339 Depth=1
	v_and_b32_e32 v23, 0x7f, v72
	v_mov_b32_e32 v74, 0x7f800001
	v_cmp_ne_u32_e64 s[0:1], s30, v23
	v_mov_b32_e32 v75, 0
	s_and_saveexec_b64 s[24:25], s[0:1]
	s_cbranch_execz .LBB216_604
; %bb.603:                              ;   in Loop: Header=BB216_339 Depth=1
	v_and_b32_e32 v24, 7, v72
	v_ffbh_u32_e32 v74, v24
	v_min_u32_e32 v78, 32, v74
	v_lshrrev_b32_e32 v73, 3, v23
	v_subrev_u32_e32 v74, 28, v78
	v_lshlrev_b64 v[74:75], v74, v[72:73]
	v_sub_u32_e32 v75, 29, v78
	v_and_b32_e32 v74, 7, v74
	v_cmp_gt_u32_e64 s[0:1], 8, v23
	v_cndmask_b32_e64 v23, v73, v75, s[0:1]
	v_cndmask_b32_e64 v24, v24, v74, s[0:1]
	v_lshlrev_b32_e32 v24, 20, v24
	v_and_b32_sdwa v73, sext(v72), s7 dst_sel:DWORD dst_unused:UNUSED_PAD src0_sel:BYTE_0 src1_sel:DWORD
	v_lshl_add_u32 v23, v23, 23, v90
	v_or3_b32 v24, v73, v23, v24
	v_pk_mov_b32 v[74:75], v[24:25], v[24:25] op_sel:[0,1]
.LBB216_604:                            ;   in Loop: Header=BB216_339 Depth=1
	s_or_b64 exec, exec, s[24:25]
.LBB216_605:                            ;   in Loop: Header=BB216_339 Depth=1
	s_or_b64 exec, exec, s[22:23]
.LBB216_606:                            ;   in Loop: Header=BB216_339 Depth=1
	s_or_b64 exec, exec, s[20:21]
	v_cmp_ne_u16_sdwa s[0:1], v72, v22 src0_sel:BYTE_1 src1_sel:DWORD
	s_and_saveexec_b64 s[20:21], s[0:1]
	s_cbranch_execz .LBB216_612
; %bb.607:                              ;   in Loop: Header=BB216_339 Depth=1
	v_cmp_ne_u16_sdwa s[0:1], v72, s29 src0_sel:BYTE_1 src1_sel:DWORD
	v_pk_mov_b32 v[76:77], s[6:7], s[6:7] op_sel:[0,1]
	s_and_saveexec_b64 s[22:23], s[0:1]
	s_cbranch_execz .LBB216_611
; %bb.608:                              ;   in Loop: Header=BB216_339 Depth=1
	v_and_b32_sdwa v23, v72, s30 dst_sel:DWORD dst_unused:UNUSED_PAD src0_sel:BYTE_1 src1_sel:DWORD
	s_mov_b32 s12, s6
	v_cmp_ne_u32_e64 s[0:1], s30, v23
	v_pk_mov_b32 v[76:77], s[12:13], s[12:13] op_sel:[0,1]
	s_and_saveexec_b64 s[24:25], s[0:1]
	s_cbranch_execz .LBB216_610
; %bb.609:                              ;   in Loop: Header=BB216_339 Depth=1
	v_and_b32_sdwa v24, v72, v91 dst_sel:DWORD dst_unused:UNUSED_PAD src0_sel:BYTE_1 src1_sel:DWORD
	v_ffbh_u32_e32 v76, v24
	v_min_u32_e32 v78, 32, v76
	v_subrev_u32_e32 v76, 28, v78
	v_lshlrev_b64 v[76:77], v76, v[24:25]
	v_lshrrev_b32_e32 v73, 3, v23
	v_sub_u32_e32 v77, 29, v78
	v_cmp_gt_u32_e64 s[0:1], 8, v23
	v_and_b32_e32 v76, 7, v76
	v_cndmask_b32_e64 v23, v73, v77, s[0:1]
	v_cndmask_b32_e64 v24, v24, v76, s[0:1]
	v_lshlrev_b32_e32 v73, 16, v72
	v_lshl_add_u32 v23, v23, 23, v90
	v_and_or_b32 v23, v73, s7, v23
	v_lshlrev_b32_e32 v24, 20, v24
	v_or_b32_e32 v23, v23, v24
	v_pk_mov_b32 v[76:77], v[22:23], v[22:23] op_sel:[0,1]
.LBB216_610:                            ;   in Loop: Header=BB216_339 Depth=1
	s_or_b64 exec, exec, s[24:25]
.LBB216_611:                            ;   in Loop: Header=BB216_339 Depth=1
	s_or_b64 exec, exec, s[22:23]
.LBB216_612:                            ;   in Loop: Header=BB216_339 Depth=1
	s_or_b64 exec, exec, s[20:21]
	v_lshrrev_b32_e32 v24, 16, v72
	v_pk_mov_b32 v[80:81], 0, 0
	v_cmp_ne_u16_sdwa s[0:1], v24, v22 src0_sel:BYTE_0 src1_sel:DWORD
	v_pk_mov_b32 v[78:79], v[80:81], v[80:81] op_sel:[0,1]
	s_and_saveexec_b64 s[20:21], s[0:1]
	s_cbranch_execz .LBB216_618
; %bb.613:                              ;   in Loop: Header=BB216_339 Depth=1
	v_bfrev_b32_e32 v78, 1
	v_cmp_ne_u16_sdwa s[0:1], v24, s29 src0_sel:BYTE_0 src1_sel:DWORD
	v_mov_b32_e32 v79, 0
	s_and_saveexec_b64 s[22:23], s[0:1]
	s_cbranch_execz .LBB216_617
; %bb.614:                              ;   in Loop: Header=BB216_339 Depth=1
	v_bfe_u32 v23, v72, 16, 7
	v_mov_b32_e32 v78, 0x7f800001
	v_cmp_ne_u32_e64 s[0:1], s30, v23
	v_mov_b32_e32 v79, 0
	s_and_saveexec_b64 s[24:25], s[0:1]
	s_cbranch_execz .LBB216_616
; %bb.615:                              ;   in Loop: Header=BB216_339 Depth=1
	v_and_b32_e32 v73, 7, v24
	v_ffbh_u32_e32 v78, v73
	v_min_u32_e32 v83, 32, v78
	v_subrev_u32_e32 v78, 28, v83
	v_lshlrev_b64 v[78:79], v78, v[24:25]
	v_lshrrev_b32_e32 v82, 3, v23
	v_sub_u32_e32 v79, 29, v83
	v_and_b32_e32 v78, 7, v78
	v_cmp_gt_u32_e64 s[0:1], 8, v23
	v_cndmask_b32_e64 v23, v82, v79, s[0:1]
	v_cndmask_b32_e64 v73, v73, v78, s[0:1]
	v_lshlrev_b32_e32 v73, 20, v73
	v_and_b32_sdwa v24, sext(v24), s7 dst_sel:DWORD dst_unused:UNUSED_PAD src0_sel:BYTE_0 src1_sel:DWORD
	v_lshl_add_u32 v23, v23, 23, v90
	v_or3_b32 v24, v24, v23, v73
	v_pk_mov_b32 v[78:79], v[24:25], v[24:25] op_sel:[0,1]
.LBB216_616:                            ;   in Loop: Header=BB216_339 Depth=1
	s_or_b64 exec, exec, s[24:25]
.LBB216_617:                            ;   in Loop: Header=BB216_339 Depth=1
	s_or_b64 exec, exec, s[22:23]
.LBB216_618:                            ;   in Loop: Header=BB216_339 Depth=1
	s_or_b64 exec, exec, s[20:21]
	v_cmp_lt_u32_e64 s[0:1], s38, v72
	s_and_saveexec_b64 s[20:21], s[0:1]
	s_cbranch_execz .LBB216_624
; %bb.619:                              ;   in Loop: Header=BB216_339 Depth=1
	v_cmp_ne_u32_sdwa s[0:1], v72, s29 src0_sel:BYTE_3 src1_sel:DWORD
	v_pk_mov_b32 v[80:81], s[6:7], s[6:7] op_sel:[0,1]
	s_and_saveexec_b64 s[22:23], s[0:1]
	s_cbranch_execz .LBB216_623
; %bb.620:                              ;   in Loop: Header=BB216_339 Depth=1
	v_bfe_u32 v23, v72, 24, 7
	s_mov_b32 s12, s6
	v_cmp_ne_u32_e64 s[0:1], s30, v23
	v_pk_mov_b32 v[80:81], s[12:13], s[12:13] op_sel:[0,1]
	s_and_saveexec_b64 s[24:25], s[0:1]
	s_cbranch_execz .LBB216_622
; %bb.621:                              ;   in Loop: Header=BB216_339 Depth=1
	v_and_b32_sdwa v24, v72, v91 dst_sel:DWORD dst_unused:UNUSED_PAD src0_sel:BYTE_3 src1_sel:DWORD
	v_ffbh_u32_e32 v80, v24
	v_min_u32_e32 v82, 32, v80
	v_subrev_u32_e32 v80, 28, v82
	v_lshlrev_b64 v[80:81], v80, v[24:25]
	v_lshrrev_b32_e32 v73, 3, v23
	v_sub_u32_e32 v81, 29, v82
	v_cmp_gt_u32_e64 s[0:1], 8, v23
	v_and_b32_e32 v80, 7, v80
	v_cndmask_b32_e64 v23, v73, v81, s[0:1]
	v_cndmask_b32_e64 v24, v24, v80, s[0:1]
	v_lshlrev_b32_sdwa v72, v92, v72 dst_sel:DWORD dst_unused:UNUSED_PAD src0_sel:DWORD src1_sel:BYTE_3
	v_lshl_add_u32 v23, v23, 23, v90
	v_and_or_b32 v23, v72, s7, v23
	v_lshlrev_b32_e32 v24, 20, v24
	v_or_b32_e32 v23, v23, v24
	v_pk_mov_b32 v[80:81], v[22:23], v[22:23] op_sel:[0,1]
.LBB216_622:                            ;   in Loop: Header=BB216_339 Depth=1
	s_or_b64 exec, exec, s[24:25]
.LBB216_623:                            ;   in Loop: Header=BB216_339 Depth=1
	s_or_b64 exec, exec, s[22:23]
.LBB216_624:                            ;   in Loop: Header=BB216_339 Depth=1
	s_or_b64 exec, exec, s[20:21]
	v_or_b32_e32 v73, v77, v75
	v_or_b32_e32 v72, v76, v74
	v_or_b32_e32 v75, v81, v79
	v_or_b32_e32 v74, v80, v78
	v_pk_mul_f32 v[72:73], s[18:19], v[72:73]
	v_pk_mul_f32 v[74:75], s[18:19], v[74:75]
	s_and_saveexec_b64 s[20:21], vcc
; %bb.625:                              ;   in Loop: Header=BB216_339 Depth=1
	v_cmp_gt_i32_e64 s[0:1], s41, v93
	v_cndmask_b32_e64 v72, 0, v72, s[0:1]
	v_cmp_gt_i32_e64 s[0:1], s41, v96
	v_cndmask_b32_e64 v73, 0, v73, s[0:1]
	;; [unrolled: 2-line block ×4, first 2 shown]
; %bb.626:                              ;   in Loop: Header=BB216_339 Depth=1
	s_or_b64 exec, exec, s[20:21]
	global_load_dword v30, v[30:31], off offset:2816
	v_pk_mov_b32 v[78:79], 0, 0
	v_pk_mov_b32 v[76:77], v[78:79], v[78:79] op_sel:[0,1]
	s_waitcnt vmcnt(0)
	v_cmp_ne_u16_sdwa s[0:1], v30, v22 src0_sel:BYTE_0 src1_sel:DWORD
	s_and_saveexec_b64 s[20:21], s[0:1]
	s_cbranch_execz .LBB216_632
; %bb.627:                              ;   in Loop: Header=BB216_339 Depth=1
	v_bfrev_b32_e32 v76, 1
	v_cmp_ne_u16_sdwa s[0:1], v30, s29 src0_sel:BYTE_0 src1_sel:DWORD
	v_mov_b32_e32 v77, 0
	s_and_saveexec_b64 s[22:23], s[0:1]
	s_cbranch_execz .LBB216_631
; %bb.628:                              ;   in Loop: Header=BB216_339 Depth=1
	v_and_b32_e32 v23, 0x7f, v30
	v_mov_b32_e32 v76, 0x7f800001
	v_cmp_ne_u32_e64 s[0:1], s30, v23
	v_mov_b32_e32 v77, 0
	s_and_saveexec_b64 s[24:25], s[0:1]
	s_cbranch_execz .LBB216_630
; %bb.629:                              ;   in Loop: Header=BB216_339 Depth=1
	v_and_b32_e32 v24, 7, v30
	v_ffbh_u32_e32 v76, v24
	v_min_u32_e32 v80, 32, v76
	v_lshrrev_b32_e32 v31, 3, v23
	v_subrev_u32_e32 v76, 28, v80
	v_lshlrev_b64 v[76:77], v76, v[30:31]
	v_sub_u32_e32 v77, 29, v80
	v_and_b32_e32 v76, 7, v76
	v_cmp_gt_u32_e64 s[0:1], 8, v23
	v_cndmask_b32_e64 v23, v31, v77, s[0:1]
	v_cndmask_b32_e64 v24, v24, v76, s[0:1]
	v_lshlrev_b32_e32 v24, 20, v24
	v_and_b32_sdwa v31, sext(v30), s7 dst_sel:DWORD dst_unused:UNUSED_PAD src0_sel:BYTE_0 src1_sel:DWORD
	v_lshl_add_u32 v23, v23, 23, v90
	v_or3_b32 v24, v31, v23, v24
	v_pk_mov_b32 v[76:77], v[24:25], v[24:25] op_sel:[0,1]
.LBB216_630:                            ;   in Loop: Header=BB216_339 Depth=1
	s_or_b64 exec, exec, s[24:25]
.LBB216_631:                            ;   in Loop: Header=BB216_339 Depth=1
	s_or_b64 exec, exec, s[22:23]
.LBB216_632:                            ;   in Loop: Header=BB216_339 Depth=1
	s_or_b64 exec, exec, s[20:21]
	v_cmp_ne_u16_sdwa s[0:1], v30, v22 src0_sel:BYTE_1 src1_sel:DWORD
	s_and_saveexec_b64 s[20:21], s[0:1]
	s_cbranch_execz .LBB216_638
; %bb.633:                              ;   in Loop: Header=BB216_339 Depth=1
	v_cmp_ne_u16_sdwa s[0:1], v30, s29 src0_sel:BYTE_1 src1_sel:DWORD
	v_pk_mov_b32 v[78:79], s[6:7], s[6:7] op_sel:[0,1]
	s_and_saveexec_b64 s[22:23], s[0:1]
	s_cbranch_execz .LBB216_637
; %bb.634:                              ;   in Loop: Header=BB216_339 Depth=1
	v_and_b32_sdwa v23, v30, s30 dst_sel:DWORD dst_unused:UNUSED_PAD src0_sel:BYTE_1 src1_sel:DWORD
	s_mov_b32 s12, s6
	v_cmp_ne_u32_e64 s[0:1], s30, v23
	v_pk_mov_b32 v[78:79], s[12:13], s[12:13] op_sel:[0,1]
	s_and_saveexec_b64 s[24:25], s[0:1]
	s_cbranch_execz .LBB216_636
; %bb.635:                              ;   in Loop: Header=BB216_339 Depth=1
	v_and_b32_sdwa v24, v30, v91 dst_sel:DWORD dst_unused:UNUSED_PAD src0_sel:BYTE_1 src1_sel:DWORD
	v_ffbh_u32_e32 v78, v24
	v_min_u32_e32 v80, 32, v78
	v_subrev_u32_e32 v78, 28, v80
	v_lshlrev_b64 v[78:79], v78, v[24:25]
	v_lshrrev_b32_e32 v31, 3, v23
	v_sub_u32_e32 v79, 29, v80
	v_cmp_gt_u32_e64 s[0:1], 8, v23
	v_and_b32_e32 v78, 7, v78
	v_cndmask_b32_e64 v23, v31, v79, s[0:1]
	v_cndmask_b32_e64 v24, v24, v78, s[0:1]
	v_lshlrev_b32_e32 v31, 16, v30
	v_lshl_add_u32 v23, v23, 23, v90
	v_and_or_b32 v23, v31, s7, v23
	v_lshlrev_b32_e32 v24, 20, v24
	v_or_b32_e32 v23, v23, v24
	v_pk_mov_b32 v[78:79], v[22:23], v[22:23] op_sel:[0,1]
.LBB216_636:                            ;   in Loop: Header=BB216_339 Depth=1
	s_or_b64 exec, exec, s[24:25]
.LBB216_637:                            ;   in Loop: Header=BB216_339 Depth=1
	s_or_b64 exec, exec, s[22:23]
.LBB216_638:                            ;   in Loop: Header=BB216_339 Depth=1
	s_or_b64 exec, exec, s[20:21]
	v_lshrrev_b32_e32 v24, 16, v30
	v_pk_mov_b32 v[82:83], 0, 0
	v_cmp_ne_u16_sdwa s[0:1], v24, v22 src0_sel:BYTE_0 src1_sel:DWORD
	v_pk_mov_b32 v[80:81], v[82:83], v[82:83] op_sel:[0,1]
	s_and_saveexec_b64 s[20:21], s[0:1]
	s_cbranch_execz .LBB216_644
; %bb.639:                              ;   in Loop: Header=BB216_339 Depth=1
	v_bfrev_b32_e32 v80, 1
	v_cmp_ne_u16_sdwa s[0:1], v24, s29 src0_sel:BYTE_0 src1_sel:DWORD
	v_mov_b32_e32 v81, 0
	s_and_saveexec_b64 s[22:23], s[0:1]
	s_cbranch_execz .LBB216_643
; %bb.640:                              ;   in Loop: Header=BB216_339 Depth=1
	v_bfe_u32 v23, v30, 16, 7
	v_mov_b32_e32 v80, 0x7f800001
	v_cmp_ne_u32_e64 s[0:1], s30, v23
	v_mov_b32_e32 v81, 0
	s_and_saveexec_b64 s[24:25], s[0:1]
	s_cbranch_execz .LBB216_642
; %bb.641:                              ;   in Loop: Header=BB216_339 Depth=1
	v_and_b32_e32 v31, 7, v24
	v_ffbh_u32_e32 v80, v31
	v_min_u32_e32 v98, 32, v80
	v_subrev_u32_e32 v80, 28, v98
	v_lshlrev_b64 v[80:81], v80, v[24:25]
	v_lshrrev_b32_e32 v97, 3, v23
	v_sub_u32_e32 v81, 29, v98
	v_and_b32_e32 v80, 7, v80
	v_cmp_gt_u32_e64 s[0:1], 8, v23
	v_cndmask_b32_e64 v23, v97, v81, s[0:1]
	v_cndmask_b32_e64 v31, v31, v80, s[0:1]
	v_lshlrev_b32_e32 v31, 20, v31
	v_and_b32_sdwa v24, sext(v24), s7 dst_sel:DWORD dst_unused:UNUSED_PAD src0_sel:BYTE_0 src1_sel:DWORD
	v_lshl_add_u32 v23, v23, 23, v90
	v_or3_b32 v24, v24, v23, v31
	v_pk_mov_b32 v[80:81], v[24:25], v[24:25] op_sel:[0,1]
.LBB216_642:                            ;   in Loop: Header=BB216_339 Depth=1
	s_or_b64 exec, exec, s[24:25]
.LBB216_643:                            ;   in Loop: Header=BB216_339 Depth=1
	s_or_b64 exec, exec, s[22:23]
.LBB216_644:                            ;   in Loop: Header=BB216_339 Depth=1
	s_or_b64 exec, exec, s[20:21]
	v_cmp_lt_u32_e64 s[0:1], s38, v30
	s_and_saveexec_b64 s[20:21], s[0:1]
	s_cbranch_execz .LBB216_650
; %bb.645:                              ;   in Loop: Header=BB216_339 Depth=1
	v_cmp_ne_u32_sdwa s[0:1], v30, s29 src0_sel:BYTE_3 src1_sel:DWORD
	v_pk_mov_b32 v[82:83], s[6:7], s[6:7] op_sel:[0,1]
	s_and_saveexec_b64 s[22:23], s[0:1]
	s_cbranch_execz .LBB216_649
; %bb.646:                              ;   in Loop: Header=BB216_339 Depth=1
	v_bfe_u32 v23, v30, 24, 7
	s_mov_b32 s12, s6
	v_cmp_ne_u32_e64 s[0:1], s30, v23
	v_pk_mov_b32 v[82:83], s[12:13], s[12:13] op_sel:[0,1]
	s_and_saveexec_b64 s[24:25], s[0:1]
	s_cbranch_execz .LBB216_648
; %bb.647:                              ;   in Loop: Header=BB216_339 Depth=1
	v_and_b32_sdwa v24, v30, v91 dst_sel:DWORD dst_unused:UNUSED_PAD src0_sel:BYTE_3 src1_sel:DWORD
	v_ffbh_u32_e32 v82, v24
	v_min_u32_e32 v97, 32, v82
	v_subrev_u32_e32 v82, 28, v97
	v_lshlrev_b64 v[82:83], v82, v[24:25]
	v_lshrrev_b32_e32 v31, 3, v23
	v_sub_u32_e32 v83, 29, v97
	v_cmp_gt_u32_e64 s[0:1], 8, v23
	v_and_b32_e32 v82, 7, v82
	v_cndmask_b32_e64 v23, v31, v83, s[0:1]
	v_cndmask_b32_e64 v24, v24, v82, s[0:1]
	v_lshlrev_b32_sdwa v30, v92, v30 dst_sel:DWORD dst_unused:UNUSED_PAD src0_sel:DWORD src1_sel:BYTE_3
	v_lshl_add_u32 v23, v23, 23, v90
	v_and_or_b32 v23, v30, s7, v23
	v_lshlrev_b32_e32 v24, 20, v24
	v_or_b32_e32 v23, v23, v24
	v_pk_mov_b32 v[82:83], v[22:23], v[22:23] op_sel:[0,1]
.LBB216_648:                            ;   in Loop: Header=BB216_339 Depth=1
	s_or_b64 exec, exec, s[24:25]
.LBB216_649:                            ;   in Loop: Header=BB216_339 Depth=1
	s_or_b64 exec, exec, s[22:23]
.LBB216_650:                            ;   in Loop: Header=BB216_339 Depth=1
	s_or_b64 exec, exec, s[20:21]
	v_or_b32_e32 v31, v79, v77
	v_or_b32_e32 v30, v78, v76
	;; [unrolled: 1-line block ×4, first 2 shown]
	v_pk_mul_f32 v[30:31], s[18:19], v[30:31]
	v_pk_mul_f32 v[76:77], s[18:19], v[76:77]
	s_and_saveexec_b64 s[0:1], vcc
	s_cbranch_execz .LBB216_337
; %bb.651:                              ;   in Loop: Header=BB216_339 Depth=1
	v_cmp_gt_i32_e32 vcc, s41, v93
	v_cndmask_b32_e32 v30, 0, v30, vcc
	v_cmp_gt_i32_e32 vcc, s41, v96
	v_cndmask_b32_e32 v31, 0, v31, vcc
	;; [unrolled: 2-line block ×4, first 2 shown]
	s_branch .LBB216_337
.LBB216_652:
	s_or_b64 exec, exec, s[10:11]
.LBB216_653:
	s_or_b64 exec, exec, s[4:5]
	ds_bpermute_b32 v2, v87, v16
	ds_bpermute_b32 v3, v87, v17
	;; [unrolled: 1-line block ×6, first 2 shown]
	s_waitcnt lgkmcnt(4)
	v_pk_add_f32 v[2:3], v[16:17], v[2:3]
	ds_bpermute_b32 v16, v86, v2
	ds_bpermute_b32 v17, v86, v3
	;; [unrolled: 1-line block ×4, first 2 shown]
	s_waitcnt lgkmcnt(4)
	v_pk_add_f32 v[4:5], v[14:15], v[4:5]
	ds_bpermute_b32 v28, v87, v6
	s_waitcnt lgkmcnt(3)
	v_pk_add_f32 v[2:3], v[2:3], v[16:17]
	v_pk_add_f32 v[16:17], v[12:13], v[18:19]
	ds_bpermute_b32 v12, v87, v10
	ds_bpermute_b32 v13, v87, v11
	;; [unrolled: 1-line block ×7, first 2 shown]
	s_waitcnt lgkmcnt(5)
	v_pk_add_f32 v[22:23], v[10:11], v[12:13]
	v_pk_add_f32 v[20:21], v[8:9], v[20:21]
	ds_bpermute_b32 v24, v86, v22
	ds_bpermute_b32 v25, v86, v23
	;; [unrolled: 1-line block ×4, first 2 shown]
	s_waitcnt lgkmcnt(8)
	v_pk_add_f32 v[6:7], v[6:7], v[28:29]
	s_waitcnt lgkmcnt(6)
	v_pk_add_f32 v[12:13], v[4:5], v[14:15]
	ds_bpermute_b32 v14, v86, v6
	ds_bpermute_b32 v15, v86, v7
	s_waitcnt lgkmcnt(6)
	v_pk_add_f32 v[10:11], v[16:17], v[18:19]
	v_and_b32_e32 v16, 0x3c3, v0
	s_waitcnt lgkmcnt(4)
	v_pk_add_f32 v[8:9], v[22:23], v[24:25]
	s_waitcnt lgkmcnt(2)
	v_pk_add_f32 v[4:5], v[20:21], v[26:27]
	v_cmp_ne_u32_e32 vcc, 64, v16
	s_waitcnt lgkmcnt(0)
	s_barrier
	s_and_saveexec_b64 s[0:1], vcc
	s_xor_b64 s[0:1], exec, s[0:1]
; %bb.654:
                                        ; implicit-def: $vgpr85
; %bb.655:
	s_or_saveexec_b64 s[0:1], s[0:1]
	v_pk_add_f32 v[6:7], v[6:7], v[14:15]
	s_xor_b64 exec, exec, s[0:1]
	s_cbranch_execz .LBB216_657
; %bb.656:
	v_add_u32_e32 v14, 0x310, v85
	ds_write2_b32 v14, v2, v3 offset1:16
	ds_write2_b32 v14, v12, v13 offset0:32 offset1:48
	ds_write2_b32 v14, v10, v11 offset0:64 offset1:80
	;; [unrolled: 1-line block ×5, first 2 shown]
.LBB216_657:
	s_or_b64 exec, exec, s[0:1]
	v_cmp_gt_u32_e32 vcc, 64, v0
	s_waitcnt lgkmcnt(0)
	s_barrier
	s_and_saveexec_b64 s[0:1], vcc
	s_cbranch_execz .LBB216_672
; %bb.658:
	v_cmp_eq_u32_e32 vcc, 0, v50
	s_and_saveexec_b64 s[4:5], vcc
	s_cbranch_execnz .LBB216_675
; %bb.659:
	s_or_b64 exec, exec, s[4:5]
	s_and_saveexec_b64 s[4:5], vcc
	s_cbranch_execnz .LBB216_676
.LBB216_660:
	s_or_b64 exec, exec, s[4:5]
	s_and_saveexec_b64 s[4:5], vcc
	s_cbranch_execnz .LBB216_677
.LBB216_661:
	s_or_b64 exec, exec, s[4:5]
	s_and_saveexec_b64 s[4:5], vcc
	s_cbranch_execnz .LBB216_678
.LBB216_662:
	s_or_b64 exec, exec, s[4:5]
	s_and_saveexec_b64 s[4:5], vcc
	s_cbranch_execnz .LBB216_679
.LBB216_663:
	s_or_b64 exec, exec, s[4:5]
	s_and_saveexec_b64 s[4:5], vcc
	s_cbranch_execnz .LBB216_680
.LBB216_664:
	s_or_b64 exec, exec, s[4:5]
	s_and_saveexec_b64 s[4:5], vcc
	s_cbranch_execnz .LBB216_681
.LBB216_665:
	s_or_b64 exec, exec, s[4:5]
	s_and_saveexec_b64 s[4:5], vcc
	s_cbranch_execnz .LBB216_682
.LBB216_666:
	s_or_b64 exec, exec, s[4:5]
	s_and_saveexec_b64 s[4:5], vcc
	s_cbranch_execnz .LBB216_683
.LBB216_667:
	s_or_b64 exec, exec, s[4:5]
	s_and_saveexec_b64 s[4:5], vcc
	s_cbranch_execnz .LBB216_684
.LBB216_668:
	s_or_b64 exec, exec, s[4:5]
	s_and_saveexec_b64 s[4:5], vcc
	s_cbranch_execnz .LBB216_685
.LBB216_669:
	s_or_b64 exec, exec, s[4:5]
	s_and_saveexec_b64 s[4:5], vcc
	s_cbranch_execz .LBB216_671
.LBB216_670:
	v_mov_b32_e32 v0, 0x310
	v_lshl_add_u32 v0, v51, 2, v0
	ds_read_b32 v0, v0 offset:704
	s_waitcnt lgkmcnt(0)
	v_add_f32_e32 v7, v7, v0
.LBB216_671:
	s_or_b64 exec, exec, s[4:5]
.LBB216_672:
	s_or_b64 exec, exec, s[0:1]
	v_cmp_eq_u32_e32 vcc, 0, v16
	s_barrier
	s_and_saveexec_b64 s[0:1], vcc
	s_cbranch_execz .LBB216_674
; %bb.673:
	s_mul_i32 s0, s2, 0xc0
	s_ashr_i32 s1, s0, 31
	s_lshl_b64 s[0:1], s[0:1], 2
	s_add_u32 s2, s34, s0
	s_mul_i32 s0, s33, s36
	s_addc_u32 s3, s35, s1
	s_ashr_i32 s1, s0, 31
	s_lshl_b64 s[0:1], s[0:1], 2
	s_add_u32 s2, s2, s0
	s_mul_i32 s0, s8, 0xc0
	s_addc_u32 s3, s3, s1
	s_ashr_i32 s1, s0, 31
	s_lshl_b64 s[0:1], s[0:1], 2
	s_add_u32 s0, s2, s0
	s_addc_u32 s1, s3, s1
	global_store_dword v1, v2, s[0:1]
	global_store_dword v1, v3, s[0:1] offset:64
	global_store_dword v1, v12, s[0:1] offset:128
	;; [unrolled: 1-line block ×11, first 2 shown]
.LBB216_674:
	s_endpgm
.LBB216_675:
	v_mov_b32_e32 v0, 0x310
	v_lshl_add_u32 v0, v51, 2, v0
	ds_read_b32 v0, v0
	s_waitcnt lgkmcnt(0)
	v_add_f32_e32 v2, v2, v0
	s_or_b64 exec, exec, s[4:5]
	s_and_saveexec_b64 s[4:5], vcc
	s_cbranch_execz .LBB216_660
.LBB216_676:
	v_mov_b32_e32 v0, 0x310
	v_lshl_add_u32 v0, v51, 2, v0
	ds_read_b32 v0, v0 offset:64
	s_waitcnt lgkmcnt(0)
	v_add_f32_e32 v3, v3, v0
	s_or_b64 exec, exec, s[4:5]
	s_and_saveexec_b64 s[4:5], vcc
	s_cbranch_execz .LBB216_661
.LBB216_677:
	v_mov_b32_e32 v0, 0x310
	v_lshl_add_u32 v0, v51, 2, v0
	ds_read_b32 v0, v0 offset:128
	s_waitcnt lgkmcnt(0)
	v_add_f32_e32 v12, v12, v0
	s_or_b64 exec, exec, s[4:5]
	s_and_saveexec_b64 s[4:5], vcc
	s_cbranch_execz .LBB216_662
.LBB216_678:
	v_mov_b32_e32 v0, 0x310
	v_lshl_add_u32 v0, v51, 2, v0
	ds_read_b32 v0, v0 offset:192
	s_waitcnt lgkmcnt(0)
	v_add_f32_e32 v13, v13, v0
	s_or_b64 exec, exec, s[4:5]
	s_and_saveexec_b64 s[4:5], vcc
	s_cbranch_execz .LBB216_663
.LBB216_679:
	v_mov_b32_e32 v0, 0x310
	v_lshl_add_u32 v0, v51, 2, v0
	ds_read_b32 v0, v0 offset:256
	s_waitcnt lgkmcnt(0)
	v_add_f32_e32 v10, v10, v0
	s_or_b64 exec, exec, s[4:5]
	s_and_saveexec_b64 s[4:5], vcc
	s_cbranch_execz .LBB216_664
.LBB216_680:
	v_mov_b32_e32 v0, 0x310
	v_lshl_add_u32 v0, v51, 2, v0
	ds_read_b32 v0, v0 offset:320
	s_waitcnt lgkmcnt(0)
	v_add_f32_e32 v11, v11, v0
	s_or_b64 exec, exec, s[4:5]
	s_and_saveexec_b64 s[4:5], vcc
	s_cbranch_execz .LBB216_665
.LBB216_681:
	v_mov_b32_e32 v0, 0x310
	v_lshl_add_u32 v0, v51, 2, v0
	ds_read_b32 v0, v0 offset:384
	s_waitcnt lgkmcnt(0)
	v_add_f32_e32 v8, v8, v0
	s_or_b64 exec, exec, s[4:5]
	s_and_saveexec_b64 s[4:5], vcc
	s_cbranch_execz .LBB216_666
.LBB216_682:
	v_mov_b32_e32 v0, 0x310
	v_lshl_add_u32 v0, v51, 2, v0
	ds_read_b32 v0, v0 offset:448
	s_waitcnt lgkmcnt(0)
	v_add_f32_e32 v9, v9, v0
	s_or_b64 exec, exec, s[4:5]
	s_and_saveexec_b64 s[4:5], vcc
	s_cbranch_execz .LBB216_667
.LBB216_683:
	v_mov_b32_e32 v0, 0x310
	v_lshl_add_u32 v0, v51, 2, v0
	ds_read_b32 v0, v0 offset:512
	s_waitcnt lgkmcnt(0)
	v_add_f32_e32 v4, v4, v0
	s_or_b64 exec, exec, s[4:5]
	s_and_saveexec_b64 s[4:5], vcc
	s_cbranch_execz .LBB216_668
.LBB216_684:
	v_mov_b32_e32 v0, 0x310
	v_lshl_add_u32 v0, v51, 2, v0
	ds_read_b32 v0, v0 offset:576
	s_waitcnt lgkmcnt(0)
	v_add_f32_e32 v5, v5, v0
	s_or_b64 exec, exec, s[4:5]
	s_and_saveexec_b64 s[4:5], vcc
	s_cbranch_execz .LBB216_669
.LBB216_685:
	v_mov_b32_e32 v0, 0x310
	v_lshl_add_u32 v0, v51, 2, v0
	ds_read_b32 v0, v0 offset:640
	s_waitcnt lgkmcnt(0)
	v_add_f32_e32 v6, v6, v0
	s_or_b64 exec, exec, s[4:5]
	s_and_saveexec_b64 s[4:5], vcc
	s_cbranch_execnz .LBB216_670
	s_branch .LBB216_671
	.section	.rodata,"a",@progbits
	.p2align	6, 0x0
	.amdhsa_kernel _ZN4vllm25paged_attention_v2_kernelIfhLi192ELi16ELi128ELNS_18Fp8KVCacheDataTypeE1ELb1ELi512EEEvPfS2_PT_PKS3_PKT0_S9_ifPKiSB_iPKfiiiSD_SD_iiiii
		.amdhsa_group_segment_fixed_size 784
		.amdhsa_private_segment_fixed_size 0
		.amdhsa_kernarg_size 400
		.amdhsa_user_sgpr_count 6
		.amdhsa_user_sgpr_private_segment_buffer 1
		.amdhsa_user_sgpr_dispatch_ptr 0
		.amdhsa_user_sgpr_queue_ptr 0
		.amdhsa_user_sgpr_kernarg_segment_ptr 1
		.amdhsa_user_sgpr_dispatch_id 0
		.amdhsa_user_sgpr_flat_scratch_init 0
		.amdhsa_user_sgpr_kernarg_preload_length 0
		.amdhsa_user_sgpr_kernarg_preload_offset 0
		.amdhsa_user_sgpr_private_segment_size 0
		.amdhsa_uses_dynamic_stack 0
		.amdhsa_system_sgpr_private_segment_wavefront_offset 0
		.amdhsa_system_sgpr_workgroup_id_x 1
		.amdhsa_system_sgpr_workgroup_id_y 1
		.amdhsa_system_sgpr_workgroup_id_z 1
		.amdhsa_system_sgpr_workgroup_info 0
		.amdhsa_system_vgpr_workitem_id 0
		.amdhsa_next_free_vgpr 127
		.amdhsa_next_free_sgpr 63
		.amdhsa_accum_offset 128
		.amdhsa_reserve_vcc 1
		.amdhsa_reserve_flat_scratch 0
		.amdhsa_float_round_mode_32 0
		.amdhsa_float_round_mode_16_64 0
		.amdhsa_float_denorm_mode_32 3
		.amdhsa_float_denorm_mode_16_64 3
		.amdhsa_dx10_clamp 1
		.amdhsa_ieee_mode 1
		.amdhsa_fp16_overflow 0
		.amdhsa_tg_split 0
		.amdhsa_exception_fp_ieee_invalid_op 0
		.amdhsa_exception_fp_denorm_src 0
		.amdhsa_exception_fp_ieee_div_zero 0
		.amdhsa_exception_fp_ieee_overflow 0
		.amdhsa_exception_fp_ieee_underflow 0
		.amdhsa_exception_fp_ieee_inexact 0
		.amdhsa_exception_int_div_zero 0
	.end_amdhsa_kernel
	.section	.text._ZN4vllm25paged_attention_v2_kernelIfhLi192ELi16ELi128ELNS_18Fp8KVCacheDataTypeE1ELb1ELi512EEEvPfS2_PT_PKS3_PKT0_S9_ifPKiSB_iPKfiiiSD_SD_iiiii,"axG",@progbits,_ZN4vllm25paged_attention_v2_kernelIfhLi192ELi16ELi128ELNS_18Fp8KVCacheDataTypeE1ELb1ELi512EEEvPfS2_PT_PKS3_PKT0_S9_ifPKiSB_iPKfiiiSD_SD_iiiii,comdat
.Lfunc_end216:
	.size	_ZN4vllm25paged_attention_v2_kernelIfhLi192ELi16ELi128ELNS_18Fp8KVCacheDataTypeE1ELb1ELi512EEEvPfS2_PT_PKS3_PKT0_S9_ifPKiSB_iPKfiiiSD_SD_iiiii, .Lfunc_end216-_ZN4vllm25paged_attention_v2_kernelIfhLi192ELi16ELi128ELNS_18Fp8KVCacheDataTypeE1ELb1ELi512EEEvPfS2_PT_PKS3_PKT0_S9_ifPKiSB_iPKfiiiSD_SD_iiiii
                                        ; -- End function
	.section	.AMDGPU.csdata,"",@progbits
; Kernel info:
; codeLenInByte = 24752
; NumSgprs: 67
; NumVgprs: 127
; NumAgprs: 0
; TotalNumVgprs: 127
; ScratchSize: 0
; MemoryBound: 0
; FloatMode: 240
; IeeeMode: 1
; LDSByteSize: 784 bytes/workgroup (compile time only)
; SGPRBlocks: 8
; VGPRBlocks: 15
; NumSGPRsForWavesPerEU: 67
; NumVGPRsForWavesPerEU: 127
; AccumOffset: 128
; Occupancy: 4
; WaveLimiterHint : 1
; COMPUTE_PGM_RSRC2:SCRATCH_EN: 0
; COMPUTE_PGM_RSRC2:USER_SGPR: 6
; COMPUTE_PGM_RSRC2:TRAP_HANDLER: 0
; COMPUTE_PGM_RSRC2:TGID_X_EN: 1
; COMPUTE_PGM_RSRC2:TGID_Y_EN: 1
; COMPUTE_PGM_RSRC2:TGID_Z_EN: 1
; COMPUTE_PGM_RSRC2:TIDIG_COMP_CNT: 0
; COMPUTE_PGM_RSRC3_GFX90A:ACCUM_OFFSET: 31
; COMPUTE_PGM_RSRC3_GFX90A:TG_SPLIT: 0
	.text
	.p2align	2                               ; -- Begin function _ZN4vllm22paged_attention_kernelIfhLi256ELi16ELi128ELNS_18Fp8KVCacheDataTypeE1ELb1ELi512EEEvPfS2_PT_PKS3_PKT0_S9_ifPKiSB_iPKfiiiSD_SD_iiiii
	.type	_ZN4vllm22paged_attention_kernelIfhLi256ELi16ELi128ELNS_18Fp8KVCacheDataTypeE1ELb1ELi512EEEvPfS2_PT_PKS3_PKT0_S9_ifPKiSB_iPKfiiiSD_SD_iiiii,@function
_ZN4vllm22paged_attention_kernelIfhLi256ELi16ELi128ELNS_18Fp8KVCacheDataTypeE1ELb1ELi512EEEvPfS2_PT_PKS3_PKT0_S9_ifPKiSB_iPKfiiiSD_SD_iiiii: ; @_ZN4vllm22paged_attention_kernelIfhLi256ELi16ELi128ELNS_18Fp8KVCacheDataTypeE1ELb1ELi512EEEvPfS2_PT_PKS3_PKT0_S9_ifPKiSB_iPKfiiiSD_SD_iiiii
; %bb.0:
	s_waitcnt vmcnt(0) expcnt(0) lgkmcnt(0)
	s_or_saveexec_b64 s[4:5], -1
	buffer_store_dword v63, off, s[0:3], s32 offset:404 ; 4-byte Folded Spill
	s_mov_b64 exec, s[4:5]
	buffer_store_dword v40, off, s[0:3], s32 offset:192 ; 4-byte Folded Spill
	buffer_store_dword v41, off, s[0:3], s32 offset:188 ; 4-byte Folded Spill
	;; [unrolled: 1-line block ×47, first 2 shown]
	v_writelane_b32 v63, s34, 0
	v_writelane_b32 v63, s35, 1
	;; [unrolled: 1-line block ×9, first 2 shown]
	s_mov_b32 s22, s13
	s_ashr_i32 s23, s13, 31
	s_lshl_b64 s[4:5], s[22:23], 2
	v_accvgpr_write_b32 a8, v22
	v_mov_b32_e32 v22, v1
	v_mov_b32_e32 v32, v0
	;; [unrolled: 1-line block ×3, first 2 shown]
	v_add_co_u32_e32 v0, vcc, s4, v16
	buffer_store_dword v30, off, s[0:3], s32 offset:316 ; 4-byte Folded Spill
	buffer_store_dword v5, off, s[0:3], s32 offset:332 ; 4-byte Folded Spill
	;; [unrolled: 1-line block ×3, first 2 shown]
	v_addc_co_u32_e32 v1, vcc, v17, v1, vcc
	flat_load_dword v62, v[0:1]
	buffer_load_dword v4, off, s[0:3], s32 offset:4
	buffer_load_dword v5, off, s[0:3], s32
	v_accvgpr_write_b32 a6, v26
	s_lshl_b32 s23, s14, 9
	v_accvgpr_write_b32 a7, v27
	v_accvgpr_write_b32 a45, v25
	;; [unrolled: 1-line block ×3, first 2 shown]
	v_mov_b32_e32 v27, v20
	v_mov_b32_e32 v26, v19
	v_accvgpr_write_b32 a5, v13
	s_waitcnt vmcnt(0) lgkmcnt(0)
	v_cmp_lt_i32_e32 vcc, s23, v62
	s_and_saveexec_b64 s[16:17], vcc
	s_cbranch_execz .LBB217_878
; %bb.1:
	v_sub_u32_e32 v0, 0, v12
	v_max_i32_e32 v0, v12, v0
	v_cvt_f32_u32_e32 v1, v0
	buffer_store_dword v2, off, s[0:3], s32 offset:376 ; 4-byte Folded Spill
	buffer_store_dword v3, off, s[0:3], s32 offset:340 ; 4-byte Folded Spill
	s_load_dword s4, s[8:9], 0x10
	s_load_dword s6, s[8:9], 0x0
	v_sub_u32_e32 v3, 0, v0
	v_rcp_iflag_f32_e32 v1, v1
	s_mov_b32 s20, s15
	s_waitcnt lgkmcnt(0)
	s_lshr_b32 s4, s4, 16
	s_cmp_lg_u32 s4, 0
	v_mul_f32_e32 v1, 0x4f7ffffe, v1
	v_cvt_u32_f32_e32 v1, v1
	s_cselect_b64 s[4:5], -1, 0
	s_cmp_lg_u64 s[4:5], 0
	s_addc_u32 s15, s6, 0
	v_mul_lo_u32 v3, v3, v1
	v_mul_hi_u32 v3, v1, v3
	s_abs_i32 s4, s15
	v_add_u32_e32 v1, v1, v3
	v_mul_hi_u32 v1, s4, v1
	v_mul_lo_u32 v3, v1, v0
	v_sub_u32_e32 v3, s4, v3
	v_add_u32_e32 v13, 1, v1
	v_cmp_ge_u32_e32 vcc, v3, v0
	v_cndmask_b32_e32 v1, v1, v13, vcc
	v_sub_u32_e32 v13, v3, v0
	v_cndmask_b32_e32 v3, v3, v13, vcc
	v_xor_b32_e32 v2, s15, v12
	v_add_u32_e32 v13, 1, v1
	v_cmp_ge_u32_e32 vcc, v3, v0
	v_ashrrev_i32_e32 v2, 31, v2
	v_cndmask_b32_e32 v0, v1, v13, vcc
	v_xor_b32_e32 v0, v0, v2
	v_sub_u32_e32 v19, v0, v2
	v_sub_u32_e32 v0, 0, v19
	v_max_i32_e32 v20, v19, v0
	v_cvt_f32_u32_e32 v0, v20
	v_sub_u32_e32 v1, 0, v20
	s_abs_i32 s10, s12
	v_cmp_ne_u64_e32 vcc, 0, v[26:27]
	v_rcp_iflag_f32_e32 v0, v0
	v_mul_f32_e32 v0, 0x4f7ffffe, v0
	v_cvt_u32_f32_e32 v0, v0
	v_mul_lo_u32 v1, v1, v0
	v_mul_hi_u32 v1, v0, v1
	v_add_u32_e32 v0, v0, v1
	v_mad_u64_u32 v[0:1], s[4:5], s10, v0, 0
	v_mov_b32_e32 v0, 0
	buffer_store_dword v0, off, s[0:3], s32 offset:300 ; 4-byte Folded Spill
	s_and_saveexec_b64 s[4:5], vcc
	s_cbranch_execz .LBB217_3
; %bb.2:
	s_ashr_i32 s13, s12, 31
	s_lshl_b64 s[6:7], s[12:13], 2
	v_mov_b32_e32 v0, s7
	v_add_co_u32_e32 v2, vcc, s6, v26
	v_addc_co_u32_e32 v3, vcc, v27, v0, vcc
	flat_load_dword v0, v[2:3]
	s_waitcnt vmcnt(0) lgkmcnt(0)
	buffer_store_dword v0, off, s[0:3], s32 offset:300 ; 4-byte Folded Spill
.LBB217_3:
	s_or_b64 exec, exec, s[4:5]
	s_load_dword s11, s[8:9], 0x14
	s_load_dword s13, s[8:9], 0x8
	v_and_b32_e32 v3, 0x3ff, v31
	v_lshrrev_b32_e32 v0, 2, v3
	v_and_b32_e32 v2, 3, v3
	s_lshl_b32 s18, s12, 8
	s_movk_i32 s4, 0x100
	v_accvgpr_write_b32 a4, v2
	s_ashr_i32 s19, s18, 31
	v_cmp_gt_u32_e32 vcc, s4, v3
	buffer_store_dword v0, off, s[0:3], s32 offset:324 ; 4-byte Folded Spill
	v_lshlrev_b32_e32 v0, 2, v0
	buffer_store_dword v3, off, s[0:3], s32 offset:292 ; 4-byte Folded Spill
	buffer_store_dword v0, off, s[0:3], s32 offset:344 ; 4-byte Folded Spill
	s_and_saveexec_b64 s[6:7], vcc
	s_cbranch_execz .LBB217_6
; %bb.4:
	buffer_load_dword v0, off, s[0:3], s32 offset:324 ; 4-byte Folded Reload
	buffer_load_dword v17, off, s[0:3], s32 offset:344 ; 4-byte Folded Reload
	v_mul_lo_u32 v2, s22, v21
	v_ashrrev_i32_e32 v3, 31, v2
	v_lshlrev_b64 v[2:3], 2, v[2:3]
	s_lshl_b64 s[4:5], s[18:19], 2
	v_mov_b32_e32 v13, s5
	v_add_co_u32_e32 v2, vcc, s4, v2
	v_accvgpr_read_b32 v16, a4
	v_addc_co_u32_e32 v3, vcc, v3, v13, vcc
	s_mov_b64 s[8:9], 0
	s_waitcnt vmcnt(1)
	v_subrev_u32_e32 v0, 32, v0
	s_waitcnt vmcnt(0)
	v_or_b32_e32 v13, v17, v16
	v_lshlrev_b32_e32 v13, 2, v13
	v_add_co_u32_e32 v2, vcc, v2, v13
	v_addc_co_u32_e32 v3, vcc, 0, v3, vcc
	v_add_co_u32_e32 v2, vcc, v6, v2
	v_addc_co_u32_e32 v3, vcc, v7, v3, vcc
	v_lshl_add_u32 v6, v16, 8, v17
.LBB217_5:                              ; =>This Inner Loop Header: Depth=1
	flat_load_dword v7, v[2:3]
	v_add_co_u32_e64 v0, s[4:5], 32, v0
	s_xor_b64 s[4:5], s[4:5], -1
	v_add_co_u32_e32 v2, vcc, 0x200, v2
	s_and_b64 s[4:5], exec, s[4:5]
	v_addc_co_u32_e32 v3, vcc, 0, v3, vcc
	s_or_b64 s[8:9], s[4:5], s[8:9]
	s_waitcnt vmcnt(0) lgkmcnt(0)
	ds_write_b32 v6, v7
	v_add_u32_e32 v6, 0x80, v6
	s_andn2_b64 exec, exec, s[8:9]
	s_cbranch_execnz .LBB217_5
.LBB217_6:
	s_or_b64 exec, exec, s[6:7]
	v_mul_lo_u32 v2, v1, v20
	v_sub_u32_e32 v2, s10, v2
	v_add_u32_e32 v3, 1, v1
	v_cmp_ge_u32_e32 vcc, v2, v20
	v_cndmask_b32_e32 v1, v1, v3, vcc
	v_sub_u32_e32 v3, v2, v20
	v_cndmask_b32_e32 v2, v2, v3, vcc
	v_add_u32_e32 v3, 1, v1
	v_cmp_ge_u32_e32 vcc, v2, v20
	v_sub_u32_e32 v2, 0, v5
	v_cndmask_b32_e32 v1, v1, v3, vcc
	v_max_i32_e32 v3, v5, v2
	v_cvt_f32_u32_e32 v2, v3
	s_ashr_i32 s4, s12, 31
	v_ashrrev_i32_e32 v0, 31, v19
	v_xor_b32_e32 v0, s4, v0
	v_xor_b32_e32 v1, v1, v0
	v_sub_u32_e32 v0, v1, v0
	v_rcp_iflag_f32_e32 v1, v2
	v_accvgpr_write_b32 a9, v3
	v_sub_u32_e32 v3, 0, v3
	v_add_u32_e32 v6, -1, v62
	v_mul_f32_e32 v1, 0x4f7ffffe, v1
	v_cvt_u32_f32_e32 v2, v1
	v_sub_u32_e32 v1, 0, v6
	v_max_i32_e32 v1, v6, v1
	s_waitcnt lgkmcnt(0)
	s_lshr_b32 s19, s11, 16
	v_mul_lo_u32 v3, v3, v2
	v_mul_hi_u32 v3, v2, v3
	v_add_u32_e32 v2, v2, v3
	v_accvgpr_write_b32 a10, v2
	v_mad_u64_u32 v[2:3], s[4:5], v1, v2, 0
	v_cmp_gt_i32_e32 vcc, 0, v4
	s_barrier
	s_waitcnt lgkmcnt(0)
                                        ; implicit-def: $agpr12
	s_and_saveexec_b64 s[4:5], vcc
	s_xor_b64 s[4:5], exec, s[4:5]
; %bb.7:
	v_mad_u64_u32 v[12:13], s[6:7], v28, v12, v[0:1]
	v_mul_lo_u32 v2, v12, v4
	v_sub_u32_e32 v2, 1, v2
	v_accvgpr_write_b32 a12, v2
                                        ; implicit-def: $vgpr28
                                        ; implicit-def: $vgpr4
; %bb.8:
	s_or_saveexec_b64 s[4:5], s[4:5]
	v_ashrrev_i32_e32 v5, 31, v5
	v_ashrrev_i32_e32 v2, 31, v6
	v_accvgpr_write_b32 a11, v5
	s_xor_b64 exec, exec, s[4:5]
; %bb.9:
	v_mul_lo_u32 v5, s15, v28
	v_add_u32_e32 v5, s12, v5
	v_mad_u64_u32 v[4:5], s[6:7], v5, v4, 1
	v_accvgpr_write_b32 a12, v4
; %bb.10:
	s_or_b64 exec, exec, s[4:5]
	v_accvgpr_read_b32 v6, a11
	v_accvgpr_read_b32 v7, a9
	v_xor_b32_e32 v2, v2, v6
	v_mul_lo_u32 v6, v3, v7
	v_sub_u32_e32 v1, v1, v6
	v_add_u32_e32 v6, 1, v3
	v_cmp_ge_u32_e32 vcc, v1, v7
	v_cndmask_b32_e32 v3, v3, v6, vcc
	v_sub_u32_e32 v6, v1, v7
	v_cndmask_b32_e32 v1, v1, v6, vcc
	v_add_u32_e32 v6, 1, v3
	v_cmp_ge_u32_e32 vcc, v1, v7
	v_cndmask_b32_e32 v1, v3, v6, vcc
	v_xor_b32_e32 v1, v1, v2
	v_sub_u32_e32 v1, v1, v2
	v_add_u32_e32 v2, 15, v62
	v_ashrrev_i32_e32 v3, 31, v2
	v_lshrrev_b32_e32 v3, 28, v3
	v_add_u32_e32 v2, v2, v3
	s_lshl_b32 s38, s14, 5
	v_mul_lo_u32 v0, v0, v23
	v_ashrrev_i32_e32 v2, 4, v2
	s_add_i32 s4, s38, 32
	buffer_store_dword v0, off, s[0:3], s32 offset:360 ; 4-byte Folded Spill
	v_ashrrev_i32_e32 v0, 31, v0
	buffer_store_dword v2, off, s[0:3], s32 offset:372 ; 4-byte Folded Spill
	v_min_i32_e32 v3, s4, v2
	buffer_load_dword v2, off, s[0:3], s32 offset:292 ; 4-byte Folded Reload
	v_mul_lo_u32 v4, s22, v18
	buffer_store_dword v0, off, s[0:3], s32 offset:356 ; 4-byte Folded Spill
	buffer_load_dword v0, off, s[0:3], s32 offset:316 ; 4-byte Folded Reload
	v_ashrrev_i32_e32 v5, 31, v4
	v_sub_u32_e32 v1, v1, v29
	v_accvgpr_write_b32 a16, v1
	v_accvgpr_write_b32 a13, v3
	v_mov_b32_e32 v7, 0xff7fffff
	s_waitcnt vmcnt(2)
	v_lshrrev_b32_e32 v6, 6, v2
	v_or_b32_e32 v2, s38, v6
	v_cmp_lt_i32_e64 s[4:5], v2, v3
	s_waitcnt vmcnt(0)
	v_sub_u32_e32 v0, 0, v0
	buffer_store_dword v0, off, s[0:3], s32 offset:364 ; 4-byte Folded Spill
	v_lshlrev_b64 v[0:1], 2, v[4:5]
	v_ashrrev_i32_e32 v3, 31, v2
	buffer_store_dword v0, off, s[0:3], s32 offset:348 ; 4-byte Folded Spill
	s_nop 0
	buffer_store_dword v1, off, s[0:3], s32 offset:352 ; 4-byte Folded Spill
	buffer_store_dword v6, off, s[0:3], s32 offset:320 ; 4-byte Folded Spill
	v_accvgpr_write_b32 a15, v3
	v_lshl_add_u32 v0, v6, 4, s23
	v_accvgpr_write_b32 a14, v2
	buffer_store_dword v0, off, s[0:3], s32 offset:368 ; 4-byte Folded Spill
	v_mbcnt_lo_u32_b32 v0, -1, 0
	s_and_saveexec_b64 s[24:25], s[4:5]
	s_cbranch_execz .LBB217_404
; %bb.11:
	buffer_store_dword v32, off, s[0:3], s32 offset:380 ; 4-byte Folded Spill
	buffer_store_dword v22, off, s[0:3], s32 offset:384 ; 4-byte Folded Spill
	;; [unrolled: 1-line block ×4, first 2 shown]
	v_mov_b32_e32 v6, v0
	buffer_load_dword v0, off, s[0:3], s32 offset:292 ; 4-byte Folded Reload
	buffer_load_dword v1, off, s[0:3], s32 offset:356 ; 4-byte Folded Reload
	s_ashr_i32 s21, s20, 31
	s_lshl_b64 s[10:11], s[20:21], 2
	s_getpc_b64 s[26:27]
	s_add_u32 s26, s26, llvm.amdgcn.dynlds.offset.table@rel32@lo+4
	s_addc_u32 s27, s27, llvm.amdgcn.dynlds.offset.table@rel32@hi+12
	s_add_u32 s26, s10, s26
	v_accvgpr_read_b32 v4, a4
	s_addc_u32 s27, s11, s27
	v_cmp_eq_u32_e64 s[6:7], 0, v4
	v_lshlrev_b32_e32 v10, 8, v4
	v_accvgpr_mov_b32 a34, a44
	s_mov_b64 s[28:29], 0
	s_movk_i32 s39, 0x80
	s_movk_i32 s40, 0x7f
	v_bfrev_b32_e32 v57, 60
	v_accvgpr_mov_b32 a35, a45
	s_waitcnt vmcnt(1)
	v_bfe_u32 v7, v0, 2, 4
	buffer_load_dword v0, off, s[0:3], s32 offset:360 ; 4-byte Folded Reload
	v_lshlrev_b32_e32 v2, 4, v7
	s_waitcnt vmcnt(0)
	v_add_co_u32_e32 v0, vcc, v8, v0
	v_addc_co_u32_e32 v1, vcc, v9, v1, vcc
	v_add_co_u32_e32 v0, vcc, v0, v2
	v_addc_co_u32_e32 v1, vcc, 0, v1, vcc
	v_accvgpr_write_b32 a41, v1
	v_accvgpr_write_b32 a40, v0
	buffer_load_dword v1, off, s[0:3], s32 offset:364 ; 4-byte Folded Reload
	buffer_load_dword v0, off, s[0:3], s32 offset:316 ; 4-byte Folded Reload
	s_load_dword s21, s[26:27], 0x0
	v_accvgpr_read_b32 v2, a14
	v_accvgpr_read_b32 v3, a15
	s_waitcnt vmcnt(0)
	v_max_i32_e32 v59, v0, v1
	buffer_load_dword v1, off, s[0:3], s32 offset:300 ; 4-byte Folded Reload
	buffer_load_dword v4, off, s[0:3], s32 offset:348 ; 4-byte Folded Reload
	;; [unrolled: 1-line block ×3, first 2 shown]
	v_cvt_f32_u32_e32 v0, v59
	buffer_store_dword v15, off, s[0:3], s32 offset:400 ; 4-byte Folded Spill
	buffer_store_dword v14, off, s[0:3], s32 offset:396 ; 4-byte Folded Spill
	;; [unrolled: 1-line block ×3, first 2 shown]
	v_rcp_iflag_f32_e32 v0, v0
	v_mul_f32_e32 v0, 0x4f7ffffe, v0
	v_cvt_u32_f32_e32 v0, v0
	s_waitcnt vmcnt(5)
	v_cmp_neq_f32_e64 s[8:9], 0, v1
	v_sub_u32_e32 v1, 0, v59
	v_mul_lo_u32 v1, v1, v0
	v_mul_hi_u32 v1, v0, v1
	v_add_u32_e32 v56, v0, v1
	v_lshlrev_b64 v[0:1], 2, v[2:3]
	s_waitcnt vmcnt(4)
	v_add_co_u32_e32 v0, vcc, v4, v0
	s_waitcnt vmcnt(3)
	v_addc_co_u32_e32 v1, vcc, v5, v1, vcc
	v_add_co_u32_e32 v26, vcc, v14, v0
	v_addc_co_u32_e32 v27, vcc, v15, v1, vcc
	buffer_load_dword v1, off, s[0:3], s32 offset:320 ; 4-byte Folded Reload
	v_lshlrev_b32_e32 v0, 2, v7
	v_mov_b32_e32 v15, v2
	v_accvgpr_write_b32 a42, v56
	s_waitcnt vmcnt(0)
	v_lshl_or_b32 v30, v1, 6, v0
	v_sub_u32_e32 v0, v7, v62
	v_add_u32_e32 v0, 1, v0
	buffer_store_dword v0, off, s[0:3], s32 offset:308 ; 4-byte Folded Spill
	v_mbcnt_hi_u32_b32 v0, -1, v6
	v_accvgpr_write_b32 a43, v0
	v_mov_b32_e32 v0, 0xff7fffff
	v_lshl_add_u32 v11, v1, 4, s23
	buffer_store_dword v0, off, s[0:3], s32 offset:296 ; 4-byte Folded Spill
	v_accvgpr_read_b32 v0, a5
	buffer_store_dword v0, off, s[0:3], s32 offset:336 ; 4-byte Folded Spill
	buffer_store_dword v59, off, s[0:3], s32 offset:312 ; 4-byte Folded Spill
	s_branch .LBB217_14
.LBB217_12:                             ;   in Loop: Header=BB217_14 Depth=1
	s_or_b64 exec, exec, s[30:31]
.LBB217_13:                             ;   in Loop: Header=BB217_14 Depth=1
	s_or_b64 exec, exec, s[10:11]
	v_add_co_u32_e32 v26, vcc, 8, v26
	v_add_u32_e32 v15, 2, v15
	v_addc_co_u32_e32 v27, vcc, 0, v27, vcc
	v_accvgpr_read_b32 v0, a13
	v_cmp_ge_i32_e32 vcc, v15, v0
	v_add_u32_e32 v11, 32, v11
	s_or_b64 s[28:29], vcc, s[28:29]
	v_add_u32_e32 v30, 0x80, v30
	s_andn2_b64 exec, exec, s[28:29]
	s_cbranch_execz .LBB217_403
.LBB217_14:                             ; =>This Inner Loop Header: Depth=1
	v_ashrrev_i32_e32 v0, 31, v11
	s_waitcnt lgkmcnt(0)
	v_accvgpr_read_b32 v1, a11
	v_xor_b32_e32 v0, v0, v1
	v_sub_u32_e32 v1, 0, v11
	v_max_i32_e32 v1, v11, v1
	v_accvgpr_read_b32 v2, a10
	v_mul_hi_u32 v2, v1, v2
	v_accvgpr_read_b32 v4, a9
	v_mul_lo_u32 v3, v2, v4
	v_sub_u32_e32 v1, v1, v3
	v_add_u32_e32 v3, 1, v2
	v_cmp_ge_u32_e32 vcc, v1, v4
	v_cndmask_b32_e32 v2, v2, v3, vcc
	v_sub_u32_e32 v3, v1, v4
	v_cndmask_b32_e32 v1, v1, v3, vcc
	v_add_u32_e32 v3, 1, v2
	v_cmp_ge_u32_e32 vcc, v1, v4
	v_cndmask_b32_e32 v1, v2, v3, vcc
	v_xor_b32_e32 v1, v1, v0
	v_sub_u32_e32 v0, v1, v0
	v_accvgpr_read_b32 v2, a12
	v_add_u32_e32 v1, v0, v2
	v_sub_u32_e32 v3, 0, v1
	v_ashrrev_i32_e32 v2, 31, v1
	v_max_i32_e32 v1, v1, v3
	v_mul_hi_u32 v3, v1, v56
	v_mul_lo_u32 v3, v3, v59
	v_sub_u32_e32 v1, v1, v3
	v_sub_u32_e32 v3, v1, v59
	v_cmp_ge_u32_e32 vcc, v1, v59
	v_cndmask_b32_e32 v1, v1, v3, vcc
	v_sub_u32_e32 v3, v1, v59
	v_cmp_ge_u32_e32 vcc, v1, v59
	v_cndmask_b32_e32 v1, v1, v3, vcc
	v_xor_b32_e32 v1, v1, v2
	v_sub_u32_e32 v1, v1, v2
	v_cmp_ne_u32_e32 vcc, 0, v1
	v_accvgpr_read_b32 v1, a16
	v_cmp_le_i32_e64 s[10:11], v0, v1
	s_and_b64 s[10:11], vcc, s[10:11]
	s_and_b64 s[30:31], s[6:7], s[10:11]
	s_and_saveexec_b64 vcc, s[30:31]
	s_cbranch_execz .LBB217_16
; %bb.15:                               ;   in Loop: Header=BB217_14 Depth=1
	s_waitcnt lgkmcnt(0)
	v_add_u32_e32 v0, s21, v30
	v_mov_b32_e32 v1, 0xff7fffff
	ds_write_b32 v0, v1
.LBB217_16:                             ;   in Loop: Header=BB217_14 Depth=1
	s_or_b64 exec, exec, vcc
	s_xor_b64 vcc, s[10:11], -1
	s_and_saveexec_b64 s[10:11], vcc
	s_cbranch_execz .LBB217_13
; %bb.17:                               ;   in Loop: Header=BB217_14 Depth=1
	flat_load_dword v0, v[26:27]
	v_accvgpr_read_b32 v4, a40
	v_accvgpr_read_b32 v2, a8
	v_accvgpr_read_b32 v5, a41
	v_mov_b32_e32 v31, 0
	v_mov_b32_e32 v29, 0
	s_waitcnt vmcnt(0) lgkmcnt(0)
	v_mad_i64_i32 v[0:1], vcc, v0, v2, v[4:5]
	v_accvgpr_read_b32 v2, a4
	v_add_co_u32_e32 v12, vcc, v0, v2
	v_addc_co_u32_e32 v13, vcc, 0, v1, vcc
	v_accvgpr_read_b32 v2, a44
	flat_load_ubyte v1, v[12:13]
	v_accvgpr_read_b32 v3, a45
	flat_load_dword v14, v[2:3]
	ds_read_b128 v[22:25], v10
	ds_read_b128 v[6:9], v10 offset:16
	ds_read_b128 a[30:33], v10 offset:32
	;; [unrolled: 1-line block ×9, first 2 shown]
	ds_read_b64 a[46:47], v10 offset:192
	ds_read_b128 a[52:55], v10 offset:160
	ds_read_b128 a[48:51], v10 offset:176
	s_waitcnt vmcnt(0) lgkmcnt(0)
	v_cmp_ne_u16_e32 vcc, 0, v1
	s_and_saveexec_b64 s[30:31], vcc
	s_cbranch_execz .LBB217_23
; %bb.18:                               ;   in Loop: Header=BB217_14 Depth=1
	v_cmp_ne_u16_e32 vcc, s39, v1
	v_bfrev_b32_e32 v29, 1
	s_and_saveexec_b64 s[34:35], vcc
	s_cbranch_execz .LBB217_22
; %bb.19:                               ;   in Loop: Header=BB217_14 Depth=1
	v_and_b32_e32 v0, 0xffff, v1
	v_and_b32_e32 v2, 0x7f, v0
	v_cmp_ne_u32_e32 vcc, s40, v2
	v_mov_b32_e32 v29, 0x7f800001
	s_and_saveexec_b64 s[36:37], vcc
	s_cbranch_execz .LBB217_21
; %bb.20:                               ;   in Loop: Header=BB217_14 Depth=1
	v_and_b32_e32 v3, 7, v0
	v_ffbh_u32_e32 v4, v3
	v_min_u32_e32 v17, 32, v4
	v_subrev_u32_e32 v4, 28, v17
	v_lshlrev_b64 v[4:5], v4, v[0:1]
	v_lshrrev_b32_e32 v16, 3, v2
	v_sub_u32_e32 v0, 29, v17
	v_and_b32_e32 v4, 7, v4
	v_cmp_gt_u32_e32 vcc, 8, v2
	v_cndmask_b32_e32 v0, v16, v0, vcc
	v_cndmask_b32_e32 v2, v3, v4, vcc
	v_lshlrev_b32_e32 v1, 24, v1
	v_lshlrev_b32_e32 v2, 20, v2
	v_and_b32_e32 v1, 0x80000000, v1
	v_lshl_add_u32 v0, v0, 23, v57
	v_or3_b32 v29, v1, v0, v2
.LBB217_21:                             ;   in Loop: Header=BB217_14 Depth=1
	s_or_b64 exec, exec, s[36:37]
.LBB217_22:                             ;   in Loop: Header=BB217_14 Depth=1
	s_or_b64 exec, exec, s[34:35]
.LBB217_23:                             ;   in Loop: Header=BB217_14 Depth=1
	s_or_b64 exec, exec, s[30:31]
	flat_load_ubyte v1, v[12:13] offset:4
	s_waitcnt vmcnt(0) lgkmcnt(0)
	v_cmp_ne_u16_e32 vcc, 0, v1
	s_and_saveexec_b64 s[30:31], vcc
	s_cbranch_execz .LBB217_29
; %bb.24:                               ;   in Loop: Header=BB217_14 Depth=1
	v_cmp_ne_u16_e32 vcc, s39, v1
	v_bfrev_b32_e32 v31, 1
	s_and_saveexec_b64 s[34:35], vcc
	s_cbranch_execz .LBB217_28
; %bb.25:                               ;   in Loop: Header=BB217_14 Depth=1
	v_and_b32_e32 v0, 0xffff, v1
	v_and_b32_e32 v2, 0x7f, v0
	v_cmp_ne_u32_e32 vcc, s40, v2
	v_mov_b32_e32 v31, 0x7f800001
	s_and_saveexec_b64 s[36:37], vcc
	s_cbranch_execz .LBB217_27
; %bb.26:                               ;   in Loop: Header=BB217_14 Depth=1
	v_and_b32_e32 v3, 7, v0
	v_ffbh_u32_e32 v4, v3
	v_min_u32_e32 v17, 32, v4
	v_subrev_u32_e32 v4, 28, v17
	v_lshlrev_b64 v[4:5], v4, v[0:1]
	v_lshrrev_b32_e32 v16, 3, v2
	v_sub_u32_e32 v0, 29, v17
	v_and_b32_e32 v4, 7, v4
	v_cmp_gt_u32_e32 vcc, 8, v2
	v_cndmask_b32_e32 v0, v16, v0, vcc
	v_cndmask_b32_e32 v2, v3, v4, vcc
	v_lshlrev_b32_e32 v1, 24, v1
	v_lshlrev_b32_e32 v2, 20, v2
	v_and_b32_e32 v1, 0x80000000, v1
	v_lshl_add_u32 v0, v0, 23, v57
	v_or3_b32 v31, v1, v0, v2
.LBB217_27:                             ;   in Loop: Header=BB217_14 Depth=1
	s_or_b64 exec, exec, s[36:37]
.LBB217_28:                             ;   in Loop: Header=BB217_14 Depth=1
	s_or_b64 exec, exec, s[34:35]
.LBB217_29:                             ;   in Loop: Header=BB217_14 Depth=1
	s_or_b64 exec, exec, s[30:31]
	flat_load_ubyte v1, v[12:13] offset:8
	v_mov_b32_e32 v28, 0
	v_mov_b32_e32 v21, 0
	s_waitcnt vmcnt(0) lgkmcnt(0)
	v_cmp_ne_u16_e32 vcc, 0, v1
	s_and_saveexec_b64 s[30:31], vcc
	s_cbranch_execz .LBB217_35
; %bb.30:                               ;   in Loop: Header=BB217_14 Depth=1
	v_cmp_ne_u16_e32 vcc, s39, v1
	v_bfrev_b32_e32 v21, 1
	s_and_saveexec_b64 s[34:35], vcc
	s_cbranch_execz .LBB217_34
; %bb.31:                               ;   in Loop: Header=BB217_14 Depth=1
	v_and_b32_e32 v0, 0xffff, v1
	v_and_b32_e32 v2, 0x7f, v0
	v_cmp_ne_u32_e32 vcc, s40, v2
	v_mov_b32_e32 v21, 0x7f800001
	s_and_saveexec_b64 s[36:37], vcc
	s_cbranch_execz .LBB217_33
; %bb.32:                               ;   in Loop: Header=BB217_14 Depth=1
	v_and_b32_e32 v3, 7, v0
	v_ffbh_u32_e32 v4, v3
	v_min_u32_e32 v17, 32, v4
	v_subrev_u32_e32 v4, 28, v17
	v_lshlrev_b64 v[4:5], v4, v[0:1]
	v_lshrrev_b32_e32 v16, 3, v2
	v_sub_u32_e32 v0, 29, v17
	v_and_b32_e32 v4, 7, v4
	v_cmp_gt_u32_e32 vcc, 8, v2
	v_cndmask_b32_e32 v0, v16, v0, vcc
	v_cndmask_b32_e32 v2, v3, v4, vcc
	v_lshlrev_b32_e32 v1, 24, v1
	v_lshlrev_b32_e32 v2, 20, v2
	v_and_b32_e32 v1, 0x80000000, v1
	v_lshl_add_u32 v0, v0, 23, v57
	v_or3_b32 v21, v1, v0, v2
.LBB217_33:                             ;   in Loop: Header=BB217_14 Depth=1
	s_or_b64 exec, exec, s[36:37]
.LBB217_34:                             ;   in Loop: Header=BB217_14 Depth=1
	s_or_b64 exec, exec, s[34:35]
.LBB217_35:                             ;   in Loop: Header=BB217_14 Depth=1
	s_or_b64 exec, exec, s[30:31]
	flat_load_ubyte v1, v[12:13] offset:12
	s_waitcnt vmcnt(0) lgkmcnt(0)
	v_cmp_ne_u16_e32 vcc, 0, v1
	s_and_saveexec_b64 s[30:31], vcc
	s_cbranch_execz .LBB217_41
; %bb.36:                               ;   in Loop: Header=BB217_14 Depth=1
	v_cmp_ne_u16_e32 vcc, s39, v1
	v_bfrev_b32_e32 v28, 1
	s_and_saveexec_b64 s[34:35], vcc
	s_cbranch_execz .LBB217_40
; %bb.37:                               ;   in Loop: Header=BB217_14 Depth=1
	v_and_b32_e32 v0, 0xffff, v1
	v_and_b32_e32 v2, 0x7f, v0
	v_cmp_ne_u32_e32 vcc, s40, v2
	v_mov_b32_e32 v28, 0x7f800001
	s_and_saveexec_b64 s[36:37], vcc
	s_cbranch_execz .LBB217_39
; %bb.38:                               ;   in Loop: Header=BB217_14 Depth=1
	v_and_b32_e32 v3, 7, v0
	v_ffbh_u32_e32 v4, v3
	v_min_u32_e32 v17, 32, v4
	v_subrev_u32_e32 v4, 28, v17
	v_lshlrev_b64 v[4:5], v4, v[0:1]
	v_lshrrev_b32_e32 v16, 3, v2
	v_sub_u32_e32 v0, 29, v17
	v_and_b32_e32 v4, 7, v4
	v_cmp_gt_u32_e32 vcc, 8, v2
	v_cndmask_b32_e32 v0, v16, v0, vcc
	v_cndmask_b32_e32 v2, v3, v4, vcc
	v_lshlrev_b32_e32 v1, 24, v1
	v_lshlrev_b32_e32 v2, 20, v2
	v_and_b32_e32 v1, 0x80000000, v1
	v_lshl_add_u32 v0, v0, 23, v57
	v_or3_b32 v28, v1, v0, v2
.LBB217_39:                             ;   in Loop: Header=BB217_14 Depth=1
	s_or_b64 exec, exec, s[36:37]
.LBB217_40:                             ;   in Loop: Header=BB217_14 Depth=1
	s_or_b64 exec, exec, s[34:35]
.LBB217_41:                             ;   in Loop: Header=BB217_14 Depth=1
	s_or_b64 exec, exec, s[30:31]
	flat_load_ubyte v1, v[12:13] offset:256
	v_mov_b32_e32 v20, 0
	v_mov_b32_e32 v0, 0
	buffer_store_dword v0, off, s[0:3], s32 offset:196 ; 4-byte Folded Spill
	s_waitcnt vmcnt(0) lgkmcnt(0)
	v_cmp_ne_u16_e32 vcc, 0, v1
	s_and_saveexec_b64 s[30:31], vcc
	s_cbranch_execz .LBB217_47
; %bb.42:                               ;   in Loop: Header=BB217_14 Depth=1
	v_cmp_ne_u16_e32 vcc, s39, v1
	v_bfrev_b32_e32 v0, 1
	buffer_store_dword v0, off, s[0:3], s32 offset:196 ; 4-byte Folded Spill
	s_and_saveexec_b64 s[34:35], vcc
	s_cbranch_execz .LBB217_46
; %bb.43:                               ;   in Loop: Header=BB217_14 Depth=1
	v_and_b32_e32 v0, 0xffff, v1
	v_and_b32_e32 v2, 0x7f, v0
	v_cmp_ne_u32_e32 vcc, s40, v2
	v_mov_b32_e32 v3, 0x7f800001
	buffer_store_dword v3, off, s[0:3], s32 offset:196 ; 4-byte Folded Spill
	s_and_saveexec_b64 s[36:37], vcc
	s_cbranch_execz .LBB217_45
; %bb.44:                               ;   in Loop: Header=BB217_14 Depth=1
	v_and_b32_e32 v3, 7, v0
	v_ffbh_u32_e32 v4, v3
	v_min_u32_e32 v17, 32, v4
	v_subrev_u32_e32 v4, 28, v17
	v_lshlrev_b64 v[4:5], v4, v[0:1]
	v_lshrrev_b32_e32 v16, 3, v2
	v_sub_u32_e32 v0, 29, v17
	v_and_b32_e32 v4, 7, v4
	v_cmp_gt_u32_e32 vcc, 8, v2
	v_cndmask_b32_e32 v0, v16, v0, vcc
	v_cndmask_b32_e32 v2, v3, v4, vcc
	v_lshlrev_b32_e32 v1, 24, v1
	v_lshlrev_b32_e32 v2, 20, v2
	v_and_b32_e32 v1, 0x80000000, v1
	v_lshl_add_u32 v0, v0, 23, v57
	v_or3_b32 v0, v1, v0, v2
	buffer_store_dword v0, off, s[0:3], s32 offset:196 ; 4-byte Folded Spill
.LBB217_45:                             ;   in Loop: Header=BB217_14 Depth=1
	s_or_b64 exec, exec, s[36:37]
.LBB217_46:                             ;   in Loop: Header=BB217_14 Depth=1
	s_or_b64 exec, exec, s[34:35]
.LBB217_47:                             ;   in Loop: Header=BB217_14 Depth=1
	s_or_b64 exec, exec, s[30:31]
	flat_load_ubyte v1, v[12:13] offset:260
	s_waitcnt vmcnt(0) lgkmcnt(0)
	v_cmp_ne_u16_e32 vcc, 0, v1
	s_and_saveexec_b64 s[30:31], vcc
	s_cbranch_execz .LBB217_53
; %bb.48:                               ;   in Loop: Header=BB217_14 Depth=1
	v_cmp_ne_u16_e32 vcc, s39, v1
	v_bfrev_b32_e32 v20, 1
	s_and_saveexec_b64 s[34:35], vcc
	s_cbranch_execz .LBB217_52
; %bb.49:                               ;   in Loop: Header=BB217_14 Depth=1
	v_and_b32_e32 v0, 0xffff, v1
	v_and_b32_e32 v2, 0x7f, v0
	v_cmp_ne_u32_e32 vcc, s40, v2
	v_mov_b32_e32 v20, 0x7f800001
	s_and_saveexec_b64 s[36:37], vcc
	s_cbranch_execz .LBB217_51
; %bb.50:                               ;   in Loop: Header=BB217_14 Depth=1
	v_and_b32_e32 v3, 7, v0
	v_ffbh_u32_e32 v4, v3
	v_min_u32_e32 v17, 32, v4
	v_subrev_u32_e32 v4, 28, v17
	v_lshlrev_b64 v[4:5], v4, v[0:1]
	v_lshrrev_b32_e32 v16, 3, v2
	v_sub_u32_e32 v0, 29, v17
	v_and_b32_e32 v4, 7, v4
	v_cmp_gt_u32_e32 vcc, 8, v2
	v_cndmask_b32_e32 v0, v16, v0, vcc
	v_cndmask_b32_e32 v2, v3, v4, vcc
	v_lshlrev_b32_e32 v1, 24, v1
	v_lshlrev_b32_e32 v2, 20, v2
	v_and_b32_e32 v1, 0x80000000, v1
	v_lshl_add_u32 v0, v0, 23, v57
	v_or3_b32 v20, v1, v0, v2
.LBB217_51:                             ;   in Loop: Header=BB217_14 Depth=1
	s_or_b64 exec, exec, s[36:37]
.LBB217_52:                             ;   in Loop: Header=BB217_14 Depth=1
	s_or_b64 exec, exec, s[34:35]
.LBB217_53:                             ;   in Loop: Header=BB217_14 Depth=1
	s_or_b64 exec, exec, s[30:31]
	v_add_co_u32_e32 v60, vcc, 0x100, v12
	v_addc_co_u32_e32 v61, vcc, 0, v13, vcc
	flat_load_ubyte v1, v[60:61] offset:8
	v_mov_b32_e32 v0, 0
	buffer_store_dword v0, off, s[0:3], s32 offset:200 ; 4-byte Folded Spill
	v_mov_b32_e32 v0, 0
	buffer_store_dword v0, off, s[0:3], s32 offset:204 ; 4-byte Folded Spill
	s_waitcnt vmcnt(0) lgkmcnt(0)
	v_cmp_ne_u16_e32 vcc, 0, v1
	s_and_saveexec_b64 s[30:31], vcc
	s_cbranch_execz .LBB217_59
; %bb.54:                               ;   in Loop: Header=BB217_14 Depth=1
	v_cmp_ne_u16_e32 vcc, s39, v1
	v_bfrev_b32_e32 v0, 1
	buffer_store_dword v0, off, s[0:3], s32 offset:204 ; 4-byte Folded Spill
	s_and_saveexec_b64 s[34:35], vcc
	s_cbranch_execz .LBB217_58
; %bb.55:                               ;   in Loop: Header=BB217_14 Depth=1
	v_and_b32_e32 v0, 0xffff, v1
	v_and_b32_e32 v2, 0x7f, v0
	v_cmp_ne_u32_e32 vcc, s40, v2
	v_mov_b32_e32 v3, 0x7f800001
	buffer_store_dword v3, off, s[0:3], s32 offset:204 ; 4-byte Folded Spill
	s_and_saveexec_b64 s[36:37], vcc
	s_cbranch_execz .LBB217_57
; %bb.56:                               ;   in Loop: Header=BB217_14 Depth=1
	v_and_b32_e32 v3, 7, v0
	v_ffbh_u32_e32 v4, v3
	v_min_u32_e32 v17, 32, v4
	v_subrev_u32_e32 v4, 28, v17
	v_lshlrev_b64 v[4:5], v4, v[0:1]
	v_lshrrev_b32_e32 v16, 3, v2
	v_sub_u32_e32 v0, 29, v17
	v_and_b32_e32 v4, 7, v4
	v_cmp_gt_u32_e32 vcc, 8, v2
	v_cndmask_b32_e32 v0, v16, v0, vcc
	v_cndmask_b32_e32 v2, v3, v4, vcc
	v_lshlrev_b32_e32 v1, 24, v1
	v_lshlrev_b32_e32 v2, 20, v2
	v_and_b32_e32 v1, 0x80000000, v1
	v_lshl_add_u32 v0, v0, 23, v57
	v_or3_b32 v0, v1, v0, v2
	buffer_store_dword v0, off, s[0:3], s32 offset:204 ; 4-byte Folded Spill
.LBB217_57:                             ;   in Loop: Header=BB217_14 Depth=1
	s_or_b64 exec, exec, s[36:37]
.LBB217_58:                             ;   in Loop: Header=BB217_14 Depth=1
	s_or_b64 exec, exec, s[34:35]
.LBB217_59:                             ;   in Loop: Header=BB217_14 Depth=1
	s_or_b64 exec, exec, s[30:31]
	flat_load_ubyte v1, v[60:61] offset:12
	s_waitcnt vmcnt(0) lgkmcnt(0)
	v_cmp_ne_u16_e32 vcc, 0, v1
	s_and_saveexec_b64 s[30:31], vcc
	s_cbranch_execz .LBB217_65
; %bb.60:                               ;   in Loop: Header=BB217_14 Depth=1
	v_cmp_ne_u16_e32 vcc, s39, v1
	v_bfrev_b32_e32 v0, 1
	buffer_store_dword v0, off, s[0:3], s32 offset:200 ; 4-byte Folded Spill
	s_and_saveexec_b64 s[34:35], vcc
	s_cbranch_execz .LBB217_64
; %bb.61:                               ;   in Loop: Header=BB217_14 Depth=1
	v_and_b32_e32 v0, 0xffff, v1
	v_and_b32_e32 v2, 0x7f, v0
	v_cmp_ne_u32_e32 vcc, s40, v2
	v_mov_b32_e32 v3, 0x7f800001
	buffer_store_dword v3, off, s[0:3], s32 offset:200 ; 4-byte Folded Spill
	s_and_saveexec_b64 s[36:37], vcc
	s_cbranch_execz .LBB217_63
; %bb.62:                               ;   in Loop: Header=BB217_14 Depth=1
	v_and_b32_e32 v3, 7, v0
	v_ffbh_u32_e32 v4, v3
	v_min_u32_e32 v17, 32, v4
	v_subrev_u32_e32 v4, 28, v17
	v_lshlrev_b64 v[4:5], v4, v[0:1]
	v_lshrrev_b32_e32 v16, 3, v2
	v_sub_u32_e32 v0, 29, v17
	v_and_b32_e32 v4, 7, v4
	v_cmp_gt_u32_e32 vcc, 8, v2
	v_cndmask_b32_e32 v0, v16, v0, vcc
	v_cndmask_b32_e32 v2, v3, v4, vcc
	v_lshlrev_b32_e32 v1, 24, v1
	v_lshlrev_b32_e32 v2, 20, v2
	v_and_b32_e32 v1, 0x80000000, v1
	v_lshl_add_u32 v0, v0, 23, v57
	v_or3_b32 v0, v1, v0, v2
	buffer_store_dword v0, off, s[0:3], s32 offset:200 ; 4-byte Folded Spill
.LBB217_63:                             ;   in Loop: Header=BB217_14 Depth=1
	s_or_b64 exec, exec, s[36:37]
.LBB217_64:                             ;   in Loop: Header=BB217_14 Depth=1
	s_or_b64 exec, exec, s[34:35]
.LBB217_65:                             ;   in Loop: Header=BB217_14 Depth=1
	s_or_b64 exec, exec, s[30:31]
	flat_load_ubyte v1, v[12:13] offset:512
	v_mov_b32_e32 v0, 0
	buffer_store_dword v0, off, s[0:3], s32 offset:208 ; 4-byte Folded Spill
	v_mov_b32_e32 v0, 0
	buffer_store_dword v0, off, s[0:3], s32 offset:212 ; 4-byte Folded Spill
	s_waitcnt vmcnt(0) lgkmcnt(0)
	v_cmp_ne_u16_e32 vcc, 0, v1
	s_and_saveexec_b64 s[30:31], vcc
	s_cbranch_execz .LBB217_71
; %bb.66:                               ;   in Loop: Header=BB217_14 Depth=1
	v_cmp_ne_u16_e32 vcc, s39, v1
	v_bfrev_b32_e32 v0, 1
	buffer_store_dword v0, off, s[0:3], s32 offset:212 ; 4-byte Folded Spill
	s_and_saveexec_b64 s[34:35], vcc
	s_cbranch_execz .LBB217_70
; %bb.67:                               ;   in Loop: Header=BB217_14 Depth=1
	v_and_b32_e32 v0, 0xffff, v1
	v_and_b32_e32 v2, 0x7f, v0
	v_cmp_ne_u32_e32 vcc, s40, v2
	v_mov_b32_e32 v3, 0x7f800001
	buffer_store_dword v3, off, s[0:3], s32 offset:212 ; 4-byte Folded Spill
	s_and_saveexec_b64 s[36:37], vcc
	s_cbranch_execz .LBB217_69
; %bb.68:                               ;   in Loop: Header=BB217_14 Depth=1
	v_and_b32_e32 v3, 7, v0
	v_ffbh_u32_e32 v4, v3
	v_min_u32_e32 v17, 32, v4
	v_subrev_u32_e32 v4, 28, v17
	v_lshlrev_b64 v[4:5], v4, v[0:1]
	v_lshrrev_b32_e32 v16, 3, v2
	v_sub_u32_e32 v0, 29, v17
	v_and_b32_e32 v4, 7, v4
	v_cmp_gt_u32_e32 vcc, 8, v2
	v_cndmask_b32_e32 v0, v16, v0, vcc
	v_cndmask_b32_e32 v2, v3, v4, vcc
	v_lshlrev_b32_e32 v1, 24, v1
	v_lshlrev_b32_e32 v2, 20, v2
	v_and_b32_e32 v1, 0x80000000, v1
	v_lshl_add_u32 v0, v0, 23, v57
	v_or3_b32 v0, v1, v0, v2
	buffer_store_dword v0, off, s[0:3], s32 offset:212 ; 4-byte Folded Spill
.LBB217_69:                             ;   in Loop: Header=BB217_14 Depth=1
	s_or_b64 exec, exec, s[36:37]
.LBB217_70:                             ;   in Loop: Header=BB217_14 Depth=1
	s_or_b64 exec, exec, s[34:35]
.LBB217_71:                             ;   in Loop: Header=BB217_14 Depth=1
	s_or_b64 exec, exec, s[30:31]
	flat_load_ubyte v1, v[12:13] offset:516
	s_waitcnt vmcnt(0) lgkmcnt(0)
	v_cmp_ne_u16_e32 vcc, 0, v1
	s_and_saveexec_b64 s[30:31], vcc
	s_cbranch_execz .LBB217_77
; %bb.72:                               ;   in Loop: Header=BB217_14 Depth=1
	v_cmp_ne_u16_e32 vcc, s39, v1
	v_bfrev_b32_e32 v0, 1
	buffer_store_dword v0, off, s[0:3], s32 offset:208 ; 4-byte Folded Spill
	s_and_saveexec_b64 s[34:35], vcc
	s_cbranch_execz .LBB217_76
; %bb.73:                               ;   in Loop: Header=BB217_14 Depth=1
	v_and_b32_e32 v0, 0xffff, v1
	v_and_b32_e32 v2, 0x7f, v0
	v_cmp_ne_u32_e32 vcc, s40, v2
	v_mov_b32_e32 v3, 0x7f800001
	buffer_store_dword v3, off, s[0:3], s32 offset:208 ; 4-byte Folded Spill
	s_and_saveexec_b64 s[36:37], vcc
	s_cbranch_execz .LBB217_75
; %bb.74:                               ;   in Loop: Header=BB217_14 Depth=1
	v_and_b32_e32 v3, 7, v0
	v_ffbh_u32_e32 v4, v3
	v_min_u32_e32 v17, 32, v4
	v_subrev_u32_e32 v4, 28, v17
	v_lshlrev_b64 v[4:5], v4, v[0:1]
	v_lshrrev_b32_e32 v16, 3, v2
	v_sub_u32_e32 v0, 29, v17
	v_and_b32_e32 v4, 7, v4
	v_cmp_gt_u32_e32 vcc, 8, v2
	v_cndmask_b32_e32 v0, v16, v0, vcc
	v_cndmask_b32_e32 v2, v3, v4, vcc
	v_lshlrev_b32_e32 v1, 24, v1
	v_lshlrev_b32_e32 v2, 20, v2
	v_and_b32_e32 v1, 0x80000000, v1
	v_lshl_add_u32 v0, v0, 23, v57
	v_or3_b32 v0, v1, v0, v2
	buffer_store_dword v0, off, s[0:3], s32 offset:208 ; 4-byte Folded Spill
.LBB217_75:                             ;   in Loop: Header=BB217_14 Depth=1
	s_or_b64 exec, exec, s[36:37]
.LBB217_76:                             ;   in Loop: Header=BB217_14 Depth=1
	s_or_b64 exec, exec, s[34:35]
.LBB217_77:                             ;   in Loop: Header=BB217_14 Depth=1
	s_or_b64 exec, exec, s[30:31]
	v_add_co_u32_e32 v60, vcc, 0x200, v12
	v_addc_co_u32_e32 v61, vcc, 0, v13, vcc
	flat_load_ubyte v1, v[60:61] offset:8
	v_mov_b32_e32 v0, 0
	buffer_store_dword v0, off, s[0:3], s32 offset:216 ; 4-byte Folded Spill
	v_mov_b32_e32 v0, 0
	buffer_store_dword v0, off, s[0:3], s32 offset:220 ; 4-byte Folded Spill
	s_waitcnt vmcnt(0) lgkmcnt(0)
	v_cmp_ne_u16_e32 vcc, 0, v1
	s_and_saveexec_b64 s[30:31], vcc
	s_cbranch_execz .LBB217_83
; %bb.78:                               ;   in Loop: Header=BB217_14 Depth=1
	v_cmp_ne_u16_e32 vcc, s39, v1
	v_bfrev_b32_e32 v0, 1
	buffer_store_dword v0, off, s[0:3], s32 offset:220 ; 4-byte Folded Spill
	s_and_saveexec_b64 s[34:35], vcc
	s_cbranch_execz .LBB217_82
; %bb.79:                               ;   in Loop: Header=BB217_14 Depth=1
	v_and_b32_e32 v0, 0xffff, v1
	v_and_b32_e32 v2, 0x7f, v0
	v_cmp_ne_u32_e32 vcc, s40, v2
	v_mov_b32_e32 v3, 0x7f800001
	buffer_store_dword v3, off, s[0:3], s32 offset:220 ; 4-byte Folded Spill
	s_and_saveexec_b64 s[36:37], vcc
	s_cbranch_execz .LBB217_81
; %bb.80:                               ;   in Loop: Header=BB217_14 Depth=1
	v_and_b32_e32 v4, 7, v0
	v_lshrrev_b32_e32 v5, 3, v2
	v_cmp_gt_u32_e32 vcc, 8, v2
	v_ffbh_u32_e32 v2, v4
	v_min_u32_e32 v16, 32, v2
	v_subrev_u32_e32 v2, 28, v16
	v_lshlrev_b64 v[2:3], v2, v[0:1]
	v_sub_u32_e32 v0, 29, v16
	v_and_b32_e32 v2, 7, v2
	v_cndmask_b32_e32 v0, v5, v0, vcc
	v_cndmask_b32_e32 v2, v4, v2, vcc
	v_lshlrev_b32_e32 v1, 24, v1
	v_lshlrev_b32_e32 v2, 20, v2
	v_and_b32_e32 v1, 0x80000000, v1
	v_lshl_add_u32 v0, v0, 23, v57
	v_or3_b32 v0, v1, v0, v2
	buffer_store_dword v0, off, s[0:3], s32 offset:220 ; 4-byte Folded Spill
.LBB217_81:                             ;   in Loop: Header=BB217_14 Depth=1
	s_or_b64 exec, exec, s[36:37]
.LBB217_82:                             ;   in Loop: Header=BB217_14 Depth=1
	s_or_b64 exec, exec, s[34:35]
.LBB217_83:                             ;   in Loop: Header=BB217_14 Depth=1
	s_or_b64 exec, exec, s[30:31]
	flat_load_ubyte v1, v[60:61] offset:12
	s_waitcnt vmcnt(0) lgkmcnt(0)
	v_cmp_ne_u16_e32 vcc, 0, v1
	s_and_saveexec_b64 s[30:31], vcc
	s_cbranch_execz .LBB217_89
; %bb.84:                               ;   in Loop: Header=BB217_14 Depth=1
	v_cmp_ne_u16_e32 vcc, s39, v1
	v_bfrev_b32_e32 v0, 1
	buffer_store_dword v0, off, s[0:3], s32 offset:216 ; 4-byte Folded Spill
	s_and_saveexec_b64 s[34:35], vcc
	s_cbranch_execz .LBB217_88
; %bb.85:                               ;   in Loop: Header=BB217_14 Depth=1
	v_and_b32_e32 v0, 0xffff, v1
	v_and_b32_e32 v2, 0x7f, v0
	v_cmp_ne_u32_e32 vcc, s40, v2
	v_mov_b32_e32 v3, 0x7f800001
	buffer_store_dword v3, off, s[0:3], s32 offset:216 ; 4-byte Folded Spill
	s_and_saveexec_b64 s[36:37], vcc
	s_cbranch_execz .LBB217_87
; %bb.86:                               ;   in Loop: Header=BB217_14 Depth=1
	v_and_b32_e32 v4, 7, v0
	v_lshrrev_b32_e32 v5, 3, v2
	v_cmp_gt_u32_e32 vcc, 8, v2
	v_ffbh_u32_e32 v2, v4
	v_min_u32_e32 v16, 32, v2
	v_subrev_u32_e32 v2, 28, v16
	v_lshlrev_b64 v[2:3], v2, v[0:1]
	v_sub_u32_e32 v0, 29, v16
	v_and_b32_e32 v2, 7, v2
	v_cndmask_b32_e32 v0, v5, v0, vcc
	v_cndmask_b32_e32 v2, v4, v2, vcc
	v_lshlrev_b32_e32 v1, 24, v1
	v_lshlrev_b32_e32 v2, 20, v2
	v_and_b32_e32 v1, 0x80000000, v1
	v_lshl_add_u32 v0, v0, 23, v57
	v_or3_b32 v0, v1, v0, v2
	buffer_store_dword v0, off, s[0:3], s32 offset:216 ; 4-byte Folded Spill
.LBB217_87:                             ;   in Loop: Header=BB217_14 Depth=1
	s_or_b64 exec, exec, s[36:37]
.LBB217_88:                             ;   in Loop: Header=BB217_14 Depth=1
	s_or_b64 exec, exec, s[34:35]
.LBB217_89:                             ;   in Loop: Header=BB217_14 Depth=1
	s_or_b64 exec, exec, s[30:31]
	flat_load_ubyte v1, v[12:13] offset:768
	v_mov_b32_e32 v0, 0
	buffer_store_dword v0, off, s[0:3], s32 offset:224 ; 4-byte Folded Spill
	v_mov_b32_e32 v0, 0
	buffer_store_dword v0, off, s[0:3], s32 offset:228 ; 4-byte Folded Spill
	s_waitcnt vmcnt(0) lgkmcnt(0)
	v_cmp_ne_u16_e32 vcc, 0, v1
	s_and_saveexec_b64 s[30:31], vcc
	s_cbranch_execz .LBB217_95
; %bb.90:                               ;   in Loop: Header=BB217_14 Depth=1
	v_cmp_ne_u16_e32 vcc, s39, v1
	v_bfrev_b32_e32 v0, 1
	buffer_store_dword v0, off, s[0:3], s32 offset:228 ; 4-byte Folded Spill
	s_and_saveexec_b64 s[34:35], vcc
	s_cbranch_execz .LBB217_94
; %bb.91:                               ;   in Loop: Header=BB217_14 Depth=1
	v_and_b32_e32 v0, 0xffff, v1
	v_and_b32_e32 v2, 0x7f, v0
	v_cmp_ne_u32_e32 vcc, s40, v2
	v_mov_b32_e32 v3, 0x7f800001
	buffer_store_dword v3, off, s[0:3], s32 offset:228 ; 4-byte Folded Spill
	s_and_saveexec_b64 s[36:37], vcc
	s_cbranch_execz .LBB217_93
; %bb.92:                               ;   in Loop: Header=BB217_14 Depth=1
	v_and_b32_e32 v4, 7, v0
	v_lshrrev_b32_e32 v5, 3, v2
	v_cmp_gt_u32_e32 vcc, 8, v2
	v_ffbh_u32_e32 v2, v4
	v_min_u32_e32 v16, 32, v2
	v_subrev_u32_e32 v2, 28, v16
	v_lshlrev_b64 v[2:3], v2, v[0:1]
	v_sub_u32_e32 v0, 29, v16
	v_and_b32_e32 v2, 7, v2
	v_cndmask_b32_e32 v0, v5, v0, vcc
	v_cndmask_b32_e32 v2, v4, v2, vcc
	v_lshlrev_b32_e32 v1, 24, v1
	v_lshlrev_b32_e32 v2, 20, v2
	v_and_b32_e32 v1, 0x80000000, v1
	v_lshl_add_u32 v0, v0, 23, v57
	v_or3_b32 v0, v1, v0, v2
	buffer_store_dword v0, off, s[0:3], s32 offset:228 ; 4-byte Folded Spill
.LBB217_93:                             ;   in Loop: Header=BB217_14 Depth=1
	s_or_b64 exec, exec, s[36:37]
.LBB217_94:                             ;   in Loop: Header=BB217_14 Depth=1
	s_or_b64 exec, exec, s[34:35]
.LBB217_95:                             ;   in Loop: Header=BB217_14 Depth=1
	s_or_b64 exec, exec, s[30:31]
	flat_load_ubyte v1, v[12:13] offset:772
	s_waitcnt vmcnt(0) lgkmcnt(0)
	v_cmp_ne_u16_e32 vcc, 0, v1
	s_and_saveexec_b64 s[30:31], vcc
	s_cbranch_execz .LBB217_101
; %bb.96:                               ;   in Loop: Header=BB217_14 Depth=1
	v_cmp_ne_u16_e32 vcc, s39, v1
	v_bfrev_b32_e32 v0, 1
	buffer_store_dword v0, off, s[0:3], s32 offset:224 ; 4-byte Folded Spill
	s_and_saveexec_b64 s[34:35], vcc
	s_cbranch_execz .LBB217_100
; %bb.97:                               ;   in Loop: Header=BB217_14 Depth=1
	v_and_b32_e32 v0, 0xffff, v1
	v_and_b32_e32 v2, 0x7f, v0
	v_cmp_ne_u32_e32 vcc, s40, v2
	v_mov_b32_e32 v3, 0x7f800001
	buffer_store_dword v3, off, s[0:3], s32 offset:224 ; 4-byte Folded Spill
	s_and_saveexec_b64 s[36:37], vcc
	s_cbranch_execz .LBB217_99
; %bb.98:                               ;   in Loop: Header=BB217_14 Depth=1
	v_and_b32_e32 v4, 7, v0
	v_lshrrev_b32_e32 v5, 3, v2
	v_cmp_gt_u32_e32 vcc, 8, v2
	v_ffbh_u32_e32 v2, v4
	v_min_u32_e32 v16, 32, v2
	v_subrev_u32_e32 v2, 28, v16
	v_lshlrev_b64 v[2:3], v2, v[0:1]
	v_sub_u32_e32 v0, 29, v16
	v_and_b32_e32 v2, 7, v2
	v_cndmask_b32_e32 v0, v5, v0, vcc
	v_cndmask_b32_e32 v2, v4, v2, vcc
	v_lshlrev_b32_e32 v1, 24, v1
	v_lshlrev_b32_e32 v2, 20, v2
	v_and_b32_e32 v1, 0x80000000, v1
	v_lshl_add_u32 v0, v0, 23, v57
	v_or3_b32 v0, v1, v0, v2
	buffer_store_dword v0, off, s[0:3], s32 offset:224 ; 4-byte Folded Spill
.LBB217_99:                             ;   in Loop: Header=BB217_14 Depth=1
	s_or_b64 exec, exec, s[36:37]
.LBB217_100:                            ;   in Loop: Header=BB217_14 Depth=1
	s_or_b64 exec, exec, s[34:35]
.LBB217_101:                            ;   in Loop: Header=BB217_14 Depth=1
	s_or_b64 exec, exec, s[30:31]
	v_add_co_u32_e32 v60, vcc, 0x300, v12
	v_addc_co_u32_e32 v61, vcc, 0, v13, vcc
	flat_load_ubyte v1, v[60:61] offset:8
	v_mov_b32_e32 v0, 0
	buffer_store_dword v0, off, s[0:3], s32 offset:232 ; 4-byte Folded Spill
	v_mov_b32_e32 v0, 0
	buffer_store_dword v0, off, s[0:3], s32 offset:236 ; 4-byte Folded Spill
	s_waitcnt vmcnt(0) lgkmcnt(0)
	v_cmp_ne_u16_e32 vcc, 0, v1
	s_and_saveexec_b64 s[30:31], vcc
	s_cbranch_execz .LBB217_107
; %bb.102:                              ;   in Loop: Header=BB217_14 Depth=1
	v_cmp_ne_u16_e32 vcc, s39, v1
	v_bfrev_b32_e32 v0, 1
	buffer_store_dword v0, off, s[0:3], s32 offset:236 ; 4-byte Folded Spill
	s_and_saveexec_b64 s[34:35], vcc
	s_cbranch_execz .LBB217_106
; %bb.103:                              ;   in Loop: Header=BB217_14 Depth=1
	v_and_b32_e32 v0, 0xffff, v1
	v_and_b32_e32 v2, 0x7f, v0
	v_cmp_ne_u32_e32 vcc, s40, v2
	v_mov_b32_e32 v3, 0x7f800001
	buffer_store_dword v3, off, s[0:3], s32 offset:236 ; 4-byte Folded Spill
	s_and_saveexec_b64 s[36:37], vcc
	s_cbranch_execz .LBB217_105
; %bb.104:                              ;   in Loop: Header=BB217_14 Depth=1
	v_and_b32_e32 v4, 7, v0
	v_lshrrev_b32_e32 v5, 3, v2
	v_cmp_gt_u32_e32 vcc, 8, v2
	v_ffbh_u32_e32 v2, v4
	v_min_u32_e32 v16, 32, v2
	v_subrev_u32_e32 v2, 28, v16
	v_lshlrev_b64 v[2:3], v2, v[0:1]
	v_sub_u32_e32 v0, 29, v16
	v_and_b32_e32 v2, 7, v2
	v_cndmask_b32_e32 v0, v5, v0, vcc
	v_cndmask_b32_e32 v2, v4, v2, vcc
	v_lshlrev_b32_e32 v1, 24, v1
	v_lshlrev_b32_e32 v2, 20, v2
	v_and_b32_e32 v1, 0x80000000, v1
	v_lshl_add_u32 v0, v0, 23, v57
	v_or3_b32 v0, v1, v0, v2
	buffer_store_dword v0, off, s[0:3], s32 offset:236 ; 4-byte Folded Spill
.LBB217_105:                            ;   in Loop: Header=BB217_14 Depth=1
	s_or_b64 exec, exec, s[36:37]
.LBB217_106:                            ;   in Loop: Header=BB217_14 Depth=1
	s_or_b64 exec, exec, s[34:35]
.LBB217_107:                            ;   in Loop: Header=BB217_14 Depth=1
	s_or_b64 exec, exec, s[30:31]
	flat_load_ubyte v1, v[60:61] offset:12
	s_waitcnt vmcnt(0) lgkmcnt(0)
	v_cmp_ne_u16_e32 vcc, 0, v1
	s_and_saveexec_b64 s[30:31], vcc
	s_cbranch_execz .LBB217_113
; %bb.108:                              ;   in Loop: Header=BB217_14 Depth=1
	v_cmp_ne_u16_e32 vcc, s39, v1
	v_bfrev_b32_e32 v0, 1
	buffer_store_dword v0, off, s[0:3], s32 offset:232 ; 4-byte Folded Spill
	s_and_saveexec_b64 s[34:35], vcc
	s_cbranch_execz .LBB217_112
; %bb.109:                              ;   in Loop: Header=BB217_14 Depth=1
	v_and_b32_e32 v0, 0xffff, v1
	v_and_b32_e32 v2, 0x7f, v0
	v_cmp_ne_u32_e32 vcc, s40, v2
	v_mov_b32_e32 v3, 0x7f800001
	buffer_store_dword v3, off, s[0:3], s32 offset:232 ; 4-byte Folded Spill
	s_and_saveexec_b64 s[36:37], vcc
	s_cbranch_execz .LBB217_111
; %bb.110:                              ;   in Loop: Header=BB217_14 Depth=1
	v_and_b32_e32 v4, 7, v0
	v_lshrrev_b32_e32 v5, 3, v2
	v_cmp_gt_u32_e32 vcc, 8, v2
	v_ffbh_u32_e32 v2, v4
	v_min_u32_e32 v16, 32, v2
	v_subrev_u32_e32 v2, 28, v16
	v_lshlrev_b64 v[2:3], v2, v[0:1]
	v_sub_u32_e32 v0, 29, v16
	v_and_b32_e32 v2, 7, v2
	v_cndmask_b32_e32 v0, v5, v0, vcc
	v_cndmask_b32_e32 v2, v4, v2, vcc
	v_lshlrev_b32_e32 v1, 24, v1
	v_lshlrev_b32_e32 v2, 20, v2
	v_and_b32_e32 v1, 0x80000000, v1
	v_lshl_add_u32 v0, v0, 23, v57
	v_or3_b32 v0, v1, v0, v2
	buffer_store_dword v0, off, s[0:3], s32 offset:232 ; 4-byte Folded Spill
.LBB217_111:                            ;   in Loop: Header=BB217_14 Depth=1
	s_or_b64 exec, exec, s[36:37]
.LBB217_112:                            ;   in Loop: Header=BB217_14 Depth=1
	s_or_b64 exec, exec, s[34:35]
.LBB217_113:                            ;   in Loop: Header=BB217_14 Depth=1
	s_or_b64 exec, exec, s[30:31]
	flat_load_ubyte v1, v[12:13] offset:1024
	v_mov_b32_e32 v0, 0
	buffer_store_dword v0, off, s[0:3], s32 offset:240 ; 4-byte Folded Spill
	v_mov_b32_e32 v0, 0
	buffer_store_dword v0, off, s[0:3], s32 offset:244 ; 4-byte Folded Spill
	s_waitcnt vmcnt(0) lgkmcnt(0)
	v_cmp_ne_u16_e32 vcc, 0, v1
	s_and_saveexec_b64 s[30:31], vcc
	s_cbranch_execz .LBB217_119
; %bb.114:                              ;   in Loop: Header=BB217_14 Depth=1
	v_cmp_ne_u16_e32 vcc, s39, v1
	v_bfrev_b32_e32 v0, 1
	buffer_store_dword v0, off, s[0:3], s32 offset:244 ; 4-byte Folded Spill
	s_and_saveexec_b64 s[34:35], vcc
	s_cbranch_execz .LBB217_118
; %bb.115:                              ;   in Loop: Header=BB217_14 Depth=1
	v_and_b32_e32 v0, 0xffff, v1
	v_and_b32_e32 v2, 0x7f, v0
	v_cmp_ne_u32_e32 vcc, s40, v2
	v_mov_b32_e32 v3, 0x7f800001
	buffer_store_dword v3, off, s[0:3], s32 offset:244 ; 4-byte Folded Spill
	s_and_saveexec_b64 s[36:37], vcc
	s_cbranch_execz .LBB217_117
; %bb.116:                              ;   in Loop: Header=BB217_14 Depth=1
	v_and_b32_e32 v4, 7, v0
	v_lshrrev_b32_e32 v5, 3, v2
	v_cmp_gt_u32_e32 vcc, 8, v2
	v_ffbh_u32_e32 v2, v4
	v_min_u32_e32 v16, 32, v2
	v_subrev_u32_e32 v2, 28, v16
	v_lshlrev_b64 v[2:3], v2, v[0:1]
	v_sub_u32_e32 v0, 29, v16
	v_and_b32_e32 v2, 7, v2
	v_cndmask_b32_e32 v0, v5, v0, vcc
	v_cndmask_b32_e32 v2, v4, v2, vcc
	v_lshlrev_b32_e32 v1, 24, v1
	v_lshlrev_b32_e32 v2, 20, v2
	v_and_b32_e32 v1, 0x80000000, v1
	v_lshl_add_u32 v0, v0, 23, v57
	v_or3_b32 v0, v1, v0, v2
	buffer_store_dword v0, off, s[0:3], s32 offset:244 ; 4-byte Folded Spill
.LBB217_117:                            ;   in Loop: Header=BB217_14 Depth=1
	s_or_b64 exec, exec, s[36:37]
.LBB217_118:                            ;   in Loop: Header=BB217_14 Depth=1
	s_or_b64 exec, exec, s[34:35]
.LBB217_119:                            ;   in Loop: Header=BB217_14 Depth=1
	s_or_b64 exec, exec, s[30:31]
	flat_load_ubyte v1, v[12:13] offset:1028
	s_waitcnt vmcnt(0) lgkmcnt(0)
	v_cmp_ne_u16_e32 vcc, 0, v1
	s_and_saveexec_b64 s[30:31], vcc
	s_cbranch_execz .LBB217_125
; %bb.120:                              ;   in Loop: Header=BB217_14 Depth=1
	v_cmp_ne_u16_e32 vcc, s39, v1
	v_bfrev_b32_e32 v0, 1
	buffer_store_dword v0, off, s[0:3], s32 offset:240 ; 4-byte Folded Spill
	s_and_saveexec_b64 s[34:35], vcc
	s_cbranch_execz .LBB217_124
; %bb.121:                              ;   in Loop: Header=BB217_14 Depth=1
	v_and_b32_e32 v0, 0xffff, v1
	v_and_b32_e32 v2, 0x7f, v0
	v_cmp_ne_u32_e32 vcc, s40, v2
	v_mov_b32_e32 v3, 0x7f800001
	buffer_store_dword v3, off, s[0:3], s32 offset:240 ; 4-byte Folded Spill
	s_and_saveexec_b64 s[36:37], vcc
	s_cbranch_execz .LBB217_123
; %bb.122:                              ;   in Loop: Header=BB217_14 Depth=1
	v_and_b32_e32 v4, 7, v0
	v_lshrrev_b32_e32 v5, 3, v2
	v_cmp_gt_u32_e32 vcc, 8, v2
	v_ffbh_u32_e32 v2, v4
	v_min_u32_e32 v16, 32, v2
	v_subrev_u32_e32 v2, 28, v16
	v_lshlrev_b64 v[2:3], v2, v[0:1]
	v_sub_u32_e32 v0, 29, v16
	v_and_b32_e32 v2, 7, v2
	v_cndmask_b32_e32 v0, v5, v0, vcc
	v_cndmask_b32_e32 v2, v4, v2, vcc
	v_lshlrev_b32_e32 v1, 24, v1
	v_lshlrev_b32_e32 v2, 20, v2
	v_and_b32_e32 v1, 0x80000000, v1
	v_lshl_add_u32 v0, v0, 23, v57
	v_or3_b32 v0, v1, v0, v2
	buffer_store_dword v0, off, s[0:3], s32 offset:240 ; 4-byte Folded Spill
.LBB217_123:                            ;   in Loop: Header=BB217_14 Depth=1
	s_or_b64 exec, exec, s[36:37]
.LBB217_124:                            ;   in Loop: Header=BB217_14 Depth=1
	s_or_b64 exec, exec, s[34:35]
.LBB217_125:                            ;   in Loop: Header=BB217_14 Depth=1
	s_or_b64 exec, exec, s[30:31]
	v_add_co_u32_e32 v60, vcc, 0x400, v12
	v_addc_co_u32_e32 v61, vcc, 0, v13, vcc
	flat_load_ubyte v1, v[60:61] offset:8
	v_mov_b32_e32 v0, 0
	buffer_store_dword v0, off, s[0:3], s32 offset:248 ; 4-byte Folded Spill
	v_mov_b32_e32 v0, 0
	buffer_store_dword v0, off, s[0:3], s32 offset:252 ; 4-byte Folded Spill
	s_waitcnt vmcnt(0) lgkmcnt(0)
	v_cmp_ne_u16_e32 vcc, 0, v1
	s_and_saveexec_b64 s[30:31], vcc
	s_cbranch_execz .LBB217_131
; %bb.126:                              ;   in Loop: Header=BB217_14 Depth=1
	v_cmp_ne_u16_e32 vcc, s39, v1
	v_bfrev_b32_e32 v0, 1
	buffer_store_dword v0, off, s[0:3], s32 offset:252 ; 4-byte Folded Spill
	s_and_saveexec_b64 s[34:35], vcc
	s_cbranch_execz .LBB217_130
; %bb.127:                              ;   in Loop: Header=BB217_14 Depth=1
	v_and_b32_e32 v0, 0xffff, v1
	v_and_b32_e32 v2, 0x7f, v0
	v_cmp_ne_u32_e32 vcc, s40, v2
	v_mov_b32_e32 v3, 0x7f800001
	buffer_store_dword v3, off, s[0:3], s32 offset:252 ; 4-byte Folded Spill
	s_and_saveexec_b64 s[36:37], vcc
	s_cbranch_execz .LBB217_129
; %bb.128:                              ;   in Loop: Header=BB217_14 Depth=1
	v_and_b32_e32 v4, 7, v0
	v_lshrrev_b32_e32 v5, 3, v2
	v_cmp_gt_u32_e32 vcc, 8, v2
	v_ffbh_u32_e32 v2, v4
	v_min_u32_e32 v16, 32, v2
	v_subrev_u32_e32 v2, 28, v16
	v_lshlrev_b64 v[2:3], v2, v[0:1]
	v_sub_u32_e32 v0, 29, v16
	v_and_b32_e32 v2, 7, v2
	v_cndmask_b32_e32 v0, v5, v0, vcc
	v_cndmask_b32_e32 v2, v4, v2, vcc
	v_lshlrev_b32_e32 v1, 24, v1
	v_lshlrev_b32_e32 v2, 20, v2
	v_and_b32_e32 v1, 0x80000000, v1
	v_lshl_add_u32 v0, v0, 23, v57
	v_or3_b32 v0, v1, v0, v2
	buffer_store_dword v0, off, s[0:3], s32 offset:252 ; 4-byte Folded Spill
.LBB217_129:                            ;   in Loop: Header=BB217_14 Depth=1
	s_or_b64 exec, exec, s[36:37]
.LBB217_130:                            ;   in Loop: Header=BB217_14 Depth=1
	s_or_b64 exec, exec, s[34:35]
.LBB217_131:                            ;   in Loop: Header=BB217_14 Depth=1
	s_or_b64 exec, exec, s[30:31]
	flat_load_ubyte v1, v[60:61] offset:12
	s_waitcnt vmcnt(0) lgkmcnt(0)
	v_cmp_ne_u16_e32 vcc, 0, v1
	s_and_saveexec_b64 s[30:31], vcc
	s_cbranch_execz .LBB217_137
; %bb.132:                              ;   in Loop: Header=BB217_14 Depth=1
	v_cmp_ne_u16_e32 vcc, s39, v1
	v_bfrev_b32_e32 v0, 1
	buffer_store_dword v0, off, s[0:3], s32 offset:248 ; 4-byte Folded Spill
	s_and_saveexec_b64 s[34:35], vcc
	s_cbranch_execz .LBB217_136
; %bb.133:                              ;   in Loop: Header=BB217_14 Depth=1
	v_and_b32_e32 v0, 0xffff, v1
	v_and_b32_e32 v2, 0x7f, v0
	v_cmp_ne_u32_e32 vcc, s40, v2
	v_mov_b32_e32 v3, 0x7f800001
	buffer_store_dword v3, off, s[0:3], s32 offset:248 ; 4-byte Folded Spill
	s_and_saveexec_b64 s[36:37], vcc
	s_cbranch_execz .LBB217_135
; %bb.134:                              ;   in Loop: Header=BB217_14 Depth=1
	v_and_b32_e32 v4, 7, v0
	v_lshrrev_b32_e32 v5, 3, v2
	v_cmp_gt_u32_e32 vcc, 8, v2
	v_ffbh_u32_e32 v2, v4
	v_min_u32_e32 v16, 32, v2
	v_subrev_u32_e32 v2, 28, v16
	v_lshlrev_b64 v[2:3], v2, v[0:1]
	v_sub_u32_e32 v0, 29, v16
	v_and_b32_e32 v2, 7, v2
	v_cndmask_b32_e32 v0, v5, v0, vcc
	v_cndmask_b32_e32 v2, v4, v2, vcc
	v_lshlrev_b32_e32 v1, 24, v1
	v_lshlrev_b32_e32 v2, 20, v2
	v_and_b32_e32 v1, 0x80000000, v1
	v_lshl_add_u32 v0, v0, 23, v57
	v_or3_b32 v0, v1, v0, v2
	buffer_store_dword v0, off, s[0:3], s32 offset:248 ; 4-byte Folded Spill
.LBB217_135:                            ;   in Loop: Header=BB217_14 Depth=1
	s_or_b64 exec, exec, s[36:37]
.LBB217_136:                            ;   in Loop: Header=BB217_14 Depth=1
	s_or_b64 exec, exec, s[34:35]
.LBB217_137:                            ;   in Loop: Header=BB217_14 Depth=1
	s_or_b64 exec, exec, s[30:31]
	flat_load_ubyte v1, v[12:13] offset:1280
	v_mov_b32_e32 v0, 0
	buffer_store_dword v0, off, s[0:3], s32 offset:256 ; 4-byte Folded Spill
	v_mov_b32_e32 v0, 0
	buffer_store_dword v0, off, s[0:3], s32 offset:260 ; 4-byte Folded Spill
	s_waitcnt vmcnt(0) lgkmcnt(0)
	v_cmp_ne_u16_e32 vcc, 0, v1
	s_and_saveexec_b64 s[30:31], vcc
	s_cbranch_execz .LBB217_143
; %bb.138:                              ;   in Loop: Header=BB217_14 Depth=1
	v_cmp_ne_u16_e32 vcc, s39, v1
	v_bfrev_b32_e32 v0, 1
	buffer_store_dword v0, off, s[0:3], s32 offset:260 ; 4-byte Folded Spill
	s_and_saveexec_b64 s[34:35], vcc
	s_cbranch_execz .LBB217_142
; %bb.139:                              ;   in Loop: Header=BB217_14 Depth=1
	v_and_b32_e32 v0, 0xffff, v1
	v_and_b32_e32 v2, 0x7f, v0
	v_cmp_ne_u32_e32 vcc, s40, v2
	v_mov_b32_e32 v3, 0x7f800001
	buffer_store_dword v3, off, s[0:3], s32 offset:260 ; 4-byte Folded Spill
	s_and_saveexec_b64 s[36:37], vcc
	s_cbranch_execz .LBB217_141
; %bb.140:                              ;   in Loop: Header=BB217_14 Depth=1
	v_and_b32_e32 v4, 7, v0
	v_lshrrev_b32_e32 v5, 3, v2
	v_cmp_gt_u32_e32 vcc, 8, v2
	v_ffbh_u32_e32 v2, v4
	v_min_u32_e32 v16, 32, v2
	v_subrev_u32_e32 v2, 28, v16
	v_lshlrev_b64 v[2:3], v2, v[0:1]
	v_sub_u32_e32 v0, 29, v16
	v_and_b32_e32 v2, 7, v2
	v_cndmask_b32_e32 v0, v5, v0, vcc
	v_cndmask_b32_e32 v2, v4, v2, vcc
	v_lshlrev_b32_e32 v1, 24, v1
	v_lshlrev_b32_e32 v2, 20, v2
	v_and_b32_e32 v1, 0x80000000, v1
	v_lshl_add_u32 v0, v0, 23, v57
	v_or3_b32 v0, v1, v0, v2
	buffer_store_dword v0, off, s[0:3], s32 offset:260 ; 4-byte Folded Spill
.LBB217_141:                            ;   in Loop: Header=BB217_14 Depth=1
	s_or_b64 exec, exec, s[36:37]
.LBB217_142:                            ;   in Loop: Header=BB217_14 Depth=1
	s_or_b64 exec, exec, s[34:35]
.LBB217_143:                            ;   in Loop: Header=BB217_14 Depth=1
	s_or_b64 exec, exec, s[30:31]
	flat_load_ubyte v1, v[12:13] offset:1284
	s_waitcnt vmcnt(0) lgkmcnt(0)
	v_cmp_ne_u16_e32 vcc, 0, v1
	s_and_saveexec_b64 s[30:31], vcc
	s_cbranch_execz .LBB217_149
; %bb.144:                              ;   in Loop: Header=BB217_14 Depth=1
	v_cmp_ne_u16_e32 vcc, s39, v1
	v_bfrev_b32_e32 v0, 1
	buffer_store_dword v0, off, s[0:3], s32 offset:256 ; 4-byte Folded Spill
	s_and_saveexec_b64 s[34:35], vcc
	s_cbranch_execz .LBB217_148
; %bb.145:                              ;   in Loop: Header=BB217_14 Depth=1
	v_and_b32_e32 v0, 0xffff, v1
	v_and_b32_e32 v2, 0x7f, v0
	v_cmp_ne_u32_e32 vcc, s40, v2
	v_mov_b32_e32 v3, 0x7f800001
	buffer_store_dword v3, off, s[0:3], s32 offset:256 ; 4-byte Folded Spill
	s_and_saveexec_b64 s[36:37], vcc
	s_cbranch_execz .LBB217_147
; %bb.146:                              ;   in Loop: Header=BB217_14 Depth=1
	v_and_b32_e32 v4, 7, v0
	v_lshrrev_b32_e32 v5, 3, v2
	v_cmp_gt_u32_e32 vcc, 8, v2
	v_ffbh_u32_e32 v2, v4
	v_min_u32_e32 v16, 32, v2
	v_subrev_u32_e32 v2, 28, v16
	v_lshlrev_b64 v[2:3], v2, v[0:1]
	v_sub_u32_e32 v0, 29, v16
	v_and_b32_e32 v2, 7, v2
	v_cndmask_b32_e32 v0, v5, v0, vcc
	v_cndmask_b32_e32 v2, v4, v2, vcc
	v_lshlrev_b32_e32 v1, 24, v1
	v_lshlrev_b32_e32 v2, 20, v2
	v_and_b32_e32 v1, 0x80000000, v1
	v_lshl_add_u32 v0, v0, 23, v57
	v_or3_b32 v0, v1, v0, v2
	buffer_store_dword v0, off, s[0:3], s32 offset:256 ; 4-byte Folded Spill
.LBB217_147:                            ;   in Loop: Header=BB217_14 Depth=1
	s_or_b64 exec, exec, s[36:37]
.LBB217_148:                            ;   in Loop: Header=BB217_14 Depth=1
	s_or_b64 exec, exec, s[34:35]
.LBB217_149:                            ;   in Loop: Header=BB217_14 Depth=1
	s_or_b64 exec, exec, s[30:31]
	v_add_co_u32_e32 v60, vcc, 0x500, v12
	v_addc_co_u32_e32 v61, vcc, 0, v13, vcc
	flat_load_ubyte v1, v[60:61] offset:8
	v_mov_b32_e32 v0, 0
	buffer_store_dword v0, off, s[0:3], s32 offset:264 ; 4-byte Folded Spill
	v_mov_b32_e32 v0, 0
	buffer_store_dword v0, off, s[0:3], s32 offset:268 ; 4-byte Folded Spill
	s_waitcnt vmcnt(0) lgkmcnt(0)
	v_cmp_ne_u16_e32 vcc, 0, v1
	s_and_saveexec_b64 s[30:31], vcc
	s_cbranch_execz .LBB217_155
; %bb.150:                              ;   in Loop: Header=BB217_14 Depth=1
	v_cmp_ne_u16_e32 vcc, s39, v1
	v_bfrev_b32_e32 v0, 1
	buffer_store_dword v0, off, s[0:3], s32 offset:268 ; 4-byte Folded Spill
	s_and_saveexec_b64 s[34:35], vcc
	s_cbranch_execz .LBB217_154
; %bb.151:                              ;   in Loop: Header=BB217_14 Depth=1
	v_and_b32_e32 v0, 0xffff, v1
	v_and_b32_e32 v2, 0x7f, v0
	v_cmp_ne_u32_e32 vcc, s40, v2
	v_mov_b32_e32 v3, 0x7f800001
	buffer_store_dword v3, off, s[0:3], s32 offset:268 ; 4-byte Folded Spill
	s_and_saveexec_b64 s[36:37], vcc
	s_cbranch_execz .LBB217_153
; %bb.152:                              ;   in Loop: Header=BB217_14 Depth=1
	v_and_b32_e32 v4, 7, v0
	v_lshrrev_b32_e32 v5, 3, v2
	v_cmp_gt_u32_e32 vcc, 8, v2
	v_ffbh_u32_e32 v2, v4
	v_min_u32_e32 v16, 32, v2
	v_subrev_u32_e32 v2, 28, v16
	v_lshlrev_b64 v[2:3], v2, v[0:1]
	v_sub_u32_e32 v0, 29, v16
	v_and_b32_e32 v2, 7, v2
	v_cndmask_b32_e32 v0, v5, v0, vcc
	v_cndmask_b32_e32 v2, v4, v2, vcc
	v_lshlrev_b32_e32 v1, 24, v1
	v_lshlrev_b32_e32 v2, 20, v2
	v_and_b32_e32 v1, 0x80000000, v1
	v_lshl_add_u32 v0, v0, 23, v57
	v_or3_b32 v0, v1, v0, v2
	buffer_store_dword v0, off, s[0:3], s32 offset:268 ; 4-byte Folded Spill
.LBB217_153:                            ;   in Loop: Header=BB217_14 Depth=1
	s_or_b64 exec, exec, s[36:37]
.LBB217_154:                            ;   in Loop: Header=BB217_14 Depth=1
	s_or_b64 exec, exec, s[34:35]
.LBB217_155:                            ;   in Loop: Header=BB217_14 Depth=1
	s_or_b64 exec, exec, s[30:31]
	flat_load_ubyte v1, v[60:61] offset:12
	s_waitcnt vmcnt(0) lgkmcnt(0)
	v_cmp_ne_u16_e32 vcc, 0, v1
	s_and_saveexec_b64 s[30:31], vcc
	s_cbranch_execz .LBB217_161
; %bb.156:                              ;   in Loop: Header=BB217_14 Depth=1
	v_cmp_ne_u16_e32 vcc, s39, v1
	v_bfrev_b32_e32 v0, 1
	buffer_store_dword v0, off, s[0:3], s32 offset:264 ; 4-byte Folded Spill
	s_and_saveexec_b64 s[34:35], vcc
	s_cbranch_execz .LBB217_160
; %bb.157:                              ;   in Loop: Header=BB217_14 Depth=1
	v_and_b32_e32 v0, 0xffff, v1
	v_and_b32_e32 v2, 0x7f, v0
	v_cmp_ne_u32_e32 vcc, s40, v2
	v_mov_b32_e32 v3, 0x7f800001
	buffer_store_dword v3, off, s[0:3], s32 offset:264 ; 4-byte Folded Spill
	s_and_saveexec_b64 s[36:37], vcc
	s_cbranch_execz .LBB217_159
; %bb.158:                              ;   in Loop: Header=BB217_14 Depth=1
	v_and_b32_e32 v4, 7, v0
	v_lshrrev_b32_e32 v5, 3, v2
	v_cmp_gt_u32_e32 vcc, 8, v2
	v_ffbh_u32_e32 v2, v4
	v_min_u32_e32 v16, 32, v2
	v_subrev_u32_e32 v2, 28, v16
	v_lshlrev_b64 v[2:3], v2, v[0:1]
	v_sub_u32_e32 v0, 29, v16
	v_and_b32_e32 v2, 7, v2
	v_cndmask_b32_e32 v0, v5, v0, vcc
	v_cndmask_b32_e32 v2, v4, v2, vcc
	v_lshlrev_b32_e32 v1, 24, v1
	v_lshlrev_b32_e32 v2, 20, v2
	v_and_b32_e32 v1, 0x80000000, v1
	v_lshl_add_u32 v0, v0, 23, v57
	v_or3_b32 v0, v1, v0, v2
	buffer_store_dword v0, off, s[0:3], s32 offset:264 ; 4-byte Folded Spill
.LBB217_159:                            ;   in Loop: Header=BB217_14 Depth=1
	s_or_b64 exec, exec, s[36:37]
.LBB217_160:                            ;   in Loop: Header=BB217_14 Depth=1
	s_or_b64 exec, exec, s[34:35]
.LBB217_161:                            ;   in Loop: Header=BB217_14 Depth=1
	s_or_b64 exec, exec, s[30:31]
	flat_load_ubyte v1, v[12:13] offset:1536
	v_mov_b32_e32 v0, 0
	buffer_store_dword v0, off, s[0:3], s32 offset:272 ; 4-byte Folded Spill
	v_mov_b32_e32 v0, 0
	buffer_store_dword v0, off, s[0:3], s32 offset:276 ; 4-byte Folded Spill
	s_waitcnt vmcnt(0) lgkmcnt(0)
	v_cmp_ne_u16_e32 vcc, 0, v1
	s_and_saveexec_b64 s[30:31], vcc
	s_cbranch_execz .LBB217_167
; %bb.162:                              ;   in Loop: Header=BB217_14 Depth=1
	v_cmp_ne_u16_e32 vcc, s39, v1
	v_bfrev_b32_e32 v0, 1
	buffer_store_dword v0, off, s[0:3], s32 offset:276 ; 4-byte Folded Spill
	s_and_saveexec_b64 s[34:35], vcc
	s_cbranch_execz .LBB217_166
; %bb.163:                              ;   in Loop: Header=BB217_14 Depth=1
	v_and_b32_e32 v0, 0xffff, v1
	v_and_b32_e32 v2, 0x7f, v0
	v_cmp_ne_u32_e32 vcc, s40, v2
	v_mov_b32_e32 v3, 0x7f800001
	buffer_store_dword v3, off, s[0:3], s32 offset:276 ; 4-byte Folded Spill
	s_and_saveexec_b64 s[36:37], vcc
	s_cbranch_execz .LBB217_165
; %bb.164:                              ;   in Loop: Header=BB217_14 Depth=1
	v_and_b32_e32 v4, 7, v0
	v_lshrrev_b32_e32 v5, 3, v2
	v_cmp_gt_u32_e32 vcc, 8, v2
	v_ffbh_u32_e32 v2, v4
	v_min_u32_e32 v16, 32, v2
	v_subrev_u32_e32 v2, 28, v16
	v_lshlrev_b64 v[2:3], v2, v[0:1]
	v_sub_u32_e32 v0, 29, v16
	v_and_b32_e32 v2, 7, v2
	v_cndmask_b32_e32 v0, v5, v0, vcc
	v_cndmask_b32_e32 v2, v4, v2, vcc
	v_lshlrev_b32_e32 v1, 24, v1
	v_lshlrev_b32_e32 v2, 20, v2
	v_and_b32_e32 v1, 0x80000000, v1
	v_lshl_add_u32 v0, v0, 23, v57
	v_or3_b32 v0, v1, v0, v2
	buffer_store_dword v0, off, s[0:3], s32 offset:276 ; 4-byte Folded Spill
.LBB217_165:                            ;   in Loop: Header=BB217_14 Depth=1
	s_or_b64 exec, exec, s[36:37]
.LBB217_166:                            ;   in Loop: Header=BB217_14 Depth=1
	s_or_b64 exec, exec, s[34:35]
.LBB217_167:                            ;   in Loop: Header=BB217_14 Depth=1
	s_or_b64 exec, exec, s[30:31]
	flat_load_ubyte v1, v[12:13] offset:1540
	s_waitcnt vmcnt(0) lgkmcnt(0)
	v_cmp_ne_u16_e32 vcc, 0, v1
	s_and_saveexec_b64 s[30:31], vcc
	s_cbranch_execz .LBB217_173
; %bb.168:                              ;   in Loop: Header=BB217_14 Depth=1
	v_cmp_ne_u16_e32 vcc, s39, v1
	v_bfrev_b32_e32 v0, 1
	buffer_store_dword v0, off, s[0:3], s32 offset:272 ; 4-byte Folded Spill
	s_and_saveexec_b64 s[34:35], vcc
	s_cbranch_execz .LBB217_172
; %bb.169:                              ;   in Loop: Header=BB217_14 Depth=1
	v_and_b32_e32 v0, 0xffff, v1
	v_and_b32_e32 v2, 0x7f, v0
	v_cmp_ne_u32_e32 vcc, s40, v2
	v_mov_b32_e32 v3, 0x7f800001
	buffer_store_dword v3, off, s[0:3], s32 offset:272 ; 4-byte Folded Spill
	s_and_saveexec_b64 s[36:37], vcc
	s_cbranch_execz .LBB217_171
; %bb.170:                              ;   in Loop: Header=BB217_14 Depth=1
	v_and_b32_e32 v4, 7, v0
	v_lshrrev_b32_e32 v5, 3, v2
	v_cmp_gt_u32_e32 vcc, 8, v2
	v_ffbh_u32_e32 v2, v4
	v_min_u32_e32 v16, 32, v2
	v_subrev_u32_e32 v2, 28, v16
	v_lshlrev_b64 v[2:3], v2, v[0:1]
	v_sub_u32_e32 v0, 29, v16
	v_and_b32_e32 v2, 7, v2
	v_cndmask_b32_e32 v0, v5, v0, vcc
	v_cndmask_b32_e32 v2, v4, v2, vcc
	v_lshlrev_b32_e32 v1, 24, v1
	v_lshlrev_b32_e32 v2, 20, v2
	v_and_b32_e32 v1, 0x80000000, v1
	v_lshl_add_u32 v0, v0, 23, v57
	v_or3_b32 v0, v1, v0, v2
	buffer_store_dword v0, off, s[0:3], s32 offset:272 ; 4-byte Folded Spill
.LBB217_171:                            ;   in Loop: Header=BB217_14 Depth=1
	s_or_b64 exec, exec, s[36:37]
.LBB217_172:                            ;   in Loop: Header=BB217_14 Depth=1
	s_or_b64 exec, exec, s[34:35]
.LBB217_173:                            ;   in Loop: Header=BB217_14 Depth=1
	s_or_b64 exec, exec, s[30:31]
	v_add_co_u32_e32 v60, vcc, 0x600, v12
	v_addc_co_u32_e32 v61, vcc, 0, v13, vcc
	flat_load_ubyte v1, v[60:61] offset:8
	v_mov_b32_e32 v0, 0
	buffer_store_dword v0, off, s[0:3], s32 offset:280 ; 4-byte Folded Spill
	v_mov_b32_e32 v0, 0
	buffer_store_dword v0, off, s[0:3], s32 offset:284 ; 4-byte Folded Spill
	s_waitcnt vmcnt(0) lgkmcnt(0)
	v_cmp_ne_u16_e32 vcc, 0, v1
	s_and_saveexec_b64 s[30:31], vcc
	s_cbranch_execz .LBB217_179
; %bb.174:                              ;   in Loop: Header=BB217_14 Depth=1
	v_cmp_ne_u16_e32 vcc, s39, v1
	v_bfrev_b32_e32 v0, 1
	buffer_store_dword v0, off, s[0:3], s32 offset:284 ; 4-byte Folded Spill
	s_and_saveexec_b64 s[34:35], vcc
	s_cbranch_execz .LBB217_178
; %bb.175:                              ;   in Loop: Header=BB217_14 Depth=1
	v_and_b32_e32 v0, 0xffff, v1
	v_and_b32_e32 v2, 0x7f, v0
	v_cmp_ne_u32_e32 vcc, s40, v2
	v_mov_b32_e32 v3, 0x7f800001
	buffer_store_dword v3, off, s[0:3], s32 offset:284 ; 4-byte Folded Spill
	s_and_saveexec_b64 s[36:37], vcc
	s_cbranch_execz .LBB217_177
; %bb.176:                              ;   in Loop: Header=BB217_14 Depth=1
	v_and_b32_e32 v4, 7, v0
	v_lshrrev_b32_e32 v5, 3, v2
	v_cmp_gt_u32_e32 vcc, 8, v2
	v_ffbh_u32_e32 v2, v4
	v_min_u32_e32 v16, 32, v2
	v_subrev_u32_e32 v2, 28, v16
	v_lshlrev_b64 v[2:3], v2, v[0:1]
	v_sub_u32_e32 v0, 29, v16
	v_and_b32_e32 v2, 7, v2
	v_cndmask_b32_e32 v0, v5, v0, vcc
	v_cndmask_b32_e32 v2, v4, v2, vcc
	v_lshlrev_b32_e32 v1, 24, v1
	v_lshlrev_b32_e32 v2, 20, v2
	v_and_b32_e32 v1, 0x80000000, v1
	v_lshl_add_u32 v0, v0, 23, v57
	v_or3_b32 v0, v1, v0, v2
	buffer_store_dword v0, off, s[0:3], s32 offset:284 ; 4-byte Folded Spill
.LBB217_177:                            ;   in Loop: Header=BB217_14 Depth=1
	s_or_b64 exec, exec, s[36:37]
.LBB217_178:                            ;   in Loop: Header=BB217_14 Depth=1
	s_or_b64 exec, exec, s[34:35]
.LBB217_179:                            ;   in Loop: Header=BB217_14 Depth=1
	s_or_b64 exec, exec, s[30:31]
	flat_load_ubyte v1, v[60:61] offset:12
	s_waitcnt vmcnt(0) lgkmcnt(0)
	v_cmp_ne_u16_e32 vcc, 0, v1
	s_and_saveexec_b64 s[30:31], vcc
	s_cbranch_execz .LBB217_185
; %bb.180:                              ;   in Loop: Header=BB217_14 Depth=1
	v_cmp_ne_u16_e32 vcc, s39, v1
	v_bfrev_b32_e32 v0, 1
	buffer_store_dword v0, off, s[0:3], s32 offset:280 ; 4-byte Folded Spill
	s_and_saveexec_b64 s[34:35], vcc
	s_cbranch_execz .LBB217_184
; %bb.181:                              ;   in Loop: Header=BB217_14 Depth=1
	v_and_b32_e32 v0, 0xffff, v1
	v_and_b32_e32 v2, 0x7f, v0
	v_cmp_ne_u32_e32 vcc, s40, v2
	v_mov_b32_e32 v3, 0x7f800001
	buffer_store_dword v3, off, s[0:3], s32 offset:280 ; 4-byte Folded Spill
	s_and_saveexec_b64 s[36:37], vcc
	s_cbranch_execz .LBB217_183
; %bb.182:                              ;   in Loop: Header=BB217_14 Depth=1
	v_and_b32_e32 v4, 7, v0
	v_lshrrev_b32_e32 v5, 3, v2
	v_cmp_gt_u32_e32 vcc, 8, v2
	v_ffbh_u32_e32 v2, v4
	v_min_u32_e32 v16, 32, v2
	v_subrev_u32_e32 v2, 28, v16
	v_lshlrev_b64 v[2:3], v2, v[0:1]
	v_sub_u32_e32 v0, 29, v16
	v_and_b32_e32 v2, 7, v2
	v_cndmask_b32_e32 v0, v5, v0, vcc
	v_cndmask_b32_e32 v2, v4, v2, vcc
	v_lshlrev_b32_e32 v1, 24, v1
	v_lshlrev_b32_e32 v2, 20, v2
	v_and_b32_e32 v1, 0x80000000, v1
	v_lshl_add_u32 v0, v0, 23, v57
	v_or3_b32 v0, v1, v0, v2
	buffer_store_dword v0, off, s[0:3], s32 offset:280 ; 4-byte Folded Spill
.LBB217_183:                            ;   in Loop: Header=BB217_14 Depth=1
	s_or_b64 exec, exec, s[36:37]
.LBB217_184:                            ;   in Loop: Header=BB217_14 Depth=1
	s_or_b64 exec, exec, s[34:35]
.LBB217_185:                            ;   in Loop: Header=BB217_14 Depth=1
	s_or_b64 exec, exec, s[30:31]
	flat_load_ubyte v1, v[12:13] offset:1792
	v_mov_b32_e32 v0, 0
	v_mov_b32_e32 v3, 0
	buffer_store_dword v0, off, s[0:3], s32 offset:288 ; 4-byte Folded Spill
	s_waitcnt vmcnt(0) lgkmcnt(0)
	v_cmp_ne_u16_e32 vcc, 0, v1
	s_and_saveexec_b64 s[30:31], vcc
	s_cbranch_execz .LBB217_191
; %bb.186:                              ;   in Loop: Header=BB217_14 Depth=1
	v_cmp_ne_u16_e32 vcc, s39, v1
	v_bfrev_b32_e32 v3, 1
	s_and_saveexec_b64 s[34:35], vcc
	s_cbranch_execz .LBB217_190
; %bb.187:                              ;   in Loop: Header=BB217_14 Depth=1
	v_and_b32_e32 v0, 0xffff, v1
	v_and_b32_e32 v2, 0x7f, v0
	v_cmp_ne_u32_e32 vcc, s40, v2
	v_mov_b32_e32 v3, 0x7f800001
	s_and_saveexec_b64 s[36:37], vcc
	s_cbranch_execz .LBB217_189
; %bb.188:                              ;   in Loop: Header=BB217_14 Depth=1
	v_and_b32_e32 v4, 7, v0
	v_lshrrev_b32_e32 v5, 3, v2
	v_cmp_gt_u32_e32 vcc, 8, v2
	v_ffbh_u32_e32 v2, v4
	v_min_u32_e32 v16, 32, v2
	v_subrev_u32_e32 v2, 28, v16
	v_lshlrev_b64 v[2:3], v2, v[0:1]
	v_sub_u32_e32 v0, 29, v16
	v_and_b32_e32 v2, 7, v2
	v_cndmask_b32_e32 v0, v5, v0, vcc
	v_cndmask_b32_e32 v2, v4, v2, vcc
	v_lshlrev_b32_e32 v1, 24, v1
	v_lshlrev_b32_e32 v2, 20, v2
	v_and_b32_e32 v1, 0x80000000, v1
	v_lshl_add_u32 v0, v0, 23, v57
	v_or3_b32 v3, v1, v0, v2
.LBB217_189:                            ;   in Loop: Header=BB217_14 Depth=1
	s_or_b64 exec, exec, s[36:37]
.LBB217_190:                            ;   in Loop: Header=BB217_14 Depth=1
	s_or_b64 exec, exec, s[34:35]
.LBB217_191:                            ;   in Loop: Header=BB217_14 Depth=1
	s_or_b64 exec, exec, s[30:31]
	flat_load_ubyte v1, v[12:13] offset:1796
	s_waitcnt vmcnt(0) lgkmcnt(0)
	v_cmp_ne_u16_e32 vcc, 0, v1
	s_mov_b64 s[30:31], exec
	s_and_b64 vcc, s[30:31], vcc
	v_accvgpr_write_b32 a17, v3
	s_mov_b64 exec, vcc
	s_cbranch_execz .LBB217_197
; %bb.192:                              ;   in Loop: Header=BB217_14 Depth=1
	v_cmp_ne_u16_e32 vcc, s39, v1
	v_bfrev_b32_e32 v0, 1
	buffer_store_dword v0, off, s[0:3], s32 offset:288 ; 4-byte Folded Spill
	s_and_saveexec_b64 s[34:35], vcc
	s_cbranch_execz .LBB217_196
; %bb.193:                              ;   in Loop: Header=BB217_14 Depth=1
	v_and_b32_e32 v0, 0xffff, v1
	v_and_b32_e32 v2, 0x7f, v0
	v_cmp_ne_u32_e32 vcc, s40, v2
	v_mov_b32_e32 v3, 0x7f800001
	buffer_store_dword v3, off, s[0:3], s32 offset:288 ; 4-byte Folded Spill
	s_and_saveexec_b64 s[36:37], vcc
	s_cbranch_execz .LBB217_195
; %bb.194:                              ;   in Loop: Header=BB217_14 Depth=1
	v_and_b32_e32 v4, 7, v0
	v_lshrrev_b32_e32 v5, 3, v2
	v_cmp_gt_u32_e32 vcc, 8, v2
	v_ffbh_u32_e32 v2, v4
	v_min_u32_e32 v16, 32, v2
	v_subrev_u32_e32 v2, 28, v16
	v_lshlrev_b64 v[2:3], v2, v[0:1]
	v_sub_u32_e32 v0, 29, v16
	v_and_b32_e32 v2, 7, v2
	v_cndmask_b32_e32 v0, v5, v0, vcc
	v_cndmask_b32_e32 v2, v4, v2, vcc
	v_lshlrev_b32_e32 v1, 24, v1
	v_lshlrev_b32_e32 v2, 20, v2
	v_and_b32_e32 v1, 0x80000000, v1
	v_lshl_add_u32 v0, v0, 23, v57
	v_or3_b32 v0, v1, v0, v2
	buffer_store_dword v0, off, s[0:3], s32 offset:288 ; 4-byte Folded Spill
.LBB217_195:                            ;   in Loop: Header=BB217_14 Depth=1
	s_or_b64 exec, exec, s[36:37]
.LBB217_196:                            ;   in Loop: Header=BB217_14 Depth=1
	s_or_b64 exec, exec, s[34:35]
.LBB217_197:                            ;   in Loop: Header=BB217_14 Depth=1
	s_or_b64 exec, exec, s[30:31]
	v_add_co_u32_e32 v60, vcc, 0x700, v12
	v_addc_co_u32_e32 v61, vcc, 0, v13, vcc
	flat_load_ubyte v1, v[60:61] offset:8
	v_mov_b32_e32 v3, 0
	v_mov_b32_e32 v4, 0
	s_waitcnt vmcnt(0) lgkmcnt(0)
	v_cmp_ne_u16_e32 vcc, 0, v1
	s_and_saveexec_b64 s[30:31], vcc
	s_cbranch_execz .LBB217_203
; %bb.198:                              ;   in Loop: Header=BB217_14 Depth=1
	v_cmp_ne_u16_e32 vcc, s39, v1
	v_bfrev_b32_e32 v4, 1
	s_and_saveexec_b64 s[34:35], vcc
	s_cbranch_execz .LBB217_202
; %bb.199:                              ;   in Loop: Header=BB217_14 Depth=1
	v_and_b32_e32 v0, 0xffff, v1
	v_and_b32_e32 v2, 0x7f, v0
	v_cmp_ne_u32_e32 vcc, s40, v2
	v_mov_b32_e32 v4, 0x7f800001
	s_and_saveexec_b64 s[36:37], vcc
	s_cbranch_execz .LBB217_201
; %bb.200:                              ;   in Loop: Header=BB217_14 Depth=1
	v_and_b32_e32 v16, 7, v0
	v_lshrrev_b32_e32 v17, 3, v2
	v_cmp_gt_u32_e32 vcc, 8, v2
	v_ffbh_u32_e32 v2, v16
	v_min_u32_e32 v2, 32, v2
	v_subrev_u32_e32 v4, 28, v2
	v_lshlrev_b64 v[4:5], v4, v[0:1]
	v_sub_u32_e32 v0, 29, v2
	v_and_b32_e32 v2, 7, v4
	v_cndmask_b32_e32 v0, v17, v0, vcc
	v_cndmask_b32_e32 v2, v16, v2, vcc
	v_lshlrev_b32_e32 v1, 24, v1
	v_lshlrev_b32_e32 v2, 20, v2
	v_and_b32_e32 v1, 0x80000000, v1
	v_lshl_add_u32 v0, v0, 23, v57
	v_or3_b32 v4, v1, v0, v2
.LBB217_201:                            ;   in Loop: Header=BB217_14 Depth=1
	s_or_b64 exec, exec, s[36:37]
.LBB217_202:                            ;   in Loop: Header=BB217_14 Depth=1
	s_or_b64 exec, exec, s[34:35]
.LBB217_203:                            ;   in Loop: Header=BB217_14 Depth=1
	s_or_b64 exec, exec, s[30:31]
	flat_load_ubyte v1, v[60:61] offset:12
	s_waitcnt vmcnt(0) lgkmcnt(0)
	v_cmp_ne_u16_e32 vcc, 0, v1
	s_and_saveexec_b64 s[30:31], vcc
	s_cbranch_execz .LBB217_209
; %bb.204:                              ;   in Loop: Header=BB217_14 Depth=1
	v_cmp_ne_u16_e32 vcc, s39, v1
	v_bfrev_b32_e32 v3, 1
	s_and_saveexec_b64 s[34:35], vcc
	s_cbranch_execz .LBB217_208
; %bb.205:                              ;   in Loop: Header=BB217_14 Depth=1
	v_and_b32_e32 v0, 0xffff, v1
	v_and_b32_e32 v2, 0x7f, v0
	v_cmp_ne_u32_e32 vcc, s40, v2
	v_mov_b32_e32 v3, 0x7f800001
	s_and_saveexec_b64 s[36:37], vcc
	s_cbranch_execz .LBB217_207
; %bb.206:                              ;   in Loop: Header=BB217_14 Depth=1
	v_and_b32_e32 v5, 7, v0
	v_lshrrev_b32_e32 v16, 3, v2
	v_cmp_gt_u32_e32 vcc, 8, v2
	v_ffbh_u32_e32 v2, v5
	v_min_u32_e32 v17, 32, v2
	v_subrev_u32_e32 v2, 28, v17
	v_lshlrev_b64 v[2:3], v2, v[0:1]
	v_sub_u32_e32 v0, 29, v17
	v_and_b32_e32 v2, 7, v2
	v_cndmask_b32_e32 v0, v16, v0, vcc
	v_cndmask_b32_e32 v2, v5, v2, vcc
	v_lshlrev_b32_e32 v1, 24, v1
	v_lshlrev_b32_e32 v2, 20, v2
	v_and_b32_e32 v1, 0x80000000, v1
	v_lshl_add_u32 v0, v0, 23, v57
	v_or3_b32 v3, v1, v0, v2
.LBB217_207:                            ;   in Loop: Header=BB217_14 Depth=1
	s_or_b64 exec, exec, s[36:37]
.LBB217_208:                            ;   in Loop: Header=BB217_14 Depth=1
	s_or_b64 exec, exec, s[34:35]
.LBB217_209:                            ;   in Loop: Header=BB217_14 Depth=1
	s_or_b64 exec, exec, s[30:31]
	flat_load_ubyte v1, v[12:13] offset:2048
	v_mov_b32_e32 v5, 0
	v_mov_b32_e32 v16, 0
	s_waitcnt vmcnt(0) lgkmcnt(0)
	v_cmp_ne_u16_e32 vcc, 0, v1
	s_and_saveexec_b64 s[30:31], vcc
	s_cbranch_execz .LBB217_215
; %bb.210:                              ;   in Loop: Header=BB217_14 Depth=1
	v_cmp_ne_u16_e32 vcc, s39, v1
	v_bfrev_b32_e32 v16, 1
	s_and_saveexec_b64 s[34:35], vcc
	s_cbranch_execz .LBB217_214
; %bb.211:                              ;   in Loop: Header=BB217_14 Depth=1
	v_and_b32_e32 v0, 0xffff, v1
	v_and_b32_e32 v2, 0x7f, v0
	v_cmp_ne_u32_e32 vcc, s40, v2
	v_mov_b32_e32 v16, 0x7f800001
	s_and_saveexec_b64 s[36:37], vcc
	s_cbranch_execz .LBB217_213
; %bb.212:                              ;   in Loop: Header=BB217_14 Depth=1
	v_and_b32_e32 v18, 7, v0
	v_lshrrev_b32_e32 v19, 3, v2
	v_cmp_gt_u32_e32 vcc, 8, v2
	v_ffbh_u32_e32 v2, v18
	v_min_u32_e32 v2, 32, v2
	v_subrev_u32_e32 v16, 28, v2
	v_lshlrev_b64 v[16:17], v16, v[0:1]
	v_sub_u32_e32 v0, 29, v2
	v_and_b32_e32 v2, 7, v16
	v_cndmask_b32_e32 v0, v19, v0, vcc
	v_cndmask_b32_e32 v2, v18, v2, vcc
	v_lshlrev_b32_e32 v1, 24, v1
	v_lshlrev_b32_e32 v2, 20, v2
	v_and_b32_e32 v1, 0x80000000, v1
	v_lshl_add_u32 v0, v0, 23, v57
	v_or3_b32 v16, v1, v0, v2
.LBB217_213:                            ;   in Loop: Header=BB217_14 Depth=1
	s_or_b64 exec, exec, s[36:37]
.LBB217_214:                            ;   in Loop: Header=BB217_14 Depth=1
	s_or_b64 exec, exec, s[34:35]
.LBB217_215:                            ;   in Loop: Header=BB217_14 Depth=1
	s_or_b64 exec, exec, s[30:31]
	flat_load_ubyte v1, v[12:13] offset:2052
	s_waitcnt vmcnt(0) lgkmcnt(0)
	v_cmp_ne_u16_e32 vcc, 0, v1
	s_and_saveexec_b64 s[30:31], vcc
	s_cbranch_execz .LBB217_221
; %bb.216:                              ;   in Loop: Header=BB217_14 Depth=1
	v_cmp_ne_u16_e32 vcc, s39, v1
	v_bfrev_b32_e32 v5, 1
	s_and_saveexec_b64 s[34:35], vcc
	s_cbranch_execz .LBB217_220
; %bb.217:                              ;   in Loop: Header=BB217_14 Depth=1
	v_and_b32_e32 v0, 0xffff, v1
	v_and_b32_e32 v2, 0x7f, v0
	v_cmp_ne_u32_e32 vcc, s40, v2
	v_mov_b32_e32 v5, 0x7f800001
	s_and_saveexec_b64 s[36:37], vcc
	s_cbranch_execz .LBB217_219
; %bb.218:                              ;   in Loop: Header=BB217_14 Depth=1
	v_and_b32_e32 v5, 7, v0
	v_lshrrev_b32_e32 v17, 3, v2
	v_cmp_gt_u32_e32 vcc, 8, v2
	v_ffbh_u32_e32 v2, v5
	v_min_u32_e32 v2, 32, v2
	v_subrev_u32_e32 v18, 28, v2
	v_lshlrev_b64 v[18:19], v18, v[0:1]
	v_sub_u32_e32 v0, 29, v2
	v_and_b32_e32 v2, 7, v18
	v_cndmask_b32_e32 v0, v17, v0, vcc
	v_cndmask_b32_e32 v2, v5, v2, vcc
	v_lshlrev_b32_e32 v1, 24, v1
	v_lshlrev_b32_e32 v2, 20, v2
	v_and_b32_e32 v1, 0x80000000, v1
	v_lshl_add_u32 v0, v0, 23, v57
	v_or3_b32 v5, v1, v0, v2
.LBB217_219:                            ;   in Loop: Header=BB217_14 Depth=1
	s_or_b64 exec, exec, s[36:37]
.LBB217_220:                            ;   in Loop: Header=BB217_14 Depth=1
	s_or_b64 exec, exec, s[34:35]
.LBB217_221:                            ;   in Loop: Header=BB217_14 Depth=1
	s_or_b64 exec, exec, s[30:31]
	v_add_co_u32_e32 v60, vcc, 0x800, v12
	v_addc_co_u32_e32 v61, vcc, 0, v13, vcc
	flat_load_ubyte v1, v[60:61] offset:8
	v_mov_b32_e32 v17, 0
	v_mov_b32_e32 v18, 0
	s_waitcnt vmcnt(0) lgkmcnt(0)
	v_cmp_ne_u16_e32 vcc, 0, v1
	s_and_saveexec_b64 s[30:31], vcc
	s_cbranch_execz .LBB217_227
; %bb.222:                              ;   in Loop: Header=BB217_14 Depth=1
	v_cmp_ne_u16_e32 vcc, s39, v1
	v_bfrev_b32_e32 v18, 1
	s_and_saveexec_b64 s[34:35], vcc
	s_cbranch_execz .LBB217_226
; %bb.223:                              ;   in Loop: Header=BB217_14 Depth=1
	v_and_b32_e32 v0, 0xffff, v1
	v_and_b32_e32 v2, 0x7f, v0
	v_cmp_ne_u32_e32 vcc, s40, v2
	v_mov_b32_e32 v18, 0x7f800001
	s_and_saveexec_b64 s[36:37], vcc
	s_cbranch_execz .LBB217_225
; %bb.224:                              ;   in Loop: Header=BB217_14 Depth=1
	v_and_b32_e32 v32, 7, v0
	v_lshrrev_b32_e32 v33, 3, v2
	v_cmp_gt_u32_e32 vcc, 8, v2
	v_ffbh_u32_e32 v2, v32
	v_min_u32_e32 v2, 32, v2
	v_subrev_u32_e32 v18, 28, v2
	v_lshlrev_b64 v[18:19], v18, v[0:1]
	v_sub_u32_e32 v0, 29, v2
	v_and_b32_e32 v2, 7, v18
	v_cndmask_b32_e32 v0, v33, v0, vcc
	v_cndmask_b32_e32 v2, v32, v2, vcc
	v_lshlrev_b32_e32 v1, 24, v1
	v_lshlrev_b32_e32 v2, 20, v2
	v_and_b32_e32 v1, 0x80000000, v1
	v_lshl_add_u32 v0, v0, 23, v57
	v_or3_b32 v18, v1, v0, v2
.LBB217_225:                            ;   in Loop: Header=BB217_14 Depth=1
	s_or_b64 exec, exec, s[36:37]
.LBB217_226:                            ;   in Loop: Header=BB217_14 Depth=1
	s_or_b64 exec, exec, s[34:35]
.LBB217_227:                            ;   in Loop: Header=BB217_14 Depth=1
	s_or_b64 exec, exec, s[30:31]
	flat_load_ubyte v1, v[60:61] offset:12
	s_waitcnt vmcnt(0) lgkmcnt(0)
	v_cmp_ne_u16_e32 vcc, 0, v1
	s_and_saveexec_b64 s[30:31], vcc
	s_cbranch_execz .LBB217_233
; %bb.228:                              ;   in Loop: Header=BB217_14 Depth=1
	v_cmp_ne_u16_e32 vcc, s39, v1
	v_bfrev_b32_e32 v17, 1
	s_and_saveexec_b64 s[34:35], vcc
	s_cbranch_execz .LBB217_232
; %bb.229:                              ;   in Loop: Header=BB217_14 Depth=1
	v_and_b32_e32 v0, 0xffff, v1
	v_and_b32_e32 v2, 0x7f, v0
	v_cmp_ne_u32_e32 vcc, s40, v2
	v_mov_b32_e32 v17, 0x7f800001
	s_and_saveexec_b64 s[36:37], vcc
	s_cbranch_execz .LBB217_231
; %bb.230:                              ;   in Loop: Header=BB217_14 Depth=1
	v_and_b32_e32 v17, 7, v0
	v_lshrrev_b32_e32 v19, 3, v2
	v_cmp_gt_u32_e32 vcc, 8, v2
	v_ffbh_u32_e32 v2, v17
	v_min_u32_e32 v2, 32, v2
	v_subrev_u32_e32 v32, 28, v2
	v_lshlrev_b64 v[32:33], v32, v[0:1]
	v_sub_u32_e32 v0, 29, v2
	v_and_b32_e32 v2, 7, v32
	v_cndmask_b32_e32 v0, v19, v0, vcc
	v_cndmask_b32_e32 v2, v17, v2, vcc
	v_lshlrev_b32_e32 v1, 24, v1
	v_lshlrev_b32_e32 v2, 20, v2
	v_and_b32_e32 v1, 0x80000000, v1
	v_lshl_add_u32 v0, v0, 23, v57
	v_or3_b32 v17, v1, v0, v2
.LBB217_231:                            ;   in Loop: Header=BB217_14 Depth=1
	s_or_b64 exec, exec, s[36:37]
.LBB217_232:                            ;   in Loop: Header=BB217_14 Depth=1
	s_or_b64 exec, exec, s[34:35]
.LBB217_233:                            ;   in Loop: Header=BB217_14 Depth=1
	s_or_b64 exec, exec, s[30:31]
	flat_load_ubyte v2, v[12:13] offset:2304
	v_mov_b32_e32 v19, 0
	v_mov_b32_e32 v1, 0
	s_waitcnt vmcnt(0) lgkmcnt(0)
	v_cmp_ne_u16_e32 vcc, 0, v2
	s_and_saveexec_b64 s[30:31], vcc
	s_cbranch_execz .LBB217_239
; %bb.234:                              ;   in Loop: Header=BB217_14 Depth=1
	v_cmp_ne_u16_e32 vcc, s39, v2
	v_bfrev_b32_e32 v1, 1
	s_and_saveexec_b64 s[34:35], vcc
	s_cbranch_execz .LBB217_238
; %bb.235:                              ;   in Loop: Header=BB217_14 Depth=1
	v_and_b32_e32 v0, 0xffff, v2
	v_and_b32_e32 v32, 0x7f, v0
	v_cmp_ne_u32_e32 vcc, s40, v32
	v_mov_b32_e32 v1, 0x7f800001
	s_and_saveexec_b64 s[36:37], vcc
	s_cbranch_execz .LBB217_237
; %bb.236:                              ;   in Loop: Header=BB217_14 Depth=1
	v_and_b32_e32 v33, 7, v0
	v_ffbh_u32_e32 v1, v33
	v_lshrrev_b32_e32 v34, 3, v32
	v_cmp_gt_u32_e32 vcc, 8, v32
	v_min_u32_e32 v32, 32, v1
	v_subrev_u32_e32 v1, 28, v32
	v_lshlrev_b64 v[0:1], v1, v[0:1]
	v_sub_u32_e32 v1, 29, v32
	v_and_b32_e32 v0, 7, v0
	v_cndmask_b32_e32 v1, v34, v1, vcc
	v_cndmask_b32_e32 v0, v33, v0, vcc
	v_lshlrev_b32_e32 v2, 24, v2
	v_lshlrev_b32_e32 v0, 20, v0
	v_and_b32_e32 v2, 0x80000000, v2
	v_lshl_add_u32 v1, v1, 23, v57
	v_or3_b32 v1, v2, v1, v0
.LBB217_237:                            ;   in Loop: Header=BB217_14 Depth=1
	s_or_b64 exec, exec, s[36:37]
.LBB217_238:                            ;   in Loop: Header=BB217_14 Depth=1
	s_or_b64 exec, exec, s[34:35]
.LBB217_239:                            ;   in Loop: Header=BB217_14 Depth=1
	s_or_b64 exec, exec, s[30:31]
	flat_load_ubyte v2, v[12:13] offset:2308
	s_waitcnt vmcnt(0) lgkmcnt(0)
	v_cmp_ne_u16_e32 vcc, 0, v2
	s_and_saveexec_b64 s[30:31], vcc
	s_cbranch_execz .LBB217_245
; %bb.240:                              ;   in Loop: Header=BB217_14 Depth=1
	v_cmp_ne_u16_e32 vcc, s39, v2
	v_bfrev_b32_e32 v19, 1
	s_and_saveexec_b64 s[34:35], vcc
	s_cbranch_execz .LBB217_244
; %bb.241:                              ;   in Loop: Header=BB217_14 Depth=1
	v_and_b32_e32 v0, 0xffff, v2
	v_and_b32_e32 v32, 0x7f, v0
	v_cmp_ne_u32_e32 vcc, s40, v32
	v_mov_b32_e32 v19, 0x7f800001
	s_and_saveexec_b64 s[36:37], vcc
	s_cbranch_execz .LBB217_243
; %bb.242:                              ;   in Loop: Header=BB217_14 Depth=1
	v_and_b32_e32 v19, 7, v0
	v_lshrrev_b32_e32 v34, 3, v32
	v_cmp_gt_u32_e32 vcc, 8, v32
	v_ffbh_u32_e32 v32, v19
	v_min_u32_e32 v35, 32, v32
	v_subrev_u32_e32 v32, 28, v35
	v_lshlrev_b64 v[32:33], v32, v[0:1]
	v_sub_u32_e32 v0, 29, v35
	v_and_b32_e32 v32, 7, v32
	v_cndmask_b32_e32 v0, v34, v0, vcc
	v_cndmask_b32_e32 v19, v19, v32, vcc
	v_lshlrev_b32_e32 v2, 24, v2
	v_lshlrev_b32_e32 v19, 20, v19
	v_and_b32_e32 v2, 0x80000000, v2
	v_lshl_add_u32 v0, v0, 23, v57
	v_or3_b32 v19, v2, v0, v19
.LBB217_243:                            ;   in Loop: Header=BB217_14 Depth=1
	s_or_b64 exec, exec, s[36:37]
.LBB217_244:                            ;   in Loop: Header=BB217_14 Depth=1
	s_or_b64 exec, exec, s[34:35]
.LBB217_245:                            ;   in Loop: Header=BB217_14 Depth=1
	s_or_b64 exec, exec, s[30:31]
	v_add_co_u32_e32 v60, vcc, 0x900, v12
	v_addc_co_u32_e32 v61, vcc, 0, v13, vcc
	flat_load_ubyte v2, v[60:61] offset:8
	v_mov_b32_e32 v32, 0
	v_mov_b32_e32 v33, 0
	s_waitcnt vmcnt(0) lgkmcnt(0)
	v_cmp_ne_u16_e32 vcc, 0, v2
	s_and_saveexec_b64 s[30:31], vcc
	s_cbranch_execz .LBB217_251
; %bb.246:                              ;   in Loop: Header=BB217_14 Depth=1
	v_cmp_ne_u16_e32 vcc, s39, v2
	v_bfrev_b32_e32 v33, 1
	s_and_saveexec_b64 s[34:35], vcc
	s_cbranch_execz .LBB217_250
; %bb.247:                              ;   in Loop: Header=BB217_14 Depth=1
	v_and_b32_e32 v0, 0xffff, v2
	v_and_b32_e32 v34, 0x7f, v0
	v_cmp_ne_u32_e32 vcc, s40, v34
	v_mov_b32_e32 v33, 0x7f800001
	s_and_saveexec_b64 s[36:37], vcc
	s_cbranch_execz .LBB217_249
; %bb.248:                              ;   in Loop: Header=BB217_14 Depth=1
	v_and_b32_e32 v33, 7, v0
	v_lshrrev_b32_e32 v36, 3, v34
	v_cmp_gt_u32_e32 vcc, 8, v34
	v_ffbh_u32_e32 v34, v33
	v_min_u32_e32 v37, 32, v34
	v_subrev_u32_e32 v34, 28, v37
	v_lshlrev_b64 v[34:35], v34, v[0:1]
	v_sub_u32_e32 v0, 29, v37
	v_and_b32_e32 v34, 7, v34
	v_cndmask_b32_e32 v0, v36, v0, vcc
	v_cndmask_b32_e32 v33, v33, v34, vcc
	v_lshlrev_b32_e32 v2, 24, v2
	v_lshlrev_b32_e32 v33, 20, v33
	v_and_b32_e32 v2, 0x80000000, v2
	v_lshl_add_u32 v0, v0, 23, v57
	v_or3_b32 v33, v2, v0, v33
.LBB217_249:                            ;   in Loop: Header=BB217_14 Depth=1
	s_or_b64 exec, exec, s[36:37]
.LBB217_250:                            ;   in Loop: Header=BB217_14 Depth=1
	s_or_b64 exec, exec, s[34:35]
.LBB217_251:                            ;   in Loop: Header=BB217_14 Depth=1
	s_or_b64 exec, exec, s[30:31]
	flat_load_ubyte v2, v[60:61] offset:12
	s_waitcnt vmcnt(0) lgkmcnt(0)
	v_cmp_ne_u16_e32 vcc, 0, v2
	s_and_saveexec_b64 s[30:31], vcc
	s_cbranch_execz .LBB217_257
; %bb.252:                              ;   in Loop: Header=BB217_14 Depth=1
	v_cmp_ne_u16_e32 vcc, s39, v2
	v_bfrev_b32_e32 v32, 1
	s_and_saveexec_b64 s[34:35], vcc
	s_cbranch_execz .LBB217_256
; %bb.253:                              ;   in Loop: Header=BB217_14 Depth=1
	v_and_b32_e32 v0, 0xffff, v2
	v_and_b32_e32 v34, 0x7f, v0
	v_cmp_ne_u32_e32 vcc, s40, v34
	v_mov_b32_e32 v32, 0x7f800001
	s_and_saveexec_b64 s[36:37], vcc
	s_cbranch_execz .LBB217_255
; %bb.254:                              ;   in Loop: Header=BB217_14 Depth=1
	v_and_b32_e32 v32, 7, v0
	v_lshrrev_b32_e32 v36, 3, v34
	v_cmp_gt_u32_e32 vcc, 8, v34
	v_ffbh_u32_e32 v34, v32
	v_min_u32_e32 v37, 32, v34
	v_subrev_u32_e32 v34, 28, v37
	v_lshlrev_b64 v[34:35], v34, v[0:1]
	v_sub_u32_e32 v0, 29, v37
	v_and_b32_e32 v34, 7, v34
	v_cndmask_b32_e32 v0, v36, v0, vcc
	v_cndmask_b32_e32 v32, v32, v34, vcc
	v_lshlrev_b32_e32 v2, 24, v2
	v_lshlrev_b32_e32 v32, 20, v32
	v_and_b32_e32 v2, 0x80000000, v2
	v_lshl_add_u32 v0, v0, 23, v57
	v_or3_b32 v32, v2, v0, v32
.LBB217_255:                            ;   in Loop: Header=BB217_14 Depth=1
	s_or_b64 exec, exec, s[36:37]
.LBB217_256:                            ;   in Loop: Header=BB217_14 Depth=1
	s_or_b64 exec, exec, s[34:35]
.LBB217_257:                            ;   in Loop: Header=BB217_14 Depth=1
	s_or_b64 exec, exec, s[30:31]
	flat_load_ubyte v2, v[12:13] offset:2560
	v_mov_b32_e32 v34, 0
	v_mov_b32_e32 v35, 0
	s_waitcnt vmcnt(0) lgkmcnt(0)
	v_cmp_ne_u16_e32 vcc, 0, v2
	s_and_saveexec_b64 s[30:31], vcc
	s_cbranch_execz .LBB217_263
; %bb.258:                              ;   in Loop: Header=BB217_14 Depth=1
	v_cmp_ne_u16_e32 vcc, s39, v2
	v_bfrev_b32_e32 v35, 1
	s_and_saveexec_b64 s[34:35], vcc
	s_cbranch_execz .LBB217_262
; %bb.259:                              ;   in Loop: Header=BB217_14 Depth=1
	v_and_b32_e32 v0, 0xffff, v2
	v_and_b32_e32 v36, 0x7f, v0
	v_cmp_ne_u32_e32 vcc, s40, v36
	v_mov_b32_e32 v35, 0x7f800001
	s_and_saveexec_b64 s[36:37], vcc
	s_cbranch_execz .LBB217_261
; %bb.260:                              ;   in Loop: Header=BB217_14 Depth=1
	v_and_b32_e32 v35, 7, v0
	v_lshrrev_b32_e32 v38, 3, v36
	v_cmp_gt_u32_e32 vcc, 8, v36
	v_ffbh_u32_e32 v36, v35
	v_min_u32_e32 v39, 32, v36
	v_subrev_u32_e32 v36, 28, v39
	v_lshlrev_b64 v[36:37], v36, v[0:1]
	v_sub_u32_e32 v0, 29, v39
	v_and_b32_e32 v36, 7, v36
	v_cndmask_b32_e32 v0, v38, v0, vcc
	v_cndmask_b32_e32 v35, v35, v36, vcc
	v_lshlrev_b32_e32 v2, 24, v2
	v_lshlrev_b32_e32 v35, 20, v35
	v_and_b32_e32 v2, 0x80000000, v2
	v_lshl_add_u32 v0, v0, 23, v57
	v_or3_b32 v35, v2, v0, v35
.LBB217_261:                            ;   in Loop: Header=BB217_14 Depth=1
	s_or_b64 exec, exec, s[36:37]
.LBB217_262:                            ;   in Loop: Header=BB217_14 Depth=1
	s_or_b64 exec, exec, s[34:35]
.LBB217_263:                            ;   in Loop: Header=BB217_14 Depth=1
	s_or_b64 exec, exec, s[30:31]
	flat_load_ubyte v2, v[12:13] offset:2564
	s_waitcnt vmcnt(0) lgkmcnt(0)
	v_cmp_ne_u16_e32 vcc, 0, v2
	s_and_saveexec_b64 s[30:31], vcc
	s_cbranch_execz .LBB217_269
; %bb.264:                              ;   in Loop: Header=BB217_14 Depth=1
	v_cmp_ne_u16_e32 vcc, s39, v2
	v_bfrev_b32_e32 v34, 1
	s_and_saveexec_b64 s[34:35], vcc
	s_cbranch_execz .LBB217_268
; %bb.265:                              ;   in Loop: Header=BB217_14 Depth=1
	v_and_b32_e32 v0, 0xffff, v2
	v_and_b32_e32 v36, 0x7f, v0
	v_cmp_ne_u32_e32 vcc, s40, v36
	v_mov_b32_e32 v34, 0x7f800001
	s_and_saveexec_b64 s[36:37], vcc
	s_cbranch_execz .LBB217_267
; %bb.266:                              ;   in Loop: Header=BB217_14 Depth=1
	v_and_b32_e32 v34, 7, v0
	v_lshrrev_b32_e32 v38, 3, v36
	v_cmp_gt_u32_e32 vcc, 8, v36
	v_ffbh_u32_e32 v36, v34
	v_min_u32_e32 v39, 32, v36
	v_subrev_u32_e32 v36, 28, v39
	v_lshlrev_b64 v[36:37], v36, v[0:1]
	v_sub_u32_e32 v0, 29, v39
	v_and_b32_e32 v36, 7, v36
	v_cndmask_b32_e32 v0, v38, v0, vcc
	v_cndmask_b32_e32 v34, v34, v36, vcc
	v_lshlrev_b32_e32 v2, 24, v2
	v_lshlrev_b32_e32 v34, 20, v34
	v_and_b32_e32 v2, 0x80000000, v2
	v_lshl_add_u32 v0, v0, 23, v57
	v_or3_b32 v34, v2, v0, v34
.LBB217_267:                            ;   in Loop: Header=BB217_14 Depth=1
	s_or_b64 exec, exec, s[36:37]
.LBB217_268:                            ;   in Loop: Header=BB217_14 Depth=1
	s_or_b64 exec, exec, s[34:35]
.LBB217_269:                            ;   in Loop: Header=BB217_14 Depth=1
	s_or_b64 exec, exec, s[30:31]
	v_add_co_u32_e32 v60, vcc, 0xa00, v12
	v_addc_co_u32_e32 v61, vcc, 0, v13, vcc
	flat_load_ubyte v2, v[60:61] offset:8
	v_mov_b32_e32 v36, 0
	v_mov_b32_e32 v37, 0
	s_waitcnt vmcnt(0) lgkmcnt(0)
	v_cmp_ne_u16_e32 vcc, 0, v2
	s_and_saveexec_b64 s[30:31], vcc
	s_cbranch_execz .LBB217_275
; %bb.270:                              ;   in Loop: Header=BB217_14 Depth=1
	v_cmp_ne_u16_e32 vcc, s39, v2
	v_bfrev_b32_e32 v37, 1
	s_and_saveexec_b64 s[34:35], vcc
	s_cbranch_execz .LBB217_274
; %bb.271:                              ;   in Loop: Header=BB217_14 Depth=1
	v_and_b32_e32 v0, 0xffff, v2
	v_and_b32_e32 v38, 0x7f, v0
	v_cmp_ne_u32_e32 vcc, s40, v38
	v_mov_b32_e32 v37, 0x7f800001
	s_and_saveexec_b64 s[36:37], vcc
	s_cbranch_execz .LBB217_273
; %bb.272:                              ;   in Loop: Header=BB217_14 Depth=1
	v_and_b32_e32 v37, 7, v0
	v_lshrrev_b32_e32 v48, 3, v38
	v_cmp_gt_u32_e32 vcc, 8, v38
	v_ffbh_u32_e32 v38, v37
	v_min_u32_e32 v49, 32, v38
	v_subrev_u32_e32 v38, 28, v49
	v_lshlrev_b64 v[38:39], v38, v[0:1]
	v_sub_u32_e32 v0, 29, v49
	v_and_b32_e32 v38, 7, v38
	v_cndmask_b32_e32 v0, v48, v0, vcc
	v_cndmask_b32_e32 v37, v37, v38, vcc
	v_lshlrev_b32_e32 v2, 24, v2
	v_lshlrev_b32_e32 v37, 20, v37
	v_and_b32_e32 v2, 0x80000000, v2
	v_lshl_add_u32 v0, v0, 23, v57
	v_or3_b32 v37, v2, v0, v37
.LBB217_273:                            ;   in Loop: Header=BB217_14 Depth=1
	s_or_b64 exec, exec, s[36:37]
.LBB217_274:                            ;   in Loop: Header=BB217_14 Depth=1
	s_or_b64 exec, exec, s[34:35]
.LBB217_275:                            ;   in Loop: Header=BB217_14 Depth=1
	s_or_b64 exec, exec, s[30:31]
	flat_load_ubyte v2, v[60:61] offset:12
	s_waitcnt vmcnt(0) lgkmcnt(0)
	v_cmp_ne_u16_e32 vcc, 0, v2
	s_and_saveexec_b64 s[30:31], vcc
	s_cbranch_execz .LBB217_281
; %bb.276:                              ;   in Loop: Header=BB217_14 Depth=1
	v_cmp_ne_u16_e32 vcc, s39, v2
	v_bfrev_b32_e32 v36, 1
	s_and_saveexec_b64 s[34:35], vcc
	s_cbranch_execz .LBB217_280
; %bb.277:                              ;   in Loop: Header=BB217_14 Depth=1
	v_and_b32_e32 v0, 0xffff, v2
	v_and_b32_e32 v38, 0x7f, v0
	v_cmp_ne_u32_e32 vcc, s40, v38
	v_mov_b32_e32 v36, 0x7f800001
	s_and_saveexec_b64 s[36:37], vcc
	s_cbranch_execz .LBB217_279
; %bb.278:                              ;   in Loop: Header=BB217_14 Depth=1
	v_and_b32_e32 v36, 7, v0
	v_lshrrev_b32_e32 v48, 3, v38
	v_cmp_gt_u32_e32 vcc, 8, v38
	v_ffbh_u32_e32 v38, v36
	v_min_u32_e32 v49, 32, v38
	v_subrev_u32_e32 v38, 28, v49
	v_lshlrev_b64 v[38:39], v38, v[0:1]
	v_sub_u32_e32 v0, 29, v49
	v_and_b32_e32 v38, 7, v38
	v_cndmask_b32_e32 v0, v48, v0, vcc
	v_cndmask_b32_e32 v36, v36, v38, vcc
	v_lshlrev_b32_e32 v2, 24, v2
	v_lshlrev_b32_e32 v36, 20, v36
	v_and_b32_e32 v2, 0x80000000, v2
	v_lshl_add_u32 v0, v0, 23, v57
	v_or3_b32 v36, v2, v0, v36
.LBB217_279:                            ;   in Loop: Header=BB217_14 Depth=1
	s_or_b64 exec, exec, s[36:37]
.LBB217_280:                            ;   in Loop: Header=BB217_14 Depth=1
	s_or_b64 exec, exec, s[34:35]
.LBB217_281:                            ;   in Loop: Header=BB217_14 Depth=1
	s_or_b64 exec, exec, s[30:31]
	flat_load_ubyte v2, v[12:13] offset:2816
	v_mov_b32_e32 v38, 0
	v_mov_b32_e32 v39, 0
	s_waitcnt vmcnt(0) lgkmcnt(0)
	v_cmp_ne_u16_e32 vcc, 0, v2
	s_and_saveexec_b64 s[30:31], vcc
	s_cbranch_execz .LBB217_287
; %bb.282:                              ;   in Loop: Header=BB217_14 Depth=1
	v_cmp_ne_u16_e32 vcc, s39, v2
	v_bfrev_b32_e32 v39, 1
	s_and_saveexec_b64 s[34:35], vcc
	s_cbranch_execz .LBB217_286
; %bb.283:                              ;   in Loop: Header=BB217_14 Depth=1
	v_and_b32_e32 v0, 0xffff, v2
	v_and_b32_e32 v48, 0x7f, v0
	v_cmp_ne_u32_e32 vcc, s40, v48
	v_mov_b32_e32 v39, 0x7f800001
	s_and_saveexec_b64 s[36:37], vcc
	s_cbranch_execz .LBB217_285
; %bb.284:                              ;   in Loop: Header=BB217_14 Depth=1
	v_and_b32_e32 v39, 7, v0
	v_lshrrev_b32_e32 v50, 3, v48
	v_cmp_gt_u32_e32 vcc, 8, v48
	v_ffbh_u32_e32 v48, v39
	v_min_u32_e32 v51, 32, v48
	v_subrev_u32_e32 v48, 28, v51
	v_lshlrev_b64 v[48:49], v48, v[0:1]
	v_sub_u32_e32 v0, 29, v51
	v_and_b32_e32 v48, 7, v48
	v_cndmask_b32_e32 v0, v50, v0, vcc
	v_cndmask_b32_e32 v39, v39, v48, vcc
	v_lshlrev_b32_e32 v2, 24, v2
	v_lshlrev_b32_e32 v39, 20, v39
	v_and_b32_e32 v2, 0x80000000, v2
	v_lshl_add_u32 v0, v0, 23, v57
	v_or3_b32 v39, v2, v0, v39
.LBB217_285:                            ;   in Loop: Header=BB217_14 Depth=1
	s_or_b64 exec, exec, s[36:37]
.LBB217_286:                            ;   in Loop: Header=BB217_14 Depth=1
	s_or_b64 exec, exec, s[34:35]
.LBB217_287:                            ;   in Loop: Header=BB217_14 Depth=1
	s_or_b64 exec, exec, s[30:31]
	flat_load_ubyte v2, v[12:13] offset:2820
	s_waitcnt vmcnt(0) lgkmcnt(0)
	v_cmp_ne_u16_e32 vcc, 0, v2
	s_and_saveexec_b64 s[30:31], vcc
	s_cbranch_execz .LBB217_293
; %bb.288:                              ;   in Loop: Header=BB217_14 Depth=1
	v_cmp_ne_u16_e32 vcc, s39, v2
	v_bfrev_b32_e32 v38, 1
	s_and_saveexec_b64 s[34:35], vcc
	s_cbranch_execz .LBB217_292
; %bb.289:                              ;   in Loop: Header=BB217_14 Depth=1
	v_and_b32_e32 v0, 0xffff, v2
	v_and_b32_e32 v48, 0x7f, v0
	v_cmp_ne_u32_e32 vcc, s40, v48
	v_mov_b32_e32 v38, 0x7f800001
	s_and_saveexec_b64 s[36:37], vcc
	s_cbranch_execz .LBB217_291
; %bb.290:                              ;   in Loop: Header=BB217_14 Depth=1
	v_and_b32_e32 v38, 7, v0
	v_lshrrev_b32_e32 v50, 3, v48
	v_cmp_gt_u32_e32 vcc, 8, v48
	v_ffbh_u32_e32 v48, v38
	v_min_u32_e32 v51, 32, v48
	v_subrev_u32_e32 v48, 28, v51
	v_lshlrev_b64 v[48:49], v48, v[0:1]
	v_sub_u32_e32 v0, 29, v51
	v_and_b32_e32 v48, 7, v48
	v_cndmask_b32_e32 v0, v50, v0, vcc
	v_cndmask_b32_e32 v38, v38, v48, vcc
	v_lshlrev_b32_e32 v2, 24, v2
	v_lshlrev_b32_e32 v38, 20, v38
	v_and_b32_e32 v2, 0x80000000, v2
	v_lshl_add_u32 v0, v0, 23, v57
	v_or3_b32 v38, v2, v0, v38
.LBB217_291:                            ;   in Loop: Header=BB217_14 Depth=1
	s_or_b64 exec, exec, s[36:37]
.LBB217_292:                            ;   in Loop: Header=BB217_14 Depth=1
	s_or_b64 exec, exec, s[34:35]
.LBB217_293:                            ;   in Loop: Header=BB217_14 Depth=1
	s_or_b64 exec, exec, s[30:31]
	v_add_co_u32_e32 v60, vcc, 0xb00, v12
	v_addc_co_u32_e32 v61, vcc, 0, v13, vcc
	flat_load_ubyte v2, v[60:61] offset:8
	v_mov_b32_e32 v48, 0
	v_mov_b32_e32 v49, 0
	s_waitcnt vmcnt(0) lgkmcnt(0)
	v_cmp_ne_u16_e32 vcc, 0, v2
	s_and_saveexec_b64 s[30:31], vcc
	s_cbranch_execz .LBB217_299
; %bb.294:                              ;   in Loop: Header=BB217_14 Depth=1
	v_cmp_ne_u16_e32 vcc, s39, v2
	v_bfrev_b32_e32 v49, 1
	s_and_saveexec_b64 s[34:35], vcc
	s_cbranch_execz .LBB217_298
; %bb.295:                              ;   in Loop: Header=BB217_14 Depth=1
	v_and_b32_e32 v0, 0xffff, v2
	v_and_b32_e32 v50, 0x7f, v0
	v_cmp_ne_u32_e32 vcc, s40, v50
	v_mov_b32_e32 v49, 0x7f800001
	s_and_saveexec_b64 s[36:37], vcc
	s_cbranch_execz .LBB217_297
; %bb.296:                              ;   in Loop: Header=BB217_14 Depth=1
	v_and_b32_e32 v49, 7, v0
	v_lshrrev_b32_e32 v52, 3, v50
	v_cmp_gt_u32_e32 vcc, 8, v50
	v_ffbh_u32_e32 v50, v49
	v_min_u32_e32 v53, 32, v50
	v_subrev_u32_e32 v50, 28, v53
	v_lshlrev_b64 v[50:51], v50, v[0:1]
	v_sub_u32_e32 v0, 29, v53
	v_and_b32_e32 v50, 7, v50
	v_cndmask_b32_e32 v0, v52, v0, vcc
	v_cndmask_b32_e32 v49, v49, v50, vcc
	v_lshlrev_b32_e32 v2, 24, v2
	v_lshlrev_b32_e32 v49, 20, v49
	v_and_b32_e32 v2, 0x80000000, v2
	v_lshl_add_u32 v0, v0, 23, v57
	v_or3_b32 v49, v2, v0, v49
.LBB217_297:                            ;   in Loop: Header=BB217_14 Depth=1
	s_or_b64 exec, exec, s[36:37]
.LBB217_298:                            ;   in Loop: Header=BB217_14 Depth=1
	s_or_b64 exec, exec, s[34:35]
.LBB217_299:                            ;   in Loop: Header=BB217_14 Depth=1
	s_or_b64 exec, exec, s[30:31]
	flat_load_ubyte v2, v[60:61] offset:12
	s_waitcnt vmcnt(0) lgkmcnt(0)
	v_cmp_ne_u16_e32 vcc, 0, v2
	s_and_saveexec_b64 s[30:31], vcc
	s_cbranch_execz .LBB217_305
; %bb.300:                              ;   in Loop: Header=BB217_14 Depth=1
	v_cmp_ne_u16_e32 vcc, s39, v2
	v_bfrev_b32_e32 v48, 1
	s_and_saveexec_b64 s[34:35], vcc
	s_cbranch_execz .LBB217_304
; %bb.301:                              ;   in Loop: Header=BB217_14 Depth=1
	v_and_b32_e32 v0, 0xffff, v2
	v_and_b32_e32 v50, 0x7f, v0
	v_cmp_ne_u32_e32 vcc, s40, v50
	v_mov_b32_e32 v48, 0x7f800001
	s_and_saveexec_b64 s[36:37], vcc
	s_cbranch_execz .LBB217_303
; %bb.302:                              ;   in Loop: Header=BB217_14 Depth=1
	v_and_b32_e32 v48, 7, v0
	v_lshrrev_b32_e32 v52, 3, v50
	v_cmp_gt_u32_e32 vcc, 8, v50
	v_ffbh_u32_e32 v50, v48
	v_min_u32_e32 v53, 32, v50
	v_subrev_u32_e32 v50, 28, v53
	v_lshlrev_b64 v[50:51], v50, v[0:1]
	v_sub_u32_e32 v0, 29, v53
	v_and_b32_e32 v50, 7, v50
	v_cndmask_b32_e32 v0, v52, v0, vcc
	v_cndmask_b32_e32 v48, v48, v50, vcc
	v_lshlrev_b32_e32 v2, 24, v2
	v_lshlrev_b32_e32 v48, 20, v48
	v_and_b32_e32 v2, 0x80000000, v2
	v_lshl_add_u32 v0, v0, 23, v57
	v_or3_b32 v48, v2, v0, v48
.LBB217_303:                            ;   in Loop: Header=BB217_14 Depth=1
	s_or_b64 exec, exec, s[36:37]
.LBB217_304:                            ;   in Loop: Header=BB217_14 Depth=1
	s_or_b64 exec, exec, s[34:35]
.LBB217_305:                            ;   in Loop: Header=BB217_14 Depth=1
	s_or_b64 exec, exec, s[30:31]
	flat_load_ubyte v2, v[12:13] offset:3072
	v_mov_b32_e32 v50, 0
	v_mov_b32_e32 v51, 0
	s_waitcnt vmcnt(0) lgkmcnt(0)
	v_cmp_ne_u16_e32 vcc, 0, v2
	s_and_saveexec_b64 s[30:31], vcc
	s_cbranch_execz .LBB217_311
; %bb.306:                              ;   in Loop: Header=BB217_14 Depth=1
	v_cmp_ne_u16_e32 vcc, s39, v2
	v_bfrev_b32_e32 v51, 1
	s_and_saveexec_b64 s[34:35], vcc
	s_cbranch_execz .LBB217_310
; %bb.307:                              ;   in Loop: Header=BB217_14 Depth=1
	v_and_b32_e32 v0, 0xffff, v2
	v_and_b32_e32 v52, 0x7f, v0
	v_cmp_ne_u32_e32 vcc, s40, v52
	v_mov_b32_e32 v51, 0x7f800001
	s_and_saveexec_b64 s[36:37], vcc
	s_cbranch_execz .LBB217_309
; %bb.308:                              ;   in Loop: Header=BB217_14 Depth=1
	v_and_b32_e32 v51, 7, v0
	v_lshrrev_b32_e32 v54, 3, v52
	v_cmp_gt_u32_e32 vcc, 8, v52
	v_ffbh_u32_e32 v52, v51
	v_min_u32_e32 v55, 32, v52
	v_subrev_u32_e32 v52, 28, v55
	v_lshlrev_b64 v[52:53], v52, v[0:1]
	v_sub_u32_e32 v0, 29, v55
	v_and_b32_e32 v52, 7, v52
	v_cndmask_b32_e32 v0, v54, v0, vcc
	v_cndmask_b32_e32 v51, v51, v52, vcc
	v_lshlrev_b32_e32 v2, 24, v2
	v_lshlrev_b32_e32 v51, 20, v51
	v_and_b32_e32 v2, 0x80000000, v2
	v_lshl_add_u32 v0, v0, 23, v57
	v_or3_b32 v51, v2, v0, v51
.LBB217_309:                            ;   in Loop: Header=BB217_14 Depth=1
	s_or_b64 exec, exec, s[36:37]
.LBB217_310:                            ;   in Loop: Header=BB217_14 Depth=1
	s_or_b64 exec, exec, s[34:35]
.LBB217_311:                            ;   in Loop: Header=BB217_14 Depth=1
	s_or_b64 exec, exec, s[30:31]
	flat_load_ubyte v2, v[12:13] offset:3076
	s_waitcnt vmcnt(0) lgkmcnt(0)
	v_cmp_ne_u16_e32 vcc, 0, v2
	s_and_saveexec_b64 s[30:31], vcc
	s_cbranch_execz .LBB217_317
; %bb.312:                              ;   in Loop: Header=BB217_14 Depth=1
	v_cmp_ne_u16_e32 vcc, s39, v2
	v_bfrev_b32_e32 v50, 1
	s_and_saveexec_b64 s[34:35], vcc
	s_cbranch_execz .LBB217_316
; %bb.313:                              ;   in Loop: Header=BB217_14 Depth=1
	v_and_b32_e32 v0, 0xffff, v2
	v_and_b32_e32 v52, 0x7f, v0
	v_cmp_ne_u32_e32 vcc, s40, v52
	v_mov_b32_e32 v50, 0x7f800001
	s_and_saveexec_b64 s[36:37], vcc
	s_cbranch_execz .LBB217_315
; %bb.314:                              ;   in Loop: Header=BB217_14 Depth=1
	v_and_b32_e32 v50, 7, v0
	v_lshrrev_b32_e32 v54, 3, v52
	v_cmp_gt_u32_e32 vcc, 8, v52
	v_ffbh_u32_e32 v52, v50
	v_min_u32_e32 v55, 32, v52
	v_subrev_u32_e32 v52, 28, v55
	v_lshlrev_b64 v[52:53], v52, v[0:1]
	v_sub_u32_e32 v0, 29, v55
	v_and_b32_e32 v52, 7, v52
	v_cndmask_b32_e32 v0, v54, v0, vcc
	v_cndmask_b32_e32 v50, v50, v52, vcc
	v_lshlrev_b32_e32 v2, 24, v2
	v_lshlrev_b32_e32 v50, 20, v50
	v_and_b32_e32 v2, 0x80000000, v2
	v_lshl_add_u32 v0, v0, 23, v57
	v_or3_b32 v50, v2, v0, v50
.LBB217_315:                            ;   in Loop: Header=BB217_14 Depth=1
	s_or_b64 exec, exec, s[36:37]
.LBB217_316:                            ;   in Loop: Header=BB217_14 Depth=1
	s_or_b64 exec, exec, s[34:35]
.LBB217_317:                            ;   in Loop: Header=BB217_14 Depth=1
	s_or_b64 exec, exec, s[30:31]
	v_add_co_u32_e32 v60, vcc, 0xc00, v12
	v_addc_co_u32_e32 v61, vcc, 0, v13, vcc
	flat_load_ubyte v53, v[60:61] offset:8
	v_mov_b32_e32 v2, 0
	v_mov_b32_e32 v52, 0
	s_waitcnt vmcnt(0) lgkmcnt(0)
	v_cmp_ne_u16_e32 vcc, 0, v53
	s_and_saveexec_b64 s[30:31], vcc
	s_cbranch_execz .LBB217_323
; %bb.318:                              ;   in Loop: Header=BB217_14 Depth=1
	v_cmp_ne_u16_e32 vcc, s39, v53
	v_bfrev_b32_e32 v52, 1
	s_and_saveexec_b64 s[34:35], vcc
	s_cbranch_execz .LBB217_322
; %bb.319:                              ;   in Loop: Header=BB217_14 Depth=1
	v_and_b32_e32 v0, 0xffff, v53
	v_and_b32_e32 v54, 0x7f, v0
	v_cmp_ne_u32_e32 vcc, s40, v54
	v_mov_b32_e32 v52, 0x7f800001
	s_and_saveexec_b64 s[36:37], vcc
	s_cbranch_execz .LBB217_321
; %bb.320:                              ;   in Loop: Header=BB217_14 Depth=1
	v_and_b32_e32 v52, 7, v0
	v_lshrrev_b32_e32 v40, 3, v54
	v_cmp_gt_u32_e32 vcc, 8, v54
	v_ffbh_u32_e32 v54, v52
	v_min_u32_e32 v41, 32, v54
	v_subrev_u32_e32 v54, 28, v41
	v_lshlrev_b64 v[54:55], v54, v[0:1]
	v_sub_u32_e32 v0, 29, v41
	v_and_b32_e32 v54, 7, v54
	v_cndmask_b32_e32 v0, v40, v0, vcc
	v_cndmask_b32_e32 v52, v52, v54, vcc
	v_lshlrev_b32_e32 v53, 24, v53
	v_lshlrev_b32_e32 v52, 20, v52
	v_and_b32_e32 v53, 0x80000000, v53
	v_lshl_add_u32 v0, v0, 23, v57
	v_or3_b32 v52, v53, v0, v52
.LBB217_321:                            ;   in Loop: Header=BB217_14 Depth=1
	s_or_b64 exec, exec, s[36:37]
.LBB217_322:                            ;   in Loop: Header=BB217_14 Depth=1
	s_or_b64 exec, exec, s[34:35]
.LBB217_323:                            ;   in Loop: Header=BB217_14 Depth=1
	s_or_b64 exec, exec, s[30:31]
	flat_load_ubyte v53, v[60:61] offset:12
	s_waitcnt vmcnt(0) lgkmcnt(0)
	v_cmp_ne_u16_e32 vcc, 0, v53
	s_and_saveexec_b64 s[30:31], vcc
	s_cbranch_execz .LBB217_329
; %bb.324:                              ;   in Loop: Header=BB217_14 Depth=1
	v_cmp_ne_u16_e32 vcc, s39, v53
	v_bfrev_b32_e32 v2, 1
	s_and_saveexec_b64 s[34:35], vcc
	s_cbranch_execz .LBB217_328
; %bb.325:                              ;   in Loop: Header=BB217_14 Depth=1
	v_and_b32_e32 v0, 0xffff, v53
	v_and_b32_e32 v54, 0x7f, v0
	v_cmp_ne_u32_e32 vcc, s40, v54
	v_mov_b32_e32 v2, 0x7f800001
	s_and_saveexec_b64 s[36:37], vcc
	s_cbranch_execz .LBB217_327
; %bb.326:                              ;   in Loop: Header=BB217_14 Depth=1
	v_and_b32_e32 v2, 7, v0
	v_lshrrev_b32_e32 v40, 3, v54
	v_cmp_gt_u32_e32 vcc, 8, v54
	v_ffbh_u32_e32 v54, v2
	v_min_u32_e32 v41, 32, v54
	v_subrev_u32_e32 v54, 28, v41
	v_lshlrev_b64 v[54:55], v54, v[0:1]
	v_sub_u32_e32 v0, 29, v41
	v_and_b32_e32 v54, 7, v54
	v_cndmask_b32_e32 v0, v40, v0, vcc
	v_cndmask_b32_e32 v2, v2, v54, vcc
	v_lshlrev_b32_e32 v53, 24, v53
	v_lshlrev_b32_e32 v2, 20, v2
	v_and_b32_e32 v53, 0x80000000, v53
	v_lshl_add_u32 v0, v0, 23, v57
	v_or3_b32 v2, v53, v0, v2
.LBB217_327:                            ;   in Loop: Header=BB217_14 Depth=1
	s_or_b64 exec, exec, s[36:37]
.LBB217_328:                            ;   in Loop: Header=BB217_14 Depth=1
	s_or_b64 exec, exec, s[34:35]
.LBB217_329:                            ;   in Loop: Header=BB217_14 Depth=1
	s_or_b64 exec, exec, s[30:31]
	flat_load_ubyte v55, v[12:13] offset:3328
	v_mov_b32_e32 v53, 0
	v_mov_b32_e32 v54, 0
	s_waitcnt vmcnt(0) lgkmcnt(0)
	v_cmp_ne_u16_e32 vcc, 0, v55
	s_and_saveexec_b64 s[30:31], vcc
	s_cbranch_execz .LBB217_335
; %bb.330:                              ;   in Loop: Header=BB217_14 Depth=1
	v_cmp_ne_u16_e32 vcc, s39, v55
	v_bfrev_b32_e32 v54, 1
	s_and_saveexec_b64 s[34:35], vcc
	s_cbranch_execz .LBB217_334
; %bb.331:                              ;   in Loop: Header=BB217_14 Depth=1
	v_and_b32_e32 v0, 0xffff, v55
	v_and_b32_e32 v40, 0x7f, v0
	v_cmp_ne_u32_e32 vcc, s40, v40
	v_mov_b32_e32 v54, 0x7f800001
	s_and_saveexec_b64 s[36:37], vcc
	s_cbranch_execz .LBB217_333
; %bb.332:                              ;   in Loop: Header=BB217_14 Depth=1
	v_and_b32_e32 v54, 7, v0
	v_lshrrev_b32_e32 v42, 3, v40
	v_cmp_gt_u32_e32 vcc, 8, v40
	v_ffbh_u32_e32 v40, v54
	v_min_u32_e32 v43, 32, v40
	v_subrev_u32_e32 v40, 28, v43
	v_lshlrev_b64 v[40:41], v40, v[0:1]
	v_sub_u32_e32 v0, 29, v43
	v_and_b32_e32 v40, 7, v40
	v_cndmask_b32_e32 v0, v42, v0, vcc
	v_cndmask_b32_e32 v54, v54, v40, vcc
	v_lshlrev_b32_e32 v55, 24, v55
	v_lshlrev_b32_e32 v54, 20, v54
	v_and_b32_e32 v55, 0x80000000, v55
	v_lshl_add_u32 v0, v0, 23, v57
	v_or3_b32 v54, v55, v0, v54
.LBB217_333:                            ;   in Loop: Header=BB217_14 Depth=1
	s_or_b64 exec, exec, s[36:37]
.LBB217_334:                            ;   in Loop: Header=BB217_14 Depth=1
	s_or_b64 exec, exec, s[34:35]
.LBB217_335:                            ;   in Loop: Header=BB217_14 Depth=1
	s_or_b64 exec, exec, s[30:31]
	flat_load_ubyte v55, v[12:13] offset:3332
	s_waitcnt vmcnt(0) lgkmcnt(0)
	v_cmp_ne_u16_e32 vcc, 0, v55
	s_and_saveexec_b64 s[30:31], vcc
	s_cbranch_execz .LBB217_341
; %bb.336:                              ;   in Loop: Header=BB217_14 Depth=1
	v_cmp_ne_u16_e32 vcc, s39, v55
	v_bfrev_b32_e32 v53, 1
	s_and_saveexec_b64 s[34:35], vcc
	s_cbranch_execz .LBB217_340
; %bb.337:                              ;   in Loop: Header=BB217_14 Depth=1
	v_and_b32_e32 v0, 0xffff, v55
	v_and_b32_e32 v40, 0x7f, v0
	v_cmp_ne_u32_e32 vcc, s40, v40
	v_mov_b32_e32 v53, 0x7f800001
	s_and_saveexec_b64 s[36:37], vcc
	s_cbranch_execz .LBB217_339
; %bb.338:                              ;   in Loop: Header=BB217_14 Depth=1
	v_and_b32_e32 v53, 7, v0
	v_lshrrev_b32_e32 v42, 3, v40
	v_cmp_gt_u32_e32 vcc, 8, v40
	v_ffbh_u32_e32 v40, v53
	v_min_u32_e32 v43, 32, v40
	v_subrev_u32_e32 v40, 28, v43
	v_lshlrev_b64 v[40:41], v40, v[0:1]
	v_sub_u32_e32 v0, 29, v43
	v_and_b32_e32 v40, 7, v40
	v_cndmask_b32_e32 v0, v42, v0, vcc
	v_cndmask_b32_e32 v53, v53, v40, vcc
	v_lshlrev_b32_e32 v55, 24, v55
	v_lshlrev_b32_e32 v53, 20, v53
	v_and_b32_e32 v55, 0x80000000, v55
	v_lshl_add_u32 v0, v0, 23, v57
	v_or3_b32 v53, v55, v0, v53
.LBB217_339:                            ;   in Loop: Header=BB217_14 Depth=1
	s_or_b64 exec, exec, s[36:37]
.LBB217_340:                            ;   in Loop: Header=BB217_14 Depth=1
	s_or_b64 exec, exec, s[34:35]
.LBB217_341:                            ;   in Loop: Header=BB217_14 Depth=1
	s_or_b64 exec, exec, s[30:31]
	v_add_co_u32_e32 v60, vcc, 0xd00, v12
	v_addc_co_u32_e32 v61, vcc, 0, v13, vcc
	flat_load_ubyte v41, v[60:61] offset:8
	v_mov_b32_e32 v55, 0
	v_mov_b32_e32 v40, 0
	s_waitcnt vmcnt(0) lgkmcnt(0)
	v_cmp_ne_u16_e32 vcc, 0, v41
	s_and_saveexec_b64 s[30:31], vcc
	s_cbranch_execz .LBB217_347
; %bb.342:                              ;   in Loop: Header=BB217_14 Depth=1
	v_cmp_ne_u16_e32 vcc, s39, v41
	v_bfrev_b32_e32 v40, 1
	s_and_saveexec_b64 s[34:35], vcc
	s_cbranch_execz .LBB217_346
; %bb.343:                              ;   in Loop: Header=BB217_14 Depth=1
	v_and_b32_e32 v0, 0xffff, v41
	v_and_b32_e32 v42, 0x7f, v0
	v_cmp_ne_u32_e32 vcc, s40, v42
	v_mov_b32_e32 v40, 0x7f800001
	s_and_saveexec_b64 s[36:37], vcc
	s_cbranch_execz .LBB217_345
; %bb.344:                              ;   in Loop: Header=BB217_14 Depth=1
	v_and_b32_e32 v40, 7, v0
	v_lshrrev_b32_e32 v44, 3, v42
	v_cmp_gt_u32_e32 vcc, 8, v42
	v_ffbh_u32_e32 v42, v40
	v_min_u32_e32 v45, 32, v42
	v_subrev_u32_e32 v42, 28, v45
	v_lshlrev_b64 v[42:43], v42, v[0:1]
	v_sub_u32_e32 v0, 29, v45
	v_and_b32_e32 v42, 7, v42
	v_cndmask_b32_e32 v0, v44, v0, vcc
	v_cndmask_b32_e32 v40, v40, v42, vcc
	v_lshlrev_b32_e32 v41, 24, v41
	v_lshlrev_b32_e32 v40, 20, v40
	v_and_b32_e32 v41, 0x80000000, v41
	v_lshl_add_u32 v0, v0, 23, v57
	v_or3_b32 v40, v41, v0, v40
.LBB217_345:                            ;   in Loop: Header=BB217_14 Depth=1
	s_or_b64 exec, exec, s[36:37]
.LBB217_346:                            ;   in Loop: Header=BB217_14 Depth=1
	s_or_b64 exec, exec, s[34:35]
.LBB217_347:                            ;   in Loop: Header=BB217_14 Depth=1
	s_or_b64 exec, exec, s[30:31]
	flat_load_ubyte v41, v[60:61] offset:12
	s_waitcnt vmcnt(0) lgkmcnt(0)
	v_cmp_ne_u16_e32 vcc, 0, v41
	s_and_saveexec_b64 s[30:31], vcc
	s_cbranch_execz .LBB217_353
; %bb.348:                              ;   in Loop: Header=BB217_14 Depth=1
	v_cmp_ne_u16_e32 vcc, s39, v41
	v_bfrev_b32_e32 v55, 1
	s_and_saveexec_b64 s[34:35], vcc
	s_cbranch_execz .LBB217_352
; %bb.349:                              ;   in Loop: Header=BB217_14 Depth=1
	v_and_b32_e32 v0, 0xffff, v41
	v_and_b32_e32 v42, 0x7f, v0
	v_cmp_ne_u32_e32 vcc, s40, v42
	v_mov_b32_e32 v55, 0x7f800001
	s_and_saveexec_b64 s[36:37], vcc
	s_cbranch_execz .LBB217_351
; %bb.350:                              ;   in Loop: Header=BB217_14 Depth=1
	v_and_b32_e32 v55, 7, v0
	v_lshrrev_b32_e32 v44, 3, v42
	v_cmp_gt_u32_e32 vcc, 8, v42
	v_ffbh_u32_e32 v42, v55
	v_min_u32_e32 v45, 32, v42
	v_subrev_u32_e32 v42, 28, v45
	v_lshlrev_b64 v[42:43], v42, v[0:1]
	v_sub_u32_e32 v0, 29, v45
	v_and_b32_e32 v42, 7, v42
	v_cndmask_b32_e32 v0, v44, v0, vcc
	v_cndmask_b32_e32 v55, v55, v42, vcc
	v_lshlrev_b32_e32 v41, 24, v41
	v_lshlrev_b32_e32 v55, 20, v55
	v_and_b32_e32 v41, 0x80000000, v41
	v_lshl_add_u32 v0, v0, 23, v57
	v_or3_b32 v55, v41, v0, v55
.LBB217_351:                            ;   in Loop: Header=BB217_14 Depth=1
	s_or_b64 exec, exec, s[36:37]
.LBB217_352:                            ;   in Loop: Header=BB217_14 Depth=1
	s_or_b64 exec, exec, s[34:35]
.LBB217_353:                            ;   in Loop: Header=BB217_14 Depth=1
	s_or_b64 exec, exec, s[30:31]
	flat_load_ubyte v43, v[12:13] offset:3584
	v_mov_b32_e32 v41, 0
	v_mov_b32_e32 v42, 0
	s_waitcnt vmcnt(0) lgkmcnt(0)
	v_cmp_ne_u16_e32 vcc, 0, v43
	s_and_saveexec_b64 s[30:31], vcc
	s_cbranch_execz .LBB217_359
; %bb.354:                              ;   in Loop: Header=BB217_14 Depth=1
	v_cmp_ne_u16_e32 vcc, s39, v43
	v_bfrev_b32_e32 v42, 1
	s_and_saveexec_b64 s[34:35], vcc
	s_cbranch_execz .LBB217_358
; %bb.355:                              ;   in Loop: Header=BB217_14 Depth=1
	v_and_b32_e32 v0, 0xffff, v43
	v_and_b32_e32 v44, 0x7f, v0
	v_cmp_ne_u32_e32 vcc, s40, v44
	v_mov_b32_e32 v42, 0x7f800001
	s_and_saveexec_b64 s[36:37], vcc
	s_cbranch_execz .LBB217_357
; %bb.356:                              ;   in Loop: Header=BB217_14 Depth=1
	v_and_b32_e32 v42, 7, v0
	v_lshrrev_b32_e32 v46, 3, v44
	v_cmp_gt_u32_e32 vcc, 8, v44
	v_ffbh_u32_e32 v44, v42
	v_min_u32_e32 v47, 32, v44
	v_subrev_u32_e32 v44, 28, v47
	v_lshlrev_b64 v[44:45], v44, v[0:1]
	v_sub_u32_e32 v0, 29, v47
	v_and_b32_e32 v44, 7, v44
	v_cndmask_b32_e32 v0, v46, v0, vcc
	v_cndmask_b32_e32 v42, v42, v44, vcc
	v_lshlrev_b32_e32 v43, 24, v43
	v_lshlrev_b32_e32 v42, 20, v42
	v_and_b32_e32 v43, 0x80000000, v43
	v_lshl_add_u32 v0, v0, 23, v57
	v_or3_b32 v42, v43, v0, v42
.LBB217_357:                            ;   in Loop: Header=BB217_14 Depth=1
	s_or_b64 exec, exec, s[36:37]
.LBB217_358:                            ;   in Loop: Header=BB217_14 Depth=1
	s_or_b64 exec, exec, s[34:35]
.LBB217_359:                            ;   in Loop: Header=BB217_14 Depth=1
	s_or_b64 exec, exec, s[30:31]
	flat_load_ubyte v43, v[12:13] offset:3588
	s_waitcnt vmcnt(0) lgkmcnt(0)
	v_cmp_ne_u16_e32 vcc, 0, v43
	s_and_saveexec_b64 s[30:31], vcc
	s_cbranch_execz .LBB217_365
; %bb.360:                              ;   in Loop: Header=BB217_14 Depth=1
	v_cmp_ne_u16_e32 vcc, s39, v43
	v_bfrev_b32_e32 v41, 1
	s_and_saveexec_b64 s[34:35], vcc
	s_cbranch_execz .LBB217_364
; %bb.361:                              ;   in Loop: Header=BB217_14 Depth=1
	v_and_b32_e32 v0, 0xffff, v43
	v_and_b32_e32 v44, 0x7f, v0
	v_cmp_ne_u32_e32 vcc, s40, v44
	v_mov_b32_e32 v41, 0x7f800001
	s_and_saveexec_b64 s[36:37], vcc
	s_cbranch_execz .LBB217_363
; %bb.362:                              ;   in Loop: Header=BB217_14 Depth=1
	v_and_b32_e32 v41, 7, v0
	v_lshrrev_b32_e32 v46, 3, v44
	v_cmp_gt_u32_e32 vcc, 8, v44
	v_ffbh_u32_e32 v44, v41
	v_min_u32_e32 v47, 32, v44
	v_subrev_u32_e32 v44, 28, v47
	v_lshlrev_b64 v[44:45], v44, v[0:1]
	v_sub_u32_e32 v0, 29, v47
	v_and_b32_e32 v44, 7, v44
	v_cndmask_b32_e32 v0, v46, v0, vcc
	v_cndmask_b32_e32 v41, v41, v44, vcc
	v_lshlrev_b32_e32 v43, 24, v43
	v_lshlrev_b32_e32 v41, 20, v41
	v_and_b32_e32 v43, 0x80000000, v43
	v_lshl_add_u32 v0, v0, 23, v57
	v_or3_b32 v41, v43, v0, v41
.LBB217_363:                            ;   in Loop: Header=BB217_14 Depth=1
	s_or_b64 exec, exec, s[36:37]
.LBB217_364:                            ;   in Loop: Header=BB217_14 Depth=1
	s_or_b64 exec, exec, s[34:35]
.LBB217_365:                            ;   in Loop: Header=BB217_14 Depth=1
	s_or_b64 exec, exec, s[30:31]
	v_add_co_u32_e32 v60, vcc, 0xe00, v12
	v_addc_co_u32_e32 v61, vcc, 0, v13, vcc
	flat_load_ubyte v45, v[60:61] offset:8
	v_mov_b32_e32 v43, 0
	v_mov_b32_e32 v44, 0
	s_waitcnt vmcnt(0) lgkmcnt(0)
	v_cmp_ne_u16_e32 vcc, 0, v45
	s_and_saveexec_b64 s[30:31], vcc
	s_cbranch_execz .LBB217_371
; %bb.366:                              ;   in Loop: Header=BB217_14 Depth=1
	v_cmp_ne_u16_e32 vcc, s39, v45
	v_bfrev_b32_e32 v44, 1
	s_and_saveexec_b64 s[34:35], vcc
	s_cbranch_execz .LBB217_370
; %bb.367:                              ;   in Loop: Header=BB217_14 Depth=1
	v_and_b32_e32 v0, 0xffff, v45
	v_and_b32_e32 v46, 0x7f, v0
	v_cmp_ne_u32_e32 vcc, s40, v46
	v_mov_b32_e32 v44, 0x7f800001
	s_and_saveexec_b64 s[36:37], vcc
	s_cbranch_execz .LBB217_369
; %bb.368:                              ;   in Loop: Header=BB217_14 Depth=1
	v_and_b32_e32 v44, 7, v0
	v_lshrrev_b32_e32 v56, 3, v46
	v_cmp_gt_u32_e32 vcc, 8, v46
	v_ffbh_u32_e32 v46, v44
	v_min_u32_e32 v57, 32, v46
	v_subrev_u32_e32 v46, 28, v57
	v_lshlrev_b64 v[46:47], v46, v[0:1]
	v_sub_u32_e32 v0, 29, v57
	v_and_b32_e32 v46, 7, v46
	v_bfrev_b32_e32 v57, 60
	v_cndmask_b32_e32 v0, v56, v0, vcc
	v_cndmask_b32_e32 v44, v44, v46, vcc
	v_lshlrev_b32_e32 v45, 24, v45
	v_lshlrev_b32_e32 v44, 20, v44
	v_and_b32_e32 v45, 0x80000000, v45
	v_lshl_add_u32 v0, v0, 23, v57
	v_accvgpr_read_b32 v56, a42
	v_or3_b32 v44, v45, v0, v44
.LBB217_369:                            ;   in Loop: Header=BB217_14 Depth=1
	s_or_b64 exec, exec, s[36:37]
.LBB217_370:                            ;   in Loop: Header=BB217_14 Depth=1
	s_or_b64 exec, exec, s[34:35]
.LBB217_371:                            ;   in Loop: Header=BB217_14 Depth=1
	s_or_b64 exec, exec, s[30:31]
	flat_load_ubyte v0, v[60:61] offset:12
	s_waitcnt vmcnt(0) lgkmcnt(0)
	v_cmp_ne_u16_e32 vcc, 0, v0
	s_and_saveexec_b64 s[30:31], vcc
	s_cbranch_execz .LBB217_377
; %bb.372:                              ;   in Loop: Header=BB217_14 Depth=1
	v_cmp_ne_u16_e32 vcc, s39, v0
	v_bfrev_b32_e32 v43, 1
	s_and_saveexec_b64 s[34:35], vcc
	s_cbranch_execz .LBB217_376
; %bb.373:                              ;   in Loop: Header=BB217_14 Depth=1
	v_and_b32_e32 v60, 0xffff, v0
	v_and_b32_e32 v45, 0x7f, v60
	v_cmp_ne_u32_e32 vcc, s40, v45
	v_mov_b32_e32 v43, 0x7f800001
	s_and_saveexec_b64 s[36:37], vcc
	s_cbranch_execz .LBB217_375
; %bb.374:                              ;   in Loop: Header=BB217_14 Depth=1
	v_and_b32_e32 v43, 7, v60
	v_lshrrev_b32_e32 v56, 3, v45
	v_cmp_gt_u32_e32 vcc, 8, v45
	v_ffbh_u32_e32 v45, v43
	v_min_u32_e32 v45, 32, v45
	v_subrev_u32_e32 v46, 28, v45
	v_lshlrev_b64 v[46:47], v46, v[60:61]
	v_sub_u32_e32 v45, 29, v45
	v_and_b32_e32 v46, 7, v46
	v_cndmask_b32_e32 v45, v56, v45, vcc
	v_cndmask_b32_e32 v43, v43, v46, vcc
	v_lshlrev_b32_e32 v0, 24, v0
	v_lshlrev_b32_e32 v43, 20, v43
	v_and_b32_e32 v0, 0x80000000, v0
	v_lshl_add_u32 v45, v45, 23, v57
	v_accvgpr_read_b32 v56, a42
	v_or3_b32 v43, v0, v45, v43
.LBB217_375:                            ;   in Loop: Header=BB217_14 Depth=1
	s_or_b64 exec, exec, s[36:37]
.LBB217_376:                            ;   in Loop: Header=BB217_14 Depth=1
	s_or_b64 exec, exec, s[34:35]
.LBB217_377:                            ;   in Loop: Header=BB217_14 Depth=1
	s_or_b64 exec, exec, s[30:31]
	flat_load_ubyte v46, v[12:13] offset:3840
	v_mov_b32_e32 v0, 0
	v_mov_b32_e32 v45, 0
	s_waitcnt vmcnt(0) lgkmcnt(0)
	v_cmp_ne_u16_e32 vcc, 0, v46
	s_and_saveexec_b64 s[30:31], vcc
	s_cbranch_execz .LBB217_383
; %bb.378:                              ;   in Loop: Header=BB217_14 Depth=1
	v_cmp_ne_u16_e32 vcc, s39, v46
	v_bfrev_b32_e32 v45, 1
	s_and_saveexec_b64 s[34:35], vcc
	s_cbranch_execz .LBB217_382
; %bb.379:                              ;   in Loop: Header=BB217_14 Depth=1
	v_and_b32_e32 v60, 0xffff, v46
	v_and_b32_e32 v47, 0x7f, v60
	v_cmp_ne_u32_e32 vcc, s40, v47
	v_mov_b32_e32 v45, 0x7f800001
	s_and_saveexec_b64 s[36:37], vcc
	s_cbranch_execz .LBB217_381
; %bb.380:                              ;   in Loop: Header=BB217_14 Depth=1
	buffer_load_dword v59, off, s[0:3], s32 offset:312 ; 4-byte Folded Reload
	v_and_b32_e32 v45, 7, v60
	v_lshrrev_b32_e32 v58, 3, v47
	v_cmp_gt_u32_e32 vcc, 8, v47
	v_ffbh_u32_e32 v47, v45
	v_min_u32_e32 v47, 32, v47
	v_subrev_u32_e32 v56, 28, v47
	v_lshlrev_b64 v[56:57], v56, v[60:61]
	v_sub_u32_e32 v47, 29, v47
	v_and_b32_e32 v56, 7, v56
	v_bfrev_b32_e32 v57, 60
	v_cndmask_b32_e32 v47, v58, v47, vcc
	v_cndmask_b32_e32 v45, v45, v56, vcc
	v_lshlrev_b32_e32 v46, 24, v46
	v_accvgpr_mov_b32 a45, a35
	v_lshlrev_b32_e32 v45, 20, v45
	v_and_b32_e32 v46, 0x80000000, v46
	v_lshl_add_u32 v47, v47, 23, v57
	v_accvgpr_mov_b32 a44, a34
	v_accvgpr_read_b32 v56, a42
	v_or3_b32 v45, v46, v47, v45
.LBB217_381:                            ;   in Loop: Header=BB217_14 Depth=1
	s_or_b64 exec, exec, s[36:37]
.LBB217_382:                            ;   in Loop: Header=BB217_14 Depth=1
	s_or_b64 exec, exec, s[34:35]
.LBB217_383:                            ;   in Loop: Header=BB217_14 Depth=1
	s_or_b64 exec, exec, s[30:31]
	flat_load_ubyte v46, v[12:13] offset:3844
	s_waitcnt vmcnt(0) lgkmcnt(0)
	v_cmp_ne_u16_e32 vcc, 0, v46
	s_and_saveexec_b64 s[30:31], vcc
	s_cbranch_execz .LBB217_389
; %bb.384:                              ;   in Loop: Header=BB217_14 Depth=1
	v_cmp_ne_u16_e32 vcc, s39, v46
	v_bfrev_b32_e32 v0, 1
	s_and_saveexec_b64 s[34:35], vcc
	s_cbranch_execz .LBB217_388
; %bb.385:                              ;   in Loop: Header=BB217_14 Depth=1
	v_and_b32_e32 v60, 0xffff, v46
	v_and_b32_e32 v47, 0x7f, v60
	v_cmp_ne_u32_e32 vcc, s40, v47
	v_mov_b32_e32 v0, 0x7f800001
	s_and_saveexec_b64 s[36:37], vcc
	s_cbranch_execz .LBB217_387
; %bb.386:                              ;   in Loop: Header=BB217_14 Depth=1
	buffer_load_dword v59, off, s[0:3], s32 offset:312 ; 4-byte Folded Reload
	v_and_b32_e32 v0, 7, v60
	v_lshrrev_b32_e32 v58, 3, v47
	v_cmp_gt_u32_e32 vcc, 8, v47
	v_ffbh_u32_e32 v47, v0
	v_min_u32_e32 v47, 32, v47
	v_subrev_u32_e32 v56, 28, v47
	v_lshlrev_b64 v[56:57], v56, v[60:61]
	v_sub_u32_e32 v47, 29, v47
	v_and_b32_e32 v56, 7, v56
	v_bfrev_b32_e32 v57, 60
	v_cndmask_b32_e32 v47, v58, v47, vcc
	v_cndmask_b32_e32 v0, v0, v56, vcc
	v_lshlrev_b32_e32 v46, 24, v46
	v_accvgpr_mov_b32 a45, a35
	v_lshlrev_b32_e32 v0, 20, v0
	v_and_b32_e32 v46, 0x80000000, v46
	v_lshl_add_u32 v47, v47, 23, v57
	v_accvgpr_mov_b32 a44, a34
	v_accvgpr_read_b32 v56, a42
	v_or3_b32 v0, v46, v47, v0
.LBB217_387:                            ;   in Loop: Header=BB217_14 Depth=1
	s_or_b64 exec, exec, s[36:37]
.LBB217_388:                            ;   in Loop: Header=BB217_14 Depth=1
	s_or_b64 exec, exec, s[34:35]
.LBB217_389:                            ;   in Loop: Header=BB217_14 Depth=1
	s_or_b64 exec, exec, s[30:31]
	v_add_co_u32_e32 v12, vcc, 0xf00, v12
	v_addc_co_u32_e32 v13, vcc, 0, v13, vcc
	flat_load_ubyte v61, v[12:13] offset:8
	v_mov_b32_e32 v46, 0
	v_mov_b32_e32 v47, 0
	s_waitcnt vmcnt(0) lgkmcnt(0)
	v_cmp_ne_u16_e32 vcc, 0, v61
	s_and_saveexec_b64 s[30:31], vcc
	s_cbranch_execz .LBB217_395
; %bb.390:                              ;   in Loop: Header=BB217_14 Depth=1
	v_cmp_ne_u16_e32 vcc, s39, v61
	v_bfrev_b32_e32 v47, 1
	s_and_saveexec_b64 s[34:35], vcc
	s_cbranch_execz .LBB217_394
; %bb.391:                              ;   in Loop: Header=BB217_14 Depth=1
	v_and_b32_e32 v60, 0xffff, v61
	v_and_b32_e32 v56, 0x7f, v60
	v_cmp_ne_u32_e32 vcc, s40, v56
	v_mov_b32_e32 v47, 0x7f800001
	s_and_saveexec_b64 s[36:37], vcc
	s_cbranch_execz .LBB217_393
; %bb.392:                              ;   in Loop: Header=BB217_14 Depth=1
	v_and_b32_e32 v47, 7, v60
	v_lshrrev_b32_e32 v57, 3, v56
	v_cmp_gt_u32_e32 vcc, 8, v56
	v_ffbh_u32_e32 v56, v47
	v_min_u32_e32 v59, 32, v56
	v_subrev_u32_e32 v56, 28, v59
	v_accvgpr_write_b32 a44, v57
	v_lshlrev_b64 v[56:57], v56, v[60:61]
	v_sub_u32_e32 v57, 29, v59
	v_accvgpr_read_b32 v59, a44
	buffer_load_dword a5, off, s[0:3], s32 offset:336 ; 4-byte Folded Reload
	v_cndmask_b32_e32 v57, v59, v57, vcc
	buffer_load_dword v59, off, s[0:3], s32 offset:312 ; 4-byte Folded Reload
	v_and_b32_e32 v56, 7, v56
	v_bfrev_b32_e32 v58, 60
	v_cndmask_b32_e32 v47, v47, v56, vcc
	v_lshlrev_b32_e32 v56, 24, v61
	v_accvgpr_mov_b32 a45, a35
	v_lshlrev_b32_e32 v47, 20, v47
	v_and_b32_e32 v56, 0x80000000, v56
	v_lshl_add_u32 v57, v57, 23, v58
	v_accvgpr_mov_b32 a44, a34
	v_or3_b32 v47, v56, v57, v47
	v_bfrev_b32_e32 v57, 60
.LBB217_393:                            ;   in Loop: Header=BB217_14 Depth=1
	s_or_b64 exec, exec, s[36:37]
	v_accvgpr_read_b32 v56, a42
.LBB217_394:                            ;   in Loop: Header=BB217_14 Depth=1
	s_or_b64 exec, exec, s[34:35]
.LBB217_395:                            ;   in Loop: Header=BB217_14 Depth=1
	s_or_b64 exec, exec, s[30:31]
	flat_load_ubyte v13, v[12:13] offset:12
	v_mov_b32_e32 v60, v3
	s_waitcnt vmcnt(0) lgkmcnt(0)
	v_cmp_ne_u16_e32 vcc, 0, v13
	s_and_saveexec_b64 s[30:31], vcc
	s_cbranch_execz .LBB217_401
; %bb.396:                              ;   in Loop: Header=BB217_14 Depth=1
	v_cmp_ne_u16_e32 vcc, s39, v13
	v_bfrev_b32_e32 v46, 1
	s_and_saveexec_b64 s[34:35], vcc
	s_cbranch_execz .LBB217_400
; %bb.397:                              ;   in Loop: Header=BB217_14 Depth=1
	v_and_b32_e32 v12, 0xffff, v13
	v_and_b32_e32 v56, 0x7f, v12
	v_cmp_ne_u32_e32 vcc, s40, v56
	v_mov_b32_e32 v46, 0x7f800001
	s_and_saveexec_b64 s[36:37], vcc
	s_cbranch_execz .LBB217_399
; %bb.398:                              ;   in Loop: Header=BB217_14 Depth=1
	v_and_b32_e32 v46, 7, v12
	v_lshrrev_b32_e32 v58, 3, v56
	v_cmp_gt_u32_e32 vcc, 8, v56
	v_ffbh_u32_e32 v56, v46
	v_min_u32_e32 v59, 32, v56
	v_subrev_u32_e32 v56, 28, v59
	v_lshlrev_b64 v[56:57], v56, v[12:13]
	v_sub_u32_e32 v12, 29, v59
	buffer_load_dword a5, off, s[0:3], s32 offset:336 ; 4-byte Folded Reload
	buffer_load_dword v59, off, s[0:3], s32 offset:312 ; 4-byte Folded Reload
	v_and_b32_e32 v56, 7, v56
	v_bfrev_b32_e32 v57, 60
	v_cndmask_b32_e32 v12, v58, v12, vcc
	v_cndmask_b32_e32 v46, v46, v56, vcc
	v_lshlrev_b32_e32 v13, 24, v13
	v_accvgpr_mov_b32 a45, a35
	v_lshlrev_b32_e32 v46, 20, v46
	v_and_b32_e32 v13, 0x80000000, v13
	v_lshl_add_u32 v12, v12, 23, v57
	v_accvgpr_mov_b32 a44, a34
	v_or3_b32 v46, v13, v12, v46
.LBB217_399:                            ;   in Loop: Header=BB217_14 Depth=1
	s_or_b64 exec, exec, s[36:37]
	v_accvgpr_read_b32 v56, a42
.LBB217_400:                            ;   in Loop: Header=BB217_14 Depth=1
	s_or_b64 exec, exec, s[34:35]
.LBB217_401:                            ;   in Loop: Header=BB217_14 Depth=1
	s_or_b64 exec, exec, s[30:31]
	buffer_load_dword v3, off, s[0:3], s32 offset:196 ; 4-byte Folded Reload
	v_mul_f32_e32 v12, v14, v31
	v_mul_f32_e32 v13, v14, v29
	;; [unrolled: 1-line block ×3, first 2 shown]
	v_fmac_f32_e32 v12, v22, v13
	v_mul_f32_e32 v13, v14, v21
	v_fmac_f32_e32 v12, v24, v13
	v_mul_f32_e32 v13, v14, v28
	;; [unrolled: 2-line block ×3, first 2 shown]
	v_mul_f32_e32 v4, v14, v4
	v_mul_f32_e32 v31, v14, v51
	;; [unrolled: 1-line block ×21, first 2 shown]
	s_waitcnt vmcnt(0)
	v_mul_f32_e32 v13, v14, v3
	buffer_load_dword v3, off, s[0:3], s32 offset:204 ; 4-byte Folded Reload
	v_fmac_f32_e32 v12, v6, v13
	v_mul_f32_e32 v13, v14, v20
	v_fmac_f32_e32 v12, v7, v13
	v_accvgpr_read_b32 v20, a36
	v_accvgpr_read_b32 v21, a37
	;; [unrolled: 1-line block ×4, first 2 shown]
	s_waitcnt vmcnt(0)
	v_mul_f32_e32 v13, v14, v3
	buffer_load_dword v3, off, s[0:3], s32 offset:200 ; 4-byte Folded Reload
	v_fmac_f32_e32 v12, v8, v13
	s_waitcnt vmcnt(0)
	v_mul_f32_e32 v13, v14, v3
	buffer_load_dword v3, off, s[0:3], s32 offset:212 ; 4-byte Folded Reload
	v_fmac_f32_e32 v12, v9, v13
	v_accvgpr_read_b32 v6, a30
	v_accvgpr_read_b32 v7, a31
	;; [unrolled: 1-line block ×4, first 2 shown]
	s_waitcnt vmcnt(0)
	v_mul_f32_e32 v13, v14, v3
	buffer_load_dword v3, off, s[0:3], s32 offset:208 ; 4-byte Folded Reload
	v_fmac_f32_e32 v12, v6, v13
	v_mul_f32_e32 v13, v14, v41
	s_waitcnt vmcnt(0)
	v_mul_f32_e32 v6, v14, v3
	buffer_load_dword v3, off, s[0:3], s32 offset:220 ; 4-byte Folded Reload
	v_fmac_f32_e32 v12, v7, v6
	v_mul_f32_e32 v7, v14, v45
	;; [unrolled: 5-line block ×4, first 2 shown]
	s_waitcnt vmcnt(0)
	v_mul_f32_e32 v6, v14, v3
	buffer_load_dword v3, off, s[0:3], s32 offset:224 ; 4-byte Folded Reload
	v_fmac_f32_e32 v12, v20, v6
	s_waitcnt vmcnt(0)
	v_mul_f32_e32 v6, v14, v3
	buffer_load_dword v3, off, s[0:3], s32 offset:236 ; 4-byte Folded Reload
	v_fmac_f32_e32 v12, v21, v6
	s_waitcnt vmcnt(0)
	v_mul_f32_e32 v6, v14, v3
	buffer_load_dword v3, off, s[0:3], s32 offset:232 ; 4-byte Folded Reload
	v_fmac_f32_e32 v12, v22, v6
	s_waitcnt vmcnt(0)
	v_mul_f32_e32 v6, v14, v3
	buffer_load_dword v3, off, s[0:3], s32 offset:244 ; 4-byte Folded Reload
	v_fmac_f32_e32 v12, v23, v6
	v_accvgpr_read_b32 v20, a22
	v_accvgpr_read_b32 v21, a23
	v_accvgpr_read_b32 v22, a24
	v_accvgpr_read_b32 v23, a25
	s_waitcnt vmcnt(0)
	v_mul_f32_e32 v6, v14, v3
	buffer_load_dword v3, off, s[0:3], s32 offset:240 ; 4-byte Folded Reload
	v_fmac_f32_e32 v12, v20, v6
	s_waitcnt vmcnt(0)
	v_mul_f32_e32 v6, v14, v3
	buffer_load_dword v3, off, s[0:3], s32 offset:252 ; 4-byte Folded Reload
	v_fmac_f32_e32 v12, v21, v6
	s_waitcnt vmcnt(0)
	v_mul_f32_e32 v6, v14, v3
	buffer_load_dword v3, off, s[0:3], s32 offset:248 ; 4-byte Folded Reload
	v_fmac_f32_e32 v12, v22, v6
	s_waitcnt vmcnt(0)
	v_mul_f32_e32 v6, v14, v3
	buffer_load_dword v3, off, s[0:3], s32 offset:260 ; 4-byte Folded Reload
	v_fmac_f32_e32 v12, v23, v6
	v_accvgpr_read_b32 v23, a3
	v_accvgpr_read_b32 v20, a0
	v_accvgpr_read_b32 v21, a1
	v_accvgpr_read_b32 v22, a2
	;; [unrolled: 20-line block ×3, first 2 shown]
	s_waitcnt vmcnt(0)
	v_mul_f32_e32 v6, v14, v3
	buffer_load_dword v3, off, s[0:3], s32 offset:272 ; 4-byte Folded Reload
	v_fmac_f32_e32 v12, v20, v6
	v_mul_f32_e32 v20, v14, v42
	s_waitcnt vmcnt(0)
	v_mul_f32_e32 v6, v14, v3
	buffer_load_dword v3, off, s[0:3], s32 offset:284 ; 4-byte Folded Reload
	v_fmac_f32_e32 v12, v21, v6
	v_mul_f32_e32 v21, v14, v55
	;; [unrolled: 5-line block ×3, first 2 shown]
	v_accvgpr_read_b32 v43, a29
	v_accvgpr_read_b32 v40, a26
	;; [unrolled: 1-line block ×4, first 2 shown]
	s_waitcnt vmcnt(0)
	v_mul_f32_e32 v6, v14, v3
	v_fmac_f32_e32 v12, v23, v6
	v_mul_f32_e32 v23, v14, v53
	v_mul_f32_e32 v53, v14, v50
	;; [unrolled: 1-line block ×3, first 2 shown]
	buffer_load_dword v1, off, s[0:3], s32 offset:288 ; 4-byte Folded Reload
	v_mul_f32_e32 v6, v14, v47
	s_waitcnt vmcnt(0)
	v_mul_f32_e32 v3, v14, v1
	v_accvgpr_read_b32 v1, a17
	v_mul_f32_e32 v52, v14, v1
	v_fmac_f32_e32 v12, v40, v52
	v_fmac_f32_e32 v12, v41, v3
	;; [unrolled: 1-line block ×4, first 2 shown]
	v_accvgpr_read_b32 v40, a60
	v_accvgpr_read_b32 v41, a61
	v_fmac_f32_e32 v12, v40, v16
	v_accvgpr_read_b32 v42, a62
	v_fmac_f32_e32 v12, v41, v5
	v_accvgpr_read_b32 v43, a63
	v_fmac_f32_e32 v12, v42, v18
	v_fmac_f32_e32 v12, v43, v17
	v_accvgpr_read_b32 v40, a56
	v_accvgpr_read_b32 v41, a57
	v_fmac_f32_e32 v12, v40, v50
	v_accvgpr_read_b32 v42, a58
	v_fmac_f32_e32 v12, v41, v19
	v_accvgpr_read_b32 v43, a59
	v_fmac_f32_e32 v12, v42, v33
	v_fmac_f32_e32 v12, v43, v32
	;; [unrolled: 8-line block ×3, first 2 shown]
	v_accvgpr_read_b32 v32, a48
	v_accvgpr_read_b32 v33, a49
	v_fmac_f32_e32 v12, v32, v39
	v_accvgpr_read_b32 v34, a50
	v_fmac_f32_e32 v12, v33, v38
	ds_read2_b64 v[16:19], v10 offset0:25 offset1:26
	v_accvgpr_read_b32 v35, a51
	v_fmac_f32_e32 v12, v34, v49
	v_fmac_f32_e32 v12, v35, v48
	v_accvgpr_read_b32 v32, a46
	v_accvgpr_read_b32 v33, a47
	v_fmac_f32_e32 v12, v32, v31
	v_fmac_f32_e32 v12, v33, v53
	ds_read2_b64 v[32:35], v10 offset0:27 offset1:28
	s_waitcnt lgkmcnt(1)
	v_fmac_f32_e32 v12, v16, v29
	v_fmac_f32_e32 v12, v17, v2
	;; [unrolled: 1-line block ×4, first 2 shown]
	ds_read2_b64 v[16:19], v10 offset0:29 offset1:30
	s_waitcnt lgkmcnt(1)
	v_fmac_f32_e32 v12, v32, v22
	v_fmac_f32_e32 v12, v33, v21
	;; [unrolled: 1-line block ×3, first 2 shown]
	ds_read_b64 v[20:21], v10 offset:248
	v_fmac_f32_e32 v12, v35, v13
	v_mul_f32_e32 v1, v14, v46
	v_accvgpr_read_b32 v14, a43
	s_waitcnt lgkmcnt(1)
	v_fmac_f32_e32 v12, v16, v9
	v_and_b32_e32 v3, 64, v14
	v_fmac_f32_e32 v12, v17, v8
	v_add_u32_e32 v3, 64, v3
	v_xor_b32_e32 v4, 2, v14
	v_fmac_f32_e32 v12, v18, v7
	v_cmp_lt_i32_e32 vcc, v4, v3
	v_fmac_f32_e32 v12, v19, v0
	v_cndmask_b32_e32 v4, v14, v4, vcc
	s_waitcnt lgkmcnt(0)
	v_fmac_f32_e32 v12, v20, v6
	v_lshlrev_b32_e32 v4, 2, v4
	v_fmac_f32_e32 v12, v21, v1
	ds_bpermute_b32 v0, v4, v12
	v_xor_b32_e32 v1, 1, v14
	v_cmp_lt_i32_e32 vcc, v1, v3
	v_cndmask_b32_e32 v1, v14, v1, vcc
	v_lshlrev_b32_e32 v1, 2, v1
	s_waitcnt lgkmcnt(0)
	v_add_f32_e32 v0, v12, v0
	ds_bpermute_b32 v1, v1, v0
	s_and_saveexec_b64 s[30:31], s[6:7]
	s_cbranch_execz .LBB217_12
; %bb.402:                              ;   in Loop: Header=BB217_14 Depth=1
	buffer_load_dword v2, off, s[0:3], s32 offset:308 ; 4-byte Folded Reload
	buffer_load_dword v4, off, s[0:3], s32 offset:300 ; 4-byte Folded Reload
	;; [unrolled: 1-line block ×3, first 2 shown]
	s_waitcnt lgkmcnt(0)
	v_add_f32_e32 v0, v0, v1
	v_accvgpr_read_b32 v1, a5
	s_load_dword vcc_lo, s[26:27], 0x0
	s_waitcnt vmcnt(2)
	v_add_u32_e32 v2, v2, v11
	v_cvt_f32_i32_e32 v2, v2
	s_waitcnt vmcnt(1)
	v_mul_f32_e32 v2, v4, v2
	v_cndmask_b32_e64 v2, 0, v2, s[8:9]
	v_fmac_f32_e32 v2, v0, v1
	buffer_load_dword v1, off, s[0:3], s32 offset:296 ; 4-byte Folded Reload
	s_waitcnt vmcnt(1)
	v_add_u32_e32 v3, v3, v11
	s_waitcnt lgkmcnt(0)
	v_add_u32_e32 v4, vcc_lo, v30
	v_cmp_lt_i32_e32 vcc, v3, v62
	v_cndmask_b32_e32 v0, 0, v2, vcc
	ds_write_b32 v4, v0
	s_waitcnt vmcnt(0)
	v_max_f32_e32 v0, v1, v1
	v_max_f32_e32 v0, v0, v2
	v_cndmask_b32_e32 v1, v1, v0, vcc
	buffer_store_dword v1, off, s[0:3], s32 offset:296 ; 4-byte Folded Spill
	s_branch .LBB217_12
.LBB217_403:
	s_or_b64 exec, exec, s[28:29]
	buffer_load_dword v15, off, s[0:3], s32 offset:400 ; 4-byte Folded Reload
	buffer_load_dword v14, off, s[0:3], s32 offset:396 ; 4-byte Folded Reload
	;; [unrolled: 1-line block ×7, first 2 shown]
	v_mbcnt_lo_u32_b32 v0, -1, 0
.LBB217_404:
	s_or_b64 exec, exec, s[24:25]
	v_mbcnt_hi_u32_b32 v0, -1, v0
	s_waitcnt lgkmcnt(0)
	v_and_b32_e32 v1, 64, v0
	v_add_u32_e32 v1, 64, v1
	v_xor_b32_e32 v2, 32, v0
	v_cmp_lt_i32_e32 vcc, v2, v1
	v_cndmask_b32_e32 v2, v0, v2, vcc
	v_lshlrev_b32_e32 v4, 2, v2
	s_waitcnt vmcnt(0)
	ds_bpermute_b32 v2, v4, v7
	v_xor_b32_e32 v5, 16, v0
	v_max_f32_e32 v3, v7, v7
	v_cmp_lt_i32_e32 vcc, v5, v1
	v_xor_b32_e32 v6, 8, v0
	s_waitcnt lgkmcnt(0)
	v_max_f32_e32 v2, v2, v2
	v_max_f32_e32 v2, v3, v2
	v_cndmask_b32_e32 v3, v0, v5, vcc
	v_lshlrev_b32_e32 v5, 2, v3
	ds_bpermute_b32 v3, v5, v2
	v_cmp_lt_i32_e32 vcc, v6, v1
	s_waitcnt lgkmcnt(0)
	v_max_f32_e32 v3, v3, v3
	v_max_f32_e32 v2, v2, v3
	v_cndmask_b32_e32 v3, v0, v6, vcc
	v_lshlrev_b32_e32 v8, 2, v3
	ds_bpermute_b32 v3, v8, v2
	v_xor_b32_e32 v6, 4, v0
	v_cmp_lt_i32_e32 vcc, v6, v1
	s_waitcnt lgkmcnt(0)
	v_max_f32_e32 v3, v3, v3
	v_max_f32_e32 v2, v2, v3
	v_cndmask_b32_e32 v3, v0, v6, vcc
	buffer_load_dword v6, off, s[0:3], s32 offset:292 ; 4-byte Folded Reload
	v_lshlrev_b32_e32 v19, 2, v3
	ds_bpermute_b32 v3, v19, v2
	s_waitcnt vmcnt(0)
	v_and_b32_e32 v26, 63, v6
	buffer_load_dword v6, off, s[0:3], s32 offset:320 ; 4-byte Folded Reload
	v_cmp_eq_u32_e32 vcc, 0, v26
	s_waitcnt vmcnt(0)
	v_lshlrev_b32_e32 v6, 2, v6
	s_and_saveexec_b64 s[6:7], vcc
	s_cbranch_execz .LBB217_406
; %bb.405:
	s_waitcnt lgkmcnt(0)
	v_max_f32_e32 v3, v3, v3
	v_max_f32_e32 v2, v2, v2
	v_max_f32_e32 v2, v2, v3
	ds_write_b32 v6, v2 offset:1024
.LBB217_406:
	s_or_b64 exec, exec, s[6:7]
	v_cmp_gt_u32_e64 s[6:7], 2, v26
	v_mov_b32_e32 v2, 0xff7fffff
	v_lshlrev_b32_e32 v7, 2, v26
	s_waitcnt lgkmcnt(0)
	s_barrier
	s_and_saveexec_b64 s[8:9], s[6:7]
	s_cbranch_execz .LBB217_408
; %bb.407:
	ds_read_b32 v2, v7 offset:1024
.LBB217_408:
	s_or_b64 exec, exec, s[8:9]
	buffer_load_dword v13, off, s[0:3], s32 offset:292 ; 4-byte Folded Reload
	v_xor_b32_e32 v3, 1, v0
	v_cmp_lt_i32_e64 s[8:9], v3, v1
	v_cndmask_b32_e64 v3, v0, v3, s[8:9]
	v_lshlrev_b32_e32 v27, 2, v3
	s_waitcnt lgkmcnt(0)
	ds_bpermute_b32 v3, v27, v2
	v_max_f32_e32 v2, v2, v2
	v_accvgpr_read_b32 v9, a13
	v_subrev_u32_e32 v9, s38, v9
	v_lshl_add_u32 v9, v9, 4, s23
	s_waitcnt lgkmcnt(0)
	v_max_f32_e32 v3, v3, v3
	v_max_f32_e32 v2, v2, v3
	v_lshlrev_b32_e32 v3, 2, v0
	v_and_b32_e32 v12, 0x100, v3
	ds_bpermute_b32 v2, v12, v2
	v_min_i32_e32 v9, v9, v62
	v_subrev_u32_e32 v3, s23, v9
	s_waitcnt vmcnt(0)
	v_cmp_lt_i32_e64 s[8:9], v13, v3
	v_mov_b32_e32 v13, 0
	s_and_saveexec_b64 s[24:25], s[8:9]
	s_cbranch_execz .LBB217_412
; %bb.409:
	v_mov_b32_e32 v17, v15
	buffer_load_dword v15, off, s[0:3], s32 offset:292 ; 4-byte Folded Reload
	s_ashr_i32 s21, s20, 31
	s_lshl_b64 s[10:11], s[20:21], 2
	s_getpc_b64 s[26:27]
	s_add_u32 s26, s26, llvm.amdgcn.dynlds.offset.table@rel32@lo+4
	s_addc_u32 s27, s27, llvm.amdgcn.dynlds.offset.table@rel32@hi+12
	s_add_u32 s10, s10, s26
	s_addc_u32 s11, s11, s27
	s_load_dword s10, s[10:11], 0x0
	s_mov_b64 s[26:27], 0
	v_mov_b32_e32 v13, 0
	s_waitcnt vmcnt(0) lgkmcnt(0)
	v_lshl_add_u32 v18, v15, 2, s10
.LBB217_410:                            ; =>This Inner Loop Header: Depth=1
	ds_read_b32 v16, v18
	v_add_u32_e32 v15, 0x80, v15
	v_cmp_ge_i32_e64 s[10:11], v15, v3
	s_or_b64 s[26:27], s[10:11], s[26:27]
	s_waitcnt lgkmcnt(0)
	v_sub_f32_e32 v16, v16, v2
	v_mul_f32_e32 v16, 0x3fb8aa3b, v16
	v_exp_f32_e32 v16, v16
	ds_write_b32 v18, v16
	v_add_f32_e32 v13, v13, v16
	v_add_u32_e32 v18, 0x200, v18
	s_andn2_b64 exec, exec, s[26:27]
	s_cbranch_execnz .LBB217_410
; %bb.411:
	s_or_b64 exec, exec, s[26:27]
	v_mov_b32_e32 v15, v17
.LBB217_412:
	s_or_b64 exec, exec, s[24:25]
	ds_bpermute_b32 v4, v4, v13
	s_waitcnt lgkmcnt(0)
	v_add_f32_e32 v4, v13, v4
	ds_bpermute_b32 v5, v5, v4
	s_waitcnt lgkmcnt(0)
	v_add_f32_e32 v4, v4, v5
	ds_bpermute_b32 v5, v8, v4
	v_xor_b32_e32 v8, 2, v0
	v_cmp_lt_i32_e64 s[10:11], v8, v1
	v_cndmask_b32_e64 v0, v0, v8, s[10:11]
	v_lshlrev_b32_e32 v25, 2, v0
	s_waitcnt lgkmcnt(0)
	v_add_f32_e32 v4, v4, v5
	ds_bpermute_b32 v5, v19, v4
	s_waitcnt lgkmcnt(0)
	v_add_f32_e32 v1, v4, v5
	ds_bpermute_b32 v0, v25, v1
	;; [unrolled: 3-line block ×3, first 2 shown]
	s_waitcnt lgkmcnt(0)
	v_add_f32_e32 v0, v0, v1
	s_and_saveexec_b64 s[10:11], vcc
	s_cbranch_execz .LBB217_414
; %bb.413:
	ds_write_b32 v6, v0 offset:1032
.LBB217_414:
	s_or_b64 exec, exec, s[10:11]
	s_waitcnt lgkmcnt(0)
	s_barrier
	s_mov_b64 s[10:11], exec
	buffer_load_dword v13, off, s[0:3], s32 offset:340 ; 4-byte Folded Reload
	s_and_b64 s[6:7], s[10:11], s[6:7]
	s_mov_b64 exec, s[6:7]
	s_cbranch_execz .LBB217_416
; %bb.415:
	ds_read_b32 v0, v7 offset:1032
.LBB217_416:
	s_or_b64 exec, exec, s[10:11]
	s_waitcnt lgkmcnt(0)
	ds_bpermute_b32 v1, v27, v0
	s_waitcnt lgkmcnt(0)
	v_add_f32_e32 v0, v0, v1
	ds_bpermute_b32 v4, v12, v0
	s_and_saveexec_b64 s[6:7], s[8:9]
	s_cbranch_execz .LBB217_429
; %bb.417:
	s_waitcnt lgkmcnt(0)
	v_add_f32_e32 v0, 0x358637bd, v4
	v_div_scale_f32 v1, s[8:9], v0, v0, 1.0
	v_rcp_f32_e32 v5, v1
	v_div_scale_f32 v6, vcc, 1.0, v0, 1.0
	s_movk_i32 s8, 0x7f
	v_fma_f32 v7, -v1, v5, 1.0
	v_fmac_f32_e32 v5, v7, v5
	v_mul_f32_e32 v7, v6, v5
	v_fma_f32 v8, -v1, v7, v6
	v_fmac_f32_e32 v7, v8, v5
	v_fma_f32 v1, -v1, v7, v6
	buffer_load_dword v6, off, s[0:3], s32 offset:292 ; 4-byte Folded Reload
	v_div_fmas_f32 v1, v1, v5, v7
	v_div_fixup_f32 v0, v1, v0, 1.0
	s_mov_b64 s[10:11], -1
	s_waitcnt vmcnt(0)
	v_xad_u32 v1, v6, -1, v9
	v_subrev_u32_e32 v5, s23, v1
	v_cmp_lt_u32_e32 vcc, s8, v5
	v_mov_b32_e32 v1, v6
	s_and_saveexec_b64 s[8:9], vcc
	s_cbranch_execz .LBB217_426
; %bb.418:
	v_lshrrev_b32_e32 v5, 7, v5
	v_add_u32_e32 v7, -1, v5
	v_lshrrev_b32_e32 v6, 1, v7
	v_mov_b32_e32 v1, v0
	v_add_u32_e32 v6, 1, v6
	v_cmp_lt_u32_e32 vcc, 13, v7
	v_mov_b32_e32 v9, 0
	s_and_saveexec_b64 s[10:11], vcc
	s_cbranch_execz .LBB217_422
; %bb.419:
	buffer_load_dword v8, off, s[0:3], s32 offset:292 ; 4-byte Folded Reload
	s_ashr_i32 s21, s20, 31
	s_lshl_b64 s[24:25], s[20:21], 2
	s_getpc_b64 s[26:27]
	s_add_u32 s26, s26, llvm.amdgcn.dynlds.offset.table@rel32@lo+4
	s_addc_u32 s27, s27, llvm.amdgcn.dynlds.offset.table@rel32@hi+12
	s_add_u32 s24, s24, s26
	s_addc_u32 s25, s25, s27
	s_load_dword s23, s[24:25], 0x0
	v_and_b32_e32 v7, -8, v6
	s_mov_b32 s21, 0
	s_mov_b64 s[24:25], 0
	s_waitcnt vmcnt(0) lgkmcnt(0)
	v_lshl_add_u32 v8, v8, 2, s23
.LBB217_420:                            ; =>This Inner Loop Header: Depth=1
	ds_read2st64_b32 v[12:13], v8 offset1:2
	ds_read2st64_b32 v[20:21], v8 offset0:4 offset1:6
	ds_read2st64_b32 v[16:17], v8 offset0:8 offset1:10
	ds_read2st64_b32 v[18:19], v8 offset0:12 offset1:14
	v_add_u32_e32 v7, -8, v7
	s_waitcnt lgkmcnt(3)
	v_pk_mul_f32 v[12:13], v[0:1], v[12:13]
	s_waitcnt lgkmcnt(2)
	v_pk_mul_f32 v[20:21], v[0:1], v[20:21]
	ds_write2st64_b32 v8, v12, v13 offset1:2
	ds_write2st64_b32 v8, v20, v21 offset0:4 offset1:6
	s_waitcnt lgkmcnt(3)
	v_pk_mul_f32 v[12:13], v[0:1], v[16:17]
	ds_read2st64_b32 v[16:17], v8 offset0:16 offset1:18
	ds_write2st64_b32 v8, v12, v13 offset0:8 offset1:10
	s_waitcnt lgkmcnt(4)
	v_pk_mul_f32 v[12:13], v[0:1], v[18:19]
	ds_write2st64_b32 v8, v12, v13 offset0:12 offset1:14
	ds_read2st64_b32 v[12:13], v8 offset0:20 offset1:22
	s_waitcnt lgkmcnt(3)
	v_pk_mul_f32 v[18:19], v[0:1], v[16:17]
	ds_read2st64_b32 v[16:17], v8 offset0:24 offset1:26
	ds_write2st64_b32 v8, v18, v19 offset0:16 offset1:18
	ds_read2st64_b32 v[18:19], v8 offset0:28 offset1:30
	s_waitcnt lgkmcnt(3)
	v_pk_mul_f32 v[12:13], v[0:1], v[12:13]
	ds_write2st64_b32 v8, v12, v13 offset0:20 offset1:22
	s_waitcnt lgkmcnt(3)
	v_pk_mul_f32 v[12:13], v[0:1], v[16:17]
	ds_write2st64_b32 v8, v12, v13 offset0:24 offset1:26
	s_waitcnt lgkmcnt(2)
	v_pk_mul_f32 v[12:13], v[0:1], v[18:19]
	s_add_i32 s21, s21, 16
	v_cmp_eq_u32_e32 vcc, 0, v7
	ds_write2st64_b32 v8, v12, v13 offset0:28 offset1:30
	v_add_u32_e32 v8, 0x2000, v8
	s_or_b64 s[24:25], vcc, s[24:25]
	v_mov_b32_e32 v9, s21
	s_andn2_b64 exec, exec, s[24:25]
	s_cbranch_execnz .LBB217_420
; %bb.421:
	s_or_b64 exec, exec, s[24:25]
	buffer_load_dword v13, off, s[0:3], s32 offset:340 ; 4-byte Folded Reload
.LBB217_422:
	s_or_b64 exec, exec, s[10:11]
	v_and_b32_e32 v6, 7, v6
	v_cmp_ne_u32_e32 vcc, 0, v6
	s_and_saveexec_b64 s[10:11], vcc
	s_cbranch_execz .LBB217_425
; %bb.423:
	buffer_load_dword v8, off, s[0:3], s32 offset:292 ; 4-byte Folded Reload
	s_ashr_i32 s21, s20, 31
	s_lshl_b64 s[24:25], s[20:21], 2
	s_getpc_b64 s[26:27]
	s_add_u32 s26, s26, llvm.amdgcn.dynlds.offset.table@rel32@lo+4
	s_addc_u32 s27, s27, llvm.amdgcn.dynlds.offset.table@rel32@hi+12
	s_add_u32 s24, s24, s26
	s_addc_u32 s25, s25, s27
	s_load_dword s21, s[24:25], 0x0
	v_lshlrev_b32_e32 v7, 9, v9
	s_mov_b64 s[24:25], 0
	s_waitcnt vmcnt(0)
	v_lshlrev_b32_e32 v8, 2, v8
	s_waitcnt lgkmcnt(0)
	v_add3_u32 v7, v7, v8, s21
.LBB217_424:                            ; =>This Inner Loop Header: Depth=1
	ds_read2st64_b32 v[8:9], v7 offset1:2
	v_add_u32_e32 v6, -1, v6
	v_cmp_eq_u32_e32 vcc, 0, v6
	s_or_b64 s[24:25], vcc, s[24:25]
	s_waitcnt lgkmcnt(0)
	v_pk_mul_f32 v[8:9], v[0:1], v[8:9]
	ds_write2st64_b32 v7, v8, v9 offset1:2
	v_add_u32_e32 v7, 0x400, v7
	s_andn2_b64 exec, exec, s[24:25]
	s_cbranch_execnz .LBB217_424
.LBB217_425:
	s_or_b64 exec, exec, s[10:11]
	buffer_load_dword v1, off, s[0:3], s32 offset:292 ; 4-byte Folded Reload
	v_add_u32_e32 v5, 1, v5
	v_and_b32_e32 v6, 0x3fffffe, v5
	v_cmp_ne_u32_e32 vcc, v5, v6
	s_orn2_b64 s[10:11], vcc, exec
	s_waitcnt vmcnt(0)
	v_lshl_add_u32 v1, v6, 7, v1
.LBB217_426:
	s_or_b64 exec, exec, s[8:9]
	s_and_b64 exec, exec, s[10:11]
	s_cbranch_execz .LBB217_429
; %bb.427:
	s_ashr_i32 s21, s20, 31
	s_lshl_b64 s[8:9], s[20:21], 2
	s_getpc_b64 s[10:11]
	s_add_u32 s10, s10, llvm.amdgcn.dynlds.offset.table@rel32@lo+4
	s_addc_u32 s11, s11, llvm.amdgcn.dynlds.offset.table@rel32@hi+12
	s_add_u32 s8, s8, s10
	s_addc_u32 s9, s9, s11
	s_load_dword s8, s[8:9], 0x0
	s_waitcnt lgkmcnt(0)
	v_lshl_add_u32 v5, v1, 2, s8
	s_mov_b64 s[8:9], 0
.LBB217_428:                            ; =>This Inner Loop Header: Depth=1
	ds_read_b32 v6, v5
	v_add_u32_e32 v1, 0x80, v1
	v_cmp_ge_i32_e32 vcc, v1, v3
	s_or_b64 s[8:9], vcc, s[8:9]
	s_waitcnt lgkmcnt(0)
	v_mul_f32_e32 v6, v0, v6
	ds_write_b32 v5, v6
	v_add_u32_e32 v5, 0x200, v5
	s_andn2_b64 exec, exec, s[8:9]
	s_cbranch_execnz .LBB217_428
.LBB217_429:
	s_or_b64 exec, exec, s[6:7]
	s_waitcnt lgkmcnt(0)
	s_barrier
	buffer_load_dword v0, off, s[0:3], s32 offset:292 ; 4-byte Folded Reload
	v_cmp_ne_u16_e64 s[6:7], s19, 0
	s_cmp_lg_u64 s[6:7], 0
	s_addc_u32 s19, s13, 0
	s_mul_i32 s6, s19, s22
	s_mul_i32 s6, s6, s15
	s_waitcnt vmcnt(0)
	v_cmp_eq_u32_e32 vcc, 0, v0
	s_and_saveexec_b64 s[8:9], vcc
	s_cbranch_execz .LBB217_431
; %bb.430:
	buffer_load_dword v0, off, s[0:3], s32 offset:376 ; 4-byte Folded Reload
	s_mul_i32 s12, s19, s12
	s_ashr_i32 s7, s6, 31
	s_ashr_i32 s13, s12, 31
	;; [unrolled: 1-line block ×3, first 2 shown]
	s_lshl_b64 s[10:11], s[6:7], 2
	s_lshl_b64 s[12:13], s[12:13], 2
	;; [unrolled: 1-line block ×3, first 2 shown]
	s_add_u32 s7, s22, s12
	s_addc_u32 s12, s23, s13
	s_add_u32 s7, s7, s10
	s_addc_u32 s10, s12, s11
	v_mov_b32_e32 v1, s10
	s_waitcnt vmcnt(0)
	v_add_co_u32_e32 v0, vcc, s7, v0
	v_addc_co_u32_e32 v1, vcc, v1, v13, vcc
	flat_store_dword v[0:1], v2
	v_mov_b32_e32 v1, s10
	v_add_co_u32_e32 v0, vcc, s7, v32
	v_addc_co_u32_e32 v1, vcc, v1, v22, vcc
	flat_store_dword v[0:1], v4
.LBB217_431:
	s_or_b64 exec, exec, s[8:9]
	s_ashr_i32 s21, s20, 31
	s_lshl_b64 s[8:9], s[20:21], 2
	s_getpc_b64 s[10:11]
	s_add_u32 s10, s10, llvm.amdgcn.dynlds.offset.table@rel32@lo+4
	s_addc_u32 s11, s11, llvm.amdgcn.dynlds.offset.table@rel32@hi+12
	s_add_u32 s8, s8, s10
	s_addc_u32 s9, s9, s11
	s_mov_b32 s12, 0
	v_mov_b32_e32 v6, 0
	v_mov_b32_e32 v7, 0
	;; [unrolled: 1-line block ×16, first 2 shown]
	s_and_saveexec_b64 s[10:11], s[4:5]
	s_cbranch_execz .LBB217_853
; %bb.432:
	buffer_store_dword v27, off, s[0:3], s32 offset:196 ; 4-byte Folded Spill
	buffer_load_dword v0, off, s[0:3], s32 offset:364 ; 4-byte Folded Reload
	buffer_load_dword v1, off, s[0:3], s32 offset:316 ; 4-byte Folded Reload
	s_load_dword s4, s[8:9], 0x0
	v_accvgpr_write_b32 a51, v25
	v_accvgpr_write_b32 a17, v26
	v_mov_b32_e32 v23, 0
	s_mov_b64 s[20:21], 0
	s_movk_i32 s7, 0x80
	s_movk_i32 s15, 0x7f
	s_brev_b32 s13, 1
	s_mov_b32 s23, 0x7f800001
	s_mov_b32 s34, 0xffffff
	v_mov_b32_e32 v39, 0
	v_mov_b32_e32 v38, 0
	;; [unrolled: 1-line block ×16, first 2 shown]
	s_waitcnt vmcnt(0)
	v_max_i32_e32 v29, v1, v0
	buffer_load_dword v1, off, s[0:3], s32 offset:292 ; 4-byte Folded Reload
	v_cvt_f32_u32_e32 v0, v29
	v_rcp_iflag_f32_e32 v0, v0
	v_mul_f32_e32 v0, 0x4f7ffffe, v0
	v_cvt_u32_f32_e32 v0, v0
	s_waitcnt vmcnt(0)
	v_lshlrev_b32_e32 v1, 2, v1
	v_and_b32_e32 v2, 12, v1
	v_accvgpr_write_b32 a36, v2
	buffer_load_dword v2, off, s[0:3], s32 offset:360 ; 4-byte Folded Reload
	s_waitcnt vmcnt(0)
	v_add_co_u32_e32 v4, vcc, v10, v2
	buffer_load_dword v2, off, s[0:3], s32 offset:356 ; 4-byte Folded Reload
	s_waitcnt vmcnt(0)
	v_addc_co_u32_e32 v5, vcc, v11, v2, vcc
	buffer_load_dword v2, off, s[0:3], s32 offset:372 ; 4-byte Folded Reload
	v_accvgpr_write_b32 a39, v5
	v_accvgpr_write_b32 a38, v4
	s_waitcnt vmcnt(0)
	v_add_u32_e32 v2, -1, v2
	v_accvgpr_write_b32 a37, v2
	v_and_b32_e32 v2, 0xfc, v1
	v_accvgpr_write_b32 a40, v2
	v_or_b32_e32 v2, 0xf00, v1
	v_accvgpr_write_b32 a42, v2
	buffer_load_dword v2, off, s[0:3], s32 offset:348 ; 4-byte Folded Reload
	buffer_load_dword v3, off, s[0:3], s32 offset:352 ; 4-byte Folded Reload
	v_sub_u32_e32 v1, 0, v29
	v_mul_lo_u32 v1, v1, v0
	v_mul_hi_u32 v1, v0, v1
	v_add_u32_e32 v0, v0, v1
	v_accvgpr_write_b32 a44, v0
	v_accvgpr_read_b32 v0, a14
	v_accvgpr_read_b32 v1, a15
	v_lshlrev_b64 v[0:1], 2, v[0:1]
	v_accvgpr_write_b32 a15, v29
	buffer_load_dword v10, off, s[0:3], s32 offset:368 ; 4-byte Folded Reload
	s_waitcnt vmcnt(0)
	v_add_co_u32_e32 v0, vcc, v2, v0
	v_addc_co_u32_e32 v1, vcc, v3, v1, vcc
	v_add_co_u32_e32 v36, vcc, v14, v0
	v_addc_co_u32_e32 v37, vcc, v15, v1, vcc
	buffer_load_dword v1, off, s[0:3], s32 offset:320 ; 4-byte Folded Reload
	v_accvgpr_read_b32 v0, a4
	v_lshlrev_b32_e32 v0, 4, v0
	s_waitcnt vmcnt(0)
	v_lshl_or_b32 v0, v1, 6, v0
	s_waitcnt lgkmcnt(0)
	v_add_u32_e32 v11, s4, v0
	s_branch .LBB217_435
.LBB217_433:                            ;   in Loop: Header=BB217_435 Depth=1
	s_or_b64 exec, exec, s[4:5]
	v_mul_f32_e32 v13, v1, v13
	v_mul_f32_e32 v9, v1, v9
	v_fmac_f32_e32 v13, v0, v12
	v_fmac_f32_e32 v9, v0, v8
	;; [unrolled: 1-line block ×4, first 2 shown]
	v_mul_f32_e32 v6, v1, v61
	v_fmac_f32_e32 v13, v3, v17
	v_accvgpr_read_b32 v16, a26
	v_fmac_f32_e32 v6, v0, v60
	v_accvgpr_read_b32 v17, a27
	v_fmac_f32_e32 v6, v2, v4
	v_mul_f32_e32 v4, v1, v35
	v_mul_f32_e32 v28, v1, v59
	v_add_f32_e32 v17, v17, v13
	v_accvgpr_read_b32 v12, a28
	v_fmac_f32_e32 v4, v0, v34
	v_fmac_f32_e32 v28, v0, v58
	;; [unrolled: 1-line block ×3, first 2 shown]
	v_accvgpr_read_b32 v13, a29
	v_fmac_f32_e32 v4, v2, v24
	v_fmac_f32_e32 v28, v2, v14
	v_mul_f32_e32 v14, v1, v57
	v_fmac_f32_e32 v9, v3, v7
	v_add_f32_e32 v13, v13, v6
	v_fmac_f32_e32 v4, v3, v25
	v_accvgpr_read_b32 v7, a1
	v_fmac_f32_e32 v14, v0, v56
	v_add_f32_e32 v12, v12, v4
	v_accvgpr_read_b32 v6, a0
	v_mul_f32_e32 v4, v1, v7
	v_fmac_f32_e32 v14, v2, v20
	v_fmac_f32_e32 v4, v0, v6
	;; [unrolled: 1-line block ×4, first 2 shown]
	v_accvgpr_read_b32 v20, a30
	v_accvgpr_read_b32 v6, a62
	v_fmac_f32_e32 v4, v3, v33
	v_accvgpr_read_b32 v21, a31
	v_accvgpr_read_b32 v7, a63
	v_add_f32_e32 v21, v21, v4
	v_mul_f32_e32 v4, v1, v7
	v_fmac_f32_e32 v4, v0, v6
	v_accvgpr_read_b32 v6, a18
	v_accvgpr_read_b32 v7, a19
	v_fmac_f32_e32 v4, v2, v6
	v_fmac_f32_e32 v4, v3, v7
	v_accvgpr_read_b32 v6, a58
	v_accvgpr_read_b32 v7, a59
	v_add_f32_e32 v20, v20, v4
	v_mul_f32_e32 v4, v1, v7
	v_fmac_f32_e32 v4, v0, v6
	v_accvgpr_read_b32 v6, a60
	v_accvgpr_read_b32 v7, a61
	v_fmac_f32_e32 v4, v2, v6
	v_add_f32_e32 v16, v16, v9
	v_fmac_f32_e32 v4, v3, v7
	v_accvgpr_read_b32 v8, a32
	v_accvgpr_read_b32 v6, a54
	;; [unrolled: 1-line block ×4, first 2 shown]
	v_add_f32_e32 v9, v9, v4
	v_mul_f32_e32 v4, v1, v7
	v_fmac_f32_e32 v4, v0, v6
	v_accvgpr_read_b32 v6, a56
	v_mul_f32_e32 v18, v1, v55
	v_mul_f32_e32 v19, v1, v51
	;; [unrolled: 1-line block ×3, first 2 shown]
	v_accvgpr_read_b32 v7, a57
	v_fmac_f32_e32 v4, v2, v6
	v_fmac_f32_e32 v18, v0, v54
	;; [unrolled: 1-line block ×5, first 2 shown]
	v_accvgpr_read_b32 v7, a3
	v_fmac_f32_e32 v18, v2, v40
	v_fmac_f32_e32 v19, v2, v52
	;; [unrolled: 1-line block ×3, first 2 shown]
	v_accvgpr_read_b32 v39, a21
	v_add_f32_e32 v8, v8, v4
	v_accvgpr_read_b32 v6, a2
	v_mul_f32_e32 v4, v1, v7
	v_fmac_f32_e32 v18, v3, v41
	v_fmac_f32_e32 v19, v3, v53
	;; [unrolled: 1-line block ×3, first 2 shown]
	v_accvgpr_read_b32 v38, a20
	v_accvgpr_read_b32 v49, a23
	v_fmac_f32_e32 v4, v0, v6
	v_accvgpr_read_b32 v6, a52
	v_add_f32_e32 v38, v38, v18
	v_add_f32_e32 v49, v49, v19
	v_accvgpr_read_b32 v18, a24
	v_accvgpr_read_b32 v7, a53
	v_fmac_f32_e32 v4, v2, v6
	v_fmac_f32_e32 v28, v3, v15
	v_add_f32_e32 v18, v18, v14
	v_fmac_f32_e32 v4, v3, v7
	v_accvgpr_read_b32 v6, a34
	v_accvgpr_read_b32 v14, a46
	;; [unrolled: 1-line block ×4, first 2 shown]
	v_add_f32_e32 v7, v7, v4
	v_mul_f32_e32 v4, v1, v15
	v_mul_f32_e32 v1, v1, v43
	v_fmac_f32_e32 v4, v0, v14
	v_accvgpr_read_b32 v14, a48
	v_fmac_f32_e32 v1, v0, v42
	v_accvgpr_read_b32 v15, a49
	v_fmac_f32_e32 v4, v2, v14
	v_fmac_f32_e32 v1, v2, v26
	v_accvgpr_read_b32 v48, a22
	v_accvgpr_read_b32 v19, a25
	v_fmac_f32_e32 v4, v3, v15
	v_fmac_f32_e32 v1, v3, v27
	v_add_f32_e32 v48, v48, v22
	v_add_f32_e32 v19, v19, v28
	;; [unrolled: 1-line block ×4, first 2 shown]
.LBB217_434:                            ;   in Loop: Header=BB217_435 Depth=1
	s_or_b64 exec, exec, s[24:25]
	v_accvgpr_read_b32 v2, a14
	v_add_co_u32_e32 v36, vcc, 8, v36
	v_add_u32_e32 v2, 2, v2
	v_addc_co_u32_e32 v37, vcc, 0, v37, vcc
	v_accvgpr_read_b32 v0, a13
	v_cmp_ge_i32_e32 vcc, v2, v0
	v_add_u32_e32 v10, 32, v10
	v_accvgpr_write_b32 a14, v2
	s_or_b64 s[20:21], vcc, s[20:21]
	v_add_u32_e32 v11, 0x80, v11
	s_andn2_b64 exec, exec, s[20:21]
	s_cbranch_execz .LBB217_852
.LBB217_435:                            ; =>This Inner Loop Header: Depth=1
	v_ashrrev_i32_e32 v0, 31, v10
	v_accvgpr_read_b32 v1, a11
	v_xor_b32_e32 v0, v0, v1
	v_sub_u32_e32 v1, 0, v10
	v_max_i32_e32 v1, v10, v1
	v_accvgpr_read_b32 v2, a10
	v_mul_hi_u32 v2, v1, v2
	v_accvgpr_read_b32 v4, a9
	v_mul_lo_u32 v3, v2, v4
	v_sub_u32_e32 v1, v1, v3
	v_add_u32_e32 v3, 1, v2
	v_cmp_ge_u32_e32 vcc, v1, v4
	v_cndmask_b32_e32 v2, v2, v3, vcc
	v_sub_u32_e32 v3, v1, v4
	v_cndmask_b32_e32 v1, v1, v3, vcc
	v_add_u32_e32 v3, 1, v2
	v_cmp_ge_u32_e32 vcc, v1, v4
	v_cndmask_b32_e32 v1, v2, v3, vcc
	v_xor_b32_e32 v1, v1, v0
	v_sub_u32_e32 v0, v1, v0
	v_accvgpr_read_b32 v2, a12
	v_add_u32_e32 v1, v0, v2
	v_sub_u32_e32 v3, 0, v1
	v_ashrrev_i32_e32 v2, 31, v1
	v_max_i32_e32 v1, v1, v3
	v_accvgpr_read_b32 v4, a44
	v_mul_hi_u32 v3, v1, v4
	v_mul_lo_u32 v3, v3, v29
	v_sub_u32_e32 v1, v1, v3
	v_sub_u32_e32 v3, v1, v29
	v_cmp_ge_u32_e32 vcc, v1, v29
	v_cndmask_b32_e32 v1, v1, v3, vcc
	v_sub_u32_e32 v3, v1, v29
	v_cmp_ge_u32_e32 vcc, v1, v29
	v_cndmask_b32_e32 v1, v1, v3, vcc
	v_xor_b32_e32 v1, v1, v2
	v_sub_u32_e32 v1, v1, v2
	v_cmp_eq_u32_e32 vcc, 0, v1
	v_accvgpr_read_b32 v1, a16
	v_cmp_gt_i32_e64 s[4:5], v0, v1
	s_or_b64 s[4:5], vcc, s[4:5]
	s_and_saveexec_b64 s[24:25], s[4:5]
	s_cbranch_execz .LBB217_434
; %bb.436:                              ;   in Loop: Header=BB217_435 Depth=1
	flat_load_dword v0, v[36:37]
	v_accvgpr_read_b32 v4, a38
	v_accvgpr_read_b32 v2, a8
	;; [unrolled: 1-line block ×3, first 2 shown]
	v_accvgpr_write_b32 a33, v9
	v_accvgpr_write_b32 a35, v7
	;; [unrolled: 1-line block ×9, first 2 shown]
	v_pk_mov_b32 v[8:9], 0, 0
	v_accvgpr_write_b32 a34, v6
	v_accvgpr_write_b32 a30, v20
	;; [unrolled: 1-line block ×7, first 2 shown]
	v_pk_mov_b32 v[6:7], v[8:9], v[8:9] op_sel:[0,1]
	s_waitcnt vmcnt(0) lgkmcnt(0)
	v_mad_i64_i32 v[46:47], s[4:5], v0, v2, v[4:5]
	v_accvgpr_read_b32 v0, a40
	v_add_co_u32_e32 v54, vcc, v46, v0
	v_addc_co_u32_e32 v55, vcc, 0, v47, vcc
	v_accvgpr_read_b32 v0, a6
	flat_load_dword v4, v[54:55]
	v_accvgpr_read_b32 v1, a7
	flat_load_dword v26, v[0:1]
	ds_read_b128 v[0:3], v11
	s_waitcnt vmcnt(0) lgkmcnt(0)
	v_cmp_ne_u16_sdwa s[26:27], v4, v23 src0_sel:BYTE_0 src1_sel:DWORD
	s_and_saveexec_b64 s[4:5], s[26:27]
	s_cbranch_execz .LBB217_442
; %bb.437:                              ;   in Loop: Header=BB217_435 Depth=1
	v_bfrev_b32_e32 v6, 1
	v_cmp_ne_u16_sdwa s[28:29], v4, s7 src0_sel:BYTE_0 src1_sel:DWORD
	v_mov_b32_e32 v7, 0
	s_and_saveexec_b64 s[26:27], s[28:29]
	s_cbranch_execz .LBB217_441
; %bb.438:                              ;   in Loop: Header=BB217_435 Depth=1
	v_and_b32_e32 v5, 0x7f, v4
	v_mov_b32_e32 v6, 0x7f800001
	v_cmp_ne_u32_e32 vcc, s15, v5
	v_mov_b32_e32 v7, 0
	s_and_saveexec_b64 s[28:29], vcc
	s_cbranch_execz .LBB217_440
; %bb.439:                              ;   in Loop: Header=BB217_435 Depth=1
	v_and_b32_e32 v12, 7, v4
	v_ffbh_u32_e32 v6, v12
	v_min_u32_e32 v14, 32, v6
	v_subrev_u32_e32 v6, 28, v14
	v_lshlrev_b64 v[6:7], v6, v[4:5]
	v_lshrrev_b32_e32 v13, 3, v5
	v_sub_u32_e32 v7, 29, v14
	v_and_b32_e32 v6, 7, v6
	v_cmp_gt_u32_e32 vcc, 8, v5
	v_cndmask_b32_e32 v5, v13, v7, vcc
	v_cndmask_b32_e32 v6, v12, v6, vcc
	v_bfrev_b32_e32 v12, 60
	v_lshlrev_b32_e32 v6, 20, v6
	v_and_b32_sdwa v7, sext(v4), s13 dst_sel:DWORD dst_unused:UNUSED_PAD src0_sel:BYTE_0 src1_sel:DWORD
	v_lshl_add_u32 v5, v5, 23, v12
	v_or3_b32 v22, v7, v5, v6
	v_pk_mov_b32 v[6:7], v[22:23], v[22:23] op_sel:[0,1]
.LBB217_440:                            ;   in Loop: Header=BB217_435 Depth=1
	s_or_b64 exec, exec, s[28:29]
.LBB217_441:                            ;   in Loop: Header=BB217_435 Depth=1
	s_or_b64 exec, exec, s[26:27]
.LBB217_442:                            ;   in Loop: Header=BB217_435 Depth=1
	s_or_b64 exec, exec, s[4:5]
	v_cmp_ne_u16_sdwa s[26:27], v4, v23 src0_sel:BYTE_1 src1_sel:DWORD
	s_and_saveexec_b64 s[4:5], s[26:27]
	s_cbranch_execz .LBB217_448
; %bb.443:                              ;   in Loop: Header=BB217_435 Depth=1
	v_cmp_ne_u16_sdwa s[28:29], v4, s7 src0_sel:BYTE_1 src1_sel:DWORD
	v_pk_mov_b32 v[8:9], s[12:13], s[12:13] op_sel:[0,1]
	s_and_saveexec_b64 s[26:27], s[28:29]
	s_cbranch_execz .LBB217_447
; %bb.444:                              ;   in Loop: Header=BB217_435 Depth=1
	v_and_b32_sdwa v5, v4, s15 dst_sel:DWORD dst_unused:UNUSED_PAD src0_sel:BYTE_1 src1_sel:DWORD
	s_mov_b32 s22, s12
	v_cmp_ne_u32_e32 vcc, s15, v5
	v_pk_mov_b32 v[8:9], s[22:23], s[22:23] op_sel:[0,1]
	s_and_saveexec_b64 s[28:29], vcc
	s_cbranch_execz .LBB217_446
; %bb.445:                              ;   in Loop: Header=BB217_435 Depth=1
	v_mov_b32_e32 v8, 7
	v_and_b32_sdwa v22, v4, v8 dst_sel:DWORD dst_unused:UNUSED_PAD src0_sel:BYTE_1 src1_sel:DWORD
	v_ffbh_u32_e32 v8, v22
	v_min_u32_e32 v13, 32, v8
	v_subrev_u32_e32 v8, 28, v13
	v_lshlrev_b64 v[8:9], v8, v[22:23]
	v_lshrrev_b32_e32 v12, 3, v5
	v_sub_u32_e32 v9, 29, v13
	v_cmp_gt_u32_e32 vcc, 8, v5
	v_and_b32_e32 v8, 7, v8
	v_cndmask_b32_e32 v5, v12, v9, vcc
	v_bfrev_b32_e32 v12, 60
	v_cndmask_b32_e32 v8, v22, v8, vcc
	v_lshlrev_b32_e32 v9, 16, v4
	v_lshl_add_u32 v5, v5, 23, v12
	v_and_or_b32 v5, v9, s13, v5
	v_lshlrev_b32_e32 v8, 20, v8
	v_or_b32_e32 v9, v5, v8
	v_mov_b32_e32 v8, v23
.LBB217_446:                            ;   in Loop: Header=BB217_435 Depth=1
	s_or_b64 exec, exec, s[28:29]
.LBB217_447:                            ;   in Loop: Header=BB217_435 Depth=1
	s_or_b64 exec, exec, s[26:27]
.LBB217_448:                            ;   in Loop: Header=BB217_435 Depth=1
	s_or_b64 exec, exec, s[4:5]
	v_lshrrev_b32_e32 v16, 16, v4
	v_pk_mov_b32 v[14:15], 0, 0
	v_cmp_ne_u16_sdwa s[26:27], v16, v23 src0_sel:BYTE_0 src1_sel:DWORD
	v_pk_mov_b32 v[12:13], v[14:15], v[14:15] op_sel:[0,1]
	s_and_saveexec_b64 s[4:5], s[26:27]
	s_cbranch_execz .LBB217_454
; %bb.449:                              ;   in Loop: Header=BB217_435 Depth=1
	v_bfrev_b32_e32 v12, 1
	v_cmp_ne_u16_sdwa s[28:29], v16, s7 src0_sel:BYTE_0 src1_sel:DWORD
	v_mov_b32_e32 v13, 0
	s_and_saveexec_b64 s[26:27], s[28:29]
	s_cbranch_execz .LBB217_453
; %bb.450:                              ;   in Loop: Header=BB217_435 Depth=1
	v_bfe_u32 v5, v4, 16, 7
	v_mov_b32_e32 v12, 0x7f800001
	v_cmp_ne_u32_e32 vcc, s15, v5
	v_mov_b32_e32 v13, 0
	s_and_saveexec_b64 s[28:29], vcc
	s_cbranch_execz .LBB217_452
; %bb.451:                              ;   in Loop: Header=BB217_435 Depth=1
	v_and_b32_e32 v17, 7, v16
	v_ffbh_u32_e32 v12, v17
	v_min_u32_e32 v19, 32, v12
	v_subrev_u32_e32 v12, 28, v19
	v_lshlrev_b64 v[12:13], v12, v[16:17]
	v_lshrrev_b32_e32 v18, 3, v5
	v_sub_u32_e32 v13, 29, v19
	v_and_b32_e32 v12, 7, v12
	v_cmp_gt_u32_e32 vcc, 8, v5
	v_cndmask_b32_e32 v5, v18, v13, vcc
	v_cndmask_b32_e32 v12, v17, v12, vcc
	v_and_b32_sdwa v13, sext(v16), s13 dst_sel:DWORD dst_unused:UNUSED_PAD src0_sel:BYTE_0 src1_sel:DWORD
	v_bfrev_b32_e32 v16, 60
	v_lshlrev_b32_e32 v12, 20, v12
	v_lshl_add_u32 v5, v5, 23, v16
	v_or3_b32 v22, v13, v5, v12
	v_pk_mov_b32 v[12:13], v[22:23], v[22:23] op_sel:[0,1]
.LBB217_452:                            ;   in Loop: Header=BB217_435 Depth=1
	s_or_b64 exec, exec, s[28:29]
.LBB217_453:                            ;   in Loop: Header=BB217_435 Depth=1
	s_or_b64 exec, exec, s[26:27]
.LBB217_454:                            ;   in Loop: Header=BB217_435 Depth=1
	s_or_b64 exec, exec, s[4:5]
	v_cmp_lt_u32_e32 vcc, s34, v4
	s_and_saveexec_b64 s[4:5], vcc
	s_cbranch_execz .LBB217_460
; %bb.455:                              ;   in Loop: Header=BB217_435 Depth=1
	v_cmp_ne_u32_sdwa s[28:29], v4, s7 src0_sel:BYTE_3 src1_sel:DWORD
	v_pk_mov_b32 v[14:15], s[12:13], s[12:13] op_sel:[0,1]
	s_and_saveexec_b64 s[26:27], s[28:29]
	s_cbranch_execz .LBB217_459
; %bb.456:                              ;   in Loop: Header=BB217_435 Depth=1
	v_bfe_u32 v5, v4, 24, 7
	s_mov_b32 s22, s12
	v_cmp_ne_u32_e32 vcc, s15, v5
	v_pk_mov_b32 v[14:15], s[22:23], s[22:23] op_sel:[0,1]
	s_and_saveexec_b64 s[28:29], vcc
	s_cbranch_execz .LBB217_458
; %bb.457:                              ;   in Loop: Header=BB217_435 Depth=1
	v_mov_b32_e32 v14, 7
	v_and_b32_sdwa v22, v4, v14 dst_sel:DWORD dst_unused:UNUSED_PAD src0_sel:BYTE_3 src1_sel:DWORD
	v_ffbh_u32_e32 v14, v22
	v_min_u32_e32 v17, 32, v14
	v_subrev_u32_e32 v14, 28, v17
	v_lshlrev_b64 v[14:15], v14, v[22:23]
	v_lshrrev_b32_e32 v16, 3, v5
	v_sub_u32_e32 v15, 29, v17
	v_cmp_gt_u32_e32 vcc, 8, v5
	v_cndmask_b32_e32 v5, v16, v15, vcc
	v_mov_b32_e32 v15, 24
	v_and_b32_e32 v14, 7, v14
	v_lshlrev_b32_sdwa v4, v15, v4 dst_sel:DWORD dst_unused:UNUSED_PAD src0_sel:DWORD src1_sel:BYTE_3
	v_bfrev_b32_e32 v15, 60
	v_cndmask_b32_e32 v14, v22, v14, vcc
	v_lshl_add_u32 v5, v5, 23, v15
	v_and_or_b32 v4, v4, s13, v5
	v_lshlrev_b32_e32 v5, 20, v14
	v_or_b32_e32 v15, v4, v5
	v_mov_b32_e32 v14, v23
.LBB217_458:                            ;   in Loop: Header=BB217_435 Depth=1
	s_or_b64 exec, exec, s[28:29]
.LBB217_459:                            ;   in Loop: Header=BB217_435 Depth=1
	s_or_b64 exec, exec, s[26:27]
.LBB217_460:                            ;   in Loop: Header=BB217_435 Depth=1
	s_or_b64 exec, exec, s[4:5]
	v_accvgpr_read_b32 v4, a36
	v_add_u32_e32 v28, v4, v10
	v_accvgpr_read_b32 v4, a14
	v_accvgpr_read_b32 v5, a37
	v_cmp_eq_u32_e32 vcc, v5, v4
	v_or_b32_e32 v5, v9, v7
	v_or_b32_e32 v4, v8, v6
	v_pk_mul_f32 v[4:5], v[26:27], v[4:5] op_sel_hi:[0,1]
	v_accvgpr_write_b32 a47, v5
	v_accvgpr_write_b32 a46, v4
	v_or_b32_e32 v5, v15, v13
	v_or_b32_e32 v4, v14, v12
	v_pk_mul_f32 v[4:5], v[26:27], v[4:5] op_sel_hi:[0,1]
	v_accvgpr_write_b32 a49, v5
	v_accvgpr_write_b32 a48, v4
	v_add_u32_e32 v4, 1, v28
	v_accvgpr_write_b32 a50, v4
	v_add_u32_e32 v4, 2, v28
	;; [unrolled: 2-line block ×3, first 2 shown]
	v_accvgpr_write_b32 a43, v4
	s_and_saveexec_b64 s[26:27], vcc
	s_cbranch_execz .LBB217_462
; %bb.461:                              ;   in Loop: Header=BB217_435 Depth=1
	v_cmp_lt_i32_e64 s[4:5], v28, v62
	v_accvgpr_read_b32 v4, a46
	v_accvgpr_read_b32 v6, a50
	;; [unrolled: 1-line block ×3, first 2 shown]
	v_cndmask_b32_e64 v4, 0, v4, s[4:5]
	v_cmp_lt_i32_e64 s[4:5], v6, v62
	v_cndmask_b32_e64 v5, 0, v5, s[4:5]
	v_accvgpr_write_b32 a47, v5
	v_accvgpr_write_b32 a46, v4
	v_accvgpr_read_b32 v4, a45
	v_cmp_lt_i32_e64 s[4:5], v4, v62
	v_accvgpr_read_b32 v4, a48
	v_accvgpr_read_b32 v6, a43
	;; [unrolled: 1-line block ×3, first 2 shown]
	v_cndmask_b32_e64 v4, 0, v4, s[4:5]
	v_cmp_lt_i32_e64 s[4:5], v6, v62
	v_cndmask_b32_e64 v5, 0, v5, s[4:5]
	v_accvgpr_write_b32 a49, v5
	v_accvgpr_write_b32 a48, v4
.LBB217_462:                            ;   in Loop: Header=BB217_435 Depth=1
	s_or_b64 exec, exec, s[26:27]
	flat_load_dword v4, v[54:55] offset:256
	v_pk_mov_b32 v[8:9], 0, 0
	v_pk_mov_b32 v[6:7], v[8:9], v[8:9] op_sel:[0,1]
	s_waitcnt vmcnt(0) lgkmcnt(0)
	v_cmp_ne_u16_sdwa s[4:5], v4, v23 src0_sel:BYTE_0 src1_sel:DWORD
	s_and_saveexec_b64 s[26:27], s[4:5]
	s_cbranch_execz .LBB217_468
; %bb.463:                              ;   in Loop: Header=BB217_435 Depth=1
	v_bfrev_b32_e32 v6, 1
	v_cmp_ne_u16_sdwa s[4:5], v4, s7 src0_sel:BYTE_0 src1_sel:DWORD
	v_mov_b32_e32 v7, 0
	s_and_saveexec_b64 s[28:29], s[4:5]
	s_cbranch_execz .LBB217_467
; %bb.464:                              ;   in Loop: Header=BB217_435 Depth=1
	v_and_b32_e32 v5, 0x7f, v4
	v_mov_b32_e32 v6, 0x7f800001
	v_cmp_ne_u32_e64 s[4:5], s15, v5
	v_mov_b32_e32 v7, 0
	s_and_saveexec_b64 s[30:31], s[4:5]
	s_cbranch_execz .LBB217_466
; %bb.465:                              ;   in Loop: Header=BB217_435 Depth=1
	v_and_b32_e32 v12, 7, v4
	v_ffbh_u32_e32 v6, v12
	v_min_u32_e32 v14, 32, v6
	v_subrev_u32_e32 v6, 28, v14
	v_lshlrev_b64 v[6:7], v6, v[4:5]
	v_lshrrev_b32_e32 v13, 3, v5
	v_sub_u32_e32 v7, 29, v14
	v_and_b32_e32 v6, 7, v6
	v_cmp_gt_u32_e64 s[4:5], 8, v5
	v_cndmask_b32_e64 v5, v13, v7, s[4:5]
	v_cndmask_b32_e64 v6, v12, v6, s[4:5]
	v_bfrev_b32_e32 v12, 60
	v_lshlrev_b32_e32 v6, 20, v6
	v_and_b32_sdwa v7, sext(v4), s13 dst_sel:DWORD dst_unused:UNUSED_PAD src0_sel:BYTE_0 src1_sel:DWORD
	v_lshl_add_u32 v5, v5, 23, v12
	v_or3_b32 v22, v7, v5, v6
	v_pk_mov_b32 v[6:7], v[22:23], v[22:23] op_sel:[0,1]
.LBB217_466:                            ;   in Loop: Header=BB217_435 Depth=1
	s_or_b64 exec, exec, s[30:31]
.LBB217_467:                            ;   in Loop: Header=BB217_435 Depth=1
	s_or_b64 exec, exec, s[28:29]
.LBB217_468:                            ;   in Loop: Header=BB217_435 Depth=1
	s_or_b64 exec, exec, s[26:27]
	v_cmp_ne_u16_sdwa s[4:5], v4, v23 src0_sel:BYTE_1 src1_sel:DWORD
	s_and_saveexec_b64 s[26:27], s[4:5]
	s_cbranch_execz .LBB217_474
; %bb.469:                              ;   in Loop: Header=BB217_435 Depth=1
	v_cmp_ne_u16_sdwa s[4:5], v4, s7 src0_sel:BYTE_1 src1_sel:DWORD
	v_pk_mov_b32 v[8:9], s[12:13], s[12:13] op_sel:[0,1]
	s_and_saveexec_b64 s[28:29], s[4:5]
	s_cbranch_execz .LBB217_473
; %bb.470:                              ;   in Loop: Header=BB217_435 Depth=1
	v_and_b32_sdwa v5, v4, s15 dst_sel:DWORD dst_unused:UNUSED_PAD src0_sel:BYTE_1 src1_sel:DWORD
	s_mov_b32 s22, s12
	v_cmp_ne_u32_e64 s[4:5], s15, v5
	v_pk_mov_b32 v[8:9], s[22:23], s[22:23] op_sel:[0,1]
	s_and_saveexec_b64 s[30:31], s[4:5]
	s_cbranch_execz .LBB217_472
; %bb.471:                              ;   in Loop: Header=BB217_435 Depth=1
	v_mov_b32_e32 v8, 7
	v_and_b32_sdwa v22, v4, v8 dst_sel:DWORD dst_unused:UNUSED_PAD src0_sel:BYTE_1 src1_sel:DWORD
	v_ffbh_u32_e32 v8, v22
	v_min_u32_e32 v13, 32, v8
	v_subrev_u32_e32 v8, 28, v13
	v_lshlrev_b64 v[8:9], v8, v[22:23]
	v_lshrrev_b32_e32 v12, 3, v5
	v_sub_u32_e32 v9, 29, v13
	v_cmp_gt_u32_e64 s[4:5], 8, v5
	v_and_b32_e32 v8, 7, v8
	v_cndmask_b32_e64 v5, v12, v9, s[4:5]
	v_bfrev_b32_e32 v12, 60
	v_cndmask_b32_e64 v8, v22, v8, s[4:5]
	v_lshlrev_b32_e32 v9, 16, v4
	v_lshl_add_u32 v5, v5, 23, v12
	v_and_or_b32 v5, v9, s13, v5
	v_lshlrev_b32_e32 v8, 20, v8
	v_or_b32_e32 v9, v5, v8
	v_mov_b32_e32 v8, v23
.LBB217_472:                            ;   in Loop: Header=BB217_435 Depth=1
	s_or_b64 exec, exec, s[30:31]
.LBB217_473:                            ;   in Loop: Header=BB217_435 Depth=1
	s_or_b64 exec, exec, s[28:29]
.LBB217_474:                            ;   in Loop: Header=BB217_435 Depth=1
	s_or_b64 exec, exec, s[26:27]
	v_lshrrev_b32_e32 v16, 16, v4
	v_pk_mov_b32 v[14:15], 0, 0
	v_cmp_ne_u16_sdwa s[4:5], v16, v23 src0_sel:BYTE_0 src1_sel:DWORD
	v_pk_mov_b32 v[12:13], v[14:15], v[14:15] op_sel:[0,1]
	s_and_saveexec_b64 s[26:27], s[4:5]
	s_cbranch_execz .LBB217_480
; %bb.475:                              ;   in Loop: Header=BB217_435 Depth=1
	v_bfrev_b32_e32 v12, 1
	v_cmp_ne_u16_sdwa s[4:5], v16, s7 src0_sel:BYTE_0 src1_sel:DWORD
	v_mov_b32_e32 v13, 0
	s_and_saveexec_b64 s[28:29], s[4:5]
	s_cbranch_execz .LBB217_479
; %bb.476:                              ;   in Loop: Header=BB217_435 Depth=1
	v_bfe_u32 v5, v4, 16, 7
	v_mov_b32_e32 v12, 0x7f800001
	v_cmp_ne_u32_e64 s[4:5], s15, v5
	v_mov_b32_e32 v13, 0
	s_and_saveexec_b64 s[30:31], s[4:5]
	s_cbranch_execz .LBB217_478
; %bb.477:                              ;   in Loop: Header=BB217_435 Depth=1
	v_and_b32_e32 v17, 7, v16
	v_ffbh_u32_e32 v12, v17
	v_min_u32_e32 v19, 32, v12
	v_subrev_u32_e32 v12, 28, v19
	v_lshlrev_b64 v[12:13], v12, v[16:17]
	v_lshrrev_b32_e32 v18, 3, v5
	v_sub_u32_e32 v13, 29, v19
	v_and_b32_e32 v12, 7, v12
	v_cmp_gt_u32_e64 s[4:5], 8, v5
	v_cndmask_b32_e64 v5, v18, v13, s[4:5]
	v_cndmask_b32_e64 v12, v17, v12, s[4:5]
	v_and_b32_sdwa v13, sext(v16), s13 dst_sel:DWORD dst_unused:UNUSED_PAD src0_sel:BYTE_0 src1_sel:DWORD
	v_bfrev_b32_e32 v16, 60
	v_lshlrev_b32_e32 v12, 20, v12
	v_lshl_add_u32 v5, v5, 23, v16
	v_or3_b32 v22, v13, v5, v12
	v_pk_mov_b32 v[12:13], v[22:23], v[22:23] op_sel:[0,1]
.LBB217_478:                            ;   in Loop: Header=BB217_435 Depth=1
	s_or_b64 exec, exec, s[30:31]
.LBB217_479:                            ;   in Loop: Header=BB217_435 Depth=1
	s_or_b64 exec, exec, s[28:29]
.LBB217_480:                            ;   in Loop: Header=BB217_435 Depth=1
	s_or_b64 exec, exec, s[26:27]
	v_cmp_lt_u32_e64 s[4:5], s34, v4
	s_and_saveexec_b64 s[26:27], s[4:5]
	s_cbranch_execz .LBB217_486
; %bb.481:                              ;   in Loop: Header=BB217_435 Depth=1
	v_cmp_ne_u32_sdwa s[4:5], v4, s7 src0_sel:BYTE_3 src1_sel:DWORD
	v_pk_mov_b32 v[14:15], s[12:13], s[12:13] op_sel:[0,1]
	s_and_saveexec_b64 s[28:29], s[4:5]
	s_cbranch_execz .LBB217_485
; %bb.482:                              ;   in Loop: Header=BB217_435 Depth=1
	v_bfe_u32 v5, v4, 24, 7
	s_mov_b32 s22, s12
	v_cmp_ne_u32_e64 s[4:5], s15, v5
	v_pk_mov_b32 v[14:15], s[22:23], s[22:23] op_sel:[0,1]
	s_and_saveexec_b64 s[30:31], s[4:5]
	s_cbranch_execz .LBB217_484
; %bb.483:                              ;   in Loop: Header=BB217_435 Depth=1
	v_mov_b32_e32 v14, 7
	v_and_b32_sdwa v22, v4, v14 dst_sel:DWORD dst_unused:UNUSED_PAD src0_sel:BYTE_3 src1_sel:DWORD
	v_ffbh_u32_e32 v14, v22
	v_min_u32_e32 v17, 32, v14
	v_subrev_u32_e32 v14, 28, v17
	v_lshlrev_b64 v[14:15], v14, v[22:23]
	v_lshrrev_b32_e32 v16, 3, v5
	v_sub_u32_e32 v15, 29, v17
	v_cmp_gt_u32_e64 s[4:5], 8, v5
	v_cndmask_b32_e64 v5, v16, v15, s[4:5]
	v_mov_b32_e32 v15, 24
	v_and_b32_e32 v14, 7, v14
	v_lshlrev_b32_sdwa v4, v15, v4 dst_sel:DWORD dst_unused:UNUSED_PAD src0_sel:DWORD src1_sel:BYTE_3
	v_bfrev_b32_e32 v15, 60
	v_cndmask_b32_e64 v14, v22, v14, s[4:5]
	v_lshl_add_u32 v5, v5, 23, v15
	v_and_or_b32 v4, v4, s13, v5
	v_lshlrev_b32_e32 v5, 20, v14
	v_or_b32_e32 v15, v4, v5
	v_mov_b32_e32 v14, v23
.LBB217_484:                            ;   in Loop: Header=BB217_435 Depth=1
	s_or_b64 exec, exec, s[30:31]
.LBB217_485:                            ;   in Loop: Header=BB217_435 Depth=1
	s_or_b64 exec, exec, s[28:29]
.LBB217_486:                            ;   in Loop: Header=BB217_435 Depth=1
	s_or_b64 exec, exec, s[26:27]
	v_mov_b32_e32 v27, v26
	v_or_b32_e32 v5, v9, v7
	v_or_b32_e32 v4, v8, v6
	v_pk_mul_f32 v[4:5], v[26:27], v[4:5]
	v_accvgpr_write_b32 a2, v4
	v_accvgpr_write_b32 a3, v5
	v_or_b32_e32 v5, v15, v13
	v_or_b32_e32 v4, v14, v12
	v_pk_mul_f32 v[4:5], v[26:27], v[4:5]
	v_accvgpr_write_b32 a53, v5
	v_accvgpr_write_b32 a52, v4
	s_and_saveexec_b64 s[26:27], vcc
	s_cbranch_execz .LBB217_488
; %bb.487:                              ;   in Loop: Header=BB217_435 Depth=1
	v_accvgpr_read_b32 v7, a3
	v_cmp_lt_i32_e64 s[4:5], v28, v62
	v_accvgpr_read_b32 v6, a2
	v_accvgpr_read_b32 v4, a50
	v_cndmask_b32_e64 v6, 0, v6, s[4:5]
	v_cmp_lt_i32_e64 s[4:5], v4, v62
	v_cndmask_b32_e64 v7, 0, v7, s[4:5]
	v_accvgpr_write_b32 a2, v6
	v_accvgpr_read_b32 v4, a45
	v_accvgpr_write_b32 a3, v7
	v_cmp_lt_i32_e64 s[4:5], v4, v62
	v_accvgpr_read_b32 v6, a52
	v_accvgpr_read_b32 v4, a43
	;; [unrolled: 1-line block ×3, first 2 shown]
	v_cndmask_b32_e64 v6, 0, v6, s[4:5]
	v_cmp_lt_i32_e64 s[4:5], v4, v62
	v_cndmask_b32_e64 v7, 0, v7, s[4:5]
	v_accvgpr_write_b32 a53, v7
	v_accvgpr_write_b32 a52, v6
.LBB217_488:                            ;   in Loop: Header=BB217_435 Depth=1
	s_or_b64 exec, exec, s[26:27]
	flat_load_dword v4, v[54:55] offset:512
	v_pk_mov_b32 v[8:9], 0, 0
	v_pk_mov_b32 v[6:7], v[8:9], v[8:9] op_sel:[0,1]
	s_waitcnt vmcnt(0) lgkmcnt(0)
	v_cmp_ne_u16_sdwa s[4:5], v4, v23 src0_sel:BYTE_0 src1_sel:DWORD
	s_and_saveexec_b64 s[26:27], s[4:5]
	s_cbranch_execz .LBB217_494
; %bb.489:                              ;   in Loop: Header=BB217_435 Depth=1
	v_bfrev_b32_e32 v6, 1
	v_cmp_ne_u16_sdwa s[4:5], v4, s7 src0_sel:BYTE_0 src1_sel:DWORD
	v_mov_b32_e32 v7, 0
	s_and_saveexec_b64 s[28:29], s[4:5]
	s_cbranch_execz .LBB217_493
; %bb.490:                              ;   in Loop: Header=BB217_435 Depth=1
	v_and_b32_e32 v5, 0x7f, v4
	v_mov_b32_e32 v6, 0x7f800001
	v_cmp_ne_u32_e64 s[4:5], s15, v5
	v_mov_b32_e32 v7, 0
	s_and_saveexec_b64 s[30:31], s[4:5]
	s_cbranch_execz .LBB217_492
; %bb.491:                              ;   in Loop: Header=BB217_435 Depth=1
	v_and_b32_e32 v12, 7, v4
	v_ffbh_u32_e32 v6, v12
	v_min_u32_e32 v14, 32, v6
	v_subrev_u32_e32 v6, 28, v14
	v_lshlrev_b64 v[6:7], v6, v[4:5]
	v_lshrrev_b32_e32 v13, 3, v5
	v_sub_u32_e32 v7, 29, v14
	v_and_b32_e32 v6, 7, v6
	v_cmp_gt_u32_e64 s[4:5], 8, v5
	v_cndmask_b32_e64 v5, v13, v7, s[4:5]
	v_cndmask_b32_e64 v6, v12, v6, s[4:5]
	v_bfrev_b32_e32 v12, 60
	v_lshlrev_b32_e32 v6, 20, v6
	v_and_b32_sdwa v7, sext(v4), s13 dst_sel:DWORD dst_unused:UNUSED_PAD src0_sel:BYTE_0 src1_sel:DWORD
	v_lshl_add_u32 v5, v5, 23, v12
	v_or3_b32 v22, v7, v5, v6
	v_pk_mov_b32 v[6:7], v[22:23], v[22:23] op_sel:[0,1]
.LBB217_492:                            ;   in Loop: Header=BB217_435 Depth=1
	s_or_b64 exec, exec, s[30:31]
.LBB217_493:                            ;   in Loop: Header=BB217_435 Depth=1
	s_or_b64 exec, exec, s[28:29]
.LBB217_494:                            ;   in Loop: Header=BB217_435 Depth=1
	s_or_b64 exec, exec, s[26:27]
	v_cmp_ne_u16_sdwa s[4:5], v4, v23 src0_sel:BYTE_1 src1_sel:DWORD
	s_and_saveexec_b64 s[26:27], s[4:5]
	s_cbranch_execz .LBB217_500
; %bb.495:                              ;   in Loop: Header=BB217_435 Depth=1
	v_cmp_ne_u16_sdwa s[4:5], v4, s7 src0_sel:BYTE_1 src1_sel:DWORD
	v_pk_mov_b32 v[8:9], s[12:13], s[12:13] op_sel:[0,1]
	s_and_saveexec_b64 s[28:29], s[4:5]
	s_cbranch_execz .LBB217_499
; %bb.496:                              ;   in Loop: Header=BB217_435 Depth=1
	v_and_b32_sdwa v5, v4, s15 dst_sel:DWORD dst_unused:UNUSED_PAD src0_sel:BYTE_1 src1_sel:DWORD
	s_mov_b32 s22, s12
	v_cmp_ne_u32_e64 s[4:5], s15, v5
	v_pk_mov_b32 v[8:9], s[22:23], s[22:23] op_sel:[0,1]
	s_and_saveexec_b64 s[30:31], s[4:5]
	s_cbranch_execz .LBB217_498
; %bb.497:                              ;   in Loop: Header=BB217_435 Depth=1
	v_mov_b32_e32 v8, 7
	v_and_b32_sdwa v22, v4, v8 dst_sel:DWORD dst_unused:UNUSED_PAD src0_sel:BYTE_1 src1_sel:DWORD
	v_ffbh_u32_e32 v8, v22
	v_min_u32_e32 v13, 32, v8
	v_subrev_u32_e32 v8, 28, v13
	v_lshlrev_b64 v[8:9], v8, v[22:23]
	v_lshrrev_b32_e32 v12, 3, v5
	v_sub_u32_e32 v9, 29, v13
	v_cmp_gt_u32_e64 s[4:5], 8, v5
	v_and_b32_e32 v8, 7, v8
	v_cndmask_b32_e64 v5, v12, v9, s[4:5]
	v_bfrev_b32_e32 v12, 60
	v_cndmask_b32_e64 v8, v22, v8, s[4:5]
	v_lshlrev_b32_e32 v9, 16, v4
	v_lshl_add_u32 v5, v5, 23, v12
	v_and_or_b32 v5, v9, s13, v5
	v_lshlrev_b32_e32 v8, 20, v8
	v_or_b32_e32 v9, v5, v8
	v_mov_b32_e32 v8, v23
.LBB217_498:                            ;   in Loop: Header=BB217_435 Depth=1
	s_or_b64 exec, exec, s[30:31]
.LBB217_499:                            ;   in Loop: Header=BB217_435 Depth=1
	s_or_b64 exec, exec, s[28:29]
.LBB217_500:                            ;   in Loop: Header=BB217_435 Depth=1
	s_or_b64 exec, exec, s[26:27]
	v_lshrrev_b32_e32 v16, 16, v4
	v_pk_mov_b32 v[14:15], 0, 0
	v_cmp_ne_u16_sdwa s[4:5], v16, v23 src0_sel:BYTE_0 src1_sel:DWORD
	v_pk_mov_b32 v[12:13], v[14:15], v[14:15] op_sel:[0,1]
	s_and_saveexec_b64 s[26:27], s[4:5]
	s_cbranch_execz .LBB217_506
; %bb.501:                              ;   in Loop: Header=BB217_435 Depth=1
	v_bfrev_b32_e32 v12, 1
	v_cmp_ne_u16_sdwa s[4:5], v16, s7 src0_sel:BYTE_0 src1_sel:DWORD
	v_mov_b32_e32 v13, 0
	s_and_saveexec_b64 s[28:29], s[4:5]
	s_cbranch_execz .LBB217_505
; %bb.502:                              ;   in Loop: Header=BB217_435 Depth=1
	v_bfe_u32 v5, v4, 16, 7
	v_mov_b32_e32 v12, 0x7f800001
	v_cmp_ne_u32_e64 s[4:5], s15, v5
	v_mov_b32_e32 v13, 0
	s_and_saveexec_b64 s[30:31], s[4:5]
	s_cbranch_execz .LBB217_504
; %bb.503:                              ;   in Loop: Header=BB217_435 Depth=1
	v_and_b32_e32 v17, 7, v16
	v_ffbh_u32_e32 v12, v17
	v_min_u32_e32 v19, 32, v12
	v_subrev_u32_e32 v12, 28, v19
	v_lshlrev_b64 v[12:13], v12, v[16:17]
	v_lshrrev_b32_e32 v18, 3, v5
	v_sub_u32_e32 v13, 29, v19
	v_and_b32_e32 v12, 7, v12
	v_cmp_gt_u32_e64 s[4:5], 8, v5
	v_cndmask_b32_e64 v5, v18, v13, s[4:5]
	v_cndmask_b32_e64 v12, v17, v12, s[4:5]
	v_and_b32_sdwa v13, sext(v16), s13 dst_sel:DWORD dst_unused:UNUSED_PAD src0_sel:BYTE_0 src1_sel:DWORD
	v_bfrev_b32_e32 v16, 60
	v_lshlrev_b32_e32 v12, 20, v12
	v_lshl_add_u32 v5, v5, 23, v16
	v_or3_b32 v22, v13, v5, v12
	v_pk_mov_b32 v[12:13], v[22:23], v[22:23] op_sel:[0,1]
.LBB217_504:                            ;   in Loop: Header=BB217_435 Depth=1
	s_or_b64 exec, exec, s[30:31]
.LBB217_505:                            ;   in Loop: Header=BB217_435 Depth=1
	s_or_b64 exec, exec, s[28:29]
.LBB217_506:                            ;   in Loop: Header=BB217_435 Depth=1
	s_or_b64 exec, exec, s[26:27]
	v_cmp_lt_u32_e64 s[4:5], s34, v4
	s_and_saveexec_b64 s[26:27], s[4:5]
	s_cbranch_execz .LBB217_512
; %bb.507:                              ;   in Loop: Header=BB217_435 Depth=1
	v_cmp_ne_u32_sdwa s[4:5], v4, s7 src0_sel:BYTE_3 src1_sel:DWORD
	v_pk_mov_b32 v[14:15], s[12:13], s[12:13] op_sel:[0,1]
	s_and_saveexec_b64 s[28:29], s[4:5]
	s_cbranch_execz .LBB217_511
; %bb.508:                              ;   in Loop: Header=BB217_435 Depth=1
	v_bfe_u32 v5, v4, 24, 7
	s_mov_b32 s22, s12
	v_cmp_ne_u32_e64 s[4:5], s15, v5
	v_pk_mov_b32 v[14:15], s[22:23], s[22:23] op_sel:[0,1]
	s_and_saveexec_b64 s[30:31], s[4:5]
	s_cbranch_execz .LBB217_510
; %bb.509:                              ;   in Loop: Header=BB217_435 Depth=1
	v_mov_b32_e32 v14, 7
	v_and_b32_sdwa v22, v4, v14 dst_sel:DWORD dst_unused:UNUSED_PAD src0_sel:BYTE_3 src1_sel:DWORD
	v_ffbh_u32_e32 v14, v22
	v_min_u32_e32 v17, 32, v14
	v_subrev_u32_e32 v14, 28, v17
	v_lshlrev_b64 v[14:15], v14, v[22:23]
	v_lshrrev_b32_e32 v16, 3, v5
	v_sub_u32_e32 v15, 29, v17
	v_cmp_gt_u32_e64 s[4:5], 8, v5
	v_cndmask_b32_e64 v5, v16, v15, s[4:5]
	v_mov_b32_e32 v15, 24
	v_and_b32_e32 v14, 7, v14
	v_lshlrev_b32_sdwa v4, v15, v4 dst_sel:DWORD dst_unused:UNUSED_PAD src0_sel:DWORD src1_sel:BYTE_3
	v_bfrev_b32_e32 v15, 60
	v_cndmask_b32_e64 v14, v22, v14, s[4:5]
	v_lshl_add_u32 v5, v5, 23, v15
	v_and_or_b32 v4, v4, s13, v5
	v_lshlrev_b32_e32 v5, 20, v14
	v_or_b32_e32 v15, v4, v5
	v_mov_b32_e32 v14, v23
.LBB217_510:                            ;   in Loop: Header=BB217_435 Depth=1
	s_or_b64 exec, exec, s[30:31]
.LBB217_511:                            ;   in Loop: Header=BB217_435 Depth=1
	s_or_b64 exec, exec, s[28:29]
.LBB217_512:                            ;   in Loop: Header=BB217_435 Depth=1
	s_or_b64 exec, exec, s[26:27]
	v_or_b32_e32 v5, v9, v7
	v_or_b32_e32 v4, v8, v6
	v_pk_mul_f32 v[4:5], v[26:27], v[4:5]
	v_accvgpr_write_b32 a55, v5
	v_accvgpr_write_b32 a54, v4
	v_or_b32_e32 v5, v15, v13
	v_or_b32_e32 v4, v14, v12
	v_pk_mul_f32 v[4:5], v[26:27], v[4:5]
	v_accvgpr_write_b32 a57, v5
	v_accvgpr_write_b32 a56, v4
	s_and_saveexec_b64 s[26:27], vcc
	s_cbranch_execz .LBB217_514
; %bb.513:                              ;   in Loop: Header=BB217_435 Depth=1
	v_cmp_lt_i32_e64 s[4:5], v28, v62
	v_accvgpr_read_b32 v6, a54
	v_accvgpr_read_b32 v4, a50
	;; [unrolled: 1-line block ×3, first 2 shown]
	v_cndmask_b32_e64 v6, 0, v6, s[4:5]
	v_cmp_lt_i32_e64 s[4:5], v4, v62
	v_cndmask_b32_e64 v7, 0, v7, s[4:5]
	v_accvgpr_write_b32 a55, v7
	v_accvgpr_read_b32 v4, a45
	v_accvgpr_write_b32 a54, v6
	v_cmp_lt_i32_e64 s[4:5], v4, v62
	v_accvgpr_read_b32 v6, a56
	v_accvgpr_read_b32 v4, a43
	;; [unrolled: 1-line block ×3, first 2 shown]
	v_cndmask_b32_e64 v6, 0, v6, s[4:5]
	v_cmp_lt_i32_e64 s[4:5], v4, v62
	v_cndmask_b32_e64 v7, 0, v7, s[4:5]
	v_accvgpr_write_b32 a57, v7
	v_accvgpr_write_b32 a56, v6
.LBB217_514:                            ;   in Loop: Header=BB217_435 Depth=1
	s_or_b64 exec, exec, s[26:27]
	flat_load_dword v4, v[54:55] offset:768
	v_pk_mov_b32 v[8:9], 0, 0
	v_pk_mov_b32 v[6:7], v[8:9], v[8:9] op_sel:[0,1]
	s_waitcnt vmcnt(0) lgkmcnt(0)
	v_cmp_ne_u16_sdwa s[4:5], v4, v23 src0_sel:BYTE_0 src1_sel:DWORD
	s_and_saveexec_b64 s[26:27], s[4:5]
	s_cbranch_execz .LBB217_520
; %bb.515:                              ;   in Loop: Header=BB217_435 Depth=1
	v_bfrev_b32_e32 v6, 1
	v_cmp_ne_u16_sdwa s[4:5], v4, s7 src0_sel:BYTE_0 src1_sel:DWORD
	v_mov_b32_e32 v7, 0
	s_and_saveexec_b64 s[28:29], s[4:5]
	s_cbranch_execz .LBB217_519
; %bb.516:                              ;   in Loop: Header=BB217_435 Depth=1
	v_and_b32_e32 v5, 0x7f, v4
	v_mov_b32_e32 v6, 0x7f800001
	v_cmp_ne_u32_e64 s[4:5], s15, v5
	v_mov_b32_e32 v7, 0
	s_and_saveexec_b64 s[30:31], s[4:5]
	s_cbranch_execz .LBB217_518
; %bb.517:                              ;   in Loop: Header=BB217_435 Depth=1
	v_and_b32_e32 v12, 7, v4
	v_ffbh_u32_e32 v6, v12
	v_min_u32_e32 v14, 32, v6
	v_subrev_u32_e32 v6, 28, v14
	v_lshlrev_b64 v[6:7], v6, v[4:5]
	v_lshrrev_b32_e32 v13, 3, v5
	v_sub_u32_e32 v7, 29, v14
	v_and_b32_e32 v6, 7, v6
	v_cmp_gt_u32_e64 s[4:5], 8, v5
	v_cndmask_b32_e64 v5, v13, v7, s[4:5]
	v_cndmask_b32_e64 v6, v12, v6, s[4:5]
	v_bfrev_b32_e32 v12, 60
	v_lshlrev_b32_e32 v6, 20, v6
	v_and_b32_sdwa v7, sext(v4), s13 dst_sel:DWORD dst_unused:UNUSED_PAD src0_sel:BYTE_0 src1_sel:DWORD
	v_lshl_add_u32 v5, v5, 23, v12
	v_or3_b32 v22, v7, v5, v6
	v_pk_mov_b32 v[6:7], v[22:23], v[22:23] op_sel:[0,1]
.LBB217_518:                            ;   in Loop: Header=BB217_435 Depth=1
	s_or_b64 exec, exec, s[30:31]
.LBB217_519:                            ;   in Loop: Header=BB217_435 Depth=1
	s_or_b64 exec, exec, s[28:29]
.LBB217_520:                            ;   in Loop: Header=BB217_435 Depth=1
	s_or_b64 exec, exec, s[26:27]
	v_cmp_ne_u16_sdwa s[4:5], v4, v23 src0_sel:BYTE_1 src1_sel:DWORD
	s_and_saveexec_b64 s[26:27], s[4:5]
	s_cbranch_execz .LBB217_526
; %bb.521:                              ;   in Loop: Header=BB217_435 Depth=1
	v_cmp_ne_u16_sdwa s[4:5], v4, s7 src0_sel:BYTE_1 src1_sel:DWORD
	v_pk_mov_b32 v[8:9], s[12:13], s[12:13] op_sel:[0,1]
	s_and_saveexec_b64 s[28:29], s[4:5]
	s_cbranch_execz .LBB217_525
; %bb.522:                              ;   in Loop: Header=BB217_435 Depth=1
	v_and_b32_sdwa v5, v4, s15 dst_sel:DWORD dst_unused:UNUSED_PAD src0_sel:BYTE_1 src1_sel:DWORD
	s_mov_b32 s22, s12
	v_cmp_ne_u32_e64 s[4:5], s15, v5
	v_pk_mov_b32 v[8:9], s[22:23], s[22:23] op_sel:[0,1]
	s_and_saveexec_b64 s[30:31], s[4:5]
	s_cbranch_execz .LBB217_524
; %bb.523:                              ;   in Loop: Header=BB217_435 Depth=1
	v_mov_b32_e32 v8, 7
	v_and_b32_sdwa v22, v4, v8 dst_sel:DWORD dst_unused:UNUSED_PAD src0_sel:BYTE_1 src1_sel:DWORD
	v_ffbh_u32_e32 v8, v22
	v_min_u32_e32 v13, 32, v8
	v_subrev_u32_e32 v8, 28, v13
	v_lshlrev_b64 v[8:9], v8, v[22:23]
	v_lshrrev_b32_e32 v12, 3, v5
	v_sub_u32_e32 v9, 29, v13
	v_cmp_gt_u32_e64 s[4:5], 8, v5
	v_and_b32_e32 v8, 7, v8
	v_cndmask_b32_e64 v5, v12, v9, s[4:5]
	v_bfrev_b32_e32 v12, 60
	v_cndmask_b32_e64 v8, v22, v8, s[4:5]
	v_lshlrev_b32_e32 v9, 16, v4
	v_lshl_add_u32 v5, v5, 23, v12
	v_and_or_b32 v5, v9, s13, v5
	v_lshlrev_b32_e32 v8, 20, v8
	v_or_b32_e32 v9, v5, v8
	v_mov_b32_e32 v8, v23
.LBB217_524:                            ;   in Loop: Header=BB217_435 Depth=1
	s_or_b64 exec, exec, s[30:31]
.LBB217_525:                            ;   in Loop: Header=BB217_435 Depth=1
	s_or_b64 exec, exec, s[28:29]
.LBB217_526:                            ;   in Loop: Header=BB217_435 Depth=1
	s_or_b64 exec, exec, s[26:27]
	v_lshrrev_b32_e32 v16, 16, v4
	v_pk_mov_b32 v[14:15], 0, 0
	v_cmp_ne_u16_sdwa s[4:5], v16, v23 src0_sel:BYTE_0 src1_sel:DWORD
	v_pk_mov_b32 v[12:13], v[14:15], v[14:15] op_sel:[0,1]
	s_and_saveexec_b64 s[26:27], s[4:5]
	s_cbranch_execz .LBB217_532
; %bb.527:                              ;   in Loop: Header=BB217_435 Depth=1
	v_bfrev_b32_e32 v12, 1
	v_cmp_ne_u16_sdwa s[4:5], v16, s7 src0_sel:BYTE_0 src1_sel:DWORD
	v_mov_b32_e32 v13, 0
	s_and_saveexec_b64 s[28:29], s[4:5]
	s_cbranch_execz .LBB217_531
; %bb.528:                              ;   in Loop: Header=BB217_435 Depth=1
	v_bfe_u32 v5, v4, 16, 7
	v_mov_b32_e32 v12, 0x7f800001
	v_cmp_ne_u32_e64 s[4:5], s15, v5
	v_mov_b32_e32 v13, 0
	s_and_saveexec_b64 s[30:31], s[4:5]
	s_cbranch_execz .LBB217_530
; %bb.529:                              ;   in Loop: Header=BB217_435 Depth=1
	v_and_b32_e32 v17, 7, v16
	v_ffbh_u32_e32 v12, v17
	v_min_u32_e32 v19, 32, v12
	v_subrev_u32_e32 v12, 28, v19
	v_lshlrev_b64 v[12:13], v12, v[16:17]
	v_lshrrev_b32_e32 v18, 3, v5
	v_sub_u32_e32 v13, 29, v19
	v_and_b32_e32 v12, 7, v12
	v_cmp_gt_u32_e64 s[4:5], 8, v5
	v_cndmask_b32_e64 v5, v18, v13, s[4:5]
	v_cndmask_b32_e64 v12, v17, v12, s[4:5]
	v_and_b32_sdwa v13, sext(v16), s13 dst_sel:DWORD dst_unused:UNUSED_PAD src0_sel:BYTE_0 src1_sel:DWORD
	v_bfrev_b32_e32 v16, 60
	v_lshlrev_b32_e32 v12, 20, v12
	v_lshl_add_u32 v5, v5, 23, v16
	v_or3_b32 v22, v13, v5, v12
	v_pk_mov_b32 v[12:13], v[22:23], v[22:23] op_sel:[0,1]
.LBB217_530:                            ;   in Loop: Header=BB217_435 Depth=1
	s_or_b64 exec, exec, s[30:31]
.LBB217_531:                            ;   in Loop: Header=BB217_435 Depth=1
	s_or_b64 exec, exec, s[28:29]
.LBB217_532:                            ;   in Loop: Header=BB217_435 Depth=1
	s_or_b64 exec, exec, s[26:27]
	v_cmp_lt_u32_e64 s[4:5], s34, v4
	s_and_saveexec_b64 s[26:27], s[4:5]
	s_cbranch_execz .LBB217_538
; %bb.533:                              ;   in Loop: Header=BB217_435 Depth=1
	v_cmp_ne_u32_sdwa s[4:5], v4, s7 src0_sel:BYTE_3 src1_sel:DWORD
	v_pk_mov_b32 v[14:15], s[12:13], s[12:13] op_sel:[0,1]
	s_and_saveexec_b64 s[28:29], s[4:5]
	s_cbranch_execz .LBB217_537
; %bb.534:                              ;   in Loop: Header=BB217_435 Depth=1
	v_bfe_u32 v5, v4, 24, 7
	s_mov_b32 s22, s12
	v_cmp_ne_u32_e64 s[4:5], s15, v5
	v_pk_mov_b32 v[14:15], s[22:23], s[22:23] op_sel:[0,1]
	s_and_saveexec_b64 s[30:31], s[4:5]
	s_cbranch_execz .LBB217_536
; %bb.535:                              ;   in Loop: Header=BB217_435 Depth=1
	v_mov_b32_e32 v14, 7
	v_and_b32_sdwa v22, v4, v14 dst_sel:DWORD dst_unused:UNUSED_PAD src0_sel:BYTE_3 src1_sel:DWORD
	v_ffbh_u32_e32 v14, v22
	v_min_u32_e32 v17, 32, v14
	v_subrev_u32_e32 v14, 28, v17
	v_lshlrev_b64 v[14:15], v14, v[22:23]
	v_lshrrev_b32_e32 v16, 3, v5
	v_sub_u32_e32 v15, 29, v17
	v_cmp_gt_u32_e64 s[4:5], 8, v5
	v_cndmask_b32_e64 v5, v16, v15, s[4:5]
	v_mov_b32_e32 v15, 24
	v_and_b32_e32 v14, 7, v14
	v_lshlrev_b32_sdwa v4, v15, v4 dst_sel:DWORD dst_unused:UNUSED_PAD src0_sel:DWORD src1_sel:BYTE_3
	v_bfrev_b32_e32 v15, 60
	v_cndmask_b32_e64 v14, v22, v14, s[4:5]
	v_lshl_add_u32 v5, v5, 23, v15
	v_and_or_b32 v4, v4, s13, v5
	v_lshlrev_b32_e32 v5, 20, v14
	v_or_b32_e32 v15, v4, v5
	v_mov_b32_e32 v14, v23
.LBB217_536:                            ;   in Loop: Header=BB217_435 Depth=1
	s_or_b64 exec, exec, s[30:31]
.LBB217_537:                            ;   in Loop: Header=BB217_435 Depth=1
	s_or_b64 exec, exec, s[28:29]
.LBB217_538:                            ;   in Loop: Header=BB217_435 Depth=1
	s_or_b64 exec, exec, s[26:27]
	v_or_b32_e32 v5, v9, v7
	v_or_b32_e32 v4, v8, v6
	v_pk_mul_f32 v[4:5], v[26:27], v[4:5]
	v_accvgpr_write_b32 a59, v5
	v_accvgpr_write_b32 a58, v4
	v_or_b32_e32 v5, v15, v13
	v_or_b32_e32 v4, v14, v12
	v_pk_mul_f32 v[4:5], v[26:27], v[4:5]
	v_accvgpr_write_b32 a61, v5
	v_accvgpr_write_b32 a60, v4
	s_and_saveexec_b64 s[26:27], vcc
	s_cbranch_execz .LBB217_540
; %bb.539:                              ;   in Loop: Header=BB217_435 Depth=1
	v_cmp_lt_i32_e64 s[4:5], v28, v62
	v_accvgpr_read_b32 v6, a58
	v_accvgpr_read_b32 v4, a50
	;; [unrolled: 1-line block ×3, first 2 shown]
	v_cndmask_b32_e64 v6, 0, v6, s[4:5]
	v_cmp_lt_i32_e64 s[4:5], v4, v62
	v_cndmask_b32_e64 v7, 0, v7, s[4:5]
	v_accvgpr_write_b32 a59, v7
	v_accvgpr_read_b32 v4, a45
	v_accvgpr_write_b32 a58, v6
	v_cmp_lt_i32_e64 s[4:5], v4, v62
	v_accvgpr_read_b32 v6, a60
	v_accvgpr_read_b32 v4, a43
	;; [unrolled: 1-line block ×3, first 2 shown]
	v_cndmask_b32_e64 v6, 0, v6, s[4:5]
	v_cmp_lt_i32_e64 s[4:5], v4, v62
	v_cndmask_b32_e64 v7, 0, v7, s[4:5]
	v_accvgpr_write_b32 a61, v7
	v_accvgpr_write_b32 a60, v6
.LBB217_540:                            ;   in Loop: Header=BB217_435 Depth=1
	s_or_b64 exec, exec, s[26:27]
	flat_load_dword v4, v[54:55] offset:1024
	v_pk_mov_b32 v[8:9], 0, 0
	v_pk_mov_b32 v[6:7], v[8:9], v[8:9] op_sel:[0,1]
	s_waitcnt vmcnt(0) lgkmcnt(0)
	v_cmp_ne_u16_sdwa s[4:5], v4, v23 src0_sel:BYTE_0 src1_sel:DWORD
	s_and_saveexec_b64 s[26:27], s[4:5]
	s_cbranch_execz .LBB217_546
; %bb.541:                              ;   in Loop: Header=BB217_435 Depth=1
	v_bfrev_b32_e32 v6, 1
	v_cmp_ne_u16_sdwa s[4:5], v4, s7 src0_sel:BYTE_0 src1_sel:DWORD
	v_mov_b32_e32 v7, 0
	s_and_saveexec_b64 s[28:29], s[4:5]
	s_cbranch_execz .LBB217_545
; %bb.542:                              ;   in Loop: Header=BB217_435 Depth=1
	v_and_b32_e32 v5, 0x7f, v4
	v_mov_b32_e32 v6, 0x7f800001
	v_cmp_ne_u32_e64 s[4:5], s15, v5
	v_mov_b32_e32 v7, 0
	s_and_saveexec_b64 s[30:31], s[4:5]
	s_cbranch_execz .LBB217_544
; %bb.543:                              ;   in Loop: Header=BB217_435 Depth=1
	v_and_b32_e32 v12, 7, v4
	v_ffbh_u32_e32 v6, v12
	v_min_u32_e32 v14, 32, v6
	v_subrev_u32_e32 v6, 28, v14
	v_lshlrev_b64 v[6:7], v6, v[4:5]
	v_lshrrev_b32_e32 v13, 3, v5
	v_sub_u32_e32 v7, 29, v14
	v_and_b32_e32 v6, 7, v6
	v_cmp_gt_u32_e64 s[4:5], 8, v5
	v_cndmask_b32_e64 v5, v13, v7, s[4:5]
	v_cndmask_b32_e64 v6, v12, v6, s[4:5]
	v_bfrev_b32_e32 v12, 60
	v_lshlrev_b32_e32 v6, 20, v6
	v_and_b32_sdwa v7, sext(v4), s13 dst_sel:DWORD dst_unused:UNUSED_PAD src0_sel:BYTE_0 src1_sel:DWORD
	v_lshl_add_u32 v5, v5, 23, v12
	v_or3_b32 v22, v7, v5, v6
	v_pk_mov_b32 v[6:7], v[22:23], v[22:23] op_sel:[0,1]
.LBB217_544:                            ;   in Loop: Header=BB217_435 Depth=1
	s_or_b64 exec, exec, s[30:31]
.LBB217_545:                            ;   in Loop: Header=BB217_435 Depth=1
	s_or_b64 exec, exec, s[28:29]
.LBB217_546:                            ;   in Loop: Header=BB217_435 Depth=1
	s_or_b64 exec, exec, s[26:27]
	v_cmp_ne_u16_sdwa s[4:5], v4, v23 src0_sel:BYTE_1 src1_sel:DWORD
	s_and_saveexec_b64 s[26:27], s[4:5]
	s_cbranch_execz .LBB217_552
; %bb.547:                              ;   in Loop: Header=BB217_435 Depth=1
	v_cmp_ne_u16_sdwa s[4:5], v4, s7 src0_sel:BYTE_1 src1_sel:DWORD
	v_pk_mov_b32 v[8:9], s[12:13], s[12:13] op_sel:[0,1]
	s_and_saveexec_b64 s[28:29], s[4:5]
	s_cbranch_execz .LBB217_551
; %bb.548:                              ;   in Loop: Header=BB217_435 Depth=1
	v_and_b32_sdwa v5, v4, s15 dst_sel:DWORD dst_unused:UNUSED_PAD src0_sel:BYTE_1 src1_sel:DWORD
	s_mov_b32 s22, s12
	v_cmp_ne_u32_e64 s[4:5], s15, v5
	v_pk_mov_b32 v[8:9], s[22:23], s[22:23] op_sel:[0,1]
	s_and_saveexec_b64 s[30:31], s[4:5]
	s_cbranch_execz .LBB217_550
; %bb.549:                              ;   in Loop: Header=BB217_435 Depth=1
	v_mov_b32_e32 v8, 7
	v_and_b32_sdwa v22, v4, v8 dst_sel:DWORD dst_unused:UNUSED_PAD src0_sel:BYTE_1 src1_sel:DWORD
	v_ffbh_u32_e32 v8, v22
	v_min_u32_e32 v13, 32, v8
	v_subrev_u32_e32 v8, 28, v13
	v_lshlrev_b64 v[8:9], v8, v[22:23]
	v_lshrrev_b32_e32 v12, 3, v5
	v_sub_u32_e32 v9, 29, v13
	v_cmp_gt_u32_e64 s[4:5], 8, v5
	v_and_b32_e32 v8, 7, v8
	v_cndmask_b32_e64 v5, v12, v9, s[4:5]
	v_bfrev_b32_e32 v12, 60
	v_cndmask_b32_e64 v8, v22, v8, s[4:5]
	v_lshlrev_b32_e32 v9, 16, v4
	v_lshl_add_u32 v5, v5, 23, v12
	v_and_or_b32 v5, v9, s13, v5
	v_lshlrev_b32_e32 v8, 20, v8
	v_or_b32_e32 v9, v5, v8
	v_mov_b32_e32 v8, v23
.LBB217_550:                            ;   in Loop: Header=BB217_435 Depth=1
	s_or_b64 exec, exec, s[30:31]
.LBB217_551:                            ;   in Loop: Header=BB217_435 Depth=1
	s_or_b64 exec, exec, s[28:29]
.LBB217_552:                            ;   in Loop: Header=BB217_435 Depth=1
	s_or_b64 exec, exec, s[26:27]
	v_lshrrev_b32_e32 v16, 16, v4
	v_pk_mov_b32 v[14:15], 0, 0
	v_cmp_ne_u16_sdwa s[4:5], v16, v23 src0_sel:BYTE_0 src1_sel:DWORD
	v_pk_mov_b32 v[12:13], v[14:15], v[14:15] op_sel:[0,1]
	s_and_saveexec_b64 s[26:27], s[4:5]
	s_cbranch_execz .LBB217_558
; %bb.553:                              ;   in Loop: Header=BB217_435 Depth=1
	v_bfrev_b32_e32 v12, 1
	v_cmp_ne_u16_sdwa s[4:5], v16, s7 src0_sel:BYTE_0 src1_sel:DWORD
	v_mov_b32_e32 v13, 0
	s_and_saveexec_b64 s[28:29], s[4:5]
	s_cbranch_execz .LBB217_557
; %bb.554:                              ;   in Loop: Header=BB217_435 Depth=1
	v_bfe_u32 v5, v4, 16, 7
	v_mov_b32_e32 v12, 0x7f800001
	v_cmp_ne_u32_e64 s[4:5], s15, v5
	v_mov_b32_e32 v13, 0
	s_and_saveexec_b64 s[30:31], s[4:5]
	s_cbranch_execz .LBB217_556
; %bb.555:                              ;   in Loop: Header=BB217_435 Depth=1
	v_and_b32_e32 v17, 7, v16
	v_ffbh_u32_e32 v12, v17
	v_min_u32_e32 v19, 32, v12
	v_subrev_u32_e32 v12, 28, v19
	v_lshlrev_b64 v[12:13], v12, v[16:17]
	v_lshrrev_b32_e32 v18, 3, v5
	v_sub_u32_e32 v13, 29, v19
	v_and_b32_e32 v12, 7, v12
	v_cmp_gt_u32_e64 s[4:5], 8, v5
	v_cndmask_b32_e64 v5, v18, v13, s[4:5]
	v_cndmask_b32_e64 v12, v17, v12, s[4:5]
	v_and_b32_sdwa v13, sext(v16), s13 dst_sel:DWORD dst_unused:UNUSED_PAD src0_sel:BYTE_0 src1_sel:DWORD
	v_bfrev_b32_e32 v16, 60
	v_lshlrev_b32_e32 v12, 20, v12
	v_lshl_add_u32 v5, v5, 23, v16
	v_or3_b32 v22, v13, v5, v12
	v_pk_mov_b32 v[12:13], v[22:23], v[22:23] op_sel:[0,1]
.LBB217_556:                            ;   in Loop: Header=BB217_435 Depth=1
	s_or_b64 exec, exec, s[30:31]
.LBB217_557:                            ;   in Loop: Header=BB217_435 Depth=1
	s_or_b64 exec, exec, s[28:29]
.LBB217_558:                            ;   in Loop: Header=BB217_435 Depth=1
	s_or_b64 exec, exec, s[26:27]
	v_cmp_lt_u32_e64 s[4:5], s34, v4
	s_and_saveexec_b64 s[26:27], s[4:5]
	s_cbranch_execz .LBB217_564
; %bb.559:                              ;   in Loop: Header=BB217_435 Depth=1
	v_cmp_ne_u32_sdwa s[4:5], v4, s7 src0_sel:BYTE_3 src1_sel:DWORD
	v_pk_mov_b32 v[14:15], s[12:13], s[12:13] op_sel:[0,1]
	s_and_saveexec_b64 s[28:29], s[4:5]
	s_cbranch_execz .LBB217_563
; %bb.560:                              ;   in Loop: Header=BB217_435 Depth=1
	v_bfe_u32 v5, v4, 24, 7
	s_mov_b32 s22, s12
	v_cmp_ne_u32_e64 s[4:5], s15, v5
	v_pk_mov_b32 v[14:15], s[22:23], s[22:23] op_sel:[0,1]
	s_and_saveexec_b64 s[30:31], s[4:5]
	s_cbranch_execz .LBB217_562
; %bb.561:                              ;   in Loop: Header=BB217_435 Depth=1
	v_mov_b32_e32 v14, 7
	v_and_b32_sdwa v22, v4, v14 dst_sel:DWORD dst_unused:UNUSED_PAD src0_sel:BYTE_3 src1_sel:DWORD
	v_ffbh_u32_e32 v14, v22
	v_min_u32_e32 v17, 32, v14
	v_subrev_u32_e32 v14, 28, v17
	v_lshlrev_b64 v[14:15], v14, v[22:23]
	v_lshrrev_b32_e32 v16, 3, v5
	v_sub_u32_e32 v15, 29, v17
	v_cmp_gt_u32_e64 s[4:5], 8, v5
	v_cndmask_b32_e64 v5, v16, v15, s[4:5]
	v_mov_b32_e32 v15, 24
	v_and_b32_e32 v14, 7, v14
	v_lshlrev_b32_sdwa v4, v15, v4 dst_sel:DWORD dst_unused:UNUSED_PAD src0_sel:DWORD src1_sel:BYTE_3
	v_bfrev_b32_e32 v15, 60
	v_cndmask_b32_e64 v14, v22, v14, s[4:5]
	v_lshl_add_u32 v5, v5, 23, v15
	v_and_or_b32 v4, v4, s13, v5
	v_lshlrev_b32_e32 v5, 20, v14
	v_or_b32_e32 v15, v4, v5
	v_mov_b32_e32 v14, v23
.LBB217_562:                            ;   in Loop: Header=BB217_435 Depth=1
	s_or_b64 exec, exec, s[30:31]
.LBB217_563:                            ;   in Loop: Header=BB217_435 Depth=1
	s_or_b64 exec, exec, s[28:29]
.LBB217_564:                            ;   in Loop: Header=BB217_435 Depth=1
	s_or_b64 exec, exec, s[26:27]
	v_or_b32_e32 v5, v9, v7
	v_or_b32_e32 v4, v8, v6
	v_pk_mul_f32 v[4:5], v[26:27], v[4:5]
	v_accvgpr_write_b32 a63, v5
	v_accvgpr_write_b32 a62, v4
	v_or_b32_e32 v5, v15, v13
	v_or_b32_e32 v4, v14, v12
	v_pk_mul_f32 v[4:5], v[26:27], v[4:5]
	v_accvgpr_write_b32 a19, v5
	v_accvgpr_write_b32 a18, v4
	s_and_saveexec_b64 s[26:27], vcc
	s_cbranch_execz .LBB217_566
; %bb.565:                              ;   in Loop: Header=BB217_435 Depth=1
	v_cmp_lt_i32_e64 s[4:5], v28, v62
	v_accvgpr_read_b32 v6, a62
	v_accvgpr_read_b32 v4, a50
	;; [unrolled: 1-line block ×3, first 2 shown]
	v_cndmask_b32_e64 v6, 0, v6, s[4:5]
	v_cmp_lt_i32_e64 s[4:5], v4, v62
	v_cndmask_b32_e64 v7, 0, v7, s[4:5]
	v_accvgpr_write_b32 a63, v7
	v_accvgpr_read_b32 v4, a45
	v_accvgpr_write_b32 a62, v6
	v_cmp_lt_i32_e64 s[4:5], v4, v62
	v_accvgpr_read_b32 v6, a18
	v_accvgpr_read_b32 v4, a43
	v_accvgpr_read_b32 v7, a19
	v_cndmask_b32_e64 v6, 0, v6, s[4:5]
	v_cmp_lt_i32_e64 s[4:5], v4, v62
	v_cndmask_b32_e64 v7, 0, v7, s[4:5]
	v_accvgpr_write_b32 a19, v7
	v_accvgpr_write_b32 a18, v6
.LBB217_566:                            ;   in Loop: Header=BB217_435 Depth=1
	s_or_b64 exec, exec, s[26:27]
	flat_load_dword v4, v[54:55] offset:1280
	v_pk_mov_b32 v[8:9], 0, 0
	v_pk_mov_b32 v[6:7], v[8:9], v[8:9] op_sel:[0,1]
	s_waitcnt vmcnt(0) lgkmcnt(0)
	v_cmp_ne_u16_sdwa s[4:5], v4, v23 src0_sel:BYTE_0 src1_sel:DWORD
	s_and_saveexec_b64 s[26:27], s[4:5]
	s_cbranch_execz .LBB217_572
; %bb.567:                              ;   in Loop: Header=BB217_435 Depth=1
	v_bfrev_b32_e32 v6, 1
	v_cmp_ne_u16_sdwa s[4:5], v4, s7 src0_sel:BYTE_0 src1_sel:DWORD
	v_mov_b32_e32 v7, 0
	s_and_saveexec_b64 s[28:29], s[4:5]
	s_cbranch_execz .LBB217_571
; %bb.568:                              ;   in Loop: Header=BB217_435 Depth=1
	v_and_b32_e32 v5, 0x7f, v4
	v_mov_b32_e32 v6, 0x7f800001
	v_cmp_ne_u32_e64 s[4:5], s15, v5
	v_mov_b32_e32 v7, 0
	s_and_saveexec_b64 s[30:31], s[4:5]
	s_cbranch_execz .LBB217_570
; %bb.569:                              ;   in Loop: Header=BB217_435 Depth=1
	v_and_b32_e32 v12, 7, v4
	v_ffbh_u32_e32 v6, v12
	v_min_u32_e32 v14, 32, v6
	v_subrev_u32_e32 v6, 28, v14
	v_lshlrev_b64 v[6:7], v6, v[4:5]
	v_lshrrev_b32_e32 v13, 3, v5
	v_sub_u32_e32 v7, 29, v14
	v_and_b32_e32 v6, 7, v6
	v_cmp_gt_u32_e64 s[4:5], 8, v5
	v_cndmask_b32_e64 v5, v13, v7, s[4:5]
	v_cndmask_b32_e64 v6, v12, v6, s[4:5]
	v_bfrev_b32_e32 v12, 60
	v_lshlrev_b32_e32 v6, 20, v6
	v_and_b32_sdwa v7, sext(v4), s13 dst_sel:DWORD dst_unused:UNUSED_PAD src0_sel:BYTE_0 src1_sel:DWORD
	v_lshl_add_u32 v5, v5, 23, v12
	v_or3_b32 v22, v7, v5, v6
	v_pk_mov_b32 v[6:7], v[22:23], v[22:23] op_sel:[0,1]
.LBB217_570:                            ;   in Loop: Header=BB217_435 Depth=1
	s_or_b64 exec, exec, s[30:31]
.LBB217_571:                            ;   in Loop: Header=BB217_435 Depth=1
	s_or_b64 exec, exec, s[28:29]
.LBB217_572:                            ;   in Loop: Header=BB217_435 Depth=1
	s_or_b64 exec, exec, s[26:27]
	v_cmp_ne_u16_sdwa s[4:5], v4, v23 src0_sel:BYTE_1 src1_sel:DWORD
	s_and_saveexec_b64 s[26:27], s[4:5]
	s_cbranch_execz .LBB217_578
; %bb.573:                              ;   in Loop: Header=BB217_435 Depth=1
	v_cmp_ne_u16_sdwa s[4:5], v4, s7 src0_sel:BYTE_1 src1_sel:DWORD
	v_pk_mov_b32 v[8:9], s[12:13], s[12:13] op_sel:[0,1]
	s_and_saveexec_b64 s[28:29], s[4:5]
	s_cbranch_execz .LBB217_577
; %bb.574:                              ;   in Loop: Header=BB217_435 Depth=1
	v_and_b32_sdwa v5, v4, s15 dst_sel:DWORD dst_unused:UNUSED_PAD src0_sel:BYTE_1 src1_sel:DWORD
	s_mov_b32 s22, s12
	v_cmp_ne_u32_e64 s[4:5], s15, v5
	v_pk_mov_b32 v[8:9], s[22:23], s[22:23] op_sel:[0,1]
	s_and_saveexec_b64 s[30:31], s[4:5]
	s_cbranch_execz .LBB217_576
; %bb.575:                              ;   in Loop: Header=BB217_435 Depth=1
	v_mov_b32_e32 v8, 7
	v_and_b32_sdwa v22, v4, v8 dst_sel:DWORD dst_unused:UNUSED_PAD src0_sel:BYTE_1 src1_sel:DWORD
	v_ffbh_u32_e32 v8, v22
	v_min_u32_e32 v13, 32, v8
	v_subrev_u32_e32 v8, 28, v13
	v_lshlrev_b64 v[8:9], v8, v[22:23]
	v_lshrrev_b32_e32 v12, 3, v5
	v_sub_u32_e32 v9, 29, v13
	v_cmp_gt_u32_e64 s[4:5], 8, v5
	v_and_b32_e32 v8, 7, v8
	v_cndmask_b32_e64 v5, v12, v9, s[4:5]
	v_bfrev_b32_e32 v12, 60
	v_cndmask_b32_e64 v8, v22, v8, s[4:5]
	v_lshlrev_b32_e32 v9, 16, v4
	v_lshl_add_u32 v5, v5, 23, v12
	v_and_or_b32 v5, v9, s13, v5
	v_lshlrev_b32_e32 v8, 20, v8
	v_or_b32_e32 v9, v5, v8
	v_mov_b32_e32 v8, v23
.LBB217_576:                            ;   in Loop: Header=BB217_435 Depth=1
	s_or_b64 exec, exec, s[30:31]
.LBB217_577:                            ;   in Loop: Header=BB217_435 Depth=1
	s_or_b64 exec, exec, s[28:29]
.LBB217_578:                            ;   in Loop: Header=BB217_435 Depth=1
	s_or_b64 exec, exec, s[26:27]
	v_lshrrev_b32_e32 v16, 16, v4
	v_pk_mov_b32 v[14:15], 0, 0
	v_cmp_ne_u16_sdwa s[4:5], v16, v23 src0_sel:BYTE_0 src1_sel:DWORD
	v_pk_mov_b32 v[12:13], v[14:15], v[14:15] op_sel:[0,1]
	s_and_saveexec_b64 s[26:27], s[4:5]
	s_cbranch_execz .LBB217_584
; %bb.579:                              ;   in Loop: Header=BB217_435 Depth=1
	v_bfrev_b32_e32 v12, 1
	v_cmp_ne_u16_sdwa s[4:5], v16, s7 src0_sel:BYTE_0 src1_sel:DWORD
	v_mov_b32_e32 v13, 0
	s_and_saveexec_b64 s[28:29], s[4:5]
	s_cbranch_execz .LBB217_583
; %bb.580:                              ;   in Loop: Header=BB217_435 Depth=1
	v_bfe_u32 v5, v4, 16, 7
	v_mov_b32_e32 v12, 0x7f800001
	v_cmp_ne_u32_e64 s[4:5], s15, v5
	v_mov_b32_e32 v13, 0
	s_and_saveexec_b64 s[30:31], s[4:5]
	s_cbranch_execz .LBB217_582
; %bb.581:                              ;   in Loop: Header=BB217_435 Depth=1
	v_and_b32_e32 v17, 7, v16
	v_ffbh_u32_e32 v12, v17
	v_min_u32_e32 v19, 32, v12
	v_subrev_u32_e32 v12, 28, v19
	v_lshlrev_b64 v[12:13], v12, v[16:17]
	v_lshrrev_b32_e32 v18, 3, v5
	v_sub_u32_e32 v13, 29, v19
	v_and_b32_e32 v12, 7, v12
	v_cmp_gt_u32_e64 s[4:5], 8, v5
	v_cndmask_b32_e64 v5, v18, v13, s[4:5]
	v_cndmask_b32_e64 v12, v17, v12, s[4:5]
	v_and_b32_sdwa v13, sext(v16), s13 dst_sel:DWORD dst_unused:UNUSED_PAD src0_sel:BYTE_0 src1_sel:DWORD
	v_bfrev_b32_e32 v16, 60
	v_lshlrev_b32_e32 v12, 20, v12
	v_lshl_add_u32 v5, v5, 23, v16
	v_or3_b32 v22, v13, v5, v12
	v_pk_mov_b32 v[12:13], v[22:23], v[22:23] op_sel:[0,1]
.LBB217_582:                            ;   in Loop: Header=BB217_435 Depth=1
	s_or_b64 exec, exec, s[30:31]
.LBB217_583:                            ;   in Loop: Header=BB217_435 Depth=1
	s_or_b64 exec, exec, s[28:29]
.LBB217_584:                            ;   in Loop: Header=BB217_435 Depth=1
	s_or_b64 exec, exec, s[26:27]
	v_cmp_lt_u32_e64 s[4:5], s34, v4
	s_and_saveexec_b64 s[26:27], s[4:5]
	s_cbranch_execz .LBB217_590
; %bb.585:                              ;   in Loop: Header=BB217_435 Depth=1
	v_cmp_ne_u32_sdwa s[4:5], v4, s7 src0_sel:BYTE_3 src1_sel:DWORD
	v_pk_mov_b32 v[14:15], s[12:13], s[12:13] op_sel:[0,1]
	s_and_saveexec_b64 s[28:29], s[4:5]
	s_cbranch_execz .LBB217_589
; %bb.586:                              ;   in Loop: Header=BB217_435 Depth=1
	v_bfe_u32 v5, v4, 24, 7
	s_mov_b32 s22, s12
	v_cmp_ne_u32_e64 s[4:5], s15, v5
	v_pk_mov_b32 v[14:15], s[22:23], s[22:23] op_sel:[0,1]
	s_and_saveexec_b64 s[30:31], s[4:5]
	s_cbranch_execz .LBB217_588
; %bb.587:                              ;   in Loop: Header=BB217_435 Depth=1
	v_mov_b32_e32 v14, 7
	v_and_b32_sdwa v22, v4, v14 dst_sel:DWORD dst_unused:UNUSED_PAD src0_sel:BYTE_3 src1_sel:DWORD
	v_ffbh_u32_e32 v14, v22
	v_min_u32_e32 v17, 32, v14
	v_subrev_u32_e32 v14, 28, v17
	v_lshlrev_b64 v[14:15], v14, v[22:23]
	v_lshrrev_b32_e32 v16, 3, v5
	v_sub_u32_e32 v15, 29, v17
	v_cmp_gt_u32_e64 s[4:5], 8, v5
	v_cndmask_b32_e64 v5, v16, v15, s[4:5]
	v_mov_b32_e32 v15, 24
	v_and_b32_e32 v14, 7, v14
	v_lshlrev_b32_sdwa v4, v15, v4 dst_sel:DWORD dst_unused:UNUSED_PAD src0_sel:DWORD src1_sel:BYTE_3
	v_bfrev_b32_e32 v15, 60
	v_cndmask_b32_e64 v14, v22, v14, s[4:5]
	v_lshl_add_u32 v5, v5, 23, v15
	v_and_or_b32 v4, v4, s13, v5
	v_lshlrev_b32_e32 v5, 20, v14
	v_or_b32_e32 v15, v4, v5
	v_mov_b32_e32 v14, v23
.LBB217_588:                            ;   in Loop: Header=BB217_435 Depth=1
	s_or_b64 exec, exec, s[30:31]
.LBB217_589:                            ;   in Loop: Header=BB217_435 Depth=1
	s_or_b64 exec, exec, s[28:29]
.LBB217_590:                            ;   in Loop: Header=BB217_435 Depth=1
	s_or_b64 exec, exec, s[26:27]
	v_or_b32_e32 v5, v9, v7
	v_or_b32_e32 v4, v8, v6
	v_pk_mul_f32 v[4:5], v[26:27], v[4:5]
	v_accvgpr_write_b32 a0, v4
	v_accvgpr_write_b32 a1, v5
	v_or_b32_e32 v5, v15, v13
	v_or_b32_e32 v4, v14, v12
	v_pk_mul_f32 v[32:33], v[26:27], v[4:5]
	s_and_saveexec_b64 s[26:27], vcc
	s_cbranch_execz .LBB217_592
; %bb.591:                              ;   in Loop: Header=BB217_435 Depth=1
	v_accvgpr_read_b32 v7, a1
	v_cmp_lt_i32_e64 s[4:5], v28, v62
	v_accvgpr_read_b32 v6, a0
	v_accvgpr_read_b32 v4, a50
	v_cndmask_b32_e64 v6, 0, v6, s[4:5]
	v_cmp_lt_i32_e64 s[4:5], v4, v62
	v_accvgpr_read_b32 v4, a45
	v_cndmask_b32_e64 v7, 0, v7, s[4:5]
	v_cmp_lt_i32_e64 s[4:5], v4, v62
	v_accvgpr_read_b32 v4, a43
	v_accvgpr_write_b32 a0, v6
	v_cndmask_b32_e64 v32, 0, v32, s[4:5]
	v_cmp_lt_i32_e64 s[4:5], v4, v62
	v_accvgpr_write_b32 a1, v7
	v_cndmask_b32_e64 v33, 0, v33, s[4:5]
.LBB217_592:                            ;   in Loop: Header=BB217_435 Depth=1
	s_or_b64 exec, exec, s[26:27]
	flat_load_dword v4, v[54:55] offset:1536
	v_pk_mov_b32 v[8:9], 0, 0
	v_pk_mov_b32 v[6:7], v[8:9], v[8:9] op_sel:[0,1]
	s_waitcnt vmcnt(0) lgkmcnt(0)
	v_cmp_ne_u16_sdwa s[4:5], v4, v23 src0_sel:BYTE_0 src1_sel:DWORD
	s_and_saveexec_b64 s[26:27], s[4:5]
	s_cbranch_execz .LBB217_598
; %bb.593:                              ;   in Loop: Header=BB217_435 Depth=1
	v_bfrev_b32_e32 v6, 1
	v_cmp_ne_u16_sdwa s[4:5], v4, s7 src0_sel:BYTE_0 src1_sel:DWORD
	v_mov_b32_e32 v7, 0
	s_and_saveexec_b64 s[28:29], s[4:5]
	s_cbranch_execz .LBB217_597
; %bb.594:                              ;   in Loop: Header=BB217_435 Depth=1
	v_and_b32_e32 v5, 0x7f, v4
	v_mov_b32_e32 v6, 0x7f800001
	v_cmp_ne_u32_e64 s[4:5], s15, v5
	v_mov_b32_e32 v7, 0
	s_and_saveexec_b64 s[30:31], s[4:5]
	s_cbranch_execz .LBB217_596
; %bb.595:                              ;   in Loop: Header=BB217_435 Depth=1
	v_and_b32_e32 v12, 7, v4
	v_ffbh_u32_e32 v6, v12
	v_min_u32_e32 v14, 32, v6
	v_subrev_u32_e32 v6, 28, v14
	v_lshlrev_b64 v[6:7], v6, v[4:5]
	v_lshrrev_b32_e32 v13, 3, v5
	v_sub_u32_e32 v7, 29, v14
	v_and_b32_e32 v6, 7, v6
	v_cmp_gt_u32_e64 s[4:5], 8, v5
	v_cndmask_b32_e64 v5, v13, v7, s[4:5]
	v_cndmask_b32_e64 v6, v12, v6, s[4:5]
	v_bfrev_b32_e32 v12, 60
	v_lshlrev_b32_e32 v6, 20, v6
	v_and_b32_sdwa v7, sext(v4), s13 dst_sel:DWORD dst_unused:UNUSED_PAD src0_sel:BYTE_0 src1_sel:DWORD
	v_lshl_add_u32 v5, v5, 23, v12
	v_or3_b32 v22, v7, v5, v6
	v_pk_mov_b32 v[6:7], v[22:23], v[22:23] op_sel:[0,1]
.LBB217_596:                            ;   in Loop: Header=BB217_435 Depth=1
	s_or_b64 exec, exec, s[30:31]
.LBB217_597:                            ;   in Loop: Header=BB217_435 Depth=1
	s_or_b64 exec, exec, s[28:29]
.LBB217_598:                            ;   in Loop: Header=BB217_435 Depth=1
	s_or_b64 exec, exec, s[26:27]
	v_cmp_ne_u16_sdwa s[4:5], v4, v23 src0_sel:BYTE_1 src1_sel:DWORD
	s_and_saveexec_b64 s[26:27], s[4:5]
	s_cbranch_execz .LBB217_604
; %bb.599:                              ;   in Loop: Header=BB217_435 Depth=1
	v_cmp_ne_u16_sdwa s[4:5], v4, s7 src0_sel:BYTE_1 src1_sel:DWORD
	v_pk_mov_b32 v[8:9], s[12:13], s[12:13] op_sel:[0,1]
	s_and_saveexec_b64 s[28:29], s[4:5]
	s_cbranch_execz .LBB217_603
; %bb.600:                              ;   in Loop: Header=BB217_435 Depth=1
	v_and_b32_sdwa v5, v4, s15 dst_sel:DWORD dst_unused:UNUSED_PAD src0_sel:BYTE_1 src1_sel:DWORD
	s_mov_b32 s22, s12
	v_cmp_ne_u32_e64 s[4:5], s15, v5
	v_pk_mov_b32 v[8:9], s[22:23], s[22:23] op_sel:[0,1]
	s_and_saveexec_b64 s[30:31], s[4:5]
	s_cbranch_execz .LBB217_602
; %bb.601:                              ;   in Loop: Header=BB217_435 Depth=1
	v_mov_b32_e32 v8, 7
	v_and_b32_sdwa v22, v4, v8 dst_sel:DWORD dst_unused:UNUSED_PAD src0_sel:BYTE_1 src1_sel:DWORD
	v_ffbh_u32_e32 v8, v22
	v_min_u32_e32 v13, 32, v8
	v_subrev_u32_e32 v8, 28, v13
	v_lshlrev_b64 v[8:9], v8, v[22:23]
	v_lshrrev_b32_e32 v12, 3, v5
	v_sub_u32_e32 v9, 29, v13
	v_cmp_gt_u32_e64 s[4:5], 8, v5
	v_and_b32_e32 v8, 7, v8
	v_cndmask_b32_e64 v5, v12, v9, s[4:5]
	v_bfrev_b32_e32 v12, 60
	v_cndmask_b32_e64 v8, v22, v8, s[4:5]
	v_lshlrev_b32_e32 v9, 16, v4
	v_lshl_add_u32 v5, v5, 23, v12
	v_and_or_b32 v5, v9, s13, v5
	v_lshlrev_b32_e32 v8, 20, v8
	v_or_b32_e32 v9, v5, v8
	v_mov_b32_e32 v8, v23
.LBB217_602:                            ;   in Loop: Header=BB217_435 Depth=1
	s_or_b64 exec, exec, s[30:31]
.LBB217_603:                            ;   in Loop: Header=BB217_435 Depth=1
	s_or_b64 exec, exec, s[28:29]
.LBB217_604:                            ;   in Loop: Header=BB217_435 Depth=1
	s_or_b64 exec, exec, s[26:27]
	v_lshrrev_b32_e32 v16, 16, v4
	v_pk_mov_b32 v[14:15], 0, 0
	v_cmp_ne_u16_sdwa s[4:5], v16, v23 src0_sel:BYTE_0 src1_sel:DWORD
	v_pk_mov_b32 v[12:13], v[14:15], v[14:15] op_sel:[0,1]
	s_and_saveexec_b64 s[26:27], s[4:5]
	s_cbranch_execz .LBB217_610
; %bb.605:                              ;   in Loop: Header=BB217_435 Depth=1
	v_bfrev_b32_e32 v12, 1
	v_cmp_ne_u16_sdwa s[4:5], v16, s7 src0_sel:BYTE_0 src1_sel:DWORD
	v_mov_b32_e32 v13, 0
	s_and_saveexec_b64 s[28:29], s[4:5]
	s_cbranch_execz .LBB217_609
; %bb.606:                              ;   in Loop: Header=BB217_435 Depth=1
	v_bfe_u32 v5, v4, 16, 7
	v_mov_b32_e32 v12, 0x7f800001
	v_cmp_ne_u32_e64 s[4:5], s15, v5
	v_mov_b32_e32 v13, 0
	s_and_saveexec_b64 s[30:31], s[4:5]
	s_cbranch_execz .LBB217_608
; %bb.607:                              ;   in Loop: Header=BB217_435 Depth=1
	v_and_b32_e32 v17, 7, v16
	v_ffbh_u32_e32 v12, v17
	v_min_u32_e32 v19, 32, v12
	v_subrev_u32_e32 v12, 28, v19
	v_lshlrev_b64 v[12:13], v12, v[16:17]
	v_lshrrev_b32_e32 v18, 3, v5
	v_sub_u32_e32 v13, 29, v19
	v_and_b32_e32 v12, 7, v12
	v_cmp_gt_u32_e64 s[4:5], 8, v5
	v_cndmask_b32_e64 v5, v18, v13, s[4:5]
	v_cndmask_b32_e64 v12, v17, v12, s[4:5]
	v_and_b32_sdwa v13, sext(v16), s13 dst_sel:DWORD dst_unused:UNUSED_PAD src0_sel:BYTE_0 src1_sel:DWORD
	v_bfrev_b32_e32 v16, 60
	v_lshlrev_b32_e32 v12, 20, v12
	v_lshl_add_u32 v5, v5, 23, v16
	v_or3_b32 v22, v13, v5, v12
	v_pk_mov_b32 v[12:13], v[22:23], v[22:23] op_sel:[0,1]
.LBB217_608:                            ;   in Loop: Header=BB217_435 Depth=1
	s_or_b64 exec, exec, s[30:31]
.LBB217_609:                            ;   in Loop: Header=BB217_435 Depth=1
	s_or_b64 exec, exec, s[28:29]
.LBB217_610:                            ;   in Loop: Header=BB217_435 Depth=1
	s_or_b64 exec, exec, s[26:27]
	v_cmp_lt_u32_e64 s[4:5], s34, v4
	s_and_saveexec_b64 s[26:27], s[4:5]
	s_cbranch_execz .LBB217_616
; %bb.611:                              ;   in Loop: Header=BB217_435 Depth=1
	v_cmp_ne_u32_sdwa s[4:5], v4, s7 src0_sel:BYTE_3 src1_sel:DWORD
	v_pk_mov_b32 v[14:15], s[12:13], s[12:13] op_sel:[0,1]
	s_and_saveexec_b64 s[28:29], s[4:5]
	s_cbranch_execz .LBB217_615
; %bb.612:                              ;   in Loop: Header=BB217_435 Depth=1
	v_bfe_u32 v5, v4, 24, 7
	s_mov_b32 s22, s12
	v_cmp_ne_u32_e64 s[4:5], s15, v5
	v_pk_mov_b32 v[14:15], s[22:23], s[22:23] op_sel:[0,1]
	s_and_saveexec_b64 s[30:31], s[4:5]
	s_cbranch_execz .LBB217_614
; %bb.613:                              ;   in Loop: Header=BB217_435 Depth=1
	v_mov_b32_e32 v14, 7
	v_and_b32_sdwa v22, v4, v14 dst_sel:DWORD dst_unused:UNUSED_PAD src0_sel:BYTE_3 src1_sel:DWORD
	v_ffbh_u32_e32 v14, v22
	v_min_u32_e32 v17, 32, v14
	v_subrev_u32_e32 v14, 28, v17
	v_lshlrev_b64 v[14:15], v14, v[22:23]
	v_lshrrev_b32_e32 v16, 3, v5
	v_sub_u32_e32 v15, 29, v17
	v_cmp_gt_u32_e64 s[4:5], 8, v5
	v_cndmask_b32_e64 v5, v16, v15, s[4:5]
	v_mov_b32_e32 v15, 24
	v_and_b32_e32 v14, 7, v14
	v_lshlrev_b32_sdwa v4, v15, v4 dst_sel:DWORD dst_unused:UNUSED_PAD src0_sel:DWORD src1_sel:BYTE_3
	v_bfrev_b32_e32 v15, 60
	v_cndmask_b32_e64 v14, v22, v14, s[4:5]
	v_lshl_add_u32 v5, v5, 23, v15
	v_and_or_b32 v4, v4, s13, v5
	v_lshlrev_b32_e32 v5, 20, v14
	v_or_b32_e32 v15, v4, v5
	v_mov_b32_e32 v14, v23
.LBB217_614:                            ;   in Loop: Header=BB217_435 Depth=1
	s_or_b64 exec, exec, s[30:31]
.LBB217_615:                            ;   in Loop: Header=BB217_435 Depth=1
	s_or_b64 exec, exec, s[28:29]
.LBB217_616:                            ;   in Loop: Header=BB217_435 Depth=1
	s_or_b64 exec, exec, s[26:27]
	v_or_b32_e32 v5, v9, v7
	v_or_b32_e32 v4, v8, v6
	v_pk_mul_f32 v[34:35], v[26:27], v[4:5]
	v_or_b32_e32 v5, v15, v13
	v_or_b32_e32 v4, v14, v12
	v_pk_mul_f32 v[24:25], v[26:27], v[4:5]
	s_and_saveexec_b64 s[26:27], vcc
; %bb.617:                              ;   in Loop: Header=BB217_435 Depth=1
	v_cmp_lt_i32_e64 s[4:5], v28, v62
	v_accvgpr_read_b32 v4, a50
	v_cndmask_b32_e64 v34, 0, v34, s[4:5]
	v_cmp_lt_i32_e64 s[4:5], v4, v62
	v_accvgpr_read_b32 v4, a45
	v_cndmask_b32_e64 v35, 0, v35, s[4:5]
	v_cmp_lt_i32_e64 s[4:5], v4, v62
	v_accvgpr_read_b32 v4, a43
	v_cndmask_b32_e64 v24, 0, v24, s[4:5]
	v_cmp_lt_i32_e64 s[4:5], v4, v62
	v_cndmask_b32_e64 v25, 0, v25, s[4:5]
; %bb.618:                              ;   in Loop: Header=BB217_435 Depth=1
	s_or_b64 exec, exec, s[26:27]
	flat_load_dword v4, v[54:55] offset:1792
	v_pk_mov_b32 v[8:9], 0, 0
	v_pk_mov_b32 v[6:7], v[8:9], v[8:9] op_sel:[0,1]
	s_waitcnt vmcnt(0) lgkmcnt(0)
	v_cmp_ne_u16_sdwa s[4:5], v4, v23 src0_sel:BYTE_0 src1_sel:DWORD
	s_and_saveexec_b64 s[26:27], s[4:5]
	s_cbranch_execz .LBB217_624
; %bb.619:                              ;   in Loop: Header=BB217_435 Depth=1
	v_bfrev_b32_e32 v6, 1
	v_cmp_ne_u16_sdwa s[4:5], v4, s7 src0_sel:BYTE_0 src1_sel:DWORD
	v_mov_b32_e32 v7, 0
	s_and_saveexec_b64 s[28:29], s[4:5]
	s_cbranch_execz .LBB217_623
; %bb.620:                              ;   in Loop: Header=BB217_435 Depth=1
	v_and_b32_e32 v5, 0x7f, v4
	v_mov_b32_e32 v6, 0x7f800001
	v_cmp_ne_u32_e64 s[4:5], s15, v5
	v_mov_b32_e32 v7, 0
	s_and_saveexec_b64 s[30:31], s[4:5]
	s_cbranch_execz .LBB217_622
; %bb.621:                              ;   in Loop: Header=BB217_435 Depth=1
	v_and_b32_e32 v12, 7, v4
	v_ffbh_u32_e32 v6, v12
	v_min_u32_e32 v14, 32, v6
	v_subrev_u32_e32 v6, 28, v14
	v_lshlrev_b64 v[6:7], v6, v[4:5]
	v_lshrrev_b32_e32 v13, 3, v5
	v_sub_u32_e32 v7, 29, v14
	v_and_b32_e32 v6, 7, v6
	v_cmp_gt_u32_e64 s[4:5], 8, v5
	v_cndmask_b32_e64 v5, v13, v7, s[4:5]
	v_cndmask_b32_e64 v6, v12, v6, s[4:5]
	v_bfrev_b32_e32 v12, 60
	v_lshlrev_b32_e32 v6, 20, v6
	v_and_b32_sdwa v7, sext(v4), s13 dst_sel:DWORD dst_unused:UNUSED_PAD src0_sel:BYTE_0 src1_sel:DWORD
	v_lshl_add_u32 v5, v5, 23, v12
	v_or3_b32 v22, v7, v5, v6
	v_pk_mov_b32 v[6:7], v[22:23], v[22:23] op_sel:[0,1]
.LBB217_622:                            ;   in Loop: Header=BB217_435 Depth=1
	s_or_b64 exec, exec, s[30:31]
.LBB217_623:                            ;   in Loop: Header=BB217_435 Depth=1
	s_or_b64 exec, exec, s[28:29]
.LBB217_624:                            ;   in Loop: Header=BB217_435 Depth=1
	s_or_b64 exec, exec, s[26:27]
	v_cmp_ne_u16_sdwa s[4:5], v4, v23 src0_sel:BYTE_1 src1_sel:DWORD
	s_and_saveexec_b64 s[26:27], s[4:5]
	s_cbranch_execz .LBB217_630
; %bb.625:                              ;   in Loop: Header=BB217_435 Depth=1
	v_cmp_ne_u16_sdwa s[4:5], v4, s7 src0_sel:BYTE_1 src1_sel:DWORD
	v_pk_mov_b32 v[8:9], s[12:13], s[12:13] op_sel:[0,1]
	s_and_saveexec_b64 s[28:29], s[4:5]
	s_cbranch_execz .LBB217_629
; %bb.626:                              ;   in Loop: Header=BB217_435 Depth=1
	v_and_b32_sdwa v5, v4, s15 dst_sel:DWORD dst_unused:UNUSED_PAD src0_sel:BYTE_1 src1_sel:DWORD
	s_mov_b32 s22, s12
	v_cmp_ne_u32_e64 s[4:5], s15, v5
	v_pk_mov_b32 v[8:9], s[22:23], s[22:23] op_sel:[0,1]
	s_and_saveexec_b64 s[30:31], s[4:5]
	s_cbranch_execz .LBB217_628
; %bb.627:                              ;   in Loop: Header=BB217_435 Depth=1
	v_mov_b32_e32 v8, 7
	v_and_b32_sdwa v22, v4, v8 dst_sel:DWORD dst_unused:UNUSED_PAD src0_sel:BYTE_1 src1_sel:DWORD
	v_ffbh_u32_e32 v8, v22
	v_min_u32_e32 v13, 32, v8
	v_subrev_u32_e32 v8, 28, v13
	v_lshlrev_b64 v[8:9], v8, v[22:23]
	v_lshrrev_b32_e32 v12, 3, v5
	v_sub_u32_e32 v9, 29, v13
	v_cmp_gt_u32_e64 s[4:5], 8, v5
	v_and_b32_e32 v8, 7, v8
	v_cndmask_b32_e64 v5, v12, v9, s[4:5]
	v_bfrev_b32_e32 v12, 60
	v_cndmask_b32_e64 v8, v22, v8, s[4:5]
	v_lshlrev_b32_e32 v9, 16, v4
	v_lshl_add_u32 v5, v5, 23, v12
	v_and_or_b32 v5, v9, s13, v5
	v_lshlrev_b32_e32 v8, 20, v8
	v_or_b32_e32 v9, v5, v8
	v_mov_b32_e32 v8, v23
.LBB217_628:                            ;   in Loop: Header=BB217_435 Depth=1
	s_or_b64 exec, exec, s[30:31]
.LBB217_629:                            ;   in Loop: Header=BB217_435 Depth=1
	s_or_b64 exec, exec, s[28:29]
.LBB217_630:                            ;   in Loop: Header=BB217_435 Depth=1
	s_or_b64 exec, exec, s[26:27]
	v_lshrrev_b32_e32 v16, 16, v4
	v_pk_mov_b32 v[14:15], 0, 0
	v_cmp_ne_u16_sdwa s[4:5], v16, v23 src0_sel:BYTE_0 src1_sel:DWORD
	v_pk_mov_b32 v[12:13], v[14:15], v[14:15] op_sel:[0,1]
	s_and_saveexec_b64 s[26:27], s[4:5]
	s_cbranch_execz .LBB217_636
; %bb.631:                              ;   in Loop: Header=BB217_435 Depth=1
	v_bfrev_b32_e32 v12, 1
	v_cmp_ne_u16_sdwa s[4:5], v16, s7 src0_sel:BYTE_0 src1_sel:DWORD
	v_mov_b32_e32 v13, 0
	s_and_saveexec_b64 s[28:29], s[4:5]
	s_cbranch_execz .LBB217_635
; %bb.632:                              ;   in Loop: Header=BB217_435 Depth=1
	v_bfe_u32 v5, v4, 16, 7
	v_mov_b32_e32 v12, 0x7f800001
	v_cmp_ne_u32_e64 s[4:5], s15, v5
	v_mov_b32_e32 v13, 0
	s_and_saveexec_b64 s[30:31], s[4:5]
	s_cbranch_execz .LBB217_634
; %bb.633:                              ;   in Loop: Header=BB217_435 Depth=1
	v_and_b32_e32 v17, 7, v16
	v_ffbh_u32_e32 v12, v17
	v_min_u32_e32 v19, 32, v12
	v_subrev_u32_e32 v12, 28, v19
	v_lshlrev_b64 v[12:13], v12, v[16:17]
	v_lshrrev_b32_e32 v18, 3, v5
	v_sub_u32_e32 v13, 29, v19
	v_and_b32_e32 v12, 7, v12
	v_cmp_gt_u32_e64 s[4:5], 8, v5
	v_cndmask_b32_e64 v5, v18, v13, s[4:5]
	v_cndmask_b32_e64 v12, v17, v12, s[4:5]
	v_and_b32_sdwa v13, sext(v16), s13 dst_sel:DWORD dst_unused:UNUSED_PAD src0_sel:BYTE_0 src1_sel:DWORD
	v_bfrev_b32_e32 v16, 60
	v_lshlrev_b32_e32 v12, 20, v12
	v_lshl_add_u32 v5, v5, 23, v16
	v_or3_b32 v22, v13, v5, v12
	v_pk_mov_b32 v[12:13], v[22:23], v[22:23] op_sel:[0,1]
.LBB217_634:                            ;   in Loop: Header=BB217_435 Depth=1
	s_or_b64 exec, exec, s[30:31]
.LBB217_635:                            ;   in Loop: Header=BB217_435 Depth=1
	s_or_b64 exec, exec, s[28:29]
.LBB217_636:                            ;   in Loop: Header=BB217_435 Depth=1
	s_or_b64 exec, exec, s[26:27]
	v_cmp_lt_u32_e64 s[4:5], s34, v4
	s_and_saveexec_b64 s[26:27], s[4:5]
	s_cbranch_execz .LBB217_642
; %bb.637:                              ;   in Loop: Header=BB217_435 Depth=1
	v_cmp_ne_u32_sdwa s[4:5], v4, s7 src0_sel:BYTE_3 src1_sel:DWORD
	v_pk_mov_b32 v[14:15], s[12:13], s[12:13] op_sel:[0,1]
	s_and_saveexec_b64 s[28:29], s[4:5]
	s_cbranch_execz .LBB217_641
; %bb.638:                              ;   in Loop: Header=BB217_435 Depth=1
	v_bfe_u32 v5, v4, 24, 7
	s_mov_b32 s22, s12
	v_cmp_ne_u32_e64 s[4:5], s15, v5
	v_pk_mov_b32 v[14:15], s[22:23], s[22:23] op_sel:[0,1]
	s_and_saveexec_b64 s[30:31], s[4:5]
	s_cbranch_execz .LBB217_640
; %bb.639:                              ;   in Loop: Header=BB217_435 Depth=1
	v_mov_b32_e32 v14, 7
	v_and_b32_sdwa v22, v4, v14 dst_sel:DWORD dst_unused:UNUSED_PAD src0_sel:BYTE_3 src1_sel:DWORD
	v_ffbh_u32_e32 v14, v22
	v_min_u32_e32 v17, 32, v14
	v_subrev_u32_e32 v14, 28, v17
	v_lshlrev_b64 v[14:15], v14, v[22:23]
	v_lshrrev_b32_e32 v16, 3, v5
	v_sub_u32_e32 v15, 29, v17
	v_cmp_gt_u32_e64 s[4:5], 8, v5
	v_cndmask_b32_e64 v5, v16, v15, s[4:5]
	v_mov_b32_e32 v15, 24
	v_and_b32_e32 v14, 7, v14
	v_lshlrev_b32_sdwa v4, v15, v4 dst_sel:DWORD dst_unused:UNUSED_PAD src0_sel:DWORD src1_sel:BYTE_3
	v_bfrev_b32_e32 v15, 60
	v_cndmask_b32_e64 v14, v22, v14, s[4:5]
	v_lshl_add_u32 v5, v5, 23, v15
	v_and_or_b32 v4, v4, s13, v5
	v_lshlrev_b32_e32 v5, 20, v14
	v_or_b32_e32 v15, v4, v5
	v_mov_b32_e32 v14, v23
.LBB217_640:                            ;   in Loop: Header=BB217_435 Depth=1
	s_or_b64 exec, exec, s[30:31]
.LBB217_641:                            ;   in Loop: Header=BB217_435 Depth=1
	s_or_b64 exec, exec, s[28:29]
.LBB217_642:                            ;   in Loop: Header=BB217_435 Depth=1
	s_or_b64 exec, exec, s[26:27]
	v_or_b32_e32 v5, v9, v7
	v_or_b32_e32 v4, v8, v6
	v_pk_mul_f32 v[60:61], v[26:27], v[4:5]
	v_or_b32_e32 v5, v15, v13
	v_or_b32_e32 v4, v14, v12
	v_pk_mul_f32 v[4:5], v[26:27], v[4:5]
	s_and_saveexec_b64 s[26:27], vcc
; %bb.643:                              ;   in Loop: Header=BB217_435 Depth=1
	v_cmp_lt_i32_e64 s[4:5], v28, v62
	v_accvgpr_read_b32 v6, a50
	v_cndmask_b32_e64 v60, 0, v60, s[4:5]
	v_cmp_lt_i32_e64 s[4:5], v6, v62
	v_accvgpr_read_b32 v6, a45
	v_cndmask_b32_e64 v61, 0, v61, s[4:5]
	;; [unrolled: 3-line block ×3, first 2 shown]
	v_cmp_lt_i32_e64 s[4:5], v6, v62
	v_cndmask_b32_e64 v5, 0, v5, s[4:5]
; %bb.644:                              ;   in Loop: Header=BB217_435 Depth=1
	s_or_b64 exec, exec, s[26:27]
	flat_load_dword v6, v[54:55] offset:2048
	v_pk_mov_b32 v[12:13], 0, 0
	v_pk_mov_b32 v[8:9], v[12:13], v[12:13] op_sel:[0,1]
	s_waitcnt vmcnt(0) lgkmcnt(0)
	v_cmp_ne_u16_sdwa s[4:5], v6, v23 src0_sel:BYTE_0 src1_sel:DWORD
	s_and_saveexec_b64 s[26:27], s[4:5]
	s_cbranch_execz .LBB217_650
; %bb.645:                              ;   in Loop: Header=BB217_435 Depth=1
	v_bfrev_b32_e32 v8, 1
	v_cmp_ne_u16_sdwa s[4:5], v6, s7 src0_sel:BYTE_0 src1_sel:DWORD
	v_mov_b32_e32 v9, 0
	s_and_saveexec_b64 s[28:29], s[4:5]
	s_cbranch_execz .LBB217_649
; %bb.646:                              ;   in Loop: Header=BB217_435 Depth=1
	v_and_b32_e32 v7, 0x7f, v6
	v_mov_b32_e32 v8, 0x7f800001
	v_cmp_ne_u32_e64 s[4:5], s15, v7
	v_mov_b32_e32 v9, 0
	s_and_saveexec_b64 s[30:31], s[4:5]
	s_cbranch_execz .LBB217_648
; %bb.647:                              ;   in Loop: Header=BB217_435 Depth=1
	v_and_b32_e32 v14, 7, v6
	v_ffbh_u32_e32 v8, v14
	v_min_u32_e32 v16, 32, v8
	v_subrev_u32_e32 v8, 28, v16
	v_lshlrev_b64 v[8:9], v8, v[6:7]
	v_lshrrev_b32_e32 v15, 3, v7
	v_sub_u32_e32 v9, 29, v16
	v_and_b32_e32 v8, 7, v8
	v_cmp_gt_u32_e64 s[4:5], 8, v7
	v_cndmask_b32_e64 v7, v15, v9, s[4:5]
	v_cndmask_b32_e64 v8, v14, v8, s[4:5]
	v_bfrev_b32_e32 v14, 60
	v_lshlrev_b32_e32 v8, 20, v8
	v_and_b32_sdwa v9, sext(v6), s13 dst_sel:DWORD dst_unused:UNUSED_PAD src0_sel:BYTE_0 src1_sel:DWORD
	v_lshl_add_u32 v7, v7, 23, v14
	v_or3_b32 v22, v9, v7, v8
	v_pk_mov_b32 v[8:9], v[22:23], v[22:23] op_sel:[0,1]
.LBB217_648:                            ;   in Loop: Header=BB217_435 Depth=1
	s_or_b64 exec, exec, s[30:31]
.LBB217_649:                            ;   in Loop: Header=BB217_435 Depth=1
	s_or_b64 exec, exec, s[28:29]
.LBB217_650:                            ;   in Loop: Header=BB217_435 Depth=1
	s_or_b64 exec, exec, s[26:27]
	v_cmp_ne_u16_sdwa s[4:5], v6, v23 src0_sel:BYTE_1 src1_sel:DWORD
	s_and_saveexec_b64 s[26:27], s[4:5]
	s_cbranch_execz .LBB217_656
; %bb.651:                              ;   in Loop: Header=BB217_435 Depth=1
	v_cmp_ne_u16_sdwa s[4:5], v6, s7 src0_sel:BYTE_1 src1_sel:DWORD
	v_pk_mov_b32 v[12:13], s[12:13], s[12:13] op_sel:[0,1]
	s_and_saveexec_b64 s[28:29], s[4:5]
	s_cbranch_execz .LBB217_655
; %bb.652:                              ;   in Loop: Header=BB217_435 Depth=1
	v_and_b32_sdwa v7, v6, s15 dst_sel:DWORD dst_unused:UNUSED_PAD src0_sel:BYTE_1 src1_sel:DWORD
	s_mov_b32 s22, s12
	v_cmp_ne_u32_e64 s[4:5], s15, v7
	v_pk_mov_b32 v[12:13], s[22:23], s[22:23] op_sel:[0,1]
	s_and_saveexec_b64 s[30:31], s[4:5]
	s_cbranch_execz .LBB217_654
; %bb.653:                              ;   in Loop: Header=BB217_435 Depth=1
	v_mov_b32_e32 v12, 7
	v_and_b32_sdwa v22, v6, v12 dst_sel:DWORD dst_unused:UNUSED_PAD src0_sel:BYTE_1 src1_sel:DWORD
	v_ffbh_u32_e32 v12, v22
	v_min_u32_e32 v15, 32, v12
	v_subrev_u32_e32 v12, 28, v15
	v_lshlrev_b64 v[12:13], v12, v[22:23]
	v_lshrrev_b32_e32 v14, 3, v7
	v_sub_u32_e32 v13, 29, v15
	v_cmp_gt_u32_e64 s[4:5], 8, v7
	v_and_b32_e32 v12, 7, v12
	v_cndmask_b32_e64 v7, v14, v13, s[4:5]
	v_bfrev_b32_e32 v14, 60
	v_cndmask_b32_e64 v12, v22, v12, s[4:5]
	v_lshlrev_b32_e32 v13, 16, v6
	v_lshl_add_u32 v7, v7, 23, v14
	v_and_or_b32 v7, v13, s13, v7
	v_lshlrev_b32_e32 v12, 20, v12
	v_or_b32_e32 v13, v7, v12
	v_mov_b32_e32 v12, v23
.LBB217_654:                            ;   in Loop: Header=BB217_435 Depth=1
	s_or_b64 exec, exec, s[30:31]
.LBB217_655:                            ;   in Loop: Header=BB217_435 Depth=1
	s_or_b64 exec, exec, s[28:29]
.LBB217_656:                            ;   in Loop: Header=BB217_435 Depth=1
	s_or_b64 exec, exec, s[26:27]
	v_lshrrev_b32_e32 v18, 16, v6
	v_pk_mov_b32 v[16:17], 0, 0
	v_cmp_ne_u16_sdwa s[4:5], v18, v23 src0_sel:BYTE_0 src1_sel:DWORD
	v_pk_mov_b32 v[14:15], v[16:17], v[16:17] op_sel:[0,1]
	s_and_saveexec_b64 s[26:27], s[4:5]
	s_cbranch_execz .LBB217_662
; %bb.657:                              ;   in Loop: Header=BB217_435 Depth=1
	v_bfrev_b32_e32 v14, 1
	v_cmp_ne_u16_sdwa s[4:5], v18, s7 src0_sel:BYTE_0 src1_sel:DWORD
	v_mov_b32_e32 v15, 0
	s_and_saveexec_b64 s[28:29], s[4:5]
	s_cbranch_execz .LBB217_661
; %bb.658:                              ;   in Loop: Header=BB217_435 Depth=1
	v_bfe_u32 v7, v6, 16, 7
	v_mov_b32_e32 v14, 0x7f800001
	v_cmp_ne_u32_e64 s[4:5], s15, v7
	v_mov_b32_e32 v15, 0
	s_and_saveexec_b64 s[30:31], s[4:5]
	s_cbranch_execz .LBB217_660
; %bb.659:                              ;   in Loop: Header=BB217_435 Depth=1
	v_and_b32_e32 v19, 7, v18
	v_ffbh_u32_e32 v14, v19
	v_min_u32_e32 v21, 32, v14
	v_subrev_u32_e32 v14, 28, v21
	v_lshlrev_b64 v[14:15], v14, v[18:19]
	v_lshrrev_b32_e32 v20, 3, v7
	v_sub_u32_e32 v15, 29, v21
	v_and_b32_e32 v14, 7, v14
	v_cmp_gt_u32_e64 s[4:5], 8, v7
	v_cndmask_b32_e64 v7, v20, v15, s[4:5]
	v_cndmask_b32_e64 v14, v19, v14, s[4:5]
	v_and_b32_sdwa v15, sext(v18), s13 dst_sel:DWORD dst_unused:UNUSED_PAD src0_sel:BYTE_0 src1_sel:DWORD
	v_bfrev_b32_e32 v18, 60
	v_lshlrev_b32_e32 v14, 20, v14
	v_lshl_add_u32 v7, v7, 23, v18
	v_or3_b32 v22, v15, v7, v14
	v_pk_mov_b32 v[14:15], v[22:23], v[22:23] op_sel:[0,1]
.LBB217_660:                            ;   in Loop: Header=BB217_435 Depth=1
	s_or_b64 exec, exec, s[30:31]
.LBB217_661:                            ;   in Loop: Header=BB217_435 Depth=1
	s_or_b64 exec, exec, s[28:29]
.LBB217_662:                            ;   in Loop: Header=BB217_435 Depth=1
	s_or_b64 exec, exec, s[26:27]
	v_cmp_lt_u32_e64 s[4:5], s34, v6
	s_and_saveexec_b64 s[26:27], s[4:5]
	s_cbranch_execz .LBB217_668
; %bb.663:                              ;   in Loop: Header=BB217_435 Depth=1
	v_cmp_ne_u32_sdwa s[4:5], v6, s7 src0_sel:BYTE_3 src1_sel:DWORD
	v_pk_mov_b32 v[16:17], s[12:13], s[12:13] op_sel:[0,1]
	s_and_saveexec_b64 s[28:29], s[4:5]
	s_cbranch_execz .LBB217_667
; %bb.664:                              ;   in Loop: Header=BB217_435 Depth=1
	v_bfe_u32 v7, v6, 24, 7
	s_mov_b32 s22, s12
	v_cmp_ne_u32_e64 s[4:5], s15, v7
	v_pk_mov_b32 v[16:17], s[22:23], s[22:23] op_sel:[0,1]
	s_and_saveexec_b64 s[30:31], s[4:5]
	s_cbranch_execz .LBB217_666
; %bb.665:                              ;   in Loop: Header=BB217_435 Depth=1
	v_mov_b32_e32 v16, 7
	v_and_b32_sdwa v22, v6, v16 dst_sel:DWORD dst_unused:UNUSED_PAD src0_sel:BYTE_3 src1_sel:DWORD
	v_ffbh_u32_e32 v16, v22
	v_min_u32_e32 v19, 32, v16
	v_subrev_u32_e32 v16, 28, v19
	v_lshlrev_b64 v[16:17], v16, v[22:23]
	v_lshrrev_b32_e32 v18, 3, v7
	v_sub_u32_e32 v17, 29, v19
	v_cmp_gt_u32_e64 s[4:5], 8, v7
	v_cndmask_b32_e64 v7, v18, v17, s[4:5]
	v_mov_b32_e32 v17, 24
	v_and_b32_e32 v16, 7, v16
	v_lshlrev_b32_sdwa v6, v17, v6 dst_sel:DWORD dst_unused:UNUSED_PAD src0_sel:DWORD src1_sel:BYTE_3
	v_bfrev_b32_e32 v17, 60
	v_cndmask_b32_e64 v16, v22, v16, s[4:5]
	v_lshl_add_u32 v7, v7, 23, v17
	v_and_or_b32 v6, v6, s13, v7
	v_lshlrev_b32_e32 v7, 20, v16
	v_or_b32_e32 v17, v6, v7
	v_mov_b32_e32 v16, v23
.LBB217_666:                            ;   in Loop: Header=BB217_435 Depth=1
	s_or_b64 exec, exec, s[30:31]
.LBB217_667:                            ;   in Loop: Header=BB217_435 Depth=1
	s_or_b64 exec, exec, s[28:29]
.LBB217_668:                            ;   in Loop: Header=BB217_435 Depth=1
	s_or_b64 exec, exec, s[26:27]
	v_or_b32_e32 v7, v13, v9
	v_or_b32_e32 v6, v12, v8
	v_pk_mul_f32 v[8:9], v[26:27], v[6:7]
	v_or_b32_e32 v7, v17, v15
	v_or_b32_e32 v6, v16, v14
	v_pk_mul_f32 v[6:7], v[26:27], v[6:7]
	s_and_saveexec_b64 s[26:27], vcc
; %bb.669:                              ;   in Loop: Header=BB217_435 Depth=1
	v_cmp_lt_i32_e64 s[4:5], v28, v62
	v_accvgpr_read_b32 v12, a50
	v_cndmask_b32_e64 v8, 0, v8, s[4:5]
	v_cmp_lt_i32_e64 s[4:5], v12, v62
	v_accvgpr_read_b32 v12, a45
	v_cndmask_b32_e64 v9, 0, v9, s[4:5]
	;; [unrolled: 3-line block ×3, first 2 shown]
	v_cmp_lt_i32_e64 s[4:5], v12, v62
	v_cndmask_b32_e64 v7, 0, v7, s[4:5]
; %bb.670:                              ;   in Loop: Header=BB217_435 Depth=1
	s_or_b64 exec, exec, s[26:27]
	flat_load_dword v12, v[54:55] offset:2304
	v_pk_mov_b32 v[16:17], 0, 0
	v_pk_mov_b32 v[14:15], v[16:17], v[16:17] op_sel:[0,1]
	s_waitcnt vmcnt(0) lgkmcnt(0)
	v_cmp_ne_u16_sdwa s[4:5], v12, v23 src0_sel:BYTE_0 src1_sel:DWORD
	s_and_saveexec_b64 s[26:27], s[4:5]
	s_cbranch_execz .LBB217_676
; %bb.671:                              ;   in Loop: Header=BB217_435 Depth=1
	v_bfrev_b32_e32 v14, 1
	v_cmp_ne_u16_sdwa s[4:5], v12, s7 src0_sel:BYTE_0 src1_sel:DWORD
	v_mov_b32_e32 v15, 0
	s_and_saveexec_b64 s[28:29], s[4:5]
	s_cbranch_execz .LBB217_675
; %bb.672:                              ;   in Loop: Header=BB217_435 Depth=1
	v_and_b32_e32 v13, 0x7f, v12
	v_mov_b32_e32 v14, 0x7f800001
	v_cmp_ne_u32_e64 s[4:5], s15, v13
	v_mov_b32_e32 v15, 0
	s_and_saveexec_b64 s[30:31], s[4:5]
	s_cbranch_execz .LBB217_674
; %bb.673:                              ;   in Loop: Header=BB217_435 Depth=1
	v_and_b32_e32 v18, 7, v12
	v_ffbh_u32_e32 v14, v18
	v_min_u32_e32 v20, 32, v14
	v_subrev_u32_e32 v14, 28, v20
	v_lshlrev_b64 v[14:15], v14, v[12:13]
	v_lshrrev_b32_e32 v19, 3, v13
	v_sub_u32_e32 v15, 29, v20
	v_and_b32_e32 v14, 7, v14
	v_cmp_gt_u32_e64 s[4:5], 8, v13
	v_cndmask_b32_e64 v13, v19, v15, s[4:5]
	v_cndmask_b32_e64 v14, v18, v14, s[4:5]
	v_bfrev_b32_e32 v18, 60
	v_lshlrev_b32_e32 v14, 20, v14
	v_and_b32_sdwa v15, sext(v12), s13 dst_sel:DWORD dst_unused:UNUSED_PAD src0_sel:BYTE_0 src1_sel:DWORD
	v_lshl_add_u32 v13, v13, 23, v18
	v_or3_b32 v22, v15, v13, v14
	v_pk_mov_b32 v[14:15], v[22:23], v[22:23] op_sel:[0,1]
.LBB217_674:                            ;   in Loop: Header=BB217_435 Depth=1
	s_or_b64 exec, exec, s[30:31]
.LBB217_675:                            ;   in Loop: Header=BB217_435 Depth=1
	s_or_b64 exec, exec, s[28:29]
.LBB217_676:                            ;   in Loop: Header=BB217_435 Depth=1
	s_or_b64 exec, exec, s[26:27]
	v_cmp_ne_u16_sdwa s[4:5], v12, v23 src0_sel:BYTE_1 src1_sel:DWORD
	s_and_saveexec_b64 s[26:27], s[4:5]
	s_cbranch_execz .LBB217_682
; %bb.677:                              ;   in Loop: Header=BB217_435 Depth=1
	v_cmp_ne_u16_sdwa s[4:5], v12, s7 src0_sel:BYTE_1 src1_sel:DWORD
	v_pk_mov_b32 v[16:17], s[12:13], s[12:13] op_sel:[0,1]
	s_and_saveexec_b64 s[28:29], s[4:5]
	s_cbranch_execz .LBB217_681
; %bb.678:                              ;   in Loop: Header=BB217_435 Depth=1
	v_and_b32_sdwa v13, v12, s15 dst_sel:DWORD dst_unused:UNUSED_PAD src0_sel:BYTE_1 src1_sel:DWORD
	s_mov_b32 s22, s12
	v_cmp_ne_u32_e64 s[4:5], s15, v13
	v_pk_mov_b32 v[16:17], s[22:23], s[22:23] op_sel:[0,1]
	s_and_saveexec_b64 s[30:31], s[4:5]
	s_cbranch_execz .LBB217_680
; %bb.679:                              ;   in Loop: Header=BB217_435 Depth=1
	v_mov_b32_e32 v16, 7
	v_and_b32_sdwa v22, v12, v16 dst_sel:DWORD dst_unused:UNUSED_PAD src0_sel:BYTE_1 src1_sel:DWORD
	v_ffbh_u32_e32 v16, v22
	v_min_u32_e32 v19, 32, v16
	v_subrev_u32_e32 v16, 28, v19
	v_lshlrev_b64 v[16:17], v16, v[22:23]
	v_lshrrev_b32_e32 v18, 3, v13
	v_sub_u32_e32 v17, 29, v19
	v_cmp_gt_u32_e64 s[4:5], 8, v13
	v_and_b32_e32 v16, 7, v16
	v_cndmask_b32_e64 v13, v18, v17, s[4:5]
	v_bfrev_b32_e32 v18, 60
	v_cndmask_b32_e64 v16, v22, v16, s[4:5]
	v_lshlrev_b32_e32 v17, 16, v12
	v_lshl_add_u32 v13, v13, 23, v18
	v_and_or_b32 v13, v17, s13, v13
	v_lshlrev_b32_e32 v16, 20, v16
	v_or_b32_e32 v17, v13, v16
	v_mov_b32_e32 v16, v23
.LBB217_680:                            ;   in Loop: Header=BB217_435 Depth=1
	s_or_b64 exec, exec, s[30:31]
.LBB217_681:                            ;   in Loop: Header=BB217_435 Depth=1
	s_or_b64 exec, exec, s[28:29]
.LBB217_682:                            ;   in Loop: Header=BB217_435 Depth=1
	s_or_b64 exec, exec, s[26:27]
	v_lshrrev_b32_e32 v22, 16, v12
	v_pk_mov_b32 v[20:21], 0, 0
	v_cmp_ne_u16_sdwa s[4:5], v22, v23 src0_sel:BYTE_0 src1_sel:DWORD
	v_pk_mov_b32 v[18:19], v[20:21], v[20:21] op_sel:[0,1]
	s_and_saveexec_b64 s[26:27], s[4:5]
	s_cbranch_execz .LBB217_688
; %bb.683:                              ;   in Loop: Header=BB217_435 Depth=1
	v_bfrev_b32_e32 v18, 1
	v_cmp_ne_u16_sdwa s[4:5], v22, s7 src0_sel:BYTE_0 src1_sel:DWORD
	v_mov_b32_e32 v19, 0
	s_and_saveexec_b64 s[28:29], s[4:5]
	s_cbranch_execz .LBB217_687
; %bb.684:                              ;   in Loop: Header=BB217_435 Depth=1
	v_bfe_u32 v13, v12, 16, 7
	v_mov_b32_e32 v18, 0x7f800001
	v_cmp_ne_u32_e64 s[4:5], s15, v13
	v_mov_b32_e32 v19, 0
	s_and_saveexec_b64 s[30:31], s[4:5]
	s_cbranch_execz .LBB217_686
; %bb.685:                              ;   in Loop: Header=BB217_435 Depth=1
	v_and_b32_e32 v30, 7, v22
	v_ffbh_u32_e32 v18, v30
	v_min_u32_e32 v38, 32, v18
	v_subrev_u32_e32 v18, 28, v38
	v_lshlrev_b64 v[18:19], v18, v[22:23]
	v_lshrrev_b32_e32 v31, 3, v13
	v_sub_u32_e32 v19, 29, v38
	v_and_b32_e32 v18, 7, v18
	v_cmp_gt_u32_e64 s[4:5], 8, v13
	v_cndmask_b32_e64 v13, v31, v19, s[4:5]
	v_cndmask_b32_e64 v18, v30, v18, s[4:5]
	v_and_b32_sdwa v19, sext(v22), s13 dst_sel:DWORD dst_unused:UNUSED_PAD src0_sel:BYTE_0 src1_sel:DWORD
	v_bfrev_b32_e32 v22, 60
	v_lshlrev_b32_e32 v18, 20, v18
	v_lshl_add_u32 v13, v13, 23, v22
	v_or3_b32 v22, v19, v13, v18
	v_pk_mov_b32 v[18:19], v[22:23], v[22:23] op_sel:[0,1]
.LBB217_686:                            ;   in Loop: Header=BB217_435 Depth=1
	s_or_b64 exec, exec, s[30:31]
.LBB217_687:                            ;   in Loop: Header=BB217_435 Depth=1
	s_or_b64 exec, exec, s[28:29]
.LBB217_688:                            ;   in Loop: Header=BB217_435 Depth=1
	s_or_b64 exec, exec, s[26:27]
	v_cmp_lt_u32_e64 s[4:5], s34, v12
	s_and_saveexec_b64 s[26:27], s[4:5]
	s_cbranch_execz .LBB217_694
; %bb.689:                              ;   in Loop: Header=BB217_435 Depth=1
	v_cmp_ne_u32_sdwa s[4:5], v12, s7 src0_sel:BYTE_3 src1_sel:DWORD
	v_pk_mov_b32 v[20:21], s[12:13], s[12:13] op_sel:[0,1]
	s_and_saveexec_b64 s[28:29], s[4:5]
	s_cbranch_execz .LBB217_693
; %bb.690:                              ;   in Loop: Header=BB217_435 Depth=1
	v_bfe_u32 v13, v12, 24, 7
	s_mov_b32 s22, s12
	v_cmp_ne_u32_e64 s[4:5], s15, v13
	v_pk_mov_b32 v[20:21], s[22:23], s[22:23] op_sel:[0,1]
	s_and_saveexec_b64 s[30:31], s[4:5]
	s_cbranch_execz .LBB217_692
; %bb.691:                              ;   in Loop: Header=BB217_435 Depth=1
	v_mov_b32_e32 v20, 7
	v_and_b32_sdwa v22, v12, v20 dst_sel:DWORD dst_unused:UNUSED_PAD src0_sel:BYTE_3 src1_sel:DWORD
	v_ffbh_u32_e32 v20, v22
	v_min_u32_e32 v31, 32, v20
	v_subrev_u32_e32 v20, 28, v31
	v_lshlrev_b64 v[20:21], v20, v[22:23]
	v_lshrrev_b32_e32 v30, 3, v13
	v_sub_u32_e32 v21, 29, v31
	v_cmp_gt_u32_e64 s[4:5], 8, v13
	v_cndmask_b32_e64 v13, v30, v21, s[4:5]
	v_mov_b32_e32 v21, 24
	v_and_b32_e32 v20, 7, v20
	v_lshlrev_b32_sdwa v12, v21, v12 dst_sel:DWORD dst_unused:UNUSED_PAD src0_sel:DWORD src1_sel:BYTE_3
	v_bfrev_b32_e32 v21, 60
	v_cndmask_b32_e64 v20, v22, v20, s[4:5]
	v_lshl_add_u32 v13, v13, 23, v21
	v_and_or_b32 v12, v12, s13, v13
	v_lshlrev_b32_e32 v13, 20, v20
	v_or_b32_e32 v21, v12, v13
	v_mov_b32_e32 v20, v23
.LBB217_692:                            ;   in Loop: Header=BB217_435 Depth=1
	s_or_b64 exec, exec, s[30:31]
.LBB217_693:                            ;   in Loop: Header=BB217_435 Depth=1
	s_or_b64 exec, exec, s[28:29]
.LBB217_694:                            ;   in Loop: Header=BB217_435 Depth=1
	s_or_b64 exec, exec, s[26:27]
	v_or_b32_e32 v13, v17, v15
	v_or_b32_e32 v12, v16, v14
	;; [unrolled: 1-line block ×4, first 2 shown]
	v_pk_mul_f32 v[12:13], v[26:27], v[12:13]
	v_pk_mul_f32 v[16:17], v[26:27], v[14:15]
	s_and_saveexec_b64 s[26:27], vcc
; %bb.695:                              ;   in Loop: Header=BB217_435 Depth=1
	v_cmp_lt_i32_e64 s[4:5], v28, v62
	v_accvgpr_read_b32 v14, a50
	v_cndmask_b32_e64 v12, 0, v12, s[4:5]
	v_cmp_lt_i32_e64 s[4:5], v14, v62
	v_accvgpr_read_b32 v14, a45
	v_cndmask_b32_e64 v13, 0, v13, s[4:5]
	;; [unrolled: 3-line block ×3, first 2 shown]
	v_cmp_lt_i32_e64 s[4:5], v14, v62
	v_cndmask_b32_e64 v17, 0, v17, s[4:5]
; %bb.696:                              ;   in Loop: Header=BB217_435 Depth=1
	s_or_b64 exec, exec, s[26:27]
	flat_load_dword v14, v[54:55] offset:2560
	v_pk_mov_b32 v[20:21], 0, 0
	v_pk_mov_b32 v[18:19], v[20:21], v[20:21] op_sel:[0,1]
	s_waitcnt vmcnt(0) lgkmcnt(0)
	v_cmp_ne_u16_sdwa s[4:5], v14, v23 src0_sel:BYTE_0 src1_sel:DWORD
	s_and_saveexec_b64 s[26:27], s[4:5]
	s_cbranch_execz .LBB217_702
; %bb.697:                              ;   in Loop: Header=BB217_435 Depth=1
	v_bfrev_b32_e32 v18, 1
	v_cmp_ne_u16_sdwa s[4:5], v14, s7 src0_sel:BYTE_0 src1_sel:DWORD
	v_mov_b32_e32 v19, 0
	s_and_saveexec_b64 s[28:29], s[4:5]
	s_cbranch_execz .LBB217_701
; %bb.698:                              ;   in Loop: Header=BB217_435 Depth=1
	v_and_b32_e32 v15, 0x7f, v14
	v_mov_b32_e32 v18, 0x7f800001
	v_cmp_ne_u32_e64 s[4:5], s15, v15
	v_mov_b32_e32 v19, 0
	s_and_saveexec_b64 s[30:31], s[4:5]
	s_cbranch_execz .LBB217_700
; %bb.699:                              ;   in Loop: Header=BB217_435 Depth=1
	v_and_b32_e32 v22, 7, v14
	v_ffbh_u32_e32 v18, v22
	v_min_u32_e32 v31, 32, v18
	v_subrev_u32_e32 v18, 28, v31
	v_lshlrev_b64 v[18:19], v18, v[14:15]
	v_lshrrev_b32_e32 v30, 3, v15
	v_sub_u32_e32 v19, 29, v31
	v_and_b32_e32 v18, 7, v18
	v_cmp_gt_u32_e64 s[4:5], 8, v15
	v_cndmask_b32_e64 v15, v30, v19, s[4:5]
	v_cndmask_b32_e64 v18, v22, v18, s[4:5]
	v_bfrev_b32_e32 v22, 60
	v_lshlrev_b32_e32 v18, 20, v18
	v_and_b32_sdwa v19, sext(v14), s13 dst_sel:DWORD dst_unused:UNUSED_PAD src0_sel:BYTE_0 src1_sel:DWORD
	v_lshl_add_u32 v15, v15, 23, v22
	v_or3_b32 v22, v19, v15, v18
	v_pk_mov_b32 v[18:19], v[22:23], v[22:23] op_sel:[0,1]
.LBB217_700:                            ;   in Loop: Header=BB217_435 Depth=1
	s_or_b64 exec, exec, s[30:31]
.LBB217_701:                            ;   in Loop: Header=BB217_435 Depth=1
	s_or_b64 exec, exec, s[28:29]
.LBB217_702:                            ;   in Loop: Header=BB217_435 Depth=1
	s_or_b64 exec, exec, s[26:27]
	v_cmp_ne_u16_sdwa s[4:5], v14, v23 src0_sel:BYTE_1 src1_sel:DWORD
	s_and_saveexec_b64 s[26:27], s[4:5]
	s_cbranch_execz .LBB217_708
; %bb.703:                              ;   in Loop: Header=BB217_435 Depth=1
	v_cmp_ne_u16_sdwa s[4:5], v14, s7 src0_sel:BYTE_1 src1_sel:DWORD
	v_pk_mov_b32 v[20:21], s[12:13], s[12:13] op_sel:[0,1]
	s_and_saveexec_b64 s[28:29], s[4:5]
	s_cbranch_execz .LBB217_707
; %bb.704:                              ;   in Loop: Header=BB217_435 Depth=1
	v_and_b32_sdwa v15, v14, s15 dst_sel:DWORD dst_unused:UNUSED_PAD src0_sel:BYTE_1 src1_sel:DWORD
	s_mov_b32 s22, s12
	v_cmp_ne_u32_e64 s[4:5], s15, v15
	v_pk_mov_b32 v[20:21], s[22:23], s[22:23] op_sel:[0,1]
	s_and_saveexec_b64 s[30:31], s[4:5]
	s_cbranch_execz .LBB217_706
; %bb.705:                              ;   in Loop: Header=BB217_435 Depth=1
	v_mov_b32_e32 v20, 7
	v_and_b32_sdwa v22, v14, v20 dst_sel:DWORD dst_unused:UNUSED_PAD src0_sel:BYTE_1 src1_sel:DWORD
	v_ffbh_u32_e32 v20, v22
	v_min_u32_e32 v31, 32, v20
	v_subrev_u32_e32 v20, 28, v31
	v_lshlrev_b64 v[20:21], v20, v[22:23]
	v_lshrrev_b32_e32 v30, 3, v15
	v_sub_u32_e32 v21, 29, v31
	v_and_b32_e32 v20, 7, v20
	v_cmp_gt_u32_e64 s[4:5], 8, v15
	v_cndmask_b32_e64 v15, v30, v21, s[4:5]
	v_cndmask_b32_e64 v20, v22, v20, s[4:5]
	v_bfrev_b32_e32 v22, 60
	v_lshlrev_b32_e32 v21, 16, v14
	v_lshl_add_u32 v15, v15, 23, v22
	v_and_or_b32 v15, v21, s13, v15
	v_lshlrev_b32_e32 v20, 20, v20
	v_or_b32_e32 v21, v15, v20
	v_mov_b32_e32 v20, v23
.LBB217_706:                            ;   in Loop: Header=BB217_435 Depth=1
	s_or_b64 exec, exec, s[30:31]
.LBB217_707:                            ;   in Loop: Header=BB217_435 Depth=1
	s_or_b64 exec, exec, s[28:29]
.LBB217_708:                            ;   in Loop: Header=BB217_435 Depth=1
	s_or_b64 exec, exec, s[26:27]
	v_pk_mov_b32 v[38:39], 0, 0
	v_lshrrev_b32_e32 v22, 16, v14
	v_pk_mov_b32 v[30:31], v[38:39], v[38:39] op_sel:[0,1]
	v_cmp_ne_u16_sdwa s[4:5], v22, v23 src0_sel:BYTE_0 src1_sel:DWORD
	s_mov_b64 s[26:27], exec
	s_and_b64 s[4:5], s[26:27], s[4:5]
	v_accvgpr_write_b32 a41, v28
	s_mov_b64 exec, s[4:5]
	s_cbranch_execz .LBB217_714
; %bb.709:                              ;   in Loop: Header=BB217_435 Depth=1
	v_bfrev_b32_e32 v30, 1
	v_cmp_ne_u16_sdwa s[4:5], v22, s7 src0_sel:BYTE_0 src1_sel:DWORD
	v_mov_b32_e32 v31, 0
	s_and_saveexec_b64 s[28:29], s[4:5]
	s_cbranch_execz .LBB217_713
; %bb.710:                              ;   in Loop: Header=BB217_435 Depth=1
	v_bfe_u32 v15, v14, 16, 7
	v_mov_b32_e32 v30, 0x7f800001
	v_cmp_ne_u32_e64 s[4:5], s15, v15
	v_mov_b32_e32 v31, 0
	s_and_saveexec_b64 s[30:31], s[4:5]
	s_cbranch_execz .LBB217_712
; %bb.711:                              ;   in Loop: Header=BB217_435 Depth=1
	v_and_b32_e32 v48, 7, v22
	v_ffbh_u32_e32 v30, v48
	v_min_u32_e32 v50, 32, v30
	v_subrev_u32_e32 v30, 28, v50
	v_lshlrev_b64 v[30:31], v30, v[22:23]
	v_lshrrev_b32_e32 v49, 3, v15
	v_sub_u32_e32 v31, 29, v50
	v_and_b32_e32 v30, 7, v30
	v_cmp_gt_u32_e64 s[4:5], 8, v15
	v_cndmask_b32_e64 v15, v49, v31, s[4:5]
	v_cndmask_b32_e64 v30, v48, v30, s[4:5]
	v_bfrev_b32_e32 v28, 60
	v_lshlrev_b32_e32 v30, 20, v30
	v_and_b32_sdwa v22, sext(v22), s13 dst_sel:DWORD dst_unused:UNUSED_PAD src0_sel:BYTE_0 src1_sel:DWORD
	v_lshl_add_u32 v15, v15, 23, v28
	v_or3_b32 v22, v22, v15, v30
	v_accvgpr_read_b32 v28, a41
	v_pk_mov_b32 v[30:31], v[22:23], v[22:23] op_sel:[0,1]
.LBB217_712:                            ;   in Loop: Header=BB217_435 Depth=1
	s_or_b64 exec, exec, s[30:31]
.LBB217_713:                            ;   in Loop: Header=BB217_435 Depth=1
	s_or_b64 exec, exec, s[28:29]
.LBB217_714:                            ;   in Loop: Header=BB217_435 Depth=1
	s_or_b64 exec, exec, s[26:27]
	v_cmp_lt_u32_e64 s[4:5], s34, v14
	s_and_saveexec_b64 s[26:27], s[4:5]
	s_cbranch_execz .LBB217_720
; %bb.715:                              ;   in Loop: Header=BB217_435 Depth=1
	v_cmp_ne_u32_sdwa s[4:5], v14, s7 src0_sel:BYTE_3 src1_sel:DWORD
	v_pk_mov_b32 v[38:39], s[12:13], s[12:13] op_sel:[0,1]
	s_and_saveexec_b64 s[28:29], s[4:5]
	s_cbranch_execz .LBB217_719
; %bb.716:                              ;   in Loop: Header=BB217_435 Depth=1
	v_bfe_u32 v15, v14, 24, 7
	s_mov_b32 s22, s12
	v_cmp_ne_u32_e64 s[4:5], s15, v15
	v_pk_mov_b32 v[38:39], s[22:23], s[22:23] op_sel:[0,1]
	s_and_saveexec_b64 s[30:31], s[4:5]
	s_cbranch_execz .LBB217_718
; %bb.717:                              ;   in Loop: Header=BB217_435 Depth=1
	v_mov_b32_e32 v22, 7
	v_and_b32_sdwa v22, v14, v22 dst_sel:DWORD dst_unused:UNUSED_PAD src0_sel:BYTE_3 src1_sel:DWORD
	v_ffbh_u32_e32 v38, v22
	v_min_u32_e32 v49, 32, v38
	v_subrev_u32_e32 v38, 28, v49
	v_lshlrev_b64 v[38:39], v38, v[22:23]
	v_lshrrev_b32_e32 v48, 3, v15
	v_sub_u32_e32 v39, 29, v49
	v_cmp_gt_u32_e64 s[4:5], 8, v15
	v_mov_b32_e32 v28, 24
	v_and_b32_e32 v38, 7, v38
	v_cndmask_b32_e64 v15, v48, v39, s[4:5]
	v_lshlrev_b32_sdwa v14, v28, v14 dst_sel:DWORD dst_unused:UNUSED_PAD src0_sel:DWORD src1_sel:BYTE_3
	v_bfrev_b32_e32 v28, 60
	v_cndmask_b32_e64 v22, v22, v38, s[4:5]
	v_lshl_add_u32 v15, v15, 23, v28
	v_and_or_b32 v14, v14, s13, v15
	v_lshlrev_b32_e32 v15, 20, v22
	v_accvgpr_read_b32 v28, a41
	v_or_b32_e32 v39, v14, v15
	v_mov_b32_e32 v38, v23
.LBB217_718:                            ;   in Loop: Header=BB217_435 Depth=1
	s_or_b64 exec, exec, s[30:31]
.LBB217_719:                            ;   in Loop: Header=BB217_435 Depth=1
	s_or_b64 exec, exec, s[28:29]
.LBB217_720:                            ;   in Loop: Header=BB217_435 Depth=1
	s_or_b64 exec, exec, s[26:27]
	v_or_b32_e32 v15, v21, v19
	v_or_b32_e32 v14, v20, v18
	v_pk_mul_f32 v[56:57], v[26:27], v[14:15]
	v_or_b32_e32 v15, v39, v31
	v_or_b32_e32 v14, v38, v30
	v_pk_mul_f32 v[20:21], v[26:27], v[14:15]
	s_and_saveexec_b64 s[26:27], vcc
; %bb.721:                              ;   in Loop: Header=BB217_435 Depth=1
	v_cmp_lt_i32_e64 s[4:5], v28, v62
	v_accvgpr_read_b32 v14, a50
	v_cndmask_b32_e64 v56, 0, v56, s[4:5]
	v_cmp_lt_i32_e64 s[4:5], v14, v62
	v_accvgpr_read_b32 v14, a45
	v_cndmask_b32_e64 v57, 0, v57, s[4:5]
	;; [unrolled: 3-line block ×3, first 2 shown]
	v_cmp_lt_i32_e64 s[4:5], v14, v62
	v_cndmask_b32_e64 v21, 0, v21, s[4:5]
; %bb.722:                              ;   in Loop: Header=BB217_435 Depth=1
	s_or_b64 exec, exec, s[26:27]
	flat_load_dword v14, v[54:55] offset:2816
	v_pk_mov_b32 v[38:39], 0, 0
	v_pk_mov_b32 v[18:19], v[38:39], v[38:39] op_sel:[0,1]
	s_waitcnt vmcnt(0) lgkmcnt(0)
	v_cmp_ne_u16_sdwa s[4:5], v14, v23 src0_sel:BYTE_0 src1_sel:DWORD
	s_and_saveexec_b64 s[26:27], s[4:5]
	s_cbranch_execz .LBB217_728
; %bb.723:                              ;   in Loop: Header=BB217_435 Depth=1
	v_bfrev_b32_e32 v18, 1
	v_cmp_ne_u16_sdwa s[4:5], v14, s7 src0_sel:BYTE_0 src1_sel:DWORD
	v_mov_b32_e32 v19, 0
	s_and_saveexec_b64 s[28:29], s[4:5]
	s_cbranch_execz .LBB217_727
; %bb.724:                              ;   in Loop: Header=BB217_435 Depth=1
	v_and_b32_e32 v15, 0x7f, v14
	v_mov_b32_e32 v18, 0x7f800001
	v_cmp_ne_u32_e64 s[4:5], s15, v15
	v_mov_b32_e32 v19, 0
	s_and_saveexec_b64 s[30:31], s[4:5]
	s_cbranch_execz .LBB217_726
; %bb.725:                              ;   in Loop: Header=BB217_435 Depth=1
	v_and_b32_e32 v22, 7, v14
	v_ffbh_u32_e32 v18, v22
	v_min_u32_e32 v31, 32, v18
	v_subrev_u32_e32 v18, 28, v31
	v_lshlrev_b64 v[18:19], v18, v[14:15]
	v_lshrrev_b32_e32 v30, 3, v15
	v_sub_u32_e32 v19, 29, v31
	v_and_b32_e32 v18, 7, v18
	v_cmp_gt_u32_e64 s[4:5], 8, v15
	v_cndmask_b32_e64 v15, v30, v19, s[4:5]
	v_cndmask_b32_e64 v18, v22, v18, s[4:5]
	v_bfrev_b32_e32 v22, 60
	v_lshlrev_b32_e32 v18, 20, v18
	v_and_b32_sdwa v19, sext(v14), s13 dst_sel:DWORD dst_unused:UNUSED_PAD src0_sel:BYTE_0 src1_sel:DWORD
	v_lshl_add_u32 v15, v15, 23, v22
	v_or3_b32 v22, v19, v15, v18
	v_pk_mov_b32 v[18:19], v[22:23], v[22:23] op_sel:[0,1]
.LBB217_726:                            ;   in Loop: Header=BB217_435 Depth=1
	s_or_b64 exec, exec, s[30:31]
.LBB217_727:                            ;   in Loop: Header=BB217_435 Depth=1
	s_or_b64 exec, exec, s[28:29]
.LBB217_728:                            ;   in Loop: Header=BB217_435 Depth=1
	s_or_b64 exec, exec, s[26:27]
	v_cmp_ne_u16_sdwa s[4:5], v14, v23 src0_sel:BYTE_1 src1_sel:DWORD
	s_and_saveexec_b64 s[26:27], s[4:5]
	s_cbranch_execz .LBB217_734
; %bb.729:                              ;   in Loop: Header=BB217_435 Depth=1
	v_cmp_ne_u16_sdwa s[4:5], v14, s7 src0_sel:BYTE_1 src1_sel:DWORD
	v_pk_mov_b32 v[38:39], s[12:13], s[12:13] op_sel:[0,1]
	s_and_saveexec_b64 s[28:29], s[4:5]
	s_cbranch_execz .LBB217_733
; %bb.730:                              ;   in Loop: Header=BB217_435 Depth=1
	v_and_b32_sdwa v15, v14, s15 dst_sel:DWORD dst_unused:UNUSED_PAD src0_sel:BYTE_1 src1_sel:DWORD
	s_mov_b32 s22, s12
	v_cmp_ne_u32_e64 s[4:5], s15, v15
	v_pk_mov_b32 v[38:39], s[22:23], s[22:23] op_sel:[0,1]
	s_and_saveexec_b64 s[30:31], s[4:5]
	s_cbranch_execz .LBB217_732
; %bb.731:                              ;   in Loop: Header=BB217_435 Depth=1
	v_mov_b32_e32 v22, 7
	v_and_b32_sdwa v22, v14, v22 dst_sel:DWORD dst_unused:UNUSED_PAD src0_sel:BYTE_1 src1_sel:DWORD
	v_ffbh_u32_e32 v30, v22
	v_min_u32_e32 v39, 32, v30
	v_subrev_u32_e32 v30, 28, v39
	v_lshlrev_b64 v[30:31], v30, v[22:23]
	v_lshrrev_b32_e32 v38, 3, v15
	v_sub_u32_e32 v31, 29, v39
	v_cmp_gt_u32_e64 s[4:5], 8, v15
	v_and_b32_e32 v30, 7, v30
	v_cndmask_b32_e64 v15, v38, v31, s[4:5]
	v_bfrev_b32_e32 v28, 60
	v_cndmask_b32_e64 v22, v22, v30, s[4:5]
	v_lshlrev_b32_e32 v30, 16, v14
	v_lshl_add_u32 v15, v15, 23, v28
	v_and_or_b32 v15, v30, s13, v15
	v_lshlrev_b32_e32 v22, 20, v22
	v_accvgpr_read_b32 v28, a41
	v_or_b32_e32 v39, v15, v22
	v_mov_b32_e32 v38, v23
.LBB217_732:                            ;   in Loop: Header=BB217_435 Depth=1
	s_or_b64 exec, exec, s[30:31]
.LBB217_733:                            ;   in Loop: Header=BB217_435 Depth=1
	s_or_b64 exec, exec, s[28:29]
.LBB217_734:                            ;   in Loop: Header=BB217_435 Depth=1
	s_or_b64 exec, exec, s[26:27]
	v_lshrrev_b32_e32 v22, 16, v14
	v_pk_mov_b32 v[48:49], 0, 0
	v_cmp_ne_u16_sdwa s[4:5], v22, v23 src0_sel:BYTE_0 src1_sel:DWORD
	v_pk_mov_b32 v[30:31], v[48:49], v[48:49] op_sel:[0,1]
	s_and_saveexec_b64 s[26:27], s[4:5]
	s_cbranch_execz .LBB217_740
; %bb.735:                              ;   in Loop: Header=BB217_435 Depth=1
	v_bfrev_b32_e32 v30, 1
	v_cmp_ne_u16_sdwa s[4:5], v22, s7 src0_sel:BYTE_0 src1_sel:DWORD
	v_mov_b32_e32 v31, 0
	s_and_saveexec_b64 s[28:29], s[4:5]
	s_cbranch_execz .LBB217_739
; %bb.736:                              ;   in Loop: Header=BB217_435 Depth=1
	v_bfe_u32 v15, v14, 16, 7
	v_mov_b32_e32 v30, 0x7f800001
	v_cmp_ne_u32_e64 s[4:5], s15, v15
	v_mov_b32_e32 v31, 0
	s_and_saveexec_b64 s[30:31], s[4:5]
	s_cbranch_execz .LBB217_738
; %bb.737:                              ;   in Loop: Header=BB217_435 Depth=1
	v_and_b32_e32 v50, 7, v22
	v_ffbh_u32_e32 v30, v50
	v_min_u32_e32 v52, 32, v30
	v_subrev_u32_e32 v30, 28, v52
	v_lshlrev_b64 v[30:31], v30, v[22:23]
	v_lshrrev_b32_e32 v51, 3, v15
	v_sub_u32_e32 v31, 29, v52
	v_and_b32_e32 v30, 7, v30
	v_cmp_gt_u32_e64 s[4:5], 8, v15
	v_cndmask_b32_e64 v15, v51, v31, s[4:5]
	v_cndmask_b32_e64 v30, v50, v30, s[4:5]
	v_bfrev_b32_e32 v28, 60
	v_lshlrev_b32_e32 v30, 20, v30
	v_and_b32_sdwa v22, sext(v22), s13 dst_sel:DWORD dst_unused:UNUSED_PAD src0_sel:BYTE_0 src1_sel:DWORD
	v_lshl_add_u32 v15, v15, 23, v28
	v_or3_b32 v22, v22, v15, v30
	v_accvgpr_read_b32 v28, a41
	v_pk_mov_b32 v[30:31], v[22:23], v[22:23] op_sel:[0,1]
.LBB217_738:                            ;   in Loop: Header=BB217_435 Depth=1
	s_or_b64 exec, exec, s[30:31]
.LBB217_739:                            ;   in Loop: Header=BB217_435 Depth=1
	s_or_b64 exec, exec, s[28:29]
.LBB217_740:                            ;   in Loop: Header=BB217_435 Depth=1
	s_or_b64 exec, exec, s[26:27]
	v_cmp_lt_u32_e64 s[4:5], s34, v14
	s_and_saveexec_b64 s[26:27], s[4:5]
	s_cbranch_execz .LBB217_746
; %bb.741:                              ;   in Loop: Header=BB217_435 Depth=1
	v_cmp_ne_u32_sdwa s[4:5], v14, s7 src0_sel:BYTE_3 src1_sel:DWORD
	v_pk_mov_b32 v[48:49], s[12:13], s[12:13] op_sel:[0,1]
	s_and_saveexec_b64 s[28:29], s[4:5]
	s_cbranch_execz .LBB217_745
; %bb.742:                              ;   in Loop: Header=BB217_435 Depth=1
	v_bfe_u32 v15, v14, 24, 7
	s_mov_b32 s22, s12
	v_cmp_ne_u32_e64 s[4:5], s15, v15
	v_pk_mov_b32 v[48:49], s[22:23], s[22:23] op_sel:[0,1]
	s_and_saveexec_b64 s[30:31], s[4:5]
	s_cbranch_execz .LBB217_744
; %bb.743:                              ;   in Loop: Header=BB217_435 Depth=1
	v_mov_b32_e32 v22, 7
	v_and_b32_sdwa v22, v14, v22 dst_sel:DWORD dst_unused:UNUSED_PAD src0_sel:BYTE_3 src1_sel:DWORD
	v_ffbh_u32_e32 v48, v22
	v_min_u32_e32 v51, 32, v48
	v_subrev_u32_e32 v48, 28, v51
	v_lshlrev_b64 v[48:49], v48, v[22:23]
	v_lshrrev_b32_e32 v50, 3, v15
	v_sub_u32_e32 v49, 29, v51
	v_cmp_gt_u32_e64 s[4:5], 8, v15
	v_mov_b32_e32 v28, 24
	v_and_b32_e32 v48, 7, v48
	v_cndmask_b32_e64 v15, v50, v49, s[4:5]
	v_lshlrev_b32_sdwa v14, v28, v14 dst_sel:DWORD dst_unused:UNUSED_PAD src0_sel:DWORD src1_sel:BYTE_3
	v_bfrev_b32_e32 v28, 60
	v_cndmask_b32_e64 v22, v22, v48, s[4:5]
	v_lshl_add_u32 v15, v15, 23, v28
	v_and_or_b32 v14, v14, s13, v15
	v_lshlrev_b32_e32 v15, 20, v22
	v_accvgpr_read_b32 v28, a41
	v_or_b32_e32 v49, v14, v15
	v_mov_b32_e32 v48, v23
.LBB217_744:                            ;   in Loop: Header=BB217_435 Depth=1
	s_or_b64 exec, exec, s[30:31]
.LBB217_745:                            ;   in Loop: Header=BB217_435 Depth=1
	s_or_b64 exec, exec, s[28:29]
.LBB217_746:                            ;   in Loop: Header=BB217_435 Depth=1
	s_or_b64 exec, exec, s[26:27]
	v_or_b32_e32 v15, v39, v19
	v_or_b32_e32 v14, v38, v18
	v_pk_mul_f32 v[58:59], v[26:27], v[14:15]
	v_or_b32_e32 v15, v49, v31
	v_or_b32_e32 v14, v48, v30
	v_pk_mul_f32 v[14:15], v[26:27], v[14:15]
	s_and_saveexec_b64 s[26:27], vcc
; %bb.747:                              ;   in Loop: Header=BB217_435 Depth=1
	v_cmp_lt_i32_e64 s[4:5], v28, v62
	v_accvgpr_read_b32 v18, a50
	v_cndmask_b32_e64 v58, 0, v58, s[4:5]
	v_cmp_lt_i32_e64 s[4:5], v18, v62
	v_accvgpr_read_b32 v18, a45
	v_cndmask_b32_e64 v59, 0, v59, s[4:5]
	;; [unrolled: 3-line block ×3, first 2 shown]
	v_cmp_lt_i32_e64 s[4:5], v18, v62
	v_cndmask_b32_e64 v15, 0, v15, s[4:5]
; %bb.748:                              ;   in Loop: Header=BB217_435 Depth=1
	s_or_b64 exec, exec, s[26:27]
	flat_load_dword v38, v[54:55] offset:3072
	v_pk_mov_b32 v[50:51], 0, 0
	v_pk_mov_b32 v[48:49], v[50:51], v[50:51] op_sel:[0,1]
	s_waitcnt vmcnt(0) lgkmcnt(0)
	v_cmp_ne_u16_sdwa s[4:5], v38, v23 src0_sel:BYTE_0 src1_sel:DWORD
	s_and_saveexec_b64 s[26:27], s[4:5]
	s_cbranch_execz .LBB217_754
; %bb.749:                              ;   in Loop: Header=BB217_435 Depth=1
	v_bfrev_b32_e32 v48, 1
	v_cmp_ne_u16_sdwa s[4:5], v38, s7 src0_sel:BYTE_0 src1_sel:DWORD
	v_mov_b32_e32 v49, 0
	s_and_saveexec_b64 s[28:29], s[4:5]
	s_cbranch_execz .LBB217_753
; %bb.750:                              ;   in Loop: Header=BB217_435 Depth=1
	v_and_b32_e32 v18, 0x7f, v38
	v_mov_b32_e32 v48, 0x7f800001
	v_cmp_ne_u32_e64 s[4:5], s15, v18
	v_mov_b32_e32 v49, 0
	s_and_saveexec_b64 s[30:31], s[4:5]
	s_cbranch_execz .LBB217_752
; %bb.751:                              ;   in Loop: Header=BB217_435 Depth=1
	v_and_b32_e32 v19, 7, v38
	v_ffbh_u32_e32 v30, v19
	v_min_u32_e32 v39, 32, v30
	v_subrev_u32_e32 v30, 28, v39
	v_lshlrev_b64 v[30:31], v30, v[38:39]
	v_lshrrev_b32_e32 v22, 3, v18
	v_sub_u32_e32 v31, 29, v39
	v_and_b32_e32 v30, 7, v30
	v_cmp_gt_u32_e64 s[4:5], 8, v18
	v_cndmask_b32_e64 v18, v22, v31, s[4:5]
	v_cndmask_b32_e64 v19, v19, v30, s[4:5]
	v_bfrev_b32_e32 v28, 60
	v_lshlrev_b32_e32 v19, 20, v19
	v_and_b32_sdwa v22, sext(v38), s13 dst_sel:DWORD dst_unused:UNUSED_PAD src0_sel:BYTE_0 src1_sel:DWORD
	v_lshl_add_u32 v18, v18, 23, v28
	v_or3_b32 v22, v22, v18, v19
	v_accvgpr_read_b32 v28, a41
	v_pk_mov_b32 v[48:49], v[22:23], v[22:23] op_sel:[0,1]
.LBB217_752:                            ;   in Loop: Header=BB217_435 Depth=1
	s_or_b64 exec, exec, s[30:31]
.LBB217_753:                            ;   in Loop: Header=BB217_435 Depth=1
	s_or_b64 exec, exec, s[28:29]
.LBB217_754:                            ;   in Loop: Header=BB217_435 Depth=1
	s_or_b64 exec, exec, s[26:27]
	v_cmp_ne_u16_sdwa s[4:5], v38, v23 src0_sel:BYTE_1 src1_sel:DWORD
	s_and_saveexec_b64 s[26:27], s[4:5]
	s_cbranch_execz .LBB217_760
; %bb.755:                              ;   in Loop: Header=BB217_435 Depth=1
	v_cmp_ne_u16_sdwa s[4:5], v38, s7 src0_sel:BYTE_1 src1_sel:DWORD
	v_pk_mov_b32 v[50:51], s[12:13], s[12:13] op_sel:[0,1]
	s_and_saveexec_b64 s[28:29], s[4:5]
	s_cbranch_execz .LBB217_759
; %bb.756:                              ;   in Loop: Header=BB217_435 Depth=1
	v_and_b32_sdwa v18, v38, s15 dst_sel:DWORD dst_unused:UNUSED_PAD src0_sel:BYTE_1 src1_sel:DWORD
	s_mov_b32 s22, s12
	v_cmp_ne_u32_e64 s[4:5], s15, v18
	v_pk_mov_b32 v[50:51], s[22:23], s[22:23] op_sel:[0,1]
	s_and_saveexec_b64 s[30:31], s[4:5]
	s_cbranch_execz .LBB217_758
; %bb.757:                              ;   in Loop: Header=BB217_435 Depth=1
	v_mov_b32_e32 v19, 7
	v_and_b32_sdwa v22, v38, v19 dst_sel:DWORD dst_unused:UNUSED_PAD src0_sel:BYTE_1 src1_sel:DWORD
	v_ffbh_u32_e32 v30, v22
	v_min_u32_e32 v39, 32, v30
	v_subrev_u32_e32 v30, 28, v39
	v_lshlrev_b64 v[30:31], v30, v[22:23]
	v_lshrrev_b32_e32 v19, 3, v18
	v_sub_u32_e32 v31, 29, v39
	v_cmp_gt_u32_e64 s[4:5], 8, v18
	v_and_b32_e32 v30, 7, v30
	v_cndmask_b32_e64 v18, v19, v31, s[4:5]
	v_bfrev_b32_e32 v28, 60
	v_cndmask_b32_e64 v19, v22, v30, s[4:5]
	v_lshlrev_b32_e32 v22, 16, v38
	v_lshl_add_u32 v18, v18, 23, v28
	v_and_or_b32 v18, v22, s13, v18
	v_lshlrev_b32_e32 v19, 20, v19
	v_accvgpr_read_b32 v28, a41
	v_or_b32_e32 v51, v18, v19
	v_mov_b32_e32 v50, v23
.LBB217_758:                            ;   in Loop: Header=BB217_435 Depth=1
	s_or_b64 exec, exec, s[30:31]
.LBB217_759:                            ;   in Loop: Header=BB217_435 Depth=1
	s_or_b64 exec, exec, s[28:29]
.LBB217_760:                            ;   in Loop: Header=BB217_435 Depth=1
	s_or_b64 exec, exec, s[26:27]
	v_lshrrev_b32_e32 v22, 16, v38
	v_pk_mov_b32 v[30:31], 0, 0
	v_cmp_ne_u16_sdwa s[4:5], v22, v23 src0_sel:BYTE_0 src1_sel:DWORD
	v_pk_mov_b32 v[18:19], v[30:31], v[30:31] op_sel:[0,1]
	s_and_saveexec_b64 s[26:27], s[4:5]
	s_cbranch_execz .LBB217_766
; %bb.761:                              ;   in Loop: Header=BB217_435 Depth=1
	v_bfrev_b32_e32 v18, 1
	v_cmp_ne_u16_sdwa s[4:5], v22, s7 src0_sel:BYTE_0 src1_sel:DWORD
	v_mov_b32_e32 v19, 0
	s_and_saveexec_b64 s[28:29], s[4:5]
	s_cbranch_execz .LBB217_765
; %bb.762:                              ;   in Loop: Header=BB217_435 Depth=1
	v_bfe_u32 v39, v38, 16, 7
	v_mov_b32_e32 v18, 0x7f800001
	v_cmp_ne_u32_e64 s[4:5], s15, v39
	v_mov_b32_e32 v19, 0
	s_and_saveexec_b64 s[30:31], s[4:5]
	s_cbranch_execz .LBB217_764
; %bb.763:                              ;   in Loop: Header=BB217_435 Depth=1
	v_and_b32_e32 v52, 7, v22
	v_ffbh_u32_e32 v18, v52
	v_lshrrev_b32_e32 v53, 3, v39
	v_cmp_gt_u32_e64 s[4:5], 8, v39
	v_min_u32_e32 v39, 32, v18
	v_subrev_u32_e32 v18, 28, v39
	v_lshlrev_b64 v[18:19], v18, v[22:23]
	v_sub_u32_e32 v19, 29, v39
	v_and_b32_e32 v18, 7, v18
	v_cndmask_b32_e64 v19, v53, v19, s[4:5]
	v_cndmask_b32_e64 v18, v52, v18, s[4:5]
	v_bfrev_b32_e32 v28, 60
	v_lshlrev_b32_e32 v18, 20, v18
	v_and_b32_sdwa v22, sext(v22), s13 dst_sel:DWORD dst_unused:UNUSED_PAD src0_sel:BYTE_0 src1_sel:DWORD
	v_lshl_add_u32 v19, v19, 23, v28
	v_or3_b32 v22, v22, v19, v18
	v_accvgpr_read_b32 v28, a41
	v_pk_mov_b32 v[18:19], v[22:23], v[22:23] op_sel:[0,1]
.LBB217_764:                            ;   in Loop: Header=BB217_435 Depth=1
	s_or_b64 exec, exec, s[30:31]
.LBB217_765:                            ;   in Loop: Header=BB217_435 Depth=1
	s_or_b64 exec, exec, s[28:29]
.LBB217_766:                            ;   in Loop: Header=BB217_435 Depth=1
	s_or_b64 exec, exec, s[26:27]
	v_cmp_lt_u32_e64 s[4:5], s34, v38
	s_and_saveexec_b64 s[26:27], s[4:5]
	s_cbranch_execz .LBB217_772
; %bb.767:                              ;   in Loop: Header=BB217_435 Depth=1
	v_cmp_ne_u32_sdwa s[4:5], v38, s7 src0_sel:BYTE_3 src1_sel:DWORD
	v_pk_mov_b32 v[30:31], s[12:13], s[12:13] op_sel:[0,1]
	s_and_saveexec_b64 s[28:29], s[4:5]
	s_cbranch_execz .LBB217_771
; %bb.768:                              ;   in Loop: Header=BB217_435 Depth=1
	v_bfe_u32 v39, v38, 24, 7
	s_mov_b32 s22, s12
	v_cmp_ne_u32_e64 s[4:5], s15, v39
	v_pk_mov_b32 v[30:31], s[22:23], s[22:23] op_sel:[0,1]
	s_and_saveexec_b64 s[30:31], s[4:5]
	s_cbranch_execz .LBB217_770
; %bb.769:                              ;   in Loop: Header=BB217_435 Depth=1
	v_mov_b32_e32 v22, 7
	v_and_b32_sdwa v22, v38, v22 dst_sel:DWORD dst_unused:UNUSED_PAD src0_sel:BYTE_3 src1_sel:DWORD
	v_ffbh_u32_e32 v30, v22
	v_min_u32_e32 v53, 32, v30
	v_subrev_u32_e32 v30, 28, v53
	v_lshlrev_b64 v[30:31], v30, v[22:23]
	v_lshrrev_b32_e32 v52, 3, v39
	v_sub_u32_e32 v31, 29, v53
	v_and_b32_e32 v30, 7, v30
	v_cmp_gt_u32_e64 s[4:5], 8, v39
	v_mov_b32_e32 v28, 24
	v_cndmask_b32_e64 v31, v52, v31, s[4:5]
	v_cndmask_b32_e64 v22, v22, v30, s[4:5]
	v_lshlrev_b32_sdwa v30, v28, v38 dst_sel:DWORD dst_unused:UNUSED_PAD src0_sel:DWORD src1_sel:BYTE_3
	v_bfrev_b32_e32 v28, 60
	v_lshl_add_u32 v31, v31, 23, v28
	v_and_or_b32 v30, v30, s13, v31
	v_lshlrev_b32_e32 v22, 20, v22
	v_accvgpr_read_b32 v28, a41
	v_or_b32_e32 v31, v30, v22
	v_mov_b32_e32 v30, v23
.LBB217_770:                            ;   in Loop: Header=BB217_435 Depth=1
	s_or_b64 exec, exec, s[30:31]
.LBB217_771:                            ;   in Loop: Header=BB217_435 Depth=1
	s_or_b64 exec, exec, s[28:29]
.LBB217_772:                            ;   in Loop: Header=BB217_435 Depth=1
	s_or_b64 exec, exec, s[26:27]
	v_or_b32_e32 v39, v51, v49
	v_or_b32_e32 v38, v50, v48
	;; [unrolled: 1-line block ×4, first 2 shown]
	v_pk_mul_f32 v[38:39], v[26:27], v[38:39]
	v_pk_mul_f32 v[48:49], v[26:27], v[18:19]
	s_and_saveexec_b64 s[26:27], vcc
; %bb.773:                              ;   in Loop: Header=BB217_435 Depth=1
	v_cmp_lt_i32_e64 s[4:5], v28, v62
	v_accvgpr_read_b32 v18, a50
	v_cndmask_b32_e64 v38, 0, v38, s[4:5]
	v_cmp_lt_i32_e64 s[4:5], v18, v62
	v_accvgpr_read_b32 v18, a45
	v_cndmask_b32_e64 v39, 0, v39, s[4:5]
	;; [unrolled: 3-line block ×3, first 2 shown]
	v_cmp_lt_i32_e64 s[4:5], v18, v62
	v_cndmask_b32_e64 v49, 0, v49, s[4:5]
; %bb.774:                              ;   in Loop: Header=BB217_435 Depth=1
	s_or_b64 exec, exec, s[26:27]
	flat_load_dword v50, v[54:55] offset:3328
	v_pk_mov_b32 v[40:41], 0, 0
	v_pk_mov_b32 v[52:53], v[40:41], v[40:41] op_sel:[0,1]
	s_waitcnt vmcnt(0) lgkmcnt(0)
	v_cmp_ne_u16_sdwa s[4:5], v50, v23 src0_sel:BYTE_0 src1_sel:DWORD
	s_and_saveexec_b64 s[26:27], s[4:5]
	s_cbranch_execz .LBB217_780
; %bb.775:                              ;   in Loop: Header=BB217_435 Depth=1
	v_bfrev_b32_e32 v52, 1
	v_cmp_ne_u16_sdwa s[4:5], v50, s7 src0_sel:BYTE_0 src1_sel:DWORD
	v_mov_b32_e32 v53, 0
	s_and_saveexec_b64 s[28:29], s[4:5]
	s_cbranch_execz .LBB217_779
; %bb.776:                              ;   in Loop: Header=BB217_435 Depth=1
	v_and_b32_e32 v18, 0x7f, v50
	v_mov_b32_e32 v52, 0x7f800001
	v_cmp_ne_u32_e64 s[4:5], s15, v18
	v_mov_b32_e32 v53, 0
	s_and_saveexec_b64 s[30:31], s[4:5]
	s_cbranch_execz .LBB217_778
; %bb.777:                              ;   in Loop: Header=BB217_435 Depth=1
	v_and_b32_e32 v19, 7, v50
	v_ffbh_u32_e32 v30, v19
	v_min_u32_e32 v51, 32, v30
	v_subrev_u32_e32 v30, 28, v51
	v_lshlrev_b64 v[30:31], v30, v[50:51]
	v_lshrrev_b32_e32 v22, 3, v18
	v_sub_u32_e32 v31, 29, v51
	v_and_b32_e32 v30, 7, v30
	v_cmp_gt_u32_e64 s[4:5], 8, v18
	v_cndmask_b32_e64 v18, v22, v31, s[4:5]
	v_cndmask_b32_e64 v19, v19, v30, s[4:5]
	v_bfrev_b32_e32 v28, 60
	v_lshlrev_b32_e32 v19, 20, v19
	v_and_b32_sdwa v22, sext(v50), s13 dst_sel:DWORD dst_unused:UNUSED_PAD src0_sel:BYTE_0 src1_sel:DWORD
	v_lshl_add_u32 v18, v18, 23, v28
	v_or3_b32 v22, v22, v18, v19
	v_accvgpr_read_b32 v28, a41
	v_pk_mov_b32 v[52:53], v[22:23], v[22:23] op_sel:[0,1]
.LBB217_778:                            ;   in Loop: Header=BB217_435 Depth=1
	s_or_b64 exec, exec, s[30:31]
.LBB217_779:                            ;   in Loop: Header=BB217_435 Depth=1
	s_or_b64 exec, exec, s[28:29]
.LBB217_780:                            ;   in Loop: Header=BB217_435 Depth=1
	s_or_b64 exec, exec, s[26:27]
	v_cmp_ne_u16_sdwa s[4:5], v50, v23 src0_sel:BYTE_1 src1_sel:DWORD
	s_and_saveexec_b64 s[26:27], s[4:5]
	s_cbranch_execz .LBB217_786
; %bb.781:                              ;   in Loop: Header=BB217_435 Depth=1
	v_cmp_ne_u16_sdwa s[4:5], v50, s7 src0_sel:BYTE_1 src1_sel:DWORD
	v_pk_mov_b32 v[40:41], s[12:13], s[12:13] op_sel:[0,1]
	s_and_saveexec_b64 s[28:29], s[4:5]
	s_cbranch_execz .LBB217_785
; %bb.782:                              ;   in Loop: Header=BB217_435 Depth=1
	v_and_b32_sdwa v18, v50, s15 dst_sel:DWORD dst_unused:UNUSED_PAD src0_sel:BYTE_1 src1_sel:DWORD
	s_mov_b32 s22, s12
	v_cmp_ne_u32_e64 s[4:5], s15, v18
	v_pk_mov_b32 v[40:41], s[22:23], s[22:23] op_sel:[0,1]
	s_and_saveexec_b64 s[30:31], s[4:5]
	s_cbranch_execz .LBB217_784
; %bb.783:                              ;   in Loop: Header=BB217_435 Depth=1
	v_mov_b32_e32 v19, 7
	v_and_b32_sdwa v22, v50, v19 dst_sel:DWORD dst_unused:UNUSED_PAD src0_sel:BYTE_1 src1_sel:DWORD
	v_ffbh_u32_e32 v30, v22
	v_min_u32_e32 v51, 32, v30
	v_subrev_u32_e32 v30, 28, v51
	v_lshlrev_b64 v[30:31], v30, v[22:23]
	v_lshrrev_b32_e32 v19, 3, v18
	v_sub_u32_e32 v31, 29, v51
	v_cmp_gt_u32_e64 s[4:5], 8, v18
	v_and_b32_e32 v30, 7, v30
	v_cndmask_b32_e64 v18, v19, v31, s[4:5]
	v_bfrev_b32_e32 v28, 60
	v_cndmask_b32_e64 v19, v22, v30, s[4:5]
	v_lshlrev_b32_e32 v22, 16, v50
	v_lshl_add_u32 v18, v18, 23, v28
	v_and_or_b32 v18, v22, s13, v18
	v_lshlrev_b32_e32 v19, 20, v19
	v_accvgpr_read_b32 v28, a41
	v_or_b32_e32 v41, v18, v19
	v_mov_b32_e32 v40, v23
.LBB217_784:                            ;   in Loop: Header=BB217_435 Depth=1
	s_or_b64 exec, exec, s[30:31]
.LBB217_785:                            ;   in Loop: Header=BB217_435 Depth=1
	s_or_b64 exec, exec, s[28:29]
.LBB217_786:                            ;   in Loop: Header=BB217_435 Depth=1
	s_or_b64 exec, exec, s[26:27]
	v_lshrrev_b32_e32 v18, 16, v50
	v_pk_mov_b32 v[30:31], 0, 0
	v_cmp_ne_u16_sdwa s[4:5], v18, v23 src0_sel:BYTE_0 src1_sel:DWORD
	v_pk_mov_b32 v[42:43], v[30:31], v[30:31] op_sel:[0,1]
	s_and_saveexec_b64 s[26:27], s[4:5]
	s_cbranch_execz .LBB217_792
; %bb.787:                              ;   in Loop: Header=BB217_435 Depth=1
	v_bfrev_b32_e32 v42, 1
	v_cmp_ne_u16_sdwa s[4:5], v18, s7 src0_sel:BYTE_0 src1_sel:DWORD
	v_mov_b32_e32 v43, 0
	s_and_saveexec_b64 s[28:29], s[4:5]
	s_cbranch_execz .LBB217_791
; %bb.788:                              ;   in Loop: Header=BB217_435 Depth=1
	v_bfe_u32 v19, v50, 16, 7
	v_mov_b32_e32 v42, 0x7f800001
	v_cmp_ne_u32_e64 s[4:5], s15, v19
	v_mov_b32_e32 v43, 0
	s_and_saveexec_b64 s[30:31], s[4:5]
	s_cbranch_execz .LBB217_790
; %bb.789:                              ;   in Loop: Header=BB217_435 Depth=1
	v_and_b32_e32 v22, 7, v18
	v_lshrrev_b32_e32 v51, 3, v19
	v_cmp_gt_u32_e64 s[4:5], 8, v19
	v_ffbh_u32_e32 v19, v22
	v_min_u32_e32 v19, 32, v19
	v_subrev_u32_e32 v42, 28, v19
	v_lshlrev_b64 v[42:43], v42, v[18:19]
	v_sub_u32_e32 v19, 29, v19
	v_and_b32_e32 v42, 7, v42
	v_cndmask_b32_e64 v19, v51, v19, s[4:5]
	v_cndmask_b32_e64 v22, v22, v42, s[4:5]
	v_bfrev_b32_e32 v28, 60
	v_lshlrev_b32_e32 v22, 20, v22
	v_and_b32_sdwa v18, sext(v18), s13 dst_sel:DWORD dst_unused:UNUSED_PAD src0_sel:BYTE_0 src1_sel:DWORD
	v_lshl_add_u32 v19, v19, 23, v28
	v_or3_b32 v22, v18, v19, v22
	v_accvgpr_read_b32 v28, a41
	v_pk_mov_b32 v[42:43], v[22:23], v[22:23] op_sel:[0,1]
.LBB217_790:                            ;   in Loop: Header=BB217_435 Depth=1
	s_or_b64 exec, exec, s[30:31]
.LBB217_791:                            ;   in Loop: Header=BB217_435 Depth=1
	s_or_b64 exec, exec, s[28:29]
.LBB217_792:                            ;   in Loop: Header=BB217_435 Depth=1
	s_or_b64 exec, exec, s[26:27]
	v_cmp_lt_u32_e64 s[4:5], s34, v50
	s_and_saveexec_b64 s[26:27], s[4:5]
	s_cbranch_execz .LBB217_798
; %bb.793:                              ;   in Loop: Header=BB217_435 Depth=1
	v_cmp_ne_u32_sdwa s[4:5], v50, s7 src0_sel:BYTE_3 src1_sel:DWORD
	v_pk_mov_b32 v[30:31], s[12:13], s[12:13] op_sel:[0,1]
	s_and_saveexec_b64 s[28:29], s[4:5]
	s_cbranch_execz .LBB217_797
; %bb.794:                              ;   in Loop: Header=BB217_435 Depth=1
	v_bfe_u32 v18, v50, 24, 7
	s_mov_b32 s22, s12
	v_cmp_ne_u32_e64 s[4:5], s15, v18
	v_pk_mov_b32 v[30:31], s[22:23], s[22:23] op_sel:[0,1]
	s_and_saveexec_b64 s[30:31], s[4:5]
	s_cbranch_execz .LBB217_796
; %bb.795:                              ;   in Loop: Header=BB217_435 Depth=1
	v_mov_b32_e32 v19, 7
	v_and_b32_sdwa v22, v50, v19 dst_sel:DWORD dst_unused:UNUSED_PAD src0_sel:BYTE_3 src1_sel:DWORD
	v_lshrrev_b32_e32 v30, 3, v18
	v_cmp_gt_u32_e64 s[4:5], 8, v18
	v_ffbh_u32_e32 v18, v22
	v_min_u32_e32 v31, 32, v18
	v_subrev_u32_e32 v18, 28, v31
	v_lshlrev_b64 v[18:19], v18, v[22:23]
	v_sub_u32_e32 v19, 29, v31
	v_and_b32_e32 v18, 7, v18
	v_cndmask_b32_e64 v19, v30, v19, s[4:5]
	v_cndmask_b32_e64 v18, v22, v18, s[4:5]
	v_mov_b32_e32 v22, 24
	v_bfrev_b32_e32 v28, 60
	v_lshlrev_b32_sdwa v22, v22, v50 dst_sel:DWORD dst_unused:UNUSED_PAD src0_sel:DWORD src1_sel:BYTE_3
	v_lshl_add_u32 v19, v19, 23, v28
	v_and_or_b32 v19, v22, s13, v19
	v_lshlrev_b32_e32 v18, 20, v18
	v_accvgpr_read_b32 v28, a41
	v_or_b32_e32 v31, v19, v18
	v_mov_b32_e32 v30, v23
.LBB217_796:                            ;   in Loop: Header=BB217_435 Depth=1
	s_or_b64 exec, exec, s[30:31]
.LBB217_797:                            ;   in Loop: Header=BB217_435 Depth=1
	s_or_b64 exec, exec, s[28:29]
.LBB217_798:                            ;   in Loop: Header=BB217_435 Depth=1
	s_or_b64 exec, exec, s[26:27]
	v_or_b32_e32 v19, v41, v53
	v_or_b32_e32 v18, v40, v52
	v_pk_mul_f32 v[50:51], v[26:27], v[18:19]
	v_or_b32_e32 v19, v31, v43
	v_or_b32_e32 v18, v30, v42
	v_pk_mul_f32 v[52:53], v[26:27], v[18:19]
	s_and_saveexec_b64 s[26:27], vcc
; %bb.799:                              ;   in Loop: Header=BB217_435 Depth=1
	v_cmp_lt_i32_e64 s[4:5], v28, v62
	v_accvgpr_read_b32 v18, a50
	v_cndmask_b32_e64 v50, 0, v50, s[4:5]
	v_cmp_lt_i32_e64 s[4:5], v18, v62
	v_accvgpr_read_b32 v18, a45
	v_cndmask_b32_e64 v51, 0, v51, s[4:5]
	;; [unrolled: 3-line block ×3, first 2 shown]
	v_cmp_lt_i32_e64 s[4:5], v18, v62
	v_cndmask_b32_e64 v53, 0, v53, s[4:5]
; %bb.800:                              ;   in Loop: Header=BB217_435 Depth=1
	s_or_b64 exec, exec, s[26:27]
	flat_load_dword v54, v[54:55] offset:3584
	v_pk_mov_b32 v[42:43], 0, 0
	v_pk_mov_b32 v[40:41], v[42:43], v[42:43] op_sel:[0,1]
	s_waitcnt vmcnt(0) lgkmcnt(0)
	v_cmp_ne_u16_sdwa s[4:5], v54, v23 src0_sel:BYTE_0 src1_sel:DWORD
	s_and_saveexec_b64 s[26:27], s[4:5]
	s_cbranch_execz .LBB217_806
; %bb.801:                              ;   in Loop: Header=BB217_435 Depth=1
	v_bfrev_b32_e32 v40, 1
	v_cmp_ne_u16_sdwa s[4:5], v54, s7 src0_sel:BYTE_0 src1_sel:DWORD
	v_mov_b32_e32 v41, 0
	s_and_saveexec_b64 s[28:29], s[4:5]
	s_cbranch_execz .LBB217_805
; %bb.802:                              ;   in Loop: Header=BB217_435 Depth=1
	v_and_b32_e32 v18, 0x7f, v54
	v_mov_b32_e32 v40, 0x7f800001
	v_cmp_ne_u32_e64 s[4:5], s15, v18
	v_mov_b32_e32 v41, 0
	s_and_saveexec_b64 s[30:31], s[4:5]
	s_cbranch_execz .LBB217_804
; %bb.803:                              ;   in Loop: Header=BB217_435 Depth=1
	v_and_b32_e32 v22, 7, v54
	v_lshrrev_b32_e32 v30, 3, v18
	v_cmp_gt_u32_e64 s[4:5], 8, v18
	v_ffbh_u32_e32 v18, v22
	v_min_u32_e32 v31, 32, v18
	v_subrev_u32_e32 v18, 28, v31
	v_lshlrev_b64 v[18:19], v18, v[54:55]
	v_sub_u32_e32 v19, 29, v31
	v_and_b32_e32 v18, 7, v18
	v_cndmask_b32_e64 v19, v30, v19, s[4:5]
	v_cndmask_b32_e64 v18, v22, v18, s[4:5]
	v_bfrev_b32_e32 v28, 60
	v_lshlrev_b32_e32 v18, 20, v18
	v_and_b32_sdwa v22, sext(v54), s13 dst_sel:DWORD dst_unused:UNUSED_PAD src0_sel:BYTE_0 src1_sel:DWORD
	v_lshl_add_u32 v19, v19, 23, v28
	v_or3_b32 v22, v22, v19, v18
	v_accvgpr_read_b32 v28, a41
	v_pk_mov_b32 v[40:41], v[22:23], v[22:23] op_sel:[0,1]
.LBB217_804:                            ;   in Loop: Header=BB217_435 Depth=1
	s_or_b64 exec, exec, s[30:31]
.LBB217_805:                            ;   in Loop: Header=BB217_435 Depth=1
	s_or_b64 exec, exec, s[28:29]
.LBB217_806:                            ;   in Loop: Header=BB217_435 Depth=1
	s_or_b64 exec, exec, s[26:27]
	v_cmp_ne_u16_sdwa s[4:5], v54, v23 src0_sel:BYTE_1 src1_sel:DWORD
	s_and_saveexec_b64 s[26:27], s[4:5]
	s_cbranch_execz .LBB217_812
; %bb.807:                              ;   in Loop: Header=BB217_435 Depth=1
	v_cmp_ne_u16_sdwa s[4:5], v54, s7 src0_sel:BYTE_1 src1_sel:DWORD
	v_pk_mov_b32 v[42:43], s[12:13], s[12:13] op_sel:[0,1]
	s_and_saveexec_b64 s[28:29], s[4:5]
	s_cbranch_execz .LBB217_811
; %bb.808:                              ;   in Loop: Header=BB217_435 Depth=1
	v_and_b32_sdwa v18, v54, s15 dst_sel:DWORD dst_unused:UNUSED_PAD src0_sel:BYTE_1 src1_sel:DWORD
	s_mov_b32 s22, s12
	v_cmp_ne_u32_e64 s[4:5], s15, v18
	v_pk_mov_b32 v[42:43], s[22:23], s[22:23] op_sel:[0,1]
	s_and_saveexec_b64 s[30:31], s[4:5]
	s_cbranch_execz .LBB217_810
; %bb.809:                              ;   in Loop: Header=BB217_435 Depth=1
	v_mov_b32_e32 v19, 7
	v_and_b32_sdwa v22, v54, v19 dst_sel:DWORD dst_unused:UNUSED_PAD src0_sel:BYTE_1 src1_sel:DWORD
	v_lshrrev_b32_e32 v30, 3, v18
	v_cmp_gt_u32_e64 s[4:5], 8, v18
	v_ffbh_u32_e32 v18, v22
	v_min_u32_e32 v31, 32, v18
	v_subrev_u32_e32 v18, 28, v31
	v_lshlrev_b64 v[18:19], v18, v[22:23]
	v_sub_u32_e32 v19, 29, v31
	v_and_b32_e32 v18, 7, v18
	v_cndmask_b32_e64 v19, v30, v19, s[4:5]
	v_bfrev_b32_e32 v28, 60
	v_cndmask_b32_e64 v18, v22, v18, s[4:5]
	v_lshlrev_b32_e32 v22, 16, v54
	v_lshl_add_u32 v19, v19, 23, v28
	v_and_or_b32 v19, v22, s13, v19
	v_lshlrev_b32_e32 v18, 20, v18
	v_accvgpr_read_b32 v28, a41
	v_or_b32_e32 v43, v19, v18
	v_mov_b32_e32 v42, v23
.LBB217_810:                            ;   in Loop: Header=BB217_435 Depth=1
	s_or_b64 exec, exec, s[30:31]
.LBB217_811:                            ;   in Loop: Header=BB217_435 Depth=1
	s_or_b64 exec, exec, s[28:29]
.LBB217_812:                            ;   in Loop: Header=BB217_435 Depth=1
	s_or_b64 exec, exec, s[26:27]
	v_lshrrev_b32_e32 v18, 16, v54
	v_pk_mov_b32 v[30:31], 0, 0
	v_cmp_ne_u16_sdwa s[4:5], v18, v23 src0_sel:BYTE_0 src1_sel:DWORD
	v_pk_mov_b32 v[44:45], v[30:31], v[30:31] op_sel:[0,1]
	s_and_saveexec_b64 s[26:27], s[4:5]
	s_cbranch_execz .LBB217_818
; %bb.813:                              ;   in Loop: Header=BB217_435 Depth=1
	v_bfrev_b32_e32 v44, 1
	v_cmp_ne_u16_sdwa s[4:5], v18, s7 src0_sel:BYTE_0 src1_sel:DWORD
	v_mov_b32_e32 v45, 0
	s_and_saveexec_b64 s[28:29], s[4:5]
	s_cbranch_execz .LBB217_817
; %bb.814:                              ;   in Loop: Header=BB217_435 Depth=1
	v_bfe_u32 v19, v54, 16, 7
	v_mov_b32_e32 v44, 0x7f800001
	v_cmp_ne_u32_e64 s[4:5], s15, v19
	v_mov_b32_e32 v45, 0
	s_and_saveexec_b64 s[30:31], s[4:5]
	s_cbranch_execz .LBB217_816
; %bb.815:                              ;   in Loop: Header=BB217_435 Depth=1
	v_and_b32_e32 v22, 7, v18
	v_lshrrev_b32_e32 v55, 3, v19
	v_cmp_gt_u32_e64 s[4:5], 8, v19
	v_ffbh_u32_e32 v19, v22
	v_min_u32_e32 v19, 32, v19
	v_subrev_u32_e32 v44, 28, v19
	v_lshlrev_b64 v[44:45], v44, v[18:19]
	v_sub_u32_e32 v19, 29, v19
	v_and_b32_e32 v44, 7, v44
	v_cndmask_b32_e64 v19, v55, v19, s[4:5]
	v_cndmask_b32_e64 v22, v22, v44, s[4:5]
	v_bfrev_b32_e32 v28, 60
	v_lshlrev_b32_e32 v22, 20, v22
	v_and_b32_sdwa v18, sext(v18), s13 dst_sel:DWORD dst_unused:UNUSED_PAD src0_sel:BYTE_0 src1_sel:DWORD
	v_lshl_add_u32 v19, v19, 23, v28
	v_or3_b32 v22, v18, v19, v22
	v_accvgpr_read_b32 v28, a41
	v_pk_mov_b32 v[44:45], v[22:23], v[22:23] op_sel:[0,1]
.LBB217_816:                            ;   in Loop: Header=BB217_435 Depth=1
	s_or_b64 exec, exec, s[30:31]
.LBB217_817:                            ;   in Loop: Header=BB217_435 Depth=1
	s_or_b64 exec, exec, s[28:29]
.LBB217_818:                            ;   in Loop: Header=BB217_435 Depth=1
	s_or_b64 exec, exec, s[26:27]
	v_cmp_lt_u32_e64 s[4:5], s34, v54
	s_and_saveexec_b64 s[26:27], s[4:5]
	s_cbranch_execz .LBB217_824
; %bb.819:                              ;   in Loop: Header=BB217_435 Depth=1
	v_cmp_ne_u32_sdwa s[4:5], v54, s7 src0_sel:BYTE_3 src1_sel:DWORD
	v_pk_mov_b32 v[30:31], s[12:13], s[12:13] op_sel:[0,1]
	s_and_saveexec_b64 s[28:29], s[4:5]
	s_cbranch_execz .LBB217_823
; %bb.820:                              ;   in Loop: Header=BB217_435 Depth=1
	v_bfe_u32 v18, v54, 24, 7
	s_mov_b32 s22, s12
	v_cmp_ne_u32_e64 s[4:5], s15, v18
	v_pk_mov_b32 v[30:31], s[22:23], s[22:23] op_sel:[0,1]
	s_and_saveexec_b64 s[30:31], s[4:5]
	s_cbranch_execz .LBB217_822
; %bb.821:                              ;   in Loop: Header=BB217_435 Depth=1
	v_mov_b32_e32 v19, 7
	v_and_b32_sdwa v22, v54, v19 dst_sel:DWORD dst_unused:UNUSED_PAD src0_sel:BYTE_3 src1_sel:DWORD
	v_lshrrev_b32_e32 v30, 3, v18
	v_cmp_gt_u32_e64 s[4:5], 8, v18
	v_ffbh_u32_e32 v18, v22
	v_min_u32_e32 v31, 32, v18
	v_subrev_u32_e32 v18, 28, v31
	v_lshlrev_b64 v[18:19], v18, v[22:23]
	v_sub_u32_e32 v19, 29, v31
	v_and_b32_e32 v18, 7, v18
	v_cndmask_b32_e64 v19, v30, v19, s[4:5]
	v_cndmask_b32_e64 v18, v22, v18, s[4:5]
	v_mov_b32_e32 v22, 24
	v_bfrev_b32_e32 v28, 60
	v_lshlrev_b32_sdwa v22, v22, v54 dst_sel:DWORD dst_unused:UNUSED_PAD src0_sel:DWORD src1_sel:BYTE_3
	v_lshl_add_u32 v19, v19, 23, v28
	v_and_or_b32 v19, v22, s13, v19
	v_lshlrev_b32_e32 v18, 20, v18
	v_accvgpr_read_b32 v28, a41
	v_or_b32_e32 v31, v19, v18
	v_mov_b32_e32 v30, v23
.LBB217_822:                            ;   in Loop: Header=BB217_435 Depth=1
	s_or_b64 exec, exec, s[30:31]
.LBB217_823:                            ;   in Loop: Header=BB217_435 Depth=1
	s_or_b64 exec, exec, s[28:29]
.LBB217_824:                            ;   in Loop: Header=BB217_435 Depth=1
	s_or_b64 exec, exec, s[26:27]
	v_or_b32_e32 v19, v43, v41
	v_or_b32_e32 v18, v42, v40
	v_pk_mul_f32 v[54:55], v[26:27], v[18:19]
	v_or_b32_e32 v19, v31, v45
	v_or_b32_e32 v18, v30, v44
	v_pk_mul_f32 v[40:41], v[26:27], v[18:19]
	s_and_saveexec_b64 s[26:27], vcc
; %bb.825:                              ;   in Loop: Header=BB217_435 Depth=1
	v_cmp_lt_i32_e64 s[4:5], v28, v62
	v_accvgpr_read_b32 v18, a50
	v_cndmask_b32_e64 v54, 0, v54, s[4:5]
	v_cmp_lt_i32_e64 s[4:5], v18, v62
	v_accvgpr_read_b32 v18, a45
	v_cndmask_b32_e64 v55, 0, v55, s[4:5]
	;; [unrolled: 3-line block ×3, first 2 shown]
	v_cmp_lt_i32_e64 s[4:5], v18, v62
	v_cndmask_b32_e64 v41, 0, v41, s[4:5]
; %bb.826:                              ;   in Loop: Header=BB217_435 Depth=1
	s_or_b64 exec, exec, s[26:27]
	v_accvgpr_read_b32 v18, a42
	v_add_co_u32_e64 v18, s[4:5], v46, v18
	v_addc_co_u32_e64 v19, s[4:5], 0, v47, s[4:5]
	flat_load_dword v42, v[18:19]
	v_pk_mov_b32 v[44:45], 0, 0
	v_pk_mov_b32 v[46:47], v[44:45], v[44:45] op_sel:[0,1]
	s_waitcnt vmcnt(0) lgkmcnt(0)
	v_cmp_ne_u16_sdwa s[4:5], v42, v23 src0_sel:BYTE_0 src1_sel:DWORD
	s_and_saveexec_b64 s[26:27], s[4:5]
	s_cbranch_execz .LBB217_832
; %bb.827:                              ;   in Loop: Header=BB217_435 Depth=1
	v_bfrev_b32_e32 v46, 1
	v_cmp_ne_u16_sdwa s[4:5], v42, s7 src0_sel:BYTE_0 src1_sel:DWORD
	v_mov_b32_e32 v47, 0
	s_and_saveexec_b64 s[28:29], s[4:5]
	s_cbranch_execz .LBB217_831
; %bb.828:                              ;   in Loop: Header=BB217_435 Depth=1
	v_and_b32_e32 v18, 0x7f, v42
	v_mov_b32_e32 v46, 0x7f800001
	v_cmp_ne_u32_e64 s[4:5], s15, v18
	v_mov_b32_e32 v47, 0
	s_and_saveexec_b64 s[30:31], s[4:5]
	s_cbranch_execz .LBB217_830
; %bb.829:                              ;   in Loop: Header=BB217_435 Depth=1
	v_and_b32_e32 v22, 7, v42
	v_lshrrev_b32_e32 v30, 3, v18
	v_cmp_gt_u32_e64 s[4:5], 8, v18
	v_ffbh_u32_e32 v18, v22
	v_min_u32_e32 v31, 32, v18
	v_subrev_u32_e32 v18, 28, v31
	v_lshlrev_b64 v[18:19], v18, v[42:43]
	v_sub_u32_e32 v19, 29, v31
	v_and_b32_e32 v18, 7, v18
	v_cndmask_b32_e64 v19, v30, v19, s[4:5]
	v_cndmask_b32_e64 v18, v22, v18, s[4:5]
	v_bfrev_b32_e32 v28, 60
	v_lshlrev_b32_e32 v18, 20, v18
	v_and_b32_sdwa v22, sext(v42), s13 dst_sel:DWORD dst_unused:UNUSED_PAD src0_sel:BYTE_0 src1_sel:DWORD
	v_lshl_add_u32 v19, v19, 23, v28
	v_or3_b32 v22, v22, v19, v18
	v_accvgpr_read_b32 v28, a41
	v_pk_mov_b32 v[46:47], v[22:23], v[22:23] op_sel:[0,1]
.LBB217_830:                            ;   in Loop: Header=BB217_435 Depth=1
	s_or_b64 exec, exec, s[30:31]
.LBB217_831:                            ;   in Loop: Header=BB217_435 Depth=1
	s_or_b64 exec, exec, s[28:29]
.LBB217_832:                            ;   in Loop: Header=BB217_435 Depth=1
	s_or_b64 exec, exec, s[26:27]
	v_cmp_ne_u16_sdwa s[4:5], v42, v23 src0_sel:BYTE_1 src1_sel:DWORD
	s_and_saveexec_b64 s[26:27], s[4:5]
	s_cbranch_execz .LBB217_838
; %bb.833:                              ;   in Loop: Header=BB217_435 Depth=1
	v_cmp_ne_u16_sdwa s[4:5], v42, s7 src0_sel:BYTE_1 src1_sel:DWORD
	v_pk_mov_b32 v[44:45], s[12:13], s[12:13] op_sel:[0,1]
	s_and_saveexec_b64 s[28:29], s[4:5]
	s_cbranch_execz .LBB217_837
; %bb.834:                              ;   in Loop: Header=BB217_435 Depth=1
	v_and_b32_sdwa v18, v42, s15 dst_sel:DWORD dst_unused:UNUSED_PAD src0_sel:BYTE_1 src1_sel:DWORD
	s_mov_b32 s22, s12
	v_cmp_ne_u32_e64 s[4:5], s15, v18
	v_pk_mov_b32 v[44:45], s[22:23], s[22:23] op_sel:[0,1]
	s_and_saveexec_b64 s[30:31], s[4:5]
	s_cbranch_execz .LBB217_836
; %bb.835:                              ;   in Loop: Header=BB217_435 Depth=1
	v_mov_b32_e32 v19, 7
	v_and_b32_sdwa v22, v42, v19 dst_sel:DWORD dst_unused:UNUSED_PAD src0_sel:BYTE_1 src1_sel:DWORD
	v_lshrrev_b32_e32 v30, 3, v18
	v_cmp_gt_u32_e64 s[4:5], 8, v18
	v_ffbh_u32_e32 v18, v22
	v_min_u32_e32 v31, 32, v18
	v_subrev_u32_e32 v18, 28, v31
	v_lshlrev_b64 v[18:19], v18, v[22:23]
	v_sub_u32_e32 v19, 29, v31
	v_and_b32_e32 v18, 7, v18
	v_cndmask_b32_e64 v19, v30, v19, s[4:5]
	v_bfrev_b32_e32 v28, 60
	v_cndmask_b32_e64 v18, v22, v18, s[4:5]
	v_lshlrev_b32_e32 v22, 16, v42
	v_lshl_add_u32 v19, v19, 23, v28
	v_and_or_b32 v19, v22, s13, v19
	v_lshlrev_b32_e32 v18, 20, v18
	v_accvgpr_read_b32 v28, a41
	v_or_b32_e32 v45, v19, v18
	v_mov_b32_e32 v44, v23
.LBB217_836:                            ;   in Loop: Header=BB217_435 Depth=1
	s_or_b64 exec, exec, s[30:31]
.LBB217_837:                            ;   in Loop: Header=BB217_435 Depth=1
	s_or_b64 exec, exec, s[28:29]
.LBB217_838:                            ;   in Loop: Header=BB217_435 Depth=1
	s_or_b64 exec, exec, s[26:27]
	v_lshrrev_b32_e32 v22, 16, v42
	v_pk_mov_b32 v[30:31], 0, 0
	v_cmp_ne_u16_sdwa s[4:5], v22, v23 src0_sel:BYTE_0 src1_sel:DWORD
	v_pk_mov_b32 v[18:19], v[30:31], v[30:31] op_sel:[0,1]
	s_and_saveexec_b64 s[26:27], s[4:5]
	s_cbranch_execz .LBB217_844
; %bb.839:                              ;   in Loop: Header=BB217_435 Depth=1
	v_bfrev_b32_e32 v18, 1
	v_cmp_ne_u16_sdwa s[4:5], v22, s7 src0_sel:BYTE_0 src1_sel:DWORD
	v_mov_b32_e32 v19, 0
	s_and_saveexec_b64 s[28:29], s[4:5]
	s_cbranch_execz .LBB217_843
; %bb.840:                              ;   in Loop: Header=BB217_435 Depth=1
	v_bfe_u32 v43, v42, 16, 7
	v_mov_b32_e32 v18, 0x7f800001
	v_cmp_ne_u32_e64 s[4:5], s15, v43
	v_mov_b32_e32 v19, 0
	s_and_saveexec_b64 s[30:31], s[4:5]
	s_cbranch_execz .LBB217_842
; %bb.841:                              ;   in Loop: Header=BB217_435 Depth=1
	v_and_b32_e32 v28, 7, v22
	v_ffbh_u32_e32 v18, v28
	v_lshrrev_b32_e32 v29, 3, v43
	v_cmp_gt_u32_e64 s[4:5], 8, v43
	v_min_u32_e32 v43, 32, v18
	v_subrev_u32_e32 v18, 28, v43
	v_lshlrev_b64 v[18:19], v18, v[22:23]
	v_sub_u32_e32 v19, 29, v43
	v_and_b32_e32 v18, 7, v18
	v_cndmask_b32_e64 v19, v29, v19, s[4:5]
	v_cndmask_b32_e64 v18, v28, v18, s[4:5]
	v_bfrev_b32_e32 v28, 60
	v_lshlrev_b32_e32 v18, 20, v18
	v_and_b32_sdwa v22, sext(v22), s13 dst_sel:DWORD dst_unused:UNUSED_PAD src0_sel:BYTE_0 src1_sel:DWORD
	v_lshl_add_u32 v19, v19, 23, v28
	v_or3_b32 v22, v22, v19, v18
	v_accvgpr_read_b32 v29, a15
	v_accvgpr_read_b32 v28, a41
	v_pk_mov_b32 v[18:19], v[22:23], v[22:23] op_sel:[0,1]
.LBB217_842:                            ;   in Loop: Header=BB217_435 Depth=1
	s_or_b64 exec, exec, s[30:31]
.LBB217_843:                            ;   in Loop: Header=BB217_435 Depth=1
	s_or_b64 exec, exec, s[28:29]
.LBB217_844:                            ;   in Loop: Header=BB217_435 Depth=1
	s_or_b64 exec, exec, s[26:27]
	v_cmp_lt_u32_e64 s[4:5], s34, v42
	s_and_saveexec_b64 s[26:27], s[4:5]
	s_cbranch_execz .LBB217_850
; %bb.845:                              ;   in Loop: Header=BB217_435 Depth=1
	v_cmp_ne_u32_sdwa s[4:5], v42, s7 src0_sel:BYTE_3 src1_sel:DWORD
	v_pk_mov_b32 v[30:31], s[12:13], s[12:13] op_sel:[0,1]
	s_and_saveexec_b64 s[28:29], s[4:5]
	s_cbranch_execz .LBB217_849
; %bb.846:                              ;   in Loop: Header=BB217_435 Depth=1
	v_bfe_u32 v43, v42, 24, 7
	s_mov_b32 s22, s12
	v_cmp_ne_u32_e64 s[4:5], s15, v43
	v_pk_mov_b32 v[30:31], s[22:23], s[22:23] op_sel:[0,1]
	s_and_saveexec_b64 s[30:31], s[4:5]
	s_cbranch_execz .LBB217_848
; %bb.847:                              ;   in Loop: Header=BB217_435 Depth=1
	v_mov_b32_e32 v22, 7
	v_and_b32_sdwa v22, v42, v22 dst_sel:DWORD dst_unused:UNUSED_PAD src0_sel:BYTE_3 src1_sel:DWORD
	v_ffbh_u32_e32 v29, v22
	v_min_u32_e32 v29, 32, v29
	v_subrev_u32_e32 v30, 28, v29
	v_lshlrev_b64 v[30:31], v30, v[22:23]
	v_lshrrev_b32_e32 v28, 3, v43
	v_cmp_gt_u32_e64 s[4:5], 8, v43
	v_sub_u32_e32 v29, 29, v29
	v_and_b32_e32 v30, 7, v30
	v_cndmask_b32_e64 v28, v28, v29, s[4:5]
	v_cndmask_b32_e64 v22, v22, v30, s[4:5]
	v_mov_b32_e32 v29, 24
	v_bfrev_b32_e32 v30, 60
	v_lshlrev_b32_sdwa v29, v29, v42 dst_sel:DWORD dst_unused:UNUSED_PAD src0_sel:DWORD src1_sel:BYTE_3
	v_lshl_add_u32 v28, v28, 23, v30
	v_and_or_b32 v28, v29, s13, v28
	v_lshlrev_b32_e32 v22, 20, v22
	v_accvgpr_read_b32 v29, a15
	v_or_b32_e32 v31, v28, v22
	v_accvgpr_read_b32 v28, a41
	v_mov_b32_e32 v30, v23
.LBB217_848:                            ;   in Loop: Header=BB217_435 Depth=1
	s_or_b64 exec, exec, s[30:31]
.LBB217_849:                            ;   in Loop: Header=BB217_435 Depth=1
	s_or_b64 exec, exec, s[28:29]
.LBB217_850:                            ;   in Loop: Header=BB217_435 Depth=1
	s_or_b64 exec, exec, s[26:27]
	v_or_b32_e32 v43, v45, v47
	v_or_b32_e32 v42, v44, v46
	;; [unrolled: 1-line block ×4, first 2 shown]
	v_pk_mul_f32 v[42:43], v[26:27], v[42:43]
	v_pk_mul_f32 v[26:27], v[26:27], v[18:19]
	s_and_saveexec_b64 s[4:5], vcc
	s_cbranch_execz .LBB217_433
; %bb.851:                              ;   in Loop: Header=BB217_435 Depth=1
	v_cmp_lt_i32_e32 vcc, v28, v62
	v_accvgpr_read_b32 v18, a50
	v_cndmask_b32_e32 v42, 0, v42, vcc
	v_cmp_lt_i32_e32 vcc, v18, v62
	v_accvgpr_read_b32 v18, a45
	v_cndmask_b32_e32 v43, 0, v43, vcc
	;; [unrolled: 3-line block ×3, first 2 shown]
	v_cmp_lt_i32_e32 vcc, v18, v62
	v_cndmask_b32_e32 v27, 0, v27, vcc
	s_branch .LBB217_433
.LBB217_852:
	s_or_b64 exec, exec, s[20:21]
	buffer_load_dword v27, off, s[0:3], s32 offset:196 ; 4-byte Folded Reload
	v_accvgpr_read_b32 v26, a17
	v_accvgpr_read_b32 v25, a51
.LBB217_853:
	s_or_b64 exec, exec, s[10:11]
	ds_bpermute_b32 v0, v25, v6
	ds_bpermute_b32 v1, v25, v7
	;; [unrolled: 1-line block ×6, first 2 shown]
	s_waitcnt lgkmcnt(0)
	v_pk_add_f32 v[0:1], v[6:7], v[0:1]
	s_waitcnt vmcnt(0)
	ds_bpermute_b32 v4, v27, v0
	ds_bpermute_b32 v5, v27, v1
	;; [unrolled: 1-line block ×4, first 2 shown]
	v_pk_add_f32 v[2:3], v[8:9], v[2:3]
	ds_bpermute_b32 v8, v27, v2
	s_waitcnt lgkmcnt(3)
	v_pk_add_f32 v[0:1], v[0:1], v[4:5]
	ds_bpermute_b32 v9, v27, v3
	s_waitcnt lgkmcnt(2)
	v_pk_add_f32 v[4:5], v[20:21], v[6:7]
	ds_bpermute_b32 v6, v27, v4
	ds_bpermute_b32 v7, v27, v5
	s_waitcnt lgkmcnt(0)
	v_pk_add_f32 v[2:3], v[2:3], v[8:9]
	ds_bpermute_b32 v8, v25, v16
	ds_bpermute_b32 v9, v25, v17
	v_pk_add_f32 v[4:5], v[4:5], v[6:7]
	v_pk_add_f32 v[6:7], v[12:13], v[10:11]
	ds_bpermute_b32 v12, v25, v18
	ds_bpermute_b32 v13, v25, v19
	s_waitcnt lgkmcnt(2)
	v_pk_add_f32 v[8:9], v[16:17], v[8:9]
	ds_bpermute_b32 v10, v27, v6
	ds_bpermute_b32 v11, v27, v7
	;; [unrolled: 1-line block ×3, first 2 shown]
	s_waitcnt lgkmcnt(3)
	v_pk_add_f32 v[18:19], v[18:19], v[12:13]
	ds_bpermute_b32 v15, v27, v9
	ds_bpermute_b32 v20, v27, v18
	;; [unrolled: 1-line block ×3, first 2 shown]
	s_waitcnt lgkmcnt(4)
	v_pk_add_f32 v[12:13], v[6:7], v[10:11]
	s_barrier
	s_waitcnt lgkmcnt(2)
	v_pk_add_f32 v[10:11], v[8:9], v[14:15]
	s_waitcnt lgkmcnt(0)
	v_pk_add_f32 v[8:9], v[18:19], v[20:21]
	buffer_load_dword v18, off, s[0:3], s32 offset:292 ; 4-byte Folded Reload
	ds_bpermute_b32 v16, v25, v48
	ds_bpermute_b32 v17, v25, v49
	;; [unrolled: 1-line block ×4, first 2 shown]
	s_waitcnt lgkmcnt(2)
	v_pk_add_f32 v[16:17], v[48:49], v[16:17]
	ds_bpermute_b32 v22, v27, v16
	ds_bpermute_b32 v23, v27, v17
	s_waitcnt lgkmcnt(2)
	v_pk_add_f32 v[14:15], v[38:39], v[24:25]
	s_waitcnt lgkmcnt(0)
	v_pk_add_f32 v[6:7], v[16:17], v[22:23]
	ds_bpermute_b32 v16, v27, v14
	ds_bpermute_b32 v17, v27, v15
	s_waitcnt vmcnt(0)
	v_and_b32_e32 v18, 0x3c3, v18
	v_cmp_ne_u32_e32 vcc, 64, v18
	s_and_saveexec_b64 s[4:5], vcc
	s_xor_b64 s[4:5], exec, s[4:5]
; %bb.854:
                                        ; implicit-def: $vgpr26
; %bb.855:
	s_or_saveexec_b64 s[4:5], s[4:5]
	s_waitcnt lgkmcnt(0)
	v_pk_add_f32 v[14:15], v[14:15], v[16:17]
	buffer_load_dword v17, off, s[0:3], s32 offset:324 ; 4-byte Folded Reload
	s_xor_b64 exec, exec, s[4:5]
	s_cbranch_execz .LBB217_857
; %bb.856:
	s_load_dword s7, s[8:9], 0x0
	s_waitcnt lgkmcnt(0)
	v_add_u32_e32 v16, s7, v26
	ds_write2_b32 v16, v0, v1 offset1:16
	ds_write2_b32 v16, v2, v3 offset0:32 offset1:48
	ds_write2_b32 v16, v4, v5 offset0:64 offset1:80
	;; [unrolled: 1-line block ×7, first 2 shown]
.LBB217_857:
	s_or_b64 exec, exec, s[4:5]
	s_waitcnt lgkmcnt(0)
	s_barrier
	buffer_load_dword v16, off, s[0:3], s32 offset:292 ; 4-byte Folded Reload
	s_waitcnt vmcnt(0)
	v_cmp_gt_u32_e32 vcc, 64, v16
	s_and_saveexec_b64 s[4:5], vcc
	s_cbranch_execz .LBB217_876
; %bb.858:
	v_accvgpr_read_b32 v16, a4
	v_cmp_eq_u32_e32 vcc, 0, v16
	s_and_saveexec_b64 s[10:11], vcc
	s_cbranch_execnz .LBB217_879
; %bb.859:
	s_or_b64 exec, exec, s[10:11]
	s_and_saveexec_b64 s[10:11], vcc
	s_cbranch_execnz .LBB217_880
.LBB217_860:
	s_or_b64 exec, exec, s[10:11]
	s_and_saveexec_b64 s[10:11], vcc
	s_cbranch_execnz .LBB217_881
.LBB217_861:
	s_or_b64 exec, exec, s[10:11]
	s_and_saveexec_b64 s[10:11], vcc
	s_cbranch_execnz .LBB217_882
.LBB217_862:
	s_or_b64 exec, exec, s[10:11]
	s_and_saveexec_b64 s[10:11], vcc
	s_cbranch_execnz .LBB217_883
.LBB217_863:
	s_or_b64 exec, exec, s[10:11]
	s_and_saveexec_b64 s[10:11], vcc
	s_cbranch_execnz .LBB217_884
.LBB217_864:
	s_or_b64 exec, exec, s[10:11]
	s_and_saveexec_b64 s[10:11], vcc
	s_cbranch_execnz .LBB217_885
.LBB217_865:
	s_or_b64 exec, exec, s[10:11]
	s_and_saveexec_b64 s[10:11], vcc
	s_cbranch_execnz .LBB217_886
.LBB217_866:
	s_or_b64 exec, exec, s[10:11]
	s_and_saveexec_b64 s[10:11], vcc
	s_cbranch_execnz .LBB217_887
.LBB217_867:
	s_or_b64 exec, exec, s[10:11]
	s_and_saveexec_b64 s[10:11], vcc
	s_cbranch_execnz .LBB217_888
.LBB217_868:
	s_or_b64 exec, exec, s[10:11]
	s_and_saveexec_b64 s[10:11], vcc
	s_cbranch_execnz .LBB217_889
.LBB217_869:
	s_or_b64 exec, exec, s[10:11]
	s_and_saveexec_b64 s[10:11], vcc
	s_cbranch_execnz .LBB217_890
.LBB217_870:
	s_or_b64 exec, exec, s[10:11]
	s_and_saveexec_b64 s[10:11], vcc
	s_cbranch_execnz .LBB217_891
.LBB217_871:
	s_or_b64 exec, exec, s[10:11]
	s_and_saveexec_b64 s[10:11], vcc
	s_cbranch_execnz .LBB217_892
.LBB217_872:
	s_or_b64 exec, exec, s[10:11]
	s_and_saveexec_b64 s[10:11], vcc
	s_cbranch_execnz .LBB217_893
.LBB217_873:
	s_or_b64 exec, exec, s[10:11]
	s_and_saveexec_b64 s[10:11], vcc
	s_cbranch_execz .LBB217_875
.LBB217_874:
	s_load_dword s7, s[8:9], 0x0
	s_waitcnt lgkmcnt(0)
	v_lshl_add_u32 v16, v17, 2, s7
	ds_read_b32 v16, v16 offset:960
	s_waitcnt lgkmcnt(0)
	v_add_f32_e32 v15, v16, v15
.LBB217_875:
	s_or_b64 exec, exec, s[10:11]
.LBB217_876:
	s_or_b64 exec, exec, s[4:5]
	v_cmp_eq_u32_e32 vcc, 0, v18
	s_barrier
	s_and_b64 exec, exec, vcc
	s_cbranch_execz .LBB217_878
; %bb.877:
	buffer_load_dword v17, off, s[0:3], s32 offset:328 ; 4-byte Folded Reload
	buffer_load_dword v18, off, s[0:3], s32 offset:332 ; 4-byte Folded Reload
	s_lshl_b32 s4, s6, 8
	s_mul_i32 s6, s18, s19
	s_lshl_b32 s8, s14, 8
	s_ashr_i32 s5, s4, 31
	s_ashr_i32 s7, s6, 31
	;; [unrolled: 1-line block ×3, first 2 shown]
	s_lshl_b64 s[4:5], s[4:5], 2
	s_lshl_b64 s[6:7], s[6:7], 2
	s_lshl_b64 s[8:9], s[8:9], 2
	s_add_u32 s6, s8, s6
	s_addc_u32 s7, s9, s7
	s_add_u32 s4, s6, s4
	s_addc_u32 s5, s7, s5
	v_mov_b32_e32 v16, s5
	s_waitcnt vmcnt(1)
	v_add_co_u32_e32 v17, vcc, s4, v17
	s_waitcnt vmcnt(0)
	v_addc_co_u32_e32 v18, vcc, v16, v18, vcc
	buffer_load_dword v16, off, s[0:3], s32 offset:344 ; 4-byte Folded Reload
	s_waitcnt vmcnt(0)
	v_add_co_u32_e32 v16, vcc, v17, v16
	v_addc_co_u32_e32 v17, vcc, 0, v18, vcc
	flat_store_dword v[16:17], v0
	flat_store_dword v[16:17], v1 offset:64
	flat_store_dword v[16:17], v2 offset:128
	;; [unrolled: 1-line block ×15, first 2 shown]
.LBB217_878:
	s_or_b64 exec, exec, s[16:17]
	buffer_load_dword a63, off, s[0:3], s32 offset:8 ; 4-byte Folded Reload
	buffer_load_dword a62, off, s[0:3], s32 offset:12 ; 4-byte Folded Reload
	;; [unrolled: 1-line block ×47, first 2 shown]
	v_readlane_b32 s30, v63, 7
	v_readlane_b32 s31, v63, 8
	;; [unrolled: 1-line block ×9, first 2 shown]
	s_or_saveexec_b64 s[4:5], -1
	buffer_load_dword v63, off, s[0:3], s32 offset:404 ; 4-byte Folded Reload
	s_mov_b64 exec, s[4:5]
	s_waitcnt vmcnt(0) lgkmcnt(0)
	s_setpc_b64 s[30:31]
.LBB217_879:
	s_load_dword s7, s[8:9], 0x0
	s_waitcnt lgkmcnt(0)
	v_lshl_add_u32 v16, v17, 2, s7
	ds_read_b32 v16, v16
	s_waitcnt lgkmcnt(0)
	v_add_f32_e32 v0, v16, v0
	s_or_b64 exec, exec, s[10:11]
	s_and_saveexec_b64 s[10:11], vcc
	s_cbranch_execz .LBB217_860
.LBB217_880:
	s_load_dword s7, s[8:9], 0x0
	s_waitcnt lgkmcnt(0)
	v_lshl_add_u32 v16, v17, 2, s7
	ds_read_b32 v16, v16 offset:64
	s_waitcnt lgkmcnt(0)
	v_add_f32_e32 v1, v16, v1
	s_or_b64 exec, exec, s[10:11]
	s_and_saveexec_b64 s[10:11], vcc
	s_cbranch_execz .LBB217_861
.LBB217_881:
	s_load_dword s7, s[8:9], 0x0
	s_waitcnt lgkmcnt(0)
	v_lshl_add_u32 v16, v17, 2, s7
	ds_read_b32 v16, v16 offset:128
	s_waitcnt lgkmcnt(0)
	v_add_f32_e32 v2, v16, v2
	s_or_b64 exec, exec, s[10:11]
	s_and_saveexec_b64 s[10:11], vcc
	s_cbranch_execz .LBB217_862
.LBB217_882:
	s_load_dword s7, s[8:9], 0x0
	s_waitcnt lgkmcnt(0)
	v_lshl_add_u32 v16, v17, 2, s7
	ds_read_b32 v16, v16 offset:192
	s_waitcnt lgkmcnt(0)
	v_add_f32_e32 v3, v16, v3
	s_or_b64 exec, exec, s[10:11]
	s_and_saveexec_b64 s[10:11], vcc
	s_cbranch_execz .LBB217_863
.LBB217_883:
	s_load_dword s7, s[8:9], 0x0
	s_waitcnt lgkmcnt(0)
	v_lshl_add_u32 v16, v17, 2, s7
	ds_read_b32 v16, v16 offset:256
	s_waitcnt lgkmcnt(0)
	v_add_f32_e32 v4, v16, v4
	s_or_b64 exec, exec, s[10:11]
	s_and_saveexec_b64 s[10:11], vcc
	s_cbranch_execz .LBB217_864
.LBB217_884:
	s_load_dword s7, s[8:9], 0x0
	s_waitcnt lgkmcnt(0)
	v_lshl_add_u32 v16, v17, 2, s7
	ds_read_b32 v16, v16 offset:320
	s_waitcnt lgkmcnt(0)
	v_add_f32_e32 v5, v16, v5
	s_or_b64 exec, exec, s[10:11]
	s_and_saveexec_b64 s[10:11], vcc
	s_cbranch_execz .LBB217_865
.LBB217_885:
	s_load_dword s7, s[8:9], 0x0
	s_waitcnt lgkmcnt(0)
	v_lshl_add_u32 v16, v17, 2, s7
	ds_read_b32 v16, v16 offset:384
	s_waitcnt lgkmcnt(0)
	v_add_f32_e32 v12, v16, v12
	s_or_b64 exec, exec, s[10:11]
	s_and_saveexec_b64 s[10:11], vcc
	s_cbranch_execz .LBB217_866
.LBB217_886:
	s_load_dword s7, s[8:9], 0x0
	s_waitcnt lgkmcnt(0)
	v_lshl_add_u32 v16, v17, 2, s7
	ds_read_b32 v16, v16 offset:448
	s_waitcnt lgkmcnt(0)
	v_add_f32_e32 v13, v16, v13
	s_or_b64 exec, exec, s[10:11]
	s_and_saveexec_b64 s[10:11], vcc
	s_cbranch_execz .LBB217_867
.LBB217_887:
	s_load_dword s7, s[8:9], 0x0
	s_waitcnt lgkmcnt(0)
	v_lshl_add_u32 v16, v17, 2, s7
	ds_read_b32 v16, v16 offset:512
	s_waitcnt lgkmcnt(0)
	v_add_f32_e32 v10, v16, v10
	s_or_b64 exec, exec, s[10:11]
	s_and_saveexec_b64 s[10:11], vcc
	s_cbranch_execz .LBB217_868
.LBB217_888:
	s_load_dword s7, s[8:9], 0x0
	s_waitcnt lgkmcnt(0)
	v_lshl_add_u32 v16, v17, 2, s7
	ds_read_b32 v16, v16 offset:576
	s_waitcnt lgkmcnt(0)
	v_add_f32_e32 v11, v16, v11
	s_or_b64 exec, exec, s[10:11]
	s_and_saveexec_b64 s[10:11], vcc
	s_cbranch_execz .LBB217_869
.LBB217_889:
	s_load_dword s7, s[8:9], 0x0
	s_waitcnt lgkmcnt(0)
	v_lshl_add_u32 v16, v17, 2, s7
	ds_read_b32 v16, v16 offset:640
	s_waitcnt lgkmcnt(0)
	v_add_f32_e32 v8, v16, v8
	s_or_b64 exec, exec, s[10:11]
	s_and_saveexec_b64 s[10:11], vcc
	s_cbranch_execz .LBB217_870
.LBB217_890:
	s_load_dword s7, s[8:9], 0x0
	s_waitcnt lgkmcnt(0)
	v_lshl_add_u32 v16, v17, 2, s7
	ds_read_b32 v16, v16 offset:704
	s_waitcnt lgkmcnt(0)
	v_add_f32_e32 v9, v16, v9
	s_or_b64 exec, exec, s[10:11]
	s_and_saveexec_b64 s[10:11], vcc
	s_cbranch_execz .LBB217_871
.LBB217_891:
	s_load_dword s7, s[8:9], 0x0
	s_waitcnt lgkmcnt(0)
	v_lshl_add_u32 v16, v17, 2, s7
	ds_read_b32 v16, v16 offset:768
	s_waitcnt lgkmcnt(0)
	v_add_f32_e32 v6, v16, v6
	s_or_b64 exec, exec, s[10:11]
	s_and_saveexec_b64 s[10:11], vcc
	s_cbranch_execz .LBB217_872
.LBB217_892:
	s_load_dword s7, s[8:9], 0x0
	s_waitcnt lgkmcnt(0)
	v_lshl_add_u32 v16, v17, 2, s7
	ds_read_b32 v16, v16 offset:832
	s_waitcnt lgkmcnt(0)
	v_add_f32_e32 v7, v16, v7
	s_or_b64 exec, exec, s[10:11]
	s_and_saveexec_b64 s[10:11], vcc
	s_cbranch_execz .LBB217_873
.LBB217_893:
	s_load_dword s7, s[8:9], 0x0
	s_waitcnt lgkmcnt(0)
	v_lshl_add_u32 v16, v17, 2, s7
	ds_read_b32 v16, v16 offset:896
	s_waitcnt lgkmcnt(0)
	v_add_f32_e32 v14, v16, v14
	s_or_b64 exec, exec, s[10:11]
	s_and_saveexec_b64 s[10:11], vcc
	s_cbranch_execnz .LBB217_874
	s_branch .LBB217_875
.Lfunc_end217:
	.size	_ZN4vllm22paged_attention_kernelIfhLi256ELi16ELi128ELNS_18Fp8KVCacheDataTypeE1ELb1ELi512EEEvPfS2_PT_PKS3_PKT0_S9_ifPKiSB_iPKfiiiSD_SD_iiiii, .Lfunc_end217-_ZN4vllm22paged_attention_kernelIfhLi256ELi16ELi128ELNS_18Fp8KVCacheDataTypeE1ELb1ELi512EEEvPfS2_PT_PKS3_PKT0_S9_ifPKiSB_iPKfiiiSD_SD_iiiii
                                        ; -- End function
	.section	.AMDGPU.csdata,"",@progbits
; Function info:
; codeLenInByte = 38128
; NumSgprs: 45
; NumVgprs: 64
; NumAgprs: 64
; TotalNumVgprs: 128
; ScratchSize: 412
; MemoryBound: 0
	.section	.text._ZN4vllm25paged_attention_v2_kernelIfhLi256ELi16ELi128ELNS_18Fp8KVCacheDataTypeE1ELb1ELi512EEEvPfS2_PT_PKS3_PKT0_S9_ifPKiSB_iPKfiiiSD_SD_iiiii,"axG",@progbits,_ZN4vllm25paged_attention_v2_kernelIfhLi256ELi16ELi128ELNS_18Fp8KVCacheDataTypeE1ELb1ELi512EEEvPfS2_PT_PKS3_PKT0_S9_ifPKiSB_iPKfiiiSD_SD_iiiii,comdat
	.protected	_ZN4vllm25paged_attention_v2_kernelIfhLi256ELi16ELi128ELNS_18Fp8KVCacheDataTypeE1ELb1ELi512EEEvPfS2_PT_PKS3_PKT0_S9_ifPKiSB_iPKfiiiSD_SD_iiiii ; -- Begin function _ZN4vllm25paged_attention_v2_kernelIfhLi256ELi16ELi128ELNS_18Fp8KVCacheDataTypeE1ELb1ELi512EEEvPfS2_PT_PKS3_PKT0_S9_ifPKiSB_iPKfiiiSD_SD_iiiii
	.globl	_ZN4vllm25paged_attention_v2_kernelIfhLi256ELi16ELi128ELNS_18Fp8KVCacheDataTypeE1ELb1ELi512EEEvPfS2_PT_PKS3_PKT0_S9_ifPKiSB_iPKfiiiSD_SD_iiiii
	.p2align	8
	.type	_ZN4vllm25paged_attention_v2_kernelIfhLi256ELi16ELi128ELNS_18Fp8KVCacheDataTypeE1ELb1ELi512EEEvPfS2_PT_PKS3_PKT0_S9_ifPKiSB_iPKfiiiSD_SD_iiiii,@function
_ZN4vllm25paged_attention_v2_kernelIfhLi256ELi16ELi128ELNS_18Fp8KVCacheDataTypeE1ELb1ELi512EEEvPfS2_PT_PKS3_PKT0_S9_ifPKiSB_iPKfiiiSD_SD_iiiii: ; @_ZN4vllm25paged_attention_v2_kernelIfhLi256ELi16ELi128ELNS_18Fp8KVCacheDataTypeE1ELb1ELi512EEEvPfS2_PT_PKS3_PKT0_S9_ifPKiSB_iPKfiiiSD_SD_iiiii
; %bb.0:
	s_add_u32 flat_scratch_lo, s6, s11
	s_addc_u32 flat_scratch_hi, s7, 0
	s_add_u32 s0, s0, s11
	s_mov_b32 s12, s8
	s_load_dwordx8 s[24:31], s[4:5], 0x0
	s_load_dwordx8 s[16:23], s[4:5], 0x20
	s_load_dwordx2 s[6:7], s[4:5], 0x40
	s_load_dwordx4 s[44:47], s[4:5], 0x78
	s_load_dwordx2 s[34:35], s[4:5], 0x50
	s_load_dword s11, s[4:5], 0x48
	s_load_dword s8, s[4:5], 0x88
	s_load_dwordx8 s[36:43], s[4:5], 0x58
	s_mov_b32 s32, 0
	s_addc_u32 s1, s1, 0
	s_waitcnt lgkmcnt(0)
	v_mov_b32_e32 v1, s47
	buffer_store_dword v1, off, s[0:3], s32
	v_mov_b32_e32 v1, s8
	s_add_u32 s8, s4, 0x90
	s_mov_b32 s13, s9
	buffer_store_dword v1, off, s[0:3], s32 offset:4
	s_addc_u32 s9, s5, 0
	s_mov_b32 s14, s10
	s_mov_b32 s15, 37
	v_mov_b32_e32 v31, v0
	v_mov_b32_e32 v0, s24
	;; [unrolled: 1-line block ×32, first 2 shown]
	s_getpc_b64 s[4:5]
	s_add_u32 s4, s4, _ZN4vllm22paged_attention_kernelIfhLi256ELi16ELi128ELNS_18Fp8KVCacheDataTypeE1ELb1ELi512EEEvPfS2_PT_PKS3_PKT0_S9_ifPKiSB_iPKfiiiSD_SD_iiiii@rel32@lo+4
	s_addc_u32 s5, s5, _ZN4vllm22paged_attention_kernelIfhLi256ELi16ELi128ELNS_18Fp8KVCacheDataTypeE1ELb1ELi512EEEvPfS2_PT_PKS3_PKT0_S9_ifPKiSB_iPKfiiiSD_SD_iiiii@rel32@hi+12
	s_swappc_b64 s[30:31], s[4:5]
	s_endpgm
	.section	.rodata,"a",@progbits
	.p2align	6, 0x0
	.amdhsa_kernel _ZN4vllm25paged_attention_v2_kernelIfhLi256ELi16ELi128ELNS_18Fp8KVCacheDataTypeE1ELb1ELi512EEEvPfS2_PT_PKS3_PKT0_S9_ifPKiSB_iPKfiiiSD_SD_iiiii
		.amdhsa_group_segment_fixed_size 1040
		.amdhsa_private_segment_fixed_size 412
		.amdhsa_kernarg_size 400
		.amdhsa_user_sgpr_count 8
		.amdhsa_user_sgpr_private_segment_buffer 1
		.amdhsa_user_sgpr_dispatch_ptr 0
		.amdhsa_user_sgpr_queue_ptr 0
		.amdhsa_user_sgpr_kernarg_segment_ptr 1
		.amdhsa_user_sgpr_dispatch_id 0
		.amdhsa_user_sgpr_flat_scratch_init 1
		.amdhsa_user_sgpr_kernarg_preload_length 0
		.amdhsa_user_sgpr_kernarg_preload_offset 0
		.amdhsa_user_sgpr_private_segment_size 0
		.amdhsa_uses_dynamic_stack 0
		.amdhsa_system_sgpr_private_segment_wavefront_offset 1
		.amdhsa_system_sgpr_workgroup_id_x 1
		.amdhsa_system_sgpr_workgroup_id_y 1
		.amdhsa_system_sgpr_workgroup_id_z 1
		.amdhsa_system_sgpr_workgroup_info 0
		.amdhsa_system_vgpr_workitem_id 0
		.amdhsa_next_free_vgpr 128
		.amdhsa_next_free_sgpr 48
		.amdhsa_accum_offset 64
		.amdhsa_reserve_vcc 1
		.amdhsa_reserve_flat_scratch 1
		.amdhsa_float_round_mode_32 0
		.amdhsa_float_round_mode_16_64 0
		.amdhsa_float_denorm_mode_32 3
		.amdhsa_float_denorm_mode_16_64 3
		.amdhsa_dx10_clamp 1
		.amdhsa_ieee_mode 1
		.amdhsa_fp16_overflow 0
		.amdhsa_tg_split 0
		.amdhsa_exception_fp_ieee_invalid_op 0
		.amdhsa_exception_fp_denorm_src 0
		.amdhsa_exception_fp_ieee_div_zero 0
		.amdhsa_exception_fp_ieee_overflow 0
		.amdhsa_exception_fp_ieee_underflow 0
		.amdhsa_exception_fp_ieee_inexact 0
		.amdhsa_exception_int_div_zero 0
	.end_amdhsa_kernel
	.section	.text._ZN4vllm25paged_attention_v2_kernelIfhLi256ELi16ELi128ELNS_18Fp8KVCacheDataTypeE1ELb1ELi512EEEvPfS2_PT_PKS3_PKT0_S9_ifPKiSB_iPKfiiiSD_SD_iiiii,"axG",@progbits,_ZN4vllm25paged_attention_v2_kernelIfhLi256ELi16ELi128ELNS_18Fp8KVCacheDataTypeE1ELb1ELi512EEEvPfS2_PT_PKS3_PKT0_S9_ifPKiSB_iPKfiiiSD_SD_iiiii,comdat
.Lfunc_end218:
	.size	_ZN4vllm25paged_attention_v2_kernelIfhLi256ELi16ELi128ELNS_18Fp8KVCacheDataTypeE1ELb1ELi512EEEvPfS2_PT_PKS3_PKT0_S9_ifPKiSB_iPKfiiiSD_SD_iiiii, .Lfunc_end218-_ZN4vllm25paged_attention_v2_kernelIfhLi256ELi16ELi128ELNS_18Fp8KVCacheDataTypeE1ELb1ELi512EEEvPfS2_PT_PKS3_PKT0_S9_ifPKiSB_iPKfiiiSD_SD_iiiii
                                        ; -- End function
	.section	.AMDGPU.csdata,"",@progbits
; Kernel info:
; codeLenInByte = 296
; NumSgprs: 54
; NumVgprs: 64
; NumAgprs: 64
; TotalNumVgprs: 128
; ScratchSize: 412
; MemoryBound: 0
; FloatMode: 240
; IeeeMode: 1
; LDSByteSize: 1040 bytes/workgroup (compile time only)
; SGPRBlocks: 6
; VGPRBlocks: 15
; NumSGPRsForWavesPerEU: 54
; NumVGPRsForWavesPerEU: 128
; AccumOffset: 64
; Occupancy: 4
; WaveLimiterHint : 1
; COMPUTE_PGM_RSRC2:SCRATCH_EN: 1
; COMPUTE_PGM_RSRC2:USER_SGPR: 8
; COMPUTE_PGM_RSRC2:TRAP_HANDLER: 0
; COMPUTE_PGM_RSRC2:TGID_X_EN: 1
; COMPUTE_PGM_RSRC2:TGID_Y_EN: 1
; COMPUTE_PGM_RSRC2:TGID_Z_EN: 1
; COMPUTE_PGM_RSRC2:TIDIG_COMP_CNT: 0
; COMPUTE_PGM_RSRC3_GFX90A:ACCUM_OFFSET: 15
; COMPUTE_PGM_RSRC3_GFX90A:TG_SPLIT: 0
	.section	.text._ZN4vllm25paged_attention_v2_kernelIfhLi32ELi16ELi128ELNS_18Fp8KVCacheDataTypeE1ELb0ELi512EEEvPfS2_PT_PKS3_PKT0_S9_ifPKiSB_iPKfiiiSD_SD_iiiii,"axG",@progbits,_ZN4vllm25paged_attention_v2_kernelIfhLi32ELi16ELi128ELNS_18Fp8KVCacheDataTypeE1ELb0ELi512EEEvPfS2_PT_PKS3_PKT0_S9_ifPKiSB_iPKfiiiSD_SD_iiiii,comdat
	.protected	_ZN4vllm25paged_attention_v2_kernelIfhLi32ELi16ELi128ELNS_18Fp8KVCacheDataTypeE1ELb0ELi512EEEvPfS2_PT_PKS3_PKT0_S9_ifPKiSB_iPKfiiiSD_SD_iiiii ; -- Begin function _ZN4vllm25paged_attention_v2_kernelIfhLi32ELi16ELi128ELNS_18Fp8KVCacheDataTypeE1ELb0ELi512EEEvPfS2_PT_PKS3_PKT0_S9_ifPKiSB_iPKfiiiSD_SD_iiiii
	.globl	_ZN4vllm25paged_attention_v2_kernelIfhLi32ELi16ELi128ELNS_18Fp8KVCacheDataTypeE1ELb0ELi512EEEvPfS2_PT_PKS3_PKT0_S9_ifPKiSB_iPKfiiiSD_SD_iiiii
	.p2align	8
	.type	_ZN4vllm25paged_attention_v2_kernelIfhLi32ELi16ELi128ELNS_18Fp8KVCacheDataTypeE1ELb0ELi512EEEvPfS2_PT_PKS3_PKT0_S9_ifPKiSB_iPKfiiiSD_SD_iiiii,@function
_ZN4vllm25paged_attention_v2_kernelIfhLi32ELi16ELi128ELNS_18Fp8KVCacheDataTypeE1ELb0ELi512EEEvPfS2_PT_PKS3_PKT0_S9_ifPKiSB_iPKfiiiSD_SD_iiiii: ; @_ZN4vllm25paged_attention_v2_kernelIfhLi32ELi16ELi128ELNS_18Fp8KVCacheDataTypeE1ELb0ELi512EEEvPfS2_PT_PKS3_PKT0_S9_ifPKiSB_iPKfiiiSD_SD_iiiii
; %bb.0:
	s_load_dwordx2 s[0:1], s[4:5], 0x40
	s_mov_b32 s28, s7
	s_ashr_i32 s29, s7, 31
	s_lshl_b64 s[2:3], s[28:29], 2
	s_waitcnt lgkmcnt(0)
	s_add_u32 s0, s0, s2
	s_addc_u32 s1, s1, s3
	s_load_dword s29, s[0:1], 0x0
	s_lshl_b32 s44, s8, 9
	s_waitcnt lgkmcnt(0)
	s_cmp_ge_i32 s44, s29
	s_cbranch_scc1 .LBB219_154
; %bb.1:
	s_load_dword s9, s[4:5], 0x90
	s_load_dwordx2 s[10:11], s[4:5], 0x30
	s_waitcnt lgkmcnt(0)
	s_abs_i32 s2, s9
	s_abs_i32 s0, s10
	v_cvt_f32_u32_e32 v1, s0
	s_sub_i32 s3, 0, s0
	s_xor_b32 s1, s9, s10
	s_ashr_i32 s1, s1, 31
	v_rcp_iflag_f32_e32 v1, v1
	v_mul_f32_e32 v1, 0x4f7ffffe, v1
	v_cvt_u32_f32_e32 v1, v1
	v_readfirstlane_b32 s7, v1
	s_mul_i32 s3, s3, s7
	s_mul_hi_u32 s3, s7, s3
	s_add_i32 s7, s7, s3
	s_mul_hi_u32 s3, s2, s7
	s_mul_i32 s7, s3, s0
	s_sub_i32 s2, s2, s7
	s_add_i32 s10, s3, 1
	s_sub_i32 s7, s2, s0
	s_cmp_ge_u32 s2, s0
	s_cselect_b32 s3, s10, s3
	s_cselect_b32 s2, s7, s2
	s_add_i32 s7, s3, 1
	s_cmp_ge_u32 s2, s0
	s_cselect_b32 s0, s7, s3
	s_xor_b32 s0, s0, s1
	s_sub_i32 s12, s0, s1
	s_abs_i32 s2, s12
	v_cvt_f32_u32_e32 v1, s2
	s_load_dwordx2 s[0:1], s[4:5], 0x50
	s_sub_i32 s7, 0, s2
	s_abs_i32 s3, s6
	v_rcp_iflag_f32_e32 v1, v1
	s_mov_b32 s10, 0
	v_mul_f32_e32 v1, 0x4f7ffffe, v1
	v_cvt_u32_f32_e32 v1, v1
	v_readfirstlane_b32 s13, v1
	s_mul_i32 s7, s7, s13
	s_mul_hi_u32 s7, s13, s7
	s_add_i32 s13, s13, s7
	s_waitcnt lgkmcnt(0)
	s_cmp_eq_u64 s[0:1], 0
	s_mul_hi_u32 s16, s3, s13
	s_cbranch_scc1 .LBB219_3
; %bb.2:
	s_ashr_i32 s7, s6, 31
	s_lshl_b64 s[14:15], s[6:7], 2
	s_add_u32 s0, s0, s14
	s_addc_u32 s1, s1, s15
	s_load_dword s10, s[0:1], 0x0
.LBB219_3:
	s_ashr_i32 s18, s12, 31
	s_load_dwordx4 s[12:15], s[4:5], 0x58
	v_lshrrev_b32_e32 v11, 2, v0
	s_ashr_i32 s17, s6, 31
	v_and_b32_e32 v10, 3, v0
	s_lshl_b32 s24, s6, 5
	v_cmp_gt_u32_e32 vcc, 32, v0
	v_lshlrev_b32_e32 v21, 2, v0
	v_lshlrev_b32_e32 v1, 2, v11
	s_and_saveexec_b64 s[0:1], vcc
	s_cbranch_execz .LBB219_5
; %bb.4:
	s_load_dwordx2 s[20:21], s[4:5], 0x18
	s_waitcnt lgkmcnt(0)
	s_mul_i32 s22, s28, s12
	s_ashr_i32 s23, s22, 31
	s_lshl_b64 s[22:23], s[22:23], 2
	v_lshl_add_u32 v3, v10, 5, v1
	s_add_u32 s7, s20, s22
	s_addc_u32 s12, s21, s23
	s_ashr_i32 s25, s24, 31
	s_lshl_b64 s[20:21], s[24:25], 2
	s_add_u32 s20, s7, s20
	s_addc_u32 s21, s12, s21
	global_load_dword v2, v21, s[20:21]
	s_waitcnt vmcnt(0)
	ds_write_b32 v3, v2
.LBB219_5:
	s_or_b64 exec, exec, s[0:1]
	s_add_i32 s0, s29, 15
	s_ashr_i32 s1, s0, 31
	s_lshr_b32 s1, s1, 28
	s_add_i32 s0, s0, s1
	s_waitcnt lgkmcnt(0)
	s_lshl_b32 s12, s8, 5
	s_mul_i32 s1, s16, s2
	s_ashr_i32 s7, s0, 4
	s_add_i32 s0, s12, 32
	s_sub_i32 s1, s3, s1
	s_min_i32 s33, s0, s7
	s_xor_b32 s0, s17, s18
	s_add_i32 s3, s16, 1
	s_sub_i32 s15, s1, s2
	s_cmp_ge_u32 s1, s2
	s_cselect_b32 s3, s3, s16
	s_cselect_b32 s1, s15, s1
	s_add_i32 s15, s3, 1
	s_cmp_ge_u32 s1, s2
	s_load_dwordx2 s[30:31], s[4:5], 0x38
	s_load_dword s2, s[4:5], 0x48
	v_lshrrev_b32_e32 v22, 6, v0
	s_cselect_b32 s1, s15, s3
	s_xor_b32 s1, s1, s0
	v_or_b32_e32 v12, s12, v22
	s_waitcnt lgkmcnt(0)
	s_mul_i32 s34, s28, s2
	s_sub_i32 s45, s1, s0
	s_ashr_i32 s35, s34, 31
	v_cmp_gt_i32_e64 s[0:1], s33, v12
	v_cmp_le_i32_e32 vcc, s33, v12
	v_mbcnt_lo_u32_b32 v16, -1, 0
	s_barrier
	s_waitcnt lgkmcnt(0)
                                        ; implicit-def: $sgpr15
                                        ; implicit-def: $vgpr23
                                        ; implicit-def: $vgpr24
	s_and_saveexec_b64 s[2:3], vcc
	s_xor_b64 s[2:3], exec, s[2:3]
; %bb.6:
	v_mbcnt_hi_u32_b32 v23, -1, v16
	v_and_b32_e32 v2, 64, v23
	v_add_u32_e32 v24, 64, v2
	s_mov_b32 s15, 0xff7fffff
                                        ; implicit-def: $vgpr16
; %bb.7:
	s_or_saveexec_b64 s[38:39], s[2:3]
	s_load_dwordx4 s[20:23], s[4:5], 0x0
	s_load_dwordx2 s[26:27], s[4:5], 0x10
	s_load_dword s25, s[4:5], 0x98
	s_load_dwordx2 s[36:37], s[4:5], 0x28
	s_load_dwordx4 s[16:19], s[4:5], 0x68
	v_mov_b32_e32 v25, s15
	s_mul_i32 s45, s45, s14
	v_ashrrev_i32_e32 v13, 31, v12
	s_xor_b64 exec, exec, s[38:39]
	s_cbranch_execz .LBB219_61
; %bb.8:
	s_load_dwordx2 s[2:3], s[4:5], 0x20
	s_ashr_i32 s4, s45, 31
	v_bfe_u32 v17, v0, 2, 4
	v_lshlrev_b32_e32 v2, 4, v17
	v_mbcnt_hi_u32_b32 v23, -1, v16
	s_waitcnt lgkmcnt(0)
	s_add_u32 s2, s2, s45
	s_addc_u32 s3, s3, s4
	v_mov_b32_e32 v3, s3
	v_add_co_u32_e32 v14, vcc, s2, v2
	v_and_b32_e32 v16, 64, v23
	v_addc_co_u32_e32 v15, vcc, 0, v3, vcc
	v_add_u32_e32 v24, 64, v16
	v_xor_b32_e32 v16, 2, v23
	v_cmp_lt_i32_e32 vcc, v16, v24
	v_cndmask_b32_e32 v16, v23, v16, vcc
	v_lshlrev_b32_e32 v26, 2, v16
	v_xor_b32_e32 v16, 1, v23
	v_cmp_lt_i32_e32 vcc, v16, v24
	v_cndmask_b32_e32 v16, v23, v16, vcc
	v_lshlrev_b32_e32 v6, 5, v10
	v_lshlrev_b32_e32 v27, 2, v16
	;; [unrolled: 1-line block ×3, first 2 shown]
	ds_read_b128 v[2:5], v6
	ds_read_b128 v[6:9], v6 offset:16
	s_load_dword s47, s[16:17], 0x0
	s_sub_i32 s48, 1, s29
	v_add3_u32 v28, s44, v16, v17
	v_lshlrev_b32_e32 v16, 2, v17
	s_lshl_b64 s[14:15], s[34:35], 2
	v_lshl_or_b32 v16, v22, 6, v16
	s_add_u32 s14, s30, s14
	v_add_u32_e32 v29, 0x90, v16
	v_lshlrev_b64 v[16:17], 2, v[12:13]
	s_addc_u32 s15, s31, s15
	v_mov_b32_e32 v18, s15
	v_add_co_u32_e32 v16, vcc, s14, v16
	s_mov_b32 s46, s13
	v_cmp_eq_u32_e64 s[2:3], 0, v10
	v_cmp_neq_f32_e64 s[4:5], s10, 0
	v_addc_co_u32_e32 v17, vcc, v18, v17, vcc
	s_mov_b64 s[14:15], 0
	v_mov_b32_e32 v25, 0xff7fffff
	s_movk_i32 s49, 0x80
	s_movk_i32 s50, 0x7f
	v_bfrev_b32_e32 v30, 60
	v_mov_b32_e32 v31, v12
	s_branch .LBB219_10
.LBB219_9:                              ;   in Loop: Header=BB219_10 Depth=1
	s_or_b64 exec, exec, s[16:17]
	v_add_u32_e32 v31, 2, v31
	v_cmp_le_i32_e32 vcc, s33, v31
	s_or_b64 s[14:15], vcc, s[14:15]
	v_add_co_u32_e32 v16, vcc, 8, v16
	v_add_u32_e32 v28, 32, v28
	v_add_u32_e32 v29, 0x80, v29
	v_addc_co_u32_e32 v17, vcc, 0, v17, vcc
	s_andn2_b64 exec, exec, s[14:15]
	s_cbranch_execz .LBB219_60
.LBB219_10:                             ; =>This Inner Loop Header: Depth=1
	global_load_dword v18, v[16:17], off
	v_mov_b32_e32 v32, 0
	s_waitcnt vmcnt(0) lgkmcnt(0)
	v_mad_i64_i32 v[18:19], s[16:17], v18, s46, v[14:15]
	v_add_co_u32_e32 v18, vcc, v18, v10
	v_addc_co_u32_e32 v19, vcc, 0, v19, vcc
	global_load_ubyte v33, v[18:19], off
	s_waitcnt vmcnt(0)
	v_cmp_ne_u16_e32 vcc, 0, v33
	s_and_saveexec_b64 s[16:17], vcc
	s_cbranch_execz .LBB219_16
; %bb.11:                               ;   in Loop: Header=BB219_10 Depth=1
	v_cmp_ne_u16_e32 vcc, s49, v33
	v_bfrev_b32_e32 v32, 1
	s_and_saveexec_b64 s[40:41], vcc
	s_cbranch_execz .LBB219_15
; %bb.12:                               ;   in Loop: Header=BB219_10 Depth=1
	v_and_b32_e32 v20, 0xffff, v33
	v_and_b32_e32 v34, 0x7f, v20
	v_cmp_ne_u32_e32 vcc, s50, v34
	v_mov_b32_e32 v32, 0x7f800001
	s_and_saveexec_b64 s[42:43], vcc
	s_cbranch_execz .LBB219_14
; %bb.13:                               ;   in Loop: Header=BB219_10 Depth=1
	v_and_b32_e32 v32, 7, v20
	v_ffbh_u32_e32 v36, v32
	v_min_u32_e32 v38, 32, v36
	v_subrev_u32_e32 v36, 28, v38
	v_lshlrev_b64 v[36:37], v36, v[20:21]
	v_lshrrev_b32_e32 v35, 3, v34
	v_sub_u32_e32 v20, 29, v38
	v_and_b32_e32 v36, 7, v36
	v_cmp_gt_u32_e32 vcc, 8, v34
	v_cndmask_b32_e32 v20, v35, v20, vcc
	v_cndmask_b32_e32 v32, v32, v36, vcc
	v_lshlrev_b32_e32 v33, 24, v33
	v_lshlrev_b32_e32 v32, 20, v32
	v_and_b32_e32 v33, 0x80000000, v33
	v_lshl_add_u32 v20, v20, 23, v30
	v_or3_b32 v32, v33, v20, v32
.LBB219_14:                             ;   in Loop: Header=BB219_10 Depth=1
	s_or_b64 exec, exec, s[42:43]
.LBB219_15:                             ;   in Loop: Header=BB219_10 Depth=1
	s_or_b64 exec, exec, s[40:41]
.LBB219_16:                             ;   in Loop: Header=BB219_10 Depth=1
	s_or_b64 exec, exec, s[16:17]
	global_load_ubyte v34, v[18:19], off offset:4
	v_mov_b32_e32 v33, 0
	s_waitcnt vmcnt(0)
	v_cmp_ne_u16_e32 vcc, 0, v34
	s_and_saveexec_b64 s[16:17], vcc
	s_cbranch_execz .LBB219_22
; %bb.17:                               ;   in Loop: Header=BB219_10 Depth=1
	v_cmp_ne_u16_e32 vcc, s49, v34
	v_bfrev_b32_e32 v33, 1
	s_and_saveexec_b64 s[40:41], vcc
	s_cbranch_execz .LBB219_21
; %bb.18:                               ;   in Loop: Header=BB219_10 Depth=1
	v_and_b32_e32 v20, 0xffff, v34
	v_and_b32_e32 v35, 0x7f, v20
	v_cmp_ne_u32_e32 vcc, s50, v35
	v_mov_b32_e32 v33, 0x7f800001
	s_and_saveexec_b64 s[42:43], vcc
	s_cbranch_execz .LBB219_20
; %bb.19:                               ;   in Loop: Header=BB219_10 Depth=1
	v_and_b32_e32 v33, 7, v20
	v_ffbh_u32_e32 v36, v33
	v_min_u32_e32 v39, 32, v36
	v_subrev_u32_e32 v36, 28, v39
	v_lshlrev_b64 v[36:37], v36, v[20:21]
	v_lshrrev_b32_e32 v38, 3, v35
	v_sub_u32_e32 v20, 29, v39
	v_and_b32_e32 v36, 7, v36
	v_cmp_gt_u32_e32 vcc, 8, v35
	v_cndmask_b32_e32 v20, v38, v20, vcc
	v_cndmask_b32_e32 v33, v33, v36, vcc
	v_lshlrev_b32_e32 v34, 24, v34
	v_lshlrev_b32_e32 v33, 20, v33
	v_and_b32_e32 v34, 0x80000000, v34
	v_lshl_add_u32 v20, v20, 23, v30
	v_or3_b32 v33, v34, v20, v33
.LBB219_20:                             ;   in Loop: Header=BB219_10 Depth=1
	s_or_b64 exec, exec, s[42:43]
.LBB219_21:                             ;   in Loop: Header=BB219_10 Depth=1
	s_or_b64 exec, exec, s[40:41]
.LBB219_22:                             ;   in Loop: Header=BB219_10 Depth=1
	s_or_b64 exec, exec, s[16:17]
	global_load_ubyte v36, v[18:19], off offset:8
	v_mov_b32_e32 v34, 0
	v_mov_b32_e32 v35, 0
	s_waitcnt vmcnt(0)
	v_cmp_ne_u16_e32 vcc, 0, v36
	s_and_saveexec_b64 s[16:17], vcc
	s_cbranch_execz .LBB219_28
; %bb.23:                               ;   in Loop: Header=BB219_10 Depth=1
	v_cmp_ne_u16_e32 vcc, s49, v36
	v_bfrev_b32_e32 v35, 1
	s_and_saveexec_b64 s[40:41], vcc
	s_cbranch_execz .LBB219_27
; %bb.24:                               ;   in Loop: Header=BB219_10 Depth=1
	v_and_b32_e32 v20, 0xffff, v36
	v_and_b32_e32 v37, 0x7f, v20
	v_cmp_ne_u32_e32 vcc, s50, v37
	v_mov_b32_e32 v35, 0x7f800001
	s_and_saveexec_b64 s[42:43], vcc
	s_cbranch_execz .LBB219_26
; %bb.25:                               ;   in Loop: Header=BB219_10 Depth=1
	v_and_b32_e32 v35, 7, v20
	v_ffbh_u32_e32 v38, v35
	v_min_u32_e32 v41, 32, v38
	v_subrev_u32_e32 v38, 28, v41
	v_lshlrev_b64 v[38:39], v38, v[20:21]
	v_lshrrev_b32_e32 v40, 3, v37
	v_sub_u32_e32 v20, 29, v41
	v_and_b32_e32 v38, 7, v38
	v_cmp_gt_u32_e32 vcc, 8, v37
	v_cndmask_b32_e32 v20, v40, v20, vcc
	v_cndmask_b32_e32 v35, v35, v38, vcc
	v_lshlrev_b32_e32 v36, 24, v36
	v_lshlrev_b32_e32 v35, 20, v35
	v_and_b32_e32 v36, 0x80000000, v36
	v_lshl_add_u32 v20, v20, 23, v30
	v_or3_b32 v35, v36, v20, v35
.LBB219_26:                             ;   in Loop: Header=BB219_10 Depth=1
	s_or_b64 exec, exec, s[42:43]
.LBB219_27:                             ;   in Loop: Header=BB219_10 Depth=1
	s_or_b64 exec, exec, s[40:41]
.LBB219_28:                             ;   in Loop: Header=BB219_10 Depth=1
	s_or_b64 exec, exec, s[16:17]
	global_load_ubyte v36, v[18:19], off offset:12
	s_waitcnt vmcnt(0)
	v_cmp_ne_u16_e32 vcc, 0, v36
	s_and_saveexec_b64 s[16:17], vcc
	s_cbranch_execz .LBB219_34
; %bb.29:                               ;   in Loop: Header=BB219_10 Depth=1
	v_cmp_ne_u16_e32 vcc, s49, v36
	v_bfrev_b32_e32 v34, 1
	s_and_saveexec_b64 s[40:41], vcc
	s_cbranch_execz .LBB219_33
; %bb.30:                               ;   in Loop: Header=BB219_10 Depth=1
	v_and_b32_e32 v20, 0xffff, v36
	v_and_b32_e32 v37, 0x7f, v20
	v_cmp_ne_u32_e32 vcc, s50, v37
	v_mov_b32_e32 v34, 0x7f800001
	s_and_saveexec_b64 s[42:43], vcc
	s_cbranch_execz .LBB219_32
; %bb.31:                               ;   in Loop: Header=BB219_10 Depth=1
	v_and_b32_e32 v34, 7, v20
	v_ffbh_u32_e32 v38, v34
	v_min_u32_e32 v41, 32, v38
	v_subrev_u32_e32 v38, 28, v41
	v_lshlrev_b64 v[38:39], v38, v[20:21]
	v_lshrrev_b32_e32 v40, 3, v37
	v_sub_u32_e32 v20, 29, v41
	v_and_b32_e32 v38, 7, v38
	v_cmp_gt_u32_e32 vcc, 8, v37
	v_cndmask_b32_e32 v20, v40, v20, vcc
	v_cndmask_b32_e32 v34, v34, v38, vcc
	v_lshlrev_b32_e32 v36, 24, v36
	v_lshlrev_b32_e32 v34, 20, v34
	v_and_b32_e32 v36, 0x80000000, v36
	v_lshl_add_u32 v20, v20, 23, v30
	v_or3_b32 v34, v36, v20, v34
.LBB219_32:                             ;   in Loop: Header=BB219_10 Depth=1
	s_or_b64 exec, exec, s[42:43]
.LBB219_33:                             ;   in Loop: Header=BB219_10 Depth=1
	s_or_b64 exec, exec, s[40:41]
.LBB219_34:                             ;   in Loop: Header=BB219_10 Depth=1
	s_or_b64 exec, exec, s[16:17]
	global_load_ubyte v38, v[18:19], off offset:256
	v_mov_b32_e32 v36, 0
	v_mov_b32_e32 v37, 0
	s_waitcnt vmcnt(0)
	v_cmp_ne_u16_e32 vcc, 0, v38
	s_and_saveexec_b64 s[16:17], vcc
	s_cbranch_execz .LBB219_40
; %bb.35:                               ;   in Loop: Header=BB219_10 Depth=1
	v_cmp_ne_u16_e32 vcc, s49, v38
	v_bfrev_b32_e32 v37, 1
	s_and_saveexec_b64 s[40:41], vcc
	s_cbranch_execz .LBB219_39
; %bb.36:                               ;   in Loop: Header=BB219_10 Depth=1
	v_and_b32_e32 v20, 0xffff, v38
	v_and_b32_e32 v39, 0x7f, v20
	v_cmp_ne_u32_e32 vcc, s50, v39
	v_mov_b32_e32 v37, 0x7f800001
	s_and_saveexec_b64 s[42:43], vcc
	s_cbranch_execz .LBB219_38
; %bb.37:                               ;   in Loop: Header=BB219_10 Depth=1
	v_and_b32_e32 v37, 7, v20
	v_ffbh_u32_e32 v40, v37
	v_min_u32_e32 v43, 32, v40
	v_subrev_u32_e32 v40, 28, v43
	v_lshlrev_b64 v[40:41], v40, v[20:21]
	v_lshrrev_b32_e32 v42, 3, v39
	v_sub_u32_e32 v20, 29, v43
	v_and_b32_e32 v40, 7, v40
	v_cmp_gt_u32_e32 vcc, 8, v39
	v_cndmask_b32_e32 v20, v42, v20, vcc
	v_cndmask_b32_e32 v37, v37, v40, vcc
	v_lshlrev_b32_e32 v38, 24, v38
	v_lshlrev_b32_e32 v37, 20, v37
	v_and_b32_e32 v38, 0x80000000, v38
	v_lshl_add_u32 v20, v20, 23, v30
	v_or3_b32 v37, v38, v20, v37
.LBB219_38:                             ;   in Loop: Header=BB219_10 Depth=1
	s_or_b64 exec, exec, s[42:43]
.LBB219_39:                             ;   in Loop: Header=BB219_10 Depth=1
	s_or_b64 exec, exec, s[40:41]
.LBB219_40:                             ;   in Loop: Header=BB219_10 Depth=1
	s_or_b64 exec, exec, s[16:17]
	global_load_ubyte v38, v[18:19], off offset:260
	s_waitcnt vmcnt(0)
	v_cmp_ne_u16_e32 vcc, 0, v38
	s_and_saveexec_b64 s[16:17], vcc
	s_cbranch_execz .LBB219_46
; %bb.41:                               ;   in Loop: Header=BB219_10 Depth=1
	v_cmp_ne_u16_e32 vcc, s49, v38
	v_bfrev_b32_e32 v36, 1
	s_and_saveexec_b64 s[40:41], vcc
	s_cbranch_execz .LBB219_45
; %bb.42:                               ;   in Loop: Header=BB219_10 Depth=1
	v_and_b32_e32 v20, 0xffff, v38
	v_and_b32_e32 v39, 0x7f, v20
	v_cmp_ne_u32_e32 vcc, s50, v39
	v_mov_b32_e32 v36, 0x7f800001
	s_and_saveexec_b64 s[42:43], vcc
	s_cbranch_execz .LBB219_44
; %bb.43:                               ;   in Loop: Header=BB219_10 Depth=1
	v_and_b32_e32 v36, 7, v20
	v_ffbh_u32_e32 v40, v36
	v_min_u32_e32 v43, 32, v40
	v_subrev_u32_e32 v40, 28, v43
	v_lshlrev_b64 v[40:41], v40, v[20:21]
	v_lshrrev_b32_e32 v42, 3, v39
	v_sub_u32_e32 v20, 29, v43
	v_and_b32_e32 v40, 7, v40
	v_cmp_gt_u32_e32 vcc, 8, v39
	v_cndmask_b32_e32 v20, v42, v20, vcc
	v_cndmask_b32_e32 v36, v36, v40, vcc
	v_lshlrev_b32_e32 v38, 24, v38
	v_lshlrev_b32_e32 v36, 20, v36
	v_and_b32_e32 v38, 0x80000000, v38
	v_lshl_add_u32 v20, v20, 23, v30
	v_or3_b32 v36, v38, v20, v36
.LBB219_44:                             ;   in Loop: Header=BB219_10 Depth=1
	s_or_b64 exec, exec, s[42:43]
.LBB219_45:                             ;   in Loop: Header=BB219_10 Depth=1
	s_or_b64 exec, exec, s[40:41]
.LBB219_46:                             ;   in Loop: Header=BB219_10 Depth=1
	s_or_b64 exec, exec, s[16:17]
	v_add_co_u32_e32 v18, vcc, 0x100, v18
	v_addc_co_u32_e32 v19, vcc, 0, v19, vcc
	global_load_ubyte v40, v[18:19], off offset:8
	v_mov_b32_e32 v38, 0
	v_mov_b32_e32 v39, 0
	s_waitcnt vmcnt(0)
	v_cmp_ne_u16_e32 vcc, 0, v40
	s_and_saveexec_b64 s[16:17], vcc
	s_cbranch_execz .LBB219_52
; %bb.47:                               ;   in Loop: Header=BB219_10 Depth=1
	v_cmp_ne_u16_e32 vcc, s49, v40
	v_bfrev_b32_e32 v39, 1
	s_and_saveexec_b64 s[40:41], vcc
	s_cbranch_execz .LBB219_51
; %bb.48:                               ;   in Loop: Header=BB219_10 Depth=1
	v_and_b32_e32 v20, 0xffff, v40
	v_and_b32_e32 v41, 0x7f, v20
	v_cmp_ne_u32_e32 vcc, s50, v41
	v_mov_b32_e32 v39, 0x7f800001
	s_and_saveexec_b64 s[42:43], vcc
	s_cbranch_execz .LBB219_50
; %bb.49:                               ;   in Loop: Header=BB219_10 Depth=1
	v_and_b32_e32 v39, 7, v20
	v_ffbh_u32_e32 v42, v39
	v_min_u32_e32 v45, 32, v42
	v_subrev_u32_e32 v42, 28, v45
	v_lshlrev_b64 v[42:43], v42, v[20:21]
	v_lshrrev_b32_e32 v44, 3, v41
	v_sub_u32_e32 v20, 29, v45
	v_and_b32_e32 v42, 7, v42
	v_cmp_gt_u32_e32 vcc, 8, v41
	v_cndmask_b32_e32 v20, v44, v20, vcc
	v_cndmask_b32_e32 v39, v39, v42, vcc
	v_lshlrev_b32_e32 v40, 24, v40
	v_lshlrev_b32_e32 v39, 20, v39
	v_and_b32_e32 v40, 0x80000000, v40
	v_lshl_add_u32 v20, v20, 23, v30
	v_or3_b32 v39, v40, v20, v39
.LBB219_50:                             ;   in Loop: Header=BB219_10 Depth=1
	s_or_b64 exec, exec, s[42:43]
.LBB219_51:                             ;   in Loop: Header=BB219_10 Depth=1
	s_or_b64 exec, exec, s[40:41]
.LBB219_52:                             ;   in Loop: Header=BB219_10 Depth=1
	s_or_b64 exec, exec, s[16:17]
	global_load_ubyte v19, v[18:19], off offset:12
	s_waitcnt vmcnt(0)
	v_cmp_ne_u16_e32 vcc, 0, v19
	s_and_saveexec_b64 s[16:17], vcc
	s_cbranch_execz .LBB219_58
; %bb.53:                               ;   in Loop: Header=BB219_10 Depth=1
	v_cmp_ne_u16_e32 vcc, s49, v19
	v_bfrev_b32_e32 v38, 1
	s_and_saveexec_b64 s[40:41], vcc
	s_cbranch_execz .LBB219_57
; %bb.54:                               ;   in Loop: Header=BB219_10 Depth=1
	v_and_b32_e32 v18, 0xffff, v19
	v_and_b32_e32 v20, 0x7f, v18
	v_cmp_ne_u32_e32 vcc, s50, v20
	v_mov_b32_e32 v38, 0x7f800001
	s_and_saveexec_b64 s[42:43], vcc
	s_cbranch_execz .LBB219_56
; %bb.55:                               ;   in Loop: Header=BB219_10 Depth=1
	v_and_b32_e32 v38, 7, v18
	v_ffbh_u32_e32 v40, v38
	v_min_u32_e32 v43, 32, v40
	v_subrev_u32_e32 v40, 28, v43
	v_lshlrev_b64 v[40:41], v40, v[18:19]
	v_lshrrev_b32_e32 v42, 3, v20
	v_sub_u32_e32 v18, 29, v43
	v_and_b32_e32 v40, 7, v40
	v_cmp_gt_u32_e32 vcc, 8, v20
	v_cndmask_b32_e32 v18, v42, v18, vcc
	v_cndmask_b32_e32 v20, v38, v40, vcc
	v_lshlrev_b32_e32 v19, 24, v19
	v_lshlrev_b32_e32 v20, 20, v20
	v_and_b32_e32 v19, 0x80000000, v19
	v_lshl_add_u32 v18, v18, 23, v30
	v_or3_b32 v38, v19, v18, v20
.LBB219_56:                             ;   in Loop: Header=BB219_10 Depth=1
	s_or_b64 exec, exec, s[42:43]
.LBB219_57:                             ;   in Loop: Header=BB219_10 Depth=1
	s_or_b64 exec, exec, s[40:41]
.LBB219_58:                             ;   in Loop: Header=BB219_10 Depth=1
	s_or_b64 exec, exec, s[16:17]
	s_waitcnt lgkmcnt(0)
	v_mul_f32_e32 v33, s47, v33
	v_mul_f32_e32 v32, s47, v32
	;; [unrolled: 1-line block ×4, first 2 shown]
	v_fmac_f32_e32 v33, v2, v32
	v_mul_f32_e32 v34, s47, v34
	v_fmac_f32_e32 v33, v4, v35
	v_mul_f32_e32 v20, s47, v37
	;; [unrolled: 2-line block ×5, first 2 shown]
	v_fmac_f32_e32 v33, v8, v18
	v_fmac_f32_e32 v33, v9, v36
	ds_bpermute_b32 v18, v26, v33
	s_waitcnt lgkmcnt(0)
	v_add_f32_e32 v18, v33, v18
	ds_bpermute_b32 v19, v27, v18
	s_and_saveexec_b64 s[16:17], s[2:3]
	s_cbranch_execz .LBB219_9
; %bb.59:                               ;   in Loop: Header=BB219_10 Depth=1
	v_add_u32_e32 v20, s48, v28
	v_cvt_f32_i32_e32 v20, v20
	s_waitcnt lgkmcnt(0)
	v_add_f32_e32 v18, v18, v19
	v_cmp_gt_i32_e32 vcc, s29, v28
	v_max_f32_e32 v19, v25, v25
	v_mul_f32_e32 v20, s10, v20
	v_cndmask_b32_e64 v20, 0, v20, s[4:5]
	v_fmac_f32_e32 v20, s11, v18
	v_cndmask_b32_e32 v18, 0, v20, vcc
	ds_write_b32 v29, v18
	v_max_f32_e32 v18, v19, v20
	v_cndmask_b32_e32 v25, v25, v18, vcc
	s_branch .LBB219_9
.LBB219_60:
	s_or_b64 exec, exec, s[14:15]
.LBB219_61:
	s_or_b64 exec, exec, s[38:39]
	v_xor_b32_e32 v2, 32, v23
	v_cmp_lt_i32_e32 vcc, v2, v24
	v_cndmask_b32_e32 v2, v23, v2, vcc
	v_lshlrev_b32_e32 v2, 2, v2
	ds_bpermute_b32 v3, v2, v25
	v_xor_b32_e32 v5, 16, v23
	v_max_f32_e32 v4, v25, v25
	v_cmp_lt_i32_e32 vcc, v5, v24
	v_xor_b32_e32 v6, 8, v23
	s_waitcnt lgkmcnt(0)
	v_max_f32_e32 v3, v3, v3
	v_max_f32_e32 v4, v4, v3
	v_cndmask_b32_e32 v3, v23, v5, vcc
	v_lshlrev_b32_e32 v3, 2, v3
	ds_bpermute_b32 v5, v3, v4
	v_cmp_lt_i32_e32 vcc, v6, v24
	v_and_b32_e32 v32, 63, v0
	s_waitcnt lgkmcnt(0)
	v_max_f32_e32 v5, v5, v5
	v_max_f32_e32 v4, v4, v5
	v_cndmask_b32_e32 v5, v23, v6, vcc
	v_lshlrev_b32_e32 v7, 2, v5
	ds_bpermute_b32 v5, v7, v4
	v_xor_b32_e32 v6, 4, v23
	v_cmp_lt_i32_e32 vcc, v6, v24
	s_waitcnt lgkmcnt(0)
	v_max_f32_e32 v5, v5, v5
	v_max_f32_e32 v4, v4, v5
	v_cndmask_b32_e32 v5, v23, v6, vcc
	v_lshlrev_b32_e32 v8, 2, v5
	ds_bpermute_b32 v6, v8, v4
	v_cmp_eq_u32_e32 vcc, 0, v32
	v_lshlrev_b32_e32 v5, 2, v22
	s_and_saveexec_b64 s[2:3], vcc
	s_cbranch_execz .LBB219_63
; %bb.62:
	s_waitcnt lgkmcnt(0)
	v_max_f32_e32 v6, v6, v6
	v_max_f32_e32 v4, v4, v4
	;; [unrolled: 1-line block ×3, first 2 shown]
	ds_write_b32 v5, v4 offset:128
.LBB219_63:
	s_or_b64 exec, exec, s[2:3]
	v_cmp_gt_u32_e64 s[2:3], 2, v32
	v_mov_b32_e32 v4, 0xff7fffff
	s_waitcnt lgkmcnt(0)
	v_lshlrev_b32_e32 v6, 2, v32
	s_barrier
	s_and_saveexec_b64 s[4:5], s[2:3]
	s_cbranch_execz .LBB219_65
; %bb.64:
	ds_read_b32 v4, v6 offset:128
.LBB219_65:
	s_or_b64 exec, exec, s[4:5]
	v_xor_b32_e32 v9, 1, v23
	v_cmp_lt_i32_e64 s[4:5], v9, v24
	v_cndmask_b32_e64 v9, v23, v9, s[4:5]
	v_lshlrev_b32_e32 v33, 2, v9
	s_waitcnt lgkmcnt(0)
	ds_bpermute_b32 v9, v33, v4
	v_max_f32_e32 v4, v4, v4
	s_sub_i32 s4, s33, s12
	s_lshl_b32 s4, s4, 4
	s_add_i32 s4, s4, s44
	s_waitcnt lgkmcnt(0)
	v_max_f32_e32 v9, v9, v9
	v_max_f32_e32 v4, v4, v9
	v_lshlrev_b32_e32 v9, 2, v23
	v_and_b32_e32 v9, 0xffffff00, v9
	ds_bpermute_b32 v4, v9, v4
	s_min_i32 s39, s4, s29
	s_sub_i32 s38, s39, s44
	v_cmp_gt_i32_e64 s[4:5], s38, v0
	v_mov_b32_e32 v14, 0
	s_and_saveexec_b64 s[14:15], s[4:5]
	s_cbranch_execz .LBB219_69
; %bb.66:
	v_mov_b32_e32 v14, 0x90
	v_lshl_add_u32 v15, v0, 2, v14
	s_mov_b64 s[16:17], 0
	v_mov_b32_e32 v14, 0
	v_mov_b32_e32 v16, v0
.LBB219_67:                             ; =>This Inner Loop Header: Depth=1
	ds_read_b32 v17, v15
	v_add_u32_e32 v16, 0x80, v16
	v_cmp_le_i32_e64 s[10:11], s38, v16
	s_or_b64 s[16:17], s[10:11], s[16:17]
	s_waitcnt lgkmcnt(0)
	v_sub_f32_e32 v17, v17, v4
	v_mul_f32_e32 v17, 0x3fb8aa3b, v17
	v_exp_f32_e32 v17, v17
	ds_write_b32 v15, v17
	v_add_f32_e32 v14, v14, v17
	v_add_u32_e32 v15, 0x200, v15
	s_andn2_b64 exec, exec, s[16:17]
	s_cbranch_execnz .LBB219_67
; %bb.68:
	s_or_b64 exec, exec, s[16:17]
.LBB219_69:
	s_or_b64 exec, exec, s[14:15]
	ds_bpermute_b32 v2, v2, v14
	s_waitcnt lgkmcnt(0)
	v_add_f32_e32 v2, v14, v2
	ds_bpermute_b32 v3, v3, v2
	s_waitcnt lgkmcnt(0)
	v_add_f32_e32 v2, v2, v3
	ds_bpermute_b32 v3, v7, v2
	v_xor_b32_e32 v7, 2, v23
	v_cmp_lt_i32_e64 s[10:11], v7, v24
	v_cndmask_b32_e64 v7, v23, v7, s[10:11]
	v_lshlrev_b32_e32 v34, 2, v7
	s_waitcnt lgkmcnt(0)
	v_add_f32_e32 v2, v2, v3
	ds_bpermute_b32 v3, v8, v2
	s_waitcnt lgkmcnt(0)
	v_add_f32_e32 v2, v2, v3
	ds_bpermute_b32 v3, v34, v2
	;; [unrolled: 3-line block ×3, first 2 shown]
	s_waitcnt lgkmcnt(0)
	v_add_f32_e32 v2, v2, v3
	s_and_saveexec_b64 s[10:11], vcc
	s_cbranch_execz .LBB219_71
; %bb.70:
	ds_write_b32 v5, v2 offset:136
.LBB219_71:
	s_or_b64 exec, exec, s[10:11]
	s_waitcnt lgkmcnt(0)
	s_barrier
	s_and_saveexec_b64 s[10:11], s[2:3]
	s_cbranch_execz .LBB219_73
; %bb.72:
	ds_read_b32 v2, v6 offset:136
.LBB219_73:
	s_or_b64 exec, exec, s[10:11]
	s_waitcnt lgkmcnt(0)
	ds_bpermute_b32 v3, v33, v2
	s_waitcnt lgkmcnt(0)
	v_add_f32_e32 v2, v2, v3
	ds_bpermute_b32 v5, v9, v2
	s_and_saveexec_b64 s[2:3], s[4:5]
	s_cbranch_execz .LBB219_86
; %bb.74:
	s_waitcnt lgkmcnt(0)
	v_add_f32_e32 v2, 0x358637bd, v5
	v_div_scale_f32 v3, s[4:5], v2, v2, 1.0
	v_rcp_f32_e32 v6, v3
	v_div_scale_f32 v7, vcc, 1.0, v2, 1.0
	s_movk_i32 s4, 0x7f
	v_fma_f32 v8, -v3, v6, 1.0
	v_fmac_f32_e32 v6, v8, v6
	v_mul_f32_e32 v8, v7, v6
	v_fma_f32 v9, -v3, v8, v7
	v_fmac_f32_e32 v8, v9, v6
	v_fma_f32 v3, -v3, v8, v7
	v_div_fmas_f32 v3, v3, v6, v8
	v_div_fixup_f32 v2, v3, v2, 1.0
	v_xad_u32 v3, v0, -1, s39
	v_subrev_u32_e32 v6, s44, v3
	v_cmp_lt_u32_e32 vcc, s4, v6
	s_mov_b64 s[10:11], -1
	v_mov_b32_e32 v3, v0
	s_and_saveexec_b64 s[4:5], vcc
	s_cbranch_execz .LBB219_83
; %bb.75:
	v_lshrrev_b32_e32 v6, 7, v6
	v_add_u32_e32 v8, -1, v6
	v_lshrrev_b32_e32 v7, 1, v8
	v_mov_b32_e32 v3, v2
	v_add_u32_e32 v7, 1, v7
	v_cmp_lt_u32_e32 vcc, 13, v8
	v_mov_b32_e32 v14, 0
	s_and_saveexec_b64 s[10:11], vcc
	s_cbranch_execz .LBB219_79
; %bb.76:
	v_mov_b32_e32 v9, 0x90
	v_and_b32_e32 v8, -8, v7
	v_lshl_add_u32 v9, v0, 2, v9
	s_mov_b32 s16, 0
	s_mov_b64 s[14:15], 0
.LBB219_77:                             ; =>This Inner Loop Header: Depth=1
	ds_read2st64_b32 v[14:15], v9 offset1:2
	ds_read2st64_b32 v[16:17], v9 offset0:4 offset1:6
	ds_read2st64_b32 v[18:19], v9 offset0:8 offset1:10
	;; [unrolled: 1-line block ×3, first 2 shown]
	v_add_u32_e32 v8, -8, v8
	s_waitcnt lgkmcnt(3)
	v_pk_mul_f32 v[14:15], v[2:3], v[14:15]
	s_waitcnt lgkmcnt(2)
	v_pk_mul_f32 v[16:17], v[2:3], v[16:17]
	ds_write2st64_b32 v9, v14, v15 offset1:2
	ds_write2st64_b32 v9, v16, v17 offset0:4 offset1:6
	ds_read2st64_b32 v[16:17], v9 offset0:16 offset1:18
	s_waitcnt lgkmcnt(4)
	v_pk_mul_f32 v[14:15], v[2:3], v[18:19]
	ds_write2st64_b32 v9, v14, v15 offset0:8 offset1:10
	s_waitcnt lgkmcnt(4)
	v_pk_mul_f32 v[14:15], v[2:3], v[24:25]
	ds_write2st64_b32 v9, v14, v15 offset0:12 offset1:14
	ds_read2st64_b32 v[14:15], v9 offset0:20 offset1:22
	s_waitcnt lgkmcnt(3)
	v_pk_mul_f32 v[16:17], v[2:3], v[16:17]
	ds_read2st64_b32 v[18:19], v9 offset0:24 offset1:26
	ds_write2st64_b32 v9, v16, v17 offset0:16 offset1:18
	ds_read2st64_b32 v[16:17], v9 offset0:28 offset1:30
	s_waitcnt lgkmcnt(3)
	v_pk_mul_f32 v[14:15], v[2:3], v[14:15]
	ds_write2st64_b32 v9, v14, v15 offset0:20 offset1:22
	s_waitcnt lgkmcnt(3)
	v_pk_mul_f32 v[14:15], v[2:3], v[18:19]
	ds_write2st64_b32 v9, v14, v15 offset0:24 offset1:26
	s_waitcnt lgkmcnt(2)
	v_pk_mul_f32 v[14:15], v[2:3], v[16:17]
	s_add_i32 s16, s16, 16
	v_cmp_eq_u32_e32 vcc, 0, v8
	ds_write2st64_b32 v9, v14, v15 offset0:28 offset1:30
	v_add_u32_e32 v9, 0x2000, v9
	s_or_b64 s[14:15], vcc, s[14:15]
	v_mov_b32_e32 v14, s16
	s_andn2_b64 exec, exec, s[14:15]
	s_cbranch_execnz .LBB219_77
; %bb.78:
	s_or_b64 exec, exec, s[14:15]
.LBB219_79:
	s_or_b64 exec, exec, s[10:11]
	v_and_b32_e32 v7, 7, v7
	v_cmp_ne_u32_e32 vcc, 0, v7
	s_and_saveexec_b64 s[10:11], vcc
	s_cbranch_execz .LBB219_82
; %bb.80:
	v_lshlrev_b32_e32 v8, 9, v14
	s_movk_i32 s14, 0x90
	v_add3_u32 v8, v8, v21, s14
	s_mov_b64 s[14:15], 0
.LBB219_81:                             ; =>This Inner Loop Header: Depth=1
	ds_read2st64_b32 v[14:15], v8 offset1:2
	v_add_u32_e32 v7, -1, v7
	v_cmp_eq_u32_e32 vcc, 0, v7
	s_or_b64 s[14:15], vcc, s[14:15]
	s_waitcnt lgkmcnt(0)
	v_pk_mul_f32 v[14:15], v[2:3], v[14:15]
	ds_write2st64_b32 v8, v14, v15 offset1:2
	v_add_u32_e32 v8, 0x400, v8
	s_andn2_b64 exec, exec, s[14:15]
	s_cbranch_execnz .LBB219_81
.LBB219_82:
	s_or_b64 exec, exec, s[10:11]
	v_add_u32_e32 v6, 1, v6
	v_and_b32_e32 v7, 0x3fffffe, v6
	v_cmp_ne_u32_e32 vcc, v6, v7
	v_lshl_add_u32 v3, v7, 7, v0
	s_orn2_b64 s[10:11], vcc, exec
.LBB219_83:
	s_or_b64 exec, exec, s[4:5]
	s_and_b64 exec, exec, s[10:11]
	s_cbranch_execz .LBB219_86
; %bb.84:
	v_mov_b32_e32 v6, 0x90
	v_lshl_add_u32 v6, v3, 2, v6
	s_mov_b64 s[4:5], 0
.LBB219_85:                             ; =>This Inner Loop Header: Depth=1
	ds_read_b32 v7, v6
	v_add_u32_e32 v3, 0x80, v3
	v_cmp_le_i32_e32 vcc, s38, v3
	s_or_b64 s[4:5], vcc, s[4:5]
	s_waitcnt lgkmcnt(0)
	v_mul_f32_e32 v7, v2, v7
	ds_write_b32 v6, v7
	v_add_u32_e32 v6, 0x200, v6
	s_andn2_b64 exec, exec, s[4:5]
	s_cbranch_execnz .LBB219_85
.LBB219_86:
	s_or_b64 exec, exec, s[2:3]
	s_mul_i32 s2, s25, s28
	v_cmp_eq_u32_e32 vcc, 0, v0
	s_mul_i32 s2, s2, s9
	s_waitcnt lgkmcnt(0)
	s_barrier
	s_and_saveexec_b64 s[4:5], vcc
	s_cbranch_execz .LBB219_88
; %bb.87:
	s_ashr_i32 s3, s2, 31
	s_lshl_b64 s[10:11], s[2:3], 2
	s_add_u32 s3, s22, s10
	s_mul_i32 s14, s25, s6
	s_addc_u32 s9, s23, s11
	s_ashr_i32 s15, s14, 31
	s_lshl_b64 s[14:15], s[14:15], 2
	s_add_u32 s3, s3, s14
	s_addc_u32 s6, s9, s15
	s_ashr_i32 s9, s8, 31
	s_lshl_b64 s[8:9], s[8:9], 2
	s_add_u32 s16, s3, s8
	s_addc_u32 s17, s6, s9
	s_add_u32 s3, s20, s10
	s_addc_u32 s6, s21, s11
	;; [unrolled: 2-line block ×3, first 2 shown]
	s_add_u32 s8, s3, s8
	v_mov_b32_e32 v2, 0
	s_addc_u32 s9, s6, s9
	global_store_dword v2, v4, s[16:17]
	global_store_dword v2, v5, s[8:9]
.LBB219_88:
	s_or_b64 exec, exec, s[4:5]
	s_mov_b32 s6, 0
	v_mov_b32_e32 v15, 0
	v_mov_b32_e32 v14, 0
	s_and_saveexec_b64 s[4:5], s[0:1]
	s_cbranch_execz .LBB219_144
; %bb.89:
	s_ashr_i32 s0, s45, 31
	s_add_u32 s1, s36, s45
	v_and_b32_e32 v3, 0xfc, v21
	v_and_b32_e32 v2, 12, v21
	s_load_dword s8, s[18:19], 0x0
	s_addc_u32 s0, s37, s0
	v_add_co_u32_e32 v8, vcc, s1, v3
	v_lshl_add_u32 v3, v22, 4, s44
	s_mov_b32 s3, s13
	s_add_i32 s13, s7, -1
	v_mov_b32_e32 v4, s0
	v_add3_u32 v35, v3, v2, 3
	v_lshlrev_b32_e32 v2, 4, v10
	s_lshl_b64 s[0:1], s[34:35], 2
	v_lshl_or_b32 v2, v22, 6, v2
	s_add_u32 s0, s30, s0
	v_addc_co_u32_e32 v9, vcc, 0, v4, vcc
	v_add_u32_e32 v36, 0x90, v2
	v_lshlrev_b64 v[2:3], 2, v[12:13]
	s_addc_u32 s1, s31, s1
	v_mov_b32_e32 v4, s1
	v_add_co_u32_e32 v16, vcc, s0, v2
	s_waitcnt lgkmcnt(0)
	s_mov_b32 s9, s8
	v_mov_b32_e32 v7, 0
	v_addc_co_u32_e32 v17, vcc, v4, v3, vcc
	s_mov_b64 s[10:11], 0
	s_movk_i32 s22, 0x80
	s_movk_i32 s23, 0x7f
	s_brev_b32 s7, 1
	s_mov_b32 s15, 0x7f800001
	s_mov_b32 s28, 0xffffff
	v_bfrev_b32_e32 v13, 60
	v_mov_b32_e32 v37, 7
	v_mov_b32_e32 v38, 24
	;; [unrolled: 1-line block ×4, first 2 shown]
	s_branch .LBB219_91
.LBB219_90:                             ;   in Loop: Header=BB219_91 Depth=1
	s_or_b64 exec, exec, s[0:1]
	s_waitcnt lgkmcnt(0)
	v_mul_f32_e32 v6, v3, v19
	v_mul_f32_e32 v3, v3, v23
	v_fmac_f32_e32 v6, v2, v18
	v_fmac_f32_e32 v3, v2, v22
	v_add_u32_e32 v12, 2, v12
	v_fmac_f32_e32 v6, v4, v20
	v_fmac_f32_e32 v3, v4, v24
	v_cmp_le_i32_e32 vcc, s33, v12
	v_fmac_f32_e32 v6, v5, v21
	v_fmac_f32_e32 v3, v5, v25
	s_or_b64 s[10:11], vcc, s[10:11]
	v_add_co_u32_e32 v16, vcc, 8, v16
	v_add_f32_e32 v14, v14, v6
	v_add_f32_e32 v15, v15, v3
	v_add_u32_e32 v35, 32, v35
	v_add_u32_e32 v36, 0x80, v36
	v_addc_co_u32_e32 v17, vcc, 0, v17, vcc
	s_andn2_b64 exec, exec, s[10:11]
	s_cbranch_execz .LBB219_143
.LBB219_91:                             ; =>This Inner Loop Header: Depth=1
	global_load_dword v2, v[16:17], off
	v_pk_mov_b32 v[24:25], 0, 0
	v_pk_mov_b32 v[20:21], v[24:25], v[24:25] op_sel:[0,1]
	s_waitcnt vmcnt(0)
	v_mad_i64_i32 v[22:23], s[0:1], v2, s3, v[8:9]
	global_load_dword v18, v[22:23], off
	ds_read_b128 v[2:5], v36
	s_waitcnt vmcnt(0)
	v_cmp_ne_u16_sdwa s[16:17], v18, v7 src0_sel:BYTE_0 src1_sel:DWORD
	s_and_saveexec_b64 s[0:1], s[16:17]
	s_cbranch_execz .LBB219_97
; %bb.92:                               ;   in Loop: Header=BB219_91 Depth=1
	v_bfrev_b32_e32 v20, 1
	v_cmp_ne_u16_sdwa s[18:19], v18, s22 src0_sel:BYTE_0 src1_sel:DWORD
	v_mov_b32_e32 v21, 0
	s_and_saveexec_b64 s[16:17], s[18:19]
	s_cbranch_execz .LBB219_96
; %bb.93:                               ;   in Loop: Header=BB219_91 Depth=1
	v_and_b32_e32 v6, 0x7f, v18
	v_mov_b32_e32 v20, 0x7f800001
	v_cmp_ne_u32_e32 vcc, s23, v6
	v_mov_b32_e32 v21, 0
	s_and_saveexec_b64 s[18:19], vcc
	s_cbranch_execz .LBB219_95
; %bb.94:                               ;   in Loop: Header=BB219_91 Depth=1
	v_and_b32_e32 v19, 7, v18
	v_ffbh_u32_e32 v20, v19
	v_min_u32_e32 v27, 32, v20
	v_subrev_u32_e32 v20, 28, v27
	v_lshlrev_b64 v[20:21], v20, v[18:19]
	v_lshrrev_b32_e32 v26, 3, v6
	v_sub_u32_e32 v21, 29, v27
	v_and_b32_e32 v20, 7, v20
	v_cmp_gt_u32_e32 vcc, 8, v6
	v_cndmask_b32_e32 v6, v26, v21, vcc
	v_cndmask_b32_e32 v19, v19, v20, vcc
	v_lshlrev_b32_e32 v19, 20, v19
	v_and_b32_sdwa v20, sext(v18), s7 dst_sel:DWORD dst_unused:UNUSED_PAD src0_sel:BYTE_0 src1_sel:DWORD
	v_lshl_add_u32 v6, v6, 23, v13
	v_or3_b32 v6, v20, v6, v19
	v_pk_mov_b32 v[20:21], v[6:7], v[6:7] op_sel:[0,1]
.LBB219_95:                             ;   in Loop: Header=BB219_91 Depth=1
	s_or_b64 exec, exec, s[18:19]
.LBB219_96:                             ;   in Loop: Header=BB219_91 Depth=1
	s_or_b64 exec, exec, s[16:17]
.LBB219_97:                             ;   in Loop: Header=BB219_91 Depth=1
	s_or_b64 exec, exec, s[0:1]
	v_cmp_ne_u16_sdwa s[16:17], v18, v7 src0_sel:BYTE_1 src1_sel:DWORD
	s_and_saveexec_b64 s[0:1], s[16:17]
	s_cbranch_execz .LBB219_103
; %bb.98:                               ;   in Loop: Header=BB219_91 Depth=1
	v_cmp_ne_u16_sdwa s[18:19], v18, s22 src0_sel:BYTE_1 src1_sel:DWORD
	v_pk_mov_b32 v[24:25], s[6:7], s[6:7] op_sel:[0,1]
	s_and_saveexec_b64 s[16:17], s[18:19]
	s_cbranch_execz .LBB219_102
; %bb.99:                               ;   in Loop: Header=BB219_91 Depth=1
	v_and_b32_sdwa v19, v18, s23 dst_sel:DWORD dst_unused:UNUSED_PAD src0_sel:BYTE_1 src1_sel:DWORD
	s_mov_b32 s14, s6
	v_cmp_ne_u32_e32 vcc, s23, v19
	v_pk_mov_b32 v[24:25], s[14:15], s[14:15] op_sel:[0,1]
	s_and_saveexec_b64 s[18:19], vcc
	s_cbranch_execz .LBB219_101
; %bb.100:                              ;   in Loop: Header=BB219_91 Depth=1
	v_and_b32_sdwa v6, v18, v37 dst_sel:DWORD dst_unused:UNUSED_PAD src0_sel:BYTE_1 src1_sel:DWORD
	v_ffbh_u32_e32 v24, v6
	v_min_u32_e32 v27, 32, v24
	v_subrev_u32_e32 v24, 28, v27
	v_lshlrev_b64 v[24:25], v24, v[6:7]
	v_lshrrev_b32_e32 v26, 3, v19
	v_sub_u32_e32 v25, 29, v27
	v_cmp_gt_u32_e32 vcc, 8, v19
	v_and_b32_e32 v24, 7, v24
	v_cndmask_b32_e32 v19, v26, v25, vcc
	v_cndmask_b32_e32 v6, v6, v24, vcc
	v_lshlrev_b32_e32 v24, 16, v18
	v_lshl_add_u32 v19, v19, 23, v13
	v_and_or_b32 v19, v24, s7, v19
	v_lshlrev_b32_e32 v6, 20, v6
	v_or_b32_e32 v25, v19, v6
	v_mov_b32_e32 v24, v7
.LBB219_101:                            ;   in Loop: Header=BB219_91 Depth=1
	s_or_b64 exec, exec, s[18:19]
.LBB219_102:                            ;   in Loop: Header=BB219_91 Depth=1
	s_or_b64 exec, exec, s[16:17]
.LBB219_103:                            ;   in Loop: Header=BB219_91 Depth=1
	s_or_b64 exec, exec, s[0:1]
	v_lshrrev_b32_e32 v6, 16, v18
	v_pk_mov_b32 v[28:29], 0, 0
	v_cmp_ne_u16_sdwa s[16:17], v6, v7 src0_sel:BYTE_0 src1_sel:DWORD
	v_pk_mov_b32 v[26:27], v[28:29], v[28:29] op_sel:[0,1]
	s_and_saveexec_b64 s[0:1], s[16:17]
	s_cbranch_execz .LBB219_109
; %bb.104:                              ;   in Loop: Header=BB219_91 Depth=1
	v_bfrev_b32_e32 v26, 1
	v_cmp_ne_u16_sdwa s[18:19], v6, s22 src0_sel:BYTE_0 src1_sel:DWORD
	v_mov_b32_e32 v27, 0
	s_and_saveexec_b64 s[16:17], s[18:19]
	s_cbranch_execz .LBB219_108
; %bb.105:                              ;   in Loop: Header=BB219_91 Depth=1
	v_bfe_u32 v19, v18, 16, 7
	v_mov_b32_e32 v26, 0x7f800001
	v_cmp_ne_u32_e32 vcc, s23, v19
	v_mov_b32_e32 v27, 0
	s_and_saveexec_b64 s[18:19], vcc
	s_cbranch_execz .LBB219_107
; %bb.106:                              ;   in Loop: Header=BB219_91 Depth=1
	v_and_b32_e32 v30, 7, v6
	v_ffbh_u32_e32 v26, v30
	v_min_u32_e32 v39, 32, v26
	v_subrev_u32_e32 v26, 28, v39
	v_lshlrev_b64 v[26:27], v26, v[6:7]
	v_lshrrev_b32_e32 v31, 3, v19
	v_sub_u32_e32 v27, 29, v39
	v_and_b32_e32 v26, 7, v26
	v_cmp_gt_u32_e32 vcc, 8, v19
	v_cndmask_b32_e32 v19, v31, v27, vcc
	v_cndmask_b32_e32 v26, v30, v26, vcc
	v_lshlrev_b32_e32 v26, 20, v26
	v_and_b32_sdwa v6, sext(v6), s7 dst_sel:DWORD dst_unused:UNUSED_PAD src0_sel:BYTE_0 src1_sel:DWORD
	v_lshl_add_u32 v19, v19, 23, v13
	v_or3_b32 v6, v6, v19, v26
	v_pk_mov_b32 v[26:27], v[6:7], v[6:7] op_sel:[0,1]
.LBB219_107:                            ;   in Loop: Header=BB219_91 Depth=1
	s_or_b64 exec, exec, s[18:19]
.LBB219_108:                            ;   in Loop: Header=BB219_91 Depth=1
	s_or_b64 exec, exec, s[16:17]
.LBB219_109:                            ;   in Loop: Header=BB219_91 Depth=1
	s_or_b64 exec, exec, s[0:1]
	v_cmp_lt_u32_e32 vcc, s28, v18
	s_and_saveexec_b64 s[0:1], vcc
	s_cbranch_execz .LBB219_115
; %bb.110:                              ;   in Loop: Header=BB219_91 Depth=1
	v_cmp_ne_u32_sdwa s[18:19], v18, s22 src0_sel:BYTE_3 src1_sel:DWORD
	v_pk_mov_b32 v[28:29], s[6:7], s[6:7] op_sel:[0,1]
	s_and_saveexec_b64 s[16:17], s[18:19]
	s_cbranch_execz .LBB219_114
; %bb.111:                              ;   in Loop: Header=BB219_91 Depth=1
	v_bfe_u32 v19, v18, 24, 7
	s_mov_b32 s14, s6
	v_cmp_ne_u32_e32 vcc, s23, v19
	v_pk_mov_b32 v[28:29], s[14:15], s[14:15] op_sel:[0,1]
	s_and_saveexec_b64 s[18:19], vcc
	s_cbranch_execz .LBB219_113
; %bb.112:                              ;   in Loop: Header=BB219_91 Depth=1
	v_and_b32_sdwa v6, v18, v37 dst_sel:DWORD dst_unused:UNUSED_PAD src0_sel:BYTE_3 src1_sel:DWORD
	v_ffbh_u32_e32 v28, v6
	v_min_u32_e32 v31, 32, v28
	v_subrev_u32_e32 v28, 28, v31
	v_lshlrev_b64 v[28:29], v28, v[6:7]
	v_lshrrev_b32_e32 v30, 3, v19
	v_sub_u32_e32 v29, 29, v31
	v_cmp_gt_u32_e32 vcc, 8, v19
	v_and_b32_e32 v28, 7, v28
	v_cndmask_b32_e32 v19, v30, v29, vcc
	v_cndmask_b32_e32 v6, v6, v28, vcc
	v_lshlrev_b32_sdwa v18, v38, v18 dst_sel:DWORD dst_unused:UNUSED_PAD src0_sel:DWORD src1_sel:BYTE_3
	v_lshl_add_u32 v19, v19, 23, v13
	v_and_or_b32 v18, v18, s7, v19
	v_lshlrev_b32_e32 v6, 20, v6
	v_or_b32_e32 v29, v18, v6
	v_mov_b32_e32 v28, v7
.LBB219_113:                            ;   in Loop: Header=BB219_91 Depth=1
	s_or_b64 exec, exec, s[18:19]
.LBB219_114:                            ;   in Loop: Header=BB219_91 Depth=1
	s_or_b64 exec, exec, s[16:17]
.LBB219_115:                            ;   in Loop: Header=BB219_91 Depth=1
	s_or_b64 exec, exec, s[0:1]
	v_or_b32_e32 v19, v25, v21
	v_or_b32_e32 v18, v24, v20
	;; [unrolled: 1-line block ×4, first 2 shown]
	v_add_u32_e32 v39, -3, v35
	v_cmp_eq_u32_e32 vcc, s13, v12
	v_pk_mul_f32 v[18:19], s[8:9], v[18:19]
	v_pk_mul_f32 v[20:21], s[8:9], v[20:21]
	v_add_u32_e32 v41, -2, v35
	v_add_u32_e32 v40, -1, v35
	s_and_saveexec_b64 s[16:17], vcc
; %bb.116:                              ;   in Loop: Header=BB219_91 Depth=1
	v_cmp_gt_i32_e64 s[0:1], s29, v39
	v_cndmask_b32_e64 v18, 0, v18, s[0:1]
	v_cmp_gt_i32_e64 s[0:1], s29, v41
	v_cndmask_b32_e64 v19, 0, v19, s[0:1]
	;; [unrolled: 2-line block ×4, first 2 shown]
; %bb.117:                              ;   in Loop: Header=BB219_91 Depth=1
	s_or_b64 exec, exec, s[16:17]
	global_load_dword v22, v[22:23], off offset:256
	v_pk_mov_b32 v[26:27], 0, 0
	v_pk_mov_b32 v[24:25], v[26:27], v[26:27] op_sel:[0,1]
	s_waitcnt vmcnt(0)
	v_cmp_ne_u16_sdwa s[0:1], v22, v7 src0_sel:BYTE_0 src1_sel:DWORD
	s_and_saveexec_b64 s[16:17], s[0:1]
	s_cbranch_execz .LBB219_123
; %bb.118:                              ;   in Loop: Header=BB219_91 Depth=1
	v_bfrev_b32_e32 v24, 1
	v_cmp_ne_u16_sdwa s[0:1], v22, s22 src0_sel:BYTE_0 src1_sel:DWORD
	v_mov_b32_e32 v25, 0
	s_and_saveexec_b64 s[18:19], s[0:1]
	s_cbranch_execz .LBB219_122
; %bb.119:                              ;   in Loop: Header=BB219_91 Depth=1
	v_and_b32_e32 v6, 0x7f, v22
	v_mov_b32_e32 v24, 0x7f800001
	v_cmp_ne_u32_e64 s[0:1], s23, v6
	v_mov_b32_e32 v25, 0
	s_and_saveexec_b64 s[20:21], s[0:1]
	s_cbranch_execz .LBB219_121
; %bb.120:                              ;   in Loop: Header=BB219_91 Depth=1
	v_and_b32_e32 v23, 7, v22
	v_ffbh_u32_e32 v24, v23
	v_min_u32_e32 v29, 32, v24
	v_subrev_u32_e32 v24, 28, v29
	v_lshlrev_b64 v[24:25], v24, v[22:23]
	v_lshrrev_b32_e32 v28, 3, v6
	v_sub_u32_e32 v25, 29, v29
	v_and_b32_e32 v24, 7, v24
	v_cmp_gt_u32_e64 s[0:1], 8, v6
	v_cndmask_b32_e64 v6, v28, v25, s[0:1]
	v_cndmask_b32_e64 v23, v23, v24, s[0:1]
	v_lshlrev_b32_e32 v23, 20, v23
	v_and_b32_sdwa v24, sext(v22), s7 dst_sel:DWORD dst_unused:UNUSED_PAD src0_sel:BYTE_0 src1_sel:DWORD
	v_lshl_add_u32 v6, v6, 23, v13
	v_or3_b32 v6, v24, v6, v23
	v_pk_mov_b32 v[24:25], v[6:7], v[6:7] op_sel:[0,1]
.LBB219_121:                            ;   in Loop: Header=BB219_91 Depth=1
	s_or_b64 exec, exec, s[20:21]
.LBB219_122:                            ;   in Loop: Header=BB219_91 Depth=1
	s_or_b64 exec, exec, s[18:19]
.LBB219_123:                            ;   in Loop: Header=BB219_91 Depth=1
	s_or_b64 exec, exec, s[16:17]
	v_cmp_ne_u16_sdwa s[0:1], v22, v7 src0_sel:BYTE_1 src1_sel:DWORD
	s_and_saveexec_b64 s[16:17], s[0:1]
	s_cbranch_execz .LBB219_129
; %bb.124:                              ;   in Loop: Header=BB219_91 Depth=1
	v_cmp_ne_u16_sdwa s[0:1], v22, s22 src0_sel:BYTE_1 src1_sel:DWORD
	v_pk_mov_b32 v[26:27], s[6:7], s[6:7] op_sel:[0,1]
	s_and_saveexec_b64 s[18:19], s[0:1]
	s_cbranch_execz .LBB219_128
; %bb.125:                              ;   in Loop: Header=BB219_91 Depth=1
	v_and_b32_sdwa v23, v22, s23 dst_sel:DWORD dst_unused:UNUSED_PAD src0_sel:BYTE_1 src1_sel:DWORD
	s_mov_b32 s14, s6
	v_cmp_ne_u32_e64 s[0:1], s23, v23
	v_pk_mov_b32 v[26:27], s[14:15], s[14:15] op_sel:[0,1]
	s_and_saveexec_b64 s[20:21], s[0:1]
	s_cbranch_execz .LBB219_127
; %bb.126:                              ;   in Loop: Header=BB219_91 Depth=1
	v_and_b32_sdwa v6, v22, v37 dst_sel:DWORD dst_unused:UNUSED_PAD src0_sel:BYTE_1 src1_sel:DWORD
	v_ffbh_u32_e32 v26, v6
	v_min_u32_e32 v29, 32, v26
	v_subrev_u32_e32 v26, 28, v29
	v_lshlrev_b64 v[26:27], v26, v[6:7]
	v_lshrrev_b32_e32 v28, 3, v23
	v_sub_u32_e32 v27, 29, v29
	v_cmp_gt_u32_e64 s[0:1], 8, v23
	v_and_b32_e32 v26, 7, v26
	v_cndmask_b32_e64 v23, v28, v27, s[0:1]
	v_cndmask_b32_e64 v6, v6, v26, s[0:1]
	v_lshlrev_b32_e32 v26, 16, v22
	v_lshl_add_u32 v23, v23, 23, v13
	v_and_or_b32 v23, v26, s7, v23
	v_lshlrev_b32_e32 v6, 20, v6
	v_or_b32_e32 v27, v23, v6
	v_mov_b32_e32 v26, v7
.LBB219_127:                            ;   in Loop: Header=BB219_91 Depth=1
	s_or_b64 exec, exec, s[20:21]
.LBB219_128:                            ;   in Loop: Header=BB219_91 Depth=1
	s_or_b64 exec, exec, s[18:19]
.LBB219_129:                            ;   in Loop: Header=BB219_91 Depth=1
	s_or_b64 exec, exec, s[16:17]
	v_lshrrev_b32_e32 v6, 16, v22
	v_pk_mov_b32 v[30:31], 0, 0
	v_cmp_ne_u16_sdwa s[0:1], v6, v7 src0_sel:BYTE_0 src1_sel:DWORD
	v_pk_mov_b32 v[28:29], v[30:31], v[30:31] op_sel:[0,1]
	s_and_saveexec_b64 s[16:17], s[0:1]
	s_cbranch_execz .LBB219_135
; %bb.130:                              ;   in Loop: Header=BB219_91 Depth=1
	v_bfrev_b32_e32 v28, 1
	v_cmp_ne_u16_sdwa s[0:1], v6, s22 src0_sel:BYTE_0 src1_sel:DWORD
	v_mov_b32_e32 v29, 0
	s_and_saveexec_b64 s[18:19], s[0:1]
	s_cbranch_execz .LBB219_134
; %bb.131:                              ;   in Loop: Header=BB219_91 Depth=1
	v_bfe_u32 v23, v22, 16, 7
	v_mov_b32_e32 v28, 0x7f800001
	v_cmp_ne_u32_e64 s[0:1], s23, v23
	v_mov_b32_e32 v29, 0
	s_and_saveexec_b64 s[20:21], s[0:1]
	s_cbranch_execz .LBB219_133
; %bb.132:                              ;   in Loop: Header=BB219_91 Depth=1
	v_and_b32_e32 v42, 7, v6
	v_ffbh_u32_e32 v28, v42
	v_min_u32_e32 v44, 32, v28
	v_subrev_u32_e32 v28, 28, v44
	v_lshlrev_b64 v[28:29], v28, v[6:7]
	v_lshrrev_b32_e32 v43, 3, v23
	v_sub_u32_e32 v29, 29, v44
	v_and_b32_e32 v28, 7, v28
	v_cmp_gt_u32_e64 s[0:1], 8, v23
	v_cndmask_b32_e64 v23, v43, v29, s[0:1]
	v_cndmask_b32_e64 v28, v42, v28, s[0:1]
	v_lshlrev_b32_e32 v28, 20, v28
	v_and_b32_sdwa v6, sext(v6), s7 dst_sel:DWORD dst_unused:UNUSED_PAD src0_sel:BYTE_0 src1_sel:DWORD
	v_lshl_add_u32 v23, v23, 23, v13
	v_or3_b32 v6, v6, v23, v28
	v_pk_mov_b32 v[28:29], v[6:7], v[6:7] op_sel:[0,1]
.LBB219_133:                            ;   in Loop: Header=BB219_91 Depth=1
	s_or_b64 exec, exec, s[20:21]
.LBB219_134:                            ;   in Loop: Header=BB219_91 Depth=1
	s_or_b64 exec, exec, s[18:19]
.LBB219_135:                            ;   in Loop: Header=BB219_91 Depth=1
	s_or_b64 exec, exec, s[16:17]
	v_cmp_lt_u32_e64 s[0:1], s28, v22
	s_and_saveexec_b64 s[16:17], s[0:1]
	s_cbranch_execz .LBB219_141
; %bb.136:                              ;   in Loop: Header=BB219_91 Depth=1
	v_cmp_ne_u32_sdwa s[0:1], v22, s22 src0_sel:BYTE_3 src1_sel:DWORD
	v_pk_mov_b32 v[30:31], s[6:7], s[6:7] op_sel:[0,1]
	s_and_saveexec_b64 s[18:19], s[0:1]
	s_cbranch_execz .LBB219_140
; %bb.137:                              ;   in Loop: Header=BB219_91 Depth=1
	v_bfe_u32 v23, v22, 24, 7
	s_mov_b32 s14, s6
	v_cmp_ne_u32_e64 s[0:1], s23, v23
	v_pk_mov_b32 v[30:31], s[14:15], s[14:15] op_sel:[0,1]
	s_and_saveexec_b64 s[20:21], s[0:1]
	s_cbranch_execz .LBB219_139
; %bb.138:                              ;   in Loop: Header=BB219_91 Depth=1
	v_and_b32_sdwa v6, v22, v37 dst_sel:DWORD dst_unused:UNUSED_PAD src0_sel:BYTE_3 src1_sel:DWORD
	v_ffbh_u32_e32 v30, v6
	v_min_u32_e32 v43, 32, v30
	v_subrev_u32_e32 v30, 28, v43
	v_lshlrev_b64 v[30:31], v30, v[6:7]
	v_lshrrev_b32_e32 v42, 3, v23
	v_sub_u32_e32 v31, 29, v43
	v_cmp_gt_u32_e64 s[0:1], 8, v23
	v_and_b32_e32 v30, 7, v30
	v_cndmask_b32_e64 v23, v42, v31, s[0:1]
	v_cndmask_b32_e64 v6, v6, v30, s[0:1]
	v_lshlrev_b32_sdwa v22, v38, v22 dst_sel:DWORD dst_unused:UNUSED_PAD src0_sel:DWORD src1_sel:BYTE_3
	v_lshl_add_u32 v23, v23, 23, v13
	v_and_or_b32 v22, v22, s7, v23
	v_lshlrev_b32_e32 v6, 20, v6
	v_or_b32_e32 v31, v22, v6
	v_mov_b32_e32 v30, v7
.LBB219_139:                            ;   in Loop: Header=BB219_91 Depth=1
	s_or_b64 exec, exec, s[20:21]
.LBB219_140:                            ;   in Loop: Header=BB219_91 Depth=1
	s_or_b64 exec, exec, s[18:19]
.LBB219_141:                            ;   in Loop: Header=BB219_91 Depth=1
	s_or_b64 exec, exec, s[16:17]
	v_or_b32_e32 v23, v27, v25
	v_or_b32_e32 v22, v26, v24
	;; [unrolled: 1-line block ×4, first 2 shown]
	v_pk_mul_f32 v[22:23], s[8:9], v[22:23]
	v_pk_mul_f32 v[24:25], s[8:9], v[24:25]
	s_and_saveexec_b64 s[0:1], vcc
	s_cbranch_execz .LBB219_90
; %bb.142:                              ;   in Loop: Header=BB219_91 Depth=1
	v_cmp_gt_i32_e32 vcc, s29, v39
	v_cndmask_b32_e32 v22, 0, v22, vcc
	v_cmp_gt_i32_e32 vcc, s29, v41
	v_cndmask_b32_e32 v23, 0, v23, vcc
	;; [unrolled: 2-line block ×4, first 2 shown]
	s_branch .LBB219_90
.LBB219_143:
	s_or_b64 exec, exec, s[10:11]
.LBB219_144:
	s_or_b64 exec, exec, s[4:5]
	ds_bpermute_b32 v2, v34, v14
	ds_bpermute_b32 v3, v34, v15
	v_and_b32_e32 v4, 0x3c3, v0
	v_cmp_eq_u32_e32 vcc, 64, v4
	s_waitcnt lgkmcnt(0)
	s_barrier
	v_pk_add_f32 v[2:3], v[14:15], v[2:3]
	ds_bpermute_b32 v6, v33, v2
	ds_bpermute_b32 v7, v33, v3
	s_waitcnt lgkmcnt(0)
	v_pk_add_f32 v[2:3], v[2:3], v[6:7]
	s_and_saveexec_b64 s[0:1], vcc
	s_cbranch_execz .LBB219_146
; %bb.145:
	v_add_u32_e32 v6, 0x90, v32
	v_add_u32_e32 v5, 0x90, v0
	ds_write_b32 v6, v2
	ds_write_b32 v5, v3
.LBB219_146:
	s_or_b64 exec, exec, s[0:1]
	v_cmp_gt_u32_e32 vcc, 64, v0
	s_waitcnt lgkmcnt(0)
	s_barrier
	s_and_saveexec_b64 s[0:1], vcc
	s_cbranch_execz .LBB219_152
; %bb.147:
	v_cmp_eq_u32_e32 vcc, 0, v10
	s_and_saveexec_b64 s[4:5], vcc
	s_cbranch_execz .LBB219_149
; %bb.148:
	v_mov_b32_e32 v0, 0x90
	v_lshl_add_u32 v0, v11, 2, v0
	ds_read_b32 v0, v0
	s_waitcnt lgkmcnt(0)
	v_add_f32_e32 v2, v2, v0
.LBB219_149:
	s_or_b64 exec, exec, s[4:5]
	s_and_saveexec_b64 s[4:5], vcc
	s_cbranch_execz .LBB219_151
; %bb.150:
	v_mov_b32_e32 v0, 0x90
	v_lshl_add_u32 v0, v11, 2, v0
	ds_read_b32 v0, v0 offset:64
	s_waitcnt lgkmcnt(0)
	v_add_f32_e32 v3, v3, v0
.LBB219_151:
	s_or_b64 exec, exec, s[4:5]
.LBB219_152:
	s_or_b64 exec, exec, s[0:1]
	v_cmp_eq_u32_e32 vcc, 0, v4
	s_barrier
	s_and_saveexec_b64 s[0:1], vcc
	s_cbranch_execz .LBB219_154
; %bb.153:
	s_lshl_b32 s0, s2, 5
	s_ashr_i32 s1, s0, 31
	s_lshl_b64 s[0:1], s[0:1], 2
	s_add_u32 s2, s26, s0
	s_mul_i32 s0, s25, s24
	s_addc_u32 s3, s27, s1
	s_ashr_i32 s1, s0, 31
	s_lshl_b64 s[0:1], s[0:1], 2
	s_add_u32 s2, s2, s0
	s_addc_u32 s3, s3, s1
	s_ashr_i32 s13, s12, 31
	s_lshl_b64 s[0:1], s[12:13], 2
	s_add_u32 s0, s2, s0
	s_addc_u32 s1, s3, s1
	global_store_dword v1, v2, s[0:1]
	global_store_dword v1, v3, s[0:1] offset:64
.LBB219_154:
	s_endpgm
	.section	.rodata,"a",@progbits
	.p2align	6, 0x0
	.amdhsa_kernel _ZN4vllm25paged_attention_v2_kernelIfhLi32ELi16ELi128ELNS_18Fp8KVCacheDataTypeE1ELb0ELi512EEEvPfS2_PT_PKS3_PKT0_S9_ifPKiSB_iPKfiiiSD_SD_iiiii
		.amdhsa_group_segment_fixed_size 144
		.amdhsa_private_segment_fixed_size 0
		.amdhsa_kernarg_size 400
		.amdhsa_user_sgpr_count 6
		.amdhsa_user_sgpr_private_segment_buffer 1
		.amdhsa_user_sgpr_dispatch_ptr 0
		.amdhsa_user_sgpr_queue_ptr 0
		.amdhsa_user_sgpr_kernarg_segment_ptr 1
		.amdhsa_user_sgpr_dispatch_id 0
		.amdhsa_user_sgpr_flat_scratch_init 0
		.amdhsa_user_sgpr_kernarg_preload_length 0
		.amdhsa_user_sgpr_kernarg_preload_offset 0
		.amdhsa_user_sgpr_private_segment_size 0
		.amdhsa_uses_dynamic_stack 0
		.amdhsa_system_sgpr_private_segment_wavefront_offset 0
		.amdhsa_system_sgpr_workgroup_id_x 1
		.amdhsa_system_sgpr_workgroup_id_y 1
		.amdhsa_system_sgpr_workgroup_id_z 1
		.amdhsa_system_sgpr_workgroup_info 0
		.amdhsa_system_vgpr_workitem_id 0
		.amdhsa_next_free_vgpr 46
		.amdhsa_next_free_sgpr 51
		.amdhsa_accum_offset 48
		.amdhsa_reserve_vcc 1
		.amdhsa_reserve_flat_scratch 0
		.amdhsa_float_round_mode_32 0
		.amdhsa_float_round_mode_16_64 0
		.amdhsa_float_denorm_mode_32 3
		.amdhsa_float_denorm_mode_16_64 3
		.amdhsa_dx10_clamp 1
		.amdhsa_ieee_mode 1
		.amdhsa_fp16_overflow 0
		.amdhsa_tg_split 0
		.amdhsa_exception_fp_ieee_invalid_op 0
		.amdhsa_exception_fp_denorm_src 0
		.amdhsa_exception_fp_ieee_div_zero 0
		.amdhsa_exception_fp_ieee_overflow 0
		.amdhsa_exception_fp_ieee_underflow 0
		.amdhsa_exception_fp_ieee_inexact 0
		.amdhsa_exception_int_div_zero 0
	.end_amdhsa_kernel
	.section	.text._ZN4vllm25paged_attention_v2_kernelIfhLi32ELi16ELi128ELNS_18Fp8KVCacheDataTypeE1ELb0ELi512EEEvPfS2_PT_PKS3_PKT0_S9_ifPKiSB_iPKfiiiSD_SD_iiiii,"axG",@progbits,_ZN4vllm25paged_attention_v2_kernelIfhLi32ELi16ELi128ELNS_18Fp8KVCacheDataTypeE1ELb0ELi512EEEvPfS2_PT_PKS3_PKT0_S9_ifPKiSB_iPKfiiiSD_SD_iiiii,comdat
.Lfunc_end219:
	.size	_ZN4vllm25paged_attention_v2_kernelIfhLi32ELi16ELi128ELNS_18Fp8KVCacheDataTypeE1ELb0ELi512EEEvPfS2_PT_PKS3_PKT0_S9_ifPKiSB_iPKfiiiSD_SD_iiiii, .Lfunc_end219-_ZN4vllm25paged_attention_v2_kernelIfhLi32ELi16ELi128ELNS_18Fp8KVCacheDataTypeE1ELb0ELi512EEEvPfS2_PT_PKS3_PKT0_S9_ifPKiSB_iPKfiiiSD_SD_iiiii
                                        ; -- End function
	.section	.AMDGPU.csdata,"",@progbits
; Kernel info:
; codeLenInByte = 6352
; NumSgprs: 55
; NumVgprs: 46
; NumAgprs: 0
; TotalNumVgprs: 46
; ScratchSize: 0
; MemoryBound: 0
; FloatMode: 240
; IeeeMode: 1
; LDSByteSize: 144 bytes/workgroup (compile time only)
; SGPRBlocks: 6
; VGPRBlocks: 5
; NumSGPRsForWavesPerEU: 55
; NumVGPRsForWavesPerEU: 46
; AccumOffset: 48
; Occupancy: 8
; WaveLimiterHint : 1
; COMPUTE_PGM_RSRC2:SCRATCH_EN: 0
; COMPUTE_PGM_RSRC2:USER_SGPR: 6
; COMPUTE_PGM_RSRC2:TRAP_HANDLER: 0
; COMPUTE_PGM_RSRC2:TGID_X_EN: 1
; COMPUTE_PGM_RSRC2:TGID_Y_EN: 1
; COMPUTE_PGM_RSRC2:TGID_Z_EN: 1
; COMPUTE_PGM_RSRC2:TIDIG_COMP_CNT: 0
; COMPUTE_PGM_RSRC3_GFX90A:ACCUM_OFFSET: 11
; COMPUTE_PGM_RSRC3_GFX90A:TG_SPLIT: 0
	.section	.text._ZN4vllm25paged_attention_v2_kernelIfhLi64ELi16ELi128ELNS_18Fp8KVCacheDataTypeE1ELb0ELi512EEEvPfS2_PT_PKS3_PKT0_S9_ifPKiSB_iPKfiiiSD_SD_iiiii,"axG",@progbits,_ZN4vllm25paged_attention_v2_kernelIfhLi64ELi16ELi128ELNS_18Fp8KVCacheDataTypeE1ELb0ELi512EEEvPfS2_PT_PKS3_PKT0_S9_ifPKiSB_iPKfiiiSD_SD_iiiii,comdat
	.protected	_ZN4vllm25paged_attention_v2_kernelIfhLi64ELi16ELi128ELNS_18Fp8KVCacheDataTypeE1ELb0ELi512EEEvPfS2_PT_PKS3_PKT0_S9_ifPKiSB_iPKfiiiSD_SD_iiiii ; -- Begin function _ZN4vllm25paged_attention_v2_kernelIfhLi64ELi16ELi128ELNS_18Fp8KVCacheDataTypeE1ELb0ELi512EEEvPfS2_PT_PKS3_PKT0_S9_ifPKiSB_iPKfiiiSD_SD_iiiii
	.globl	_ZN4vllm25paged_attention_v2_kernelIfhLi64ELi16ELi128ELNS_18Fp8KVCacheDataTypeE1ELb0ELi512EEEvPfS2_PT_PKS3_PKT0_S9_ifPKiSB_iPKfiiiSD_SD_iiiii
	.p2align	8
	.type	_ZN4vllm25paged_attention_v2_kernelIfhLi64ELi16ELi128ELNS_18Fp8KVCacheDataTypeE1ELb0ELi512EEEvPfS2_PT_PKS3_PKT0_S9_ifPKiSB_iPKfiiiSD_SD_iiiii,@function
_ZN4vllm25paged_attention_v2_kernelIfhLi64ELi16ELi128ELNS_18Fp8KVCacheDataTypeE1ELb0ELi512EEEvPfS2_PT_PKS3_PKT0_S9_ifPKiSB_iPKfiiiSD_SD_iiiii: ; @_ZN4vllm25paged_attention_v2_kernelIfhLi64ELi16ELi128ELNS_18Fp8KVCacheDataTypeE1ELb0ELi512EEEvPfS2_PT_PKS3_PKT0_S9_ifPKiSB_iPKfiiiSD_SD_iiiii
; %bb.0:
	s_load_dwordx2 s[0:1], s[4:5], 0x40
	s_mov_b32 s28, s7
	s_ashr_i32 s29, s7, 31
	s_lshl_b64 s[2:3], s[28:29], 2
	s_waitcnt lgkmcnt(0)
	s_add_u32 s0, s0, s2
	s_addc_u32 s1, s1, s3
	s_load_dword s29, s[0:1], 0x0
	s_lshl_b32 s46, s8, 9
	s_waitcnt lgkmcnt(0)
	s_cmp_ge_i32 s46, s29
	s_cbranch_scc1 .LBB220_255
; %bb.1:
	s_load_dword s9, s[4:5], 0x90
	s_load_dwordx2 s[38:39], s[4:5], 0x30
	s_waitcnt lgkmcnt(0)
	s_abs_i32 s2, s9
	s_abs_i32 s0, s38
	v_cvt_f32_u32_e32 v1, s0
	s_sub_i32 s3, 0, s0
	s_xor_b32 s1, s9, s38
	s_ashr_i32 s1, s1, 31
	v_rcp_iflag_f32_e32 v1, v1
	s_mov_b32 s38, 0
	v_mul_f32_e32 v1, 0x4f7ffffe, v1
	v_cvt_u32_f32_e32 v1, v1
	v_readfirstlane_b32 s7, v1
	s_mul_i32 s3, s3, s7
	s_mul_hi_u32 s3, s7, s3
	s_add_i32 s7, s7, s3
	s_mul_hi_u32 s3, s2, s7
	s_mul_i32 s7, s3, s0
	s_sub_i32 s2, s2, s7
	s_add_i32 s10, s3, 1
	s_sub_i32 s7, s2, s0
	s_cmp_ge_u32 s2, s0
	s_cselect_b32 s3, s10, s3
	s_cselect_b32 s2, s7, s2
	s_add_i32 s7, s3, 1
	s_cmp_ge_u32 s2, s0
	s_cselect_b32 s0, s7, s3
	s_xor_b32 s0, s0, s1
	s_sub_i32 s2, s0, s1
	s_abs_i32 s10, s2
	v_cvt_f32_u32_e32 v1, s10
	s_load_dwordx2 s[0:1], s[4:5], 0x50
	s_sub_i32 s3, 0, s10
	s_abs_i32 s11, s6
	v_rcp_iflag_f32_e32 v1, v1
	v_mul_f32_e32 v1, 0x4f7ffffe, v1
	v_cvt_u32_f32_e32 v1, v1
	v_readfirstlane_b32 s7, v1
	s_mul_i32 s3, s3, s7
	s_mul_hi_u32 s3, s7, s3
	s_add_i32 s7, s7, s3
	s_waitcnt lgkmcnt(0)
	s_cmp_eq_u64 s[0:1], 0
	s_mul_hi_u32 s12, s11, s7
	s_cbranch_scc1 .LBB220_3
; %bb.2:
	s_ashr_i32 s7, s6, 31
	s_lshl_b64 s[14:15], s[6:7], 2
	s_add_u32 s0, s0, s14
	s_addc_u32 s1, s1, s15
	s_load_dword s38, s[0:1], 0x0
.LBB220_3:
	s_load_dwordx4 s[16:19], s[4:5], 0x58
	v_lshrrev_b32_e32 v19, 2, v0
	s_ashr_i32 s13, s6, 31
	s_ashr_i32 s14, s2, 31
	v_and_b32_e32 v18, 3, v0
	s_lshl_b32 s24, s6, 6
	v_cmp_gt_u32_e64 s[0:1], 64, v0
	v_lshlrev_b32_e32 v31, 2, v0
	v_lshlrev_b32_e32 v1, 2, v19
	s_and_saveexec_b64 s[2:3], s[0:1]
	s_cbranch_execz .LBB220_5
; %bb.4:
	s_load_dwordx2 s[20:21], s[4:5], 0x18
	s_waitcnt lgkmcnt(0)
	s_mul_i32 s22, s28, s16
	s_ashr_i32 s23, s22, 31
	s_lshl_b64 s[22:23], s[22:23], 2
	v_lshl_add_u32 v3, v18, 6, v1
	s_add_u32 s7, s20, s22
	s_addc_u32 s15, s21, s23
	s_ashr_i32 s25, s24, 31
	s_lshl_b64 s[20:21], s[24:25], 2
	s_add_u32 s20, s7, s20
	s_addc_u32 s21, s15, s21
	global_load_dword v2, v31, s[20:21]
	s_waitcnt vmcnt(0)
	ds_write_b32 v3, v2
.LBB220_5:
	s_or_b64 exec, exec, s[2:3]
	s_add_i32 s2, s29, 15
	s_ashr_i32 s3, s2, 31
	s_lshr_b32 s3, s3, 28
	s_add_i32 s2, s2, s3
	s_lshl_b32 s7, s8, 5
	s_mul_i32 s3, s12, s10
	s_waitcnt lgkmcnt(0)
	s_ashr_i32 s16, s2, 4
	s_add_i32 s2, s7, 32
	s_sub_i32 s3, s11, s3
	s_min_i32 s33, s2, s16
	s_xor_b32 s2, s13, s14
	s_add_i32 s11, s12, 1
	s_sub_i32 s13, s3, s10
	s_cmp_ge_u32 s3, s10
	s_cselect_b32 s11, s11, s12
	s_cselect_b32 s3, s13, s3
	s_add_i32 s12, s11, 1
	s_cmp_ge_u32 s3, s10
	s_load_dwordx2 s[30:31], s[4:5], 0x38
	s_load_dword s10, s[4:5], 0x48
	v_lshrrev_b32_e32 v32, 6, v0
	s_cselect_b32 s3, s12, s11
	s_xor_b32 s3, s3, s2
	v_or_b32_e32 v20, s7, v32
	s_waitcnt lgkmcnt(0)
	s_mul_i32 s34, s28, s10
	s_sub_i32 s47, s3, s2
	s_ashr_i32 s35, s34, 31
	v_cmp_gt_i32_e64 s[2:3], s33, v20
	v_cmp_le_i32_e32 vcc, s33, v20
	v_mbcnt_lo_u32_b32 v24, -1, 0
	s_barrier
	s_waitcnt lgkmcnt(0)
                                        ; implicit-def: $sgpr19
                                        ; implicit-def: $vgpr33
                                        ; implicit-def: $vgpr34
	s_and_saveexec_b64 s[10:11], vcc
	s_xor_b64 s[10:11], exec, s[10:11]
; %bb.6:
	v_mbcnt_hi_u32_b32 v33, -1, v24
	v_and_b32_e32 v2, 64, v33
	v_add_u32_e32 v34, 64, v2
	s_mov_b32 s19, 0xff7fffff
                                        ; implicit-def: $vgpr24
; %bb.7:
	s_or_saveexec_b64 s[40:41], s[10:11]
	s_load_dwordx4 s[20:23], s[4:5], 0x0
	s_load_dwordx2 s[26:27], s[4:5], 0x10
	s_load_dword s25, s[4:5], 0x98
	s_load_dwordx2 s[36:37], s[4:5], 0x28
	s_load_dwordx4 s[12:15], s[4:5], 0x68
	v_mov_b32_e32 v35, s19
	s_mul_i32 s47, s47, s18
	v_ashrrev_i32_e32 v21, 31, v20
	s_xor_b64 exec, exec, s[40:41]
	s_cbranch_execz .LBB220_109
; %bb.8:
	s_load_dwordx2 s[4:5], s[4:5], 0x20
	s_ashr_i32 s10, s47, 31
	v_bfe_u32 v25, v0, 2, 4
	v_lshlrev_b32_e32 v2, 4, v25
	v_mbcnt_hi_u32_b32 v33, -1, v24
	s_waitcnt lgkmcnt(0)
	s_add_u32 s4, s4, s47
	s_addc_u32 s5, s5, s10
	v_mov_b32_e32 v3, s5
	v_add_co_u32_e32 v22, vcc, s4, v2
	v_and_b32_e32 v24, 64, v33
	v_addc_co_u32_e32 v23, vcc, 0, v3, vcc
	v_add_u32_e32 v34, 64, v24
	v_xor_b32_e32 v24, 2, v33
	v_cmp_lt_i32_e32 vcc, v24, v34
	v_cndmask_b32_e32 v24, v33, v24, vcc
	v_lshlrev_b32_e32 v36, 2, v24
	v_xor_b32_e32 v24, 1, v33
	v_lshlrev_b32_e32 v14, 6, v18
	v_cmp_lt_i32_e32 vcc, v24, v34
	ds_read_b128 v[2:5], v14
	ds_read_b128 v[6:9], v14 offset:16
	ds_read_b128 v[10:13], v14 offset:32
	ds_read_b128 v[14:17], v14 offset:48
	v_cndmask_b32_e32 v24, v33, v24, vcc
	v_lshlrev_b32_e32 v37, 2, v24
	v_lshlrev_b32_e32 v24, 4, v32
	s_load_dword s49, s[12:13], 0x0
	s_sub_i32 s50, 1, s29
	v_add3_u32 v38, s46, v24, v25
	v_lshlrev_b32_e32 v24, 2, v25
	s_lshl_b64 s[12:13], s[34:35], 2
	v_lshl_or_b32 v24, v32, 6, v24
	s_add_u32 s12, s30, s12
	v_add_u32_e32 v39, 0x110, v24
	v_lshlrev_b64 v[24:25], 2, v[20:21]
	s_addc_u32 s13, s31, s13
	v_mov_b32_e32 v26, s13
	v_add_co_u32_e32 v24, vcc, s12, v24
	s_mov_b32 s48, s17
	v_cmp_eq_u32_e64 s[4:5], 0, v18
	v_cmp_neq_f32_e64 s[10:11], s38, 0
	v_addc_co_u32_e32 v25, vcc, v26, v25, vcc
	s_mov_b64 s[12:13], 0
	v_mov_b32_e32 v35, 0xff7fffff
	s_movk_i32 s51, 0x80
	s_movk_i32 s52, 0x7f
	v_bfrev_b32_e32 v40, 60
	v_mov_b32_e32 v41, v20
	s_branch .LBB220_10
.LBB220_9:                              ;   in Loop: Header=BB220_10 Depth=1
	s_or_b64 exec, exec, s[18:19]
	v_add_u32_e32 v41, 2, v41
	v_cmp_le_i32_e32 vcc, s33, v41
	s_or_b64 s[12:13], vcc, s[12:13]
	v_add_co_u32_e32 v24, vcc, 8, v24
	v_add_u32_e32 v38, 32, v38
	v_add_u32_e32 v39, 0x80, v39
	v_addc_co_u32_e32 v25, vcc, 0, v25, vcc
	s_andn2_b64 exec, exec, s[12:13]
	s_cbranch_execz .LBB220_108
.LBB220_10:                             ; =>This Inner Loop Header: Depth=1
	global_load_dword v26, v[24:25], off
	v_mov_b32_e32 v42, 0
	s_waitcnt vmcnt(0) lgkmcnt(0)
	v_mad_i64_i32 v[26:27], s[18:19], v26, s48, v[22:23]
	v_add_co_u32_e32 v26, vcc, v26, v18
	v_addc_co_u32_e32 v27, vcc, 0, v27, vcc
	global_load_ubyte v29, v[26:27], off
	s_waitcnt vmcnt(0)
	v_cmp_ne_u16_e32 vcc, 0, v29
	s_and_saveexec_b64 s[18:19], vcc
	s_cbranch_execz .LBB220_16
; %bb.11:                               ;   in Loop: Header=BB220_10 Depth=1
	v_cmp_ne_u16_e32 vcc, s51, v29
	v_bfrev_b32_e32 v42, 1
	s_and_saveexec_b64 s[42:43], vcc
	s_cbranch_execz .LBB220_15
; %bb.12:                               ;   in Loop: Header=BB220_10 Depth=1
	v_and_b32_e32 v28, 0xffff, v29
	v_and_b32_e32 v30, 0x7f, v28
	v_cmp_ne_u32_e32 vcc, s52, v30
	v_mov_b32_e32 v42, 0x7f800001
	s_and_saveexec_b64 s[44:45], vcc
	s_cbranch_execz .LBB220_14
; %bb.13:                               ;   in Loop: Header=BB220_10 Depth=1
	v_and_b32_e32 v44, 7, v28
	v_ffbh_u32_e32 v42, v44
	v_min_u32_e32 v46, 32, v42
	v_subrev_u32_e32 v42, 28, v46
	v_lshlrev_b64 v[42:43], v42, v[28:29]
	v_lshrrev_b32_e32 v45, 3, v30
	v_sub_u32_e32 v28, 29, v46
	v_and_b32_e32 v42, 7, v42
	v_cmp_gt_u32_e32 vcc, 8, v30
	v_cndmask_b32_e32 v28, v45, v28, vcc
	v_cndmask_b32_e32 v30, v44, v42, vcc
	v_lshlrev_b32_e32 v29, 24, v29
	v_lshlrev_b32_e32 v30, 20, v30
	v_and_b32_e32 v29, 0x80000000, v29
	v_lshl_add_u32 v28, v28, 23, v40
	v_or3_b32 v42, v29, v28, v30
.LBB220_14:                             ;   in Loop: Header=BB220_10 Depth=1
	s_or_b64 exec, exec, s[44:45]
.LBB220_15:                             ;   in Loop: Header=BB220_10 Depth=1
	s_or_b64 exec, exec, s[42:43]
.LBB220_16:                             ;   in Loop: Header=BB220_10 Depth=1
	s_or_b64 exec, exec, s[18:19]
	global_load_ubyte v29, v[26:27], off offset:4
	v_mov_b32_e32 v43, 0
	s_waitcnt vmcnt(0)
	v_cmp_ne_u16_e32 vcc, 0, v29
	s_and_saveexec_b64 s[18:19], vcc
	s_cbranch_execz .LBB220_22
; %bb.17:                               ;   in Loop: Header=BB220_10 Depth=1
	v_cmp_ne_u16_e32 vcc, s51, v29
	v_bfrev_b32_e32 v43, 1
	s_and_saveexec_b64 s[42:43], vcc
	s_cbranch_execz .LBB220_21
; %bb.18:                               ;   in Loop: Header=BB220_10 Depth=1
	v_and_b32_e32 v28, 0xffff, v29
	v_and_b32_e32 v30, 0x7f, v28
	v_cmp_ne_u32_e32 vcc, s52, v30
	v_mov_b32_e32 v43, 0x7f800001
	s_and_saveexec_b64 s[44:45], vcc
	s_cbranch_execz .LBB220_20
; %bb.19:                               ;   in Loop: Header=BB220_10 Depth=1
	v_and_b32_e32 v43, 7, v28
	v_ffbh_u32_e32 v44, v43
	v_min_u32_e32 v47, 32, v44
	v_subrev_u32_e32 v44, 28, v47
	v_lshlrev_b64 v[44:45], v44, v[28:29]
	v_lshrrev_b32_e32 v46, 3, v30
	v_sub_u32_e32 v28, 29, v47
	v_and_b32_e32 v44, 7, v44
	v_cmp_gt_u32_e32 vcc, 8, v30
	v_cndmask_b32_e32 v28, v46, v28, vcc
	v_cndmask_b32_e32 v30, v43, v44, vcc
	v_lshlrev_b32_e32 v29, 24, v29
	v_lshlrev_b32_e32 v30, 20, v30
	v_and_b32_e32 v29, 0x80000000, v29
	v_lshl_add_u32 v28, v28, 23, v40
	v_or3_b32 v43, v29, v28, v30
.LBB220_20:                             ;   in Loop: Header=BB220_10 Depth=1
	s_or_b64 exec, exec, s[44:45]
.LBB220_21:                             ;   in Loop: Header=BB220_10 Depth=1
	s_or_b64 exec, exec, s[42:43]
.LBB220_22:                             ;   in Loop: Header=BB220_10 Depth=1
	s_or_b64 exec, exec, s[18:19]
	global_load_ubyte v29, v[26:27], off offset:8
	v_mov_b32_e32 v44, 0
	v_mov_b32_e32 v45, 0
	s_waitcnt vmcnt(0)
	v_cmp_ne_u16_e32 vcc, 0, v29
	s_and_saveexec_b64 s[18:19], vcc
	s_cbranch_execz .LBB220_28
; %bb.23:                               ;   in Loop: Header=BB220_10 Depth=1
	v_cmp_ne_u16_e32 vcc, s51, v29
	v_bfrev_b32_e32 v45, 1
	s_and_saveexec_b64 s[42:43], vcc
	s_cbranch_execz .LBB220_27
; %bb.24:                               ;   in Loop: Header=BB220_10 Depth=1
	v_and_b32_e32 v28, 0xffff, v29
	v_and_b32_e32 v30, 0x7f, v28
	v_cmp_ne_u32_e32 vcc, s52, v30
	v_mov_b32_e32 v45, 0x7f800001
	s_and_saveexec_b64 s[44:45], vcc
	s_cbranch_execz .LBB220_26
; %bb.25:                               ;   in Loop: Header=BB220_10 Depth=1
	v_and_b32_e32 v45, 7, v28
	v_ffbh_u32_e32 v46, v45
	v_min_u32_e32 v49, 32, v46
	v_subrev_u32_e32 v46, 28, v49
	v_lshlrev_b64 v[46:47], v46, v[28:29]
	v_lshrrev_b32_e32 v48, 3, v30
	v_sub_u32_e32 v28, 29, v49
	v_and_b32_e32 v46, 7, v46
	v_cmp_gt_u32_e32 vcc, 8, v30
	v_cndmask_b32_e32 v28, v48, v28, vcc
	v_cndmask_b32_e32 v30, v45, v46, vcc
	v_lshlrev_b32_e32 v29, 24, v29
	v_lshlrev_b32_e32 v30, 20, v30
	v_and_b32_e32 v29, 0x80000000, v29
	v_lshl_add_u32 v28, v28, 23, v40
	v_or3_b32 v45, v29, v28, v30
.LBB220_26:                             ;   in Loop: Header=BB220_10 Depth=1
	s_or_b64 exec, exec, s[44:45]
.LBB220_27:                             ;   in Loop: Header=BB220_10 Depth=1
	s_or_b64 exec, exec, s[42:43]
.LBB220_28:                             ;   in Loop: Header=BB220_10 Depth=1
	s_or_b64 exec, exec, s[18:19]
	global_load_ubyte v29, v[26:27], off offset:12
	s_waitcnt vmcnt(0)
	v_cmp_ne_u16_e32 vcc, 0, v29
	s_and_saveexec_b64 s[18:19], vcc
	s_cbranch_execz .LBB220_34
; %bb.29:                               ;   in Loop: Header=BB220_10 Depth=1
	v_cmp_ne_u16_e32 vcc, s51, v29
	v_bfrev_b32_e32 v44, 1
	s_and_saveexec_b64 s[42:43], vcc
	s_cbranch_execz .LBB220_33
; %bb.30:                               ;   in Loop: Header=BB220_10 Depth=1
	v_and_b32_e32 v28, 0xffff, v29
	v_and_b32_e32 v30, 0x7f, v28
	v_cmp_ne_u32_e32 vcc, s52, v30
	v_mov_b32_e32 v44, 0x7f800001
	s_and_saveexec_b64 s[44:45], vcc
	s_cbranch_execz .LBB220_32
; %bb.31:                               ;   in Loop: Header=BB220_10 Depth=1
	v_and_b32_e32 v44, 7, v28
	v_ffbh_u32_e32 v46, v44
	v_min_u32_e32 v49, 32, v46
	v_subrev_u32_e32 v46, 28, v49
	v_lshlrev_b64 v[46:47], v46, v[28:29]
	v_lshrrev_b32_e32 v48, 3, v30
	v_sub_u32_e32 v28, 29, v49
	v_and_b32_e32 v46, 7, v46
	v_cmp_gt_u32_e32 vcc, 8, v30
	v_cndmask_b32_e32 v28, v48, v28, vcc
	v_cndmask_b32_e32 v30, v44, v46, vcc
	v_lshlrev_b32_e32 v29, 24, v29
	v_lshlrev_b32_e32 v30, 20, v30
	v_and_b32_e32 v29, 0x80000000, v29
	v_lshl_add_u32 v28, v28, 23, v40
	v_or3_b32 v44, v29, v28, v30
.LBB220_32:                             ;   in Loop: Header=BB220_10 Depth=1
	s_or_b64 exec, exec, s[44:45]
.LBB220_33:                             ;   in Loop: Header=BB220_10 Depth=1
	s_or_b64 exec, exec, s[42:43]
.LBB220_34:                             ;   in Loop: Header=BB220_10 Depth=1
	s_or_b64 exec, exec, s[18:19]
	global_load_ubyte v29, v[26:27], off offset:256
	v_mov_b32_e32 v46, 0
	v_mov_b32_e32 v47, 0
	s_waitcnt vmcnt(0)
	v_cmp_ne_u16_e32 vcc, 0, v29
	s_and_saveexec_b64 s[18:19], vcc
	s_cbranch_execz .LBB220_40
; %bb.35:                               ;   in Loop: Header=BB220_10 Depth=1
	v_cmp_ne_u16_e32 vcc, s51, v29
	v_bfrev_b32_e32 v47, 1
	s_and_saveexec_b64 s[42:43], vcc
	s_cbranch_execz .LBB220_39
; %bb.36:                               ;   in Loop: Header=BB220_10 Depth=1
	v_and_b32_e32 v28, 0xffff, v29
	v_and_b32_e32 v30, 0x7f, v28
	v_cmp_ne_u32_e32 vcc, s52, v30
	v_mov_b32_e32 v47, 0x7f800001
	s_and_saveexec_b64 s[44:45], vcc
	s_cbranch_execz .LBB220_38
; %bb.37:                               ;   in Loop: Header=BB220_10 Depth=1
	v_and_b32_e32 v47, 7, v28
	v_ffbh_u32_e32 v48, v47
	v_min_u32_e32 v51, 32, v48
	v_subrev_u32_e32 v48, 28, v51
	v_lshlrev_b64 v[48:49], v48, v[28:29]
	v_lshrrev_b32_e32 v50, 3, v30
	v_sub_u32_e32 v28, 29, v51
	v_and_b32_e32 v48, 7, v48
	v_cmp_gt_u32_e32 vcc, 8, v30
	v_cndmask_b32_e32 v28, v50, v28, vcc
	v_cndmask_b32_e32 v30, v47, v48, vcc
	v_lshlrev_b32_e32 v29, 24, v29
	v_lshlrev_b32_e32 v30, 20, v30
	v_and_b32_e32 v29, 0x80000000, v29
	v_lshl_add_u32 v28, v28, 23, v40
	v_or3_b32 v47, v29, v28, v30
.LBB220_38:                             ;   in Loop: Header=BB220_10 Depth=1
	s_or_b64 exec, exec, s[44:45]
.LBB220_39:                             ;   in Loop: Header=BB220_10 Depth=1
	s_or_b64 exec, exec, s[42:43]
.LBB220_40:                             ;   in Loop: Header=BB220_10 Depth=1
	s_or_b64 exec, exec, s[18:19]
	global_load_ubyte v29, v[26:27], off offset:260
	s_waitcnt vmcnt(0)
	v_cmp_ne_u16_e32 vcc, 0, v29
	s_and_saveexec_b64 s[18:19], vcc
	s_cbranch_execz .LBB220_46
; %bb.41:                               ;   in Loop: Header=BB220_10 Depth=1
	v_cmp_ne_u16_e32 vcc, s51, v29
	v_bfrev_b32_e32 v46, 1
	s_and_saveexec_b64 s[42:43], vcc
	s_cbranch_execz .LBB220_45
; %bb.42:                               ;   in Loop: Header=BB220_10 Depth=1
	v_and_b32_e32 v28, 0xffff, v29
	v_and_b32_e32 v30, 0x7f, v28
	v_cmp_ne_u32_e32 vcc, s52, v30
	v_mov_b32_e32 v46, 0x7f800001
	s_and_saveexec_b64 s[44:45], vcc
	s_cbranch_execz .LBB220_44
; %bb.43:                               ;   in Loop: Header=BB220_10 Depth=1
	v_and_b32_e32 v46, 7, v28
	v_ffbh_u32_e32 v48, v46
	v_min_u32_e32 v51, 32, v48
	v_subrev_u32_e32 v48, 28, v51
	v_lshlrev_b64 v[48:49], v48, v[28:29]
	v_lshrrev_b32_e32 v50, 3, v30
	v_sub_u32_e32 v28, 29, v51
	v_and_b32_e32 v48, 7, v48
	v_cmp_gt_u32_e32 vcc, 8, v30
	v_cndmask_b32_e32 v28, v50, v28, vcc
	v_cndmask_b32_e32 v30, v46, v48, vcc
	v_lshlrev_b32_e32 v29, 24, v29
	v_lshlrev_b32_e32 v30, 20, v30
	v_and_b32_e32 v29, 0x80000000, v29
	v_lshl_add_u32 v28, v28, 23, v40
	v_or3_b32 v46, v29, v28, v30
.LBB220_44:                             ;   in Loop: Header=BB220_10 Depth=1
	s_or_b64 exec, exec, s[44:45]
.LBB220_45:                             ;   in Loop: Header=BB220_10 Depth=1
	s_or_b64 exec, exec, s[42:43]
.LBB220_46:                             ;   in Loop: Header=BB220_10 Depth=1
	s_or_b64 exec, exec, s[18:19]
	v_add_co_u32_e32 v28, vcc, 0x100, v26
	v_addc_co_u32_e32 v29, vcc, 0, v27, vcc
	global_load_ubyte v50, v[28:29], off offset:8
	v_mov_b32_e32 v48, 0
	v_mov_b32_e32 v49, 0
	s_waitcnt vmcnt(0)
	v_cmp_ne_u16_e32 vcc, 0, v50
	s_and_saveexec_b64 s[18:19], vcc
	s_cbranch_execz .LBB220_52
; %bb.47:                               ;   in Loop: Header=BB220_10 Depth=1
	v_cmp_ne_u16_e32 vcc, s51, v50
	v_bfrev_b32_e32 v49, 1
	s_and_saveexec_b64 s[42:43], vcc
	s_cbranch_execz .LBB220_51
; %bb.48:                               ;   in Loop: Header=BB220_10 Depth=1
	v_and_b32_e32 v30, 0xffff, v50
	v_and_b32_e32 v51, 0x7f, v30
	v_cmp_ne_u32_e32 vcc, s52, v51
	v_mov_b32_e32 v49, 0x7f800001
	s_and_saveexec_b64 s[44:45], vcc
	s_cbranch_execz .LBB220_50
; %bb.49:                               ;   in Loop: Header=BB220_10 Depth=1
	v_and_b32_e32 v49, 7, v30
	v_ffbh_u32_e32 v52, v49
	v_min_u32_e32 v55, 32, v52
	v_subrev_u32_e32 v52, 28, v55
	v_lshlrev_b64 v[52:53], v52, v[30:31]
	v_lshrrev_b32_e32 v54, 3, v51
	v_sub_u32_e32 v30, 29, v55
	v_and_b32_e32 v52, 7, v52
	v_cmp_gt_u32_e32 vcc, 8, v51
	v_cndmask_b32_e32 v30, v54, v30, vcc
	v_cndmask_b32_e32 v49, v49, v52, vcc
	v_lshlrev_b32_e32 v50, 24, v50
	v_lshlrev_b32_e32 v49, 20, v49
	v_and_b32_e32 v50, 0x80000000, v50
	v_lshl_add_u32 v30, v30, 23, v40
	v_or3_b32 v49, v50, v30, v49
.LBB220_50:                             ;   in Loop: Header=BB220_10 Depth=1
	s_or_b64 exec, exec, s[44:45]
.LBB220_51:                             ;   in Loop: Header=BB220_10 Depth=1
	s_or_b64 exec, exec, s[42:43]
.LBB220_52:                             ;   in Loop: Header=BB220_10 Depth=1
	s_or_b64 exec, exec, s[18:19]
	global_load_ubyte v29, v[28:29], off offset:12
	s_waitcnt vmcnt(0)
	v_cmp_ne_u16_e32 vcc, 0, v29
	s_and_saveexec_b64 s[18:19], vcc
	s_cbranch_execz .LBB220_58
; %bb.53:                               ;   in Loop: Header=BB220_10 Depth=1
	v_cmp_ne_u16_e32 vcc, s51, v29
	v_bfrev_b32_e32 v48, 1
	s_and_saveexec_b64 s[42:43], vcc
	s_cbranch_execz .LBB220_57
; %bb.54:                               ;   in Loop: Header=BB220_10 Depth=1
	v_and_b32_e32 v28, 0xffff, v29
	v_and_b32_e32 v30, 0x7f, v28
	v_cmp_ne_u32_e32 vcc, s52, v30
	v_mov_b32_e32 v48, 0x7f800001
	s_and_saveexec_b64 s[44:45], vcc
	s_cbranch_execz .LBB220_56
; %bb.55:                               ;   in Loop: Header=BB220_10 Depth=1
	v_and_b32_e32 v48, 7, v28
	v_ffbh_u32_e32 v50, v48
	v_min_u32_e32 v53, 32, v50
	v_subrev_u32_e32 v50, 28, v53
	v_lshlrev_b64 v[50:51], v50, v[28:29]
	v_lshrrev_b32_e32 v52, 3, v30
	v_sub_u32_e32 v28, 29, v53
	v_and_b32_e32 v50, 7, v50
	v_cmp_gt_u32_e32 vcc, 8, v30
	v_cndmask_b32_e32 v28, v52, v28, vcc
	v_cndmask_b32_e32 v30, v48, v50, vcc
	v_lshlrev_b32_e32 v29, 24, v29
	v_lshlrev_b32_e32 v30, 20, v30
	v_and_b32_e32 v29, 0x80000000, v29
	v_lshl_add_u32 v28, v28, 23, v40
	v_or3_b32 v48, v29, v28, v30
.LBB220_56:                             ;   in Loop: Header=BB220_10 Depth=1
	s_or_b64 exec, exec, s[44:45]
.LBB220_57:                             ;   in Loop: Header=BB220_10 Depth=1
	s_or_b64 exec, exec, s[42:43]
.LBB220_58:                             ;   in Loop: Header=BB220_10 Depth=1
	s_or_b64 exec, exec, s[18:19]
	global_load_ubyte v29, v[26:27], off offset:512
	v_mov_b32_e32 v50, 0
	v_mov_b32_e32 v51, 0
	s_waitcnt vmcnt(0)
	v_cmp_ne_u16_e32 vcc, 0, v29
	s_and_saveexec_b64 s[18:19], vcc
	s_cbranch_execz .LBB220_64
; %bb.59:                               ;   in Loop: Header=BB220_10 Depth=1
	v_cmp_ne_u16_e32 vcc, s51, v29
	v_bfrev_b32_e32 v51, 1
	s_and_saveexec_b64 s[42:43], vcc
	s_cbranch_execz .LBB220_63
; %bb.60:                               ;   in Loop: Header=BB220_10 Depth=1
	v_and_b32_e32 v28, 0xffff, v29
	v_and_b32_e32 v30, 0x7f, v28
	v_cmp_ne_u32_e32 vcc, s52, v30
	v_mov_b32_e32 v51, 0x7f800001
	s_and_saveexec_b64 s[44:45], vcc
	s_cbranch_execz .LBB220_62
; %bb.61:                               ;   in Loop: Header=BB220_10 Depth=1
	v_and_b32_e32 v51, 7, v28
	v_ffbh_u32_e32 v52, v51
	v_min_u32_e32 v55, 32, v52
	v_subrev_u32_e32 v52, 28, v55
	v_lshlrev_b64 v[52:53], v52, v[28:29]
	v_lshrrev_b32_e32 v54, 3, v30
	v_sub_u32_e32 v28, 29, v55
	v_and_b32_e32 v52, 7, v52
	v_cmp_gt_u32_e32 vcc, 8, v30
	v_cndmask_b32_e32 v28, v54, v28, vcc
	v_cndmask_b32_e32 v30, v51, v52, vcc
	v_lshlrev_b32_e32 v29, 24, v29
	v_lshlrev_b32_e32 v30, 20, v30
	v_and_b32_e32 v29, 0x80000000, v29
	v_lshl_add_u32 v28, v28, 23, v40
	v_or3_b32 v51, v29, v28, v30
.LBB220_62:                             ;   in Loop: Header=BB220_10 Depth=1
	s_or_b64 exec, exec, s[44:45]
.LBB220_63:                             ;   in Loop: Header=BB220_10 Depth=1
	s_or_b64 exec, exec, s[42:43]
.LBB220_64:                             ;   in Loop: Header=BB220_10 Depth=1
	s_or_b64 exec, exec, s[18:19]
	global_load_ubyte v29, v[26:27], off offset:516
	s_waitcnt vmcnt(0)
	v_cmp_ne_u16_e32 vcc, 0, v29
	s_and_saveexec_b64 s[18:19], vcc
	s_cbranch_execz .LBB220_70
; %bb.65:                               ;   in Loop: Header=BB220_10 Depth=1
	v_cmp_ne_u16_e32 vcc, s51, v29
	v_bfrev_b32_e32 v50, 1
	s_and_saveexec_b64 s[42:43], vcc
	s_cbranch_execz .LBB220_69
; %bb.66:                               ;   in Loop: Header=BB220_10 Depth=1
	v_and_b32_e32 v28, 0xffff, v29
	v_and_b32_e32 v30, 0x7f, v28
	v_cmp_ne_u32_e32 vcc, s52, v30
	v_mov_b32_e32 v50, 0x7f800001
	s_and_saveexec_b64 s[44:45], vcc
	s_cbranch_execz .LBB220_68
; %bb.67:                               ;   in Loop: Header=BB220_10 Depth=1
	v_and_b32_e32 v50, 7, v28
	v_ffbh_u32_e32 v52, v50
	v_min_u32_e32 v55, 32, v52
	v_subrev_u32_e32 v52, 28, v55
	v_lshlrev_b64 v[52:53], v52, v[28:29]
	v_lshrrev_b32_e32 v54, 3, v30
	v_sub_u32_e32 v28, 29, v55
	v_and_b32_e32 v52, 7, v52
	v_cmp_gt_u32_e32 vcc, 8, v30
	v_cndmask_b32_e32 v28, v54, v28, vcc
	v_cndmask_b32_e32 v30, v50, v52, vcc
	v_lshlrev_b32_e32 v29, 24, v29
	v_lshlrev_b32_e32 v30, 20, v30
	v_and_b32_e32 v29, 0x80000000, v29
	v_lshl_add_u32 v28, v28, 23, v40
	v_or3_b32 v50, v29, v28, v30
.LBB220_68:                             ;   in Loop: Header=BB220_10 Depth=1
	s_or_b64 exec, exec, s[44:45]
.LBB220_69:                             ;   in Loop: Header=BB220_10 Depth=1
	s_or_b64 exec, exec, s[42:43]
.LBB220_70:                             ;   in Loop: Header=BB220_10 Depth=1
	s_or_b64 exec, exec, s[18:19]
	v_add_co_u32_e32 v28, vcc, 0x200, v26
	v_addc_co_u32_e32 v29, vcc, 0, v27, vcc
	global_load_ubyte v54, v[28:29], off offset:8
	v_mov_b32_e32 v52, 0
	v_mov_b32_e32 v53, 0
	s_waitcnt vmcnt(0)
	v_cmp_ne_u16_e32 vcc, 0, v54
	s_and_saveexec_b64 s[18:19], vcc
	s_cbranch_execz .LBB220_76
; %bb.71:                               ;   in Loop: Header=BB220_10 Depth=1
	v_cmp_ne_u16_e32 vcc, s51, v54
	v_bfrev_b32_e32 v53, 1
	s_and_saveexec_b64 s[42:43], vcc
	s_cbranch_execz .LBB220_75
; %bb.72:                               ;   in Loop: Header=BB220_10 Depth=1
	v_and_b32_e32 v30, 0xffff, v54
	v_and_b32_e32 v55, 0x7f, v30
	v_cmp_ne_u32_e32 vcc, s52, v55
	v_mov_b32_e32 v53, 0x7f800001
	s_and_saveexec_b64 s[44:45], vcc
	s_cbranch_execz .LBB220_74
; %bb.73:                               ;   in Loop: Header=BB220_10 Depth=1
	v_and_b32_e32 v53, 7, v30
	v_ffbh_u32_e32 v56, v53
	v_min_u32_e32 v59, 32, v56
	v_subrev_u32_e32 v56, 28, v59
	v_lshlrev_b64 v[56:57], v56, v[30:31]
	v_lshrrev_b32_e32 v58, 3, v55
	v_sub_u32_e32 v30, 29, v59
	v_and_b32_e32 v56, 7, v56
	v_cmp_gt_u32_e32 vcc, 8, v55
	v_cndmask_b32_e32 v30, v58, v30, vcc
	v_cndmask_b32_e32 v53, v53, v56, vcc
	v_lshlrev_b32_e32 v54, 24, v54
	v_lshlrev_b32_e32 v53, 20, v53
	v_and_b32_e32 v54, 0x80000000, v54
	v_lshl_add_u32 v30, v30, 23, v40
	v_or3_b32 v53, v54, v30, v53
.LBB220_74:                             ;   in Loop: Header=BB220_10 Depth=1
	s_or_b64 exec, exec, s[44:45]
.LBB220_75:                             ;   in Loop: Header=BB220_10 Depth=1
	s_or_b64 exec, exec, s[42:43]
.LBB220_76:                             ;   in Loop: Header=BB220_10 Depth=1
	s_or_b64 exec, exec, s[18:19]
	global_load_ubyte v29, v[28:29], off offset:12
	s_waitcnt vmcnt(0)
	v_cmp_ne_u16_e32 vcc, 0, v29
	s_and_saveexec_b64 s[18:19], vcc
	s_cbranch_execz .LBB220_82
; %bb.77:                               ;   in Loop: Header=BB220_10 Depth=1
	v_cmp_ne_u16_e32 vcc, s51, v29
	v_bfrev_b32_e32 v52, 1
	s_and_saveexec_b64 s[42:43], vcc
	s_cbranch_execz .LBB220_81
; %bb.78:                               ;   in Loop: Header=BB220_10 Depth=1
	v_and_b32_e32 v28, 0xffff, v29
	v_and_b32_e32 v30, 0x7f, v28
	v_cmp_ne_u32_e32 vcc, s52, v30
	v_mov_b32_e32 v52, 0x7f800001
	s_and_saveexec_b64 s[44:45], vcc
	s_cbranch_execz .LBB220_80
; %bb.79:                               ;   in Loop: Header=BB220_10 Depth=1
	v_and_b32_e32 v52, 7, v28
	v_ffbh_u32_e32 v54, v52
	v_min_u32_e32 v57, 32, v54
	v_subrev_u32_e32 v54, 28, v57
	v_lshlrev_b64 v[54:55], v54, v[28:29]
	v_lshrrev_b32_e32 v56, 3, v30
	v_sub_u32_e32 v28, 29, v57
	v_and_b32_e32 v54, 7, v54
	v_cmp_gt_u32_e32 vcc, 8, v30
	v_cndmask_b32_e32 v28, v56, v28, vcc
	v_cndmask_b32_e32 v30, v52, v54, vcc
	v_lshlrev_b32_e32 v29, 24, v29
	v_lshlrev_b32_e32 v30, 20, v30
	v_and_b32_e32 v29, 0x80000000, v29
	v_lshl_add_u32 v28, v28, 23, v40
	v_or3_b32 v52, v29, v28, v30
.LBB220_80:                             ;   in Loop: Header=BB220_10 Depth=1
	s_or_b64 exec, exec, s[44:45]
.LBB220_81:                             ;   in Loop: Header=BB220_10 Depth=1
	s_or_b64 exec, exec, s[42:43]
.LBB220_82:                             ;   in Loop: Header=BB220_10 Depth=1
	s_or_b64 exec, exec, s[18:19]
	global_load_ubyte v54, v[26:27], off offset:768
	v_mov_b32_e32 v29, 0
	v_mov_b32_e32 v30, 0
	s_waitcnt vmcnt(0)
	v_cmp_ne_u16_e32 vcc, 0, v54
	s_and_saveexec_b64 s[18:19], vcc
	s_cbranch_execz .LBB220_88
; %bb.83:                               ;   in Loop: Header=BB220_10 Depth=1
	v_cmp_ne_u16_e32 vcc, s51, v54
	v_bfrev_b32_e32 v30, 1
	s_and_saveexec_b64 s[42:43], vcc
	s_cbranch_execz .LBB220_87
; %bb.84:                               ;   in Loop: Header=BB220_10 Depth=1
	v_and_b32_e32 v28, 0xffff, v54
	v_and_b32_e32 v55, 0x7f, v28
	v_cmp_ne_u32_e32 vcc, s52, v55
	v_mov_b32_e32 v30, 0x7f800001
	s_and_saveexec_b64 s[44:45], vcc
	s_cbranch_execz .LBB220_86
; %bb.85:                               ;   in Loop: Header=BB220_10 Depth=1
	v_and_b32_e32 v30, 7, v28
	v_ffbh_u32_e32 v56, v30
	v_min_u32_e32 v59, 32, v56
	v_subrev_u32_e32 v56, 28, v59
	v_lshlrev_b64 v[56:57], v56, v[28:29]
	v_lshrrev_b32_e32 v58, 3, v55
	v_sub_u32_e32 v28, 29, v59
	v_and_b32_e32 v56, 7, v56
	v_cmp_gt_u32_e32 vcc, 8, v55
	v_cndmask_b32_e32 v28, v58, v28, vcc
	v_cndmask_b32_e32 v30, v30, v56, vcc
	v_lshlrev_b32_e32 v54, 24, v54
	v_lshlrev_b32_e32 v30, 20, v30
	v_and_b32_e32 v54, 0x80000000, v54
	v_lshl_add_u32 v28, v28, 23, v40
	v_or3_b32 v30, v54, v28, v30
.LBB220_86:                             ;   in Loop: Header=BB220_10 Depth=1
	s_or_b64 exec, exec, s[44:45]
.LBB220_87:                             ;   in Loop: Header=BB220_10 Depth=1
	s_or_b64 exec, exec, s[42:43]
.LBB220_88:                             ;   in Loop: Header=BB220_10 Depth=1
	s_or_b64 exec, exec, s[18:19]
	global_load_ubyte v54, v[26:27], off offset:772
	s_waitcnt vmcnt(0)
	v_cmp_ne_u16_e32 vcc, 0, v54
	s_and_saveexec_b64 s[18:19], vcc
	s_cbranch_execz .LBB220_94
; %bb.89:                               ;   in Loop: Header=BB220_10 Depth=1
	v_cmp_ne_u16_e32 vcc, s51, v54
	v_bfrev_b32_e32 v29, 1
	s_and_saveexec_b64 s[42:43], vcc
	s_cbranch_execz .LBB220_93
; %bb.90:                               ;   in Loop: Header=BB220_10 Depth=1
	v_and_b32_e32 v28, 0xffff, v54
	v_and_b32_e32 v55, 0x7f, v28
	v_cmp_ne_u32_e32 vcc, s52, v55
	v_mov_b32_e32 v29, 0x7f800001
	s_and_saveexec_b64 s[44:45], vcc
	s_cbranch_execz .LBB220_92
; %bb.91:                               ;   in Loop: Header=BB220_10 Depth=1
	v_and_b32_e32 v56, 7, v28
	v_ffbh_u32_e32 v29, v56
	v_min_u32_e32 v58, 32, v29
	v_subrev_u32_e32 v29, 28, v58
	v_lshlrev_b64 v[28:29], v29, v[28:29]
	v_lshrrev_b32_e32 v57, 3, v55
	v_sub_u32_e32 v29, 29, v58
	v_and_b32_e32 v28, 7, v28
	v_cmp_gt_u32_e32 vcc, 8, v55
	v_cndmask_b32_e32 v29, v57, v29, vcc
	v_cndmask_b32_e32 v28, v56, v28, vcc
	v_lshlrev_b32_e32 v54, 24, v54
	v_lshlrev_b32_e32 v28, 20, v28
	v_and_b32_e32 v54, 0x80000000, v54
	v_lshl_add_u32 v29, v29, 23, v40
	v_or3_b32 v29, v54, v29, v28
.LBB220_92:                             ;   in Loop: Header=BB220_10 Depth=1
	s_or_b64 exec, exec, s[44:45]
.LBB220_93:                             ;   in Loop: Header=BB220_10 Depth=1
	s_or_b64 exec, exec, s[42:43]
.LBB220_94:                             ;   in Loop: Header=BB220_10 Depth=1
	s_or_b64 exec, exec, s[18:19]
	v_add_co_u32_e32 v26, vcc, 0x300, v26
	v_addc_co_u32_e32 v27, vcc, 0, v27, vcc
	global_load_ubyte v56, v[26:27], off offset:8
	v_mov_b32_e32 v54, 0
	v_mov_b32_e32 v55, 0
	s_waitcnt vmcnt(0)
	v_cmp_ne_u16_e32 vcc, 0, v56
	s_and_saveexec_b64 s[18:19], vcc
	s_cbranch_execz .LBB220_100
; %bb.95:                               ;   in Loop: Header=BB220_10 Depth=1
	v_cmp_ne_u16_e32 vcc, s51, v56
	v_bfrev_b32_e32 v55, 1
	s_and_saveexec_b64 s[42:43], vcc
	s_cbranch_execz .LBB220_99
; %bb.96:                               ;   in Loop: Header=BB220_10 Depth=1
	v_and_b32_e32 v28, 0xffff, v56
	v_and_b32_e32 v57, 0x7f, v28
	v_cmp_ne_u32_e32 vcc, s52, v57
	v_mov_b32_e32 v55, 0x7f800001
	s_and_saveexec_b64 s[44:45], vcc
	s_cbranch_execz .LBB220_98
; %bb.97:                               ;   in Loop: Header=BB220_10 Depth=1
	v_and_b32_e32 v55, 7, v28
	v_ffbh_u32_e32 v58, v55
	v_min_u32_e32 v61, 32, v58
	v_subrev_u32_e32 v58, 28, v61
	v_lshlrev_b64 v[58:59], v58, v[28:29]
	v_lshrrev_b32_e32 v60, 3, v57
	v_sub_u32_e32 v28, 29, v61
	v_and_b32_e32 v58, 7, v58
	v_cmp_gt_u32_e32 vcc, 8, v57
	v_cndmask_b32_e32 v28, v60, v28, vcc
	v_cndmask_b32_e32 v55, v55, v58, vcc
	v_lshlrev_b32_e32 v56, 24, v56
	v_lshlrev_b32_e32 v55, 20, v55
	v_and_b32_e32 v56, 0x80000000, v56
	v_lshl_add_u32 v28, v28, 23, v40
	v_or3_b32 v55, v56, v28, v55
.LBB220_98:                             ;   in Loop: Header=BB220_10 Depth=1
	s_or_b64 exec, exec, s[44:45]
.LBB220_99:                             ;   in Loop: Header=BB220_10 Depth=1
	s_or_b64 exec, exec, s[42:43]
.LBB220_100:                            ;   in Loop: Header=BB220_10 Depth=1
	s_or_b64 exec, exec, s[18:19]
	global_load_ubyte v27, v[26:27], off offset:12
	s_waitcnt vmcnt(0)
	v_cmp_ne_u16_e32 vcc, 0, v27
	s_and_saveexec_b64 s[18:19], vcc
	s_cbranch_execz .LBB220_106
; %bb.101:                              ;   in Loop: Header=BB220_10 Depth=1
	v_cmp_ne_u16_e32 vcc, s51, v27
	v_bfrev_b32_e32 v54, 1
	s_and_saveexec_b64 s[42:43], vcc
	s_cbranch_execz .LBB220_105
; %bb.102:                              ;   in Loop: Header=BB220_10 Depth=1
	v_and_b32_e32 v26, 0xffff, v27
	v_and_b32_e32 v28, 0x7f, v26
	v_cmp_ne_u32_e32 vcc, s52, v28
	v_mov_b32_e32 v54, 0x7f800001
	s_and_saveexec_b64 s[44:45], vcc
	s_cbranch_execz .LBB220_104
; %bb.103:                              ;   in Loop: Header=BB220_10 Depth=1
	v_and_b32_e32 v54, 7, v26
	v_ffbh_u32_e32 v56, v54
	v_min_u32_e32 v59, 32, v56
	v_subrev_u32_e32 v56, 28, v59
	v_lshlrev_b64 v[56:57], v56, v[26:27]
	v_lshrrev_b32_e32 v58, 3, v28
	v_sub_u32_e32 v26, 29, v59
	v_and_b32_e32 v56, 7, v56
	v_cmp_gt_u32_e32 vcc, 8, v28
	v_cndmask_b32_e32 v26, v58, v26, vcc
	v_cndmask_b32_e32 v28, v54, v56, vcc
	v_lshlrev_b32_e32 v27, 24, v27
	v_lshlrev_b32_e32 v28, 20, v28
	v_and_b32_e32 v27, 0x80000000, v27
	v_lshl_add_u32 v26, v26, 23, v40
	v_or3_b32 v54, v27, v26, v28
.LBB220_104:                            ;   in Loop: Header=BB220_10 Depth=1
	s_or_b64 exec, exec, s[44:45]
.LBB220_105:                            ;   in Loop: Header=BB220_10 Depth=1
	s_or_b64 exec, exec, s[42:43]
.LBB220_106:                            ;   in Loop: Header=BB220_10 Depth=1
	s_or_b64 exec, exec, s[18:19]
	s_waitcnt lgkmcnt(0)
	v_mul_f32_e32 v43, s49, v43
	v_mul_f32_e32 v42, s49, v42
	;; [unrolled: 1-line block ×4, first 2 shown]
	v_fmac_f32_e32 v43, v2, v42
	v_mul_f32_e32 v44, s49, v44
	v_fmac_f32_e32 v43, v4, v45
	v_mul_f32_e32 v47, s49, v47
	;; [unrolled: 2-line block ×8, first 2 shown]
	v_mul_f32_e32 v30, s49, v53
	v_fmac_f32_e32 v43, v11, v50
	v_mul_f32_e32 v27, s49, v29
	v_mul_f32_e32 v29, s49, v52
	v_fmac_f32_e32 v43, v12, v30
	v_fmac_f32_e32 v43, v13, v29
	;; [unrolled: 1-line block ×3, first 2 shown]
	v_mul_f32_e32 v26, s49, v55
	v_fmac_f32_e32 v43, v15, v27
	v_mul_f32_e32 v52, s49, v54
	v_fmac_f32_e32 v43, v16, v26
	v_fmac_f32_e32 v43, v17, v52
	ds_bpermute_b32 v26, v36, v43
	s_waitcnt lgkmcnt(0)
	v_add_f32_e32 v26, v43, v26
	ds_bpermute_b32 v27, v37, v26
	s_and_saveexec_b64 s[18:19], s[4:5]
	s_cbranch_execz .LBB220_9
; %bb.107:                              ;   in Loop: Header=BB220_10 Depth=1
	v_add_u32_e32 v28, s50, v38
	v_cvt_f32_i32_e32 v28, v28
	s_waitcnt lgkmcnt(0)
	v_add_f32_e32 v26, v26, v27
	v_cmp_gt_i32_e32 vcc, s29, v38
	v_max_f32_e32 v27, v35, v35
	v_mul_f32_e32 v28, s38, v28
	v_cndmask_b32_e64 v28, 0, v28, s[10:11]
	v_fmac_f32_e32 v28, s39, v26
	v_cndmask_b32_e32 v26, 0, v28, vcc
	ds_write_b32 v39, v26
	v_max_f32_e32 v26, v27, v28
	v_cndmask_b32_e32 v35, v35, v26, vcc
	s_branch .LBB220_9
.LBB220_108:
	s_or_b64 exec, exec, s[12:13]
.LBB220_109:
	s_or_b64 exec, exec, s[40:41]
	v_xor_b32_e32 v2, 32, v33
	v_cmp_lt_i32_e32 vcc, v2, v34
	v_cndmask_b32_e32 v2, v33, v2, vcc
	v_lshlrev_b32_e32 v2, 2, v2
	ds_bpermute_b32 v3, v2, v35
	v_xor_b32_e32 v5, 16, v33
	v_max_f32_e32 v4, v35, v35
	v_cmp_lt_i32_e32 vcc, v5, v34
	v_xor_b32_e32 v6, 8, v33
	s_waitcnt lgkmcnt(0)
	v_max_f32_e32 v3, v3, v3
	v_max_f32_e32 v4, v4, v3
	v_cndmask_b32_e32 v3, v33, v5, vcc
	v_lshlrev_b32_e32 v3, 2, v3
	ds_bpermute_b32 v5, v3, v4
	v_cmp_lt_i32_e32 vcc, v6, v34
	v_and_b32_e32 v42, 63, v0
	s_waitcnt lgkmcnt(0)
	v_max_f32_e32 v5, v5, v5
	v_max_f32_e32 v4, v4, v5
	v_cndmask_b32_e32 v5, v33, v6, vcc
	v_lshlrev_b32_e32 v7, 2, v5
	ds_bpermute_b32 v5, v7, v4
	v_xor_b32_e32 v6, 4, v33
	v_cmp_lt_i32_e32 vcc, v6, v34
	s_waitcnt lgkmcnt(0)
	v_max_f32_e32 v5, v5, v5
	v_max_f32_e32 v4, v4, v5
	v_cndmask_b32_e32 v5, v33, v6, vcc
	v_lshlrev_b32_e32 v8, 2, v5
	ds_bpermute_b32 v6, v8, v4
	v_cmp_eq_u32_e32 vcc, 0, v42
	v_lshlrev_b32_e32 v5, 2, v32
	s_and_saveexec_b64 s[4:5], vcc
	s_cbranch_execz .LBB220_111
; %bb.110:
	s_waitcnt lgkmcnt(0)
	v_max_f32_e32 v6, v6, v6
	v_max_f32_e32 v4, v4, v4
	;; [unrolled: 1-line block ×3, first 2 shown]
	ds_write_b32 v5, v4 offset:256
.LBB220_111:
	s_or_b64 exec, exec, s[4:5]
	v_cmp_gt_u32_e64 s[4:5], 2, v42
	v_mov_b32_e32 v4, 0xff7fffff
	s_waitcnt lgkmcnt(0)
	v_lshlrev_b32_e32 v6, 2, v42
	s_barrier
	s_and_saveexec_b64 s[10:11], s[4:5]
	s_cbranch_execz .LBB220_113
; %bb.112:
	ds_read_b32 v4, v6 offset:256
.LBB220_113:
	s_or_b64 exec, exec, s[10:11]
	v_xor_b32_e32 v9, 1, v33
	v_cmp_lt_i32_e64 s[10:11], v9, v34
	v_cndmask_b32_e64 v9, v33, v9, s[10:11]
	v_lshlrev_b32_e32 v43, 2, v9
	s_waitcnt lgkmcnt(0)
	ds_bpermute_b32 v9, v43, v4
	v_max_f32_e32 v4, v4, v4
	s_sub_i32 s7, s33, s7
	s_lshl_b32 s7, s7, 4
	s_add_i32 s7, s7, s46
	s_waitcnt lgkmcnt(0)
	v_max_f32_e32 v9, v9, v9
	v_max_f32_e32 v4, v4, v9
	v_lshlrev_b32_e32 v9, 2, v33
	v_and_b32_e32 v9, 0xffffff00, v9
	ds_bpermute_b32 v4, v9, v4
	s_min_i32 s40, s7, s29
	s_sub_i32 s7, s40, s46
	v_cmp_gt_i32_e64 s[10:11], s7, v0
	v_mov_b32_e32 v10, 0
	s_and_saveexec_b64 s[18:19], s[10:11]
	s_cbranch_execz .LBB220_117
; %bb.114:
	v_mov_b32_e32 v10, 0x110
	v_lshl_add_u32 v11, v0, 2, v10
	s_mov_b64 s[38:39], 0
	v_mov_b32_e32 v10, 0
	v_mov_b32_e32 v12, v0
.LBB220_115:                            ; =>This Inner Loop Header: Depth=1
	ds_read_b32 v13, v11
	v_add_u32_e32 v12, 0x80, v12
	v_cmp_le_i32_e64 s[12:13], s7, v12
	s_or_b64 s[38:39], s[12:13], s[38:39]
	s_waitcnt lgkmcnt(0)
	v_sub_f32_e32 v13, v13, v4
	v_mul_f32_e32 v13, 0x3fb8aa3b, v13
	v_exp_f32_e32 v13, v13
	ds_write_b32 v11, v13
	v_add_f32_e32 v10, v10, v13
	v_add_u32_e32 v11, 0x200, v11
	s_andn2_b64 exec, exec, s[38:39]
	s_cbranch_execnz .LBB220_115
; %bb.116:
	s_or_b64 exec, exec, s[38:39]
.LBB220_117:
	s_or_b64 exec, exec, s[18:19]
	ds_bpermute_b32 v2, v2, v10
	s_waitcnt lgkmcnt(0)
	v_add_f32_e32 v2, v10, v2
	ds_bpermute_b32 v3, v3, v2
	s_waitcnt lgkmcnt(0)
	v_add_f32_e32 v2, v2, v3
	ds_bpermute_b32 v3, v7, v2
	v_xor_b32_e32 v7, 2, v33
	v_cmp_lt_i32_e64 s[12:13], v7, v34
	v_cndmask_b32_e64 v7, v33, v7, s[12:13]
	v_lshlrev_b32_e32 v44, 2, v7
	s_waitcnt lgkmcnt(0)
	v_add_f32_e32 v2, v2, v3
	ds_bpermute_b32 v3, v8, v2
	s_waitcnt lgkmcnt(0)
	v_add_f32_e32 v2, v2, v3
	ds_bpermute_b32 v3, v44, v2
	;; [unrolled: 3-line block ×3, first 2 shown]
	s_waitcnt lgkmcnt(0)
	v_add_f32_e32 v2, v2, v3
	s_and_saveexec_b64 s[12:13], vcc
	s_cbranch_execz .LBB220_119
; %bb.118:
	ds_write_b32 v5, v2 offset:264
.LBB220_119:
	s_or_b64 exec, exec, s[12:13]
	s_waitcnt lgkmcnt(0)
	s_barrier
	s_and_saveexec_b64 s[12:13], s[4:5]
	s_cbranch_execz .LBB220_121
; %bb.120:
	ds_read_b32 v2, v6 offset:264
.LBB220_121:
	s_or_b64 exec, exec, s[12:13]
	s_waitcnt lgkmcnt(0)
	ds_bpermute_b32 v3, v43, v2
	s_waitcnt lgkmcnt(0)
	v_add_f32_e32 v2, v2, v3
	ds_bpermute_b32 v5, v9, v2
	s_and_saveexec_b64 s[4:5], s[10:11]
	s_cbranch_execz .LBB220_134
; %bb.122:
	s_waitcnt lgkmcnt(0)
	v_add_f32_e32 v2, 0x358637bd, v5
	v_div_scale_f32 v3, s[10:11], v2, v2, 1.0
	v_rcp_f32_e32 v6, v3
	v_div_scale_f32 v7, vcc, 1.0, v2, 1.0
	s_movk_i32 s10, 0x7f
	v_fma_f32 v8, -v3, v6, 1.0
	v_fmac_f32_e32 v6, v8, v6
	v_mul_f32_e32 v8, v7, v6
	v_fma_f32 v9, -v3, v8, v7
	v_fmac_f32_e32 v8, v9, v6
	v_fma_f32 v3, -v3, v8, v7
	v_div_fmas_f32 v3, v3, v6, v8
	v_div_fixup_f32 v2, v3, v2, 1.0
	v_xad_u32 v3, v0, -1, s40
	v_subrev_u32_e32 v6, s46, v3
	v_cmp_lt_u32_e32 vcc, s10, v6
	s_mov_b64 s[12:13], -1
	v_mov_b32_e32 v3, v0
	s_and_saveexec_b64 s[10:11], vcc
	s_cbranch_execz .LBB220_131
; %bb.123:
	v_lshrrev_b32_e32 v6, 7, v6
	v_add_u32_e32 v8, -1, v6
	v_lshrrev_b32_e32 v7, 1, v8
	v_mov_b32_e32 v3, v2
	v_add_u32_e32 v7, 1, v7
	v_cmp_lt_u32_e32 vcc, 13, v8
	v_mov_b32_e32 v10, 0
	s_and_saveexec_b64 s[12:13], vcc
	s_cbranch_execz .LBB220_127
; %bb.124:
	v_mov_b32_e32 v9, 0x110
	v_and_b32_e32 v8, -8, v7
	v_lshl_add_u32 v9, v0, 2, v9
	s_mov_b32 s38, 0
	s_mov_b64 s[18:19], 0
.LBB220_125:                            ; =>This Inner Loop Header: Depth=1
	ds_read2st64_b32 v[10:11], v9 offset1:2
	ds_read2st64_b32 v[12:13], v9 offset0:4 offset1:6
	ds_read2st64_b32 v[14:15], v9 offset0:8 offset1:10
	ds_read2st64_b32 v[16:17], v9 offset0:12 offset1:14
	v_add_u32_e32 v8, -8, v8
	s_waitcnt lgkmcnt(3)
	v_pk_mul_f32 v[10:11], v[2:3], v[10:11]
	s_waitcnt lgkmcnt(2)
	v_pk_mul_f32 v[12:13], v[2:3], v[12:13]
	ds_write2st64_b32 v9, v10, v11 offset1:2
	ds_write2st64_b32 v9, v12, v13 offset0:4 offset1:6
	ds_read2st64_b32 v[12:13], v9 offset0:16 offset1:18
	s_waitcnt lgkmcnt(4)
	v_pk_mul_f32 v[10:11], v[2:3], v[14:15]
	ds_write2st64_b32 v9, v10, v11 offset0:8 offset1:10
	s_waitcnt lgkmcnt(4)
	v_pk_mul_f32 v[10:11], v[2:3], v[16:17]
	ds_write2st64_b32 v9, v10, v11 offset0:12 offset1:14
	ds_read2st64_b32 v[10:11], v9 offset0:20 offset1:22
	s_waitcnt lgkmcnt(3)
	v_pk_mul_f32 v[12:13], v[2:3], v[12:13]
	ds_read2st64_b32 v[14:15], v9 offset0:24 offset1:26
	ds_write2st64_b32 v9, v12, v13 offset0:16 offset1:18
	ds_read2st64_b32 v[12:13], v9 offset0:28 offset1:30
	s_waitcnt lgkmcnt(3)
	v_pk_mul_f32 v[10:11], v[2:3], v[10:11]
	ds_write2st64_b32 v9, v10, v11 offset0:20 offset1:22
	s_waitcnt lgkmcnt(3)
	v_pk_mul_f32 v[10:11], v[2:3], v[14:15]
	ds_write2st64_b32 v9, v10, v11 offset0:24 offset1:26
	s_waitcnt lgkmcnt(2)
	v_pk_mul_f32 v[10:11], v[2:3], v[12:13]
	s_add_i32 s38, s38, 16
	v_cmp_eq_u32_e32 vcc, 0, v8
	ds_write2st64_b32 v9, v10, v11 offset0:28 offset1:30
	v_add_u32_e32 v9, 0x2000, v9
	s_or_b64 s[18:19], vcc, s[18:19]
	v_mov_b32_e32 v10, s38
	s_andn2_b64 exec, exec, s[18:19]
	s_cbranch_execnz .LBB220_125
; %bb.126:
	s_or_b64 exec, exec, s[18:19]
.LBB220_127:
	s_or_b64 exec, exec, s[12:13]
	v_and_b32_e32 v7, 7, v7
	v_cmp_ne_u32_e32 vcc, 0, v7
	s_and_saveexec_b64 s[12:13], vcc
	s_cbranch_execz .LBB220_130
; %bb.128:
	v_lshlrev_b32_e32 v8, 9, v10
	s_movk_i32 s18, 0x110
	v_add3_u32 v8, v8, v31, s18
	s_mov_b64 s[18:19], 0
.LBB220_129:                            ; =>This Inner Loop Header: Depth=1
	ds_read2st64_b32 v[10:11], v8 offset1:2
	v_add_u32_e32 v7, -1, v7
	v_cmp_eq_u32_e32 vcc, 0, v7
	s_or_b64 s[18:19], vcc, s[18:19]
	s_waitcnt lgkmcnt(0)
	v_pk_mul_f32 v[10:11], v[2:3], v[10:11]
	ds_write2st64_b32 v8, v10, v11 offset1:2
	v_add_u32_e32 v8, 0x400, v8
	s_andn2_b64 exec, exec, s[18:19]
	s_cbranch_execnz .LBB220_129
.LBB220_130:
	s_or_b64 exec, exec, s[12:13]
	v_add_u32_e32 v6, 1, v6
	v_and_b32_e32 v7, 0x3fffffe, v6
	v_cmp_ne_u32_e32 vcc, v6, v7
	v_lshl_add_u32 v3, v7, 7, v0
	s_orn2_b64 s[12:13], vcc, exec
.LBB220_131:
	s_or_b64 exec, exec, s[10:11]
	s_and_b64 exec, exec, s[12:13]
	s_cbranch_execz .LBB220_134
; %bb.132:
	v_mov_b32_e32 v6, 0x110
	v_lshl_add_u32 v6, v3, 2, v6
	s_mov_b64 s[10:11], 0
.LBB220_133:                            ; =>This Inner Loop Header: Depth=1
	ds_read_b32 v7, v6
	v_add_u32_e32 v3, 0x80, v3
	v_cmp_le_i32_e32 vcc, s7, v3
	s_or_b64 s[10:11], vcc, s[10:11]
	s_waitcnt lgkmcnt(0)
	v_mul_f32_e32 v7, v2, v7
	ds_write_b32 v6, v7
	v_add_u32_e32 v6, 0x200, v6
	s_andn2_b64 exec, exec, s[10:11]
	s_cbranch_execnz .LBB220_133
.LBB220_134:
	s_or_b64 exec, exec, s[4:5]
	s_mul_i32 s4, s25, s28
	v_cmp_eq_u32_e32 vcc, 0, v0
	s_mul_i32 s4, s4, s9
	s_waitcnt lgkmcnt(0)
	s_barrier
	s_and_saveexec_b64 s[10:11], vcc
	s_cbranch_execz .LBB220_136
; %bb.135:
	s_ashr_i32 s5, s4, 31
	s_lshl_b64 s[12:13], s[4:5], 2
	s_add_u32 s5, s22, s12
	s_mul_i32 s6, s25, s6
	s_addc_u32 s9, s23, s13
	s_ashr_i32 s7, s6, 31
	s_lshl_b64 s[6:7], s[6:7], 2
	s_add_u32 s5, s5, s6
	s_addc_u32 s23, s9, s7
	s_ashr_i32 s9, s8, 31
	s_lshl_b64 s[18:19], s[8:9], 2
	s_add_u32 s22, s5, s18
	s_addc_u32 s23, s23, s19
	s_add_u32 s5, s20, s12
	s_addc_u32 s9, s21, s13
	;; [unrolled: 2-line block ×3, first 2 shown]
	s_add_u32 s6, s5, s18
	v_mov_b32_e32 v2, 0
	s_addc_u32 s7, s7, s19
	global_store_dword v2, v4, s[22:23]
	global_store_dword v2, v5, s[6:7]
.LBB220_136:
	s_or_b64 exec, exec, s[10:11]
	s_mov_b32 s10, 0
	v_mov_b32_e32 v7, 0
	v_mov_b32_e32 v6, 0
	;; [unrolled: 1-line block ×4, first 2 shown]
	s_and_saveexec_b64 s[6:7], s[2:3]
	s_cbranch_execz .LBB220_244
; %bb.137:
	s_ashr_i32 s2, s47, 31
	s_add_u32 s3, s36, s47
	v_and_b32_e32 v3, 0xfc, v31
	v_and_b32_e32 v2, 12, v31
	s_load_dword s12, s[14:15], 0x0
	s_addc_u32 s2, s37, s2
	v_add_co_u32_e32 v12, vcc, s3, v3
	v_lshl_add_u32 v3, v32, 4, s46
	s_add_i32 s9, s16, -1
	v_mov_b32_e32 v4, s2
	v_add3_u32 v45, v3, v2, 3
	v_lshlrev_b32_e32 v2, 4, v18
	s_lshl_b64 s[2:3], s[34:35], 2
	v_lshl_or_b32 v2, v32, 6, v2
	s_add_u32 s2, s30, s2
	v_addc_co_u32_e32 v13, vcc, 0, v4, vcc
	v_add_u32_e32 v46, 0x110, v2
	v_lshlrev_b64 v[2:3], 2, v[20:21]
	s_addc_u32 s3, s31, s3
	v_mov_b32_e32 v4, s3
	v_add_co_u32_e32 v14, vcc, s2, v2
	s_mov_b32 s5, s17
	s_waitcnt lgkmcnt(0)
	s_mov_b32 s13, s12
	v_mov_b32_e32 v9, 0
	v_addc_co_u32_e32 v15, vcc, v4, v3, vcc
	s_mov_b64 s[14:15], 0
	s_movk_i32 s28, 0x80
	s_movk_i32 s30, 0x7f
	s_brev_b32 s11, 1
	s_mov_b32 s17, 0x7f800001
	s_mov_b32 s31, 0xffffff
	v_bfrev_b32_e32 v21, 60
	v_mov_b32_e32 v47, 7
	v_mov_b32_e32 v48, 24
	;; [unrolled: 1-line block ×6, first 2 shown]
	s_branch .LBB220_139
.LBB220_138:                            ;   in Loop: Header=BB220_139 Depth=1
	s_or_b64 exec, exec, s[2:3]
	s_waitcnt lgkmcnt(0)
	v_mul_f32_e32 v8, v3, v17
	v_fmac_f32_e32 v8, v2, v16
	v_fmac_f32_e32 v8, v4, v22
	;; [unrolled: 1-line block ×3, first 2 shown]
	v_add_f32_e32 v10, v10, v8
	v_mul_f32_e32 v8, v3, v27
	v_fmac_f32_e32 v8, v2, v26
	v_fmac_f32_e32 v8, v4, v28
	;; [unrolled: 1-line block ×3, first 2 shown]
	v_add_f32_e32 v11, v11, v8
	v_mul_f32_e32 v8, v3, v31
	v_mul_f32_e32 v3, v3, v25
	v_fmac_f32_e32 v8, v2, v30
	v_fmac_f32_e32 v3, v2, v24
	v_add_u32_e32 v20, 2, v20
	v_fmac_f32_e32 v8, v4, v32
	v_fmac_f32_e32 v3, v4, v34
	v_cmp_le_i32_e32 vcc, s33, v20
	v_fmac_f32_e32 v8, v5, v33
	v_fmac_f32_e32 v3, v5, v35
	s_or_b64 s[14:15], vcc, s[14:15]
	v_add_co_u32_e32 v14, vcc, 8, v14
	v_add_f32_e32 v6, v6, v8
	v_add_f32_e32 v7, v7, v3
	v_add_u32_e32 v45, 32, v45
	v_add_u32_e32 v46, 0x80, v46
	v_addc_co_u32_e32 v15, vcc, 0, v15, vcc
	s_andn2_b64 exec, exec, s[14:15]
	s_cbranch_execz .LBB220_243
.LBB220_139:                            ; =>This Inner Loop Header: Depth=1
	global_load_dword v2, v[14:15], off
	v_pk_mov_b32 v[26:27], 0, 0
	v_pk_mov_b32 v[22:23], v[26:27], v[26:27] op_sel:[0,1]
	s_waitcnt vmcnt(0)
	v_mad_i64_i32 v[24:25], s[2:3], v2, s5, v[12:13]
	global_load_dword v16, v[24:25], off
	ds_read_b128 v[2:5], v46
	s_waitcnt vmcnt(0)
	v_cmp_ne_u16_sdwa s[18:19], v16, v9 src0_sel:BYTE_0 src1_sel:DWORD
	s_and_saveexec_b64 s[2:3], s[18:19]
	s_cbranch_execz .LBB220_145
; %bb.140:                              ;   in Loop: Header=BB220_139 Depth=1
	v_bfrev_b32_e32 v22, 1
	v_cmp_ne_u16_sdwa s[20:21], v16, s28 src0_sel:BYTE_0 src1_sel:DWORD
	v_mov_b32_e32 v23, 0
	s_and_saveexec_b64 s[18:19], s[20:21]
	s_cbranch_execz .LBB220_144
; %bb.141:                              ;   in Loop: Header=BB220_139 Depth=1
	v_and_b32_e32 v8, 0x7f, v16
	v_mov_b32_e32 v22, 0x7f800001
	v_cmp_ne_u32_e32 vcc, s30, v8
	v_mov_b32_e32 v23, 0
	s_and_saveexec_b64 s[20:21], vcc
	s_cbranch_execz .LBB220_143
; %bb.142:                              ;   in Loop: Header=BB220_139 Depth=1
	v_and_b32_e32 v17, 7, v16
	v_ffbh_u32_e32 v22, v17
	v_min_u32_e32 v29, 32, v22
	v_subrev_u32_e32 v22, 28, v29
	v_lshlrev_b64 v[22:23], v22, v[16:17]
	v_lshrrev_b32_e32 v28, 3, v8
	v_sub_u32_e32 v23, 29, v29
	v_and_b32_e32 v22, 7, v22
	v_cmp_gt_u32_e32 vcc, 8, v8
	v_cndmask_b32_e32 v8, v28, v23, vcc
	v_cndmask_b32_e32 v17, v17, v22, vcc
	v_lshlrev_b32_e32 v17, 20, v17
	v_and_b32_sdwa v22, sext(v16), s11 dst_sel:DWORD dst_unused:UNUSED_PAD src0_sel:BYTE_0 src1_sel:DWORD
	v_lshl_add_u32 v8, v8, 23, v21
	v_or3_b32 v8, v22, v8, v17
	v_pk_mov_b32 v[22:23], v[8:9], v[8:9] op_sel:[0,1]
.LBB220_143:                            ;   in Loop: Header=BB220_139 Depth=1
	s_or_b64 exec, exec, s[20:21]
.LBB220_144:                            ;   in Loop: Header=BB220_139 Depth=1
	s_or_b64 exec, exec, s[18:19]
.LBB220_145:                            ;   in Loop: Header=BB220_139 Depth=1
	s_or_b64 exec, exec, s[2:3]
	v_cmp_ne_u16_sdwa s[18:19], v16, v9 src0_sel:BYTE_1 src1_sel:DWORD
	s_and_saveexec_b64 s[2:3], s[18:19]
	s_cbranch_execz .LBB220_151
; %bb.146:                              ;   in Loop: Header=BB220_139 Depth=1
	v_cmp_ne_u16_sdwa s[20:21], v16, s28 src0_sel:BYTE_1 src1_sel:DWORD
	v_pk_mov_b32 v[26:27], s[10:11], s[10:11] op_sel:[0,1]
	s_and_saveexec_b64 s[18:19], s[20:21]
	s_cbranch_execz .LBB220_150
; %bb.147:                              ;   in Loop: Header=BB220_139 Depth=1
	v_and_b32_sdwa v17, v16, s30 dst_sel:DWORD dst_unused:UNUSED_PAD src0_sel:BYTE_1 src1_sel:DWORD
	s_mov_b32 s16, s10
	v_cmp_ne_u32_e32 vcc, s30, v17
	v_pk_mov_b32 v[26:27], s[16:17], s[16:17] op_sel:[0,1]
	s_and_saveexec_b64 s[20:21], vcc
	s_cbranch_execz .LBB220_149
; %bb.148:                              ;   in Loop: Header=BB220_139 Depth=1
	v_and_b32_sdwa v8, v16, v47 dst_sel:DWORD dst_unused:UNUSED_PAD src0_sel:BYTE_1 src1_sel:DWORD
	v_ffbh_u32_e32 v26, v8
	v_min_u32_e32 v29, 32, v26
	v_subrev_u32_e32 v26, 28, v29
	v_lshlrev_b64 v[26:27], v26, v[8:9]
	v_lshrrev_b32_e32 v28, 3, v17
	v_sub_u32_e32 v27, 29, v29
	v_cmp_gt_u32_e32 vcc, 8, v17
	v_and_b32_e32 v26, 7, v26
	v_cndmask_b32_e32 v17, v28, v27, vcc
	v_cndmask_b32_e32 v8, v8, v26, vcc
	v_lshlrev_b32_e32 v26, 16, v16
	v_lshl_add_u32 v17, v17, 23, v21
	v_and_or_b32 v17, v26, s11, v17
	v_lshlrev_b32_e32 v8, 20, v8
	v_or_b32_e32 v27, v17, v8
	v_mov_b32_e32 v26, v9
.LBB220_149:                            ;   in Loop: Header=BB220_139 Depth=1
	s_or_b64 exec, exec, s[20:21]
.LBB220_150:                            ;   in Loop: Header=BB220_139 Depth=1
	s_or_b64 exec, exec, s[18:19]
.LBB220_151:                            ;   in Loop: Header=BB220_139 Depth=1
	s_or_b64 exec, exec, s[2:3]
	v_lshrrev_b32_e32 v8, 16, v16
	v_pk_mov_b32 v[30:31], 0, 0
	v_cmp_ne_u16_sdwa s[18:19], v8, v9 src0_sel:BYTE_0 src1_sel:DWORD
	v_pk_mov_b32 v[28:29], v[30:31], v[30:31] op_sel:[0,1]
	s_and_saveexec_b64 s[2:3], s[18:19]
	s_cbranch_execz .LBB220_157
; %bb.152:                              ;   in Loop: Header=BB220_139 Depth=1
	v_bfrev_b32_e32 v28, 1
	v_cmp_ne_u16_sdwa s[20:21], v8, s28 src0_sel:BYTE_0 src1_sel:DWORD
	v_mov_b32_e32 v29, 0
	s_and_saveexec_b64 s[18:19], s[20:21]
	s_cbranch_execz .LBB220_156
; %bb.153:                              ;   in Loop: Header=BB220_139 Depth=1
	v_bfe_u32 v17, v16, 16, 7
	v_mov_b32_e32 v28, 0x7f800001
	v_cmp_ne_u32_e32 vcc, s30, v17
	v_mov_b32_e32 v29, 0
	s_and_saveexec_b64 s[20:21], vcc
	s_cbranch_execz .LBB220_155
; %bb.154:                              ;   in Loop: Header=BB220_139 Depth=1
	v_and_b32_e32 v32, 7, v8
	v_ffbh_u32_e32 v28, v32
	v_min_u32_e32 v34, 32, v28
	v_subrev_u32_e32 v28, 28, v34
	v_lshlrev_b64 v[28:29], v28, v[8:9]
	v_lshrrev_b32_e32 v33, 3, v17
	v_sub_u32_e32 v29, 29, v34
	v_and_b32_e32 v28, 7, v28
	v_cmp_gt_u32_e32 vcc, 8, v17
	v_cndmask_b32_e32 v17, v33, v29, vcc
	v_cndmask_b32_e32 v28, v32, v28, vcc
	v_lshlrev_b32_e32 v28, 20, v28
	v_and_b32_sdwa v8, sext(v8), s11 dst_sel:DWORD dst_unused:UNUSED_PAD src0_sel:BYTE_0 src1_sel:DWORD
	v_lshl_add_u32 v17, v17, 23, v21
	v_or3_b32 v8, v8, v17, v28
	v_pk_mov_b32 v[28:29], v[8:9], v[8:9] op_sel:[0,1]
.LBB220_155:                            ;   in Loop: Header=BB220_139 Depth=1
	s_or_b64 exec, exec, s[20:21]
.LBB220_156:                            ;   in Loop: Header=BB220_139 Depth=1
	s_or_b64 exec, exec, s[18:19]
.LBB220_157:                            ;   in Loop: Header=BB220_139 Depth=1
	s_or_b64 exec, exec, s[2:3]
	v_cmp_lt_u32_e32 vcc, s31, v16
	s_and_saveexec_b64 s[2:3], vcc
	s_cbranch_execz .LBB220_163
; %bb.158:                              ;   in Loop: Header=BB220_139 Depth=1
	v_cmp_ne_u32_sdwa s[20:21], v16, s28 src0_sel:BYTE_3 src1_sel:DWORD
	v_pk_mov_b32 v[30:31], s[10:11], s[10:11] op_sel:[0,1]
	s_and_saveexec_b64 s[18:19], s[20:21]
	s_cbranch_execz .LBB220_162
; %bb.159:                              ;   in Loop: Header=BB220_139 Depth=1
	v_bfe_u32 v17, v16, 24, 7
	s_mov_b32 s16, s10
	v_cmp_ne_u32_e32 vcc, s30, v17
	v_pk_mov_b32 v[30:31], s[16:17], s[16:17] op_sel:[0,1]
	s_and_saveexec_b64 s[20:21], vcc
	s_cbranch_execz .LBB220_161
; %bb.160:                              ;   in Loop: Header=BB220_139 Depth=1
	v_and_b32_sdwa v8, v16, v47 dst_sel:DWORD dst_unused:UNUSED_PAD src0_sel:BYTE_3 src1_sel:DWORD
	v_ffbh_u32_e32 v30, v8
	v_min_u32_e32 v33, 32, v30
	v_subrev_u32_e32 v30, 28, v33
	v_lshlrev_b64 v[30:31], v30, v[8:9]
	v_lshrrev_b32_e32 v32, 3, v17
	v_sub_u32_e32 v31, 29, v33
	v_cmp_gt_u32_e32 vcc, 8, v17
	v_and_b32_e32 v30, 7, v30
	v_cndmask_b32_e32 v17, v32, v31, vcc
	v_cndmask_b32_e32 v8, v8, v30, vcc
	v_lshlrev_b32_sdwa v16, v48, v16 dst_sel:DWORD dst_unused:UNUSED_PAD src0_sel:DWORD src1_sel:BYTE_3
	v_lshl_add_u32 v17, v17, 23, v21
	v_and_or_b32 v16, v16, s11, v17
	v_lshlrev_b32_e32 v8, 20, v8
	v_or_b32_e32 v31, v16, v8
	v_mov_b32_e32 v30, v9
.LBB220_161:                            ;   in Loop: Header=BB220_139 Depth=1
	s_or_b64 exec, exec, s[20:21]
.LBB220_162:                            ;   in Loop: Header=BB220_139 Depth=1
	s_or_b64 exec, exec, s[18:19]
.LBB220_163:                            ;   in Loop: Header=BB220_139 Depth=1
	s_or_b64 exec, exec, s[2:3]
	v_or_b32_e32 v17, v27, v23
	v_or_b32_e32 v16, v26, v22
	;; [unrolled: 1-line block ×4, first 2 shown]
	v_add_u32_e32 v49, -3, v45
	v_cmp_eq_u32_e32 vcc, s9, v20
	v_pk_mul_f32 v[16:17], s[12:13], v[16:17]
	v_pk_mul_f32 v[22:23], s[12:13], v[22:23]
	v_add_u32_e32 v51, -2, v45
	v_add_u32_e32 v50, -1, v45
	s_and_saveexec_b64 s[18:19], vcc
; %bb.164:                              ;   in Loop: Header=BB220_139 Depth=1
	v_cmp_gt_i32_e64 s[2:3], s29, v49
	v_cndmask_b32_e64 v16, 0, v16, s[2:3]
	v_cmp_gt_i32_e64 s[2:3], s29, v51
	v_cndmask_b32_e64 v17, 0, v17, s[2:3]
	;; [unrolled: 2-line block ×4, first 2 shown]
; %bb.165:                              ;   in Loop: Header=BB220_139 Depth=1
	s_or_b64 exec, exec, s[18:19]
	global_load_dword v26, v[24:25], off offset:256
	v_pk_mov_b32 v[30:31], 0, 0
	v_pk_mov_b32 v[28:29], v[30:31], v[30:31] op_sel:[0,1]
	s_waitcnt vmcnt(0)
	v_cmp_ne_u16_sdwa s[2:3], v26, v9 src0_sel:BYTE_0 src1_sel:DWORD
	s_and_saveexec_b64 s[18:19], s[2:3]
	s_cbranch_execz .LBB220_171
; %bb.166:                              ;   in Loop: Header=BB220_139 Depth=1
	v_bfrev_b32_e32 v28, 1
	v_cmp_ne_u16_sdwa s[2:3], v26, s28 src0_sel:BYTE_0 src1_sel:DWORD
	v_mov_b32_e32 v29, 0
	s_and_saveexec_b64 s[20:21], s[2:3]
	s_cbranch_execz .LBB220_170
; %bb.167:                              ;   in Loop: Header=BB220_139 Depth=1
	v_and_b32_e32 v8, 0x7f, v26
	v_mov_b32_e32 v28, 0x7f800001
	v_cmp_ne_u32_e64 s[2:3], s30, v8
	v_mov_b32_e32 v29, 0
	s_and_saveexec_b64 s[22:23], s[2:3]
	s_cbranch_execz .LBB220_169
; %bb.168:                              ;   in Loop: Header=BB220_139 Depth=1
	v_and_b32_e32 v27, 7, v26
	v_ffbh_u32_e32 v28, v27
	v_min_u32_e32 v33, 32, v28
	v_subrev_u32_e32 v28, 28, v33
	v_lshlrev_b64 v[28:29], v28, v[26:27]
	v_lshrrev_b32_e32 v32, 3, v8
	v_sub_u32_e32 v29, 29, v33
	v_and_b32_e32 v28, 7, v28
	v_cmp_gt_u32_e64 s[2:3], 8, v8
	v_cndmask_b32_e64 v8, v32, v29, s[2:3]
	v_cndmask_b32_e64 v27, v27, v28, s[2:3]
	v_lshlrev_b32_e32 v27, 20, v27
	v_and_b32_sdwa v28, sext(v26), s11 dst_sel:DWORD dst_unused:UNUSED_PAD src0_sel:BYTE_0 src1_sel:DWORD
	v_lshl_add_u32 v8, v8, 23, v21
	v_or3_b32 v8, v28, v8, v27
	v_pk_mov_b32 v[28:29], v[8:9], v[8:9] op_sel:[0,1]
.LBB220_169:                            ;   in Loop: Header=BB220_139 Depth=1
	s_or_b64 exec, exec, s[22:23]
.LBB220_170:                            ;   in Loop: Header=BB220_139 Depth=1
	s_or_b64 exec, exec, s[20:21]
.LBB220_171:                            ;   in Loop: Header=BB220_139 Depth=1
	s_or_b64 exec, exec, s[18:19]
	v_cmp_ne_u16_sdwa s[2:3], v26, v9 src0_sel:BYTE_1 src1_sel:DWORD
	s_and_saveexec_b64 s[18:19], s[2:3]
	s_cbranch_execz .LBB220_177
; %bb.172:                              ;   in Loop: Header=BB220_139 Depth=1
	v_cmp_ne_u16_sdwa s[2:3], v26, s28 src0_sel:BYTE_1 src1_sel:DWORD
	v_pk_mov_b32 v[30:31], s[10:11], s[10:11] op_sel:[0,1]
	s_and_saveexec_b64 s[20:21], s[2:3]
	s_cbranch_execz .LBB220_176
; %bb.173:                              ;   in Loop: Header=BB220_139 Depth=1
	v_and_b32_sdwa v27, v26, s30 dst_sel:DWORD dst_unused:UNUSED_PAD src0_sel:BYTE_1 src1_sel:DWORD
	s_mov_b32 s16, s10
	v_cmp_ne_u32_e64 s[2:3], s30, v27
	v_pk_mov_b32 v[30:31], s[16:17], s[16:17] op_sel:[0,1]
	s_and_saveexec_b64 s[22:23], s[2:3]
	s_cbranch_execz .LBB220_175
; %bb.174:                              ;   in Loop: Header=BB220_139 Depth=1
	v_and_b32_sdwa v8, v26, v47 dst_sel:DWORD dst_unused:UNUSED_PAD src0_sel:BYTE_1 src1_sel:DWORD
	v_ffbh_u32_e32 v30, v8
	v_min_u32_e32 v33, 32, v30
	v_subrev_u32_e32 v30, 28, v33
	v_lshlrev_b64 v[30:31], v30, v[8:9]
	v_lshrrev_b32_e32 v32, 3, v27
	v_sub_u32_e32 v31, 29, v33
	v_cmp_gt_u32_e64 s[2:3], 8, v27
	v_and_b32_e32 v30, 7, v30
	v_cndmask_b32_e64 v27, v32, v31, s[2:3]
	v_cndmask_b32_e64 v8, v8, v30, s[2:3]
	v_lshlrev_b32_e32 v30, 16, v26
	v_lshl_add_u32 v27, v27, 23, v21
	v_and_or_b32 v27, v30, s11, v27
	v_lshlrev_b32_e32 v8, 20, v8
	v_or_b32_e32 v31, v27, v8
	v_mov_b32_e32 v30, v9
.LBB220_175:                            ;   in Loop: Header=BB220_139 Depth=1
	s_or_b64 exec, exec, s[22:23]
.LBB220_176:                            ;   in Loop: Header=BB220_139 Depth=1
	s_or_b64 exec, exec, s[20:21]
.LBB220_177:                            ;   in Loop: Header=BB220_139 Depth=1
	s_or_b64 exec, exec, s[18:19]
	v_lshrrev_b32_e32 v8, 16, v26
	v_pk_mov_b32 v[34:35], 0, 0
	v_cmp_ne_u16_sdwa s[2:3], v8, v9 src0_sel:BYTE_0 src1_sel:DWORD
	v_pk_mov_b32 v[32:33], v[34:35], v[34:35] op_sel:[0,1]
	s_and_saveexec_b64 s[18:19], s[2:3]
	s_cbranch_execz .LBB220_183
; %bb.178:                              ;   in Loop: Header=BB220_139 Depth=1
	v_bfrev_b32_e32 v32, 1
	v_cmp_ne_u16_sdwa s[2:3], v8, s28 src0_sel:BYTE_0 src1_sel:DWORD
	v_mov_b32_e32 v33, 0
	s_and_saveexec_b64 s[20:21], s[2:3]
	s_cbranch_execz .LBB220_182
; %bb.179:                              ;   in Loop: Header=BB220_139 Depth=1
	v_bfe_u32 v27, v26, 16, 7
	v_mov_b32_e32 v32, 0x7f800001
	v_cmp_ne_u32_e64 s[2:3], s30, v27
	v_mov_b32_e32 v33, 0
	s_and_saveexec_b64 s[22:23], s[2:3]
	s_cbranch_execz .LBB220_181
; %bb.180:                              ;   in Loop: Header=BB220_139 Depth=1
	v_and_b32_e32 v36, 7, v8
	v_ffbh_u32_e32 v32, v36
	v_min_u32_e32 v38, 32, v32
	v_subrev_u32_e32 v32, 28, v38
	v_lshlrev_b64 v[32:33], v32, v[8:9]
	v_lshrrev_b32_e32 v37, 3, v27
	v_sub_u32_e32 v33, 29, v38
	v_and_b32_e32 v32, 7, v32
	v_cmp_gt_u32_e64 s[2:3], 8, v27
	v_cndmask_b32_e64 v27, v37, v33, s[2:3]
	v_cndmask_b32_e64 v32, v36, v32, s[2:3]
	v_lshlrev_b32_e32 v32, 20, v32
	v_and_b32_sdwa v8, sext(v8), s11 dst_sel:DWORD dst_unused:UNUSED_PAD src0_sel:BYTE_0 src1_sel:DWORD
	v_lshl_add_u32 v27, v27, 23, v21
	v_or3_b32 v8, v8, v27, v32
	v_pk_mov_b32 v[32:33], v[8:9], v[8:9] op_sel:[0,1]
.LBB220_181:                            ;   in Loop: Header=BB220_139 Depth=1
	s_or_b64 exec, exec, s[22:23]
.LBB220_182:                            ;   in Loop: Header=BB220_139 Depth=1
	s_or_b64 exec, exec, s[20:21]
.LBB220_183:                            ;   in Loop: Header=BB220_139 Depth=1
	s_or_b64 exec, exec, s[18:19]
	v_cmp_lt_u32_e64 s[2:3], s31, v26
	s_and_saveexec_b64 s[18:19], s[2:3]
	s_cbranch_execz .LBB220_189
; %bb.184:                              ;   in Loop: Header=BB220_139 Depth=1
	v_cmp_ne_u32_sdwa s[2:3], v26, s28 src0_sel:BYTE_3 src1_sel:DWORD
	v_pk_mov_b32 v[34:35], s[10:11], s[10:11] op_sel:[0,1]
	s_and_saveexec_b64 s[20:21], s[2:3]
	s_cbranch_execz .LBB220_188
; %bb.185:                              ;   in Loop: Header=BB220_139 Depth=1
	v_bfe_u32 v27, v26, 24, 7
	s_mov_b32 s16, s10
	v_cmp_ne_u32_e64 s[2:3], s30, v27
	v_pk_mov_b32 v[34:35], s[16:17], s[16:17] op_sel:[0,1]
	s_and_saveexec_b64 s[22:23], s[2:3]
	s_cbranch_execz .LBB220_187
; %bb.186:                              ;   in Loop: Header=BB220_139 Depth=1
	v_and_b32_sdwa v8, v26, v47 dst_sel:DWORD dst_unused:UNUSED_PAD src0_sel:BYTE_3 src1_sel:DWORD
	v_ffbh_u32_e32 v34, v8
	v_min_u32_e32 v37, 32, v34
	v_subrev_u32_e32 v34, 28, v37
	v_lshlrev_b64 v[34:35], v34, v[8:9]
	v_lshrrev_b32_e32 v36, 3, v27
	v_sub_u32_e32 v35, 29, v37
	v_cmp_gt_u32_e64 s[2:3], 8, v27
	v_and_b32_e32 v34, 7, v34
	v_cndmask_b32_e64 v27, v36, v35, s[2:3]
	v_cndmask_b32_e64 v8, v8, v34, s[2:3]
	v_lshlrev_b32_sdwa v26, v48, v26 dst_sel:DWORD dst_unused:UNUSED_PAD src0_sel:DWORD src1_sel:BYTE_3
	v_lshl_add_u32 v27, v27, 23, v21
	v_and_or_b32 v26, v26, s11, v27
	v_lshlrev_b32_e32 v8, 20, v8
	v_or_b32_e32 v35, v26, v8
	v_mov_b32_e32 v34, v9
.LBB220_187:                            ;   in Loop: Header=BB220_139 Depth=1
	s_or_b64 exec, exec, s[22:23]
.LBB220_188:                            ;   in Loop: Header=BB220_139 Depth=1
	s_or_b64 exec, exec, s[20:21]
.LBB220_189:                            ;   in Loop: Header=BB220_139 Depth=1
	s_or_b64 exec, exec, s[18:19]
	v_or_b32_e32 v27, v31, v29
	v_or_b32_e32 v26, v30, v28
	;; [unrolled: 1-line block ×4, first 2 shown]
	v_pk_mul_f32 v[26:27], s[12:13], v[26:27]
	v_pk_mul_f32 v[28:29], s[12:13], v[28:29]
	s_and_saveexec_b64 s[18:19], vcc
; %bb.190:                              ;   in Loop: Header=BB220_139 Depth=1
	v_cmp_gt_i32_e64 s[2:3], s29, v49
	v_cndmask_b32_e64 v26, 0, v26, s[2:3]
	v_cmp_gt_i32_e64 s[2:3], s29, v51
	v_cndmask_b32_e64 v27, 0, v27, s[2:3]
	v_cmp_gt_i32_e64 s[2:3], s29, v50
	v_cndmask_b32_e64 v28, 0, v28, s[2:3]
	v_cmp_gt_i32_e64 s[2:3], s29, v45
	v_cndmask_b32_e64 v29, 0, v29, s[2:3]
; %bb.191:                              ;   in Loop: Header=BB220_139 Depth=1
	s_or_b64 exec, exec, s[18:19]
	global_load_dword v30, v[24:25], off offset:512
	v_pk_mov_b32 v[34:35], 0, 0
	v_pk_mov_b32 v[32:33], v[34:35], v[34:35] op_sel:[0,1]
	s_waitcnt vmcnt(0)
	v_cmp_ne_u16_sdwa s[2:3], v30, v9 src0_sel:BYTE_0 src1_sel:DWORD
	s_and_saveexec_b64 s[18:19], s[2:3]
	s_cbranch_execz .LBB220_197
; %bb.192:                              ;   in Loop: Header=BB220_139 Depth=1
	v_bfrev_b32_e32 v32, 1
	v_cmp_ne_u16_sdwa s[2:3], v30, s28 src0_sel:BYTE_0 src1_sel:DWORD
	v_mov_b32_e32 v33, 0
	s_and_saveexec_b64 s[20:21], s[2:3]
	s_cbranch_execz .LBB220_196
; %bb.193:                              ;   in Loop: Header=BB220_139 Depth=1
	v_and_b32_e32 v8, 0x7f, v30
	v_mov_b32_e32 v32, 0x7f800001
	v_cmp_ne_u32_e64 s[2:3], s30, v8
	v_mov_b32_e32 v33, 0
	s_and_saveexec_b64 s[22:23], s[2:3]
	s_cbranch_execz .LBB220_195
; %bb.194:                              ;   in Loop: Header=BB220_139 Depth=1
	v_and_b32_e32 v31, 7, v30
	v_ffbh_u32_e32 v32, v31
	v_min_u32_e32 v37, 32, v32
	v_subrev_u32_e32 v32, 28, v37
	v_lshlrev_b64 v[32:33], v32, v[30:31]
	v_lshrrev_b32_e32 v36, 3, v8
	v_sub_u32_e32 v33, 29, v37
	v_and_b32_e32 v32, 7, v32
	v_cmp_gt_u32_e64 s[2:3], 8, v8
	v_cndmask_b32_e64 v8, v36, v33, s[2:3]
	v_cndmask_b32_e64 v31, v31, v32, s[2:3]
	v_lshlrev_b32_e32 v31, 20, v31
	v_and_b32_sdwa v32, sext(v30), s11 dst_sel:DWORD dst_unused:UNUSED_PAD src0_sel:BYTE_0 src1_sel:DWORD
	v_lshl_add_u32 v8, v8, 23, v21
	v_or3_b32 v8, v32, v8, v31
	v_pk_mov_b32 v[32:33], v[8:9], v[8:9] op_sel:[0,1]
.LBB220_195:                            ;   in Loop: Header=BB220_139 Depth=1
	s_or_b64 exec, exec, s[22:23]
.LBB220_196:                            ;   in Loop: Header=BB220_139 Depth=1
	s_or_b64 exec, exec, s[20:21]
.LBB220_197:                            ;   in Loop: Header=BB220_139 Depth=1
	s_or_b64 exec, exec, s[18:19]
	v_cmp_ne_u16_sdwa s[2:3], v30, v9 src0_sel:BYTE_1 src1_sel:DWORD
	s_and_saveexec_b64 s[18:19], s[2:3]
	s_cbranch_execz .LBB220_203
; %bb.198:                              ;   in Loop: Header=BB220_139 Depth=1
	v_cmp_ne_u16_sdwa s[2:3], v30, s28 src0_sel:BYTE_1 src1_sel:DWORD
	v_pk_mov_b32 v[34:35], s[10:11], s[10:11] op_sel:[0,1]
	s_and_saveexec_b64 s[20:21], s[2:3]
	s_cbranch_execz .LBB220_202
; %bb.199:                              ;   in Loop: Header=BB220_139 Depth=1
	v_and_b32_sdwa v31, v30, s30 dst_sel:DWORD dst_unused:UNUSED_PAD src0_sel:BYTE_1 src1_sel:DWORD
	s_mov_b32 s16, s10
	v_cmp_ne_u32_e64 s[2:3], s30, v31
	v_pk_mov_b32 v[34:35], s[16:17], s[16:17] op_sel:[0,1]
	s_and_saveexec_b64 s[22:23], s[2:3]
	s_cbranch_execz .LBB220_201
; %bb.200:                              ;   in Loop: Header=BB220_139 Depth=1
	v_and_b32_sdwa v8, v30, v47 dst_sel:DWORD dst_unused:UNUSED_PAD src0_sel:BYTE_1 src1_sel:DWORD
	v_ffbh_u32_e32 v34, v8
	v_min_u32_e32 v37, 32, v34
	v_subrev_u32_e32 v34, 28, v37
	v_lshlrev_b64 v[34:35], v34, v[8:9]
	v_lshrrev_b32_e32 v36, 3, v31
	v_sub_u32_e32 v35, 29, v37
	v_cmp_gt_u32_e64 s[2:3], 8, v31
	v_and_b32_e32 v34, 7, v34
	v_cndmask_b32_e64 v31, v36, v35, s[2:3]
	v_cndmask_b32_e64 v8, v8, v34, s[2:3]
	v_lshlrev_b32_e32 v34, 16, v30
	v_lshl_add_u32 v31, v31, 23, v21
	v_and_or_b32 v31, v34, s11, v31
	v_lshlrev_b32_e32 v8, 20, v8
	v_or_b32_e32 v35, v31, v8
	v_mov_b32_e32 v34, v9
.LBB220_201:                            ;   in Loop: Header=BB220_139 Depth=1
	s_or_b64 exec, exec, s[22:23]
.LBB220_202:                            ;   in Loop: Header=BB220_139 Depth=1
	s_or_b64 exec, exec, s[20:21]
.LBB220_203:                            ;   in Loop: Header=BB220_139 Depth=1
	s_or_b64 exec, exec, s[18:19]
	v_lshrrev_b32_e32 v8, 16, v30
	v_pk_mov_b32 v[38:39], 0, 0
	v_cmp_ne_u16_sdwa s[2:3], v8, v9 src0_sel:BYTE_0 src1_sel:DWORD
	v_pk_mov_b32 v[36:37], v[38:39], v[38:39] op_sel:[0,1]
	s_and_saveexec_b64 s[18:19], s[2:3]
	s_cbranch_execz .LBB220_209
; %bb.204:                              ;   in Loop: Header=BB220_139 Depth=1
	v_bfrev_b32_e32 v36, 1
	v_cmp_ne_u16_sdwa s[2:3], v8, s28 src0_sel:BYTE_0 src1_sel:DWORD
	v_mov_b32_e32 v37, 0
	s_and_saveexec_b64 s[20:21], s[2:3]
	s_cbranch_execz .LBB220_208
; %bb.205:                              ;   in Loop: Header=BB220_139 Depth=1
	v_bfe_u32 v31, v30, 16, 7
	v_mov_b32_e32 v36, 0x7f800001
	v_cmp_ne_u32_e64 s[2:3], s30, v31
	v_mov_b32_e32 v37, 0
	s_and_saveexec_b64 s[22:23], s[2:3]
	s_cbranch_execz .LBB220_207
; %bb.206:                              ;   in Loop: Header=BB220_139 Depth=1
	v_and_b32_e32 v40, 7, v8
	v_ffbh_u32_e32 v36, v40
	v_min_u32_e32 v52, 32, v36
	v_subrev_u32_e32 v36, 28, v52
	v_lshlrev_b64 v[36:37], v36, v[8:9]
	v_lshrrev_b32_e32 v41, 3, v31
	v_sub_u32_e32 v37, 29, v52
	v_and_b32_e32 v36, 7, v36
	v_cmp_gt_u32_e64 s[2:3], 8, v31
	v_cndmask_b32_e64 v31, v41, v37, s[2:3]
	v_cndmask_b32_e64 v36, v40, v36, s[2:3]
	v_lshlrev_b32_e32 v36, 20, v36
	v_and_b32_sdwa v8, sext(v8), s11 dst_sel:DWORD dst_unused:UNUSED_PAD src0_sel:BYTE_0 src1_sel:DWORD
	v_lshl_add_u32 v31, v31, 23, v21
	v_or3_b32 v8, v8, v31, v36
	v_pk_mov_b32 v[36:37], v[8:9], v[8:9] op_sel:[0,1]
.LBB220_207:                            ;   in Loop: Header=BB220_139 Depth=1
	s_or_b64 exec, exec, s[22:23]
.LBB220_208:                            ;   in Loop: Header=BB220_139 Depth=1
	s_or_b64 exec, exec, s[20:21]
.LBB220_209:                            ;   in Loop: Header=BB220_139 Depth=1
	s_or_b64 exec, exec, s[18:19]
	v_cmp_lt_u32_e64 s[2:3], s31, v30
	s_and_saveexec_b64 s[18:19], s[2:3]
	s_cbranch_execz .LBB220_215
; %bb.210:                              ;   in Loop: Header=BB220_139 Depth=1
	v_cmp_ne_u32_sdwa s[2:3], v30, s28 src0_sel:BYTE_3 src1_sel:DWORD
	v_pk_mov_b32 v[38:39], s[10:11], s[10:11] op_sel:[0,1]
	s_and_saveexec_b64 s[20:21], s[2:3]
	s_cbranch_execz .LBB220_214
; %bb.211:                              ;   in Loop: Header=BB220_139 Depth=1
	v_bfe_u32 v31, v30, 24, 7
	s_mov_b32 s16, s10
	v_cmp_ne_u32_e64 s[2:3], s30, v31
	v_pk_mov_b32 v[38:39], s[16:17], s[16:17] op_sel:[0,1]
	s_and_saveexec_b64 s[22:23], s[2:3]
	s_cbranch_execz .LBB220_213
; %bb.212:                              ;   in Loop: Header=BB220_139 Depth=1
	v_and_b32_sdwa v8, v30, v47 dst_sel:DWORD dst_unused:UNUSED_PAD src0_sel:BYTE_3 src1_sel:DWORD
	v_ffbh_u32_e32 v38, v8
	v_min_u32_e32 v41, 32, v38
	v_subrev_u32_e32 v38, 28, v41
	v_lshlrev_b64 v[38:39], v38, v[8:9]
	v_lshrrev_b32_e32 v40, 3, v31
	v_sub_u32_e32 v39, 29, v41
	v_cmp_gt_u32_e64 s[2:3], 8, v31
	v_and_b32_e32 v38, 7, v38
	v_cndmask_b32_e64 v31, v40, v39, s[2:3]
	v_cndmask_b32_e64 v8, v8, v38, s[2:3]
	v_lshlrev_b32_sdwa v30, v48, v30 dst_sel:DWORD dst_unused:UNUSED_PAD src0_sel:DWORD src1_sel:BYTE_3
	v_lshl_add_u32 v31, v31, 23, v21
	v_and_or_b32 v30, v30, s11, v31
	v_lshlrev_b32_e32 v8, 20, v8
	v_or_b32_e32 v39, v30, v8
	v_mov_b32_e32 v38, v9
.LBB220_213:                            ;   in Loop: Header=BB220_139 Depth=1
	s_or_b64 exec, exec, s[22:23]
.LBB220_214:                            ;   in Loop: Header=BB220_139 Depth=1
	s_or_b64 exec, exec, s[20:21]
.LBB220_215:                            ;   in Loop: Header=BB220_139 Depth=1
	s_or_b64 exec, exec, s[18:19]
	v_or_b32_e32 v31, v35, v33
	v_or_b32_e32 v30, v34, v32
	;; [unrolled: 1-line block ×4, first 2 shown]
	v_pk_mul_f32 v[30:31], s[12:13], v[30:31]
	v_pk_mul_f32 v[32:33], s[12:13], v[32:33]
	s_and_saveexec_b64 s[18:19], vcc
; %bb.216:                              ;   in Loop: Header=BB220_139 Depth=1
	v_cmp_gt_i32_e64 s[2:3], s29, v49
	v_cndmask_b32_e64 v30, 0, v30, s[2:3]
	v_cmp_gt_i32_e64 s[2:3], s29, v51
	v_cndmask_b32_e64 v31, 0, v31, s[2:3]
	;; [unrolled: 2-line block ×4, first 2 shown]
; %bb.217:                              ;   in Loop: Header=BB220_139 Depth=1
	s_or_b64 exec, exec, s[18:19]
	global_load_dword v24, v[24:25], off offset:768
	v_pk_mov_b32 v[36:37], 0, 0
	v_pk_mov_b32 v[34:35], v[36:37], v[36:37] op_sel:[0,1]
	s_waitcnt vmcnt(0)
	v_cmp_ne_u16_sdwa s[2:3], v24, v9 src0_sel:BYTE_0 src1_sel:DWORD
	s_and_saveexec_b64 s[18:19], s[2:3]
	s_cbranch_execz .LBB220_223
; %bb.218:                              ;   in Loop: Header=BB220_139 Depth=1
	v_bfrev_b32_e32 v34, 1
	v_cmp_ne_u16_sdwa s[2:3], v24, s28 src0_sel:BYTE_0 src1_sel:DWORD
	v_mov_b32_e32 v35, 0
	s_and_saveexec_b64 s[20:21], s[2:3]
	s_cbranch_execz .LBB220_222
; %bb.219:                              ;   in Loop: Header=BB220_139 Depth=1
	v_and_b32_e32 v8, 0x7f, v24
	v_mov_b32_e32 v34, 0x7f800001
	v_cmp_ne_u32_e64 s[2:3], s30, v8
	v_mov_b32_e32 v35, 0
	s_and_saveexec_b64 s[22:23], s[2:3]
	s_cbranch_execz .LBB220_221
; %bb.220:                              ;   in Loop: Header=BB220_139 Depth=1
	v_and_b32_e32 v25, 7, v24
	v_ffbh_u32_e32 v34, v25
	v_min_u32_e32 v39, 32, v34
	v_subrev_u32_e32 v34, 28, v39
	v_lshlrev_b64 v[34:35], v34, v[24:25]
	v_lshrrev_b32_e32 v38, 3, v8
	v_sub_u32_e32 v35, 29, v39
	v_and_b32_e32 v34, 7, v34
	v_cmp_gt_u32_e64 s[2:3], 8, v8
	v_cndmask_b32_e64 v8, v38, v35, s[2:3]
	v_cndmask_b32_e64 v25, v25, v34, s[2:3]
	v_lshlrev_b32_e32 v25, 20, v25
	v_and_b32_sdwa v34, sext(v24), s11 dst_sel:DWORD dst_unused:UNUSED_PAD src0_sel:BYTE_0 src1_sel:DWORD
	v_lshl_add_u32 v8, v8, 23, v21
	v_or3_b32 v8, v34, v8, v25
	v_pk_mov_b32 v[34:35], v[8:9], v[8:9] op_sel:[0,1]
.LBB220_221:                            ;   in Loop: Header=BB220_139 Depth=1
	s_or_b64 exec, exec, s[22:23]
.LBB220_222:                            ;   in Loop: Header=BB220_139 Depth=1
	s_or_b64 exec, exec, s[20:21]
.LBB220_223:                            ;   in Loop: Header=BB220_139 Depth=1
	s_or_b64 exec, exec, s[18:19]
	v_cmp_ne_u16_sdwa s[2:3], v24, v9 src0_sel:BYTE_1 src1_sel:DWORD
	s_and_saveexec_b64 s[18:19], s[2:3]
	s_cbranch_execz .LBB220_229
; %bb.224:                              ;   in Loop: Header=BB220_139 Depth=1
	v_cmp_ne_u16_sdwa s[2:3], v24, s28 src0_sel:BYTE_1 src1_sel:DWORD
	v_pk_mov_b32 v[36:37], s[10:11], s[10:11] op_sel:[0,1]
	s_and_saveexec_b64 s[20:21], s[2:3]
	s_cbranch_execz .LBB220_228
; %bb.225:                              ;   in Loop: Header=BB220_139 Depth=1
	v_and_b32_sdwa v25, v24, s30 dst_sel:DWORD dst_unused:UNUSED_PAD src0_sel:BYTE_1 src1_sel:DWORD
	s_mov_b32 s16, s10
	v_cmp_ne_u32_e64 s[2:3], s30, v25
	v_pk_mov_b32 v[36:37], s[16:17], s[16:17] op_sel:[0,1]
	s_and_saveexec_b64 s[22:23], s[2:3]
	s_cbranch_execz .LBB220_227
; %bb.226:                              ;   in Loop: Header=BB220_139 Depth=1
	v_and_b32_sdwa v8, v24, v47 dst_sel:DWORD dst_unused:UNUSED_PAD src0_sel:BYTE_1 src1_sel:DWORD
	v_ffbh_u32_e32 v36, v8
	v_min_u32_e32 v39, 32, v36
	v_subrev_u32_e32 v36, 28, v39
	v_lshlrev_b64 v[36:37], v36, v[8:9]
	v_lshrrev_b32_e32 v38, 3, v25
	v_sub_u32_e32 v37, 29, v39
	v_cmp_gt_u32_e64 s[2:3], 8, v25
	v_and_b32_e32 v36, 7, v36
	v_cndmask_b32_e64 v25, v38, v37, s[2:3]
	v_cndmask_b32_e64 v8, v8, v36, s[2:3]
	v_lshlrev_b32_e32 v36, 16, v24
	v_lshl_add_u32 v25, v25, 23, v21
	v_and_or_b32 v25, v36, s11, v25
	v_lshlrev_b32_e32 v8, 20, v8
	v_or_b32_e32 v37, v25, v8
	v_mov_b32_e32 v36, v9
.LBB220_227:                            ;   in Loop: Header=BB220_139 Depth=1
	s_or_b64 exec, exec, s[22:23]
.LBB220_228:                            ;   in Loop: Header=BB220_139 Depth=1
	s_or_b64 exec, exec, s[20:21]
.LBB220_229:                            ;   in Loop: Header=BB220_139 Depth=1
	s_or_b64 exec, exec, s[18:19]
	v_lshrrev_b32_e32 v8, 16, v24
	v_pk_mov_b32 v[40:41], 0, 0
	v_cmp_ne_u16_sdwa s[2:3], v8, v9 src0_sel:BYTE_0 src1_sel:DWORD
	v_pk_mov_b32 v[38:39], v[40:41], v[40:41] op_sel:[0,1]
	s_and_saveexec_b64 s[18:19], s[2:3]
	s_cbranch_execz .LBB220_235
; %bb.230:                              ;   in Loop: Header=BB220_139 Depth=1
	v_bfrev_b32_e32 v38, 1
	v_cmp_ne_u16_sdwa s[2:3], v8, s28 src0_sel:BYTE_0 src1_sel:DWORD
	v_mov_b32_e32 v39, 0
	s_and_saveexec_b64 s[20:21], s[2:3]
	s_cbranch_execz .LBB220_234
; %bb.231:                              ;   in Loop: Header=BB220_139 Depth=1
	v_bfe_u32 v25, v24, 16, 7
	v_mov_b32_e32 v38, 0x7f800001
	v_cmp_ne_u32_e64 s[2:3], s30, v25
	v_mov_b32_e32 v39, 0
	s_and_saveexec_b64 s[22:23], s[2:3]
	s_cbranch_execz .LBB220_233
; %bb.232:                              ;   in Loop: Header=BB220_139 Depth=1
	v_and_b32_e32 v52, 7, v8
	v_ffbh_u32_e32 v38, v52
	v_min_u32_e32 v54, 32, v38
	v_subrev_u32_e32 v38, 28, v54
	v_lshlrev_b64 v[38:39], v38, v[8:9]
	v_lshrrev_b32_e32 v53, 3, v25
	v_sub_u32_e32 v39, 29, v54
	v_and_b32_e32 v38, 7, v38
	v_cmp_gt_u32_e64 s[2:3], 8, v25
	v_cndmask_b32_e64 v25, v53, v39, s[2:3]
	v_cndmask_b32_e64 v38, v52, v38, s[2:3]
	v_lshlrev_b32_e32 v38, 20, v38
	v_and_b32_sdwa v8, sext(v8), s11 dst_sel:DWORD dst_unused:UNUSED_PAD src0_sel:BYTE_0 src1_sel:DWORD
	v_lshl_add_u32 v25, v25, 23, v21
	v_or3_b32 v8, v8, v25, v38
	v_pk_mov_b32 v[38:39], v[8:9], v[8:9] op_sel:[0,1]
.LBB220_233:                            ;   in Loop: Header=BB220_139 Depth=1
	s_or_b64 exec, exec, s[22:23]
.LBB220_234:                            ;   in Loop: Header=BB220_139 Depth=1
	s_or_b64 exec, exec, s[20:21]
.LBB220_235:                            ;   in Loop: Header=BB220_139 Depth=1
	s_or_b64 exec, exec, s[18:19]
	v_cmp_lt_u32_e64 s[2:3], s31, v24
	s_and_saveexec_b64 s[18:19], s[2:3]
	s_cbranch_execz .LBB220_241
; %bb.236:                              ;   in Loop: Header=BB220_139 Depth=1
	v_cmp_ne_u32_sdwa s[2:3], v24, s28 src0_sel:BYTE_3 src1_sel:DWORD
	v_pk_mov_b32 v[40:41], s[10:11], s[10:11] op_sel:[0,1]
	s_and_saveexec_b64 s[20:21], s[2:3]
	s_cbranch_execz .LBB220_240
; %bb.237:                              ;   in Loop: Header=BB220_139 Depth=1
	v_bfe_u32 v25, v24, 24, 7
	s_mov_b32 s16, s10
	v_cmp_ne_u32_e64 s[2:3], s30, v25
	v_pk_mov_b32 v[40:41], s[16:17], s[16:17] op_sel:[0,1]
	s_and_saveexec_b64 s[22:23], s[2:3]
	s_cbranch_execz .LBB220_239
; %bb.238:                              ;   in Loop: Header=BB220_139 Depth=1
	v_and_b32_sdwa v8, v24, v47 dst_sel:DWORD dst_unused:UNUSED_PAD src0_sel:BYTE_3 src1_sel:DWORD
	v_ffbh_u32_e32 v40, v8
	v_min_u32_e32 v53, 32, v40
	v_subrev_u32_e32 v40, 28, v53
	v_lshlrev_b64 v[40:41], v40, v[8:9]
	v_lshrrev_b32_e32 v52, 3, v25
	v_sub_u32_e32 v41, 29, v53
	v_cmp_gt_u32_e64 s[2:3], 8, v25
	v_and_b32_e32 v40, 7, v40
	v_cndmask_b32_e64 v25, v52, v41, s[2:3]
	v_cndmask_b32_e64 v8, v8, v40, s[2:3]
	v_lshlrev_b32_sdwa v24, v48, v24 dst_sel:DWORD dst_unused:UNUSED_PAD src0_sel:DWORD src1_sel:BYTE_3
	v_lshl_add_u32 v25, v25, 23, v21
	v_and_or_b32 v24, v24, s11, v25
	v_lshlrev_b32_e32 v8, 20, v8
	v_or_b32_e32 v41, v24, v8
	v_mov_b32_e32 v40, v9
.LBB220_239:                            ;   in Loop: Header=BB220_139 Depth=1
	s_or_b64 exec, exec, s[22:23]
.LBB220_240:                            ;   in Loop: Header=BB220_139 Depth=1
	s_or_b64 exec, exec, s[20:21]
.LBB220_241:                            ;   in Loop: Header=BB220_139 Depth=1
	s_or_b64 exec, exec, s[18:19]
	v_or_b32_e32 v25, v37, v35
	v_or_b32_e32 v24, v36, v34
	;; [unrolled: 1-line block ×4, first 2 shown]
	v_pk_mul_f32 v[24:25], s[12:13], v[24:25]
	v_pk_mul_f32 v[34:35], s[12:13], v[34:35]
	s_and_saveexec_b64 s[2:3], vcc
	s_cbranch_execz .LBB220_138
; %bb.242:                              ;   in Loop: Header=BB220_139 Depth=1
	v_cmp_gt_i32_e32 vcc, s29, v49
	v_cndmask_b32_e32 v24, 0, v24, vcc
	v_cmp_gt_i32_e32 vcc, s29, v51
	v_cndmask_b32_e32 v25, 0, v25, vcc
	;; [unrolled: 2-line block ×4, first 2 shown]
	s_branch .LBB220_138
.LBB220_243:
	s_or_b64 exec, exec, s[14:15]
.LBB220_244:
	s_or_b64 exec, exec, s[6:7]
	ds_bpermute_b32 v2, v44, v10
	ds_bpermute_b32 v3, v44, v11
	;; [unrolled: 1-line block ×4, first 2 shown]
	v_and_b32_e32 v0, 0x3c3, v0
	v_cmp_eq_u32_e32 vcc, 64, v0
	s_waitcnt lgkmcnt(2)
	v_pk_add_f32 v[2:3], v[10:11], v[2:3]
	ds_bpermute_b32 v8, v43, v2
	s_waitcnt lgkmcnt(1)
	v_pk_add_f32 v[4:5], v[6:7], v[4:5]
	ds_bpermute_b32 v9, v43, v3
	ds_bpermute_b32 v6, v43, v4
	;; [unrolled: 1-line block ×3, first 2 shown]
	s_waitcnt lgkmcnt(0)
	s_barrier
	v_pk_add_f32 v[2:3], v[2:3], v[8:9]
	v_pk_add_f32 v[4:5], v[4:5], v[6:7]
	s_and_saveexec_b64 s[2:3], vcc
	s_cbranch_execz .LBB220_246
; %bb.245:
	v_add_u32_e32 v6, 0x110, v42
	ds_write2_b32 v6, v2, v3 offset1:16
	ds_write2_b32 v6, v4, v5 offset0:32 offset1:48
.LBB220_246:
	s_or_b64 exec, exec, s[2:3]
	s_waitcnt lgkmcnt(0)
	s_barrier
	s_and_saveexec_b64 s[2:3], s[0:1]
	s_cbranch_execz .LBB220_253
; %bb.247:
	v_cmp_eq_u32_e32 vcc, 0, v18
	s_and_saveexec_b64 s[0:1], vcc
	s_cbranch_execnz .LBB220_256
; %bb.248:
	s_or_b64 exec, exec, s[0:1]
	s_and_saveexec_b64 s[0:1], vcc
	s_cbranch_execnz .LBB220_257
.LBB220_249:
	s_or_b64 exec, exec, s[0:1]
	s_and_saveexec_b64 s[0:1], vcc
	s_cbranch_execnz .LBB220_258
.LBB220_250:
	s_or_b64 exec, exec, s[0:1]
	s_and_saveexec_b64 s[0:1], vcc
	s_cbranch_execz .LBB220_252
.LBB220_251:
	v_mov_b32_e32 v6, 0x110
	v_lshl_add_u32 v6, v19, 2, v6
	ds_read_b32 v6, v6 offset:192
	s_waitcnt lgkmcnt(0)
	v_add_f32_e32 v5, v5, v6
.LBB220_252:
	s_or_b64 exec, exec, s[0:1]
.LBB220_253:
	s_or_b64 exec, exec, s[2:3]
	v_cmp_eq_u32_e32 vcc, 0, v0
	s_barrier
	s_and_saveexec_b64 s[0:1], vcc
	s_cbranch_execz .LBB220_255
; %bb.254:
	s_lshl_b32 s0, s4, 6
	s_ashr_i32 s1, s0, 31
	s_lshl_b64 s[0:1], s[0:1], 2
	s_add_u32 s2, s26, s0
	s_mul_i32 s0, s25, s24
	s_addc_u32 s3, s27, s1
	s_ashr_i32 s1, s0, 31
	s_lshl_b64 s[0:1], s[0:1], 2
	s_add_u32 s2, s2, s0
	s_addc_u32 s3, s3, s1
	s_lshl_b32 s0, s8, 6
	s_ashr_i32 s1, s0, 31
	s_lshl_b64 s[0:1], s[0:1], 2
	s_add_u32 s0, s2, s0
	s_addc_u32 s1, s3, s1
	global_store_dword v1, v2, s[0:1]
	global_store_dword v1, v3, s[0:1] offset:64
	global_store_dword v1, v4, s[0:1] offset:128
	;; [unrolled: 1-line block ×3, first 2 shown]
.LBB220_255:
	s_endpgm
.LBB220_256:
	v_mov_b32_e32 v6, 0x110
	v_lshl_add_u32 v6, v19, 2, v6
	ds_read_b32 v6, v6
	s_waitcnt lgkmcnt(0)
	v_add_f32_e32 v2, v2, v6
	s_or_b64 exec, exec, s[0:1]
	s_and_saveexec_b64 s[0:1], vcc
	s_cbranch_execz .LBB220_249
.LBB220_257:
	v_mov_b32_e32 v6, 0x110
	v_lshl_add_u32 v6, v19, 2, v6
	ds_read_b32 v6, v6 offset:64
	s_waitcnt lgkmcnt(0)
	v_add_f32_e32 v3, v3, v6
	s_or_b64 exec, exec, s[0:1]
	s_and_saveexec_b64 s[0:1], vcc
	s_cbranch_execz .LBB220_250
.LBB220_258:
	v_mov_b32_e32 v6, 0x110
	v_lshl_add_u32 v6, v19, 2, v6
	ds_read_b32 v6, v6 offset:128
	s_waitcnt lgkmcnt(0)
	v_add_f32_e32 v4, v4, v6
	s_or_b64 exec, exec, s[0:1]
	s_and_saveexec_b64 s[0:1], vcc
	s_cbranch_execnz .LBB220_251
	s_branch .LBB220_252
	.section	.rodata,"a",@progbits
	.p2align	6, 0x0
	.amdhsa_kernel _ZN4vllm25paged_attention_v2_kernelIfhLi64ELi16ELi128ELNS_18Fp8KVCacheDataTypeE1ELb0ELi512EEEvPfS2_PT_PKS3_PKT0_S9_ifPKiSB_iPKfiiiSD_SD_iiiii
		.amdhsa_group_segment_fixed_size 272
		.amdhsa_private_segment_fixed_size 0
		.amdhsa_kernarg_size 400
		.amdhsa_user_sgpr_count 6
		.amdhsa_user_sgpr_private_segment_buffer 1
		.amdhsa_user_sgpr_dispatch_ptr 0
		.amdhsa_user_sgpr_queue_ptr 0
		.amdhsa_user_sgpr_kernarg_segment_ptr 1
		.amdhsa_user_sgpr_dispatch_id 0
		.amdhsa_user_sgpr_flat_scratch_init 0
		.amdhsa_user_sgpr_kernarg_preload_length 0
		.amdhsa_user_sgpr_kernarg_preload_offset 0
		.amdhsa_user_sgpr_private_segment_size 0
		.amdhsa_uses_dynamic_stack 0
		.amdhsa_system_sgpr_private_segment_wavefront_offset 0
		.amdhsa_system_sgpr_workgroup_id_x 1
		.amdhsa_system_sgpr_workgroup_id_y 1
		.amdhsa_system_sgpr_workgroup_id_z 1
		.amdhsa_system_sgpr_workgroup_info 0
		.amdhsa_system_vgpr_workitem_id 0
		.amdhsa_next_free_vgpr 62
		.amdhsa_next_free_sgpr 53
		.amdhsa_accum_offset 64
		.amdhsa_reserve_vcc 1
		.amdhsa_reserve_flat_scratch 0
		.amdhsa_float_round_mode_32 0
		.amdhsa_float_round_mode_16_64 0
		.amdhsa_float_denorm_mode_32 3
		.amdhsa_float_denorm_mode_16_64 3
		.amdhsa_dx10_clamp 1
		.amdhsa_ieee_mode 1
		.amdhsa_fp16_overflow 0
		.amdhsa_tg_split 0
		.amdhsa_exception_fp_ieee_invalid_op 0
		.amdhsa_exception_fp_denorm_src 0
		.amdhsa_exception_fp_ieee_div_zero 0
		.amdhsa_exception_fp_ieee_overflow 0
		.amdhsa_exception_fp_ieee_underflow 0
		.amdhsa_exception_fp_ieee_inexact 0
		.amdhsa_exception_int_div_zero 0
	.end_amdhsa_kernel
	.section	.text._ZN4vllm25paged_attention_v2_kernelIfhLi64ELi16ELi128ELNS_18Fp8KVCacheDataTypeE1ELb0ELi512EEEvPfS2_PT_PKS3_PKT0_S9_ifPKiSB_iPKfiiiSD_SD_iiiii,"axG",@progbits,_ZN4vllm25paged_attention_v2_kernelIfhLi64ELi16ELi128ELNS_18Fp8KVCacheDataTypeE1ELb0ELi512EEEvPfS2_PT_PKS3_PKT0_S9_ifPKiSB_iPKfiiiSD_SD_iiiii,comdat
.Lfunc_end220:
	.size	_ZN4vllm25paged_attention_v2_kernelIfhLi64ELi16ELi128ELNS_18Fp8KVCacheDataTypeE1ELb0ELi512EEEvPfS2_PT_PKS3_PKT0_S9_ifPKiSB_iPKfiiiSD_SD_iiiii, .Lfunc_end220-_ZN4vllm25paged_attention_v2_kernelIfhLi64ELi16ELi128ELNS_18Fp8KVCacheDataTypeE1ELb0ELi512EEEvPfS2_PT_PKS3_PKT0_S9_ifPKiSB_iPKfiiiSD_SD_iiiii
                                        ; -- End function
	.section	.AMDGPU.csdata,"",@progbits
; Kernel info:
; codeLenInByte = 9864
; NumSgprs: 57
; NumVgprs: 62
; NumAgprs: 0
; TotalNumVgprs: 62
; ScratchSize: 0
; MemoryBound: 0
; FloatMode: 240
; IeeeMode: 1
; LDSByteSize: 272 bytes/workgroup (compile time only)
; SGPRBlocks: 7
; VGPRBlocks: 7
; NumSGPRsForWavesPerEU: 57
; NumVGPRsForWavesPerEU: 62
; AccumOffset: 64
; Occupancy: 8
; WaveLimiterHint : 1
; COMPUTE_PGM_RSRC2:SCRATCH_EN: 0
; COMPUTE_PGM_RSRC2:USER_SGPR: 6
; COMPUTE_PGM_RSRC2:TRAP_HANDLER: 0
; COMPUTE_PGM_RSRC2:TGID_X_EN: 1
; COMPUTE_PGM_RSRC2:TGID_Y_EN: 1
; COMPUTE_PGM_RSRC2:TGID_Z_EN: 1
; COMPUTE_PGM_RSRC2:TIDIG_COMP_CNT: 0
; COMPUTE_PGM_RSRC3_GFX90A:ACCUM_OFFSET: 15
; COMPUTE_PGM_RSRC3_GFX90A:TG_SPLIT: 0
	.section	.text._ZN4vllm25paged_attention_v2_kernelIfhLi80ELi16ELi128ELNS_18Fp8KVCacheDataTypeE1ELb0ELi512EEEvPfS2_PT_PKS3_PKT0_S9_ifPKiSB_iPKfiiiSD_SD_iiiii,"axG",@progbits,_ZN4vllm25paged_attention_v2_kernelIfhLi80ELi16ELi128ELNS_18Fp8KVCacheDataTypeE1ELb0ELi512EEEvPfS2_PT_PKS3_PKT0_S9_ifPKiSB_iPKfiiiSD_SD_iiiii,comdat
	.protected	_ZN4vllm25paged_attention_v2_kernelIfhLi80ELi16ELi128ELNS_18Fp8KVCacheDataTypeE1ELb0ELi512EEEvPfS2_PT_PKS3_PKT0_S9_ifPKiSB_iPKfiiiSD_SD_iiiii ; -- Begin function _ZN4vllm25paged_attention_v2_kernelIfhLi80ELi16ELi128ELNS_18Fp8KVCacheDataTypeE1ELb0ELi512EEEvPfS2_PT_PKS3_PKT0_S9_ifPKiSB_iPKfiiiSD_SD_iiiii
	.globl	_ZN4vllm25paged_attention_v2_kernelIfhLi80ELi16ELi128ELNS_18Fp8KVCacheDataTypeE1ELb0ELi512EEEvPfS2_PT_PKS3_PKT0_S9_ifPKiSB_iPKfiiiSD_SD_iiiii
	.p2align	8
	.type	_ZN4vllm25paged_attention_v2_kernelIfhLi80ELi16ELi128ELNS_18Fp8KVCacheDataTypeE1ELb0ELi512EEEvPfS2_PT_PKS3_PKT0_S9_ifPKiSB_iPKfiiiSD_SD_iiiii,@function
_ZN4vllm25paged_attention_v2_kernelIfhLi80ELi16ELi128ELNS_18Fp8KVCacheDataTypeE1ELb0ELi512EEEvPfS2_PT_PKS3_PKT0_S9_ifPKiSB_iPKfiiiSD_SD_iiiii: ; @_ZN4vllm25paged_attention_v2_kernelIfhLi80ELi16ELi128ELNS_18Fp8KVCacheDataTypeE1ELb0ELi512EEEvPfS2_PT_PKS3_PKT0_S9_ifPKiSB_iPKfiiiSD_SD_iiiii
; %bb.0:
	s_load_dwordx2 s[0:1], s[4:5], 0x40
	s_mov_b32 s28, s7
	s_ashr_i32 s29, s7, 31
	s_lshl_b64 s[2:3], s[28:29], 2
	s_waitcnt lgkmcnt(0)
	s_add_u32 s0, s0, s2
	s_addc_u32 s1, s1, s3
	s_load_dword s29, s[0:1], 0x0
	s_lshl_b32 s44, s8, 9
	s_waitcnt lgkmcnt(0)
	s_cmp_ge_i32 s44, s29
	s_cbranch_scc1 .LBB221_306
; %bb.1:
	s_load_dword s9, s[4:5], 0x90
	s_load_dwordx2 s[10:11], s[4:5], 0x30
	s_mov_b32 s45, 0
	s_waitcnt lgkmcnt(0)
	s_abs_i32 s2, s9
	s_abs_i32 s0, s10
	v_cvt_f32_u32_e32 v1, s0
	s_sub_i32 s3, 0, s0
	s_xor_b32 s1, s9, s10
	s_ashr_i32 s1, s1, 31
	v_rcp_iflag_f32_e32 v1, v1
	v_mul_f32_e32 v1, 0x4f7ffffe, v1
	v_cvt_u32_f32_e32 v1, v1
	v_readfirstlane_b32 s7, v1
	s_mul_i32 s3, s3, s7
	s_mul_hi_u32 s3, s7, s3
	s_add_i32 s7, s7, s3
	s_mul_hi_u32 s3, s2, s7
	s_mul_i32 s7, s3, s0
	s_sub_i32 s2, s2, s7
	s_add_i32 s10, s3, 1
	s_sub_i32 s7, s2, s0
	s_cmp_ge_u32 s2, s0
	s_cselect_b32 s3, s10, s3
	s_cselect_b32 s2, s7, s2
	s_add_i32 s7, s3, 1
	s_cmp_ge_u32 s2, s0
	s_cselect_b32 s0, s7, s3
	s_xor_b32 s0, s0, s1
	s_sub_i32 s10, s0, s1
	s_abs_i32 s2, s10
	v_cvt_f32_u32_e32 v1, s2
	s_load_dwordx2 s[0:1], s[4:5], 0x50
	s_sub_i32 s7, 0, s2
	s_abs_i32 s3, s6
	v_rcp_iflag_f32_e32 v1, v1
	v_mul_f32_e32 v1, 0x4f7ffffe, v1
	v_cvt_u32_f32_e32 v1, v1
	v_readfirstlane_b32 s12, v1
	s_mul_i32 s7, s7, s12
	s_mul_hi_u32 s7, s12, s7
	s_add_i32 s12, s12, s7
	s_waitcnt lgkmcnt(0)
	s_cmp_eq_u64 s[0:1], 0
	s_mul_hi_u32 s16, s3, s12
	s_cbranch_scc1 .LBB221_3
; %bb.2:
	s_ashr_i32 s7, s6, 31
	s_lshl_b64 s[12:13], s[6:7], 2
	s_add_u32 s0, s0, s12
	s_addc_u32 s1, s1, s13
	s_load_dword s45, s[0:1], 0x0
.LBB221_3:
	s_load_dwordx4 s[12:15], s[4:5], 0x58
	v_lshrrev_b32_e32 v23, 2, v0
	s_movk_i32 s7, 0x50
	s_ashr_i32 s17, s6, 31
	s_ashr_i32 s18, s10, 31
	v_and_b32_e32 v22, 3, v0
	s_mul_i32 s24, s6, 0x50
	v_cmp_gt_u32_e32 vcc, s7, v0
	v_lshlrev_b32_e32 v35, 2, v0
	v_lshlrev_b32_e32 v1, 2, v23
	s_and_saveexec_b64 s[0:1], vcc
	s_cbranch_execz .LBB221_5
; %bb.4:
	s_load_dwordx2 s[20:21], s[4:5], 0x18
	s_waitcnt lgkmcnt(0)
	s_mul_i32 s22, s28, s12
	s_ashr_i32 s23, s22, 31
	s_lshl_b64 s[22:23], s[22:23], 2
	v_mad_u32_u24 v3, v22, s7, v1
	s_add_u32 s10, s20, s22
	s_addc_u32 s12, s21, s23
	s_ashr_i32 s25, s24, 31
	s_lshl_b64 s[20:21], s[24:25], 2
	s_add_u32 s20, s10, s20
	s_addc_u32 s21, s12, s21
	global_load_dword v2, v35, s[20:21]
	s_waitcnt vmcnt(0)
	ds_write_b32 v3, v2
.LBB221_5:
	s_or_b64 exec, exec, s[0:1]
	s_add_i32 s0, s29, 15
	s_ashr_i32 s1, s0, 31
	s_lshr_b32 s1, s1, 28
	s_add_i32 s0, s0, s1
	s_lshl_b32 s10, s8, 5
	s_mul_i32 s1, s16, s2
	s_ashr_i32 s7, s0, 4
	s_add_i32 s0, s10, 32
	s_sub_i32 s1, s3, s1
	s_min_i32 s33, s0, s7
	s_xor_b32 s0, s17, s18
	s_add_i32 s3, s16, 1
	s_waitcnt lgkmcnt(0)
	s_sub_i32 s12, s1, s2
	s_cmp_ge_u32 s1, s2
	s_cselect_b32 s3, s3, s16
	s_cselect_b32 s1, s12, s1
	s_add_i32 s12, s3, 1
	s_cmp_ge_u32 s1, s2
	s_load_dwordx2 s[30:31], s[4:5], 0x38
	s_load_dword s2, s[4:5], 0x48
	v_lshrrev_b32_e32 v36, 6, v0
	s_cselect_b32 s1, s12, s3
	s_xor_b32 s1, s1, s0
	v_or_b32_e32 v24, s10, v36
	s_waitcnt lgkmcnt(0)
	s_mul_i32 s34, s28, s2
	s_sub_i32 s12, s1, s0
	s_ashr_i32 s35, s34, 31
	v_cmp_gt_i32_e64 s[0:1], s33, v24
	v_cmp_le_i32_e32 vcc, s33, v24
	v_mbcnt_lo_u32_b32 v28, -1, 0
	s_barrier
	s_waitcnt lgkmcnt(0)
                                        ; implicit-def: $sgpr15
                                        ; implicit-def: $vgpr37
                                        ; implicit-def: $vgpr38
	s_and_saveexec_b64 s[2:3], vcc
	s_xor_b64 s[2:3], exec, s[2:3]
; %bb.6:
	v_mbcnt_hi_u32_b32 v37, -1, v28
	v_and_b32_e32 v2, 64, v37
	v_add_u32_e32 v38, 64, v2
	s_mov_b32 s15, 0xff7fffff
                                        ; implicit-def: $vgpr28
; %bb.7:
	s_or_saveexec_b64 s[38:39], s[2:3]
	s_load_dwordx4 s[20:23], s[4:5], 0x0
	s_load_dwordx2 s[26:27], s[4:5], 0x10
	s_load_dword s25, s[4:5], 0x98
	s_load_dwordx2 s[36:37], s[4:5], 0x28
	s_load_dwordx4 s[16:19], s[4:5], 0x68
	v_mov_b32_e32 v39, s15
	s_mul_i32 s12, s12, s14
	v_ashrrev_i32_e32 v25, 31, v24
	s_xor_b64 exec, exec, s[38:39]
	s_cbranch_execz .LBB221_133
; %bb.8:
	s_load_dwordx2 s[2:3], s[4:5], 0x20
	s_ashr_i32 s4, s12, 31
	v_bfe_u32 v29, v0, 2, 4
	v_lshlrev_b32_e32 v2, 4, v29
	v_mbcnt_hi_u32_b32 v37, -1, v28
	s_waitcnt lgkmcnt(0)
	s_add_u32 s2, s2, s12
	s_addc_u32 s3, s3, s4
	v_mov_b32_e32 v3, s3
	v_add_co_u32_e32 v26, vcc, s2, v2
	v_and_b32_e32 v28, 64, v37
	v_addc_co_u32_e32 v27, vcc, 0, v3, vcc
	v_add_u32_e32 v38, 64, v28
	v_xor_b32_e32 v28, 2, v37
	v_cmp_lt_i32_e32 vcc, v28, v38
	v_cndmask_b32_e32 v28, v37, v28, vcc
	v_mul_u32_u24_e32 v18, 0x50, v22
	v_lshlrev_b32_e32 v40, 2, v28
	v_xor_b32_e32 v28, 1, v37
	ds_read_b128 v[2:5], v18
	ds_read_b128 v[6:9], v18 offset:16
	ds_read_b128 v[10:13], v18 offset:32
	;; [unrolled: 1-line block ×4, first 2 shown]
	v_cmp_lt_i32_e32 vcc, v28, v38
	v_cndmask_b32_e32 v28, v37, v28, vcc
	v_lshlrev_b32_e32 v41, 2, v28
	v_lshlrev_b32_e32 v28, 4, v36
	s_load_dword s47, s[16:17], 0x0
	s_sub_i32 s48, 1, s29
	v_add3_u32 v42, s44, v28, v29
	v_lshlrev_b32_e32 v28, 2, v29
	s_lshl_b64 s[14:15], s[34:35], 2
	v_lshl_or_b32 v28, v36, 6, v28
	s_add_u32 s14, s30, s14
	v_add_u32_e32 v43, 0x150, v28
	v_lshlrev_b64 v[28:29], 2, v[24:25]
	s_addc_u32 s15, s31, s15
	v_mov_b32_e32 v30, s15
	v_add_co_u32_e32 v28, vcc, s14, v28
	s_mov_b32 s46, s13
	v_cmp_eq_u32_e64 s[2:3], 0, v22
	v_cmp_neq_f32_e64 s[4:5], s45, 0
	v_addc_co_u32_e32 v29, vcc, v30, v29, vcc
	s_mov_b64 s[14:15], 0
	v_mov_b32_e32 v39, 0xff7fffff
	s_movk_i32 s49, 0x80
	s_movk_i32 s50, 0x7f
	v_bfrev_b32_e32 v44, 60
	v_mov_b32_e32 v45, v24
	s_branch .LBB221_10
.LBB221_9:                              ;   in Loop: Header=BB221_10 Depth=1
	s_or_b64 exec, exec, s[16:17]
	v_add_u32_e32 v45, 2, v45
	v_cmp_le_i32_e32 vcc, s33, v45
	s_or_b64 s[14:15], vcc, s[14:15]
	v_add_co_u32_e32 v28, vcc, 8, v28
	v_add_u32_e32 v42, 32, v42
	v_add_u32_e32 v43, 0x80, v43
	v_addc_co_u32_e32 v29, vcc, 0, v29, vcc
	s_andn2_b64 exec, exec, s[14:15]
	s_cbranch_execz .LBB221_132
.LBB221_10:                             ; =>This Inner Loop Header: Depth=1
	global_load_dword v30, v[28:29], off
	v_mov_b32_e32 v46, 0
	s_waitcnt vmcnt(0) lgkmcnt(0)
	v_mad_i64_i32 v[30:31], s[16:17], v30, s46, v[26:27]
	v_add_co_u32_e32 v30, vcc, v30, v22
	v_addc_co_u32_e32 v31, vcc, 0, v31, vcc
	global_load_ubyte v33, v[30:31], off
	s_waitcnt vmcnt(0)
	v_cmp_ne_u16_e32 vcc, 0, v33
	s_and_saveexec_b64 s[16:17], vcc
	s_cbranch_execz .LBB221_16
; %bb.11:                               ;   in Loop: Header=BB221_10 Depth=1
	v_cmp_ne_u16_e32 vcc, s49, v33
	v_bfrev_b32_e32 v46, 1
	s_and_saveexec_b64 s[40:41], vcc
	s_cbranch_execz .LBB221_15
; %bb.12:                               ;   in Loop: Header=BB221_10 Depth=1
	v_and_b32_e32 v32, 0xffff, v33
	v_and_b32_e32 v34, 0x7f, v32
	v_cmp_ne_u32_e32 vcc, s50, v34
	v_mov_b32_e32 v46, 0x7f800001
	s_and_saveexec_b64 s[42:43], vcc
	s_cbranch_execz .LBB221_14
; %bb.13:                               ;   in Loop: Header=BB221_10 Depth=1
	v_and_b32_e32 v48, 7, v32
	v_ffbh_u32_e32 v46, v48
	v_min_u32_e32 v50, 32, v46
	v_subrev_u32_e32 v46, 28, v50
	v_lshlrev_b64 v[46:47], v46, v[32:33]
	v_lshrrev_b32_e32 v49, 3, v34
	v_sub_u32_e32 v32, 29, v50
	v_and_b32_e32 v46, 7, v46
	v_cmp_gt_u32_e32 vcc, 8, v34
	v_cndmask_b32_e32 v32, v49, v32, vcc
	v_cndmask_b32_e32 v34, v48, v46, vcc
	v_lshlrev_b32_e32 v33, 24, v33
	v_lshlrev_b32_e32 v34, 20, v34
	v_and_b32_e32 v33, 0x80000000, v33
	v_lshl_add_u32 v32, v32, 23, v44
	v_or3_b32 v46, v33, v32, v34
.LBB221_14:                             ;   in Loop: Header=BB221_10 Depth=1
	s_or_b64 exec, exec, s[42:43]
.LBB221_15:                             ;   in Loop: Header=BB221_10 Depth=1
	s_or_b64 exec, exec, s[40:41]
.LBB221_16:                             ;   in Loop: Header=BB221_10 Depth=1
	s_or_b64 exec, exec, s[16:17]
	global_load_ubyte v33, v[30:31], off offset:4
	v_mov_b32_e32 v47, 0
	s_waitcnt vmcnt(0)
	v_cmp_ne_u16_e32 vcc, 0, v33
	s_and_saveexec_b64 s[16:17], vcc
	s_cbranch_execz .LBB221_22
; %bb.17:                               ;   in Loop: Header=BB221_10 Depth=1
	v_cmp_ne_u16_e32 vcc, s49, v33
	v_bfrev_b32_e32 v47, 1
	s_and_saveexec_b64 s[40:41], vcc
	s_cbranch_execz .LBB221_21
; %bb.18:                               ;   in Loop: Header=BB221_10 Depth=1
	v_and_b32_e32 v32, 0xffff, v33
	v_and_b32_e32 v34, 0x7f, v32
	v_cmp_ne_u32_e32 vcc, s50, v34
	v_mov_b32_e32 v47, 0x7f800001
	s_and_saveexec_b64 s[42:43], vcc
	s_cbranch_execz .LBB221_20
; %bb.19:                               ;   in Loop: Header=BB221_10 Depth=1
	v_and_b32_e32 v47, 7, v32
	v_ffbh_u32_e32 v48, v47
	v_min_u32_e32 v51, 32, v48
	v_subrev_u32_e32 v48, 28, v51
	v_lshlrev_b64 v[48:49], v48, v[32:33]
	v_lshrrev_b32_e32 v50, 3, v34
	v_sub_u32_e32 v32, 29, v51
	v_and_b32_e32 v48, 7, v48
	v_cmp_gt_u32_e32 vcc, 8, v34
	v_cndmask_b32_e32 v32, v50, v32, vcc
	v_cndmask_b32_e32 v34, v47, v48, vcc
	v_lshlrev_b32_e32 v33, 24, v33
	v_lshlrev_b32_e32 v34, 20, v34
	v_and_b32_e32 v33, 0x80000000, v33
	v_lshl_add_u32 v32, v32, 23, v44
	v_or3_b32 v47, v33, v32, v34
.LBB221_20:                             ;   in Loop: Header=BB221_10 Depth=1
	s_or_b64 exec, exec, s[42:43]
.LBB221_21:                             ;   in Loop: Header=BB221_10 Depth=1
	s_or_b64 exec, exec, s[40:41]
.LBB221_22:                             ;   in Loop: Header=BB221_10 Depth=1
	s_or_b64 exec, exec, s[16:17]
	global_load_ubyte v33, v[30:31], off offset:8
	v_mov_b32_e32 v48, 0
	v_mov_b32_e32 v49, 0
	s_waitcnt vmcnt(0)
	v_cmp_ne_u16_e32 vcc, 0, v33
	s_and_saveexec_b64 s[16:17], vcc
	s_cbranch_execz .LBB221_28
; %bb.23:                               ;   in Loop: Header=BB221_10 Depth=1
	v_cmp_ne_u16_e32 vcc, s49, v33
	v_bfrev_b32_e32 v49, 1
	s_and_saveexec_b64 s[40:41], vcc
	s_cbranch_execz .LBB221_27
; %bb.24:                               ;   in Loop: Header=BB221_10 Depth=1
	v_and_b32_e32 v32, 0xffff, v33
	v_and_b32_e32 v34, 0x7f, v32
	v_cmp_ne_u32_e32 vcc, s50, v34
	v_mov_b32_e32 v49, 0x7f800001
	s_and_saveexec_b64 s[42:43], vcc
	s_cbranch_execz .LBB221_26
; %bb.25:                               ;   in Loop: Header=BB221_10 Depth=1
	v_and_b32_e32 v49, 7, v32
	v_ffbh_u32_e32 v50, v49
	v_min_u32_e32 v53, 32, v50
	v_subrev_u32_e32 v50, 28, v53
	v_lshlrev_b64 v[50:51], v50, v[32:33]
	v_lshrrev_b32_e32 v52, 3, v34
	v_sub_u32_e32 v32, 29, v53
	v_and_b32_e32 v50, 7, v50
	v_cmp_gt_u32_e32 vcc, 8, v34
	v_cndmask_b32_e32 v32, v52, v32, vcc
	v_cndmask_b32_e32 v34, v49, v50, vcc
	v_lshlrev_b32_e32 v33, 24, v33
	v_lshlrev_b32_e32 v34, 20, v34
	v_and_b32_e32 v33, 0x80000000, v33
	v_lshl_add_u32 v32, v32, 23, v44
	v_or3_b32 v49, v33, v32, v34
.LBB221_26:                             ;   in Loop: Header=BB221_10 Depth=1
	s_or_b64 exec, exec, s[42:43]
.LBB221_27:                             ;   in Loop: Header=BB221_10 Depth=1
	s_or_b64 exec, exec, s[40:41]
.LBB221_28:                             ;   in Loop: Header=BB221_10 Depth=1
	s_or_b64 exec, exec, s[16:17]
	global_load_ubyte v33, v[30:31], off offset:12
	s_waitcnt vmcnt(0)
	v_cmp_ne_u16_e32 vcc, 0, v33
	s_and_saveexec_b64 s[16:17], vcc
	s_cbranch_execz .LBB221_34
; %bb.29:                               ;   in Loop: Header=BB221_10 Depth=1
	v_cmp_ne_u16_e32 vcc, s49, v33
	v_bfrev_b32_e32 v48, 1
	s_and_saveexec_b64 s[40:41], vcc
	s_cbranch_execz .LBB221_33
; %bb.30:                               ;   in Loop: Header=BB221_10 Depth=1
	v_and_b32_e32 v32, 0xffff, v33
	v_and_b32_e32 v34, 0x7f, v32
	v_cmp_ne_u32_e32 vcc, s50, v34
	v_mov_b32_e32 v48, 0x7f800001
	s_and_saveexec_b64 s[42:43], vcc
	s_cbranch_execz .LBB221_32
; %bb.31:                               ;   in Loop: Header=BB221_10 Depth=1
	v_and_b32_e32 v48, 7, v32
	v_ffbh_u32_e32 v50, v48
	v_min_u32_e32 v53, 32, v50
	v_subrev_u32_e32 v50, 28, v53
	v_lshlrev_b64 v[50:51], v50, v[32:33]
	v_lshrrev_b32_e32 v52, 3, v34
	v_sub_u32_e32 v32, 29, v53
	v_and_b32_e32 v50, 7, v50
	v_cmp_gt_u32_e32 vcc, 8, v34
	v_cndmask_b32_e32 v32, v52, v32, vcc
	v_cndmask_b32_e32 v34, v48, v50, vcc
	v_lshlrev_b32_e32 v33, 24, v33
	v_lshlrev_b32_e32 v34, 20, v34
	v_and_b32_e32 v33, 0x80000000, v33
	v_lshl_add_u32 v32, v32, 23, v44
	v_or3_b32 v48, v33, v32, v34
.LBB221_32:                             ;   in Loop: Header=BB221_10 Depth=1
	s_or_b64 exec, exec, s[42:43]
.LBB221_33:                             ;   in Loop: Header=BB221_10 Depth=1
	s_or_b64 exec, exec, s[40:41]
.LBB221_34:                             ;   in Loop: Header=BB221_10 Depth=1
	s_or_b64 exec, exec, s[16:17]
	global_load_ubyte v33, v[30:31], off offset:256
	v_mov_b32_e32 v50, 0
	v_mov_b32_e32 v51, 0
	s_waitcnt vmcnt(0)
	v_cmp_ne_u16_e32 vcc, 0, v33
	s_and_saveexec_b64 s[16:17], vcc
	s_cbranch_execz .LBB221_40
; %bb.35:                               ;   in Loop: Header=BB221_10 Depth=1
	v_cmp_ne_u16_e32 vcc, s49, v33
	v_bfrev_b32_e32 v51, 1
	s_and_saveexec_b64 s[40:41], vcc
	s_cbranch_execz .LBB221_39
; %bb.36:                               ;   in Loop: Header=BB221_10 Depth=1
	v_and_b32_e32 v32, 0xffff, v33
	v_and_b32_e32 v34, 0x7f, v32
	v_cmp_ne_u32_e32 vcc, s50, v34
	v_mov_b32_e32 v51, 0x7f800001
	s_and_saveexec_b64 s[42:43], vcc
	s_cbranch_execz .LBB221_38
; %bb.37:                               ;   in Loop: Header=BB221_10 Depth=1
	v_and_b32_e32 v51, 7, v32
	v_ffbh_u32_e32 v52, v51
	v_min_u32_e32 v55, 32, v52
	v_subrev_u32_e32 v52, 28, v55
	v_lshlrev_b64 v[52:53], v52, v[32:33]
	v_lshrrev_b32_e32 v54, 3, v34
	v_sub_u32_e32 v32, 29, v55
	v_and_b32_e32 v52, 7, v52
	v_cmp_gt_u32_e32 vcc, 8, v34
	v_cndmask_b32_e32 v32, v54, v32, vcc
	v_cndmask_b32_e32 v34, v51, v52, vcc
	v_lshlrev_b32_e32 v33, 24, v33
	v_lshlrev_b32_e32 v34, 20, v34
	v_and_b32_e32 v33, 0x80000000, v33
	v_lshl_add_u32 v32, v32, 23, v44
	v_or3_b32 v51, v33, v32, v34
.LBB221_38:                             ;   in Loop: Header=BB221_10 Depth=1
	s_or_b64 exec, exec, s[42:43]
.LBB221_39:                             ;   in Loop: Header=BB221_10 Depth=1
	s_or_b64 exec, exec, s[40:41]
.LBB221_40:                             ;   in Loop: Header=BB221_10 Depth=1
	s_or_b64 exec, exec, s[16:17]
	global_load_ubyte v33, v[30:31], off offset:260
	s_waitcnt vmcnt(0)
	v_cmp_ne_u16_e32 vcc, 0, v33
	s_and_saveexec_b64 s[16:17], vcc
	s_cbranch_execz .LBB221_46
; %bb.41:                               ;   in Loop: Header=BB221_10 Depth=1
	v_cmp_ne_u16_e32 vcc, s49, v33
	v_bfrev_b32_e32 v50, 1
	s_and_saveexec_b64 s[40:41], vcc
	s_cbranch_execz .LBB221_45
; %bb.42:                               ;   in Loop: Header=BB221_10 Depth=1
	v_and_b32_e32 v32, 0xffff, v33
	v_and_b32_e32 v34, 0x7f, v32
	v_cmp_ne_u32_e32 vcc, s50, v34
	v_mov_b32_e32 v50, 0x7f800001
	s_and_saveexec_b64 s[42:43], vcc
	s_cbranch_execz .LBB221_44
; %bb.43:                               ;   in Loop: Header=BB221_10 Depth=1
	v_and_b32_e32 v50, 7, v32
	v_ffbh_u32_e32 v52, v50
	v_min_u32_e32 v55, 32, v52
	v_subrev_u32_e32 v52, 28, v55
	v_lshlrev_b64 v[52:53], v52, v[32:33]
	v_lshrrev_b32_e32 v54, 3, v34
	v_sub_u32_e32 v32, 29, v55
	v_and_b32_e32 v52, 7, v52
	v_cmp_gt_u32_e32 vcc, 8, v34
	v_cndmask_b32_e32 v32, v54, v32, vcc
	v_cndmask_b32_e32 v34, v50, v52, vcc
	v_lshlrev_b32_e32 v33, 24, v33
	v_lshlrev_b32_e32 v34, 20, v34
	v_and_b32_e32 v33, 0x80000000, v33
	v_lshl_add_u32 v32, v32, 23, v44
	v_or3_b32 v50, v33, v32, v34
.LBB221_44:                             ;   in Loop: Header=BB221_10 Depth=1
	s_or_b64 exec, exec, s[42:43]
.LBB221_45:                             ;   in Loop: Header=BB221_10 Depth=1
	s_or_b64 exec, exec, s[40:41]
.LBB221_46:                             ;   in Loop: Header=BB221_10 Depth=1
	s_or_b64 exec, exec, s[16:17]
	v_add_co_u32_e32 v32, vcc, 0x100, v30
	v_addc_co_u32_e32 v33, vcc, 0, v31, vcc
	global_load_ubyte v54, v[32:33], off offset:8
	v_mov_b32_e32 v52, 0
	v_mov_b32_e32 v53, 0
	s_waitcnt vmcnt(0)
	v_cmp_ne_u16_e32 vcc, 0, v54
	s_and_saveexec_b64 s[16:17], vcc
	s_cbranch_execz .LBB221_52
; %bb.47:                               ;   in Loop: Header=BB221_10 Depth=1
	v_cmp_ne_u16_e32 vcc, s49, v54
	v_bfrev_b32_e32 v53, 1
	s_and_saveexec_b64 s[40:41], vcc
	s_cbranch_execz .LBB221_51
; %bb.48:                               ;   in Loop: Header=BB221_10 Depth=1
	v_and_b32_e32 v34, 0xffff, v54
	v_and_b32_e32 v55, 0x7f, v34
	v_cmp_ne_u32_e32 vcc, s50, v55
	v_mov_b32_e32 v53, 0x7f800001
	s_and_saveexec_b64 s[42:43], vcc
	s_cbranch_execz .LBB221_50
; %bb.49:                               ;   in Loop: Header=BB221_10 Depth=1
	v_and_b32_e32 v53, 7, v34
	v_ffbh_u32_e32 v56, v53
	v_min_u32_e32 v59, 32, v56
	v_subrev_u32_e32 v56, 28, v59
	v_lshlrev_b64 v[56:57], v56, v[34:35]
	v_lshrrev_b32_e32 v58, 3, v55
	v_sub_u32_e32 v34, 29, v59
	v_and_b32_e32 v56, 7, v56
	v_cmp_gt_u32_e32 vcc, 8, v55
	v_cndmask_b32_e32 v34, v58, v34, vcc
	v_cndmask_b32_e32 v53, v53, v56, vcc
	v_lshlrev_b32_e32 v54, 24, v54
	v_lshlrev_b32_e32 v53, 20, v53
	v_and_b32_e32 v54, 0x80000000, v54
	v_lshl_add_u32 v34, v34, 23, v44
	v_or3_b32 v53, v54, v34, v53
.LBB221_50:                             ;   in Loop: Header=BB221_10 Depth=1
	s_or_b64 exec, exec, s[42:43]
.LBB221_51:                             ;   in Loop: Header=BB221_10 Depth=1
	s_or_b64 exec, exec, s[40:41]
.LBB221_52:                             ;   in Loop: Header=BB221_10 Depth=1
	s_or_b64 exec, exec, s[16:17]
	global_load_ubyte v33, v[32:33], off offset:12
	s_waitcnt vmcnt(0)
	v_cmp_ne_u16_e32 vcc, 0, v33
	s_and_saveexec_b64 s[16:17], vcc
	s_cbranch_execz .LBB221_58
; %bb.53:                               ;   in Loop: Header=BB221_10 Depth=1
	v_cmp_ne_u16_e32 vcc, s49, v33
	v_bfrev_b32_e32 v52, 1
	s_and_saveexec_b64 s[40:41], vcc
	s_cbranch_execz .LBB221_57
; %bb.54:                               ;   in Loop: Header=BB221_10 Depth=1
	v_and_b32_e32 v32, 0xffff, v33
	v_and_b32_e32 v34, 0x7f, v32
	v_cmp_ne_u32_e32 vcc, s50, v34
	v_mov_b32_e32 v52, 0x7f800001
	s_and_saveexec_b64 s[42:43], vcc
	s_cbranch_execz .LBB221_56
; %bb.55:                               ;   in Loop: Header=BB221_10 Depth=1
	v_and_b32_e32 v52, 7, v32
	v_ffbh_u32_e32 v54, v52
	v_min_u32_e32 v57, 32, v54
	v_subrev_u32_e32 v54, 28, v57
	v_lshlrev_b64 v[54:55], v54, v[32:33]
	v_lshrrev_b32_e32 v56, 3, v34
	v_sub_u32_e32 v32, 29, v57
	v_and_b32_e32 v54, 7, v54
	v_cmp_gt_u32_e32 vcc, 8, v34
	v_cndmask_b32_e32 v32, v56, v32, vcc
	v_cndmask_b32_e32 v34, v52, v54, vcc
	v_lshlrev_b32_e32 v33, 24, v33
	v_lshlrev_b32_e32 v34, 20, v34
	v_and_b32_e32 v33, 0x80000000, v33
	v_lshl_add_u32 v32, v32, 23, v44
	v_or3_b32 v52, v33, v32, v34
.LBB221_56:                             ;   in Loop: Header=BB221_10 Depth=1
	s_or_b64 exec, exec, s[42:43]
.LBB221_57:                             ;   in Loop: Header=BB221_10 Depth=1
	s_or_b64 exec, exec, s[40:41]
.LBB221_58:                             ;   in Loop: Header=BB221_10 Depth=1
	s_or_b64 exec, exec, s[16:17]
	global_load_ubyte v33, v[30:31], off offset:512
	v_mov_b32_e32 v54, 0
	v_mov_b32_e32 v55, 0
	s_waitcnt vmcnt(0)
	v_cmp_ne_u16_e32 vcc, 0, v33
	s_and_saveexec_b64 s[16:17], vcc
	s_cbranch_execz .LBB221_64
; %bb.59:                               ;   in Loop: Header=BB221_10 Depth=1
	v_cmp_ne_u16_e32 vcc, s49, v33
	v_bfrev_b32_e32 v55, 1
	s_and_saveexec_b64 s[40:41], vcc
	s_cbranch_execz .LBB221_63
; %bb.60:                               ;   in Loop: Header=BB221_10 Depth=1
	v_and_b32_e32 v32, 0xffff, v33
	v_and_b32_e32 v34, 0x7f, v32
	v_cmp_ne_u32_e32 vcc, s50, v34
	v_mov_b32_e32 v55, 0x7f800001
	s_and_saveexec_b64 s[42:43], vcc
	s_cbranch_execz .LBB221_62
; %bb.61:                               ;   in Loop: Header=BB221_10 Depth=1
	v_and_b32_e32 v55, 7, v32
	v_ffbh_u32_e32 v56, v55
	v_min_u32_e32 v59, 32, v56
	v_subrev_u32_e32 v56, 28, v59
	v_lshlrev_b64 v[56:57], v56, v[32:33]
	v_lshrrev_b32_e32 v58, 3, v34
	v_sub_u32_e32 v32, 29, v59
	v_and_b32_e32 v56, 7, v56
	v_cmp_gt_u32_e32 vcc, 8, v34
	v_cndmask_b32_e32 v32, v58, v32, vcc
	v_cndmask_b32_e32 v34, v55, v56, vcc
	v_lshlrev_b32_e32 v33, 24, v33
	v_lshlrev_b32_e32 v34, 20, v34
	v_and_b32_e32 v33, 0x80000000, v33
	v_lshl_add_u32 v32, v32, 23, v44
	v_or3_b32 v55, v33, v32, v34
.LBB221_62:                             ;   in Loop: Header=BB221_10 Depth=1
	s_or_b64 exec, exec, s[42:43]
.LBB221_63:                             ;   in Loop: Header=BB221_10 Depth=1
	s_or_b64 exec, exec, s[40:41]
.LBB221_64:                             ;   in Loop: Header=BB221_10 Depth=1
	s_or_b64 exec, exec, s[16:17]
	global_load_ubyte v33, v[30:31], off offset:516
	s_waitcnt vmcnt(0)
	v_cmp_ne_u16_e32 vcc, 0, v33
	s_and_saveexec_b64 s[16:17], vcc
	s_cbranch_execz .LBB221_70
; %bb.65:                               ;   in Loop: Header=BB221_10 Depth=1
	v_cmp_ne_u16_e32 vcc, s49, v33
	v_bfrev_b32_e32 v54, 1
	s_and_saveexec_b64 s[40:41], vcc
	s_cbranch_execz .LBB221_69
; %bb.66:                               ;   in Loop: Header=BB221_10 Depth=1
	v_and_b32_e32 v32, 0xffff, v33
	v_and_b32_e32 v34, 0x7f, v32
	v_cmp_ne_u32_e32 vcc, s50, v34
	v_mov_b32_e32 v54, 0x7f800001
	s_and_saveexec_b64 s[42:43], vcc
	s_cbranch_execz .LBB221_68
; %bb.67:                               ;   in Loop: Header=BB221_10 Depth=1
	v_and_b32_e32 v54, 7, v32
	v_ffbh_u32_e32 v56, v54
	v_min_u32_e32 v59, 32, v56
	v_subrev_u32_e32 v56, 28, v59
	v_lshlrev_b64 v[56:57], v56, v[32:33]
	v_lshrrev_b32_e32 v58, 3, v34
	v_sub_u32_e32 v32, 29, v59
	v_and_b32_e32 v56, 7, v56
	v_cmp_gt_u32_e32 vcc, 8, v34
	v_cndmask_b32_e32 v32, v58, v32, vcc
	v_cndmask_b32_e32 v34, v54, v56, vcc
	v_lshlrev_b32_e32 v33, 24, v33
	v_lshlrev_b32_e32 v34, 20, v34
	v_and_b32_e32 v33, 0x80000000, v33
	v_lshl_add_u32 v32, v32, 23, v44
	v_or3_b32 v54, v33, v32, v34
.LBB221_68:                             ;   in Loop: Header=BB221_10 Depth=1
	s_or_b64 exec, exec, s[42:43]
.LBB221_69:                             ;   in Loop: Header=BB221_10 Depth=1
	s_or_b64 exec, exec, s[40:41]
.LBB221_70:                             ;   in Loop: Header=BB221_10 Depth=1
	s_or_b64 exec, exec, s[16:17]
	v_add_co_u32_e32 v32, vcc, 0x200, v30
	v_addc_co_u32_e32 v33, vcc, 0, v31, vcc
	global_load_ubyte v58, v[32:33], off offset:8
	v_mov_b32_e32 v56, 0
	v_mov_b32_e32 v57, 0
	s_waitcnt vmcnt(0)
	v_cmp_ne_u16_e32 vcc, 0, v58
	s_and_saveexec_b64 s[16:17], vcc
	s_cbranch_execz .LBB221_76
; %bb.71:                               ;   in Loop: Header=BB221_10 Depth=1
	v_cmp_ne_u16_e32 vcc, s49, v58
	v_bfrev_b32_e32 v57, 1
	s_and_saveexec_b64 s[40:41], vcc
	s_cbranch_execz .LBB221_75
; %bb.72:                               ;   in Loop: Header=BB221_10 Depth=1
	v_and_b32_e32 v34, 0xffff, v58
	v_and_b32_e32 v59, 0x7f, v34
	v_cmp_ne_u32_e32 vcc, s50, v59
	v_mov_b32_e32 v57, 0x7f800001
	s_and_saveexec_b64 s[42:43], vcc
	s_cbranch_execz .LBB221_74
; %bb.73:                               ;   in Loop: Header=BB221_10 Depth=1
	v_and_b32_e32 v57, 7, v34
	v_ffbh_u32_e32 v60, v57
	v_min_u32_e32 v63, 32, v60
	v_subrev_u32_e32 v60, 28, v63
	v_lshlrev_b64 v[60:61], v60, v[34:35]
	v_lshrrev_b32_e32 v62, 3, v59
	v_sub_u32_e32 v34, 29, v63
	v_and_b32_e32 v60, 7, v60
	v_cmp_gt_u32_e32 vcc, 8, v59
	v_cndmask_b32_e32 v34, v62, v34, vcc
	v_cndmask_b32_e32 v57, v57, v60, vcc
	v_lshlrev_b32_e32 v58, 24, v58
	v_lshlrev_b32_e32 v57, 20, v57
	v_and_b32_e32 v58, 0x80000000, v58
	v_lshl_add_u32 v34, v34, 23, v44
	v_or3_b32 v57, v58, v34, v57
.LBB221_74:                             ;   in Loop: Header=BB221_10 Depth=1
	s_or_b64 exec, exec, s[42:43]
.LBB221_75:                             ;   in Loop: Header=BB221_10 Depth=1
	s_or_b64 exec, exec, s[40:41]
.LBB221_76:                             ;   in Loop: Header=BB221_10 Depth=1
	s_or_b64 exec, exec, s[16:17]
	global_load_ubyte v33, v[32:33], off offset:12
	s_waitcnt vmcnt(0)
	v_cmp_ne_u16_e32 vcc, 0, v33
	s_and_saveexec_b64 s[16:17], vcc
	s_cbranch_execz .LBB221_82
; %bb.77:                               ;   in Loop: Header=BB221_10 Depth=1
	v_cmp_ne_u16_e32 vcc, s49, v33
	v_bfrev_b32_e32 v56, 1
	s_and_saveexec_b64 s[40:41], vcc
	s_cbranch_execz .LBB221_81
; %bb.78:                               ;   in Loop: Header=BB221_10 Depth=1
	v_and_b32_e32 v32, 0xffff, v33
	v_and_b32_e32 v34, 0x7f, v32
	v_cmp_ne_u32_e32 vcc, s50, v34
	v_mov_b32_e32 v56, 0x7f800001
	s_and_saveexec_b64 s[42:43], vcc
	s_cbranch_execz .LBB221_80
; %bb.79:                               ;   in Loop: Header=BB221_10 Depth=1
	v_and_b32_e32 v56, 7, v32
	v_ffbh_u32_e32 v58, v56
	v_min_u32_e32 v61, 32, v58
	v_subrev_u32_e32 v58, 28, v61
	v_lshlrev_b64 v[58:59], v58, v[32:33]
	v_lshrrev_b32_e32 v60, 3, v34
	v_sub_u32_e32 v32, 29, v61
	v_and_b32_e32 v58, 7, v58
	v_cmp_gt_u32_e32 vcc, 8, v34
	v_cndmask_b32_e32 v32, v60, v32, vcc
	v_cndmask_b32_e32 v34, v56, v58, vcc
	v_lshlrev_b32_e32 v33, 24, v33
	v_lshlrev_b32_e32 v34, 20, v34
	v_and_b32_e32 v33, 0x80000000, v33
	v_lshl_add_u32 v32, v32, 23, v44
	v_or3_b32 v56, v33, v32, v34
.LBB221_80:                             ;   in Loop: Header=BB221_10 Depth=1
	s_or_b64 exec, exec, s[42:43]
.LBB221_81:                             ;   in Loop: Header=BB221_10 Depth=1
	s_or_b64 exec, exec, s[40:41]
.LBB221_82:                             ;   in Loop: Header=BB221_10 Depth=1
	s_or_b64 exec, exec, s[16:17]
	global_load_ubyte v33, v[30:31], off offset:768
	v_mov_b32_e32 v58, 0
	v_mov_b32_e32 v59, 0
	s_waitcnt vmcnt(0)
	v_cmp_ne_u16_e32 vcc, 0, v33
	s_and_saveexec_b64 s[16:17], vcc
	s_cbranch_execz .LBB221_88
; %bb.83:                               ;   in Loop: Header=BB221_10 Depth=1
	v_cmp_ne_u16_e32 vcc, s49, v33
	v_bfrev_b32_e32 v59, 1
	s_and_saveexec_b64 s[40:41], vcc
	s_cbranch_execz .LBB221_87
; %bb.84:                               ;   in Loop: Header=BB221_10 Depth=1
	v_and_b32_e32 v32, 0xffff, v33
	v_and_b32_e32 v34, 0x7f, v32
	v_cmp_ne_u32_e32 vcc, s50, v34
	v_mov_b32_e32 v59, 0x7f800001
	s_and_saveexec_b64 s[42:43], vcc
	s_cbranch_execz .LBB221_86
; %bb.85:                               ;   in Loop: Header=BB221_10 Depth=1
	v_and_b32_e32 v59, 7, v32
	v_ffbh_u32_e32 v60, v59
	v_min_u32_e32 v63, 32, v60
	v_subrev_u32_e32 v60, 28, v63
	v_lshlrev_b64 v[60:61], v60, v[32:33]
	v_lshrrev_b32_e32 v62, 3, v34
	v_sub_u32_e32 v32, 29, v63
	v_and_b32_e32 v60, 7, v60
	v_cmp_gt_u32_e32 vcc, 8, v34
	v_cndmask_b32_e32 v32, v62, v32, vcc
	v_cndmask_b32_e32 v34, v59, v60, vcc
	v_lshlrev_b32_e32 v33, 24, v33
	v_lshlrev_b32_e32 v34, 20, v34
	v_and_b32_e32 v33, 0x80000000, v33
	v_lshl_add_u32 v32, v32, 23, v44
	v_or3_b32 v59, v33, v32, v34
.LBB221_86:                             ;   in Loop: Header=BB221_10 Depth=1
	s_or_b64 exec, exec, s[42:43]
.LBB221_87:                             ;   in Loop: Header=BB221_10 Depth=1
	s_or_b64 exec, exec, s[40:41]
.LBB221_88:                             ;   in Loop: Header=BB221_10 Depth=1
	s_or_b64 exec, exec, s[16:17]
	global_load_ubyte v33, v[30:31], off offset:772
	s_waitcnt vmcnt(0)
	v_cmp_ne_u16_e32 vcc, 0, v33
	s_and_saveexec_b64 s[16:17], vcc
	s_cbranch_execz .LBB221_94
; %bb.89:                               ;   in Loop: Header=BB221_10 Depth=1
	v_cmp_ne_u16_e32 vcc, s49, v33
	v_bfrev_b32_e32 v58, 1
	s_and_saveexec_b64 s[40:41], vcc
	s_cbranch_execz .LBB221_93
; %bb.90:                               ;   in Loop: Header=BB221_10 Depth=1
	v_and_b32_e32 v32, 0xffff, v33
	v_and_b32_e32 v34, 0x7f, v32
	v_cmp_ne_u32_e32 vcc, s50, v34
	v_mov_b32_e32 v58, 0x7f800001
	s_and_saveexec_b64 s[42:43], vcc
	s_cbranch_execz .LBB221_92
; %bb.91:                               ;   in Loop: Header=BB221_10 Depth=1
	v_and_b32_e32 v58, 7, v32
	v_ffbh_u32_e32 v60, v58
	v_min_u32_e32 v63, 32, v60
	v_subrev_u32_e32 v60, 28, v63
	v_lshlrev_b64 v[60:61], v60, v[32:33]
	v_lshrrev_b32_e32 v62, 3, v34
	v_sub_u32_e32 v32, 29, v63
	v_and_b32_e32 v60, 7, v60
	v_cmp_gt_u32_e32 vcc, 8, v34
	v_cndmask_b32_e32 v32, v62, v32, vcc
	v_cndmask_b32_e32 v34, v58, v60, vcc
	v_lshlrev_b32_e32 v33, 24, v33
	v_lshlrev_b32_e32 v34, 20, v34
	v_and_b32_e32 v33, 0x80000000, v33
	v_lshl_add_u32 v32, v32, 23, v44
	v_or3_b32 v58, v33, v32, v34
.LBB221_92:                             ;   in Loop: Header=BB221_10 Depth=1
	s_or_b64 exec, exec, s[42:43]
.LBB221_93:                             ;   in Loop: Header=BB221_10 Depth=1
	s_or_b64 exec, exec, s[40:41]
.LBB221_94:                             ;   in Loop: Header=BB221_10 Depth=1
	s_or_b64 exec, exec, s[16:17]
	v_add_co_u32_e32 v32, vcc, 0x300, v30
	v_addc_co_u32_e32 v33, vcc, 0, v31, vcc
	global_load_ubyte v62, v[32:33], off offset:8
	v_mov_b32_e32 v60, 0
	v_mov_b32_e32 v61, 0
	s_waitcnt vmcnt(0)
	v_cmp_ne_u16_e32 vcc, 0, v62
	s_and_saveexec_b64 s[16:17], vcc
	s_cbranch_execz .LBB221_100
; %bb.95:                               ;   in Loop: Header=BB221_10 Depth=1
	v_cmp_ne_u16_e32 vcc, s49, v62
	v_bfrev_b32_e32 v61, 1
	s_and_saveexec_b64 s[40:41], vcc
	s_cbranch_execz .LBB221_99
; %bb.96:                               ;   in Loop: Header=BB221_10 Depth=1
	v_and_b32_e32 v34, 0xffff, v62
	v_and_b32_e32 v63, 0x7f, v34
	v_cmp_ne_u32_e32 vcc, s50, v63
	v_mov_b32_e32 v61, 0x7f800001
	s_and_saveexec_b64 s[42:43], vcc
	s_cbranch_execz .LBB221_98
; %bb.97:                               ;   in Loop: Header=BB221_10 Depth=1
	v_and_b32_e32 v61, 7, v34
	v_ffbh_u32_e32 v64, v61
	v_min_u32_e32 v67, 32, v64
	v_subrev_u32_e32 v64, 28, v67
	v_lshlrev_b64 v[64:65], v64, v[34:35]
	v_lshrrev_b32_e32 v66, 3, v63
	v_sub_u32_e32 v34, 29, v67
	v_and_b32_e32 v64, 7, v64
	v_cmp_gt_u32_e32 vcc, 8, v63
	v_cndmask_b32_e32 v34, v66, v34, vcc
	v_cndmask_b32_e32 v61, v61, v64, vcc
	v_lshlrev_b32_e32 v62, 24, v62
	v_lshlrev_b32_e32 v61, 20, v61
	v_and_b32_e32 v62, 0x80000000, v62
	v_lshl_add_u32 v34, v34, 23, v44
	v_or3_b32 v61, v62, v34, v61
.LBB221_98:                             ;   in Loop: Header=BB221_10 Depth=1
	s_or_b64 exec, exec, s[42:43]
.LBB221_99:                             ;   in Loop: Header=BB221_10 Depth=1
	s_or_b64 exec, exec, s[40:41]
.LBB221_100:                            ;   in Loop: Header=BB221_10 Depth=1
	s_or_b64 exec, exec, s[16:17]
	global_load_ubyte v33, v[32:33], off offset:12
	s_waitcnt vmcnt(0)
	v_cmp_ne_u16_e32 vcc, 0, v33
	s_and_saveexec_b64 s[16:17], vcc
	s_cbranch_execz .LBB221_106
; %bb.101:                              ;   in Loop: Header=BB221_10 Depth=1
	v_cmp_ne_u16_e32 vcc, s49, v33
	v_bfrev_b32_e32 v60, 1
	s_and_saveexec_b64 s[40:41], vcc
	s_cbranch_execz .LBB221_105
; %bb.102:                              ;   in Loop: Header=BB221_10 Depth=1
	v_and_b32_e32 v32, 0xffff, v33
	v_and_b32_e32 v34, 0x7f, v32
	v_cmp_ne_u32_e32 vcc, s50, v34
	v_mov_b32_e32 v60, 0x7f800001
	s_and_saveexec_b64 s[42:43], vcc
	s_cbranch_execz .LBB221_104
; %bb.103:                              ;   in Loop: Header=BB221_10 Depth=1
	v_and_b32_e32 v60, 7, v32
	v_ffbh_u32_e32 v62, v60
	v_min_u32_e32 v65, 32, v62
	v_subrev_u32_e32 v62, 28, v65
	v_lshlrev_b64 v[62:63], v62, v[32:33]
	v_lshrrev_b32_e32 v64, 3, v34
	v_sub_u32_e32 v32, 29, v65
	v_and_b32_e32 v62, 7, v62
	v_cmp_gt_u32_e32 vcc, 8, v34
	v_cndmask_b32_e32 v32, v64, v32, vcc
	v_cndmask_b32_e32 v34, v60, v62, vcc
	v_lshlrev_b32_e32 v33, 24, v33
	v_lshlrev_b32_e32 v34, 20, v34
	v_and_b32_e32 v33, 0x80000000, v33
	v_lshl_add_u32 v32, v32, 23, v44
	v_or3_b32 v60, v33, v32, v34
.LBB221_104:                            ;   in Loop: Header=BB221_10 Depth=1
	s_or_b64 exec, exec, s[42:43]
.LBB221_105:                            ;   in Loop: Header=BB221_10 Depth=1
	s_or_b64 exec, exec, s[40:41]
.LBB221_106:                            ;   in Loop: Header=BB221_10 Depth=1
	s_or_b64 exec, exec, s[16:17]
	global_load_ubyte v62, v[30:31], off offset:1024
	v_mov_b32_e32 v33, 0
	v_mov_b32_e32 v34, 0
	s_waitcnt vmcnt(0)
	v_cmp_ne_u16_e32 vcc, 0, v62
	s_and_saveexec_b64 s[16:17], vcc
	s_cbranch_execz .LBB221_112
; %bb.107:                              ;   in Loop: Header=BB221_10 Depth=1
	v_cmp_ne_u16_e32 vcc, s49, v62
	v_bfrev_b32_e32 v34, 1
	s_and_saveexec_b64 s[40:41], vcc
	s_cbranch_execz .LBB221_111
; %bb.108:                              ;   in Loop: Header=BB221_10 Depth=1
	v_and_b32_e32 v32, 0xffff, v62
	v_and_b32_e32 v63, 0x7f, v32
	v_cmp_ne_u32_e32 vcc, s50, v63
	v_mov_b32_e32 v34, 0x7f800001
	s_and_saveexec_b64 s[42:43], vcc
	s_cbranch_execz .LBB221_110
; %bb.109:                              ;   in Loop: Header=BB221_10 Depth=1
	v_and_b32_e32 v34, 7, v32
	v_ffbh_u32_e32 v64, v34
	v_min_u32_e32 v67, 32, v64
	v_subrev_u32_e32 v64, 28, v67
	v_lshlrev_b64 v[64:65], v64, v[32:33]
	v_lshrrev_b32_e32 v66, 3, v63
	v_sub_u32_e32 v32, 29, v67
	v_and_b32_e32 v64, 7, v64
	v_cmp_gt_u32_e32 vcc, 8, v63
	v_cndmask_b32_e32 v32, v66, v32, vcc
	v_cndmask_b32_e32 v34, v34, v64, vcc
	v_lshlrev_b32_e32 v62, 24, v62
	v_lshlrev_b32_e32 v34, 20, v34
	v_and_b32_e32 v62, 0x80000000, v62
	v_lshl_add_u32 v32, v32, 23, v44
	v_or3_b32 v34, v62, v32, v34
.LBB221_110:                            ;   in Loop: Header=BB221_10 Depth=1
	s_or_b64 exec, exec, s[42:43]
.LBB221_111:                            ;   in Loop: Header=BB221_10 Depth=1
	s_or_b64 exec, exec, s[40:41]
.LBB221_112:                            ;   in Loop: Header=BB221_10 Depth=1
	s_or_b64 exec, exec, s[16:17]
	global_load_ubyte v62, v[30:31], off offset:1028
	s_waitcnt vmcnt(0)
	v_cmp_ne_u16_e32 vcc, 0, v62
	s_and_saveexec_b64 s[16:17], vcc
	s_cbranch_execz .LBB221_118
; %bb.113:                              ;   in Loop: Header=BB221_10 Depth=1
	v_cmp_ne_u16_e32 vcc, s49, v62
	v_bfrev_b32_e32 v33, 1
	s_and_saveexec_b64 s[40:41], vcc
	s_cbranch_execz .LBB221_117
; %bb.114:                              ;   in Loop: Header=BB221_10 Depth=1
	v_and_b32_e32 v32, 0xffff, v62
	v_and_b32_e32 v63, 0x7f, v32
	v_cmp_ne_u32_e32 vcc, s50, v63
	v_mov_b32_e32 v33, 0x7f800001
	s_and_saveexec_b64 s[42:43], vcc
	s_cbranch_execz .LBB221_116
; %bb.115:                              ;   in Loop: Header=BB221_10 Depth=1
	v_and_b32_e32 v64, 7, v32
	v_ffbh_u32_e32 v33, v64
	v_min_u32_e32 v66, 32, v33
	v_subrev_u32_e32 v33, 28, v66
	v_lshlrev_b64 v[32:33], v33, v[32:33]
	v_lshrrev_b32_e32 v65, 3, v63
	v_sub_u32_e32 v33, 29, v66
	v_and_b32_e32 v32, 7, v32
	v_cmp_gt_u32_e32 vcc, 8, v63
	v_cndmask_b32_e32 v33, v65, v33, vcc
	v_cndmask_b32_e32 v32, v64, v32, vcc
	v_lshlrev_b32_e32 v62, 24, v62
	v_lshlrev_b32_e32 v32, 20, v32
	v_and_b32_e32 v62, 0x80000000, v62
	v_lshl_add_u32 v33, v33, 23, v44
	v_or3_b32 v33, v62, v33, v32
.LBB221_116:                            ;   in Loop: Header=BB221_10 Depth=1
	s_or_b64 exec, exec, s[42:43]
.LBB221_117:                            ;   in Loop: Header=BB221_10 Depth=1
	s_or_b64 exec, exec, s[40:41]
.LBB221_118:                            ;   in Loop: Header=BB221_10 Depth=1
	s_or_b64 exec, exec, s[16:17]
	v_add_co_u32_e32 v30, vcc, 0x400, v30
	v_addc_co_u32_e32 v31, vcc, 0, v31, vcc
	global_load_ubyte v64, v[30:31], off offset:8
	v_mov_b32_e32 v62, 0
	v_mov_b32_e32 v63, 0
	s_waitcnt vmcnt(0)
	v_cmp_ne_u16_e32 vcc, 0, v64
	s_and_saveexec_b64 s[16:17], vcc
	s_cbranch_execz .LBB221_124
; %bb.119:                              ;   in Loop: Header=BB221_10 Depth=1
	v_cmp_ne_u16_e32 vcc, s49, v64
	v_bfrev_b32_e32 v63, 1
	s_and_saveexec_b64 s[40:41], vcc
	s_cbranch_execz .LBB221_123
; %bb.120:                              ;   in Loop: Header=BB221_10 Depth=1
	v_and_b32_e32 v32, 0xffff, v64
	v_and_b32_e32 v65, 0x7f, v32
	v_cmp_ne_u32_e32 vcc, s50, v65
	v_mov_b32_e32 v63, 0x7f800001
	s_and_saveexec_b64 s[42:43], vcc
	s_cbranch_execz .LBB221_122
; %bb.121:                              ;   in Loop: Header=BB221_10 Depth=1
	v_and_b32_e32 v63, 7, v32
	v_ffbh_u32_e32 v66, v63
	v_min_u32_e32 v69, 32, v66
	v_subrev_u32_e32 v66, 28, v69
	v_lshlrev_b64 v[66:67], v66, v[32:33]
	v_lshrrev_b32_e32 v68, 3, v65
	v_sub_u32_e32 v32, 29, v69
	v_and_b32_e32 v66, 7, v66
	v_cmp_gt_u32_e32 vcc, 8, v65
	v_cndmask_b32_e32 v32, v68, v32, vcc
	v_cndmask_b32_e32 v63, v63, v66, vcc
	v_lshlrev_b32_e32 v64, 24, v64
	v_lshlrev_b32_e32 v63, 20, v63
	v_and_b32_e32 v64, 0x80000000, v64
	v_lshl_add_u32 v32, v32, 23, v44
	v_or3_b32 v63, v64, v32, v63
.LBB221_122:                            ;   in Loop: Header=BB221_10 Depth=1
	s_or_b64 exec, exec, s[42:43]
.LBB221_123:                            ;   in Loop: Header=BB221_10 Depth=1
	s_or_b64 exec, exec, s[40:41]
.LBB221_124:                            ;   in Loop: Header=BB221_10 Depth=1
	s_or_b64 exec, exec, s[16:17]
	global_load_ubyte v31, v[30:31], off offset:12
	s_waitcnt vmcnt(0)
	v_cmp_ne_u16_e32 vcc, 0, v31
	s_and_saveexec_b64 s[16:17], vcc
	s_cbranch_execz .LBB221_130
; %bb.125:                              ;   in Loop: Header=BB221_10 Depth=1
	v_cmp_ne_u16_e32 vcc, s49, v31
	v_bfrev_b32_e32 v62, 1
	s_and_saveexec_b64 s[40:41], vcc
	s_cbranch_execz .LBB221_129
; %bb.126:                              ;   in Loop: Header=BB221_10 Depth=1
	v_and_b32_e32 v30, 0xffff, v31
	v_and_b32_e32 v32, 0x7f, v30
	v_cmp_ne_u32_e32 vcc, s50, v32
	v_mov_b32_e32 v62, 0x7f800001
	s_and_saveexec_b64 s[42:43], vcc
	s_cbranch_execz .LBB221_128
; %bb.127:                              ;   in Loop: Header=BB221_10 Depth=1
	v_and_b32_e32 v62, 7, v30
	v_ffbh_u32_e32 v64, v62
	v_min_u32_e32 v67, 32, v64
	v_subrev_u32_e32 v64, 28, v67
	v_lshlrev_b64 v[64:65], v64, v[30:31]
	v_lshrrev_b32_e32 v66, 3, v32
	v_sub_u32_e32 v30, 29, v67
	v_and_b32_e32 v64, 7, v64
	v_cmp_gt_u32_e32 vcc, 8, v32
	v_cndmask_b32_e32 v30, v66, v30, vcc
	v_cndmask_b32_e32 v32, v62, v64, vcc
	v_lshlrev_b32_e32 v31, 24, v31
	v_lshlrev_b32_e32 v32, 20, v32
	v_and_b32_e32 v31, 0x80000000, v31
	v_lshl_add_u32 v30, v30, 23, v44
	v_or3_b32 v62, v31, v30, v32
.LBB221_128:                            ;   in Loop: Header=BB221_10 Depth=1
	s_or_b64 exec, exec, s[42:43]
.LBB221_129:                            ;   in Loop: Header=BB221_10 Depth=1
	s_or_b64 exec, exec, s[40:41]
.LBB221_130:                            ;   in Loop: Header=BB221_10 Depth=1
	s_or_b64 exec, exec, s[16:17]
	s_waitcnt lgkmcnt(0)
	v_mul_f32_e32 v47, s47, v47
	v_mul_f32_e32 v46, s47, v46
	;; [unrolled: 1-line block ×4, first 2 shown]
	v_fmac_f32_e32 v47, v2, v46
	v_mul_f32_e32 v48, s47, v48
	v_fmac_f32_e32 v47, v4, v49
	v_mul_f32_e32 v51, s47, v51
	;; [unrolled: 2-line block ×12, first 2 shown]
	v_mul_f32_e32 v34, s47, v61
	v_fmac_f32_e32 v47, v15, v58
	v_mul_f32_e32 v31, s47, v33
	v_mul_f32_e32 v33, s47, v60
	v_fmac_f32_e32 v47, v16, v34
	v_fmac_f32_e32 v47, v17, v33
	;; [unrolled: 1-line block ×3, first 2 shown]
	v_mul_f32_e32 v30, s47, v63
	v_fmac_f32_e32 v47, v19, v31
	v_mul_f32_e32 v60, s47, v62
	v_fmac_f32_e32 v47, v20, v30
	v_fmac_f32_e32 v47, v21, v60
	ds_bpermute_b32 v30, v40, v47
	s_waitcnt lgkmcnt(0)
	v_add_f32_e32 v30, v47, v30
	ds_bpermute_b32 v31, v41, v30
	s_and_saveexec_b64 s[16:17], s[2:3]
	s_cbranch_execz .LBB221_9
; %bb.131:                              ;   in Loop: Header=BB221_10 Depth=1
	v_add_u32_e32 v32, s48, v42
	v_cvt_f32_i32_e32 v32, v32
	s_waitcnt lgkmcnt(0)
	v_add_f32_e32 v30, v30, v31
	v_cmp_gt_i32_e32 vcc, s29, v42
	v_max_f32_e32 v31, v39, v39
	v_mul_f32_e32 v32, s45, v32
	v_cndmask_b32_e64 v32, 0, v32, s[4:5]
	v_fmac_f32_e32 v32, s11, v30
	v_cndmask_b32_e32 v30, 0, v32, vcc
	ds_write_b32 v43, v30
	v_max_f32_e32 v30, v31, v32
	v_cndmask_b32_e32 v39, v39, v30, vcc
	s_branch .LBB221_9
.LBB221_132:
	s_or_b64 exec, exec, s[14:15]
.LBB221_133:
	s_or_b64 exec, exec, s[38:39]
	v_xor_b32_e32 v2, 32, v37
	v_cmp_lt_i32_e32 vcc, v2, v38
	v_cndmask_b32_e32 v2, v37, v2, vcc
	v_lshlrev_b32_e32 v2, 2, v2
	ds_bpermute_b32 v3, v2, v39
	v_xor_b32_e32 v5, 16, v37
	v_max_f32_e32 v4, v39, v39
	v_cmp_lt_i32_e32 vcc, v5, v38
	v_xor_b32_e32 v6, 8, v37
	s_waitcnt lgkmcnt(0)
	v_max_f32_e32 v3, v3, v3
	v_max_f32_e32 v4, v4, v3
	v_cndmask_b32_e32 v3, v37, v5, vcc
	v_lshlrev_b32_e32 v3, 2, v3
	ds_bpermute_b32 v5, v3, v4
	v_cmp_lt_i32_e32 vcc, v6, v38
	v_and_b32_e32 v46, 63, v0
	s_waitcnt lgkmcnt(0)
	v_max_f32_e32 v5, v5, v5
	v_max_f32_e32 v4, v4, v5
	v_cndmask_b32_e32 v5, v37, v6, vcc
	v_lshlrev_b32_e32 v7, 2, v5
	ds_bpermute_b32 v5, v7, v4
	v_xor_b32_e32 v6, 4, v37
	v_cmp_lt_i32_e32 vcc, v6, v38
	s_waitcnt lgkmcnt(0)
	v_max_f32_e32 v5, v5, v5
	v_max_f32_e32 v4, v4, v5
	v_cndmask_b32_e32 v5, v37, v6, vcc
	v_lshlrev_b32_e32 v8, 2, v5
	ds_bpermute_b32 v6, v8, v4
	v_cmp_eq_u32_e32 vcc, 0, v46
	v_lshlrev_b32_e32 v5, 2, v36
	s_and_saveexec_b64 s[2:3], vcc
	s_cbranch_execz .LBB221_135
; %bb.134:
	s_waitcnt lgkmcnt(0)
	v_max_f32_e32 v6, v6, v6
	v_max_f32_e32 v4, v4, v4
	;; [unrolled: 1-line block ×3, first 2 shown]
	ds_write_b32 v5, v4 offset:320
.LBB221_135:
	s_or_b64 exec, exec, s[2:3]
	v_cmp_gt_u32_e64 s[2:3], 2, v46
	v_mov_b32_e32 v4, 0xff7fffff
	s_waitcnt lgkmcnt(0)
	v_lshlrev_b32_e32 v6, 2, v46
	s_barrier
	s_and_saveexec_b64 s[4:5], s[2:3]
	s_cbranch_execz .LBB221_137
; %bb.136:
	ds_read_b32 v4, v6 offset:320
.LBB221_137:
	s_or_b64 exec, exec, s[4:5]
	v_xor_b32_e32 v9, 1, v37
	v_cmp_lt_i32_e64 s[4:5], v9, v38
	v_cndmask_b32_e64 v9, v37, v9, s[4:5]
	v_lshlrev_b32_e32 v47, 2, v9
	s_waitcnt lgkmcnt(0)
	ds_bpermute_b32 v9, v47, v4
	v_max_f32_e32 v4, v4, v4
	s_sub_i32 s4, s33, s10
	s_lshl_b32 s4, s4, 4
	s_add_i32 s4, s4, s44
	s_waitcnt lgkmcnt(0)
	v_max_f32_e32 v9, v9, v9
	v_max_f32_e32 v4, v4, v9
	v_lshlrev_b32_e32 v9, 2, v37
	v_and_b32_e32 v9, 0xffffff00, v9
	ds_bpermute_b32 v4, v9, v4
	s_min_i32 s39, s4, s29
	s_sub_i32 s38, s39, s44
	v_cmp_gt_i32_e64 s[4:5], s38, v0
	v_mov_b32_e32 v10, 0
	s_and_saveexec_b64 s[14:15], s[4:5]
	s_cbranch_execz .LBB221_141
; %bb.138:
	v_mov_b32_e32 v10, 0x150
	v_lshl_add_u32 v11, v0, 2, v10
	s_mov_b64 s[16:17], 0
	v_mov_b32_e32 v10, 0
	v_mov_b32_e32 v12, v0
.LBB221_139:                            ; =>This Inner Loop Header: Depth=1
	ds_read_b32 v13, v11
	v_add_u32_e32 v12, 0x80, v12
	v_cmp_le_i32_e64 s[10:11], s38, v12
	s_or_b64 s[16:17], s[10:11], s[16:17]
	s_waitcnt lgkmcnt(0)
	v_sub_f32_e32 v13, v13, v4
	v_mul_f32_e32 v13, 0x3fb8aa3b, v13
	v_exp_f32_e32 v13, v13
	ds_write_b32 v11, v13
	v_add_f32_e32 v10, v10, v13
	v_add_u32_e32 v11, 0x200, v11
	s_andn2_b64 exec, exec, s[16:17]
	s_cbranch_execnz .LBB221_139
; %bb.140:
	s_or_b64 exec, exec, s[16:17]
.LBB221_141:
	s_or_b64 exec, exec, s[14:15]
	ds_bpermute_b32 v2, v2, v10
	s_waitcnt lgkmcnt(0)
	v_add_f32_e32 v2, v10, v2
	ds_bpermute_b32 v3, v3, v2
	s_waitcnt lgkmcnt(0)
	v_add_f32_e32 v2, v2, v3
	ds_bpermute_b32 v3, v7, v2
	v_xor_b32_e32 v7, 2, v37
	v_cmp_lt_i32_e64 s[10:11], v7, v38
	v_cndmask_b32_e64 v7, v37, v7, s[10:11]
	v_lshlrev_b32_e32 v48, 2, v7
	s_waitcnt lgkmcnt(0)
	v_add_f32_e32 v2, v2, v3
	ds_bpermute_b32 v3, v8, v2
	s_waitcnt lgkmcnt(0)
	v_add_f32_e32 v2, v2, v3
	ds_bpermute_b32 v3, v48, v2
	;; [unrolled: 3-line block ×3, first 2 shown]
	s_waitcnt lgkmcnt(0)
	v_add_f32_e32 v2, v2, v3
	s_and_saveexec_b64 s[10:11], vcc
	s_cbranch_execz .LBB221_143
; %bb.142:
	ds_write_b32 v5, v2 offset:328
.LBB221_143:
	s_or_b64 exec, exec, s[10:11]
	s_waitcnt lgkmcnt(0)
	s_barrier
	s_and_saveexec_b64 s[10:11], s[2:3]
	s_cbranch_execz .LBB221_145
; %bb.144:
	ds_read_b32 v2, v6 offset:328
.LBB221_145:
	s_or_b64 exec, exec, s[10:11]
	s_waitcnt lgkmcnt(0)
	ds_bpermute_b32 v3, v47, v2
	s_waitcnt lgkmcnt(0)
	v_add_f32_e32 v2, v2, v3
	ds_bpermute_b32 v5, v9, v2
	s_and_saveexec_b64 s[2:3], s[4:5]
	s_cbranch_execz .LBB221_158
; %bb.146:
	s_waitcnt lgkmcnt(0)
	v_add_f32_e32 v2, 0x358637bd, v5
	v_div_scale_f32 v3, s[4:5], v2, v2, 1.0
	v_rcp_f32_e32 v6, v3
	v_div_scale_f32 v7, vcc, 1.0, v2, 1.0
	s_movk_i32 s4, 0x7f
	v_fma_f32 v8, -v3, v6, 1.0
	v_fmac_f32_e32 v6, v8, v6
	v_mul_f32_e32 v8, v7, v6
	v_fma_f32 v9, -v3, v8, v7
	v_fmac_f32_e32 v8, v9, v6
	v_fma_f32 v3, -v3, v8, v7
	v_div_fmas_f32 v3, v3, v6, v8
	v_div_fixup_f32 v2, v3, v2, 1.0
	v_xad_u32 v3, v0, -1, s39
	v_subrev_u32_e32 v6, s44, v3
	v_cmp_lt_u32_e32 vcc, s4, v6
	s_mov_b64 s[10:11], -1
	v_mov_b32_e32 v3, v0
	s_and_saveexec_b64 s[4:5], vcc
	s_cbranch_execz .LBB221_155
; %bb.147:
	v_lshrrev_b32_e32 v6, 7, v6
	v_add_u32_e32 v8, -1, v6
	v_lshrrev_b32_e32 v7, 1, v8
	v_mov_b32_e32 v3, v2
	v_add_u32_e32 v7, 1, v7
	v_cmp_lt_u32_e32 vcc, 13, v8
	v_mov_b32_e32 v10, 0
	s_and_saveexec_b64 s[10:11], vcc
	s_cbranch_execz .LBB221_151
; %bb.148:
	v_mov_b32_e32 v9, 0x150
	v_and_b32_e32 v8, -8, v7
	v_lshl_add_u32 v9, v0, 2, v9
	s_mov_b32 s16, 0
	s_mov_b64 s[14:15], 0
.LBB221_149:                            ; =>This Inner Loop Header: Depth=1
	ds_read2st64_b32 v[10:11], v9 offset1:2
	ds_read2st64_b32 v[12:13], v9 offset0:4 offset1:6
	ds_read2st64_b32 v[14:15], v9 offset0:8 offset1:10
	;; [unrolled: 1-line block ×3, first 2 shown]
	v_add_u32_e32 v8, -8, v8
	s_waitcnt lgkmcnt(3)
	v_pk_mul_f32 v[10:11], v[2:3], v[10:11]
	s_waitcnt lgkmcnt(2)
	v_pk_mul_f32 v[12:13], v[2:3], v[12:13]
	ds_write2st64_b32 v9, v10, v11 offset1:2
	ds_write2st64_b32 v9, v12, v13 offset0:4 offset1:6
	ds_read2st64_b32 v[12:13], v9 offset0:16 offset1:18
	s_waitcnt lgkmcnt(4)
	v_pk_mul_f32 v[10:11], v[2:3], v[14:15]
	ds_write2st64_b32 v9, v10, v11 offset0:8 offset1:10
	s_waitcnt lgkmcnt(4)
	v_pk_mul_f32 v[10:11], v[2:3], v[16:17]
	ds_write2st64_b32 v9, v10, v11 offset0:12 offset1:14
	ds_read2st64_b32 v[10:11], v9 offset0:20 offset1:22
	s_waitcnt lgkmcnt(3)
	v_pk_mul_f32 v[12:13], v[2:3], v[12:13]
	ds_read2st64_b32 v[14:15], v9 offset0:24 offset1:26
	ds_write2st64_b32 v9, v12, v13 offset0:16 offset1:18
	ds_read2st64_b32 v[12:13], v9 offset0:28 offset1:30
	s_waitcnt lgkmcnt(3)
	v_pk_mul_f32 v[10:11], v[2:3], v[10:11]
	ds_write2st64_b32 v9, v10, v11 offset0:20 offset1:22
	s_waitcnt lgkmcnt(3)
	v_pk_mul_f32 v[10:11], v[2:3], v[14:15]
	ds_write2st64_b32 v9, v10, v11 offset0:24 offset1:26
	s_waitcnt lgkmcnt(2)
	v_pk_mul_f32 v[10:11], v[2:3], v[12:13]
	s_add_i32 s16, s16, 16
	v_cmp_eq_u32_e32 vcc, 0, v8
	ds_write2st64_b32 v9, v10, v11 offset0:28 offset1:30
	v_add_u32_e32 v9, 0x2000, v9
	s_or_b64 s[14:15], vcc, s[14:15]
	v_mov_b32_e32 v10, s16
	s_andn2_b64 exec, exec, s[14:15]
	s_cbranch_execnz .LBB221_149
; %bb.150:
	s_or_b64 exec, exec, s[14:15]
.LBB221_151:
	s_or_b64 exec, exec, s[10:11]
	v_and_b32_e32 v7, 7, v7
	v_cmp_ne_u32_e32 vcc, 0, v7
	s_and_saveexec_b64 s[10:11], vcc
	s_cbranch_execz .LBB221_154
; %bb.152:
	v_lshlrev_b32_e32 v8, 9, v10
	s_movk_i32 s14, 0x150
	v_add3_u32 v8, v8, v35, s14
	s_mov_b64 s[14:15], 0
.LBB221_153:                            ; =>This Inner Loop Header: Depth=1
	ds_read2st64_b32 v[10:11], v8 offset1:2
	v_add_u32_e32 v7, -1, v7
	v_cmp_eq_u32_e32 vcc, 0, v7
	s_or_b64 s[14:15], vcc, s[14:15]
	s_waitcnt lgkmcnt(0)
	v_pk_mul_f32 v[10:11], v[2:3], v[10:11]
	ds_write2st64_b32 v8, v10, v11 offset1:2
	v_add_u32_e32 v8, 0x400, v8
	s_andn2_b64 exec, exec, s[14:15]
	s_cbranch_execnz .LBB221_153
.LBB221_154:
	s_or_b64 exec, exec, s[10:11]
	v_add_u32_e32 v6, 1, v6
	v_and_b32_e32 v7, 0x3fffffe, v6
	v_cmp_ne_u32_e32 vcc, v6, v7
	v_lshl_add_u32 v3, v7, 7, v0
	s_orn2_b64 s[10:11], vcc, exec
.LBB221_155:
	s_or_b64 exec, exec, s[4:5]
	s_and_b64 exec, exec, s[10:11]
	s_cbranch_execz .LBB221_158
; %bb.156:
	v_mov_b32_e32 v6, 0x150
	v_lshl_add_u32 v6, v3, 2, v6
	s_mov_b64 s[4:5], 0
.LBB221_157:                            ; =>This Inner Loop Header: Depth=1
	ds_read_b32 v7, v6
	v_add_u32_e32 v3, 0x80, v3
	v_cmp_le_i32_e32 vcc, s38, v3
	s_or_b64 s[4:5], vcc, s[4:5]
	s_waitcnt lgkmcnt(0)
	v_mul_f32_e32 v7, v2, v7
	ds_write_b32 v6, v7
	v_add_u32_e32 v6, 0x200, v6
	s_andn2_b64 exec, exec, s[4:5]
	s_cbranch_execnz .LBB221_157
.LBB221_158:
	s_or_b64 exec, exec, s[2:3]
	s_mul_i32 s2, s25, s28
	v_cmp_eq_u32_e32 vcc, 0, v0
	s_mul_i32 s2, s2, s9
	s_waitcnt lgkmcnt(0)
	s_barrier
	s_and_saveexec_b64 s[4:5], vcc
	s_cbranch_execz .LBB221_160
; %bb.159:
	s_ashr_i32 s3, s2, 31
	s_lshl_b64 s[10:11], s[2:3], 2
	s_add_u32 s3, s22, s10
	s_mul_i32 s14, s25, s6
	s_addc_u32 s9, s23, s11
	s_ashr_i32 s15, s14, 31
	s_lshl_b64 s[14:15], s[14:15], 2
	s_add_u32 s3, s3, s14
	s_addc_u32 s6, s9, s15
	s_ashr_i32 s9, s8, 31
	s_lshl_b64 s[16:17], s[8:9], 2
	s_add_u32 s22, s3, s16
	s_addc_u32 s23, s6, s17
	s_add_u32 s3, s20, s10
	s_addc_u32 s6, s21, s11
	;; [unrolled: 2-line block ×3, first 2 shown]
	s_add_u32 s10, s3, s16
	v_mov_b32_e32 v2, 0
	s_addc_u32 s11, s6, s17
	global_store_dword v2, v4, s[22:23]
	global_store_dword v2, v5, s[10:11]
.LBB221_160:
	s_or_b64 exec, exec, s[4:5]
	s_mov_b32 s6, 0
	v_mov_b32_e32 v49, 0
	v_mov_b32_e32 v7, 0
	;; [unrolled: 1-line block ×5, first 2 shown]
	s_and_saveexec_b64 s[4:5], s[0:1]
	s_cbranch_execz .LBB221_294
; %bb.161:
	s_ashr_i32 s0, s12, 31
	s_add_u32 s1, s36, s12
	v_and_b32_e32 v3, 0xfc, v35
	v_and_b32_e32 v2, 12, v35
	s_load_dword s10, s[18:19], 0x0
	s_addc_u32 s0, s37, s0
	v_add_co_u32_e32 v12, vcc, s1, v3
	v_lshl_add_u32 v3, v36, 4, s44
	s_add_i32 s9, s7, -1
	v_mov_b32_e32 v4, s0
	v_add3_u32 v50, v3, v2, 3
	v_lshlrev_b32_e32 v2, 4, v22
	s_lshl_b64 s[0:1], s[34:35], 2
	v_lshl_or_b32 v2, v36, 6, v2
	s_add_u32 s0, s30, s0
	v_addc_co_u32_e32 v13, vcc, 0, v4, vcc
	v_add_u32_e32 v51, 0x150, v2
	v_lshlrev_b64 v[2:3], 2, v[24:25]
	s_addc_u32 s1, s31, s1
	v_mov_b32_e32 v4, s1
	v_add_co_u32_e32 v14, vcc, s0, v2
	s_mov_b32 s3, s13
	s_waitcnt lgkmcnt(0)
	s_mov_b32 s11, s10
	v_mov_b32_e32 v11, 0
	v_addc_co_u32_e32 v15, vcc, v4, v3, vcc
	s_mov_b64 s[12:13], 0
	s_movk_i32 s22, 0x80
	s_movk_i32 s23, 0x7f
	s_brev_b32 s7, 1
	s_mov_b32 s15, 0x7f800001
	s_mov_b32 s28, 0xffffff
	v_bfrev_b32_e32 v25, 60
	v_mov_b32_e32 v52, 7
	v_mov_b32_e32 v53, 24
	;; [unrolled: 1-line block ×7, first 2 shown]
	s_branch .LBB221_163
.LBB221_162:                            ;   in Loop: Header=BB221_163 Depth=1
	s_or_b64 exec, exec, s[0:1]
	s_waitcnt lgkmcnt(0)
	v_mul_f32_e32 v10, v3, v17
	v_fmac_f32_e32 v10, v2, v16
	v_fmac_f32_e32 v10, v4, v18
	v_fmac_f32_e32 v10, v5, v19
	v_add_f32_e32 v8, v8, v10
	v_mul_f32_e32 v10, v3, v27
	v_fmac_f32_e32 v10, v2, v26
	v_fmac_f32_e32 v10, v4, v28
	v_fmac_f32_e32 v10, v5, v29
	v_add_f32_e32 v9, v9, v10
	;; [unrolled: 5-line block ×3, first 2 shown]
	v_mul_f32_e32 v10, v3, v35
	v_mul_f32_e32 v3, v3, v21
	v_fmac_f32_e32 v10, v2, v34
	v_fmac_f32_e32 v3, v2, v20
	v_add_u32_e32 v24, 2, v24
	v_fmac_f32_e32 v10, v4, v36
	v_fmac_f32_e32 v3, v4, v38
	v_cmp_le_i32_e32 vcc, s33, v24
	v_fmac_f32_e32 v10, v5, v37
	v_fmac_f32_e32 v3, v5, v39
	s_or_b64 s[12:13], vcc, s[12:13]
	v_add_co_u32_e32 v14, vcc, 8, v14
	v_add_f32_e32 v7, v7, v10
	v_add_f32_e32 v49, v49, v3
	v_add_u32_e32 v50, 32, v50
	v_add_u32_e32 v51, 0x80, v51
	v_addc_co_u32_e32 v15, vcc, 0, v15, vcc
	s_andn2_b64 exec, exec, s[12:13]
	s_cbranch_execz .LBB221_293
.LBB221_163:                            ; =>This Inner Loop Header: Depth=1
	global_load_dword v2, v[14:15], off
	v_pk_mov_b32 v[26:27], 0, 0
	v_pk_mov_b32 v[18:19], v[26:27], v[26:27] op_sel:[0,1]
	s_waitcnt vmcnt(0)
	v_mad_i64_i32 v[20:21], s[0:1], v2, s3, v[12:13]
	global_load_dword v16, v[20:21], off
	ds_read_b128 v[2:5], v51
	s_waitcnt vmcnt(0)
	v_cmp_ne_u16_sdwa s[16:17], v16, v11 src0_sel:BYTE_0 src1_sel:DWORD
	s_and_saveexec_b64 s[0:1], s[16:17]
	s_cbranch_execz .LBB221_169
; %bb.164:                              ;   in Loop: Header=BB221_163 Depth=1
	v_bfrev_b32_e32 v18, 1
	v_cmp_ne_u16_sdwa s[18:19], v16, s22 src0_sel:BYTE_0 src1_sel:DWORD
	v_mov_b32_e32 v19, 0
	s_and_saveexec_b64 s[16:17], s[18:19]
	s_cbranch_execz .LBB221_168
; %bb.165:                              ;   in Loop: Header=BB221_163 Depth=1
	v_and_b32_e32 v10, 0x7f, v16
	v_mov_b32_e32 v18, 0x7f800001
	v_cmp_ne_u32_e32 vcc, s23, v10
	v_mov_b32_e32 v19, 0
	s_and_saveexec_b64 s[18:19], vcc
	s_cbranch_execz .LBB221_167
; %bb.166:                              ;   in Loop: Header=BB221_163 Depth=1
	v_and_b32_e32 v17, 7, v16
	v_ffbh_u32_e32 v18, v17
	v_min_u32_e32 v29, 32, v18
	v_subrev_u32_e32 v18, 28, v29
	v_lshlrev_b64 v[18:19], v18, v[16:17]
	v_lshrrev_b32_e32 v28, 3, v10
	v_sub_u32_e32 v19, 29, v29
	v_and_b32_e32 v18, 7, v18
	v_cmp_gt_u32_e32 vcc, 8, v10
	v_cndmask_b32_e32 v10, v28, v19, vcc
	v_cndmask_b32_e32 v17, v17, v18, vcc
	v_lshlrev_b32_e32 v17, 20, v17
	v_and_b32_sdwa v18, sext(v16), s7 dst_sel:DWORD dst_unused:UNUSED_PAD src0_sel:BYTE_0 src1_sel:DWORD
	v_lshl_add_u32 v10, v10, 23, v25
	v_or3_b32 v10, v18, v10, v17
	v_pk_mov_b32 v[18:19], v[10:11], v[10:11] op_sel:[0,1]
.LBB221_167:                            ;   in Loop: Header=BB221_163 Depth=1
	s_or_b64 exec, exec, s[18:19]
.LBB221_168:                            ;   in Loop: Header=BB221_163 Depth=1
	s_or_b64 exec, exec, s[16:17]
.LBB221_169:                            ;   in Loop: Header=BB221_163 Depth=1
	s_or_b64 exec, exec, s[0:1]
	v_cmp_ne_u16_sdwa s[16:17], v16, v11 src0_sel:BYTE_1 src1_sel:DWORD
	s_and_saveexec_b64 s[0:1], s[16:17]
	s_cbranch_execz .LBB221_175
; %bb.170:                              ;   in Loop: Header=BB221_163 Depth=1
	v_cmp_ne_u16_sdwa s[18:19], v16, s22 src0_sel:BYTE_1 src1_sel:DWORD
	v_pk_mov_b32 v[26:27], s[6:7], s[6:7] op_sel:[0,1]
	s_and_saveexec_b64 s[16:17], s[18:19]
	s_cbranch_execz .LBB221_174
; %bb.171:                              ;   in Loop: Header=BB221_163 Depth=1
	v_and_b32_sdwa v17, v16, s23 dst_sel:DWORD dst_unused:UNUSED_PAD src0_sel:BYTE_1 src1_sel:DWORD
	s_mov_b32 s14, s6
	v_cmp_ne_u32_e32 vcc, s23, v17
	v_pk_mov_b32 v[26:27], s[14:15], s[14:15] op_sel:[0,1]
	s_and_saveexec_b64 s[18:19], vcc
	s_cbranch_execz .LBB221_173
; %bb.172:                              ;   in Loop: Header=BB221_163 Depth=1
	v_and_b32_sdwa v10, v16, v52 dst_sel:DWORD dst_unused:UNUSED_PAD src0_sel:BYTE_1 src1_sel:DWORD
	v_ffbh_u32_e32 v26, v10
	v_min_u32_e32 v29, 32, v26
	v_subrev_u32_e32 v26, 28, v29
	v_lshlrev_b64 v[26:27], v26, v[10:11]
	v_lshrrev_b32_e32 v28, 3, v17
	v_sub_u32_e32 v27, 29, v29
	v_cmp_gt_u32_e32 vcc, 8, v17
	v_and_b32_e32 v26, 7, v26
	v_cndmask_b32_e32 v17, v28, v27, vcc
	v_cndmask_b32_e32 v10, v10, v26, vcc
	v_lshlrev_b32_e32 v26, 16, v16
	v_lshl_add_u32 v17, v17, 23, v25
	v_and_or_b32 v17, v26, s7, v17
	v_lshlrev_b32_e32 v10, 20, v10
	v_or_b32_e32 v27, v17, v10
	v_mov_b32_e32 v26, v11
.LBB221_173:                            ;   in Loop: Header=BB221_163 Depth=1
	s_or_b64 exec, exec, s[18:19]
.LBB221_174:                            ;   in Loop: Header=BB221_163 Depth=1
	s_or_b64 exec, exec, s[16:17]
.LBB221_175:                            ;   in Loop: Header=BB221_163 Depth=1
	s_or_b64 exec, exec, s[0:1]
	v_lshrrev_b32_e32 v10, 16, v16
	v_pk_mov_b32 v[30:31], 0, 0
	v_cmp_ne_u16_sdwa s[16:17], v10, v11 src0_sel:BYTE_0 src1_sel:DWORD
	v_pk_mov_b32 v[28:29], v[30:31], v[30:31] op_sel:[0,1]
	s_and_saveexec_b64 s[0:1], s[16:17]
	s_cbranch_execz .LBB221_181
; %bb.176:                              ;   in Loop: Header=BB221_163 Depth=1
	v_bfrev_b32_e32 v28, 1
	v_cmp_ne_u16_sdwa s[18:19], v10, s22 src0_sel:BYTE_0 src1_sel:DWORD
	v_mov_b32_e32 v29, 0
	s_and_saveexec_b64 s[16:17], s[18:19]
	s_cbranch_execz .LBB221_180
; %bb.177:                              ;   in Loop: Header=BB221_163 Depth=1
	v_bfe_u32 v17, v16, 16, 7
	v_mov_b32_e32 v28, 0x7f800001
	v_cmp_ne_u32_e32 vcc, s23, v17
	v_mov_b32_e32 v29, 0
	s_and_saveexec_b64 s[18:19], vcc
	s_cbranch_execz .LBB221_179
; %bb.178:                              ;   in Loop: Header=BB221_163 Depth=1
	v_and_b32_e32 v32, 7, v10
	v_ffbh_u32_e32 v28, v32
	v_min_u32_e32 v34, 32, v28
	v_subrev_u32_e32 v28, 28, v34
	v_lshlrev_b64 v[28:29], v28, v[10:11]
	v_lshrrev_b32_e32 v33, 3, v17
	v_sub_u32_e32 v29, 29, v34
	v_and_b32_e32 v28, 7, v28
	v_cmp_gt_u32_e32 vcc, 8, v17
	v_cndmask_b32_e32 v17, v33, v29, vcc
	v_cndmask_b32_e32 v28, v32, v28, vcc
	v_lshlrev_b32_e32 v28, 20, v28
	v_and_b32_sdwa v10, sext(v10), s7 dst_sel:DWORD dst_unused:UNUSED_PAD src0_sel:BYTE_0 src1_sel:DWORD
	v_lshl_add_u32 v17, v17, 23, v25
	v_or3_b32 v10, v10, v17, v28
	v_pk_mov_b32 v[28:29], v[10:11], v[10:11] op_sel:[0,1]
.LBB221_179:                            ;   in Loop: Header=BB221_163 Depth=1
	s_or_b64 exec, exec, s[18:19]
.LBB221_180:                            ;   in Loop: Header=BB221_163 Depth=1
	s_or_b64 exec, exec, s[16:17]
.LBB221_181:                            ;   in Loop: Header=BB221_163 Depth=1
	s_or_b64 exec, exec, s[0:1]
	v_cmp_lt_u32_e32 vcc, s28, v16
	s_and_saveexec_b64 s[0:1], vcc
	s_cbranch_execz .LBB221_187
; %bb.182:                              ;   in Loop: Header=BB221_163 Depth=1
	v_cmp_ne_u32_sdwa s[18:19], v16, s22 src0_sel:BYTE_3 src1_sel:DWORD
	v_pk_mov_b32 v[30:31], s[6:7], s[6:7] op_sel:[0,1]
	s_and_saveexec_b64 s[16:17], s[18:19]
	s_cbranch_execz .LBB221_186
; %bb.183:                              ;   in Loop: Header=BB221_163 Depth=1
	v_bfe_u32 v17, v16, 24, 7
	s_mov_b32 s14, s6
	v_cmp_ne_u32_e32 vcc, s23, v17
	v_pk_mov_b32 v[30:31], s[14:15], s[14:15] op_sel:[0,1]
	s_and_saveexec_b64 s[18:19], vcc
	s_cbranch_execz .LBB221_185
; %bb.184:                              ;   in Loop: Header=BB221_163 Depth=1
	v_and_b32_sdwa v10, v16, v52 dst_sel:DWORD dst_unused:UNUSED_PAD src0_sel:BYTE_3 src1_sel:DWORD
	v_ffbh_u32_e32 v30, v10
	v_min_u32_e32 v33, 32, v30
	v_subrev_u32_e32 v30, 28, v33
	v_lshlrev_b64 v[30:31], v30, v[10:11]
	v_lshrrev_b32_e32 v32, 3, v17
	v_sub_u32_e32 v31, 29, v33
	v_cmp_gt_u32_e32 vcc, 8, v17
	v_and_b32_e32 v30, 7, v30
	v_cndmask_b32_e32 v17, v32, v31, vcc
	v_cndmask_b32_e32 v10, v10, v30, vcc
	v_lshlrev_b32_sdwa v16, v53, v16 dst_sel:DWORD dst_unused:UNUSED_PAD src0_sel:DWORD src1_sel:BYTE_3
	v_lshl_add_u32 v17, v17, 23, v25
	v_and_or_b32 v16, v16, s7, v17
	v_lshlrev_b32_e32 v10, 20, v10
	v_or_b32_e32 v31, v16, v10
	v_mov_b32_e32 v30, v11
.LBB221_185:                            ;   in Loop: Header=BB221_163 Depth=1
	s_or_b64 exec, exec, s[18:19]
.LBB221_186:                            ;   in Loop: Header=BB221_163 Depth=1
	s_or_b64 exec, exec, s[16:17]
.LBB221_187:                            ;   in Loop: Header=BB221_163 Depth=1
	s_or_b64 exec, exec, s[0:1]
	v_or_b32_e32 v17, v27, v19
	v_or_b32_e32 v16, v26, v18
	;; [unrolled: 1-line block ×4, first 2 shown]
	v_add_u32_e32 v54, -3, v50
	v_cmp_eq_u32_e32 vcc, s9, v24
	v_pk_mul_f32 v[16:17], s[10:11], v[16:17]
	v_pk_mul_f32 v[18:19], s[10:11], v[18:19]
	v_add_u32_e32 v56, -2, v50
	v_add_u32_e32 v55, -1, v50
	s_and_saveexec_b64 s[16:17], vcc
; %bb.188:                              ;   in Loop: Header=BB221_163 Depth=1
	v_cmp_gt_i32_e64 s[0:1], s29, v54
	v_cndmask_b32_e64 v16, 0, v16, s[0:1]
	v_cmp_gt_i32_e64 s[0:1], s29, v56
	v_cndmask_b32_e64 v17, 0, v17, s[0:1]
	;; [unrolled: 2-line block ×4, first 2 shown]
; %bb.189:                              ;   in Loop: Header=BB221_163 Depth=1
	s_or_b64 exec, exec, s[16:17]
	global_load_dword v26, v[20:21], off offset:256
	v_pk_mov_b32 v[30:31], 0, 0
	v_pk_mov_b32 v[28:29], v[30:31], v[30:31] op_sel:[0,1]
	s_waitcnt vmcnt(0)
	v_cmp_ne_u16_sdwa s[0:1], v26, v11 src0_sel:BYTE_0 src1_sel:DWORD
	s_and_saveexec_b64 s[16:17], s[0:1]
	s_cbranch_execz .LBB221_195
; %bb.190:                              ;   in Loop: Header=BB221_163 Depth=1
	v_bfrev_b32_e32 v28, 1
	v_cmp_ne_u16_sdwa s[0:1], v26, s22 src0_sel:BYTE_0 src1_sel:DWORD
	v_mov_b32_e32 v29, 0
	s_and_saveexec_b64 s[18:19], s[0:1]
	s_cbranch_execz .LBB221_194
; %bb.191:                              ;   in Loop: Header=BB221_163 Depth=1
	v_and_b32_e32 v10, 0x7f, v26
	v_mov_b32_e32 v28, 0x7f800001
	v_cmp_ne_u32_e64 s[0:1], s23, v10
	v_mov_b32_e32 v29, 0
	s_and_saveexec_b64 s[20:21], s[0:1]
	s_cbranch_execz .LBB221_193
; %bb.192:                              ;   in Loop: Header=BB221_163 Depth=1
	v_and_b32_e32 v27, 7, v26
	v_ffbh_u32_e32 v28, v27
	v_min_u32_e32 v33, 32, v28
	v_subrev_u32_e32 v28, 28, v33
	v_lshlrev_b64 v[28:29], v28, v[26:27]
	v_lshrrev_b32_e32 v32, 3, v10
	v_sub_u32_e32 v29, 29, v33
	v_and_b32_e32 v28, 7, v28
	v_cmp_gt_u32_e64 s[0:1], 8, v10
	v_cndmask_b32_e64 v10, v32, v29, s[0:1]
	v_cndmask_b32_e64 v27, v27, v28, s[0:1]
	v_lshlrev_b32_e32 v27, 20, v27
	v_and_b32_sdwa v28, sext(v26), s7 dst_sel:DWORD dst_unused:UNUSED_PAD src0_sel:BYTE_0 src1_sel:DWORD
	v_lshl_add_u32 v10, v10, 23, v25
	v_or3_b32 v10, v28, v10, v27
	v_pk_mov_b32 v[28:29], v[10:11], v[10:11] op_sel:[0,1]
.LBB221_193:                            ;   in Loop: Header=BB221_163 Depth=1
	s_or_b64 exec, exec, s[20:21]
.LBB221_194:                            ;   in Loop: Header=BB221_163 Depth=1
	s_or_b64 exec, exec, s[18:19]
.LBB221_195:                            ;   in Loop: Header=BB221_163 Depth=1
	s_or_b64 exec, exec, s[16:17]
	v_cmp_ne_u16_sdwa s[0:1], v26, v11 src0_sel:BYTE_1 src1_sel:DWORD
	s_and_saveexec_b64 s[16:17], s[0:1]
	s_cbranch_execz .LBB221_201
; %bb.196:                              ;   in Loop: Header=BB221_163 Depth=1
	v_cmp_ne_u16_sdwa s[0:1], v26, s22 src0_sel:BYTE_1 src1_sel:DWORD
	v_pk_mov_b32 v[30:31], s[6:7], s[6:7] op_sel:[0,1]
	s_and_saveexec_b64 s[18:19], s[0:1]
	s_cbranch_execz .LBB221_200
; %bb.197:                              ;   in Loop: Header=BB221_163 Depth=1
	v_and_b32_sdwa v27, v26, s23 dst_sel:DWORD dst_unused:UNUSED_PAD src0_sel:BYTE_1 src1_sel:DWORD
	s_mov_b32 s14, s6
	v_cmp_ne_u32_e64 s[0:1], s23, v27
	v_pk_mov_b32 v[30:31], s[14:15], s[14:15] op_sel:[0,1]
	s_and_saveexec_b64 s[20:21], s[0:1]
	s_cbranch_execz .LBB221_199
; %bb.198:                              ;   in Loop: Header=BB221_163 Depth=1
	v_and_b32_sdwa v10, v26, v52 dst_sel:DWORD dst_unused:UNUSED_PAD src0_sel:BYTE_1 src1_sel:DWORD
	v_ffbh_u32_e32 v30, v10
	v_min_u32_e32 v33, 32, v30
	v_subrev_u32_e32 v30, 28, v33
	v_lshlrev_b64 v[30:31], v30, v[10:11]
	v_lshrrev_b32_e32 v32, 3, v27
	v_sub_u32_e32 v31, 29, v33
	v_cmp_gt_u32_e64 s[0:1], 8, v27
	v_and_b32_e32 v30, 7, v30
	v_cndmask_b32_e64 v27, v32, v31, s[0:1]
	v_cndmask_b32_e64 v10, v10, v30, s[0:1]
	v_lshlrev_b32_e32 v30, 16, v26
	v_lshl_add_u32 v27, v27, 23, v25
	v_and_or_b32 v27, v30, s7, v27
	v_lshlrev_b32_e32 v10, 20, v10
	v_or_b32_e32 v31, v27, v10
	v_mov_b32_e32 v30, v11
.LBB221_199:                            ;   in Loop: Header=BB221_163 Depth=1
	s_or_b64 exec, exec, s[20:21]
.LBB221_200:                            ;   in Loop: Header=BB221_163 Depth=1
	s_or_b64 exec, exec, s[18:19]
.LBB221_201:                            ;   in Loop: Header=BB221_163 Depth=1
	s_or_b64 exec, exec, s[16:17]
	v_lshrrev_b32_e32 v10, 16, v26
	v_pk_mov_b32 v[34:35], 0, 0
	v_cmp_ne_u16_sdwa s[0:1], v10, v11 src0_sel:BYTE_0 src1_sel:DWORD
	v_pk_mov_b32 v[32:33], v[34:35], v[34:35] op_sel:[0,1]
	s_and_saveexec_b64 s[16:17], s[0:1]
	s_cbranch_execz .LBB221_207
; %bb.202:                              ;   in Loop: Header=BB221_163 Depth=1
	v_bfrev_b32_e32 v32, 1
	v_cmp_ne_u16_sdwa s[0:1], v10, s22 src0_sel:BYTE_0 src1_sel:DWORD
	v_mov_b32_e32 v33, 0
	s_and_saveexec_b64 s[18:19], s[0:1]
	s_cbranch_execz .LBB221_206
; %bb.203:                              ;   in Loop: Header=BB221_163 Depth=1
	v_bfe_u32 v27, v26, 16, 7
	v_mov_b32_e32 v32, 0x7f800001
	v_cmp_ne_u32_e64 s[0:1], s23, v27
	v_mov_b32_e32 v33, 0
	s_and_saveexec_b64 s[20:21], s[0:1]
	s_cbranch_execz .LBB221_205
; %bb.204:                              ;   in Loop: Header=BB221_163 Depth=1
	v_and_b32_e32 v36, 7, v10
	v_ffbh_u32_e32 v32, v36
	v_min_u32_e32 v38, 32, v32
	v_subrev_u32_e32 v32, 28, v38
	v_lshlrev_b64 v[32:33], v32, v[10:11]
	v_lshrrev_b32_e32 v37, 3, v27
	v_sub_u32_e32 v33, 29, v38
	v_and_b32_e32 v32, 7, v32
	v_cmp_gt_u32_e64 s[0:1], 8, v27
	v_cndmask_b32_e64 v27, v37, v33, s[0:1]
	v_cndmask_b32_e64 v32, v36, v32, s[0:1]
	v_lshlrev_b32_e32 v32, 20, v32
	v_and_b32_sdwa v10, sext(v10), s7 dst_sel:DWORD dst_unused:UNUSED_PAD src0_sel:BYTE_0 src1_sel:DWORD
	v_lshl_add_u32 v27, v27, 23, v25
	v_or3_b32 v10, v10, v27, v32
	v_pk_mov_b32 v[32:33], v[10:11], v[10:11] op_sel:[0,1]
.LBB221_205:                            ;   in Loop: Header=BB221_163 Depth=1
	s_or_b64 exec, exec, s[20:21]
.LBB221_206:                            ;   in Loop: Header=BB221_163 Depth=1
	s_or_b64 exec, exec, s[18:19]
.LBB221_207:                            ;   in Loop: Header=BB221_163 Depth=1
	s_or_b64 exec, exec, s[16:17]
	v_cmp_lt_u32_e64 s[0:1], s28, v26
	s_and_saveexec_b64 s[16:17], s[0:1]
	s_cbranch_execz .LBB221_213
; %bb.208:                              ;   in Loop: Header=BB221_163 Depth=1
	v_cmp_ne_u32_sdwa s[0:1], v26, s22 src0_sel:BYTE_3 src1_sel:DWORD
	v_pk_mov_b32 v[34:35], s[6:7], s[6:7] op_sel:[0,1]
	s_and_saveexec_b64 s[18:19], s[0:1]
	s_cbranch_execz .LBB221_212
; %bb.209:                              ;   in Loop: Header=BB221_163 Depth=1
	v_bfe_u32 v27, v26, 24, 7
	s_mov_b32 s14, s6
	v_cmp_ne_u32_e64 s[0:1], s23, v27
	v_pk_mov_b32 v[34:35], s[14:15], s[14:15] op_sel:[0,1]
	s_and_saveexec_b64 s[20:21], s[0:1]
	s_cbranch_execz .LBB221_211
; %bb.210:                              ;   in Loop: Header=BB221_163 Depth=1
	v_and_b32_sdwa v10, v26, v52 dst_sel:DWORD dst_unused:UNUSED_PAD src0_sel:BYTE_3 src1_sel:DWORD
	v_ffbh_u32_e32 v34, v10
	v_min_u32_e32 v37, 32, v34
	v_subrev_u32_e32 v34, 28, v37
	v_lshlrev_b64 v[34:35], v34, v[10:11]
	v_lshrrev_b32_e32 v36, 3, v27
	v_sub_u32_e32 v35, 29, v37
	v_cmp_gt_u32_e64 s[0:1], 8, v27
	v_and_b32_e32 v34, 7, v34
	v_cndmask_b32_e64 v27, v36, v35, s[0:1]
	v_cndmask_b32_e64 v10, v10, v34, s[0:1]
	v_lshlrev_b32_sdwa v26, v53, v26 dst_sel:DWORD dst_unused:UNUSED_PAD src0_sel:DWORD src1_sel:BYTE_3
	v_lshl_add_u32 v27, v27, 23, v25
	v_and_or_b32 v26, v26, s7, v27
	v_lshlrev_b32_e32 v10, 20, v10
	v_or_b32_e32 v35, v26, v10
	v_mov_b32_e32 v34, v11
.LBB221_211:                            ;   in Loop: Header=BB221_163 Depth=1
	s_or_b64 exec, exec, s[20:21]
.LBB221_212:                            ;   in Loop: Header=BB221_163 Depth=1
	s_or_b64 exec, exec, s[18:19]
.LBB221_213:                            ;   in Loop: Header=BB221_163 Depth=1
	s_or_b64 exec, exec, s[16:17]
	v_or_b32_e32 v27, v31, v29
	v_or_b32_e32 v26, v30, v28
	;; [unrolled: 1-line block ×4, first 2 shown]
	v_pk_mul_f32 v[26:27], s[10:11], v[26:27]
	v_pk_mul_f32 v[28:29], s[10:11], v[28:29]
	s_and_saveexec_b64 s[16:17], vcc
; %bb.214:                              ;   in Loop: Header=BB221_163 Depth=1
	v_cmp_gt_i32_e64 s[0:1], s29, v54
	v_cndmask_b32_e64 v26, 0, v26, s[0:1]
	v_cmp_gt_i32_e64 s[0:1], s29, v56
	v_cndmask_b32_e64 v27, 0, v27, s[0:1]
	;; [unrolled: 2-line block ×4, first 2 shown]
; %bb.215:                              ;   in Loop: Header=BB221_163 Depth=1
	s_or_b64 exec, exec, s[16:17]
	global_load_dword v30, v[20:21], off offset:512
	v_pk_mov_b32 v[34:35], 0, 0
	v_pk_mov_b32 v[32:33], v[34:35], v[34:35] op_sel:[0,1]
	s_waitcnt vmcnt(0)
	v_cmp_ne_u16_sdwa s[0:1], v30, v11 src0_sel:BYTE_0 src1_sel:DWORD
	s_and_saveexec_b64 s[16:17], s[0:1]
	s_cbranch_execz .LBB221_221
; %bb.216:                              ;   in Loop: Header=BB221_163 Depth=1
	v_bfrev_b32_e32 v32, 1
	v_cmp_ne_u16_sdwa s[0:1], v30, s22 src0_sel:BYTE_0 src1_sel:DWORD
	v_mov_b32_e32 v33, 0
	s_and_saveexec_b64 s[18:19], s[0:1]
	s_cbranch_execz .LBB221_220
; %bb.217:                              ;   in Loop: Header=BB221_163 Depth=1
	v_and_b32_e32 v10, 0x7f, v30
	v_mov_b32_e32 v32, 0x7f800001
	v_cmp_ne_u32_e64 s[0:1], s23, v10
	v_mov_b32_e32 v33, 0
	s_and_saveexec_b64 s[20:21], s[0:1]
	s_cbranch_execz .LBB221_219
; %bb.218:                              ;   in Loop: Header=BB221_163 Depth=1
	v_and_b32_e32 v31, 7, v30
	v_ffbh_u32_e32 v32, v31
	v_min_u32_e32 v37, 32, v32
	v_subrev_u32_e32 v32, 28, v37
	v_lshlrev_b64 v[32:33], v32, v[30:31]
	v_lshrrev_b32_e32 v36, 3, v10
	v_sub_u32_e32 v33, 29, v37
	v_and_b32_e32 v32, 7, v32
	v_cmp_gt_u32_e64 s[0:1], 8, v10
	v_cndmask_b32_e64 v10, v36, v33, s[0:1]
	v_cndmask_b32_e64 v31, v31, v32, s[0:1]
	v_lshlrev_b32_e32 v31, 20, v31
	v_and_b32_sdwa v32, sext(v30), s7 dst_sel:DWORD dst_unused:UNUSED_PAD src0_sel:BYTE_0 src1_sel:DWORD
	v_lshl_add_u32 v10, v10, 23, v25
	v_or3_b32 v10, v32, v10, v31
	v_pk_mov_b32 v[32:33], v[10:11], v[10:11] op_sel:[0,1]
.LBB221_219:                            ;   in Loop: Header=BB221_163 Depth=1
	s_or_b64 exec, exec, s[20:21]
.LBB221_220:                            ;   in Loop: Header=BB221_163 Depth=1
	s_or_b64 exec, exec, s[18:19]
.LBB221_221:                            ;   in Loop: Header=BB221_163 Depth=1
	s_or_b64 exec, exec, s[16:17]
	v_cmp_ne_u16_sdwa s[0:1], v30, v11 src0_sel:BYTE_1 src1_sel:DWORD
	s_and_saveexec_b64 s[16:17], s[0:1]
	s_cbranch_execz .LBB221_227
; %bb.222:                              ;   in Loop: Header=BB221_163 Depth=1
	v_cmp_ne_u16_sdwa s[0:1], v30, s22 src0_sel:BYTE_1 src1_sel:DWORD
	v_pk_mov_b32 v[34:35], s[6:7], s[6:7] op_sel:[0,1]
	s_and_saveexec_b64 s[18:19], s[0:1]
	s_cbranch_execz .LBB221_226
; %bb.223:                              ;   in Loop: Header=BB221_163 Depth=1
	v_and_b32_sdwa v31, v30, s23 dst_sel:DWORD dst_unused:UNUSED_PAD src0_sel:BYTE_1 src1_sel:DWORD
	s_mov_b32 s14, s6
	v_cmp_ne_u32_e64 s[0:1], s23, v31
	v_pk_mov_b32 v[34:35], s[14:15], s[14:15] op_sel:[0,1]
	s_and_saveexec_b64 s[20:21], s[0:1]
	s_cbranch_execz .LBB221_225
; %bb.224:                              ;   in Loop: Header=BB221_163 Depth=1
	v_and_b32_sdwa v10, v30, v52 dst_sel:DWORD dst_unused:UNUSED_PAD src0_sel:BYTE_1 src1_sel:DWORD
	v_ffbh_u32_e32 v34, v10
	v_min_u32_e32 v37, 32, v34
	v_subrev_u32_e32 v34, 28, v37
	v_lshlrev_b64 v[34:35], v34, v[10:11]
	v_lshrrev_b32_e32 v36, 3, v31
	v_sub_u32_e32 v35, 29, v37
	v_cmp_gt_u32_e64 s[0:1], 8, v31
	v_and_b32_e32 v34, 7, v34
	v_cndmask_b32_e64 v31, v36, v35, s[0:1]
	v_cndmask_b32_e64 v10, v10, v34, s[0:1]
	v_lshlrev_b32_e32 v34, 16, v30
	v_lshl_add_u32 v31, v31, 23, v25
	v_and_or_b32 v31, v34, s7, v31
	v_lshlrev_b32_e32 v10, 20, v10
	v_or_b32_e32 v35, v31, v10
	v_mov_b32_e32 v34, v11
.LBB221_225:                            ;   in Loop: Header=BB221_163 Depth=1
	s_or_b64 exec, exec, s[20:21]
.LBB221_226:                            ;   in Loop: Header=BB221_163 Depth=1
	s_or_b64 exec, exec, s[18:19]
.LBB221_227:                            ;   in Loop: Header=BB221_163 Depth=1
	s_or_b64 exec, exec, s[16:17]
	v_lshrrev_b32_e32 v10, 16, v30
	v_pk_mov_b32 v[38:39], 0, 0
	v_cmp_ne_u16_sdwa s[0:1], v10, v11 src0_sel:BYTE_0 src1_sel:DWORD
	v_pk_mov_b32 v[36:37], v[38:39], v[38:39] op_sel:[0,1]
	s_and_saveexec_b64 s[16:17], s[0:1]
	s_cbranch_execz .LBB221_233
; %bb.228:                              ;   in Loop: Header=BB221_163 Depth=1
	v_bfrev_b32_e32 v36, 1
	v_cmp_ne_u16_sdwa s[0:1], v10, s22 src0_sel:BYTE_0 src1_sel:DWORD
	v_mov_b32_e32 v37, 0
	s_and_saveexec_b64 s[18:19], s[0:1]
	s_cbranch_execz .LBB221_232
; %bb.229:                              ;   in Loop: Header=BB221_163 Depth=1
	v_bfe_u32 v31, v30, 16, 7
	v_mov_b32_e32 v36, 0x7f800001
	v_cmp_ne_u32_e64 s[0:1], s23, v31
	v_mov_b32_e32 v37, 0
	s_and_saveexec_b64 s[20:21], s[0:1]
	s_cbranch_execz .LBB221_231
; %bb.230:                              ;   in Loop: Header=BB221_163 Depth=1
	v_and_b32_e32 v40, 7, v10
	v_ffbh_u32_e32 v36, v40
	v_min_u32_e32 v42, 32, v36
	v_subrev_u32_e32 v36, 28, v42
	v_lshlrev_b64 v[36:37], v36, v[10:11]
	v_lshrrev_b32_e32 v41, 3, v31
	v_sub_u32_e32 v37, 29, v42
	v_and_b32_e32 v36, 7, v36
	v_cmp_gt_u32_e64 s[0:1], 8, v31
	v_cndmask_b32_e64 v31, v41, v37, s[0:1]
	v_cndmask_b32_e64 v36, v40, v36, s[0:1]
	v_lshlrev_b32_e32 v36, 20, v36
	v_and_b32_sdwa v10, sext(v10), s7 dst_sel:DWORD dst_unused:UNUSED_PAD src0_sel:BYTE_0 src1_sel:DWORD
	v_lshl_add_u32 v31, v31, 23, v25
	v_or3_b32 v10, v10, v31, v36
	v_pk_mov_b32 v[36:37], v[10:11], v[10:11] op_sel:[0,1]
.LBB221_231:                            ;   in Loop: Header=BB221_163 Depth=1
	s_or_b64 exec, exec, s[20:21]
.LBB221_232:                            ;   in Loop: Header=BB221_163 Depth=1
	s_or_b64 exec, exec, s[18:19]
.LBB221_233:                            ;   in Loop: Header=BB221_163 Depth=1
	s_or_b64 exec, exec, s[16:17]
	v_cmp_lt_u32_e64 s[0:1], s28, v30
	s_and_saveexec_b64 s[16:17], s[0:1]
	s_cbranch_execz .LBB221_239
; %bb.234:                              ;   in Loop: Header=BB221_163 Depth=1
	v_cmp_ne_u32_sdwa s[0:1], v30, s22 src0_sel:BYTE_3 src1_sel:DWORD
	v_pk_mov_b32 v[38:39], s[6:7], s[6:7] op_sel:[0,1]
	s_and_saveexec_b64 s[18:19], s[0:1]
	s_cbranch_execz .LBB221_238
; %bb.235:                              ;   in Loop: Header=BB221_163 Depth=1
	v_bfe_u32 v31, v30, 24, 7
	s_mov_b32 s14, s6
	v_cmp_ne_u32_e64 s[0:1], s23, v31
	v_pk_mov_b32 v[38:39], s[14:15], s[14:15] op_sel:[0,1]
	s_and_saveexec_b64 s[20:21], s[0:1]
	s_cbranch_execz .LBB221_237
; %bb.236:                              ;   in Loop: Header=BB221_163 Depth=1
	v_and_b32_sdwa v10, v30, v52 dst_sel:DWORD dst_unused:UNUSED_PAD src0_sel:BYTE_3 src1_sel:DWORD
	v_ffbh_u32_e32 v38, v10
	v_min_u32_e32 v41, 32, v38
	v_subrev_u32_e32 v38, 28, v41
	v_lshlrev_b64 v[38:39], v38, v[10:11]
	v_lshrrev_b32_e32 v40, 3, v31
	v_sub_u32_e32 v39, 29, v41
	v_cmp_gt_u32_e64 s[0:1], 8, v31
	v_and_b32_e32 v38, 7, v38
	v_cndmask_b32_e64 v31, v40, v39, s[0:1]
	v_cndmask_b32_e64 v10, v10, v38, s[0:1]
	v_lshlrev_b32_sdwa v30, v53, v30 dst_sel:DWORD dst_unused:UNUSED_PAD src0_sel:DWORD src1_sel:BYTE_3
	v_lshl_add_u32 v31, v31, 23, v25
	v_and_or_b32 v30, v30, s7, v31
	v_lshlrev_b32_e32 v10, 20, v10
	v_or_b32_e32 v39, v30, v10
	v_mov_b32_e32 v38, v11
.LBB221_237:                            ;   in Loop: Header=BB221_163 Depth=1
	s_or_b64 exec, exec, s[20:21]
.LBB221_238:                            ;   in Loop: Header=BB221_163 Depth=1
	s_or_b64 exec, exec, s[18:19]
.LBB221_239:                            ;   in Loop: Header=BB221_163 Depth=1
	s_or_b64 exec, exec, s[16:17]
	v_or_b32_e32 v31, v35, v33
	v_or_b32_e32 v30, v34, v32
	;; [unrolled: 1-line block ×4, first 2 shown]
	v_pk_mul_f32 v[30:31], s[10:11], v[30:31]
	v_pk_mul_f32 v[32:33], s[10:11], v[32:33]
	s_and_saveexec_b64 s[16:17], vcc
; %bb.240:                              ;   in Loop: Header=BB221_163 Depth=1
	v_cmp_gt_i32_e64 s[0:1], s29, v54
	v_cndmask_b32_e64 v30, 0, v30, s[0:1]
	v_cmp_gt_i32_e64 s[0:1], s29, v56
	v_cndmask_b32_e64 v31, 0, v31, s[0:1]
	;; [unrolled: 2-line block ×4, first 2 shown]
; %bb.241:                              ;   in Loop: Header=BB221_163 Depth=1
	s_or_b64 exec, exec, s[16:17]
	global_load_dword v34, v[20:21], off offset:768
	v_pk_mov_b32 v[38:39], 0, 0
	v_pk_mov_b32 v[36:37], v[38:39], v[38:39] op_sel:[0,1]
	s_waitcnt vmcnt(0)
	v_cmp_ne_u16_sdwa s[0:1], v34, v11 src0_sel:BYTE_0 src1_sel:DWORD
	s_and_saveexec_b64 s[16:17], s[0:1]
	s_cbranch_execz .LBB221_247
; %bb.242:                              ;   in Loop: Header=BB221_163 Depth=1
	v_bfrev_b32_e32 v36, 1
	v_cmp_ne_u16_sdwa s[0:1], v34, s22 src0_sel:BYTE_0 src1_sel:DWORD
	v_mov_b32_e32 v37, 0
	s_and_saveexec_b64 s[18:19], s[0:1]
	s_cbranch_execz .LBB221_246
; %bb.243:                              ;   in Loop: Header=BB221_163 Depth=1
	v_and_b32_e32 v10, 0x7f, v34
	v_mov_b32_e32 v36, 0x7f800001
	v_cmp_ne_u32_e64 s[0:1], s23, v10
	v_mov_b32_e32 v37, 0
	s_and_saveexec_b64 s[20:21], s[0:1]
	s_cbranch_execz .LBB221_245
; %bb.244:                              ;   in Loop: Header=BB221_163 Depth=1
	v_and_b32_e32 v35, 7, v34
	v_ffbh_u32_e32 v36, v35
	v_min_u32_e32 v41, 32, v36
	v_subrev_u32_e32 v36, 28, v41
	v_lshlrev_b64 v[36:37], v36, v[34:35]
	v_lshrrev_b32_e32 v40, 3, v10
	v_sub_u32_e32 v37, 29, v41
	v_and_b32_e32 v36, 7, v36
	v_cmp_gt_u32_e64 s[0:1], 8, v10
	v_cndmask_b32_e64 v10, v40, v37, s[0:1]
	v_cndmask_b32_e64 v35, v35, v36, s[0:1]
	v_lshlrev_b32_e32 v35, 20, v35
	v_and_b32_sdwa v36, sext(v34), s7 dst_sel:DWORD dst_unused:UNUSED_PAD src0_sel:BYTE_0 src1_sel:DWORD
	v_lshl_add_u32 v10, v10, 23, v25
	v_or3_b32 v10, v36, v10, v35
	v_pk_mov_b32 v[36:37], v[10:11], v[10:11] op_sel:[0,1]
.LBB221_245:                            ;   in Loop: Header=BB221_163 Depth=1
	s_or_b64 exec, exec, s[20:21]
.LBB221_246:                            ;   in Loop: Header=BB221_163 Depth=1
	s_or_b64 exec, exec, s[18:19]
.LBB221_247:                            ;   in Loop: Header=BB221_163 Depth=1
	s_or_b64 exec, exec, s[16:17]
	v_cmp_ne_u16_sdwa s[0:1], v34, v11 src0_sel:BYTE_1 src1_sel:DWORD
	s_and_saveexec_b64 s[16:17], s[0:1]
	s_cbranch_execz .LBB221_253
; %bb.248:                              ;   in Loop: Header=BB221_163 Depth=1
	v_cmp_ne_u16_sdwa s[0:1], v34, s22 src0_sel:BYTE_1 src1_sel:DWORD
	v_pk_mov_b32 v[38:39], s[6:7], s[6:7] op_sel:[0,1]
	s_and_saveexec_b64 s[18:19], s[0:1]
	s_cbranch_execz .LBB221_252
; %bb.249:                              ;   in Loop: Header=BB221_163 Depth=1
	v_and_b32_sdwa v35, v34, s23 dst_sel:DWORD dst_unused:UNUSED_PAD src0_sel:BYTE_1 src1_sel:DWORD
	s_mov_b32 s14, s6
	v_cmp_ne_u32_e64 s[0:1], s23, v35
	v_pk_mov_b32 v[38:39], s[14:15], s[14:15] op_sel:[0,1]
	s_and_saveexec_b64 s[20:21], s[0:1]
	s_cbranch_execz .LBB221_251
; %bb.250:                              ;   in Loop: Header=BB221_163 Depth=1
	v_and_b32_sdwa v10, v34, v52 dst_sel:DWORD dst_unused:UNUSED_PAD src0_sel:BYTE_1 src1_sel:DWORD
	v_ffbh_u32_e32 v38, v10
	v_min_u32_e32 v41, 32, v38
	v_subrev_u32_e32 v38, 28, v41
	v_lshlrev_b64 v[38:39], v38, v[10:11]
	v_lshrrev_b32_e32 v40, 3, v35
	v_sub_u32_e32 v39, 29, v41
	v_cmp_gt_u32_e64 s[0:1], 8, v35
	v_and_b32_e32 v38, 7, v38
	v_cndmask_b32_e64 v35, v40, v39, s[0:1]
	v_cndmask_b32_e64 v10, v10, v38, s[0:1]
	v_lshlrev_b32_e32 v38, 16, v34
	v_lshl_add_u32 v35, v35, 23, v25
	v_and_or_b32 v35, v38, s7, v35
	v_lshlrev_b32_e32 v10, 20, v10
	v_or_b32_e32 v39, v35, v10
	v_mov_b32_e32 v38, v11
.LBB221_251:                            ;   in Loop: Header=BB221_163 Depth=1
	s_or_b64 exec, exec, s[20:21]
.LBB221_252:                            ;   in Loop: Header=BB221_163 Depth=1
	s_or_b64 exec, exec, s[18:19]
.LBB221_253:                            ;   in Loop: Header=BB221_163 Depth=1
	s_or_b64 exec, exec, s[16:17]
	v_lshrrev_b32_e32 v10, 16, v34
	v_pk_mov_b32 v[42:43], 0, 0
	v_cmp_ne_u16_sdwa s[0:1], v10, v11 src0_sel:BYTE_0 src1_sel:DWORD
	v_pk_mov_b32 v[40:41], v[42:43], v[42:43] op_sel:[0,1]
	s_and_saveexec_b64 s[16:17], s[0:1]
	s_cbranch_execz .LBB221_259
; %bb.254:                              ;   in Loop: Header=BB221_163 Depth=1
	v_bfrev_b32_e32 v40, 1
	v_cmp_ne_u16_sdwa s[0:1], v10, s22 src0_sel:BYTE_0 src1_sel:DWORD
	v_mov_b32_e32 v41, 0
	s_and_saveexec_b64 s[18:19], s[0:1]
	s_cbranch_execz .LBB221_258
; %bb.255:                              ;   in Loop: Header=BB221_163 Depth=1
	v_bfe_u32 v35, v34, 16, 7
	v_mov_b32_e32 v40, 0x7f800001
	v_cmp_ne_u32_e64 s[0:1], s23, v35
	v_mov_b32_e32 v41, 0
	s_and_saveexec_b64 s[20:21], s[0:1]
	s_cbranch_execz .LBB221_257
; %bb.256:                              ;   in Loop: Header=BB221_163 Depth=1
	v_and_b32_e32 v44, 7, v10
	v_ffbh_u32_e32 v40, v44
	v_min_u32_e32 v57, 32, v40
	v_subrev_u32_e32 v40, 28, v57
	v_lshlrev_b64 v[40:41], v40, v[10:11]
	v_lshrrev_b32_e32 v45, 3, v35
	v_sub_u32_e32 v41, 29, v57
	v_and_b32_e32 v40, 7, v40
	v_cmp_gt_u32_e64 s[0:1], 8, v35
	v_cndmask_b32_e64 v35, v45, v41, s[0:1]
	v_cndmask_b32_e64 v40, v44, v40, s[0:1]
	v_lshlrev_b32_e32 v40, 20, v40
	v_and_b32_sdwa v10, sext(v10), s7 dst_sel:DWORD dst_unused:UNUSED_PAD src0_sel:BYTE_0 src1_sel:DWORD
	v_lshl_add_u32 v35, v35, 23, v25
	v_or3_b32 v10, v10, v35, v40
	v_pk_mov_b32 v[40:41], v[10:11], v[10:11] op_sel:[0,1]
.LBB221_257:                            ;   in Loop: Header=BB221_163 Depth=1
	s_or_b64 exec, exec, s[20:21]
.LBB221_258:                            ;   in Loop: Header=BB221_163 Depth=1
	s_or_b64 exec, exec, s[18:19]
.LBB221_259:                            ;   in Loop: Header=BB221_163 Depth=1
	s_or_b64 exec, exec, s[16:17]
	v_cmp_lt_u32_e64 s[0:1], s28, v34
	s_and_saveexec_b64 s[16:17], s[0:1]
	s_cbranch_execz .LBB221_265
; %bb.260:                              ;   in Loop: Header=BB221_163 Depth=1
	v_cmp_ne_u32_sdwa s[0:1], v34, s22 src0_sel:BYTE_3 src1_sel:DWORD
	v_pk_mov_b32 v[42:43], s[6:7], s[6:7] op_sel:[0,1]
	s_and_saveexec_b64 s[18:19], s[0:1]
	s_cbranch_execz .LBB221_264
; %bb.261:                              ;   in Loop: Header=BB221_163 Depth=1
	v_bfe_u32 v35, v34, 24, 7
	s_mov_b32 s14, s6
	v_cmp_ne_u32_e64 s[0:1], s23, v35
	v_pk_mov_b32 v[42:43], s[14:15], s[14:15] op_sel:[0,1]
	s_and_saveexec_b64 s[20:21], s[0:1]
	s_cbranch_execz .LBB221_263
; %bb.262:                              ;   in Loop: Header=BB221_163 Depth=1
	v_and_b32_sdwa v10, v34, v52 dst_sel:DWORD dst_unused:UNUSED_PAD src0_sel:BYTE_3 src1_sel:DWORD
	v_ffbh_u32_e32 v42, v10
	v_min_u32_e32 v45, 32, v42
	v_subrev_u32_e32 v42, 28, v45
	v_lshlrev_b64 v[42:43], v42, v[10:11]
	v_lshrrev_b32_e32 v44, 3, v35
	v_sub_u32_e32 v43, 29, v45
	v_cmp_gt_u32_e64 s[0:1], 8, v35
	v_and_b32_e32 v42, 7, v42
	v_cndmask_b32_e64 v35, v44, v43, s[0:1]
	v_cndmask_b32_e64 v10, v10, v42, s[0:1]
	v_lshlrev_b32_sdwa v34, v53, v34 dst_sel:DWORD dst_unused:UNUSED_PAD src0_sel:DWORD src1_sel:BYTE_3
	v_lshl_add_u32 v35, v35, 23, v25
	v_and_or_b32 v34, v34, s7, v35
	v_lshlrev_b32_e32 v10, 20, v10
	v_or_b32_e32 v43, v34, v10
	v_mov_b32_e32 v42, v11
.LBB221_263:                            ;   in Loop: Header=BB221_163 Depth=1
	s_or_b64 exec, exec, s[20:21]
.LBB221_264:                            ;   in Loop: Header=BB221_163 Depth=1
	s_or_b64 exec, exec, s[18:19]
.LBB221_265:                            ;   in Loop: Header=BB221_163 Depth=1
	s_or_b64 exec, exec, s[16:17]
	v_or_b32_e32 v35, v39, v37
	v_or_b32_e32 v34, v38, v36
	;; [unrolled: 1-line block ×4, first 2 shown]
	v_pk_mul_f32 v[34:35], s[10:11], v[34:35]
	v_pk_mul_f32 v[36:37], s[10:11], v[36:37]
	s_and_saveexec_b64 s[16:17], vcc
; %bb.266:                              ;   in Loop: Header=BB221_163 Depth=1
	v_cmp_gt_i32_e64 s[0:1], s29, v54
	v_cndmask_b32_e64 v34, 0, v34, s[0:1]
	v_cmp_gt_i32_e64 s[0:1], s29, v56
	v_cndmask_b32_e64 v35, 0, v35, s[0:1]
	v_cmp_gt_i32_e64 s[0:1], s29, v55
	v_cndmask_b32_e64 v36, 0, v36, s[0:1]
	v_cmp_gt_i32_e64 s[0:1], s29, v50
	v_cndmask_b32_e64 v37, 0, v37, s[0:1]
; %bb.267:                              ;   in Loop: Header=BB221_163 Depth=1
	s_or_b64 exec, exec, s[16:17]
	global_load_dword v20, v[20:21], off offset:1024
	v_pk_mov_b32 v[40:41], 0, 0
	v_pk_mov_b32 v[38:39], v[40:41], v[40:41] op_sel:[0,1]
	s_waitcnt vmcnt(0)
	v_cmp_ne_u16_sdwa s[0:1], v20, v11 src0_sel:BYTE_0 src1_sel:DWORD
	s_and_saveexec_b64 s[16:17], s[0:1]
	s_cbranch_execz .LBB221_273
; %bb.268:                              ;   in Loop: Header=BB221_163 Depth=1
	v_bfrev_b32_e32 v38, 1
	v_cmp_ne_u16_sdwa s[0:1], v20, s22 src0_sel:BYTE_0 src1_sel:DWORD
	v_mov_b32_e32 v39, 0
	s_and_saveexec_b64 s[18:19], s[0:1]
	s_cbranch_execz .LBB221_272
; %bb.269:                              ;   in Loop: Header=BB221_163 Depth=1
	v_and_b32_e32 v10, 0x7f, v20
	v_mov_b32_e32 v38, 0x7f800001
	v_cmp_ne_u32_e64 s[0:1], s23, v10
	v_mov_b32_e32 v39, 0
	s_and_saveexec_b64 s[20:21], s[0:1]
	s_cbranch_execz .LBB221_271
; %bb.270:                              ;   in Loop: Header=BB221_163 Depth=1
	v_and_b32_e32 v21, 7, v20
	v_ffbh_u32_e32 v38, v21
	v_min_u32_e32 v43, 32, v38
	v_subrev_u32_e32 v38, 28, v43
	v_lshlrev_b64 v[38:39], v38, v[20:21]
	v_lshrrev_b32_e32 v42, 3, v10
	v_sub_u32_e32 v39, 29, v43
	v_and_b32_e32 v38, 7, v38
	v_cmp_gt_u32_e64 s[0:1], 8, v10
	v_cndmask_b32_e64 v10, v42, v39, s[0:1]
	v_cndmask_b32_e64 v21, v21, v38, s[0:1]
	v_lshlrev_b32_e32 v21, 20, v21
	v_and_b32_sdwa v38, sext(v20), s7 dst_sel:DWORD dst_unused:UNUSED_PAD src0_sel:BYTE_0 src1_sel:DWORD
	v_lshl_add_u32 v10, v10, 23, v25
	v_or3_b32 v10, v38, v10, v21
	v_pk_mov_b32 v[38:39], v[10:11], v[10:11] op_sel:[0,1]
.LBB221_271:                            ;   in Loop: Header=BB221_163 Depth=1
	s_or_b64 exec, exec, s[20:21]
.LBB221_272:                            ;   in Loop: Header=BB221_163 Depth=1
	s_or_b64 exec, exec, s[18:19]
.LBB221_273:                            ;   in Loop: Header=BB221_163 Depth=1
	s_or_b64 exec, exec, s[16:17]
	v_cmp_ne_u16_sdwa s[0:1], v20, v11 src0_sel:BYTE_1 src1_sel:DWORD
	s_and_saveexec_b64 s[16:17], s[0:1]
	s_cbranch_execz .LBB221_279
; %bb.274:                              ;   in Loop: Header=BB221_163 Depth=1
	v_cmp_ne_u16_sdwa s[0:1], v20, s22 src0_sel:BYTE_1 src1_sel:DWORD
	v_pk_mov_b32 v[40:41], s[6:7], s[6:7] op_sel:[0,1]
	s_and_saveexec_b64 s[18:19], s[0:1]
	s_cbranch_execz .LBB221_278
; %bb.275:                              ;   in Loop: Header=BB221_163 Depth=1
	v_and_b32_sdwa v21, v20, s23 dst_sel:DWORD dst_unused:UNUSED_PAD src0_sel:BYTE_1 src1_sel:DWORD
	s_mov_b32 s14, s6
	v_cmp_ne_u32_e64 s[0:1], s23, v21
	v_pk_mov_b32 v[40:41], s[14:15], s[14:15] op_sel:[0,1]
	s_and_saveexec_b64 s[20:21], s[0:1]
	s_cbranch_execz .LBB221_277
; %bb.276:                              ;   in Loop: Header=BB221_163 Depth=1
	v_and_b32_sdwa v10, v20, v52 dst_sel:DWORD dst_unused:UNUSED_PAD src0_sel:BYTE_1 src1_sel:DWORD
	v_ffbh_u32_e32 v40, v10
	v_min_u32_e32 v43, 32, v40
	v_subrev_u32_e32 v40, 28, v43
	v_lshlrev_b64 v[40:41], v40, v[10:11]
	v_lshrrev_b32_e32 v42, 3, v21
	v_sub_u32_e32 v41, 29, v43
	v_cmp_gt_u32_e64 s[0:1], 8, v21
	v_and_b32_e32 v40, 7, v40
	v_cndmask_b32_e64 v21, v42, v41, s[0:1]
	v_cndmask_b32_e64 v10, v10, v40, s[0:1]
	v_lshlrev_b32_e32 v40, 16, v20
	v_lshl_add_u32 v21, v21, 23, v25
	v_and_or_b32 v21, v40, s7, v21
	v_lshlrev_b32_e32 v10, 20, v10
	v_or_b32_e32 v41, v21, v10
	v_mov_b32_e32 v40, v11
.LBB221_277:                            ;   in Loop: Header=BB221_163 Depth=1
	s_or_b64 exec, exec, s[20:21]
.LBB221_278:                            ;   in Loop: Header=BB221_163 Depth=1
	s_or_b64 exec, exec, s[18:19]
.LBB221_279:                            ;   in Loop: Header=BB221_163 Depth=1
	s_or_b64 exec, exec, s[16:17]
	v_lshrrev_b32_e32 v10, 16, v20
	v_pk_mov_b32 v[44:45], 0, 0
	v_cmp_ne_u16_sdwa s[0:1], v10, v11 src0_sel:BYTE_0 src1_sel:DWORD
	v_pk_mov_b32 v[42:43], v[44:45], v[44:45] op_sel:[0,1]
	s_and_saveexec_b64 s[16:17], s[0:1]
	s_cbranch_execz .LBB221_285
; %bb.280:                              ;   in Loop: Header=BB221_163 Depth=1
	v_bfrev_b32_e32 v42, 1
	v_cmp_ne_u16_sdwa s[0:1], v10, s22 src0_sel:BYTE_0 src1_sel:DWORD
	v_mov_b32_e32 v43, 0
	s_and_saveexec_b64 s[18:19], s[0:1]
	s_cbranch_execz .LBB221_284
; %bb.281:                              ;   in Loop: Header=BB221_163 Depth=1
	v_bfe_u32 v21, v20, 16, 7
	v_mov_b32_e32 v42, 0x7f800001
	v_cmp_ne_u32_e64 s[0:1], s23, v21
	v_mov_b32_e32 v43, 0
	s_and_saveexec_b64 s[20:21], s[0:1]
	s_cbranch_execz .LBB221_283
; %bb.282:                              ;   in Loop: Header=BB221_163 Depth=1
	v_and_b32_e32 v57, 7, v10
	v_ffbh_u32_e32 v42, v57
	v_min_u32_e32 v59, 32, v42
	v_subrev_u32_e32 v42, 28, v59
	v_lshlrev_b64 v[42:43], v42, v[10:11]
	v_lshrrev_b32_e32 v58, 3, v21
	v_sub_u32_e32 v43, 29, v59
	v_and_b32_e32 v42, 7, v42
	v_cmp_gt_u32_e64 s[0:1], 8, v21
	v_cndmask_b32_e64 v21, v58, v43, s[0:1]
	v_cndmask_b32_e64 v42, v57, v42, s[0:1]
	v_lshlrev_b32_e32 v42, 20, v42
	v_and_b32_sdwa v10, sext(v10), s7 dst_sel:DWORD dst_unused:UNUSED_PAD src0_sel:BYTE_0 src1_sel:DWORD
	v_lshl_add_u32 v21, v21, 23, v25
	v_or3_b32 v10, v10, v21, v42
	v_pk_mov_b32 v[42:43], v[10:11], v[10:11] op_sel:[0,1]
.LBB221_283:                            ;   in Loop: Header=BB221_163 Depth=1
	s_or_b64 exec, exec, s[20:21]
.LBB221_284:                            ;   in Loop: Header=BB221_163 Depth=1
	s_or_b64 exec, exec, s[18:19]
.LBB221_285:                            ;   in Loop: Header=BB221_163 Depth=1
	s_or_b64 exec, exec, s[16:17]
	v_cmp_lt_u32_e64 s[0:1], s28, v20
	s_and_saveexec_b64 s[16:17], s[0:1]
	s_cbranch_execz .LBB221_291
; %bb.286:                              ;   in Loop: Header=BB221_163 Depth=1
	v_cmp_ne_u32_sdwa s[0:1], v20, s22 src0_sel:BYTE_3 src1_sel:DWORD
	v_pk_mov_b32 v[44:45], s[6:7], s[6:7] op_sel:[0,1]
	s_and_saveexec_b64 s[18:19], s[0:1]
	s_cbranch_execz .LBB221_290
; %bb.287:                              ;   in Loop: Header=BB221_163 Depth=1
	v_bfe_u32 v21, v20, 24, 7
	s_mov_b32 s14, s6
	v_cmp_ne_u32_e64 s[0:1], s23, v21
	v_pk_mov_b32 v[44:45], s[14:15], s[14:15] op_sel:[0,1]
	s_and_saveexec_b64 s[20:21], s[0:1]
	s_cbranch_execz .LBB221_289
; %bb.288:                              ;   in Loop: Header=BB221_163 Depth=1
	v_and_b32_sdwa v10, v20, v52 dst_sel:DWORD dst_unused:UNUSED_PAD src0_sel:BYTE_3 src1_sel:DWORD
	v_ffbh_u32_e32 v44, v10
	v_min_u32_e32 v58, 32, v44
	v_subrev_u32_e32 v44, 28, v58
	v_lshlrev_b64 v[44:45], v44, v[10:11]
	v_lshrrev_b32_e32 v57, 3, v21
	v_sub_u32_e32 v45, 29, v58
	v_cmp_gt_u32_e64 s[0:1], 8, v21
	v_and_b32_e32 v44, 7, v44
	v_cndmask_b32_e64 v21, v57, v45, s[0:1]
	v_cndmask_b32_e64 v10, v10, v44, s[0:1]
	v_lshlrev_b32_sdwa v20, v53, v20 dst_sel:DWORD dst_unused:UNUSED_PAD src0_sel:DWORD src1_sel:BYTE_3
	v_lshl_add_u32 v21, v21, 23, v25
	v_and_or_b32 v20, v20, s7, v21
	v_lshlrev_b32_e32 v10, 20, v10
	v_or_b32_e32 v45, v20, v10
	v_mov_b32_e32 v44, v11
.LBB221_289:                            ;   in Loop: Header=BB221_163 Depth=1
	s_or_b64 exec, exec, s[20:21]
.LBB221_290:                            ;   in Loop: Header=BB221_163 Depth=1
	s_or_b64 exec, exec, s[18:19]
.LBB221_291:                            ;   in Loop: Header=BB221_163 Depth=1
	s_or_b64 exec, exec, s[16:17]
	v_or_b32_e32 v21, v41, v39
	v_or_b32_e32 v20, v40, v38
	;; [unrolled: 1-line block ×4, first 2 shown]
	v_pk_mul_f32 v[20:21], s[10:11], v[20:21]
	v_pk_mul_f32 v[38:39], s[10:11], v[38:39]
	s_and_saveexec_b64 s[0:1], vcc
	s_cbranch_execz .LBB221_162
; %bb.292:                              ;   in Loop: Header=BB221_163 Depth=1
	v_cmp_gt_i32_e32 vcc, s29, v54
	v_cndmask_b32_e32 v20, 0, v20, vcc
	v_cmp_gt_i32_e32 vcc, s29, v56
	v_cndmask_b32_e32 v21, 0, v21, vcc
	;; [unrolled: 2-line block ×4, first 2 shown]
	s_branch .LBB221_162
.LBB221_293:
	s_or_b64 exec, exec, s[12:13]
.LBB221_294:
	s_or_b64 exec, exec, s[4:5]
	ds_bpermute_b32 v2, v48, v8
	ds_bpermute_b32 v3, v48, v9
	;; [unrolled: 1-line block ×5, first 2 shown]
	s_waitcnt lgkmcnt(0)
	v_pk_add_f32 v[2:3], v[8:9], v[2:3]
	ds_bpermute_b32 v8, v47, v2
	v_pk_add_f32 v[4:5], v[6:7], v[4:5]
	ds_bpermute_b32 v9, v47, v3
	ds_bpermute_b32 v10, v47, v4
	ds_bpermute_b32 v11, v47, v5
	v_add_f32_e32 v12, v49, v12
	ds_bpermute_b32 v13, v47, v12
	s_waitcnt lgkmcnt(3)
	v_pk_add_f32 v[6:7], v[2:3], v[8:9]
	s_barrier
	s_waitcnt lgkmcnt(1)
	v_pk_add_f32 v[2:3], v[4:5], v[10:11]
	v_and_b32_e32 v5, 0x3c3, v0
	s_waitcnt lgkmcnt(0)
	v_add_f32_e32 v4, v12, v13
	v_cmp_eq_u32_e32 vcc, 64, v5
	s_and_saveexec_b64 s[0:1], vcc
	s_cbranch_execz .LBB221_296
; %bb.295:
	v_add_u32_e32 v8, 0x150, v46
	ds_write2_b32 v8, v6, v7 offset1:16
	ds_write2_b32 v8, v2, v3 offset0:32 offset1:48
	ds_write_b32 v8, v4 offset:256
.LBB221_296:
	s_or_b64 exec, exec, s[0:1]
	v_cmp_gt_u32_e32 vcc, 64, v0
	s_waitcnt lgkmcnt(0)
	s_barrier
	s_and_saveexec_b64 s[0:1], vcc
	s_cbranch_execz .LBB221_304
; %bb.297:
	v_cmp_eq_u32_e32 vcc, 0, v22
	s_and_saveexec_b64 s[4:5], vcc
	s_cbranch_execnz .LBB221_307
; %bb.298:
	s_or_b64 exec, exec, s[4:5]
	s_and_saveexec_b64 s[4:5], vcc
	s_cbranch_execnz .LBB221_308
.LBB221_299:
	s_or_b64 exec, exec, s[4:5]
	s_and_saveexec_b64 s[4:5], vcc
	s_cbranch_execnz .LBB221_309
.LBB221_300:
	s_or_b64 exec, exec, s[4:5]
	s_and_saveexec_b64 s[4:5], vcc
	s_cbranch_execnz .LBB221_310
.LBB221_301:
	s_or_b64 exec, exec, s[4:5]
	s_and_saveexec_b64 s[4:5], vcc
	s_cbranch_execz .LBB221_303
.LBB221_302:
	v_mov_b32_e32 v0, 0x150
	v_lshl_add_u32 v0, v23, 2, v0
	ds_read_b32 v0, v0 offset:256
	s_waitcnt lgkmcnt(0)
	v_add_f32_e32 v4, v4, v0
.LBB221_303:
	s_or_b64 exec, exec, s[4:5]
.LBB221_304:
	s_or_b64 exec, exec, s[0:1]
	v_cmp_eq_u32_e32 vcc, 0, v5
	s_barrier
	s_and_saveexec_b64 s[0:1], vcc
	s_cbranch_execz .LBB221_306
; %bb.305:
	s_mul_i32 s0, s2, 0x50
	s_ashr_i32 s1, s0, 31
	s_lshl_b64 s[0:1], s[0:1], 2
	s_add_u32 s2, s26, s0
	s_mul_i32 s0, s25, s24
	s_addc_u32 s3, s27, s1
	s_ashr_i32 s1, s0, 31
	s_lshl_b64 s[0:1], s[0:1], 2
	s_add_u32 s2, s2, s0
	s_mul_i32 s0, s8, 0x50
	s_addc_u32 s3, s3, s1
	s_ashr_i32 s1, s0, 31
	s_lshl_b64 s[0:1], s[0:1], 2
	s_add_u32 s0, s2, s0
	s_addc_u32 s1, s3, s1
	global_store_dword v1, v6, s[0:1]
	global_store_dword v1, v7, s[0:1] offset:64
	global_store_dword v1, v2, s[0:1] offset:128
	;; [unrolled: 1-line block ×4, first 2 shown]
.LBB221_306:
	s_endpgm
.LBB221_307:
	v_mov_b32_e32 v0, 0x150
	v_lshl_add_u32 v0, v23, 2, v0
	ds_read_b32 v0, v0
	s_waitcnt lgkmcnt(0)
	v_add_f32_e32 v6, v6, v0
	s_or_b64 exec, exec, s[4:5]
	s_and_saveexec_b64 s[4:5], vcc
	s_cbranch_execz .LBB221_299
.LBB221_308:
	v_mov_b32_e32 v0, 0x150
	v_lshl_add_u32 v0, v23, 2, v0
	ds_read_b32 v0, v0 offset:64
	s_waitcnt lgkmcnt(0)
	v_add_f32_e32 v7, v7, v0
	s_or_b64 exec, exec, s[4:5]
	s_and_saveexec_b64 s[4:5], vcc
	s_cbranch_execz .LBB221_300
.LBB221_309:
	v_mov_b32_e32 v0, 0x150
	v_lshl_add_u32 v0, v23, 2, v0
	ds_read_b32 v0, v0 offset:128
	s_waitcnt lgkmcnt(0)
	v_add_f32_e32 v2, v2, v0
	s_or_b64 exec, exec, s[4:5]
	s_and_saveexec_b64 s[4:5], vcc
	s_cbranch_execz .LBB221_301
.LBB221_310:
	v_mov_b32_e32 v0, 0x150
	v_lshl_add_u32 v0, v23, 2, v0
	ds_read_b32 v0, v0 offset:192
	s_waitcnt lgkmcnt(0)
	v_add_f32_e32 v3, v3, v0
	s_or_b64 exec, exec, s[4:5]
	s_and_saveexec_b64 s[4:5], vcc
	s_cbranch_execnz .LBB221_302
	s_branch .LBB221_303
	.section	.rodata,"a",@progbits
	.p2align	6, 0x0
	.amdhsa_kernel _ZN4vllm25paged_attention_v2_kernelIfhLi80ELi16ELi128ELNS_18Fp8KVCacheDataTypeE1ELb0ELi512EEEvPfS2_PT_PKS3_PKT0_S9_ifPKiSB_iPKfiiiSD_SD_iiiii
		.amdhsa_group_segment_fixed_size 336
		.amdhsa_private_segment_fixed_size 0
		.amdhsa_kernarg_size 400
		.amdhsa_user_sgpr_count 6
		.amdhsa_user_sgpr_private_segment_buffer 1
		.amdhsa_user_sgpr_dispatch_ptr 0
		.amdhsa_user_sgpr_queue_ptr 0
		.amdhsa_user_sgpr_kernarg_segment_ptr 1
		.amdhsa_user_sgpr_dispatch_id 0
		.amdhsa_user_sgpr_flat_scratch_init 0
		.amdhsa_user_sgpr_kernarg_preload_length 0
		.amdhsa_user_sgpr_kernarg_preload_offset 0
		.amdhsa_user_sgpr_private_segment_size 0
		.amdhsa_uses_dynamic_stack 0
		.amdhsa_system_sgpr_private_segment_wavefront_offset 0
		.amdhsa_system_sgpr_workgroup_id_x 1
		.amdhsa_system_sgpr_workgroup_id_y 1
		.amdhsa_system_sgpr_workgroup_id_z 1
		.amdhsa_system_sgpr_workgroup_info 0
		.amdhsa_system_vgpr_workitem_id 0
		.amdhsa_next_free_vgpr 70
		.amdhsa_next_free_sgpr 51
		.amdhsa_accum_offset 72
		.amdhsa_reserve_vcc 1
		.amdhsa_reserve_flat_scratch 0
		.amdhsa_float_round_mode_32 0
		.amdhsa_float_round_mode_16_64 0
		.amdhsa_float_denorm_mode_32 3
		.amdhsa_float_denorm_mode_16_64 3
		.amdhsa_dx10_clamp 1
		.amdhsa_ieee_mode 1
		.amdhsa_fp16_overflow 0
		.amdhsa_tg_split 0
		.amdhsa_exception_fp_ieee_invalid_op 0
		.amdhsa_exception_fp_denorm_src 0
		.amdhsa_exception_fp_ieee_div_zero 0
		.amdhsa_exception_fp_ieee_overflow 0
		.amdhsa_exception_fp_ieee_underflow 0
		.amdhsa_exception_fp_ieee_inexact 0
		.amdhsa_exception_int_div_zero 0
	.end_amdhsa_kernel
	.section	.text._ZN4vllm25paged_attention_v2_kernelIfhLi80ELi16ELi128ELNS_18Fp8KVCacheDataTypeE1ELb0ELi512EEEvPfS2_PT_PKS3_PKT0_S9_ifPKiSB_iPKfiiiSD_SD_iiiii,"axG",@progbits,_ZN4vllm25paged_attention_v2_kernelIfhLi80ELi16ELi128ELNS_18Fp8KVCacheDataTypeE1ELb0ELi512EEEvPfS2_PT_PKS3_PKT0_S9_ifPKiSB_iPKfiiiSD_SD_iiiii,comdat
.Lfunc_end221:
	.size	_ZN4vllm25paged_attention_v2_kernelIfhLi80ELi16ELi128ELNS_18Fp8KVCacheDataTypeE1ELb0ELi512EEEvPfS2_PT_PKS3_PKT0_S9_ifPKiSB_iPKfiiiSD_SD_iiiii, .Lfunc_end221-_ZN4vllm25paged_attention_v2_kernelIfhLi80ELi16ELi128ELNS_18Fp8KVCacheDataTypeE1ELb0ELi512EEEvPfS2_PT_PKS3_PKT0_S9_ifPKiSB_iPKfiiiSD_SD_iiiii
                                        ; -- End function
	.section	.AMDGPU.csdata,"",@progbits
; Kernel info:
; codeLenInByte = 11644
; NumSgprs: 55
; NumVgprs: 70
; NumAgprs: 0
; TotalNumVgprs: 70
; ScratchSize: 0
; MemoryBound: 0
; FloatMode: 240
; IeeeMode: 1
; LDSByteSize: 336 bytes/workgroup (compile time only)
; SGPRBlocks: 6
; VGPRBlocks: 8
; NumSGPRsForWavesPerEU: 55
; NumVGPRsForWavesPerEU: 70
; AccumOffset: 72
; Occupancy: 7
; WaveLimiterHint : 1
; COMPUTE_PGM_RSRC2:SCRATCH_EN: 0
; COMPUTE_PGM_RSRC2:USER_SGPR: 6
; COMPUTE_PGM_RSRC2:TRAP_HANDLER: 0
; COMPUTE_PGM_RSRC2:TGID_X_EN: 1
; COMPUTE_PGM_RSRC2:TGID_Y_EN: 1
; COMPUTE_PGM_RSRC2:TGID_Z_EN: 1
; COMPUTE_PGM_RSRC2:TIDIG_COMP_CNT: 0
; COMPUTE_PGM_RSRC3_GFX90A:ACCUM_OFFSET: 17
; COMPUTE_PGM_RSRC3_GFX90A:TG_SPLIT: 0
	.section	.text._ZN4vllm25paged_attention_v2_kernelIfhLi96ELi16ELi128ELNS_18Fp8KVCacheDataTypeE1ELb0ELi512EEEvPfS2_PT_PKS3_PKT0_S9_ifPKiSB_iPKfiiiSD_SD_iiiii,"axG",@progbits,_ZN4vllm25paged_attention_v2_kernelIfhLi96ELi16ELi128ELNS_18Fp8KVCacheDataTypeE1ELb0ELi512EEEvPfS2_PT_PKS3_PKT0_S9_ifPKiSB_iPKfiiiSD_SD_iiiii,comdat
	.protected	_ZN4vllm25paged_attention_v2_kernelIfhLi96ELi16ELi128ELNS_18Fp8KVCacheDataTypeE1ELb0ELi512EEEvPfS2_PT_PKS3_PKT0_S9_ifPKiSB_iPKfiiiSD_SD_iiiii ; -- Begin function _ZN4vllm25paged_attention_v2_kernelIfhLi96ELi16ELi128ELNS_18Fp8KVCacheDataTypeE1ELb0ELi512EEEvPfS2_PT_PKS3_PKT0_S9_ifPKiSB_iPKfiiiSD_SD_iiiii
	.globl	_ZN4vllm25paged_attention_v2_kernelIfhLi96ELi16ELi128ELNS_18Fp8KVCacheDataTypeE1ELb0ELi512EEEvPfS2_PT_PKS3_PKT0_S9_ifPKiSB_iPKfiiiSD_SD_iiiii
	.p2align	8
	.type	_ZN4vllm25paged_attention_v2_kernelIfhLi96ELi16ELi128ELNS_18Fp8KVCacheDataTypeE1ELb0ELi512EEEvPfS2_PT_PKS3_PKT0_S9_ifPKiSB_iPKfiiiSD_SD_iiiii,@function
_ZN4vllm25paged_attention_v2_kernelIfhLi96ELi16ELi128ELNS_18Fp8KVCacheDataTypeE1ELb0ELi512EEEvPfS2_PT_PKS3_PKT0_S9_ifPKiSB_iPKfiiiSD_SD_iiiii: ; @_ZN4vllm25paged_attention_v2_kernelIfhLi96ELi16ELi128ELNS_18Fp8KVCacheDataTypeE1ELb0ELi512EEEvPfS2_PT_PKS3_PKT0_S9_ifPKiSB_iPKfiiiSD_SD_iiiii
; %bb.0:
	s_load_dwordx2 s[0:1], s[4:5], 0x40
	s_mov_b32 s28, s7
	s_ashr_i32 s29, s7, 31
	s_lshl_b64 s[2:3], s[28:29], 2
	s_waitcnt lgkmcnt(0)
	s_add_u32 s0, s0, s2
	s_addc_u32 s1, s1, s3
	s_load_dword s29, s[0:1], 0x0
	s_lshl_b32 s44, s8, 9
	s_waitcnt lgkmcnt(0)
	s_cmp_ge_i32 s44, s29
	s_cbranch_scc1 .LBB222_357
; %bb.1:
	s_load_dword s9, s[4:5], 0x90
	s_load_dwordx2 s[10:11], s[4:5], 0x30
	s_mov_b32 s45, 0
	s_waitcnt lgkmcnt(0)
	s_abs_i32 s2, s9
	s_abs_i32 s0, s10
	v_cvt_f32_u32_e32 v1, s0
	s_sub_i32 s3, 0, s0
	s_xor_b32 s1, s9, s10
	s_ashr_i32 s1, s1, 31
	v_rcp_iflag_f32_e32 v1, v1
	v_mul_f32_e32 v1, 0x4f7ffffe, v1
	v_cvt_u32_f32_e32 v1, v1
	v_readfirstlane_b32 s7, v1
	s_mul_i32 s3, s3, s7
	s_mul_hi_u32 s3, s7, s3
	s_add_i32 s7, s7, s3
	s_mul_hi_u32 s3, s2, s7
	s_mul_i32 s7, s3, s0
	s_sub_i32 s2, s2, s7
	s_add_i32 s10, s3, 1
	s_sub_i32 s7, s2, s0
	s_cmp_ge_u32 s2, s0
	s_cselect_b32 s3, s10, s3
	s_cselect_b32 s2, s7, s2
	s_add_i32 s7, s3, 1
	s_cmp_ge_u32 s2, s0
	s_cselect_b32 s0, s7, s3
	s_xor_b32 s0, s0, s1
	s_sub_i32 s10, s0, s1
	s_abs_i32 s2, s10
	v_cvt_f32_u32_e32 v1, s2
	s_load_dwordx2 s[0:1], s[4:5], 0x50
	s_sub_i32 s7, 0, s2
	s_abs_i32 s3, s6
	v_rcp_iflag_f32_e32 v1, v1
	v_mul_f32_e32 v1, 0x4f7ffffe, v1
	v_cvt_u32_f32_e32 v1, v1
	v_readfirstlane_b32 s12, v1
	s_mul_i32 s7, s7, s12
	s_mul_hi_u32 s7, s12, s7
	s_add_i32 s12, s12, s7
	s_waitcnt lgkmcnt(0)
	s_cmp_eq_u64 s[0:1], 0
	s_mul_hi_u32 s16, s3, s12
	s_cbranch_scc1 .LBB222_3
; %bb.2:
	s_ashr_i32 s7, s6, 31
	s_lshl_b64 s[12:13], s[6:7], 2
	s_add_u32 s0, s0, s12
	s_addc_u32 s1, s1, s13
	s_load_dword s45, s[0:1], 0x0
.LBB222_3:
	s_load_dwordx4 s[12:15], s[4:5], 0x58
	v_lshrrev_b32_e32 v27, 2, v0
	s_movk_i32 s7, 0x60
	s_ashr_i32 s17, s6, 31
	s_ashr_i32 s18, s10, 31
	v_and_b32_e32 v26, 3, v0
	s_mul_i32 s24, s6, 0x60
	v_cmp_gt_u32_e32 vcc, s7, v0
	v_lshlrev_b32_e32 v39, 2, v0
	v_lshlrev_b32_e32 v1, 2, v27
	s_and_saveexec_b64 s[0:1], vcc
	s_cbranch_execz .LBB222_5
; %bb.4:
	s_load_dwordx2 s[20:21], s[4:5], 0x18
	s_waitcnt lgkmcnt(0)
	s_mul_i32 s22, s28, s12
	s_ashr_i32 s23, s22, 31
	s_lshl_b64 s[22:23], s[22:23], 2
	v_mad_u32_u24 v3, v26, s7, v1
	s_add_u32 s10, s20, s22
	s_addc_u32 s12, s21, s23
	s_ashr_i32 s25, s24, 31
	s_lshl_b64 s[20:21], s[24:25], 2
	s_add_u32 s20, s10, s20
	s_addc_u32 s21, s12, s21
	global_load_dword v2, v39, s[20:21]
	s_waitcnt vmcnt(0)
	ds_write_b32 v3, v2
.LBB222_5:
	s_or_b64 exec, exec, s[0:1]
	s_add_i32 s0, s29, 15
	s_ashr_i32 s1, s0, 31
	s_lshr_b32 s1, s1, 28
	s_add_i32 s0, s0, s1
	s_lshl_b32 s10, s8, 5
	s_mul_i32 s1, s16, s2
	s_ashr_i32 s7, s0, 4
	s_add_i32 s0, s10, 32
	s_sub_i32 s1, s3, s1
	s_min_i32 s33, s0, s7
	s_xor_b32 s0, s17, s18
	s_add_i32 s3, s16, 1
	s_waitcnt lgkmcnt(0)
	s_sub_i32 s12, s1, s2
	s_cmp_ge_u32 s1, s2
	s_cselect_b32 s3, s3, s16
	s_cselect_b32 s1, s12, s1
	s_add_i32 s12, s3, 1
	s_cmp_ge_u32 s1, s2
	s_load_dwordx2 s[30:31], s[4:5], 0x38
	s_load_dword s2, s[4:5], 0x48
	v_lshrrev_b32_e32 v40, 6, v0
	s_cselect_b32 s1, s12, s3
	s_xor_b32 s1, s1, s0
	v_or_b32_e32 v28, s10, v40
	s_waitcnt lgkmcnt(0)
	s_mul_i32 s34, s28, s2
	s_sub_i32 s12, s1, s0
	s_ashr_i32 s35, s34, 31
	v_cmp_gt_i32_e64 s[0:1], s33, v28
	v_cmp_le_i32_e32 vcc, s33, v28
	v_mbcnt_lo_u32_b32 v32, -1, 0
	s_barrier
	s_waitcnt lgkmcnt(0)
                                        ; implicit-def: $sgpr15
                                        ; implicit-def: $vgpr41
                                        ; implicit-def: $vgpr42
	s_and_saveexec_b64 s[2:3], vcc
	s_xor_b64 s[2:3], exec, s[2:3]
; %bb.6:
	v_mbcnt_hi_u32_b32 v41, -1, v32
	v_and_b32_e32 v2, 64, v41
	v_add_u32_e32 v42, 64, v2
	s_mov_b32 s15, 0xff7fffff
                                        ; implicit-def: $vgpr32
; %bb.7:
	s_or_saveexec_b64 s[38:39], s[2:3]
	s_load_dwordx4 s[20:23], s[4:5], 0x0
	s_load_dwordx2 s[26:27], s[4:5], 0x10
	s_load_dword s25, s[4:5], 0x98
	s_load_dwordx2 s[36:37], s[4:5], 0x28
	s_load_dwordx4 s[16:19], s[4:5], 0x68
	v_mov_b32_e32 v43, s15
	s_mul_i32 s12, s12, s14
	v_ashrrev_i32_e32 v29, 31, v28
	s_xor_b64 exec, exec, s[38:39]
	s_cbranch_execz .LBB222_157
; %bb.8:
	s_load_dwordx2 s[2:3], s[4:5], 0x20
	s_ashr_i32 s4, s12, 31
	v_bfe_u32 v33, v0, 2, 4
	v_lshlrev_b32_e32 v2, 4, v33
	v_mbcnt_hi_u32_b32 v41, -1, v32
	s_waitcnt lgkmcnt(0)
	s_add_u32 s2, s2, s12
	s_addc_u32 s3, s3, s4
	v_mov_b32_e32 v3, s3
	v_add_co_u32_e32 v30, vcc, s2, v2
	v_and_b32_e32 v32, 64, v41
	v_addc_co_u32_e32 v31, vcc, 0, v3, vcc
	v_add_u32_e32 v42, 64, v32
	v_xor_b32_e32 v32, 2, v41
	v_cmp_lt_i32_e32 vcc, v32, v42
	v_mul_u32_u24_e32 v22, 0x60, v26
	v_cndmask_b32_e32 v32, v41, v32, vcc
	ds_read_b128 v[2:5], v22
	ds_read_b128 v[6:9], v22 offset:16
	ds_read_b128 v[10:13], v22 offset:32
	;; [unrolled: 1-line block ×5, first 2 shown]
	v_lshlrev_b32_e32 v44, 2, v32
	v_xor_b32_e32 v32, 1, v41
	v_cmp_lt_i32_e32 vcc, v32, v42
	v_cndmask_b32_e32 v32, v41, v32, vcc
	v_lshlrev_b32_e32 v45, 2, v32
	v_lshlrev_b32_e32 v32, 4, v40
	s_load_dword s47, s[16:17], 0x0
	s_sub_i32 s48, 1, s29
	v_add3_u32 v46, s44, v32, v33
	v_lshlrev_b32_e32 v32, 2, v33
	s_lshl_b64 s[14:15], s[34:35], 2
	v_lshl_or_b32 v32, v40, 6, v32
	s_add_u32 s14, s30, s14
	v_add_u32_e32 v47, 0x190, v32
	v_lshlrev_b64 v[32:33], 2, v[28:29]
	s_addc_u32 s15, s31, s15
	v_mov_b32_e32 v34, s15
	v_add_co_u32_e32 v32, vcc, s14, v32
	s_mov_b32 s46, s13
	v_cmp_eq_u32_e64 s[2:3], 0, v26
	v_cmp_neq_f32_e64 s[4:5], s45, 0
	v_addc_co_u32_e32 v33, vcc, v34, v33, vcc
	s_mov_b64 s[14:15], 0
	v_mov_b32_e32 v43, 0xff7fffff
	s_movk_i32 s49, 0x80
	s_movk_i32 s50, 0x7f
	v_bfrev_b32_e32 v48, 60
	v_mov_b32_e32 v49, v28
	s_branch .LBB222_10
.LBB222_9:                              ;   in Loop: Header=BB222_10 Depth=1
	s_or_b64 exec, exec, s[16:17]
	v_add_u32_e32 v49, 2, v49
	v_cmp_le_i32_e32 vcc, s33, v49
	s_or_b64 s[14:15], vcc, s[14:15]
	v_add_co_u32_e32 v32, vcc, 8, v32
	v_add_u32_e32 v46, 32, v46
	v_add_u32_e32 v47, 0x80, v47
	v_addc_co_u32_e32 v33, vcc, 0, v33, vcc
	s_andn2_b64 exec, exec, s[14:15]
	s_cbranch_execz .LBB222_156
.LBB222_10:                             ; =>This Inner Loop Header: Depth=1
	global_load_dword v34, v[32:33], off
	v_mov_b32_e32 v50, 0
	s_waitcnt vmcnt(0) lgkmcnt(0)
	v_mad_i64_i32 v[34:35], s[16:17], v34, s46, v[30:31]
	v_add_co_u32_e32 v34, vcc, v34, v26
	v_addc_co_u32_e32 v35, vcc, 0, v35, vcc
	global_load_ubyte v37, v[34:35], off
	s_waitcnt vmcnt(0)
	v_cmp_ne_u16_e32 vcc, 0, v37
	s_and_saveexec_b64 s[16:17], vcc
	s_cbranch_execz .LBB222_16
; %bb.11:                               ;   in Loop: Header=BB222_10 Depth=1
	v_cmp_ne_u16_e32 vcc, s49, v37
	v_bfrev_b32_e32 v50, 1
	s_and_saveexec_b64 s[40:41], vcc
	s_cbranch_execz .LBB222_15
; %bb.12:                               ;   in Loop: Header=BB222_10 Depth=1
	v_and_b32_e32 v36, 0xffff, v37
	v_and_b32_e32 v38, 0x7f, v36
	v_cmp_ne_u32_e32 vcc, s50, v38
	v_mov_b32_e32 v50, 0x7f800001
	s_and_saveexec_b64 s[42:43], vcc
	s_cbranch_execz .LBB222_14
; %bb.13:                               ;   in Loop: Header=BB222_10 Depth=1
	v_and_b32_e32 v52, 7, v36
	v_ffbh_u32_e32 v50, v52
	v_min_u32_e32 v54, 32, v50
	v_subrev_u32_e32 v50, 28, v54
	v_lshlrev_b64 v[50:51], v50, v[36:37]
	v_lshrrev_b32_e32 v53, 3, v38
	v_sub_u32_e32 v36, 29, v54
	v_and_b32_e32 v50, 7, v50
	v_cmp_gt_u32_e32 vcc, 8, v38
	v_cndmask_b32_e32 v36, v53, v36, vcc
	v_cndmask_b32_e32 v38, v52, v50, vcc
	v_lshlrev_b32_e32 v37, 24, v37
	v_lshlrev_b32_e32 v38, 20, v38
	v_and_b32_e32 v37, 0x80000000, v37
	v_lshl_add_u32 v36, v36, 23, v48
	v_or3_b32 v50, v37, v36, v38
.LBB222_14:                             ;   in Loop: Header=BB222_10 Depth=1
	s_or_b64 exec, exec, s[42:43]
.LBB222_15:                             ;   in Loop: Header=BB222_10 Depth=1
	s_or_b64 exec, exec, s[40:41]
.LBB222_16:                             ;   in Loop: Header=BB222_10 Depth=1
	s_or_b64 exec, exec, s[16:17]
	global_load_ubyte v37, v[34:35], off offset:4
	v_mov_b32_e32 v51, 0
	s_waitcnt vmcnt(0)
	v_cmp_ne_u16_e32 vcc, 0, v37
	s_and_saveexec_b64 s[16:17], vcc
	s_cbranch_execz .LBB222_22
; %bb.17:                               ;   in Loop: Header=BB222_10 Depth=1
	v_cmp_ne_u16_e32 vcc, s49, v37
	v_bfrev_b32_e32 v51, 1
	s_and_saveexec_b64 s[40:41], vcc
	s_cbranch_execz .LBB222_21
; %bb.18:                               ;   in Loop: Header=BB222_10 Depth=1
	v_and_b32_e32 v36, 0xffff, v37
	v_and_b32_e32 v38, 0x7f, v36
	v_cmp_ne_u32_e32 vcc, s50, v38
	v_mov_b32_e32 v51, 0x7f800001
	s_and_saveexec_b64 s[42:43], vcc
	s_cbranch_execz .LBB222_20
; %bb.19:                               ;   in Loop: Header=BB222_10 Depth=1
	v_and_b32_e32 v51, 7, v36
	v_ffbh_u32_e32 v52, v51
	v_min_u32_e32 v55, 32, v52
	v_subrev_u32_e32 v52, 28, v55
	v_lshlrev_b64 v[52:53], v52, v[36:37]
	v_lshrrev_b32_e32 v54, 3, v38
	v_sub_u32_e32 v36, 29, v55
	v_and_b32_e32 v52, 7, v52
	v_cmp_gt_u32_e32 vcc, 8, v38
	v_cndmask_b32_e32 v36, v54, v36, vcc
	v_cndmask_b32_e32 v38, v51, v52, vcc
	v_lshlrev_b32_e32 v37, 24, v37
	v_lshlrev_b32_e32 v38, 20, v38
	v_and_b32_e32 v37, 0x80000000, v37
	v_lshl_add_u32 v36, v36, 23, v48
	v_or3_b32 v51, v37, v36, v38
.LBB222_20:                             ;   in Loop: Header=BB222_10 Depth=1
	s_or_b64 exec, exec, s[42:43]
.LBB222_21:                             ;   in Loop: Header=BB222_10 Depth=1
	s_or_b64 exec, exec, s[40:41]
.LBB222_22:                             ;   in Loop: Header=BB222_10 Depth=1
	s_or_b64 exec, exec, s[16:17]
	global_load_ubyte v37, v[34:35], off offset:8
	v_mov_b32_e32 v52, 0
	v_mov_b32_e32 v53, 0
	s_waitcnt vmcnt(0)
	v_cmp_ne_u16_e32 vcc, 0, v37
	s_and_saveexec_b64 s[16:17], vcc
	s_cbranch_execz .LBB222_28
; %bb.23:                               ;   in Loop: Header=BB222_10 Depth=1
	v_cmp_ne_u16_e32 vcc, s49, v37
	v_bfrev_b32_e32 v53, 1
	s_and_saveexec_b64 s[40:41], vcc
	s_cbranch_execz .LBB222_27
; %bb.24:                               ;   in Loop: Header=BB222_10 Depth=1
	v_and_b32_e32 v36, 0xffff, v37
	v_and_b32_e32 v38, 0x7f, v36
	v_cmp_ne_u32_e32 vcc, s50, v38
	v_mov_b32_e32 v53, 0x7f800001
	s_and_saveexec_b64 s[42:43], vcc
	s_cbranch_execz .LBB222_26
; %bb.25:                               ;   in Loop: Header=BB222_10 Depth=1
	v_and_b32_e32 v53, 7, v36
	v_ffbh_u32_e32 v54, v53
	v_min_u32_e32 v57, 32, v54
	v_subrev_u32_e32 v54, 28, v57
	v_lshlrev_b64 v[54:55], v54, v[36:37]
	v_lshrrev_b32_e32 v56, 3, v38
	v_sub_u32_e32 v36, 29, v57
	v_and_b32_e32 v54, 7, v54
	v_cmp_gt_u32_e32 vcc, 8, v38
	v_cndmask_b32_e32 v36, v56, v36, vcc
	v_cndmask_b32_e32 v38, v53, v54, vcc
	v_lshlrev_b32_e32 v37, 24, v37
	v_lshlrev_b32_e32 v38, 20, v38
	v_and_b32_e32 v37, 0x80000000, v37
	v_lshl_add_u32 v36, v36, 23, v48
	v_or3_b32 v53, v37, v36, v38
.LBB222_26:                             ;   in Loop: Header=BB222_10 Depth=1
	s_or_b64 exec, exec, s[42:43]
.LBB222_27:                             ;   in Loop: Header=BB222_10 Depth=1
	s_or_b64 exec, exec, s[40:41]
.LBB222_28:                             ;   in Loop: Header=BB222_10 Depth=1
	s_or_b64 exec, exec, s[16:17]
	global_load_ubyte v37, v[34:35], off offset:12
	s_waitcnt vmcnt(0)
	v_cmp_ne_u16_e32 vcc, 0, v37
	s_and_saveexec_b64 s[16:17], vcc
	s_cbranch_execz .LBB222_34
; %bb.29:                               ;   in Loop: Header=BB222_10 Depth=1
	v_cmp_ne_u16_e32 vcc, s49, v37
	v_bfrev_b32_e32 v52, 1
	s_and_saveexec_b64 s[40:41], vcc
	s_cbranch_execz .LBB222_33
; %bb.30:                               ;   in Loop: Header=BB222_10 Depth=1
	v_and_b32_e32 v36, 0xffff, v37
	v_and_b32_e32 v38, 0x7f, v36
	v_cmp_ne_u32_e32 vcc, s50, v38
	v_mov_b32_e32 v52, 0x7f800001
	s_and_saveexec_b64 s[42:43], vcc
	s_cbranch_execz .LBB222_32
; %bb.31:                               ;   in Loop: Header=BB222_10 Depth=1
	v_and_b32_e32 v52, 7, v36
	v_ffbh_u32_e32 v54, v52
	v_min_u32_e32 v57, 32, v54
	v_subrev_u32_e32 v54, 28, v57
	v_lshlrev_b64 v[54:55], v54, v[36:37]
	v_lshrrev_b32_e32 v56, 3, v38
	v_sub_u32_e32 v36, 29, v57
	v_and_b32_e32 v54, 7, v54
	v_cmp_gt_u32_e32 vcc, 8, v38
	v_cndmask_b32_e32 v36, v56, v36, vcc
	v_cndmask_b32_e32 v38, v52, v54, vcc
	v_lshlrev_b32_e32 v37, 24, v37
	v_lshlrev_b32_e32 v38, 20, v38
	v_and_b32_e32 v37, 0x80000000, v37
	v_lshl_add_u32 v36, v36, 23, v48
	v_or3_b32 v52, v37, v36, v38
.LBB222_32:                             ;   in Loop: Header=BB222_10 Depth=1
	s_or_b64 exec, exec, s[42:43]
.LBB222_33:                             ;   in Loop: Header=BB222_10 Depth=1
	s_or_b64 exec, exec, s[40:41]
.LBB222_34:                             ;   in Loop: Header=BB222_10 Depth=1
	s_or_b64 exec, exec, s[16:17]
	global_load_ubyte v37, v[34:35], off offset:256
	v_mov_b32_e32 v54, 0
	v_mov_b32_e32 v55, 0
	s_waitcnt vmcnt(0)
	v_cmp_ne_u16_e32 vcc, 0, v37
	s_and_saveexec_b64 s[16:17], vcc
	s_cbranch_execz .LBB222_40
; %bb.35:                               ;   in Loop: Header=BB222_10 Depth=1
	v_cmp_ne_u16_e32 vcc, s49, v37
	v_bfrev_b32_e32 v55, 1
	s_and_saveexec_b64 s[40:41], vcc
	s_cbranch_execz .LBB222_39
; %bb.36:                               ;   in Loop: Header=BB222_10 Depth=1
	v_and_b32_e32 v36, 0xffff, v37
	v_and_b32_e32 v38, 0x7f, v36
	v_cmp_ne_u32_e32 vcc, s50, v38
	v_mov_b32_e32 v55, 0x7f800001
	s_and_saveexec_b64 s[42:43], vcc
	s_cbranch_execz .LBB222_38
; %bb.37:                               ;   in Loop: Header=BB222_10 Depth=1
	v_and_b32_e32 v55, 7, v36
	v_ffbh_u32_e32 v56, v55
	v_min_u32_e32 v59, 32, v56
	v_subrev_u32_e32 v56, 28, v59
	v_lshlrev_b64 v[56:57], v56, v[36:37]
	v_lshrrev_b32_e32 v58, 3, v38
	v_sub_u32_e32 v36, 29, v59
	v_and_b32_e32 v56, 7, v56
	v_cmp_gt_u32_e32 vcc, 8, v38
	v_cndmask_b32_e32 v36, v58, v36, vcc
	v_cndmask_b32_e32 v38, v55, v56, vcc
	v_lshlrev_b32_e32 v37, 24, v37
	v_lshlrev_b32_e32 v38, 20, v38
	v_and_b32_e32 v37, 0x80000000, v37
	v_lshl_add_u32 v36, v36, 23, v48
	v_or3_b32 v55, v37, v36, v38
.LBB222_38:                             ;   in Loop: Header=BB222_10 Depth=1
	s_or_b64 exec, exec, s[42:43]
.LBB222_39:                             ;   in Loop: Header=BB222_10 Depth=1
	s_or_b64 exec, exec, s[40:41]
.LBB222_40:                             ;   in Loop: Header=BB222_10 Depth=1
	s_or_b64 exec, exec, s[16:17]
	global_load_ubyte v37, v[34:35], off offset:260
	s_waitcnt vmcnt(0)
	v_cmp_ne_u16_e32 vcc, 0, v37
	s_and_saveexec_b64 s[16:17], vcc
	s_cbranch_execz .LBB222_46
; %bb.41:                               ;   in Loop: Header=BB222_10 Depth=1
	v_cmp_ne_u16_e32 vcc, s49, v37
	v_bfrev_b32_e32 v54, 1
	s_and_saveexec_b64 s[40:41], vcc
	s_cbranch_execz .LBB222_45
; %bb.42:                               ;   in Loop: Header=BB222_10 Depth=1
	v_and_b32_e32 v36, 0xffff, v37
	v_and_b32_e32 v38, 0x7f, v36
	v_cmp_ne_u32_e32 vcc, s50, v38
	v_mov_b32_e32 v54, 0x7f800001
	s_and_saveexec_b64 s[42:43], vcc
	s_cbranch_execz .LBB222_44
; %bb.43:                               ;   in Loop: Header=BB222_10 Depth=1
	v_and_b32_e32 v54, 7, v36
	v_ffbh_u32_e32 v56, v54
	v_min_u32_e32 v59, 32, v56
	v_subrev_u32_e32 v56, 28, v59
	v_lshlrev_b64 v[56:57], v56, v[36:37]
	v_lshrrev_b32_e32 v58, 3, v38
	v_sub_u32_e32 v36, 29, v59
	v_and_b32_e32 v56, 7, v56
	v_cmp_gt_u32_e32 vcc, 8, v38
	v_cndmask_b32_e32 v36, v58, v36, vcc
	v_cndmask_b32_e32 v38, v54, v56, vcc
	v_lshlrev_b32_e32 v37, 24, v37
	v_lshlrev_b32_e32 v38, 20, v38
	v_and_b32_e32 v37, 0x80000000, v37
	v_lshl_add_u32 v36, v36, 23, v48
	v_or3_b32 v54, v37, v36, v38
.LBB222_44:                             ;   in Loop: Header=BB222_10 Depth=1
	s_or_b64 exec, exec, s[42:43]
.LBB222_45:                             ;   in Loop: Header=BB222_10 Depth=1
	s_or_b64 exec, exec, s[40:41]
.LBB222_46:                             ;   in Loop: Header=BB222_10 Depth=1
	s_or_b64 exec, exec, s[16:17]
	v_add_co_u32_e32 v36, vcc, 0x100, v34
	v_addc_co_u32_e32 v37, vcc, 0, v35, vcc
	global_load_ubyte v58, v[36:37], off offset:8
	v_mov_b32_e32 v56, 0
	v_mov_b32_e32 v57, 0
	s_waitcnt vmcnt(0)
	v_cmp_ne_u16_e32 vcc, 0, v58
	s_and_saveexec_b64 s[16:17], vcc
	s_cbranch_execz .LBB222_52
; %bb.47:                               ;   in Loop: Header=BB222_10 Depth=1
	v_cmp_ne_u16_e32 vcc, s49, v58
	v_bfrev_b32_e32 v57, 1
	s_and_saveexec_b64 s[40:41], vcc
	s_cbranch_execz .LBB222_51
; %bb.48:                               ;   in Loop: Header=BB222_10 Depth=1
	v_and_b32_e32 v38, 0xffff, v58
	v_and_b32_e32 v59, 0x7f, v38
	v_cmp_ne_u32_e32 vcc, s50, v59
	v_mov_b32_e32 v57, 0x7f800001
	s_and_saveexec_b64 s[42:43], vcc
	s_cbranch_execz .LBB222_50
; %bb.49:                               ;   in Loop: Header=BB222_10 Depth=1
	v_and_b32_e32 v57, 7, v38
	v_ffbh_u32_e32 v60, v57
	v_min_u32_e32 v63, 32, v60
	v_subrev_u32_e32 v60, 28, v63
	v_lshlrev_b64 v[60:61], v60, v[38:39]
	v_lshrrev_b32_e32 v62, 3, v59
	v_sub_u32_e32 v38, 29, v63
	v_and_b32_e32 v60, 7, v60
	v_cmp_gt_u32_e32 vcc, 8, v59
	v_cndmask_b32_e32 v38, v62, v38, vcc
	v_cndmask_b32_e32 v57, v57, v60, vcc
	v_lshlrev_b32_e32 v58, 24, v58
	v_lshlrev_b32_e32 v57, 20, v57
	v_and_b32_e32 v58, 0x80000000, v58
	v_lshl_add_u32 v38, v38, 23, v48
	v_or3_b32 v57, v58, v38, v57
.LBB222_50:                             ;   in Loop: Header=BB222_10 Depth=1
	s_or_b64 exec, exec, s[42:43]
.LBB222_51:                             ;   in Loop: Header=BB222_10 Depth=1
	s_or_b64 exec, exec, s[40:41]
.LBB222_52:                             ;   in Loop: Header=BB222_10 Depth=1
	s_or_b64 exec, exec, s[16:17]
	global_load_ubyte v37, v[36:37], off offset:12
	s_waitcnt vmcnt(0)
	v_cmp_ne_u16_e32 vcc, 0, v37
	s_and_saveexec_b64 s[16:17], vcc
	s_cbranch_execz .LBB222_58
; %bb.53:                               ;   in Loop: Header=BB222_10 Depth=1
	v_cmp_ne_u16_e32 vcc, s49, v37
	v_bfrev_b32_e32 v56, 1
	s_and_saveexec_b64 s[40:41], vcc
	s_cbranch_execz .LBB222_57
; %bb.54:                               ;   in Loop: Header=BB222_10 Depth=1
	v_and_b32_e32 v36, 0xffff, v37
	v_and_b32_e32 v38, 0x7f, v36
	v_cmp_ne_u32_e32 vcc, s50, v38
	v_mov_b32_e32 v56, 0x7f800001
	s_and_saveexec_b64 s[42:43], vcc
	s_cbranch_execz .LBB222_56
; %bb.55:                               ;   in Loop: Header=BB222_10 Depth=1
	v_and_b32_e32 v56, 7, v36
	v_ffbh_u32_e32 v58, v56
	v_min_u32_e32 v61, 32, v58
	v_subrev_u32_e32 v58, 28, v61
	v_lshlrev_b64 v[58:59], v58, v[36:37]
	v_lshrrev_b32_e32 v60, 3, v38
	v_sub_u32_e32 v36, 29, v61
	v_and_b32_e32 v58, 7, v58
	v_cmp_gt_u32_e32 vcc, 8, v38
	v_cndmask_b32_e32 v36, v60, v36, vcc
	v_cndmask_b32_e32 v38, v56, v58, vcc
	v_lshlrev_b32_e32 v37, 24, v37
	v_lshlrev_b32_e32 v38, 20, v38
	v_and_b32_e32 v37, 0x80000000, v37
	v_lshl_add_u32 v36, v36, 23, v48
	v_or3_b32 v56, v37, v36, v38
.LBB222_56:                             ;   in Loop: Header=BB222_10 Depth=1
	s_or_b64 exec, exec, s[42:43]
.LBB222_57:                             ;   in Loop: Header=BB222_10 Depth=1
	s_or_b64 exec, exec, s[40:41]
.LBB222_58:                             ;   in Loop: Header=BB222_10 Depth=1
	s_or_b64 exec, exec, s[16:17]
	global_load_ubyte v37, v[34:35], off offset:512
	v_mov_b32_e32 v58, 0
	v_mov_b32_e32 v59, 0
	s_waitcnt vmcnt(0)
	v_cmp_ne_u16_e32 vcc, 0, v37
	s_and_saveexec_b64 s[16:17], vcc
	s_cbranch_execz .LBB222_64
; %bb.59:                               ;   in Loop: Header=BB222_10 Depth=1
	v_cmp_ne_u16_e32 vcc, s49, v37
	v_bfrev_b32_e32 v59, 1
	s_and_saveexec_b64 s[40:41], vcc
	s_cbranch_execz .LBB222_63
; %bb.60:                               ;   in Loop: Header=BB222_10 Depth=1
	v_and_b32_e32 v36, 0xffff, v37
	v_and_b32_e32 v38, 0x7f, v36
	v_cmp_ne_u32_e32 vcc, s50, v38
	v_mov_b32_e32 v59, 0x7f800001
	s_and_saveexec_b64 s[42:43], vcc
	s_cbranch_execz .LBB222_62
; %bb.61:                               ;   in Loop: Header=BB222_10 Depth=1
	v_and_b32_e32 v59, 7, v36
	v_ffbh_u32_e32 v60, v59
	v_min_u32_e32 v63, 32, v60
	v_subrev_u32_e32 v60, 28, v63
	v_lshlrev_b64 v[60:61], v60, v[36:37]
	v_lshrrev_b32_e32 v62, 3, v38
	v_sub_u32_e32 v36, 29, v63
	v_and_b32_e32 v60, 7, v60
	v_cmp_gt_u32_e32 vcc, 8, v38
	v_cndmask_b32_e32 v36, v62, v36, vcc
	v_cndmask_b32_e32 v38, v59, v60, vcc
	v_lshlrev_b32_e32 v37, 24, v37
	v_lshlrev_b32_e32 v38, 20, v38
	v_and_b32_e32 v37, 0x80000000, v37
	v_lshl_add_u32 v36, v36, 23, v48
	v_or3_b32 v59, v37, v36, v38
.LBB222_62:                             ;   in Loop: Header=BB222_10 Depth=1
	s_or_b64 exec, exec, s[42:43]
.LBB222_63:                             ;   in Loop: Header=BB222_10 Depth=1
	s_or_b64 exec, exec, s[40:41]
.LBB222_64:                             ;   in Loop: Header=BB222_10 Depth=1
	s_or_b64 exec, exec, s[16:17]
	global_load_ubyte v37, v[34:35], off offset:516
	s_waitcnt vmcnt(0)
	v_cmp_ne_u16_e32 vcc, 0, v37
	s_and_saveexec_b64 s[16:17], vcc
	s_cbranch_execz .LBB222_70
; %bb.65:                               ;   in Loop: Header=BB222_10 Depth=1
	v_cmp_ne_u16_e32 vcc, s49, v37
	v_bfrev_b32_e32 v58, 1
	s_and_saveexec_b64 s[40:41], vcc
	s_cbranch_execz .LBB222_69
; %bb.66:                               ;   in Loop: Header=BB222_10 Depth=1
	v_and_b32_e32 v36, 0xffff, v37
	v_and_b32_e32 v38, 0x7f, v36
	v_cmp_ne_u32_e32 vcc, s50, v38
	v_mov_b32_e32 v58, 0x7f800001
	s_and_saveexec_b64 s[42:43], vcc
	s_cbranch_execz .LBB222_68
; %bb.67:                               ;   in Loop: Header=BB222_10 Depth=1
	v_and_b32_e32 v58, 7, v36
	v_ffbh_u32_e32 v60, v58
	v_min_u32_e32 v63, 32, v60
	v_subrev_u32_e32 v60, 28, v63
	v_lshlrev_b64 v[60:61], v60, v[36:37]
	v_lshrrev_b32_e32 v62, 3, v38
	v_sub_u32_e32 v36, 29, v63
	v_and_b32_e32 v60, 7, v60
	v_cmp_gt_u32_e32 vcc, 8, v38
	v_cndmask_b32_e32 v36, v62, v36, vcc
	v_cndmask_b32_e32 v38, v58, v60, vcc
	v_lshlrev_b32_e32 v37, 24, v37
	v_lshlrev_b32_e32 v38, 20, v38
	v_and_b32_e32 v37, 0x80000000, v37
	v_lshl_add_u32 v36, v36, 23, v48
	v_or3_b32 v58, v37, v36, v38
.LBB222_68:                             ;   in Loop: Header=BB222_10 Depth=1
	s_or_b64 exec, exec, s[42:43]
.LBB222_69:                             ;   in Loop: Header=BB222_10 Depth=1
	s_or_b64 exec, exec, s[40:41]
.LBB222_70:                             ;   in Loop: Header=BB222_10 Depth=1
	s_or_b64 exec, exec, s[16:17]
	v_add_co_u32_e32 v36, vcc, 0x200, v34
	v_addc_co_u32_e32 v37, vcc, 0, v35, vcc
	global_load_ubyte v62, v[36:37], off offset:8
	v_mov_b32_e32 v60, 0
	v_mov_b32_e32 v61, 0
	s_waitcnt vmcnt(0)
	v_cmp_ne_u16_e32 vcc, 0, v62
	s_and_saveexec_b64 s[16:17], vcc
	s_cbranch_execz .LBB222_76
; %bb.71:                               ;   in Loop: Header=BB222_10 Depth=1
	v_cmp_ne_u16_e32 vcc, s49, v62
	v_bfrev_b32_e32 v61, 1
	s_and_saveexec_b64 s[40:41], vcc
	s_cbranch_execz .LBB222_75
; %bb.72:                               ;   in Loop: Header=BB222_10 Depth=1
	v_and_b32_e32 v38, 0xffff, v62
	v_and_b32_e32 v63, 0x7f, v38
	v_cmp_ne_u32_e32 vcc, s50, v63
	v_mov_b32_e32 v61, 0x7f800001
	s_and_saveexec_b64 s[42:43], vcc
	s_cbranch_execz .LBB222_74
; %bb.73:                               ;   in Loop: Header=BB222_10 Depth=1
	v_and_b32_e32 v61, 7, v38
	v_ffbh_u32_e32 v64, v61
	v_min_u32_e32 v67, 32, v64
	v_subrev_u32_e32 v64, 28, v67
	v_lshlrev_b64 v[64:65], v64, v[38:39]
	v_lshrrev_b32_e32 v66, 3, v63
	v_sub_u32_e32 v38, 29, v67
	v_and_b32_e32 v64, 7, v64
	v_cmp_gt_u32_e32 vcc, 8, v63
	v_cndmask_b32_e32 v38, v66, v38, vcc
	v_cndmask_b32_e32 v61, v61, v64, vcc
	v_lshlrev_b32_e32 v62, 24, v62
	v_lshlrev_b32_e32 v61, 20, v61
	v_and_b32_e32 v62, 0x80000000, v62
	v_lshl_add_u32 v38, v38, 23, v48
	v_or3_b32 v61, v62, v38, v61
.LBB222_74:                             ;   in Loop: Header=BB222_10 Depth=1
	s_or_b64 exec, exec, s[42:43]
.LBB222_75:                             ;   in Loop: Header=BB222_10 Depth=1
	s_or_b64 exec, exec, s[40:41]
.LBB222_76:                             ;   in Loop: Header=BB222_10 Depth=1
	s_or_b64 exec, exec, s[16:17]
	global_load_ubyte v37, v[36:37], off offset:12
	s_waitcnt vmcnt(0)
	v_cmp_ne_u16_e32 vcc, 0, v37
	s_and_saveexec_b64 s[16:17], vcc
	s_cbranch_execz .LBB222_82
; %bb.77:                               ;   in Loop: Header=BB222_10 Depth=1
	v_cmp_ne_u16_e32 vcc, s49, v37
	v_bfrev_b32_e32 v60, 1
	s_and_saveexec_b64 s[40:41], vcc
	s_cbranch_execz .LBB222_81
; %bb.78:                               ;   in Loop: Header=BB222_10 Depth=1
	v_and_b32_e32 v36, 0xffff, v37
	v_and_b32_e32 v38, 0x7f, v36
	v_cmp_ne_u32_e32 vcc, s50, v38
	v_mov_b32_e32 v60, 0x7f800001
	s_and_saveexec_b64 s[42:43], vcc
	s_cbranch_execz .LBB222_80
; %bb.79:                               ;   in Loop: Header=BB222_10 Depth=1
	v_and_b32_e32 v60, 7, v36
	v_ffbh_u32_e32 v62, v60
	v_min_u32_e32 v65, 32, v62
	v_subrev_u32_e32 v62, 28, v65
	v_lshlrev_b64 v[62:63], v62, v[36:37]
	v_lshrrev_b32_e32 v64, 3, v38
	v_sub_u32_e32 v36, 29, v65
	v_and_b32_e32 v62, 7, v62
	v_cmp_gt_u32_e32 vcc, 8, v38
	v_cndmask_b32_e32 v36, v64, v36, vcc
	v_cndmask_b32_e32 v38, v60, v62, vcc
	v_lshlrev_b32_e32 v37, 24, v37
	v_lshlrev_b32_e32 v38, 20, v38
	v_and_b32_e32 v37, 0x80000000, v37
	v_lshl_add_u32 v36, v36, 23, v48
	v_or3_b32 v60, v37, v36, v38
.LBB222_80:                             ;   in Loop: Header=BB222_10 Depth=1
	s_or_b64 exec, exec, s[42:43]
.LBB222_81:                             ;   in Loop: Header=BB222_10 Depth=1
	s_or_b64 exec, exec, s[40:41]
.LBB222_82:                             ;   in Loop: Header=BB222_10 Depth=1
	s_or_b64 exec, exec, s[16:17]
	global_load_ubyte v37, v[34:35], off offset:768
	v_mov_b32_e32 v62, 0
	v_mov_b32_e32 v63, 0
	s_waitcnt vmcnt(0)
	v_cmp_ne_u16_e32 vcc, 0, v37
	s_and_saveexec_b64 s[16:17], vcc
	s_cbranch_execz .LBB222_88
; %bb.83:                               ;   in Loop: Header=BB222_10 Depth=1
	v_cmp_ne_u16_e32 vcc, s49, v37
	v_bfrev_b32_e32 v63, 1
	s_and_saveexec_b64 s[40:41], vcc
	s_cbranch_execz .LBB222_87
; %bb.84:                               ;   in Loop: Header=BB222_10 Depth=1
	v_and_b32_e32 v36, 0xffff, v37
	v_and_b32_e32 v38, 0x7f, v36
	v_cmp_ne_u32_e32 vcc, s50, v38
	v_mov_b32_e32 v63, 0x7f800001
	s_and_saveexec_b64 s[42:43], vcc
	s_cbranch_execz .LBB222_86
; %bb.85:                               ;   in Loop: Header=BB222_10 Depth=1
	v_and_b32_e32 v63, 7, v36
	v_ffbh_u32_e32 v64, v63
	v_min_u32_e32 v67, 32, v64
	v_subrev_u32_e32 v64, 28, v67
	v_lshlrev_b64 v[64:65], v64, v[36:37]
	v_lshrrev_b32_e32 v66, 3, v38
	v_sub_u32_e32 v36, 29, v67
	v_and_b32_e32 v64, 7, v64
	v_cmp_gt_u32_e32 vcc, 8, v38
	v_cndmask_b32_e32 v36, v66, v36, vcc
	v_cndmask_b32_e32 v38, v63, v64, vcc
	v_lshlrev_b32_e32 v37, 24, v37
	v_lshlrev_b32_e32 v38, 20, v38
	v_and_b32_e32 v37, 0x80000000, v37
	v_lshl_add_u32 v36, v36, 23, v48
	v_or3_b32 v63, v37, v36, v38
.LBB222_86:                             ;   in Loop: Header=BB222_10 Depth=1
	s_or_b64 exec, exec, s[42:43]
.LBB222_87:                             ;   in Loop: Header=BB222_10 Depth=1
	s_or_b64 exec, exec, s[40:41]
.LBB222_88:                             ;   in Loop: Header=BB222_10 Depth=1
	s_or_b64 exec, exec, s[16:17]
	global_load_ubyte v37, v[34:35], off offset:772
	s_waitcnt vmcnt(0)
	v_cmp_ne_u16_e32 vcc, 0, v37
	s_and_saveexec_b64 s[16:17], vcc
	s_cbranch_execz .LBB222_94
; %bb.89:                               ;   in Loop: Header=BB222_10 Depth=1
	v_cmp_ne_u16_e32 vcc, s49, v37
	v_bfrev_b32_e32 v62, 1
	s_and_saveexec_b64 s[40:41], vcc
	s_cbranch_execz .LBB222_93
; %bb.90:                               ;   in Loop: Header=BB222_10 Depth=1
	v_and_b32_e32 v36, 0xffff, v37
	v_and_b32_e32 v38, 0x7f, v36
	v_cmp_ne_u32_e32 vcc, s50, v38
	v_mov_b32_e32 v62, 0x7f800001
	s_and_saveexec_b64 s[42:43], vcc
	s_cbranch_execz .LBB222_92
; %bb.91:                               ;   in Loop: Header=BB222_10 Depth=1
	v_and_b32_e32 v62, 7, v36
	v_ffbh_u32_e32 v64, v62
	v_min_u32_e32 v67, 32, v64
	v_subrev_u32_e32 v64, 28, v67
	v_lshlrev_b64 v[64:65], v64, v[36:37]
	v_lshrrev_b32_e32 v66, 3, v38
	v_sub_u32_e32 v36, 29, v67
	v_and_b32_e32 v64, 7, v64
	v_cmp_gt_u32_e32 vcc, 8, v38
	v_cndmask_b32_e32 v36, v66, v36, vcc
	v_cndmask_b32_e32 v38, v62, v64, vcc
	v_lshlrev_b32_e32 v37, 24, v37
	v_lshlrev_b32_e32 v38, 20, v38
	v_and_b32_e32 v37, 0x80000000, v37
	v_lshl_add_u32 v36, v36, 23, v48
	v_or3_b32 v62, v37, v36, v38
.LBB222_92:                             ;   in Loop: Header=BB222_10 Depth=1
	s_or_b64 exec, exec, s[42:43]
.LBB222_93:                             ;   in Loop: Header=BB222_10 Depth=1
	s_or_b64 exec, exec, s[40:41]
.LBB222_94:                             ;   in Loop: Header=BB222_10 Depth=1
	s_or_b64 exec, exec, s[16:17]
	v_add_co_u32_e32 v36, vcc, 0x300, v34
	v_addc_co_u32_e32 v37, vcc, 0, v35, vcc
	global_load_ubyte v66, v[36:37], off offset:8
	v_mov_b32_e32 v64, 0
	v_mov_b32_e32 v65, 0
	s_waitcnt vmcnt(0)
	v_cmp_ne_u16_e32 vcc, 0, v66
	s_and_saveexec_b64 s[16:17], vcc
	s_cbranch_execz .LBB222_100
; %bb.95:                               ;   in Loop: Header=BB222_10 Depth=1
	v_cmp_ne_u16_e32 vcc, s49, v66
	v_bfrev_b32_e32 v65, 1
	s_and_saveexec_b64 s[40:41], vcc
	s_cbranch_execz .LBB222_99
; %bb.96:                               ;   in Loop: Header=BB222_10 Depth=1
	v_and_b32_e32 v38, 0xffff, v66
	v_and_b32_e32 v67, 0x7f, v38
	v_cmp_ne_u32_e32 vcc, s50, v67
	v_mov_b32_e32 v65, 0x7f800001
	s_and_saveexec_b64 s[42:43], vcc
	s_cbranch_execz .LBB222_98
; %bb.97:                               ;   in Loop: Header=BB222_10 Depth=1
	v_and_b32_e32 v65, 7, v38
	v_ffbh_u32_e32 v68, v65
	v_min_u32_e32 v71, 32, v68
	v_subrev_u32_e32 v68, 28, v71
	v_lshlrev_b64 v[68:69], v68, v[38:39]
	v_lshrrev_b32_e32 v70, 3, v67
	v_sub_u32_e32 v38, 29, v71
	v_and_b32_e32 v68, 7, v68
	v_cmp_gt_u32_e32 vcc, 8, v67
	v_cndmask_b32_e32 v38, v70, v38, vcc
	v_cndmask_b32_e32 v65, v65, v68, vcc
	v_lshlrev_b32_e32 v66, 24, v66
	v_lshlrev_b32_e32 v65, 20, v65
	v_and_b32_e32 v66, 0x80000000, v66
	v_lshl_add_u32 v38, v38, 23, v48
	v_or3_b32 v65, v66, v38, v65
.LBB222_98:                             ;   in Loop: Header=BB222_10 Depth=1
	s_or_b64 exec, exec, s[42:43]
.LBB222_99:                             ;   in Loop: Header=BB222_10 Depth=1
	s_or_b64 exec, exec, s[40:41]
.LBB222_100:                            ;   in Loop: Header=BB222_10 Depth=1
	s_or_b64 exec, exec, s[16:17]
	global_load_ubyte v37, v[36:37], off offset:12
	s_waitcnt vmcnt(0)
	v_cmp_ne_u16_e32 vcc, 0, v37
	s_and_saveexec_b64 s[16:17], vcc
	s_cbranch_execz .LBB222_106
; %bb.101:                              ;   in Loop: Header=BB222_10 Depth=1
	v_cmp_ne_u16_e32 vcc, s49, v37
	v_bfrev_b32_e32 v64, 1
	s_and_saveexec_b64 s[40:41], vcc
	s_cbranch_execz .LBB222_105
; %bb.102:                              ;   in Loop: Header=BB222_10 Depth=1
	v_and_b32_e32 v36, 0xffff, v37
	v_and_b32_e32 v38, 0x7f, v36
	v_cmp_ne_u32_e32 vcc, s50, v38
	v_mov_b32_e32 v64, 0x7f800001
	s_and_saveexec_b64 s[42:43], vcc
	s_cbranch_execz .LBB222_104
; %bb.103:                              ;   in Loop: Header=BB222_10 Depth=1
	v_and_b32_e32 v64, 7, v36
	v_ffbh_u32_e32 v66, v64
	v_min_u32_e32 v69, 32, v66
	v_subrev_u32_e32 v66, 28, v69
	v_lshlrev_b64 v[66:67], v66, v[36:37]
	v_lshrrev_b32_e32 v68, 3, v38
	v_sub_u32_e32 v36, 29, v69
	v_and_b32_e32 v66, 7, v66
	v_cmp_gt_u32_e32 vcc, 8, v38
	v_cndmask_b32_e32 v36, v68, v36, vcc
	v_cndmask_b32_e32 v38, v64, v66, vcc
	v_lshlrev_b32_e32 v37, 24, v37
	v_lshlrev_b32_e32 v38, 20, v38
	v_and_b32_e32 v37, 0x80000000, v37
	v_lshl_add_u32 v36, v36, 23, v48
	v_or3_b32 v64, v37, v36, v38
.LBB222_104:                            ;   in Loop: Header=BB222_10 Depth=1
	s_or_b64 exec, exec, s[42:43]
.LBB222_105:                            ;   in Loop: Header=BB222_10 Depth=1
	s_or_b64 exec, exec, s[40:41]
.LBB222_106:                            ;   in Loop: Header=BB222_10 Depth=1
	s_or_b64 exec, exec, s[16:17]
	global_load_ubyte v37, v[34:35], off offset:1024
	v_mov_b32_e32 v66, 0
	v_mov_b32_e32 v67, 0
	s_waitcnt vmcnt(0)
	v_cmp_ne_u16_e32 vcc, 0, v37
	s_and_saveexec_b64 s[16:17], vcc
	s_cbranch_execz .LBB222_112
; %bb.107:                              ;   in Loop: Header=BB222_10 Depth=1
	v_cmp_ne_u16_e32 vcc, s49, v37
	v_bfrev_b32_e32 v67, 1
	s_and_saveexec_b64 s[40:41], vcc
	s_cbranch_execz .LBB222_111
; %bb.108:                              ;   in Loop: Header=BB222_10 Depth=1
	v_and_b32_e32 v36, 0xffff, v37
	v_and_b32_e32 v38, 0x7f, v36
	v_cmp_ne_u32_e32 vcc, s50, v38
	v_mov_b32_e32 v67, 0x7f800001
	s_and_saveexec_b64 s[42:43], vcc
	s_cbranch_execz .LBB222_110
; %bb.109:                              ;   in Loop: Header=BB222_10 Depth=1
	v_and_b32_e32 v67, 7, v36
	v_ffbh_u32_e32 v68, v67
	v_min_u32_e32 v71, 32, v68
	v_subrev_u32_e32 v68, 28, v71
	v_lshlrev_b64 v[68:69], v68, v[36:37]
	v_lshrrev_b32_e32 v70, 3, v38
	v_sub_u32_e32 v36, 29, v71
	v_and_b32_e32 v68, 7, v68
	v_cmp_gt_u32_e32 vcc, 8, v38
	v_cndmask_b32_e32 v36, v70, v36, vcc
	v_cndmask_b32_e32 v38, v67, v68, vcc
	v_lshlrev_b32_e32 v37, 24, v37
	v_lshlrev_b32_e32 v38, 20, v38
	v_and_b32_e32 v37, 0x80000000, v37
	v_lshl_add_u32 v36, v36, 23, v48
	v_or3_b32 v67, v37, v36, v38
.LBB222_110:                            ;   in Loop: Header=BB222_10 Depth=1
	s_or_b64 exec, exec, s[42:43]
.LBB222_111:                            ;   in Loop: Header=BB222_10 Depth=1
	s_or_b64 exec, exec, s[40:41]
.LBB222_112:                            ;   in Loop: Header=BB222_10 Depth=1
	s_or_b64 exec, exec, s[16:17]
	global_load_ubyte v37, v[34:35], off offset:1028
	s_waitcnt vmcnt(0)
	v_cmp_ne_u16_e32 vcc, 0, v37
	s_and_saveexec_b64 s[16:17], vcc
	s_cbranch_execz .LBB222_118
; %bb.113:                              ;   in Loop: Header=BB222_10 Depth=1
	v_cmp_ne_u16_e32 vcc, s49, v37
	v_bfrev_b32_e32 v66, 1
	s_and_saveexec_b64 s[40:41], vcc
	s_cbranch_execz .LBB222_117
; %bb.114:                              ;   in Loop: Header=BB222_10 Depth=1
	v_and_b32_e32 v36, 0xffff, v37
	v_and_b32_e32 v38, 0x7f, v36
	v_cmp_ne_u32_e32 vcc, s50, v38
	v_mov_b32_e32 v66, 0x7f800001
	s_and_saveexec_b64 s[42:43], vcc
	s_cbranch_execz .LBB222_116
; %bb.115:                              ;   in Loop: Header=BB222_10 Depth=1
	v_and_b32_e32 v66, 7, v36
	v_ffbh_u32_e32 v68, v66
	v_min_u32_e32 v71, 32, v68
	v_subrev_u32_e32 v68, 28, v71
	v_lshlrev_b64 v[68:69], v68, v[36:37]
	v_lshrrev_b32_e32 v70, 3, v38
	v_sub_u32_e32 v36, 29, v71
	v_and_b32_e32 v68, 7, v68
	v_cmp_gt_u32_e32 vcc, 8, v38
	v_cndmask_b32_e32 v36, v70, v36, vcc
	v_cndmask_b32_e32 v38, v66, v68, vcc
	v_lshlrev_b32_e32 v37, 24, v37
	v_lshlrev_b32_e32 v38, 20, v38
	v_and_b32_e32 v37, 0x80000000, v37
	v_lshl_add_u32 v36, v36, 23, v48
	v_or3_b32 v66, v37, v36, v38
.LBB222_116:                            ;   in Loop: Header=BB222_10 Depth=1
	s_or_b64 exec, exec, s[42:43]
.LBB222_117:                            ;   in Loop: Header=BB222_10 Depth=1
	s_or_b64 exec, exec, s[40:41]
.LBB222_118:                            ;   in Loop: Header=BB222_10 Depth=1
	s_or_b64 exec, exec, s[16:17]
	v_add_co_u32_e32 v36, vcc, 0x400, v34
	v_addc_co_u32_e32 v37, vcc, 0, v35, vcc
	global_load_ubyte v70, v[36:37], off offset:8
	v_mov_b32_e32 v68, 0
	v_mov_b32_e32 v69, 0
	s_waitcnt vmcnt(0)
	v_cmp_ne_u16_e32 vcc, 0, v70
	s_and_saveexec_b64 s[16:17], vcc
	s_cbranch_execz .LBB222_124
; %bb.119:                              ;   in Loop: Header=BB222_10 Depth=1
	v_cmp_ne_u16_e32 vcc, s49, v70
	v_bfrev_b32_e32 v69, 1
	s_and_saveexec_b64 s[40:41], vcc
	s_cbranch_execz .LBB222_123
; %bb.120:                              ;   in Loop: Header=BB222_10 Depth=1
	v_and_b32_e32 v38, 0xffff, v70
	v_and_b32_e32 v71, 0x7f, v38
	v_cmp_ne_u32_e32 vcc, s50, v71
	v_mov_b32_e32 v69, 0x7f800001
	s_and_saveexec_b64 s[42:43], vcc
	s_cbranch_execz .LBB222_122
; %bb.121:                              ;   in Loop: Header=BB222_10 Depth=1
	v_and_b32_e32 v69, 7, v38
	v_ffbh_u32_e32 v72, v69
	v_min_u32_e32 v75, 32, v72
	v_subrev_u32_e32 v72, 28, v75
	v_lshlrev_b64 v[72:73], v72, v[38:39]
	v_lshrrev_b32_e32 v74, 3, v71
	v_sub_u32_e32 v38, 29, v75
	v_and_b32_e32 v72, 7, v72
	v_cmp_gt_u32_e32 vcc, 8, v71
	v_cndmask_b32_e32 v38, v74, v38, vcc
	v_cndmask_b32_e32 v69, v69, v72, vcc
	v_lshlrev_b32_e32 v70, 24, v70
	v_lshlrev_b32_e32 v69, 20, v69
	v_and_b32_e32 v70, 0x80000000, v70
	v_lshl_add_u32 v38, v38, 23, v48
	v_or3_b32 v69, v70, v38, v69
.LBB222_122:                            ;   in Loop: Header=BB222_10 Depth=1
	s_or_b64 exec, exec, s[42:43]
.LBB222_123:                            ;   in Loop: Header=BB222_10 Depth=1
	s_or_b64 exec, exec, s[40:41]
.LBB222_124:                            ;   in Loop: Header=BB222_10 Depth=1
	s_or_b64 exec, exec, s[16:17]
	global_load_ubyte v37, v[36:37], off offset:12
	s_waitcnt vmcnt(0)
	v_cmp_ne_u16_e32 vcc, 0, v37
	s_and_saveexec_b64 s[16:17], vcc
	s_cbranch_execz .LBB222_130
; %bb.125:                              ;   in Loop: Header=BB222_10 Depth=1
	v_cmp_ne_u16_e32 vcc, s49, v37
	v_bfrev_b32_e32 v68, 1
	s_and_saveexec_b64 s[40:41], vcc
	s_cbranch_execz .LBB222_129
; %bb.126:                              ;   in Loop: Header=BB222_10 Depth=1
	v_and_b32_e32 v36, 0xffff, v37
	v_and_b32_e32 v38, 0x7f, v36
	v_cmp_ne_u32_e32 vcc, s50, v38
	v_mov_b32_e32 v68, 0x7f800001
	s_and_saveexec_b64 s[42:43], vcc
	s_cbranch_execz .LBB222_128
; %bb.127:                              ;   in Loop: Header=BB222_10 Depth=1
	v_and_b32_e32 v68, 7, v36
	v_ffbh_u32_e32 v70, v68
	v_min_u32_e32 v73, 32, v70
	v_subrev_u32_e32 v70, 28, v73
	v_lshlrev_b64 v[70:71], v70, v[36:37]
	v_lshrrev_b32_e32 v72, 3, v38
	v_sub_u32_e32 v36, 29, v73
	v_and_b32_e32 v70, 7, v70
	v_cmp_gt_u32_e32 vcc, 8, v38
	v_cndmask_b32_e32 v36, v72, v36, vcc
	v_cndmask_b32_e32 v38, v68, v70, vcc
	v_lshlrev_b32_e32 v37, 24, v37
	v_lshlrev_b32_e32 v38, 20, v38
	v_and_b32_e32 v37, 0x80000000, v37
	v_lshl_add_u32 v36, v36, 23, v48
	v_or3_b32 v68, v37, v36, v38
.LBB222_128:                            ;   in Loop: Header=BB222_10 Depth=1
	s_or_b64 exec, exec, s[42:43]
.LBB222_129:                            ;   in Loop: Header=BB222_10 Depth=1
	s_or_b64 exec, exec, s[40:41]
.LBB222_130:                            ;   in Loop: Header=BB222_10 Depth=1
	s_or_b64 exec, exec, s[16:17]
	global_load_ubyte v70, v[34:35], off offset:1280
	v_mov_b32_e32 v37, 0
	v_mov_b32_e32 v38, 0
	s_waitcnt vmcnt(0)
	v_cmp_ne_u16_e32 vcc, 0, v70
	s_and_saveexec_b64 s[16:17], vcc
	s_cbranch_execz .LBB222_136
; %bb.131:                              ;   in Loop: Header=BB222_10 Depth=1
	v_cmp_ne_u16_e32 vcc, s49, v70
	v_bfrev_b32_e32 v38, 1
	s_and_saveexec_b64 s[40:41], vcc
	s_cbranch_execz .LBB222_135
; %bb.132:                              ;   in Loop: Header=BB222_10 Depth=1
	v_and_b32_e32 v36, 0xffff, v70
	v_and_b32_e32 v71, 0x7f, v36
	v_cmp_ne_u32_e32 vcc, s50, v71
	v_mov_b32_e32 v38, 0x7f800001
	s_and_saveexec_b64 s[42:43], vcc
	s_cbranch_execz .LBB222_134
; %bb.133:                              ;   in Loop: Header=BB222_10 Depth=1
	v_and_b32_e32 v38, 7, v36
	v_ffbh_u32_e32 v72, v38
	v_min_u32_e32 v75, 32, v72
	v_subrev_u32_e32 v72, 28, v75
	v_lshlrev_b64 v[72:73], v72, v[36:37]
	v_lshrrev_b32_e32 v74, 3, v71
	v_sub_u32_e32 v36, 29, v75
	v_and_b32_e32 v72, 7, v72
	v_cmp_gt_u32_e32 vcc, 8, v71
	v_cndmask_b32_e32 v36, v74, v36, vcc
	v_cndmask_b32_e32 v38, v38, v72, vcc
	v_lshlrev_b32_e32 v70, 24, v70
	v_lshlrev_b32_e32 v38, 20, v38
	v_and_b32_e32 v70, 0x80000000, v70
	v_lshl_add_u32 v36, v36, 23, v48
	v_or3_b32 v38, v70, v36, v38
.LBB222_134:                            ;   in Loop: Header=BB222_10 Depth=1
	s_or_b64 exec, exec, s[42:43]
.LBB222_135:                            ;   in Loop: Header=BB222_10 Depth=1
	s_or_b64 exec, exec, s[40:41]
.LBB222_136:                            ;   in Loop: Header=BB222_10 Depth=1
	s_or_b64 exec, exec, s[16:17]
	global_load_ubyte v70, v[34:35], off offset:1284
	s_waitcnt vmcnt(0)
	v_cmp_ne_u16_e32 vcc, 0, v70
	s_and_saveexec_b64 s[16:17], vcc
	s_cbranch_execz .LBB222_142
; %bb.137:                              ;   in Loop: Header=BB222_10 Depth=1
	v_cmp_ne_u16_e32 vcc, s49, v70
	v_bfrev_b32_e32 v37, 1
	s_and_saveexec_b64 s[40:41], vcc
	s_cbranch_execz .LBB222_141
; %bb.138:                              ;   in Loop: Header=BB222_10 Depth=1
	v_and_b32_e32 v36, 0xffff, v70
	v_and_b32_e32 v71, 0x7f, v36
	v_cmp_ne_u32_e32 vcc, s50, v71
	v_mov_b32_e32 v37, 0x7f800001
	s_and_saveexec_b64 s[42:43], vcc
	s_cbranch_execz .LBB222_140
; %bb.139:                              ;   in Loop: Header=BB222_10 Depth=1
	v_and_b32_e32 v72, 7, v36
	v_ffbh_u32_e32 v37, v72
	v_min_u32_e32 v74, 32, v37
	v_subrev_u32_e32 v37, 28, v74
	v_lshlrev_b64 v[36:37], v37, v[36:37]
	v_lshrrev_b32_e32 v73, 3, v71
	v_sub_u32_e32 v37, 29, v74
	v_and_b32_e32 v36, 7, v36
	v_cmp_gt_u32_e32 vcc, 8, v71
	v_cndmask_b32_e32 v37, v73, v37, vcc
	v_cndmask_b32_e32 v36, v72, v36, vcc
	v_lshlrev_b32_e32 v70, 24, v70
	v_lshlrev_b32_e32 v36, 20, v36
	v_and_b32_e32 v70, 0x80000000, v70
	v_lshl_add_u32 v37, v37, 23, v48
	v_or3_b32 v37, v70, v37, v36
.LBB222_140:                            ;   in Loop: Header=BB222_10 Depth=1
	s_or_b64 exec, exec, s[42:43]
.LBB222_141:                            ;   in Loop: Header=BB222_10 Depth=1
	s_or_b64 exec, exec, s[40:41]
.LBB222_142:                            ;   in Loop: Header=BB222_10 Depth=1
	s_or_b64 exec, exec, s[16:17]
	v_add_co_u32_e32 v34, vcc, 0x500, v34
	v_addc_co_u32_e32 v35, vcc, 0, v35, vcc
	global_load_ubyte v72, v[34:35], off offset:8
	v_mov_b32_e32 v70, 0
	v_mov_b32_e32 v71, 0
	s_waitcnt vmcnt(0)
	v_cmp_ne_u16_e32 vcc, 0, v72
	s_and_saveexec_b64 s[16:17], vcc
	s_cbranch_execz .LBB222_148
; %bb.143:                              ;   in Loop: Header=BB222_10 Depth=1
	v_cmp_ne_u16_e32 vcc, s49, v72
	v_bfrev_b32_e32 v71, 1
	s_and_saveexec_b64 s[40:41], vcc
	s_cbranch_execz .LBB222_147
; %bb.144:                              ;   in Loop: Header=BB222_10 Depth=1
	v_and_b32_e32 v36, 0xffff, v72
	v_and_b32_e32 v73, 0x7f, v36
	v_cmp_ne_u32_e32 vcc, s50, v73
	v_mov_b32_e32 v71, 0x7f800001
	s_and_saveexec_b64 s[42:43], vcc
	s_cbranch_execz .LBB222_146
; %bb.145:                              ;   in Loop: Header=BB222_10 Depth=1
	v_and_b32_e32 v71, 7, v36
	v_ffbh_u32_e32 v74, v71
	v_min_u32_e32 v77, 32, v74
	v_subrev_u32_e32 v74, 28, v77
	v_lshlrev_b64 v[74:75], v74, v[36:37]
	v_lshrrev_b32_e32 v76, 3, v73
	v_sub_u32_e32 v36, 29, v77
	v_and_b32_e32 v74, 7, v74
	v_cmp_gt_u32_e32 vcc, 8, v73
	v_cndmask_b32_e32 v36, v76, v36, vcc
	v_cndmask_b32_e32 v71, v71, v74, vcc
	v_lshlrev_b32_e32 v72, 24, v72
	v_lshlrev_b32_e32 v71, 20, v71
	v_and_b32_e32 v72, 0x80000000, v72
	v_lshl_add_u32 v36, v36, 23, v48
	v_or3_b32 v71, v72, v36, v71
.LBB222_146:                            ;   in Loop: Header=BB222_10 Depth=1
	s_or_b64 exec, exec, s[42:43]
.LBB222_147:                            ;   in Loop: Header=BB222_10 Depth=1
	s_or_b64 exec, exec, s[40:41]
.LBB222_148:                            ;   in Loop: Header=BB222_10 Depth=1
	s_or_b64 exec, exec, s[16:17]
	global_load_ubyte v35, v[34:35], off offset:12
	s_waitcnt vmcnt(0)
	v_cmp_ne_u16_e32 vcc, 0, v35
	s_and_saveexec_b64 s[16:17], vcc
	s_cbranch_execz .LBB222_154
; %bb.149:                              ;   in Loop: Header=BB222_10 Depth=1
	v_cmp_ne_u16_e32 vcc, s49, v35
	v_bfrev_b32_e32 v70, 1
	s_and_saveexec_b64 s[40:41], vcc
	s_cbranch_execz .LBB222_153
; %bb.150:                              ;   in Loop: Header=BB222_10 Depth=1
	v_and_b32_e32 v34, 0xffff, v35
	v_and_b32_e32 v36, 0x7f, v34
	v_cmp_ne_u32_e32 vcc, s50, v36
	v_mov_b32_e32 v70, 0x7f800001
	s_and_saveexec_b64 s[42:43], vcc
	s_cbranch_execz .LBB222_152
; %bb.151:                              ;   in Loop: Header=BB222_10 Depth=1
	v_and_b32_e32 v70, 7, v34
	v_ffbh_u32_e32 v72, v70
	v_min_u32_e32 v75, 32, v72
	v_subrev_u32_e32 v72, 28, v75
	v_lshlrev_b64 v[72:73], v72, v[34:35]
	v_lshrrev_b32_e32 v74, 3, v36
	v_sub_u32_e32 v34, 29, v75
	v_and_b32_e32 v72, 7, v72
	v_cmp_gt_u32_e32 vcc, 8, v36
	v_cndmask_b32_e32 v34, v74, v34, vcc
	v_cndmask_b32_e32 v36, v70, v72, vcc
	v_lshlrev_b32_e32 v35, 24, v35
	v_lshlrev_b32_e32 v36, 20, v36
	v_and_b32_e32 v35, 0x80000000, v35
	v_lshl_add_u32 v34, v34, 23, v48
	v_or3_b32 v70, v35, v34, v36
.LBB222_152:                            ;   in Loop: Header=BB222_10 Depth=1
	s_or_b64 exec, exec, s[42:43]
.LBB222_153:                            ;   in Loop: Header=BB222_10 Depth=1
	s_or_b64 exec, exec, s[40:41]
.LBB222_154:                            ;   in Loop: Header=BB222_10 Depth=1
	s_or_b64 exec, exec, s[16:17]
	s_waitcnt lgkmcnt(0)
	v_mul_f32_e32 v51, s47, v51
	v_mul_f32_e32 v50, s47, v50
	;; [unrolled: 1-line block ×4, first 2 shown]
	v_fmac_f32_e32 v51, v2, v50
	v_mul_f32_e32 v52, s47, v52
	v_fmac_f32_e32 v51, v4, v53
	v_mul_f32_e32 v55, s47, v55
	;; [unrolled: 2-line block ×16, first 2 shown]
	v_mul_f32_e32 v38, s47, v69
	v_fmac_f32_e32 v51, v19, v66
	v_mul_f32_e32 v35, s47, v37
	v_mul_f32_e32 v37, s47, v68
	v_fmac_f32_e32 v51, v20, v38
	v_fmac_f32_e32 v51, v21, v37
	;; [unrolled: 1-line block ×3, first 2 shown]
	v_mul_f32_e32 v34, s47, v71
	v_fmac_f32_e32 v51, v23, v35
	v_mul_f32_e32 v68, s47, v70
	v_fmac_f32_e32 v51, v24, v34
	v_fmac_f32_e32 v51, v25, v68
	ds_bpermute_b32 v34, v44, v51
	s_waitcnt lgkmcnt(0)
	v_add_f32_e32 v34, v51, v34
	ds_bpermute_b32 v35, v45, v34
	s_and_saveexec_b64 s[16:17], s[2:3]
	s_cbranch_execz .LBB222_9
; %bb.155:                              ;   in Loop: Header=BB222_10 Depth=1
	v_add_u32_e32 v36, s48, v46
	v_cvt_f32_i32_e32 v36, v36
	s_waitcnt lgkmcnt(0)
	v_add_f32_e32 v34, v34, v35
	v_cmp_gt_i32_e32 vcc, s29, v46
	v_max_f32_e32 v35, v43, v43
	v_mul_f32_e32 v36, s45, v36
	v_cndmask_b32_e64 v36, 0, v36, s[4:5]
	v_fmac_f32_e32 v36, s11, v34
	v_cndmask_b32_e32 v34, 0, v36, vcc
	ds_write_b32 v47, v34
	v_max_f32_e32 v34, v35, v36
	v_cndmask_b32_e32 v43, v43, v34, vcc
	s_branch .LBB222_9
.LBB222_156:
	s_or_b64 exec, exec, s[14:15]
.LBB222_157:
	s_or_b64 exec, exec, s[38:39]
	v_xor_b32_e32 v2, 32, v41
	v_cmp_lt_i32_e32 vcc, v2, v42
	v_cndmask_b32_e32 v2, v41, v2, vcc
	v_lshlrev_b32_e32 v2, 2, v2
	ds_bpermute_b32 v3, v2, v43
	v_xor_b32_e32 v5, 16, v41
	v_max_f32_e32 v4, v43, v43
	v_cmp_lt_i32_e32 vcc, v5, v42
	v_xor_b32_e32 v6, 8, v41
	s_waitcnt lgkmcnt(0)
	v_max_f32_e32 v3, v3, v3
	v_max_f32_e32 v4, v4, v3
	v_cndmask_b32_e32 v3, v41, v5, vcc
	v_lshlrev_b32_e32 v3, 2, v3
	ds_bpermute_b32 v5, v3, v4
	v_cmp_lt_i32_e32 vcc, v6, v42
	v_and_b32_e32 v52, 63, v0
	s_waitcnt lgkmcnt(0)
	v_max_f32_e32 v5, v5, v5
	v_max_f32_e32 v4, v4, v5
	v_cndmask_b32_e32 v5, v41, v6, vcc
	v_lshlrev_b32_e32 v7, 2, v5
	ds_bpermute_b32 v5, v7, v4
	v_xor_b32_e32 v6, 4, v41
	v_cmp_lt_i32_e32 vcc, v6, v42
	s_waitcnt lgkmcnt(0)
	v_max_f32_e32 v5, v5, v5
	v_max_f32_e32 v4, v4, v5
	v_cndmask_b32_e32 v5, v41, v6, vcc
	v_lshlrev_b32_e32 v8, 2, v5
	ds_bpermute_b32 v6, v8, v4
	v_cmp_eq_u32_e32 vcc, 0, v52
	v_lshlrev_b32_e32 v5, 2, v40
	s_and_saveexec_b64 s[2:3], vcc
	s_cbranch_execz .LBB222_159
; %bb.158:
	s_waitcnt lgkmcnt(0)
	v_max_f32_e32 v6, v6, v6
	v_max_f32_e32 v4, v4, v4
	;; [unrolled: 1-line block ×3, first 2 shown]
	ds_write_b32 v5, v4 offset:384
.LBB222_159:
	s_or_b64 exec, exec, s[2:3]
	v_cmp_gt_u32_e64 s[2:3], 2, v52
	v_mov_b32_e32 v4, 0xff7fffff
	s_waitcnt lgkmcnt(0)
	v_lshlrev_b32_e32 v6, 2, v52
	s_barrier
	s_and_saveexec_b64 s[4:5], s[2:3]
	s_cbranch_execz .LBB222_161
; %bb.160:
	ds_read_b32 v4, v6 offset:384
.LBB222_161:
	s_or_b64 exec, exec, s[4:5]
	v_xor_b32_e32 v9, 1, v41
	v_cmp_lt_i32_e64 s[4:5], v9, v42
	v_cndmask_b32_e64 v9, v41, v9, s[4:5]
	v_lshlrev_b32_e32 v53, 2, v9
	s_waitcnt lgkmcnt(0)
	ds_bpermute_b32 v9, v53, v4
	v_max_f32_e32 v4, v4, v4
	s_sub_i32 s4, s33, s10
	s_lshl_b32 s4, s4, 4
	s_add_i32 s4, s4, s44
	s_waitcnt lgkmcnt(0)
	v_max_f32_e32 v9, v9, v9
	v_max_f32_e32 v4, v4, v9
	v_lshlrev_b32_e32 v9, 2, v41
	v_and_b32_e32 v9, 0xffffff00, v9
	ds_bpermute_b32 v4, v9, v4
	s_min_i32 s39, s4, s29
	s_sub_i32 s38, s39, s44
	v_cmp_gt_i32_e64 s[4:5], s38, v0
	v_mov_b32_e32 v10, 0
	s_and_saveexec_b64 s[14:15], s[4:5]
	s_cbranch_execz .LBB222_165
; %bb.162:
	v_mov_b32_e32 v10, 0x190
	v_lshl_add_u32 v11, v0, 2, v10
	s_mov_b64 s[16:17], 0
	v_mov_b32_e32 v10, 0
	v_mov_b32_e32 v12, v0
.LBB222_163:                            ; =>This Inner Loop Header: Depth=1
	ds_read_b32 v13, v11
	v_add_u32_e32 v12, 0x80, v12
	v_cmp_le_i32_e64 s[10:11], s38, v12
	s_or_b64 s[16:17], s[10:11], s[16:17]
	s_waitcnt lgkmcnt(0)
	v_sub_f32_e32 v13, v13, v4
	v_mul_f32_e32 v13, 0x3fb8aa3b, v13
	v_exp_f32_e32 v13, v13
	ds_write_b32 v11, v13
	v_add_f32_e32 v10, v10, v13
	v_add_u32_e32 v11, 0x200, v11
	s_andn2_b64 exec, exec, s[16:17]
	s_cbranch_execnz .LBB222_163
; %bb.164:
	s_or_b64 exec, exec, s[16:17]
.LBB222_165:
	s_or_b64 exec, exec, s[14:15]
	ds_bpermute_b32 v2, v2, v10
	s_waitcnt lgkmcnt(0)
	v_add_f32_e32 v2, v10, v2
	ds_bpermute_b32 v3, v3, v2
	s_waitcnt lgkmcnt(0)
	v_add_f32_e32 v2, v2, v3
	ds_bpermute_b32 v3, v7, v2
	v_xor_b32_e32 v7, 2, v41
	v_cmp_lt_i32_e64 s[10:11], v7, v42
	v_cndmask_b32_e64 v7, v41, v7, s[10:11]
	v_lshlrev_b32_e32 v54, 2, v7
	s_waitcnt lgkmcnt(0)
	v_add_f32_e32 v2, v2, v3
	ds_bpermute_b32 v3, v8, v2
	s_waitcnt lgkmcnt(0)
	v_add_f32_e32 v2, v2, v3
	ds_bpermute_b32 v3, v54, v2
	;; [unrolled: 3-line block ×3, first 2 shown]
	s_waitcnt lgkmcnt(0)
	v_add_f32_e32 v2, v2, v3
	s_and_saveexec_b64 s[10:11], vcc
	s_cbranch_execz .LBB222_167
; %bb.166:
	ds_write_b32 v5, v2 offset:392
.LBB222_167:
	s_or_b64 exec, exec, s[10:11]
	s_waitcnt lgkmcnt(0)
	s_barrier
	s_and_saveexec_b64 s[10:11], s[2:3]
	s_cbranch_execz .LBB222_169
; %bb.168:
	ds_read_b32 v2, v6 offset:392
.LBB222_169:
	s_or_b64 exec, exec, s[10:11]
	s_waitcnt lgkmcnt(0)
	ds_bpermute_b32 v3, v53, v2
	s_waitcnt lgkmcnt(0)
	v_add_f32_e32 v2, v2, v3
	ds_bpermute_b32 v5, v9, v2
	s_and_saveexec_b64 s[2:3], s[4:5]
	s_cbranch_execz .LBB222_182
; %bb.170:
	s_waitcnt lgkmcnt(0)
	v_add_f32_e32 v2, 0x358637bd, v5
	v_div_scale_f32 v3, s[4:5], v2, v2, 1.0
	v_rcp_f32_e32 v6, v3
	v_div_scale_f32 v7, vcc, 1.0, v2, 1.0
	s_movk_i32 s4, 0x7f
	v_fma_f32 v8, -v3, v6, 1.0
	v_fmac_f32_e32 v6, v8, v6
	v_mul_f32_e32 v8, v7, v6
	v_fma_f32 v9, -v3, v8, v7
	v_fmac_f32_e32 v8, v9, v6
	v_fma_f32 v3, -v3, v8, v7
	v_div_fmas_f32 v3, v3, v6, v8
	v_div_fixup_f32 v2, v3, v2, 1.0
	v_xad_u32 v3, v0, -1, s39
	v_subrev_u32_e32 v6, s44, v3
	v_cmp_lt_u32_e32 vcc, s4, v6
	s_mov_b64 s[10:11], -1
	v_mov_b32_e32 v3, v0
	s_and_saveexec_b64 s[4:5], vcc
	s_cbranch_execz .LBB222_179
; %bb.171:
	v_lshrrev_b32_e32 v6, 7, v6
	v_add_u32_e32 v8, -1, v6
	v_lshrrev_b32_e32 v7, 1, v8
	v_mov_b32_e32 v3, v2
	v_add_u32_e32 v7, 1, v7
	v_cmp_lt_u32_e32 vcc, 13, v8
	v_mov_b32_e32 v10, 0
	s_and_saveexec_b64 s[10:11], vcc
	s_cbranch_execz .LBB222_175
; %bb.172:
	v_mov_b32_e32 v9, 0x190
	v_and_b32_e32 v8, -8, v7
	v_lshl_add_u32 v9, v0, 2, v9
	s_mov_b32 s16, 0
	s_mov_b64 s[14:15], 0
.LBB222_173:                            ; =>This Inner Loop Header: Depth=1
	ds_read2st64_b32 v[10:11], v9 offset1:2
	ds_read2st64_b32 v[12:13], v9 offset0:4 offset1:6
	ds_read2st64_b32 v[14:15], v9 offset0:8 offset1:10
	;; [unrolled: 1-line block ×3, first 2 shown]
	v_add_u32_e32 v8, -8, v8
	s_waitcnt lgkmcnt(3)
	v_pk_mul_f32 v[10:11], v[2:3], v[10:11]
	s_waitcnt lgkmcnt(2)
	v_pk_mul_f32 v[12:13], v[2:3], v[12:13]
	ds_write2st64_b32 v9, v10, v11 offset1:2
	ds_write2st64_b32 v9, v12, v13 offset0:4 offset1:6
	ds_read2st64_b32 v[12:13], v9 offset0:16 offset1:18
	s_waitcnt lgkmcnt(4)
	v_pk_mul_f32 v[10:11], v[2:3], v[14:15]
	ds_write2st64_b32 v9, v10, v11 offset0:8 offset1:10
	s_waitcnt lgkmcnt(4)
	v_pk_mul_f32 v[10:11], v[2:3], v[16:17]
	ds_write2st64_b32 v9, v10, v11 offset0:12 offset1:14
	ds_read2st64_b32 v[10:11], v9 offset0:20 offset1:22
	s_waitcnt lgkmcnt(3)
	v_pk_mul_f32 v[12:13], v[2:3], v[12:13]
	ds_read2st64_b32 v[14:15], v9 offset0:24 offset1:26
	ds_write2st64_b32 v9, v12, v13 offset0:16 offset1:18
	ds_read2st64_b32 v[12:13], v9 offset0:28 offset1:30
	s_waitcnt lgkmcnt(3)
	v_pk_mul_f32 v[10:11], v[2:3], v[10:11]
	ds_write2st64_b32 v9, v10, v11 offset0:20 offset1:22
	s_waitcnt lgkmcnt(3)
	v_pk_mul_f32 v[10:11], v[2:3], v[14:15]
	ds_write2st64_b32 v9, v10, v11 offset0:24 offset1:26
	s_waitcnt lgkmcnt(2)
	v_pk_mul_f32 v[10:11], v[2:3], v[12:13]
	s_add_i32 s16, s16, 16
	v_cmp_eq_u32_e32 vcc, 0, v8
	ds_write2st64_b32 v9, v10, v11 offset0:28 offset1:30
	v_add_u32_e32 v9, 0x2000, v9
	s_or_b64 s[14:15], vcc, s[14:15]
	v_mov_b32_e32 v10, s16
	s_andn2_b64 exec, exec, s[14:15]
	s_cbranch_execnz .LBB222_173
; %bb.174:
	s_or_b64 exec, exec, s[14:15]
.LBB222_175:
	s_or_b64 exec, exec, s[10:11]
	v_and_b32_e32 v7, 7, v7
	v_cmp_ne_u32_e32 vcc, 0, v7
	s_and_saveexec_b64 s[10:11], vcc
	s_cbranch_execz .LBB222_178
; %bb.176:
	v_lshlrev_b32_e32 v8, 9, v10
	s_movk_i32 s14, 0x190
	v_add3_u32 v8, v8, v39, s14
	s_mov_b64 s[14:15], 0
.LBB222_177:                            ; =>This Inner Loop Header: Depth=1
	ds_read2st64_b32 v[10:11], v8 offset1:2
	v_add_u32_e32 v7, -1, v7
	v_cmp_eq_u32_e32 vcc, 0, v7
	s_or_b64 s[14:15], vcc, s[14:15]
	s_waitcnt lgkmcnt(0)
	v_pk_mul_f32 v[10:11], v[2:3], v[10:11]
	ds_write2st64_b32 v8, v10, v11 offset1:2
	v_add_u32_e32 v8, 0x400, v8
	s_andn2_b64 exec, exec, s[14:15]
	s_cbranch_execnz .LBB222_177
.LBB222_178:
	s_or_b64 exec, exec, s[10:11]
	v_add_u32_e32 v6, 1, v6
	v_and_b32_e32 v7, 0x3fffffe, v6
	v_cmp_ne_u32_e32 vcc, v6, v7
	v_lshl_add_u32 v3, v7, 7, v0
	s_orn2_b64 s[10:11], vcc, exec
.LBB222_179:
	s_or_b64 exec, exec, s[4:5]
	s_and_b64 exec, exec, s[10:11]
	s_cbranch_execz .LBB222_182
; %bb.180:
	v_mov_b32_e32 v6, 0x190
	v_lshl_add_u32 v6, v3, 2, v6
	s_mov_b64 s[4:5], 0
.LBB222_181:                            ; =>This Inner Loop Header: Depth=1
	ds_read_b32 v7, v6
	v_add_u32_e32 v3, 0x80, v3
	v_cmp_le_i32_e32 vcc, s38, v3
	s_or_b64 s[4:5], vcc, s[4:5]
	s_waitcnt lgkmcnt(0)
	v_mul_f32_e32 v7, v2, v7
	ds_write_b32 v6, v7
	v_add_u32_e32 v6, 0x200, v6
	s_andn2_b64 exec, exec, s[4:5]
	s_cbranch_execnz .LBB222_181
.LBB222_182:
	s_or_b64 exec, exec, s[2:3]
	s_mul_i32 s2, s25, s28
	v_cmp_eq_u32_e32 vcc, 0, v0
	s_mul_i32 s2, s2, s9
	s_waitcnt lgkmcnt(0)
	s_barrier
	s_and_saveexec_b64 s[4:5], vcc
	s_cbranch_execz .LBB222_184
; %bb.183:
	s_ashr_i32 s3, s2, 31
	s_lshl_b64 s[10:11], s[2:3], 2
	s_add_u32 s3, s22, s10
	s_mul_i32 s14, s25, s6
	s_addc_u32 s9, s23, s11
	s_ashr_i32 s15, s14, 31
	s_lshl_b64 s[14:15], s[14:15], 2
	s_add_u32 s3, s3, s14
	s_addc_u32 s6, s9, s15
	s_ashr_i32 s9, s8, 31
	s_lshl_b64 s[16:17], s[8:9], 2
	s_add_u32 s22, s3, s16
	s_addc_u32 s23, s6, s17
	s_add_u32 s3, s20, s10
	s_addc_u32 s6, s21, s11
	;; [unrolled: 2-line block ×3, first 2 shown]
	s_add_u32 s10, s3, s16
	v_mov_b32_e32 v2, 0
	s_addc_u32 s11, s6, s17
	global_store_dword v2, v4, s[22:23]
	global_store_dword v2, v5, s[10:11]
.LBB222_184:
	s_or_b64 exec, exec, s[4:5]
	s_mov_b32 s6, 0
	v_mov_b32_e32 v7, 0
	v_mov_b32_e32 v6, 0
	;; [unrolled: 1-line block ×6, first 2 shown]
	s_and_saveexec_b64 s[4:5], s[0:1]
	s_cbranch_execz .LBB222_344
; %bb.185:
	s_ashr_i32 s0, s12, 31
	s_add_u32 s1, s36, s12
	v_and_b32_e32 v3, 0xfc, v39
	v_and_b32_e32 v2, 12, v39
	s_load_dword s10, s[18:19], 0x0
	s_addc_u32 s0, s37, s0
	v_add_co_u32_e32 v14, vcc, s1, v3
	v_lshl_add_u32 v3, v40, 4, s44
	s_add_i32 s9, s7, -1
	v_mov_b32_e32 v4, s0
	v_add3_u32 v55, v3, v2, 3
	v_lshlrev_b32_e32 v2, 4, v26
	s_lshl_b64 s[0:1], s[34:35], 2
	v_lshl_or_b32 v2, v40, 6, v2
	s_add_u32 s0, s30, s0
	v_addc_co_u32_e32 v15, vcc, 0, v4, vcc
	v_add_u32_e32 v56, 0x190, v2
	v_lshlrev_b64 v[2:3], 2, v[28:29]
	s_addc_u32 s1, s31, s1
	v_mov_b32_e32 v4, s1
	v_add_co_u32_e32 v16, vcc, s0, v2
	s_mov_b32 s3, s13
	s_waitcnt lgkmcnt(0)
	s_mov_b32 s11, s10
	v_mov_b32_e32 v13, 0
	v_addc_co_u32_e32 v17, vcc, v4, v3, vcc
	s_mov_b64 s[12:13], 0
	s_movk_i32 s22, 0x80
	s_movk_i32 s23, 0x7f
	s_brev_b32 s7, 1
	s_mov_b32 s15, 0x7f800001
	s_mov_b32 s28, 0xffffff
	v_bfrev_b32_e32 v29, 60
	v_mov_b32_e32 v57, 7
	v_mov_b32_e32 v58, 24
	;; [unrolled: 1-line block ×8, first 2 shown]
	s_branch .LBB222_187
.LBB222_186:                            ;   in Loop: Header=BB222_187 Depth=1
	s_or_b64 exec, exec, s[0:1]
	s_waitcnt lgkmcnt(0)
	v_mul_f32_e32 v12, v3, v19
	v_fmac_f32_e32 v12, v2, v18
	v_fmac_f32_e32 v12, v4, v20
	v_fmac_f32_e32 v12, v5, v21
	v_add_f32_e32 v10, v10, v12
	v_mul_f32_e32 v12, v3, v25
	v_fmac_f32_e32 v12, v2, v24
	v_fmac_f32_e32 v12, v4, v30
	v_fmac_f32_e32 v12, v5, v31
	v_add_f32_e32 v11, v11, v12
	v_mul_f32_e32 v12, v3, v33
	v_fmac_f32_e32 v12, v2, v32
	v_fmac_f32_e32 v12, v4, v34
	v_fmac_f32_e32 v12, v5, v35
	v_add_f32_e32 v8, v8, v12
	v_mul_f32_e32 v12, v3, v37
	v_fmac_f32_e32 v12, v2, v36
	v_fmac_f32_e32 v12, v4, v38
	v_fmac_f32_e32 v12, v5, v39
	v_add_f32_e32 v9, v9, v12
	v_mul_f32_e32 v12, v3, v41
	v_mul_f32_e32 v3, v3, v23
	v_fmac_f32_e32 v12, v2, v40
	v_fmac_f32_e32 v3, v2, v22
	v_add_u32_e32 v28, 2, v28
	v_fmac_f32_e32 v12, v4, v42
	v_fmac_f32_e32 v3, v4, v44
	v_cmp_le_i32_e32 vcc, s33, v28
	v_fmac_f32_e32 v12, v5, v43
	v_fmac_f32_e32 v3, v5, v45
	s_or_b64 s[12:13], vcc, s[12:13]
	v_add_co_u32_e32 v16, vcc, 8, v16
	v_add_f32_e32 v6, v6, v12
	v_add_f32_e32 v7, v7, v3
	v_add_u32_e32 v55, 32, v55
	v_add_u32_e32 v56, 0x80, v56
	v_addc_co_u32_e32 v17, vcc, 0, v17, vcc
	s_andn2_b64 exec, exec, s[12:13]
	s_cbranch_execz .LBB222_343
.LBB222_187:                            ; =>This Inner Loop Header: Depth=1
	global_load_dword v2, v[16:17], off
	v_pk_mov_b32 v[24:25], 0, 0
	v_pk_mov_b32 v[20:21], v[24:25], v[24:25] op_sel:[0,1]
	s_waitcnt vmcnt(0)
	v_mad_i64_i32 v[22:23], s[0:1], v2, s3, v[14:15]
	global_load_dword v18, v[22:23], off
	ds_read_b128 v[2:5], v56
	s_waitcnt vmcnt(0)
	v_cmp_ne_u16_sdwa s[16:17], v18, v13 src0_sel:BYTE_0 src1_sel:DWORD
	s_and_saveexec_b64 s[0:1], s[16:17]
	s_cbranch_execz .LBB222_193
; %bb.188:                              ;   in Loop: Header=BB222_187 Depth=1
	v_bfrev_b32_e32 v20, 1
	v_cmp_ne_u16_sdwa s[18:19], v18, s22 src0_sel:BYTE_0 src1_sel:DWORD
	v_mov_b32_e32 v21, 0
	s_and_saveexec_b64 s[16:17], s[18:19]
	s_cbranch_execz .LBB222_192
; %bb.189:                              ;   in Loop: Header=BB222_187 Depth=1
	v_and_b32_e32 v12, 0x7f, v18
	v_mov_b32_e32 v20, 0x7f800001
	v_cmp_ne_u32_e32 vcc, s23, v12
	v_mov_b32_e32 v21, 0
	s_and_saveexec_b64 s[18:19], vcc
	s_cbranch_execz .LBB222_191
; %bb.190:                              ;   in Loop: Header=BB222_187 Depth=1
	v_and_b32_e32 v19, 7, v18
	v_ffbh_u32_e32 v20, v19
	v_min_u32_e32 v31, 32, v20
	v_subrev_u32_e32 v20, 28, v31
	v_lshlrev_b64 v[20:21], v20, v[18:19]
	v_lshrrev_b32_e32 v30, 3, v12
	v_sub_u32_e32 v21, 29, v31
	v_and_b32_e32 v20, 7, v20
	v_cmp_gt_u32_e32 vcc, 8, v12
	v_cndmask_b32_e32 v12, v30, v21, vcc
	v_cndmask_b32_e32 v19, v19, v20, vcc
	v_lshlrev_b32_e32 v19, 20, v19
	v_and_b32_sdwa v20, sext(v18), s7 dst_sel:DWORD dst_unused:UNUSED_PAD src0_sel:BYTE_0 src1_sel:DWORD
	v_lshl_add_u32 v12, v12, 23, v29
	v_or3_b32 v12, v20, v12, v19
	v_pk_mov_b32 v[20:21], v[12:13], v[12:13] op_sel:[0,1]
.LBB222_191:                            ;   in Loop: Header=BB222_187 Depth=1
	s_or_b64 exec, exec, s[18:19]
.LBB222_192:                            ;   in Loop: Header=BB222_187 Depth=1
	s_or_b64 exec, exec, s[16:17]
.LBB222_193:                            ;   in Loop: Header=BB222_187 Depth=1
	s_or_b64 exec, exec, s[0:1]
	v_cmp_ne_u16_sdwa s[16:17], v18, v13 src0_sel:BYTE_1 src1_sel:DWORD
	s_and_saveexec_b64 s[0:1], s[16:17]
	s_cbranch_execz .LBB222_199
; %bb.194:                              ;   in Loop: Header=BB222_187 Depth=1
	v_cmp_ne_u16_sdwa s[18:19], v18, s22 src0_sel:BYTE_1 src1_sel:DWORD
	v_pk_mov_b32 v[24:25], s[6:7], s[6:7] op_sel:[0,1]
	s_and_saveexec_b64 s[16:17], s[18:19]
	s_cbranch_execz .LBB222_198
; %bb.195:                              ;   in Loop: Header=BB222_187 Depth=1
	v_and_b32_sdwa v19, v18, s23 dst_sel:DWORD dst_unused:UNUSED_PAD src0_sel:BYTE_1 src1_sel:DWORD
	s_mov_b32 s14, s6
	v_cmp_ne_u32_e32 vcc, s23, v19
	v_pk_mov_b32 v[24:25], s[14:15], s[14:15] op_sel:[0,1]
	s_and_saveexec_b64 s[18:19], vcc
	s_cbranch_execz .LBB222_197
; %bb.196:                              ;   in Loop: Header=BB222_187 Depth=1
	v_and_b32_sdwa v12, v18, v57 dst_sel:DWORD dst_unused:UNUSED_PAD src0_sel:BYTE_1 src1_sel:DWORD
	v_ffbh_u32_e32 v24, v12
	v_min_u32_e32 v31, 32, v24
	v_subrev_u32_e32 v24, 28, v31
	v_lshlrev_b64 v[24:25], v24, v[12:13]
	v_lshrrev_b32_e32 v30, 3, v19
	v_sub_u32_e32 v25, 29, v31
	v_cmp_gt_u32_e32 vcc, 8, v19
	v_and_b32_e32 v24, 7, v24
	v_cndmask_b32_e32 v19, v30, v25, vcc
	v_cndmask_b32_e32 v12, v12, v24, vcc
	v_lshlrev_b32_e32 v24, 16, v18
	v_lshl_add_u32 v19, v19, 23, v29
	v_and_or_b32 v19, v24, s7, v19
	v_lshlrev_b32_e32 v12, 20, v12
	v_or_b32_e32 v25, v19, v12
	v_mov_b32_e32 v24, v13
.LBB222_197:                            ;   in Loop: Header=BB222_187 Depth=1
	s_or_b64 exec, exec, s[18:19]
.LBB222_198:                            ;   in Loop: Header=BB222_187 Depth=1
	s_or_b64 exec, exec, s[16:17]
.LBB222_199:                            ;   in Loop: Header=BB222_187 Depth=1
	s_or_b64 exec, exec, s[0:1]
	v_lshrrev_b32_e32 v12, 16, v18
	v_pk_mov_b32 v[32:33], 0, 0
	v_cmp_ne_u16_sdwa s[16:17], v12, v13 src0_sel:BYTE_0 src1_sel:DWORD
	v_pk_mov_b32 v[30:31], v[32:33], v[32:33] op_sel:[0,1]
	s_and_saveexec_b64 s[0:1], s[16:17]
	s_cbranch_execz .LBB222_205
; %bb.200:                              ;   in Loop: Header=BB222_187 Depth=1
	v_bfrev_b32_e32 v30, 1
	v_cmp_ne_u16_sdwa s[18:19], v12, s22 src0_sel:BYTE_0 src1_sel:DWORD
	v_mov_b32_e32 v31, 0
	s_and_saveexec_b64 s[16:17], s[18:19]
	s_cbranch_execz .LBB222_204
; %bb.201:                              ;   in Loop: Header=BB222_187 Depth=1
	v_bfe_u32 v19, v18, 16, 7
	v_mov_b32_e32 v30, 0x7f800001
	v_cmp_ne_u32_e32 vcc, s23, v19
	v_mov_b32_e32 v31, 0
	s_and_saveexec_b64 s[18:19], vcc
	s_cbranch_execz .LBB222_203
; %bb.202:                              ;   in Loop: Header=BB222_187 Depth=1
	v_and_b32_e32 v34, 7, v12
	v_ffbh_u32_e32 v30, v34
	v_min_u32_e32 v36, 32, v30
	v_subrev_u32_e32 v30, 28, v36
	v_lshlrev_b64 v[30:31], v30, v[12:13]
	v_lshrrev_b32_e32 v35, 3, v19
	v_sub_u32_e32 v31, 29, v36
	v_and_b32_e32 v30, 7, v30
	v_cmp_gt_u32_e32 vcc, 8, v19
	v_cndmask_b32_e32 v19, v35, v31, vcc
	v_cndmask_b32_e32 v30, v34, v30, vcc
	v_lshlrev_b32_e32 v30, 20, v30
	v_and_b32_sdwa v12, sext(v12), s7 dst_sel:DWORD dst_unused:UNUSED_PAD src0_sel:BYTE_0 src1_sel:DWORD
	v_lshl_add_u32 v19, v19, 23, v29
	v_or3_b32 v12, v12, v19, v30
	v_pk_mov_b32 v[30:31], v[12:13], v[12:13] op_sel:[0,1]
.LBB222_203:                            ;   in Loop: Header=BB222_187 Depth=1
	s_or_b64 exec, exec, s[18:19]
.LBB222_204:                            ;   in Loop: Header=BB222_187 Depth=1
	s_or_b64 exec, exec, s[16:17]
.LBB222_205:                            ;   in Loop: Header=BB222_187 Depth=1
	s_or_b64 exec, exec, s[0:1]
	v_cmp_lt_u32_e32 vcc, s28, v18
	s_and_saveexec_b64 s[0:1], vcc
	s_cbranch_execz .LBB222_211
; %bb.206:                              ;   in Loop: Header=BB222_187 Depth=1
	v_cmp_ne_u32_sdwa s[18:19], v18, s22 src0_sel:BYTE_3 src1_sel:DWORD
	v_pk_mov_b32 v[32:33], s[6:7], s[6:7] op_sel:[0,1]
	s_and_saveexec_b64 s[16:17], s[18:19]
	s_cbranch_execz .LBB222_210
; %bb.207:                              ;   in Loop: Header=BB222_187 Depth=1
	v_bfe_u32 v19, v18, 24, 7
	s_mov_b32 s14, s6
	v_cmp_ne_u32_e32 vcc, s23, v19
	v_pk_mov_b32 v[32:33], s[14:15], s[14:15] op_sel:[0,1]
	s_and_saveexec_b64 s[18:19], vcc
	s_cbranch_execz .LBB222_209
; %bb.208:                              ;   in Loop: Header=BB222_187 Depth=1
	v_and_b32_sdwa v12, v18, v57 dst_sel:DWORD dst_unused:UNUSED_PAD src0_sel:BYTE_3 src1_sel:DWORD
	v_ffbh_u32_e32 v32, v12
	v_min_u32_e32 v35, 32, v32
	v_subrev_u32_e32 v32, 28, v35
	v_lshlrev_b64 v[32:33], v32, v[12:13]
	v_lshrrev_b32_e32 v34, 3, v19
	v_sub_u32_e32 v33, 29, v35
	v_cmp_gt_u32_e32 vcc, 8, v19
	v_and_b32_e32 v32, 7, v32
	v_cndmask_b32_e32 v19, v34, v33, vcc
	v_cndmask_b32_e32 v12, v12, v32, vcc
	v_lshlrev_b32_sdwa v18, v58, v18 dst_sel:DWORD dst_unused:UNUSED_PAD src0_sel:DWORD src1_sel:BYTE_3
	v_lshl_add_u32 v19, v19, 23, v29
	v_and_or_b32 v18, v18, s7, v19
	v_lshlrev_b32_e32 v12, 20, v12
	v_or_b32_e32 v33, v18, v12
	v_mov_b32_e32 v32, v13
.LBB222_209:                            ;   in Loop: Header=BB222_187 Depth=1
	s_or_b64 exec, exec, s[18:19]
.LBB222_210:                            ;   in Loop: Header=BB222_187 Depth=1
	s_or_b64 exec, exec, s[16:17]
.LBB222_211:                            ;   in Loop: Header=BB222_187 Depth=1
	s_or_b64 exec, exec, s[0:1]
	v_or_b32_e32 v19, v25, v21
	v_or_b32_e32 v18, v24, v20
	;; [unrolled: 1-line block ×4, first 2 shown]
	v_add_u32_e32 v59, -3, v55
	v_cmp_eq_u32_e32 vcc, s9, v28
	v_pk_mul_f32 v[18:19], s[10:11], v[18:19]
	v_pk_mul_f32 v[20:21], s[10:11], v[20:21]
	v_add_u32_e32 v61, -2, v55
	v_add_u32_e32 v60, -1, v55
	s_and_saveexec_b64 s[16:17], vcc
; %bb.212:                              ;   in Loop: Header=BB222_187 Depth=1
	v_cmp_gt_i32_e64 s[0:1], s29, v59
	v_cndmask_b32_e64 v18, 0, v18, s[0:1]
	v_cmp_gt_i32_e64 s[0:1], s29, v61
	v_cndmask_b32_e64 v19, 0, v19, s[0:1]
	;; [unrolled: 2-line block ×4, first 2 shown]
; %bb.213:                              ;   in Loop: Header=BB222_187 Depth=1
	s_or_b64 exec, exec, s[16:17]
	global_load_dword v24, v[22:23], off offset:256
	v_pk_mov_b32 v[32:33], 0, 0
	v_pk_mov_b32 v[30:31], v[32:33], v[32:33] op_sel:[0,1]
	s_waitcnt vmcnt(0)
	v_cmp_ne_u16_sdwa s[0:1], v24, v13 src0_sel:BYTE_0 src1_sel:DWORD
	s_and_saveexec_b64 s[16:17], s[0:1]
	s_cbranch_execz .LBB222_219
; %bb.214:                              ;   in Loop: Header=BB222_187 Depth=1
	v_bfrev_b32_e32 v30, 1
	v_cmp_ne_u16_sdwa s[0:1], v24, s22 src0_sel:BYTE_0 src1_sel:DWORD
	v_mov_b32_e32 v31, 0
	s_and_saveexec_b64 s[18:19], s[0:1]
	s_cbranch_execz .LBB222_218
; %bb.215:                              ;   in Loop: Header=BB222_187 Depth=1
	v_and_b32_e32 v12, 0x7f, v24
	v_mov_b32_e32 v30, 0x7f800001
	v_cmp_ne_u32_e64 s[0:1], s23, v12
	v_mov_b32_e32 v31, 0
	s_and_saveexec_b64 s[20:21], s[0:1]
	s_cbranch_execz .LBB222_217
; %bb.216:                              ;   in Loop: Header=BB222_187 Depth=1
	v_and_b32_e32 v25, 7, v24
	v_ffbh_u32_e32 v30, v25
	v_min_u32_e32 v35, 32, v30
	v_subrev_u32_e32 v30, 28, v35
	v_lshlrev_b64 v[30:31], v30, v[24:25]
	v_lshrrev_b32_e32 v34, 3, v12
	v_sub_u32_e32 v31, 29, v35
	v_and_b32_e32 v30, 7, v30
	v_cmp_gt_u32_e64 s[0:1], 8, v12
	v_cndmask_b32_e64 v12, v34, v31, s[0:1]
	v_cndmask_b32_e64 v25, v25, v30, s[0:1]
	v_lshlrev_b32_e32 v25, 20, v25
	v_and_b32_sdwa v30, sext(v24), s7 dst_sel:DWORD dst_unused:UNUSED_PAD src0_sel:BYTE_0 src1_sel:DWORD
	v_lshl_add_u32 v12, v12, 23, v29
	v_or3_b32 v12, v30, v12, v25
	v_pk_mov_b32 v[30:31], v[12:13], v[12:13] op_sel:[0,1]
.LBB222_217:                            ;   in Loop: Header=BB222_187 Depth=1
	s_or_b64 exec, exec, s[20:21]
.LBB222_218:                            ;   in Loop: Header=BB222_187 Depth=1
	s_or_b64 exec, exec, s[18:19]
.LBB222_219:                            ;   in Loop: Header=BB222_187 Depth=1
	s_or_b64 exec, exec, s[16:17]
	v_cmp_ne_u16_sdwa s[0:1], v24, v13 src0_sel:BYTE_1 src1_sel:DWORD
	s_and_saveexec_b64 s[16:17], s[0:1]
	s_cbranch_execz .LBB222_225
; %bb.220:                              ;   in Loop: Header=BB222_187 Depth=1
	v_cmp_ne_u16_sdwa s[0:1], v24, s22 src0_sel:BYTE_1 src1_sel:DWORD
	v_pk_mov_b32 v[32:33], s[6:7], s[6:7] op_sel:[0,1]
	s_and_saveexec_b64 s[18:19], s[0:1]
	s_cbranch_execz .LBB222_224
; %bb.221:                              ;   in Loop: Header=BB222_187 Depth=1
	v_and_b32_sdwa v25, v24, s23 dst_sel:DWORD dst_unused:UNUSED_PAD src0_sel:BYTE_1 src1_sel:DWORD
	s_mov_b32 s14, s6
	v_cmp_ne_u32_e64 s[0:1], s23, v25
	v_pk_mov_b32 v[32:33], s[14:15], s[14:15] op_sel:[0,1]
	s_and_saveexec_b64 s[20:21], s[0:1]
	s_cbranch_execz .LBB222_223
; %bb.222:                              ;   in Loop: Header=BB222_187 Depth=1
	v_and_b32_sdwa v12, v24, v57 dst_sel:DWORD dst_unused:UNUSED_PAD src0_sel:BYTE_1 src1_sel:DWORD
	v_ffbh_u32_e32 v32, v12
	v_min_u32_e32 v35, 32, v32
	v_subrev_u32_e32 v32, 28, v35
	v_lshlrev_b64 v[32:33], v32, v[12:13]
	v_lshrrev_b32_e32 v34, 3, v25
	v_sub_u32_e32 v33, 29, v35
	v_cmp_gt_u32_e64 s[0:1], 8, v25
	v_and_b32_e32 v32, 7, v32
	v_cndmask_b32_e64 v25, v34, v33, s[0:1]
	v_cndmask_b32_e64 v12, v12, v32, s[0:1]
	v_lshlrev_b32_e32 v32, 16, v24
	v_lshl_add_u32 v25, v25, 23, v29
	v_and_or_b32 v25, v32, s7, v25
	v_lshlrev_b32_e32 v12, 20, v12
	v_or_b32_e32 v33, v25, v12
	v_mov_b32_e32 v32, v13
.LBB222_223:                            ;   in Loop: Header=BB222_187 Depth=1
	s_or_b64 exec, exec, s[20:21]
.LBB222_224:                            ;   in Loop: Header=BB222_187 Depth=1
	s_or_b64 exec, exec, s[18:19]
.LBB222_225:                            ;   in Loop: Header=BB222_187 Depth=1
	s_or_b64 exec, exec, s[16:17]
	v_lshrrev_b32_e32 v12, 16, v24
	v_pk_mov_b32 v[36:37], 0, 0
	v_cmp_ne_u16_sdwa s[0:1], v12, v13 src0_sel:BYTE_0 src1_sel:DWORD
	v_pk_mov_b32 v[34:35], v[36:37], v[36:37] op_sel:[0,1]
	s_and_saveexec_b64 s[16:17], s[0:1]
	s_cbranch_execz .LBB222_231
; %bb.226:                              ;   in Loop: Header=BB222_187 Depth=1
	v_bfrev_b32_e32 v34, 1
	v_cmp_ne_u16_sdwa s[0:1], v12, s22 src0_sel:BYTE_0 src1_sel:DWORD
	v_mov_b32_e32 v35, 0
	s_and_saveexec_b64 s[18:19], s[0:1]
	s_cbranch_execz .LBB222_230
; %bb.227:                              ;   in Loop: Header=BB222_187 Depth=1
	v_bfe_u32 v25, v24, 16, 7
	v_mov_b32_e32 v34, 0x7f800001
	v_cmp_ne_u32_e64 s[0:1], s23, v25
	v_mov_b32_e32 v35, 0
	s_and_saveexec_b64 s[20:21], s[0:1]
	s_cbranch_execz .LBB222_229
; %bb.228:                              ;   in Loop: Header=BB222_187 Depth=1
	v_and_b32_e32 v38, 7, v12
	v_ffbh_u32_e32 v34, v38
	v_min_u32_e32 v40, 32, v34
	v_subrev_u32_e32 v34, 28, v40
	v_lshlrev_b64 v[34:35], v34, v[12:13]
	v_lshrrev_b32_e32 v39, 3, v25
	v_sub_u32_e32 v35, 29, v40
	v_and_b32_e32 v34, 7, v34
	v_cmp_gt_u32_e64 s[0:1], 8, v25
	v_cndmask_b32_e64 v25, v39, v35, s[0:1]
	v_cndmask_b32_e64 v34, v38, v34, s[0:1]
	v_lshlrev_b32_e32 v34, 20, v34
	v_and_b32_sdwa v12, sext(v12), s7 dst_sel:DWORD dst_unused:UNUSED_PAD src0_sel:BYTE_0 src1_sel:DWORD
	v_lshl_add_u32 v25, v25, 23, v29
	v_or3_b32 v12, v12, v25, v34
	v_pk_mov_b32 v[34:35], v[12:13], v[12:13] op_sel:[0,1]
.LBB222_229:                            ;   in Loop: Header=BB222_187 Depth=1
	s_or_b64 exec, exec, s[20:21]
.LBB222_230:                            ;   in Loop: Header=BB222_187 Depth=1
	s_or_b64 exec, exec, s[18:19]
.LBB222_231:                            ;   in Loop: Header=BB222_187 Depth=1
	s_or_b64 exec, exec, s[16:17]
	v_cmp_lt_u32_e64 s[0:1], s28, v24
	s_and_saveexec_b64 s[16:17], s[0:1]
	s_cbranch_execz .LBB222_237
; %bb.232:                              ;   in Loop: Header=BB222_187 Depth=1
	v_cmp_ne_u32_sdwa s[0:1], v24, s22 src0_sel:BYTE_3 src1_sel:DWORD
	v_pk_mov_b32 v[36:37], s[6:7], s[6:7] op_sel:[0,1]
	s_and_saveexec_b64 s[18:19], s[0:1]
	s_cbranch_execz .LBB222_236
; %bb.233:                              ;   in Loop: Header=BB222_187 Depth=1
	v_bfe_u32 v25, v24, 24, 7
	s_mov_b32 s14, s6
	v_cmp_ne_u32_e64 s[0:1], s23, v25
	v_pk_mov_b32 v[36:37], s[14:15], s[14:15] op_sel:[0,1]
	s_and_saveexec_b64 s[20:21], s[0:1]
	s_cbranch_execz .LBB222_235
; %bb.234:                              ;   in Loop: Header=BB222_187 Depth=1
	v_and_b32_sdwa v12, v24, v57 dst_sel:DWORD dst_unused:UNUSED_PAD src0_sel:BYTE_3 src1_sel:DWORD
	v_ffbh_u32_e32 v36, v12
	v_min_u32_e32 v39, 32, v36
	v_subrev_u32_e32 v36, 28, v39
	v_lshlrev_b64 v[36:37], v36, v[12:13]
	v_lshrrev_b32_e32 v38, 3, v25
	v_sub_u32_e32 v37, 29, v39
	v_cmp_gt_u32_e64 s[0:1], 8, v25
	v_and_b32_e32 v36, 7, v36
	v_cndmask_b32_e64 v25, v38, v37, s[0:1]
	v_cndmask_b32_e64 v12, v12, v36, s[0:1]
	v_lshlrev_b32_sdwa v24, v58, v24 dst_sel:DWORD dst_unused:UNUSED_PAD src0_sel:DWORD src1_sel:BYTE_3
	v_lshl_add_u32 v25, v25, 23, v29
	v_and_or_b32 v24, v24, s7, v25
	v_lshlrev_b32_e32 v12, 20, v12
	v_or_b32_e32 v37, v24, v12
	v_mov_b32_e32 v36, v13
.LBB222_235:                            ;   in Loop: Header=BB222_187 Depth=1
	s_or_b64 exec, exec, s[20:21]
.LBB222_236:                            ;   in Loop: Header=BB222_187 Depth=1
	s_or_b64 exec, exec, s[18:19]
.LBB222_237:                            ;   in Loop: Header=BB222_187 Depth=1
	s_or_b64 exec, exec, s[16:17]
	v_or_b32_e32 v25, v33, v31
	v_or_b32_e32 v24, v32, v30
	;; [unrolled: 1-line block ×4, first 2 shown]
	v_pk_mul_f32 v[24:25], s[10:11], v[24:25]
	v_pk_mul_f32 v[30:31], s[10:11], v[30:31]
	s_and_saveexec_b64 s[16:17], vcc
; %bb.238:                              ;   in Loop: Header=BB222_187 Depth=1
	v_cmp_gt_i32_e64 s[0:1], s29, v59
	v_cndmask_b32_e64 v24, 0, v24, s[0:1]
	v_cmp_gt_i32_e64 s[0:1], s29, v61
	v_cndmask_b32_e64 v25, 0, v25, s[0:1]
	;; [unrolled: 2-line block ×4, first 2 shown]
; %bb.239:                              ;   in Loop: Header=BB222_187 Depth=1
	s_or_b64 exec, exec, s[16:17]
	global_load_dword v32, v[22:23], off offset:512
	v_pk_mov_b32 v[36:37], 0, 0
	v_pk_mov_b32 v[34:35], v[36:37], v[36:37] op_sel:[0,1]
	s_waitcnt vmcnt(0)
	v_cmp_ne_u16_sdwa s[0:1], v32, v13 src0_sel:BYTE_0 src1_sel:DWORD
	s_and_saveexec_b64 s[16:17], s[0:1]
	s_cbranch_execz .LBB222_245
; %bb.240:                              ;   in Loop: Header=BB222_187 Depth=1
	v_bfrev_b32_e32 v34, 1
	v_cmp_ne_u16_sdwa s[0:1], v32, s22 src0_sel:BYTE_0 src1_sel:DWORD
	v_mov_b32_e32 v35, 0
	s_and_saveexec_b64 s[18:19], s[0:1]
	s_cbranch_execz .LBB222_244
; %bb.241:                              ;   in Loop: Header=BB222_187 Depth=1
	v_and_b32_e32 v12, 0x7f, v32
	v_mov_b32_e32 v34, 0x7f800001
	v_cmp_ne_u32_e64 s[0:1], s23, v12
	v_mov_b32_e32 v35, 0
	s_and_saveexec_b64 s[20:21], s[0:1]
	s_cbranch_execz .LBB222_243
; %bb.242:                              ;   in Loop: Header=BB222_187 Depth=1
	v_and_b32_e32 v33, 7, v32
	v_ffbh_u32_e32 v34, v33
	v_min_u32_e32 v39, 32, v34
	v_subrev_u32_e32 v34, 28, v39
	v_lshlrev_b64 v[34:35], v34, v[32:33]
	v_lshrrev_b32_e32 v38, 3, v12
	v_sub_u32_e32 v35, 29, v39
	v_and_b32_e32 v34, 7, v34
	v_cmp_gt_u32_e64 s[0:1], 8, v12
	v_cndmask_b32_e64 v12, v38, v35, s[0:1]
	v_cndmask_b32_e64 v33, v33, v34, s[0:1]
	v_lshlrev_b32_e32 v33, 20, v33
	v_and_b32_sdwa v34, sext(v32), s7 dst_sel:DWORD dst_unused:UNUSED_PAD src0_sel:BYTE_0 src1_sel:DWORD
	v_lshl_add_u32 v12, v12, 23, v29
	v_or3_b32 v12, v34, v12, v33
	v_pk_mov_b32 v[34:35], v[12:13], v[12:13] op_sel:[0,1]
.LBB222_243:                            ;   in Loop: Header=BB222_187 Depth=1
	s_or_b64 exec, exec, s[20:21]
.LBB222_244:                            ;   in Loop: Header=BB222_187 Depth=1
	s_or_b64 exec, exec, s[18:19]
.LBB222_245:                            ;   in Loop: Header=BB222_187 Depth=1
	s_or_b64 exec, exec, s[16:17]
	v_cmp_ne_u16_sdwa s[0:1], v32, v13 src0_sel:BYTE_1 src1_sel:DWORD
	s_and_saveexec_b64 s[16:17], s[0:1]
	s_cbranch_execz .LBB222_251
; %bb.246:                              ;   in Loop: Header=BB222_187 Depth=1
	v_cmp_ne_u16_sdwa s[0:1], v32, s22 src0_sel:BYTE_1 src1_sel:DWORD
	v_pk_mov_b32 v[36:37], s[6:7], s[6:7] op_sel:[0,1]
	s_and_saveexec_b64 s[18:19], s[0:1]
	s_cbranch_execz .LBB222_250
; %bb.247:                              ;   in Loop: Header=BB222_187 Depth=1
	v_and_b32_sdwa v33, v32, s23 dst_sel:DWORD dst_unused:UNUSED_PAD src0_sel:BYTE_1 src1_sel:DWORD
	s_mov_b32 s14, s6
	v_cmp_ne_u32_e64 s[0:1], s23, v33
	v_pk_mov_b32 v[36:37], s[14:15], s[14:15] op_sel:[0,1]
	s_and_saveexec_b64 s[20:21], s[0:1]
	s_cbranch_execz .LBB222_249
; %bb.248:                              ;   in Loop: Header=BB222_187 Depth=1
	v_and_b32_sdwa v12, v32, v57 dst_sel:DWORD dst_unused:UNUSED_PAD src0_sel:BYTE_1 src1_sel:DWORD
	v_ffbh_u32_e32 v36, v12
	v_min_u32_e32 v39, 32, v36
	v_subrev_u32_e32 v36, 28, v39
	v_lshlrev_b64 v[36:37], v36, v[12:13]
	v_lshrrev_b32_e32 v38, 3, v33
	v_sub_u32_e32 v37, 29, v39
	v_cmp_gt_u32_e64 s[0:1], 8, v33
	v_and_b32_e32 v36, 7, v36
	v_cndmask_b32_e64 v33, v38, v37, s[0:1]
	v_cndmask_b32_e64 v12, v12, v36, s[0:1]
	v_lshlrev_b32_e32 v36, 16, v32
	v_lshl_add_u32 v33, v33, 23, v29
	v_and_or_b32 v33, v36, s7, v33
	v_lshlrev_b32_e32 v12, 20, v12
	v_or_b32_e32 v37, v33, v12
	v_mov_b32_e32 v36, v13
.LBB222_249:                            ;   in Loop: Header=BB222_187 Depth=1
	s_or_b64 exec, exec, s[20:21]
.LBB222_250:                            ;   in Loop: Header=BB222_187 Depth=1
	s_or_b64 exec, exec, s[18:19]
.LBB222_251:                            ;   in Loop: Header=BB222_187 Depth=1
	s_or_b64 exec, exec, s[16:17]
	v_lshrrev_b32_e32 v12, 16, v32
	v_pk_mov_b32 v[40:41], 0, 0
	v_cmp_ne_u16_sdwa s[0:1], v12, v13 src0_sel:BYTE_0 src1_sel:DWORD
	v_pk_mov_b32 v[38:39], v[40:41], v[40:41] op_sel:[0,1]
	s_and_saveexec_b64 s[16:17], s[0:1]
	s_cbranch_execz .LBB222_257
; %bb.252:                              ;   in Loop: Header=BB222_187 Depth=1
	v_bfrev_b32_e32 v38, 1
	v_cmp_ne_u16_sdwa s[0:1], v12, s22 src0_sel:BYTE_0 src1_sel:DWORD
	v_mov_b32_e32 v39, 0
	s_and_saveexec_b64 s[18:19], s[0:1]
	s_cbranch_execz .LBB222_256
; %bb.253:                              ;   in Loop: Header=BB222_187 Depth=1
	v_bfe_u32 v33, v32, 16, 7
	v_mov_b32_e32 v38, 0x7f800001
	v_cmp_ne_u32_e64 s[0:1], s23, v33
	v_mov_b32_e32 v39, 0
	s_and_saveexec_b64 s[20:21], s[0:1]
	s_cbranch_execz .LBB222_255
; %bb.254:                              ;   in Loop: Header=BB222_187 Depth=1
	v_and_b32_e32 v42, 7, v12
	v_ffbh_u32_e32 v38, v42
	v_min_u32_e32 v44, 32, v38
	v_subrev_u32_e32 v38, 28, v44
	v_lshlrev_b64 v[38:39], v38, v[12:13]
	v_lshrrev_b32_e32 v43, 3, v33
	v_sub_u32_e32 v39, 29, v44
	v_and_b32_e32 v38, 7, v38
	v_cmp_gt_u32_e64 s[0:1], 8, v33
	v_cndmask_b32_e64 v33, v43, v39, s[0:1]
	v_cndmask_b32_e64 v38, v42, v38, s[0:1]
	v_lshlrev_b32_e32 v38, 20, v38
	v_and_b32_sdwa v12, sext(v12), s7 dst_sel:DWORD dst_unused:UNUSED_PAD src0_sel:BYTE_0 src1_sel:DWORD
	v_lshl_add_u32 v33, v33, 23, v29
	v_or3_b32 v12, v12, v33, v38
	v_pk_mov_b32 v[38:39], v[12:13], v[12:13] op_sel:[0,1]
.LBB222_255:                            ;   in Loop: Header=BB222_187 Depth=1
	s_or_b64 exec, exec, s[20:21]
.LBB222_256:                            ;   in Loop: Header=BB222_187 Depth=1
	s_or_b64 exec, exec, s[18:19]
.LBB222_257:                            ;   in Loop: Header=BB222_187 Depth=1
	s_or_b64 exec, exec, s[16:17]
	v_cmp_lt_u32_e64 s[0:1], s28, v32
	s_and_saveexec_b64 s[16:17], s[0:1]
	s_cbranch_execz .LBB222_263
; %bb.258:                              ;   in Loop: Header=BB222_187 Depth=1
	v_cmp_ne_u32_sdwa s[0:1], v32, s22 src0_sel:BYTE_3 src1_sel:DWORD
	v_pk_mov_b32 v[40:41], s[6:7], s[6:7] op_sel:[0,1]
	s_and_saveexec_b64 s[18:19], s[0:1]
	s_cbranch_execz .LBB222_262
; %bb.259:                              ;   in Loop: Header=BB222_187 Depth=1
	v_bfe_u32 v33, v32, 24, 7
	s_mov_b32 s14, s6
	v_cmp_ne_u32_e64 s[0:1], s23, v33
	v_pk_mov_b32 v[40:41], s[14:15], s[14:15] op_sel:[0,1]
	s_and_saveexec_b64 s[20:21], s[0:1]
	s_cbranch_execz .LBB222_261
; %bb.260:                              ;   in Loop: Header=BB222_187 Depth=1
	v_and_b32_sdwa v12, v32, v57 dst_sel:DWORD dst_unused:UNUSED_PAD src0_sel:BYTE_3 src1_sel:DWORD
	v_ffbh_u32_e32 v40, v12
	v_min_u32_e32 v43, 32, v40
	v_subrev_u32_e32 v40, 28, v43
	v_lshlrev_b64 v[40:41], v40, v[12:13]
	v_lshrrev_b32_e32 v42, 3, v33
	v_sub_u32_e32 v41, 29, v43
	v_cmp_gt_u32_e64 s[0:1], 8, v33
	v_and_b32_e32 v40, 7, v40
	v_cndmask_b32_e64 v33, v42, v41, s[0:1]
	v_cndmask_b32_e64 v12, v12, v40, s[0:1]
	v_lshlrev_b32_sdwa v32, v58, v32 dst_sel:DWORD dst_unused:UNUSED_PAD src0_sel:DWORD src1_sel:BYTE_3
	v_lshl_add_u32 v33, v33, 23, v29
	v_and_or_b32 v32, v32, s7, v33
	v_lshlrev_b32_e32 v12, 20, v12
	v_or_b32_e32 v41, v32, v12
	v_mov_b32_e32 v40, v13
.LBB222_261:                            ;   in Loop: Header=BB222_187 Depth=1
	s_or_b64 exec, exec, s[20:21]
.LBB222_262:                            ;   in Loop: Header=BB222_187 Depth=1
	s_or_b64 exec, exec, s[18:19]
.LBB222_263:                            ;   in Loop: Header=BB222_187 Depth=1
	s_or_b64 exec, exec, s[16:17]
	v_or_b32_e32 v33, v37, v35
	v_or_b32_e32 v32, v36, v34
	;; [unrolled: 1-line block ×4, first 2 shown]
	v_pk_mul_f32 v[32:33], s[10:11], v[32:33]
	v_pk_mul_f32 v[34:35], s[10:11], v[34:35]
	s_and_saveexec_b64 s[16:17], vcc
; %bb.264:                              ;   in Loop: Header=BB222_187 Depth=1
	v_cmp_gt_i32_e64 s[0:1], s29, v59
	v_cndmask_b32_e64 v32, 0, v32, s[0:1]
	v_cmp_gt_i32_e64 s[0:1], s29, v61
	v_cndmask_b32_e64 v33, 0, v33, s[0:1]
	;; [unrolled: 2-line block ×4, first 2 shown]
; %bb.265:                              ;   in Loop: Header=BB222_187 Depth=1
	s_or_b64 exec, exec, s[16:17]
	global_load_dword v36, v[22:23], off offset:768
	v_pk_mov_b32 v[40:41], 0, 0
	v_pk_mov_b32 v[38:39], v[40:41], v[40:41] op_sel:[0,1]
	s_waitcnt vmcnt(0)
	v_cmp_ne_u16_sdwa s[0:1], v36, v13 src0_sel:BYTE_0 src1_sel:DWORD
	s_and_saveexec_b64 s[16:17], s[0:1]
	s_cbranch_execz .LBB222_271
; %bb.266:                              ;   in Loop: Header=BB222_187 Depth=1
	v_bfrev_b32_e32 v38, 1
	v_cmp_ne_u16_sdwa s[0:1], v36, s22 src0_sel:BYTE_0 src1_sel:DWORD
	v_mov_b32_e32 v39, 0
	s_and_saveexec_b64 s[18:19], s[0:1]
	s_cbranch_execz .LBB222_270
; %bb.267:                              ;   in Loop: Header=BB222_187 Depth=1
	v_and_b32_e32 v12, 0x7f, v36
	v_mov_b32_e32 v38, 0x7f800001
	v_cmp_ne_u32_e64 s[0:1], s23, v12
	v_mov_b32_e32 v39, 0
	s_and_saveexec_b64 s[20:21], s[0:1]
	s_cbranch_execz .LBB222_269
; %bb.268:                              ;   in Loop: Header=BB222_187 Depth=1
	v_and_b32_e32 v37, 7, v36
	v_ffbh_u32_e32 v38, v37
	v_min_u32_e32 v43, 32, v38
	v_subrev_u32_e32 v38, 28, v43
	v_lshlrev_b64 v[38:39], v38, v[36:37]
	v_lshrrev_b32_e32 v42, 3, v12
	v_sub_u32_e32 v39, 29, v43
	v_and_b32_e32 v38, 7, v38
	v_cmp_gt_u32_e64 s[0:1], 8, v12
	v_cndmask_b32_e64 v12, v42, v39, s[0:1]
	v_cndmask_b32_e64 v37, v37, v38, s[0:1]
	v_lshlrev_b32_e32 v37, 20, v37
	v_and_b32_sdwa v38, sext(v36), s7 dst_sel:DWORD dst_unused:UNUSED_PAD src0_sel:BYTE_0 src1_sel:DWORD
	v_lshl_add_u32 v12, v12, 23, v29
	v_or3_b32 v12, v38, v12, v37
	v_pk_mov_b32 v[38:39], v[12:13], v[12:13] op_sel:[0,1]
.LBB222_269:                            ;   in Loop: Header=BB222_187 Depth=1
	s_or_b64 exec, exec, s[20:21]
.LBB222_270:                            ;   in Loop: Header=BB222_187 Depth=1
	s_or_b64 exec, exec, s[18:19]
.LBB222_271:                            ;   in Loop: Header=BB222_187 Depth=1
	s_or_b64 exec, exec, s[16:17]
	v_cmp_ne_u16_sdwa s[0:1], v36, v13 src0_sel:BYTE_1 src1_sel:DWORD
	s_and_saveexec_b64 s[16:17], s[0:1]
	s_cbranch_execz .LBB222_277
; %bb.272:                              ;   in Loop: Header=BB222_187 Depth=1
	v_cmp_ne_u16_sdwa s[0:1], v36, s22 src0_sel:BYTE_1 src1_sel:DWORD
	v_pk_mov_b32 v[40:41], s[6:7], s[6:7] op_sel:[0,1]
	s_and_saveexec_b64 s[18:19], s[0:1]
	s_cbranch_execz .LBB222_276
; %bb.273:                              ;   in Loop: Header=BB222_187 Depth=1
	v_and_b32_sdwa v37, v36, s23 dst_sel:DWORD dst_unused:UNUSED_PAD src0_sel:BYTE_1 src1_sel:DWORD
	s_mov_b32 s14, s6
	v_cmp_ne_u32_e64 s[0:1], s23, v37
	v_pk_mov_b32 v[40:41], s[14:15], s[14:15] op_sel:[0,1]
	s_and_saveexec_b64 s[20:21], s[0:1]
	s_cbranch_execz .LBB222_275
; %bb.274:                              ;   in Loop: Header=BB222_187 Depth=1
	v_and_b32_sdwa v12, v36, v57 dst_sel:DWORD dst_unused:UNUSED_PAD src0_sel:BYTE_1 src1_sel:DWORD
	v_ffbh_u32_e32 v40, v12
	v_min_u32_e32 v43, 32, v40
	v_subrev_u32_e32 v40, 28, v43
	v_lshlrev_b64 v[40:41], v40, v[12:13]
	v_lshrrev_b32_e32 v42, 3, v37
	v_sub_u32_e32 v41, 29, v43
	v_cmp_gt_u32_e64 s[0:1], 8, v37
	v_and_b32_e32 v40, 7, v40
	v_cndmask_b32_e64 v37, v42, v41, s[0:1]
	v_cndmask_b32_e64 v12, v12, v40, s[0:1]
	v_lshlrev_b32_e32 v40, 16, v36
	v_lshl_add_u32 v37, v37, 23, v29
	v_and_or_b32 v37, v40, s7, v37
	v_lshlrev_b32_e32 v12, 20, v12
	v_or_b32_e32 v41, v37, v12
	v_mov_b32_e32 v40, v13
.LBB222_275:                            ;   in Loop: Header=BB222_187 Depth=1
	s_or_b64 exec, exec, s[20:21]
.LBB222_276:                            ;   in Loop: Header=BB222_187 Depth=1
	s_or_b64 exec, exec, s[18:19]
.LBB222_277:                            ;   in Loop: Header=BB222_187 Depth=1
	s_or_b64 exec, exec, s[16:17]
	v_lshrrev_b32_e32 v12, 16, v36
	v_pk_mov_b32 v[44:45], 0, 0
	v_cmp_ne_u16_sdwa s[0:1], v12, v13 src0_sel:BYTE_0 src1_sel:DWORD
	v_pk_mov_b32 v[42:43], v[44:45], v[44:45] op_sel:[0,1]
	s_and_saveexec_b64 s[16:17], s[0:1]
	s_cbranch_execz .LBB222_283
; %bb.278:                              ;   in Loop: Header=BB222_187 Depth=1
	v_bfrev_b32_e32 v42, 1
	v_cmp_ne_u16_sdwa s[0:1], v12, s22 src0_sel:BYTE_0 src1_sel:DWORD
	v_mov_b32_e32 v43, 0
	s_and_saveexec_b64 s[18:19], s[0:1]
	s_cbranch_execz .LBB222_282
; %bb.279:                              ;   in Loop: Header=BB222_187 Depth=1
	v_bfe_u32 v37, v36, 16, 7
	v_mov_b32_e32 v42, 0x7f800001
	v_cmp_ne_u32_e64 s[0:1], s23, v37
	v_mov_b32_e32 v43, 0
	s_and_saveexec_b64 s[20:21], s[0:1]
	s_cbranch_execz .LBB222_281
; %bb.280:                              ;   in Loop: Header=BB222_187 Depth=1
	v_and_b32_e32 v46, 7, v12
	v_ffbh_u32_e32 v42, v46
	v_min_u32_e32 v48, 32, v42
	v_subrev_u32_e32 v42, 28, v48
	v_lshlrev_b64 v[42:43], v42, v[12:13]
	v_lshrrev_b32_e32 v47, 3, v37
	v_sub_u32_e32 v43, 29, v48
	v_and_b32_e32 v42, 7, v42
	v_cmp_gt_u32_e64 s[0:1], 8, v37
	v_cndmask_b32_e64 v37, v47, v43, s[0:1]
	v_cndmask_b32_e64 v42, v46, v42, s[0:1]
	v_lshlrev_b32_e32 v42, 20, v42
	v_and_b32_sdwa v12, sext(v12), s7 dst_sel:DWORD dst_unused:UNUSED_PAD src0_sel:BYTE_0 src1_sel:DWORD
	v_lshl_add_u32 v37, v37, 23, v29
	v_or3_b32 v12, v12, v37, v42
	v_pk_mov_b32 v[42:43], v[12:13], v[12:13] op_sel:[0,1]
.LBB222_281:                            ;   in Loop: Header=BB222_187 Depth=1
	s_or_b64 exec, exec, s[20:21]
.LBB222_282:                            ;   in Loop: Header=BB222_187 Depth=1
	s_or_b64 exec, exec, s[18:19]
.LBB222_283:                            ;   in Loop: Header=BB222_187 Depth=1
	s_or_b64 exec, exec, s[16:17]
	v_cmp_lt_u32_e64 s[0:1], s28, v36
	s_and_saveexec_b64 s[16:17], s[0:1]
	s_cbranch_execz .LBB222_289
; %bb.284:                              ;   in Loop: Header=BB222_187 Depth=1
	v_cmp_ne_u32_sdwa s[0:1], v36, s22 src0_sel:BYTE_3 src1_sel:DWORD
	v_pk_mov_b32 v[44:45], s[6:7], s[6:7] op_sel:[0,1]
	s_and_saveexec_b64 s[18:19], s[0:1]
	s_cbranch_execz .LBB222_288
; %bb.285:                              ;   in Loop: Header=BB222_187 Depth=1
	v_bfe_u32 v37, v36, 24, 7
	s_mov_b32 s14, s6
	v_cmp_ne_u32_e64 s[0:1], s23, v37
	v_pk_mov_b32 v[44:45], s[14:15], s[14:15] op_sel:[0,1]
	s_and_saveexec_b64 s[20:21], s[0:1]
	s_cbranch_execz .LBB222_287
; %bb.286:                              ;   in Loop: Header=BB222_187 Depth=1
	v_and_b32_sdwa v12, v36, v57 dst_sel:DWORD dst_unused:UNUSED_PAD src0_sel:BYTE_3 src1_sel:DWORD
	v_ffbh_u32_e32 v44, v12
	v_min_u32_e32 v47, 32, v44
	v_subrev_u32_e32 v44, 28, v47
	v_lshlrev_b64 v[44:45], v44, v[12:13]
	v_lshrrev_b32_e32 v46, 3, v37
	v_sub_u32_e32 v45, 29, v47
	v_cmp_gt_u32_e64 s[0:1], 8, v37
	v_and_b32_e32 v44, 7, v44
	v_cndmask_b32_e64 v37, v46, v45, s[0:1]
	v_cndmask_b32_e64 v12, v12, v44, s[0:1]
	v_lshlrev_b32_sdwa v36, v58, v36 dst_sel:DWORD dst_unused:UNUSED_PAD src0_sel:DWORD src1_sel:BYTE_3
	v_lshl_add_u32 v37, v37, 23, v29
	v_and_or_b32 v36, v36, s7, v37
	v_lshlrev_b32_e32 v12, 20, v12
	v_or_b32_e32 v45, v36, v12
	v_mov_b32_e32 v44, v13
.LBB222_287:                            ;   in Loop: Header=BB222_187 Depth=1
	s_or_b64 exec, exec, s[20:21]
.LBB222_288:                            ;   in Loop: Header=BB222_187 Depth=1
	s_or_b64 exec, exec, s[18:19]
.LBB222_289:                            ;   in Loop: Header=BB222_187 Depth=1
	s_or_b64 exec, exec, s[16:17]
	v_or_b32_e32 v37, v41, v39
	v_or_b32_e32 v36, v40, v38
	;; [unrolled: 1-line block ×4, first 2 shown]
	v_pk_mul_f32 v[36:37], s[10:11], v[36:37]
	v_pk_mul_f32 v[38:39], s[10:11], v[38:39]
	s_and_saveexec_b64 s[16:17], vcc
; %bb.290:                              ;   in Loop: Header=BB222_187 Depth=1
	v_cmp_gt_i32_e64 s[0:1], s29, v59
	v_cndmask_b32_e64 v36, 0, v36, s[0:1]
	v_cmp_gt_i32_e64 s[0:1], s29, v61
	v_cndmask_b32_e64 v37, 0, v37, s[0:1]
	;; [unrolled: 2-line block ×4, first 2 shown]
; %bb.291:                              ;   in Loop: Header=BB222_187 Depth=1
	s_or_b64 exec, exec, s[16:17]
	global_load_dword v40, v[22:23], off offset:1024
	v_pk_mov_b32 v[44:45], 0, 0
	v_pk_mov_b32 v[42:43], v[44:45], v[44:45] op_sel:[0,1]
	s_waitcnt vmcnt(0)
	v_cmp_ne_u16_sdwa s[0:1], v40, v13 src0_sel:BYTE_0 src1_sel:DWORD
	s_and_saveexec_b64 s[16:17], s[0:1]
	s_cbranch_execz .LBB222_297
; %bb.292:                              ;   in Loop: Header=BB222_187 Depth=1
	v_bfrev_b32_e32 v42, 1
	v_cmp_ne_u16_sdwa s[0:1], v40, s22 src0_sel:BYTE_0 src1_sel:DWORD
	v_mov_b32_e32 v43, 0
	s_and_saveexec_b64 s[18:19], s[0:1]
	s_cbranch_execz .LBB222_296
; %bb.293:                              ;   in Loop: Header=BB222_187 Depth=1
	v_and_b32_e32 v12, 0x7f, v40
	v_mov_b32_e32 v42, 0x7f800001
	v_cmp_ne_u32_e64 s[0:1], s23, v12
	v_mov_b32_e32 v43, 0
	s_and_saveexec_b64 s[20:21], s[0:1]
	s_cbranch_execz .LBB222_295
; %bb.294:                              ;   in Loop: Header=BB222_187 Depth=1
	v_and_b32_e32 v41, 7, v40
	v_ffbh_u32_e32 v42, v41
	v_min_u32_e32 v47, 32, v42
	v_subrev_u32_e32 v42, 28, v47
	v_lshlrev_b64 v[42:43], v42, v[40:41]
	v_lshrrev_b32_e32 v46, 3, v12
	v_sub_u32_e32 v43, 29, v47
	v_and_b32_e32 v42, 7, v42
	v_cmp_gt_u32_e64 s[0:1], 8, v12
	v_cndmask_b32_e64 v12, v46, v43, s[0:1]
	v_cndmask_b32_e64 v41, v41, v42, s[0:1]
	v_lshlrev_b32_e32 v41, 20, v41
	v_and_b32_sdwa v42, sext(v40), s7 dst_sel:DWORD dst_unused:UNUSED_PAD src0_sel:BYTE_0 src1_sel:DWORD
	v_lshl_add_u32 v12, v12, 23, v29
	v_or3_b32 v12, v42, v12, v41
	v_pk_mov_b32 v[42:43], v[12:13], v[12:13] op_sel:[0,1]
.LBB222_295:                            ;   in Loop: Header=BB222_187 Depth=1
	s_or_b64 exec, exec, s[20:21]
.LBB222_296:                            ;   in Loop: Header=BB222_187 Depth=1
	s_or_b64 exec, exec, s[18:19]
.LBB222_297:                            ;   in Loop: Header=BB222_187 Depth=1
	s_or_b64 exec, exec, s[16:17]
	v_cmp_ne_u16_sdwa s[0:1], v40, v13 src0_sel:BYTE_1 src1_sel:DWORD
	s_and_saveexec_b64 s[16:17], s[0:1]
	s_cbranch_execz .LBB222_303
; %bb.298:                              ;   in Loop: Header=BB222_187 Depth=1
	v_cmp_ne_u16_sdwa s[0:1], v40, s22 src0_sel:BYTE_1 src1_sel:DWORD
	v_pk_mov_b32 v[44:45], s[6:7], s[6:7] op_sel:[0,1]
	s_and_saveexec_b64 s[18:19], s[0:1]
	s_cbranch_execz .LBB222_302
; %bb.299:                              ;   in Loop: Header=BB222_187 Depth=1
	v_and_b32_sdwa v41, v40, s23 dst_sel:DWORD dst_unused:UNUSED_PAD src0_sel:BYTE_1 src1_sel:DWORD
	s_mov_b32 s14, s6
	v_cmp_ne_u32_e64 s[0:1], s23, v41
	v_pk_mov_b32 v[44:45], s[14:15], s[14:15] op_sel:[0,1]
	s_and_saveexec_b64 s[20:21], s[0:1]
	s_cbranch_execz .LBB222_301
; %bb.300:                              ;   in Loop: Header=BB222_187 Depth=1
	v_and_b32_sdwa v12, v40, v57 dst_sel:DWORD dst_unused:UNUSED_PAD src0_sel:BYTE_1 src1_sel:DWORD
	v_ffbh_u32_e32 v44, v12
	v_min_u32_e32 v47, 32, v44
	v_subrev_u32_e32 v44, 28, v47
	v_lshlrev_b64 v[44:45], v44, v[12:13]
	v_lshrrev_b32_e32 v46, 3, v41
	v_sub_u32_e32 v45, 29, v47
	v_cmp_gt_u32_e64 s[0:1], 8, v41
	v_and_b32_e32 v44, 7, v44
	v_cndmask_b32_e64 v41, v46, v45, s[0:1]
	v_cndmask_b32_e64 v12, v12, v44, s[0:1]
	v_lshlrev_b32_e32 v44, 16, v40
	v_lshl_add_u32 v41, v41, 23, v29
	v_and_or_b32 v41, v44, s7, v41
	v_lshlrev_b32_e32 v12, 20, v12
	v_or_b32_e32 v45, v41, v12
	v_mov_b32_e32 v44, v13
.LBB222_301:                            ;   in Loop: Header=BB222_187 Depth=1
	s_or_b64 exec, exec, s[20:21]
.LBB222_302:                            ;   in Loop: Header=BB222_187 Depth=1
	s_or_b64 exec, exec, s[18:19]
.LBB222_303:                            ;   in Loop: Header=BB222_187 Depth=1
	s_or_b64 exec, exec, s[16:17]
	v_lshrrev_b32_e32 v12, 16, v40
	v_pk_mov_b32 v[48:49], 0, 0
	v_cmp_ne_u16_sdwa s[0:1], v12, v13 src0_sel:BYTE_0 src1_sel:DWORD
	v_pk_mov_b32 v[46:47], v[48:49], v[48:49] op_sel:[0,1]
	s_and_saveexec_b64 s[16:17], s[0:1]
	s_cbranch_execz .LBB222_309
; %bb.304:                              ;   in Loop: Header=BB222_187 Depth=1
	v_bfrev_b32_e32 v46, 1
	v_cmp_ne_u16_sdwa s[0:1], v12, s22 src0_sel:BYTE_0 src1_sel:DWORD
	v_mov_b32_e32 v47, 0
	s_and_saveexec_b64 s[18:19], s[0:1]
	s_cbranch_execz .LBB222_308
; %bb.305:                              ;   in Loop: Header=BB222_187 Depth=1
	v_bfe_u32 v41, v40, 16, 7
	v_mov_b32_e32 v46, 0x7f800001
	v_cmp_ne_u32_e64 s[0:1], s23, v41
	v_mov_b32_e32 v47, 0
	s_and_saveexec_b64 s[20:21], s[0:1]
	s_cbranch_execz .LBB222_307
; %bb.306:                              ;   in Loop: Header=BB222_187 Depth=1
	v_and_b32_e32 v50, 7, v12
	v_ffbh_u32_e32 v46, v50
	v_min_u32_e32 v62, 32, v46
	v_subrev_u32_e32 v46, 28, v62
	v_lshlrev_b64 v[46:47], v46, v[12:13]
	v_lshrrev_b32_e32 v51, 3, v41
	v_sub_u32_e32 v47, 29, v62
	v_and_b32_e32 v46, 7, v46
	v_cmp_gt_u32_e64 s[0:1], 8, v41
	v_cndmask_b32_e64 v41, v51, v47, s[0:1]
	v_cndmask_b32_e64 v46, v50, v46, s[0:1]
	v_lshlrev_b32_e32 v46, 20, v46
	v_and_b32_sdwa v12, sext(v12), s7 dst_sel:DWORD dst_unused:UNUSED_PAD src0_sel:BYTE_0 src1_sel:DWORD
	v_lshl_add_u32 v41, v41, 23, v29
	v_or3_b32 v12, v12, v41, v46
	v_pk_mov_b32 v[46:47], v[12:13], v[12:13] op_sel:[0,1]
.LBB222_307:                            ;   in Loop: Header=BB222_187 Depth=1
	s_or_b64 exec, exec, s[20:21]
.LBB222_308:                            ;   in Loop: Header=BB222_187 Depth=1
	s_or_b64 exec, exec, s[18:19]
.LBB222_309:                            ;   in Loop: Header=BB222_187 Depth=1
	s_or_b64 exec, exec, s[16:17]
	v_cmp_lt_u32_e64 s[0:1], s28, v40
	s_and_saveexec_b64 s[16:17], s[0:1]
	s_cbranch_execz .LBB222_315
; %bb.310:                              ;   in Loop: Header=BB222_187 Depth=1
	v_cmp_ne_u32_sdwa s[0:1], v40, s22 src0_sel:BYTE_3 src1_sel:DWORD
	v_pk_mov_b32 v[48:49], s[6:7], s[6:7] op_sel:[0,1]
	s_and_saveexec_b64 s[18:19], s[0:1]
	s_cbranch_execz .LBB222_314
; %bb.311:                              ;   in Loop: Header=BB222_187 Depth=1
	v_bfe_u32 v41, v40, 24, 7
	s_mov_b32 s14, s6
	v_cmp_ne_u32_e64 s[0:1], s23, v41
	v_pk_mov_b32 v[48:49], s[14:15], s[14:15] op_sel:[0,1]
	s_and_saveexec_b64 s[20:21], s[0:1]
	s_cbranch_execz .LBB222_313
; %bb.312:                              ;   in Loop: Header=BB222_187 Depth=1
	v_and_b32_sdwa v12, v40, v57 dst_sel:DWORD dst_unused:UNUSED_PAD src0_sel:BYTE_3 src1_sel:DWORD
	v_ffbh_u32_e32 v48, v12
	v_min_u32_e32 v51, 32, v48
	v_subrev_u32_e32 v48, 28, v51
	v_lshlrev_b64 v[48:49], v48, v[12:13]
	v_lshrrev_b32_e32 v50, 3, v41
	v_sub_u32_e32 v49, 29, v51
	v_cmp_gt_u32_e64 s[0:1], 8, v41
	v_and_b32_e32 v48, 7, v48
	v_cndmask_b32_e64 v41, v50, v49, s[0:1]
	v_cndmask_b32_e64 v12, v12, v48, s[0:1]
	v_lshlrev_b32_sdwa v40, v58, v40 dst_sel:DWORD dst_unused:UNUSED_PAD src0_sel:DWORD src1_sel:BYTE_3
	v_lshl_add_u32 v41, v41, 23, v29
	v_and_or_b32 v40, v40, s7, v41
	v_lshlrev_b32_e32 v12, 20, v12
	v_or_b32_e32 v49, v40, v12
	v_mov_b32_e32 v48, v13
.LBB222_313:                            ;   in Loop: Header=BB222_187 Depth=1
	s_or_b64 exec, exec, s[20:21]
.LBB222_314:                            ;   in Loop: Header=BB222_187 Depth=1
	s_or_b64 exec, exec, s[18:19]
.LBB222_315:                            ;   in Loop: Header=BB222_187 Depth=1
	s_or_b64 exec, exec, s[16:17]
	v_or_b32_e32 v41, v45, v43
	v_or_b32_e32 v40, v44, v42
	;; [unrolled: 1-line block ×4, first 2 shown]
	v_pk_mul_f32 v[40:41], s[10:11], v[40:41]
	v_pk_mul_f32 v[42:43], s[10:11], v[42:43]
	s_and_saveexec_b64 s[16:17], vcc
; %bb.316:                              ;   in Loop: Header=BB222_187 Depth=1
	v_cmp_gt_i32_e64 s[0:1], s29, v59
	v_cndmask_b32_e64 v40, 0, v40, s[0:1]
	v_cmp_gt_i32_e64 s[0:1], s29, v61
	v_cndmask_b32_e64 v41, 0, v41, s[0:1]
	;; [unrolled: 2-line block ×4, first 2 shown]
; %bb.317:                              ;   in Loop: Header=BB222_187 Depth=1
	s_or_b64 exec, exec, s[16:17]
	global_load_dword v22, v[22:23], off offset:1280
	v_pk_mov_b32 v[46:47], 0, 0
	v_pk_mov_b32 v[44:45], v[46:47], v[46:47] op_sel:[0,1]
	s_waitcnt vmcnt(0)
	v_cmp_ne_u16_sdwa s[0:1], v22, v13 src0_sel:BYTE_0 src1_sel:DWORD
	s_and_saveexec_b64 s[16:17], s[0:1]
	s_cbranch_execz .LBB222_323
; %bb.318:                              ;   in Loop: Header=BB222_187 Depth=1
	v_bfrev_b32_e32 v44, 1
	v_cmp_ne_u16_sdwa s[0:1], v22, s22 src0_sel:BYTE_0 src1_sel:DWORD
	v_mov_b32_e32 v45, 0
	s_and_saveexec_b64 s[18:19], s[0:1]
	s_cbranch_execz .LBB222_322
; %bb.319:                              ;   in Loop: Header=BB222_187 Depth=1
	v_and_b32_e32 v12, 0x7f, v22
	v_mov_b32_e32 v44, 0x7f800001
	v_cmp_ne_u32_e64 s[0:1], s23, v12
	v_mov_b32_e32 v45, 0
	s_and_saveexec_b64 s[20:21], s[0:1]
	s_cbranch_execz .LBB222_321
; %bb.320:                              ;   in Loop: Header=BB222_187 Depth=1
	v_and_b32_e32 v23, 7, v22
	v_ffbh_u32_e32 v44, v23
	v_min_u32_e32 v49, 32, v44
	v_subrev_u32_e32 v44, 28, v49
	v_lshlrev_b64 v[44:45], v44, v[22:23]
	v_lshrrev_b32_e32 v48, 3, v12
	v_sub_u32_e32 v45, 29, v49
	v_and_b32_e32 v44, 7, v44
	v_cmp_gt_u32_e64 s[0:1], 8, v12
	v_cndmask_b32_e64 v12, v48, v45, s[0:1]
	v_cndmask_b32_e64 v23, v23, v44, s[0:1]
	v_lshlrev_b32_e32 v23, 20, v23
	v_and_b32_sdwa v44, sext(v22), s7 dst_sel:DWORD dst_unused:UNUSED_PAD src0_sel:BYTE_0 src1_sel:DWORD
	v_lshl_add_u32 v12, v12, 23, v29
	v_or3_b32 v12, v44, v12, v23
	v_pk_mov_b32 v[44:45], v[12:13], v[12:13] op_sel:[0,1]
.LBB222_321:                            ;   in Loop: Header=BB222_187 Depth=1
	s_or_b64 exec, exec, s[20:21]
.LBB222_322:                            ;   in Loop: Header=BB222_187 Depth=1
	s_or_b64 exec, exec, s[18:19]
.LBB222_323:                            ;   in Loop: Header=BB222_187 Depth=1
	s_or_b64 exec, exec, s[16:17]
	v_cmp_ne_u16_sdwa s[0:1], v22, v13 src0_sel:BYTE_1 src1_sel:DWORD
	s_and_saveexec_b64 s[16:17], s[0:1]
	s_cbranch_execz .LBB222_329
; %bb.324:                              ;   in Loop: Header=BB222_187 Depth=1
	v_cmp_ne_u16_sdwa s[0:1], v22, s22 src0_sel:BYTE_1 src1_sel:DWORD
	v_pk_mov_b32 v[46:47], s[6:7], s[6:7] op_sel:[0,1]
	s_and_saveexec_b64 s[18:19], s[0:1]
	s_cbranch_execz .LBB222_328
; %bb.325:                              ;   in Loop: Header=BB222_187 Depth=1
	v_and_b32_sdwa v23, v22, s23 dst_sel:DWORD dst_unused:UNUSED_PAD src0_sel:BYTE_1 src1_sel:DWORD
	s_mov_b32 s14, s6
	v_cmp_ne_u32_e64 s[0:1], s23, v23
	v_pk_mov_b32 v[46:47], s[14:15], s[14:15] op_sel:[0,1]
	s_and_saveexec_b64 s[20:21], s[0:1]
	s_cbranch_execz .LBB222_327
; %bb.326:                              ;   in Loop: Header=BB222_187 Depth=1
	v_and_b32_sdwa v12, v22, v57 dst_sel:DWORD dst_unused:UNUSED_PAD src0_sel:BYTE_1 src1_sel:DWORD
	v_ffbh_u32_e32 v46, v12
	v_min_u32_e32 v49, 32, v46
	v_subrev_u32_e32 v46, 28, v49
	v_lshlrev_b64 v[46:47], v46, v[12:13]
	v_lshrrev_b32_e32 v48, 3, v23
	v_sub_u32_e32 v47, 29, v49
	v_cmp_gt_u32_e64 s[0:1], 8, v23
	v_and_b32_e32 v46, 7, v46
	v_cndmask_b32_e64 v23, v48, v47, s[0:1]
	v_cndmask_b32_e64 v12, v12, v46, s[0:1]
	v_lshlrev_b32_e32 v46, 16, v22
	v_lshl_add_u32 v23, v23, 23, v29
	v_and_or_b32 v23, v46, s7, v23
	v_lshlrev_b32_e32 v12, 20, v12
	v_or_b32_e32 v47, v23, v12
	v_mov_b32_e32 v46, v13
.LBB222_327:                            ;   in Loop: Header=BB222_187 Depth=1
	s_or_b64 exec, exec, s[20:21]
.LBB222_328:                            ;   in Loop: Header=BB222_187 Depth=1
	s_or_b64 exec, exec, s[18:19]
.LBB222_329:                            ;   in Loop: Header=BB222_187 Depth=1
	s_or_b64 exec, exec, s[16:17]
	v_lshrrev_b32_e32 v12, 16, v22
	v_pk_mov_b32 v[50:51], 0, 0
	v_cmp_ne_u16_sdwa s[0:1], v12, v13 src0_sel:BYTE_0 src1_sel:DWORD
	v_pk_mov_b32 v[48:49], v[50:51], v[50:51] op_sel:[0,1]
	s_and_saveexec_b64 s[16:17], s[0:1]
	s_cbranch_execz .LBB222_335
; %bb.330:                              ;   in Loop: Header=BB222_187 Depth=1
	v_bfrev_b32_e32 v48, 1
	v_cmp_ne_u16_sdwa s[0:1], v12, s22 src0_sel:BYTE_0 src1_sel:DWORD
	v_mov_b32_e32 v49, 0
	s_and_saveexec_b64 s[18:19], s[0:1]
	s_cbranch_execz .LBB222_334
; %bb.331:                              ;   in Loop: Header=BB222_187 Depth=1
	v_bfe_u32 v23, v22, 16, 7
	v_mov_b32_e32 v48, 0x7f800001
	v_cmp_ne_u32_e64 s[0:1], s23, v23
	v_mov_b32_e32 v49, 0
	s_and_saveexec_b64 s[20:21], s[0:1]
	s_cbranch_execz .LBB222_333
; %bb.332:                              ;   in Loop: Header=BB222_187 Depth=1
	v_and_b32_e32 v62, 7, v12
	v_ffbh_u32_e32 v48, v62
	v_min_u32_e32 v64, 32, v48
	v_subrev_u32_e32 v48, 28, v64
	v_lshlrev_b64 v[48:49], v48, v[12:13]
	v_lshrrev_b32_e32 v63, 3, v23
	v_sub_u32_e32 v49, 29, v64
	v_and_b32_e32 v48, 7, v48
	v_cmp_gt_u32_e64 s[0:1], 8, v23
	v_cndmask_b32_e64 v23, v63, v49, s[0:1]
	v_cndmask_b32_e64 v48, v62, v48, s[0:1]
	v_lshlrev_b32_e32 v48, 20, v48
	v_and_b32_sdwa v12, sext(v12), s7 dst_sel:DWORD dst_unused:UNUSED_PAD src0_sel:BYTE_0 src1_sel:DWORD
	v_lshl_add_u32 v23, v23, 23, v29
	v_or3_b32 v12, v12, v23, v48
	v_pk_mov_b32 v[48:49], v[12:13], v[12:13] op_sel:[0,1]
.LBB222_333:                            ;   in Loop: Header=BB222_187 Depth=1
	s_or_b64 exec, exec, s[20:21]
.LBB222_334:                            ;   in Loop: Header=BB222_187 Depth=1
	s_or_b64 exec, exec, s[18:19]
.LBB222_335:                            ;   in Loop: Header=BB222_187 Depth=1
	s_or_b64 exec, exec, s[16:17]
	v_cmp_lt_u32_e64 s[0:1], s28, v22
	s_and_saveexec_b64 s[16:17], s[0:1]
	s_cbranch_execz .LBB222_341
; %bb.336:                              ;   in Loop: Header=BB222_187 Depth=1
	v_cmp_ne_u32_sdwa s[0:1], v22, s22 src0_sel:BYTE_3 src1_sel:DWORD
	v_pk_mov_b32 v[50:51], s[6:7], s[6:7] op_sel:[0,1]
	s_and_saveexec_b64 s[18:19], s[0:1]
	s_cbranch_execz .LBB222_340
; %bb.337:                              ;   in Loop: Header=BB222_187 Depth=1
	v_bfe_u32 v23, v22, 24, 7
	s_mov_b32 s14, s6
	v_cmp_ne_u32_e64 s[0:1], s23, v23
	v_pk_mov_b32 v[50:51], s[14:15], s[14:15] op_sel:[0,1]
	s_and_saveexec_b64 s[20:21], s[0:1]
	s_cbranch_execz .LBB222_339
; %bb.338:                              ;   in Loop: Header=BB222_187 Depth=1
	v_and_b32_sdwa v12, v22, v57 dst_sel:DWORD dst_unused:UNUSED_PAD src0_sel:BYTE_3 src1_sel:DWORD
	v_ffbh_u32_e32 v50, v12
	v_min_u32_e32 v63, 32, v50
	v_subrev_u32_e32 v50, 28, v63
	v_lshlrev_b64 v[50:51], v50, v[12:13]
	v_lshrrev_b32_e32 v62, 3, v23
	v_sub_u32_e32 v51, 29, v63
	v_cmp_gt_u32_e64 s[0:1], 8, v23
	v_and_b32_e32 v50, 7, v50
	v_cndmask_b32_e64 v23, v62, v51, s[0:1]
	v_cndmask_b32_e64 v12, v12, v50, s[0:1]
	v_lshlrev_b32_sdwa v22, v58, v22 dst_sel:DWORD dst_unused:UNUSED_PAD src0_sel:DWORD src1_sel:BYTE_3
	v_lshl_add_u32 v23, v23, 23, v29
	v_and_or_b32 v22, v22, s7, v23
	v_lshlrev_b32_e32 v12, 20, v12
	v_or_b32_e32 v51, v22, v12
	v_mov_b32_e32 v50, v13
.LBB222_339:                            ;   in Loop: Header=BB222_187 Depth=1
	s_or_b64 exec, exec, s[20:21]
.LBB222_340:                            ;   in Loop: Header=BB222_187 Depth=1
	s_or_b64 exec, exec, s[18:19]
.LBB222_341:                            ;   in Loop: Header=BB222_187 Depth=1
	s_or_b64 exec, exec, s[16:17]
	v_or_b32_e32 v23, v47, v45
	v_or_b32_e32 v22, v46, v44
	;; [unrolled: 1-line block ×4, first 2 shown]
	v_pk_mul_f32 v[22:23], s[10:11], v[22:23]
	v_pk_mul_f32 v[44:45], s[10:11], v[44:45]
	s_and_saveexec_b64 s[0:1], vcc
	s_cbranch_execz .LBB222_186
; %bb.342:                              ;   in Loop: Header=BB222_187 Depth=1
	v_cmp_gt_i32_e32 vcc, s29, v59
	v_cndmask_b32_e32 v22, 0, v22, vcc
	v_cmp_gt_i32_e32 vcc, s29, v61
	v_cndmask_b32_e32 v23, 0, v23, vcc
	;; [unrolled: 2-line block ×4, first 2 shown]
	s_branch .LBB222_186
.LBB222_343:
	s_or_b64 exec, exec, s[12:13]
.LBB222_344:
	s_or_b64 exec, exec, s[4:5]
	ds_bpermute_b32 v2, v54, v10
	ds_bpermute_b32 v3, v54, v11
	;; [unrolled: 1-line block ×6, first 2 shown]
	s_waitcnt lgkmcnt(4)
	v_pk_add_f32 v[2:3], v[10:11], v[2:3]
	ds_bpermute_b32 v10, v53, v2
	s_waitcnt lgkmcnt(3)
	v_pk_add_f32 v[4:5], v[8:9], v[4:5]
	ds_bpermute_b32 v11, v53, v3
	ds_bpermute_b32 v8, v53, v4
	;; [unrolled: 1-line block ×3, first 2 shown]
	s_waitcnt lgkmcnt(4)
	v_pk_add_f32 v[12:13], v[6:7], v[12:13]
	ds_bpermute_b32 v14, v53, v12
	ds_bpermute_b32 v15, v53, v13
	s_waitcnt lgkmcnt(4)
	v_pk_add_f32 v[6:7], v[2:3], v[10:11]
	s_waitcnt lgkmcnt(2)
	v_pk_add_f32 v[2:3], v[4:5], v[8:9]
	v_and_b32_e32 v8, 0x3c3, v0
	v_cmp_eq_u32_e32 vcc, 64, v8
	s_waitcnt lgkmcnt(0)
	v_pk_add_f32 v[4:5], v[12:13], v[14:15]
	s_barrier
	s_and_saveexec_b64 s[0:1], vcc
	s_cbranch_execz .LBB222_346
; %bb.345:
	v_add_u32_e32 v9, 0x190, v52
	ds_write2_b32 v9, v6, v7 offset1:16
	ds_write2_b32 v9, v2, v3 offset0:32 offset1:48
	ds_write2_b32 v9, v4, v5 offset0:64 offset1:80
.LBB222_346:
	s_or_b64 exec, exec, s[0:1]
	v_cmp_gt_u32_e32 vcc, 64, v0
	s_waitcnt lgkmcnt(0)
	s_barrier
	s_and_saveexec_b64 s[0:1], vcc
	s_cbranch_execz .LBB222_355
; %bb.347:
	v_cmp_eq_u32_e32 vcc, 0, v26
	s_and_saveexec_b64 s[4:5], vcc
	s_cbranch_execnz .LBB222_358
; %bb.348:
	s_or_b64 exec, exec, s[4:5]
	s_and_saveexec_b64 s[4:5], vcc
	s_cbranch_execnz .LBB222_359
.LBB222_349:
	s_or_b64 exec, exec, s[4:5]
	s_and_saveexec_b64 s[4:5], vcc
	s_cbranch_execnz .LBB222_360
.LBB222_350:
	s_or_b64 exec, exec, s[4:5]
	s_and_saveexec_b64 s[4:5], vcc
	s_cbranch_execnz .LBB222_361
.LBB222_351:
	s_or_b64 exec, exec, s[4:5]
	s_and_saveexec_b64 s[4:5], vcc
	s_cbranch_execnz .LBB222_362
.LBB222_352:
	s_or_b64 exec, exec, s[4:5]
	s_and_saveexec_b64 s[4:5], vcc
	s_cbranch_execz .LBB222_354
.LBB222_353:
	v_mov_b32_e32 v0, 0x190
	v_lshl_add_u32 v0, v27, 2, v0
	ds_read_b32 v0, v0 offset:320
	s_waitcnt lgkmcnt(0)
	v_add_f32_e32 v5, v5, v0
.LBB222_354:
	s_or_b64 exec, exec, s[4:5]
.LBB222_355:
	s_or_b64 exec, exec, s[0:1]
	v_cmp_eq_u32_e32 vcc, 0, v8
	s_barrier
	s_and_saveexec_b64 s[0:1], vcc
	s_cbranch_execz .LBB222_357
; %bb.356:
	s_mul_i32 s0, s2, 0x60
	s_ashr_i32 s1, s0, 31
	s_lshl_b64 s[0:1], s[0:1], 2
	s_add_u32 s2, s26, s0
	s_mul_i32 s0, s25, s24
	s_addc_u32 s3, s27, s1
	s_ashr_i32 s1, s0, 31
	s_lshl_b64 s[0:1], s[0:1], 2
	s_add_u32 s2, s2, s0
	s_mul_i32 s0, s8, 0x60
	s_addc_u32 s3, s3, s1
	s_ashr_i32 s1, s0, 31
	s_lshl_b64 s[0:1], s[0:1], 2
	s_add_u32 s0, s2, s0
	s_addc_u32 s1, s3, s1
	global_store_dword v1, v6, s[0:1]
	global_store_dword v1, v7, s[0:1] offset:64
	global_store_dword v1, v2, s[0:1] offset:128
	;; [unrolled: 1-line block ×5, first 2 shown]
.LBB222_357:
	s_endpgm
.LBB222_358:
	v_mov_b32_e32 v0, 0x190
	v_lshl_add_u32 v0, v27, 2, v0
	ds_read_b32 v0, v0
	s_waitcnt lgkmcnt(0)
	v_add_f32_e32 v6, v6, v0
	s_or_b64 exec, exec, s[4:5]
	s_and_saveexec_b64 s[4:5], vcc
	s_cbranch_execz .LBB222_349
.LBB222_359:
	v_mov_b32_e32 v0, 0x190
	v_lshl_add_u32 v0, v27, 2, v0
	ds_read_b32 v0, v0 offset:64
	s_waitcnt lgkmcnt(0)
	v_add_f32_e32 v7, v7, v0
	s_or_b64 exec, exec, s[4:5]
	s_and_saveexec_b64 s[4:5], vcc
	s_cbranch_execz .LBB222_350
.LBB222_360:
	v_mov_b32_e32 v0, 0x190
	v_lshl_add_u32 v0, v27, 2, v0
	ds_read_b32 v0, v0 offset:128
	s_waitcnt lgkmcnt(0)
	v_add_f32_e32 v2, v2, v0
	s_or_b64 exec, exec, s[4:5]
	s_and_saveexec_b64 s[4:5], vcc
	s_cbranch_execz .LBB222_351
.LBB222_361:
	v_mov_b32_e32 v0, 0x190
	v_lshl_add_u32 v0, v27, 2, v0
	ds_read_b32 v0, v0 offset:192
	s_waitcnt lgkmcnt(0)
	v_add_f32_e32 v3, v3, v0
	s_or_b64 exec, exec, s[4:5]
	s_and_saveexec_b64 s[4:5], vcc
	s_cbranch_execz .LBB222_352
.LBB222_362:
	v_mov_b32_e32 v0, 0x190
	v_lshl_add_u32 v0, v27, 2, v0
	ds_read_b32 v0, v0 offset:256
	s_waitcnt lgkmcnt(0)
	v_add_f32_e32 v4, v4, v0
	s_or_b64 exec, exec, s[4:5]
	s_and_saveexec_b64 s[4:5], vcc
	s_cbranch_execnz .LBB222_353
	s_branch .LBB222_354
	.section	.rodata,"a",@progbits
	.p2align	6, 0x0
	.amdhsa_kernel _ZN4vllm25paged_attention_v2_kernelIfhLi96ELi16ELi128ELNS_18Fp8KVCacheDataTypeE1ELb0ELi512EEEvPfS2_PT_PKS3_PKT0_S9_ifPKiSB_iPKfiiiSD_SD_iiiii
		.amdhsa_group_segment_fixed_size 400
		.amdhsa_private_segment_fixed_size 0
		.amdhsa_kernarg_size 400
		.amdhsa_user_sgpr_count 6
		.amdhsa_user_sgpr_private_segment_buffer 1
		.amdhsa_user_sgpr_dispatch_ptr 0
		.amdhsa_user_sgpr_queue_ptr 0
		.amdhsa_user_sgpr_kernarg_segment_ptr 1
		.amdhsa_user_sgpr_dispatch_id 0
		.amdhsa_user_sgpr_flat_scratch_init 0
		.amdhsa_user_sgpr_kernarg_preload_length 0
		.amdhsa_user_sgpr_kernarg_preload_offset 0
		.amdhsa_user_sgpr_private_segment_size 0
		.amdhsa_uses_dynamic_stack 0
		.amdhsa_system_sgpr_private_segment_wavefront_offset 0
		.amdhsa_system_sgpr_workgroup_id_x 1
		.amdhsa_system_sgpr_workgroup_id_y 1
		.amdhsa_system_sgpr_workgroup_id_z 1
		.amdhsa_system_sgpr_workgroup_info 0
		.amdhsa_system_vgpr_workitem_id 0
		.amdhsa_next_free_vgpr 78
		.amdhsa_next_free_sgpr 51
		.amdhsa_accum_offset 80
		.amdhsa_reserve_vcc 1
		.amdhsa_reserve_flat_scratch 0
		.amdhsa_float_round_mode_32 0
		.amdhsa_float_round_mode_16_64 0
		.amdhsa_float_denorm_mode_32 3
		.amdhsa_float_denorm_mode_16_64 3
		.amdhsa_dx10_clamp 1
		.amdhsa_ieee_mode 1
		.amdhsa_fp16_overflow 0
		.amdhsa_tg_split 0
		.amdhsa_exception_fp_ieee_invalid_op 0
		.amdhsa_exception_fp_denorm_src 0
		.amdhsa_exception_fp_ieee_div_zero 0
		.amdhsa_exception_fp_ieee_overflow 0
		.amdhsa_exception_fp_ieee_underflow 0
		.amdhsa_exception_fp_ieee_inexact 0
		.amdhsa_exception_int_div_zero 0
	.end_amdhsa_kernel
	.section	.text._ZN4vllm25paged_attention_v2_kernelIfhLi96ELi16ELi128ELNS_18Fp8KVCacheDataTypeE1ELb0ELi512EEEvPfS2_PT_PKS3_PKT0_S9_ifPKiSB_iPKfiiiSD_SD_iiiii,"axG",@progbits,_ZN4vllm25paged_attention_v2_kernelIfhLi96ELi16ELi128ELNS_18Fp8KVCacheDataTypeE1ELb0ELi512EEEvPfS2_PT_PKS3_PKT0_S9_ifPKiSB_iPKfiiiSD_SD_iiiii,comdat
.Lfunc_end222:
	.size	_ZN4vllm25paged_attention_v2_kernelIfhLi96ELi16ELi128ELNS_18Fp8KVCacheDataTypeE1ELb0ELi512EEEvPfS2_PT_PKS3_PKT0_S9_ifPKiSB_iPKfiiiSD_SD_iiiii, .Lfunc_end222-_ZN4vllm25paged_attention_v2_kernelIfhLi96ELi16ELi128ELNS_18Fp8KVCacheDataTypeE1ELb0ELi512EEEvPfS2_PT_PKS3_PKT0_S9_ifPKiSB_iPKfiiiSD_SD_iiiii
                                        ; -- End function
	.section	.AMDGPU.csdata,"",@progbits
; Kernel info:
; codeLenInByte = 13400
; NumSgprs: 55
; NumVgprs: 78
; NumAgprs: 0
; TotalNumVgprs: 78
; ScratchSize: 0
; MemoryBound: 0
; FloatMode: 240
; IeeeMode: 1
; LDSByteSize: 400 bytes/workgroup (compile time only)
; SGPRBlocks: 6
; VGPRBlocks: 9
; NumSGPRsForWavesPerEU: 55
; NumVGPRsForWavesPerEU: 78
; AccumOffset: 80
; Occupancy: 6
; WaveLimiterHint : 1
; COMPUTE_PGM_RSRC2:SCRATCH_EN: 0
; COMPUTE_PGM_RSRC2:USER_SGPR: 6
; COMPUTE_PGM_RSRC2:TRAP_HANDLER: 0
; COMPUTE_PGM_RSRC2:TGID_X_EN: 1
; COMPUTE_PGM_RSRC2:TGID_Y_EN: 1
; COMPUTE_PGM_RSRC2:TGID_Z_EN: 1
; COMPUTE_PGM_RSRC2:TIDIG_COMP_CNT: 0
; COMPUTE_PGM_RSRC3_GFX90A:ACCUM_OFFSET: 19
; COMPUTE_PGM_RSRC3_GFX90A:TG_SPLIT: 0
	.section	.text._ZN4vllm25paged_attention_v2_kernelIfhLi112ELi16ELi128ELNS_18Fp8KVCacheDataTypeE1ELb0ELi512EEEvPfS2_PT_PKS3_PKT0_S9_ifPKiSB_iPKfiiiSD_SD_iiiii,"axG",@progbits,_ZN4vllm25paged_attention_v2_kernelIfhLi112ELi16ELi128ELNS_18Fp8KVCacheDataTypeE1ELb0ELi512EEEvPfS2_PT_PKS3_PKT0_S9_ifPKiSB_iPKfiiiSD_SD_iiiii,comdat
	.protected	_ZN4vllm25paged_attention_v2_kernelIfhLi112ELi16ELi128ELNS_18Fp8KVCacheDataTypeE1ELb0ELi512EEEvPfS2_PT_PKS3_PKT0_S9_ifPKiSB_iPKfiiiSD_SD_iiiii ; -- Begin function _ZN4vllm25paged_attention_v2_kernelIfhLi112ELi16ELi128ELNS_18Fp8KVCacheDataTypeE1ELb0ELi512EEEvPfS2_PT_PKS3_PKT0_S9_ifPKiSB_iPKfiiiSD_SD_iiiii
	.globl	_ZN4vllm25paged_attention_v2_kernelIfhLi112ELi16ELi128ELNS_18Fp8KVCacheDataTypeE1ELb0ELi512EEEvPfS2_PT_PKS3_PKT0_S9_ifPKiSB_iPKfiiiSD_SD_iiiii
	.p2align	8
	.type	_ZN4vllm25paged_attention_v2_kernelIfhLi112ELi16ELi128ELNS_18Fp8KVCacheDataTypeE1ELb0ELi512EEEvPfS2_PT_PKS3_PKT0_S9_ifPKiSB_iPKfiiiSD_SD_iiiii,@function
_ZN4vllm25paged_attention_v2_kernelIfhLi112ELi16ELi128ELNS_18Fp8KVCacheDataTypeE1ELb0ELi512EEEvPfS2_PT_PKS3_PKT0_S9_ifPKiSB_iPKfiiiSD_SD_iiiii: ; @_ZN4vllm25paged_attention_v2_kernelIfhLi112ELi16ELi128ELNS_18Fp8KVCacheDataTypeE1ELb0ELi512EEEvPfS2_PT_PKS3_PKT0_S9_ifPKiSB_iPKfiiiSD_SD_iiiii
; %bb.0:
	s_load_dwordx2 s[0:1], s[4:5], 0x40
	s_mov_b32 s28, s7
	s_ashr_i32 s29, s7, 31
	s_lshl_b64 s[2:3], s[28:29], 2
	s_waitcnt lgkmcnt(0)
	s_add_u32 s0, s0, s2
	s_addc_u32 s1, s1, s3
	s_load_dword s29, s[0:1], 0x0
	s_lshl_b32 s44, s8, 9
	s_waitcnt lgkmcnt(0)
	s_cmp_ge_i32 s44, s29
	s_cbranch_scc1 .LBB223_408
; %bb.1:
	s_load_dword s9, s[4:5], 0x90
	s_load_dwordx2 s[10:11], s[4:5], 0x30
	s_mov_b32 s45, 0
	s_waitcnt lgkmcnt(0)
	s_abs_i32 s2, s9
	s_abs_i32 s0, s10
	v_cvt_f32_u32_e32 v1, s0
	s_sub_i32 s3, 0, s0
	s_xor_b32 s1, s9, s10
	s_ashr_i32 s1, s1, 31
	v_rcp_iflag_f32_e32 v1, v1
	v_mul_f32_e32 v1, 0x4f7ffffe, v1
	v_cvt_u32_f32_e32 v1, v1
	v_readfirstlane_b32 s7, v1
	s_mul_i32 s3, s3, s7
	s_mul_hi_u32 s3, s7, s3
	s_add_i32 s7, s7, s3
	s_mul_hi_u32 s3, s2, s7
	s_mul_i32 s7, s3, s0
	s_sub_i32 s2, s2, s7
	s_add_i32 s10, s3, 1
	s_sub_i32 s7, s2, s0
	s_cmp_ge_u32 s2, s0
	s_cselect_b32 s3, s10, s3
	s_cselect_b32 s2, s7, s2
	s_add_i32 s7, s3, 1
	s_cmp_ge_u32 s2, s0
	s_cselect_b32 s0, s7, s3
	s_xor_b32 s0, s0, s1
	s_sub_i32 s10, s0, s1
	s_abs_i32 s2, s10
	v_cvt_f32_u32_e32 v1, s2
	s_load_dwordx2 s[0:1], s[4:5], 0x50
	s_sub_i32 s7, 0, s2
	s_abs_i32 s3, s6
	v_rcp_iflag_f32_e32 v1, v1
	v_mul_f32_e32 v1, 0x4f7ffffe, v1
	v_cvt_u32_f32_e32 v1, v1
	v_readfirstlane_b32 s12, v1
	s_mul_i32 s7, s7, s12
	s_mul_hi_u32 s7, s12, s7
	s_add_i32 s12, s12, s7
	s_waitcnt lgkmcnt(0)
	s_cmp_eq_u64 s[0:1], 0
	s_mul_hi_u32 s16, s3, s12
	s_cbranch_scc1 .LBB223_3
; %bb.2:
	s_ashr_i32 s7, s6, 31
	s_lshl_b64 s[12:13], s[6:7], 2
	s_add_u32 s0, s0, s12
	s_addc_u32 s1, s1, s13
	s_load_dword s45, s[0:1], 0x0
.LBB223_3:
	s_load_dwordx4 s[12:15], s[4:5], 0x58
	v_lshrrev_b32_e32 v31, 2, v0
	s_movk_i32 s7, 0x70
	s_ashr_i32 s17, s6, 31
	s_ashr_i32 s18, s10, 31
	v_and_b32_e32 v30, 3, v0
	s_mul_i32 s24, s6, 0x70
	v_cmp_gt_u32_e32 vcc, s7, v0
	v_lshlrev_b32_e32 v43, 2, v0
	v_lshlrev_b32_e32 v1, 2, v31
	s_and_saveexec_b64 s[0:1], vcc
	s_cbranch_execz .LBB223_5
; %bb.4:
	s_load_dwordx2 s[20:21], s[4:5], 0x18
	s_waitcnt lgkmcnt(0)
	s_mul_i32 s22, s28, s12
	s_ashr_i32 s23, s22, 31
	s_lshl_b64 s[22:23], s[22:23], 2
	v_mad_u32_u24 v3, v30, s7, v1
	s_add_u32 s10, s20, s22
	s_addc_u32 s12, s21, s23
	s_ashr_i32 s25, s24, 31
	s_lshl_b64 s[20:21], s[24:25], 2
	s_add_u32 s20, s10, s20
	s_addc_u32 s21, s12, s21
	global_load_dword v2, v43, s[20:21]
	s_waitcnt vmcnt(0)
	ds_write_b32 v3, v2
.LBB223_5:
	s_or_b64 exec, exec, s[0:1]
	s_add_i32 s0, s29, 15
	s_ashr_i32 s1, s0, 31
	s_lshr_b32 s1, s1, 28
	s_add_i32 s0, s0, s1
	s_lshl_b32 s10, s8, 5
	s_mul_i32 s1, s16, s2
	s_ashr_i32 s7, s0, 4
	s_add_i32 s0, s10, 32
	s_sub_i32 s1, s3, s1
	s_min_i32 s33, s0, s7
	s_xor_b32 s0, s17, s18
	s_add_i32 s3, s16, 1
	s_waitcnt lgkmcnt(0)
	s_sub_i32 s12, s1, s2
	s_cmp_ge_u32 s1, s2
	s_cselect_b32 s3, s3, s16
	s_cselect_b32 s1, s12, s1
	s_add_i32 s12, s3, 1
	s_cmp_ge_u32 s1, s2
	s_load_dwordx2 s[30:31], s[4:5], 0x38
	s_load_dword s2, s[4:5], 0x48
	v_lshrrev_b32_e32 v44, 6, v0
	s_cselect_b32 s1, s12, s3
	s_xor_b32 s1, s1, s0
	v_or_b32_e32 v32, s10, v44
	s_waitcnt lgkmcnt(0)
	s_mul_i32 s34, s28, s2
	s_sub_i32 s12, s1, s0
	s_ashr_i32 s35, s34, 31
	v_cmp_gt_i32_e64 s[0:1], s33, v32
	v_cmp_le_i32_e32 vcc, s33, v32
	v_mbcnt_lo_u32_b32 v36, -1, 0
	s_barrier
	s_waitcnt lgkmcnt(0)
                                        ; implicit-def: $sgpr15
                                        ; implicit-def: $vgpr45
                                        ; implicit-def: $vgpr46
	s_and_saveexec_b64 s[2:3], vcc
	s_xor_b64 s[2:3], exec, s[2:3]
; %bb.6:
	v_mbcnt_hi_u32_b32 v45, -1, v36
	v_and_b32_e32 v2, 64, v45
	v_add_u32_e32 v46, 64, v2
	s_mov_b32 s15, 0xff7fffff
                                        ; implicit-def: $vgpr36
; %bb.7:
	s_or_saveexec_b64 s[38:39], s[2:3]
	s_load_dwordx4 s[20:23], s[4:5], 0x0
	s_load_dwordx2 s[26:27], s[4:5], 0x10
	s_load_dword s25, s[4:5], 0x98
	s_load_dwordx2 s[36:37], s[4:5], 0x28
	s_load_dwordx4 s[16:19], s[4:5], 0x68
	v_mov_b32_e32 v47, s15
	s_mul_i32 s12, s12, s14
	v_ashrrev_i32_e32 v33, 31, v32
	s_xor_b64 exec, exec, s[38:39]
	s_cbranch_execz .LBB223_181
; %bb.8:
	s_load_dwordx2 s[2:3], s[4:5], 0x20
	s_ashr_i32 s4, s12, 31
	v_bfe_u32 v37, v0, 2, 4
	v_lshlrev_b32_e32 v2, 4, v37
	v_mbcnt_hi_u32_b32 v45, -1, v36
	s_waitcnt lgkmcnt(0)
	s_add_u32 s2, s2, s12
	s_addc_u32 s3, s3, s4
	v_mov_b32_e32 v3, s3
	v_add_co_u32_e32 v34, vcc, s2, v2
	v_and_b32_e32 v36, 64, v45
	v_addc_co_u32_e32 v35, vcc, 0, v3, vcc
	v_add_u32_e32 v46, 64, v36
	v_xor_b32_e32 v36, 2, v45
	v_mul_u32_u24_e32 v26, 0x70, v30
	v_cmp_lt_i32_e32 vcc, v36, v46
	ds_read_b128 v[2:5], v26
	ds_read_b128 v[6:9], v26 offset:16
	ds_read_b128 v[10:13], v26 offset:32
	;; [unrolled: 1-line block ×6, first 2 shown]
	v_cndmask_b32_e32 v36, v45, v36, vcc
	v_lshlrev_b32_e32 v48, 2, v36
	v_xor_b32_e32 v36, 1, v45
	v_cmp_lt_i32_e32 vcc, v36, v46
	v_cndmask_b32_e32 v36, v45, v36, vcc
	v_lshlrev_b32_e32 v49, 2, v36
	v_lshlrev_b32_e32 v36, 4, v44
	s_load_dword s47, s[16:17], 0x0
	s_sub_i32 s48, 1, s29
	v_add3_u32 v50, s44, v36, v37
	v_lshlrev_b32_e32 v36, 2, v37
	s_lshl_b64 s[14:15], s[34:35], 2
	v_lshl_or_b32 v36, v44, 6, v36
	s_add_u32 s14, s30, s14
	v_add_u32_e32 v51, 0x1d0, v36
	v_lshlrev_b64 v[36:37], 2, v[32:33]
	s_addc_u32 s15, s31, s15
	v_mov_b32_e32 v38, s15
	v_add_co_u32_e32 v36, vcc, s14, v36
	s_mov_b32 s46, s13
	v_cmp_eq_u32_e64 s[2:3], 0, v30
	v_cmp_neq_f32_e64 s[4:5], s45, 0
	v_addc_co_u32_e32 v37, vcc, v38, v37, vcc
	s_mov_b64 s[14:15], 0
	v_mov_b32_e32 v47, 0xff7fffff
	s_movk_i32 s49, 0x80
	s_movk_i32 s50, 0x7f
	v_bfrev_b32_e32 v52, 60
	v_mov_b32_e32 v53, v32
	s_branch .LBB223_10
.LBB223_9:                              ;   in Loop: Header=BB223_10 Depth=1
	s_or_b64 exec, exec, s[16:17]
	v_add_u32_e32 v53, 2, v53
	v_cmp_le_i32_e32 vcc, s33, v53
	s_or_b64 s[14:15], vcc, s[14:15]
	v_add_co_u32_e32 v36, vcc, 8, v36
	v_add_u32_e32 v50, 32, v50
	v_add_u32_e32 v51, 0x80, v51
	v_addc_co_u32_e32 v37, vcc, 0, v37, vcc
	s_andn2_b64 exec, exec, s[14:15]
	s_cbranch_execz .LBB223_180
.LBB223_10:                             ; =>This Inner Loop Header: Depth=1
	global_load_dword v38, v[36:37], off
	v_mov_b32_e32 v54, 0
	s_waitcnt vmcnt(0) lgkmcnt(0)
	v_mad_i64_i32 v[38:39], s[16:17], v38, s46, v[34:35]
	v_add_co_u32_e32 v38, vcc, v38, v30
	v_addc_co_u32_e32 v39, vcc, 0, v39, vcc
	global_load_ubyte v41, v[38:39], off
	s_waitcnt vmcnt(0)
	v_cmp_ne_u16_e32 vcc, 0, v41
	s_and_saveexec_b64 s[16:17], vcc
	s_cbranch_execz .LBB223_16
; %bb.11:                               ;   in Loop: Header=BB223_10 Depth=1
	v_cmp_ne_u16_e32 vcc, s49, v41
	v_bfrev_b32_e32 v54, 1
	s_and_saveexec_b64 s[40:41], vcc
	s_cbranch_execz .LBB223_15
; %bb.12:                               ;   in Loop: Header=BB223_10 Depth=1
	v_and_b32_e32 v40, 0xffff, v41
	v_and_b32_e32 v42, 0x7f, v40
	v_cmp_ne_u32_e32 vcc, s50, v42
	v_mov_b32_e32 v54, 0x7f800001
	s_and_saveexec_b64 s[42:43], vcc
	s_cbranch_execz .LBB223_14
; %bb.13:                               ;   in Loop: Header=BB223_10 Depth=1
	v_and_b32_e32 v56, 7, v40
	v_ffbh_u32_e32 v54, v56
	v_min_u32_e32 v58, 32, v54
	v_subrev_u32_e32 v54, 28, v58
	v_lshlrev_b64 v[54:55], v54, v[40:41]
	v_lshrrev_b32_e32 v57, 3, v42
	v_sub_u32_e32 v40, 29, v58
	v_and_b32_e32 v54, 7, v54
	v_cmp_gt_u32_e32 vcc, 8, v42
	v_cndmask_b32_e32 v40, v57, v40, vcc
	v_cndmask_b32_e32 v42, v56, v54, vcc
	v_lshlrev_b32_e32 v41, 24, v41
	v_lshlrev_b32_e32 v42, 20, v42
	v_and_b32_e32 v41, 0x80000000, v41
	v_lshl_add_u32 v40, v40, 23, v52
	v_or3_b32 v54, v41, v40, v42
.LBB223_14:                             ;   in Loop: Header=BB223_10 Depth=1
	s_or_b64 exec, exec, s[42:43]
.LBB223_15:                             ;   in Loop: Header=BB223_10 Depth=1
	s_or_b64 exec, exec, s[40:41]
.LBB223_16:                             ;   in Loop: Header=BB223_10 Depth=1
	s_or_b64 exec, exec, s[16:17]
	global_load_ubyte v41, v[38:39], off offset:4
	v_mov_b32_e32 v55, 0
	s_waitcnt vmcnt(0)
	v_cmp_ne_u16_e32 vcc, 0, v41
	s_and_saveexec_b64 s[16:17], vcc
	s_cbranch_execz .LBB223_22
; %bb.17:                               ;   in Loop: Header=BB223_10 Depth=1
	v_cmp_ne_u16_e32 vcc, s49, v41
	v_bfrev_b32_e32 v55, 1
	s_and_saveexec_b64 s[40:41], vcc
	s_cbranch_execz .LBB223_21
; %bb.18:                               ;   in Loop: Header=BB223_10 Depth=1
	v_and_b32_e32 v40, 0xffff, v41
	v_and_b32_e32 v42, 0x7f, v40
	v_cmp_ne_u32_e32 vcc, s50, v42
	v_mov_b32_e32 v55, 0x7f800001
	s_and_saveexec_b64 s[42:43], vcc
	s_cbranch_execz .LBB223_20
; %bb.19:                               ;   in Loop: Header=BB223_10 Depth=1
	v_and_b32_e32 v55, 7, v40
	v_ffbh_u32_e32 v56, v55
	v_min_u32_e32 v59, 32, v56
	v_subrev_u32_e32 v56, 28, v59
	v_lshlrev_b64 v[56:57], v56, v[40:41]
	v_lshrrev_b32_e32 v58, 3, v42
	v_sub_u32_e32 v40, 29, v59
	v_and_b32_e32 v56, 7, v56
	v_cmp_gt_u32_e32 vcc, 8, v42
	v_cndmask_b32_e32 v40, v58, v40, vcc
	v_cndmask_b32_e32 v42, v55, v56, vcc
	v_lshlrev_b32_e32 v41, 24, v41
	v_lshlrev_b32_e32 v42, 20, v42
	v_and_b32_e32 v41, 0x80000000, v41
	v_lshl_add_u32 v40, v40, 23, v52
	v_or3_b32 v55, v41, v40, v42
.LBB223_20:                             ;   in Loop: Header=BB223_10 Depth=1
	s_or_b64 exec, exec, s[42:43]
.LBB223_21:                             ;   in Loop: Header=BB223_10 Depth=1
	s_or_b64 exec, exec, s[40:41]
.LBB223_22:                             ;   in Loop: Header=BB223_10 Depth=1
	s_or_b64 exec, exec, s[16:17]
	global_load_ubyte v41, v[38:39], off offset:8
	v_mov_b32_e32 v56, 0
	v_mov_b32_e32 v57, 0
	s_waitcnt vmcnt(0)
	v_cmp_ne_u16_e32 vcc, 0, v41
	s_and_saveexec_b64 s[16:17], vcc
	s_cbranch_execz .LBB223_28
; %bb.23:                               ;   in Loop: Header=BB223_10 Depth=1
	v_cmp_ne_u16_e32 vcc, s49, v41
	v_bfrev_b32_e32 v57, 1
	s_and_saveexec_b64 s[40:41], vcc
	s_cbranch_execz .LBB223_27
; %bb.24:                               ;   in Loop: Header=BB223_10 Depth=1
	v_and_b32_e32 v40, 0xffff, v41
	v_and_b32_e32 v42, 0x7f, v40
	v_cmp_ne_u32_e32 vcc, s50, v42
	v_mov_b32_e32 v57, 0x7f800001
	s_and_saveexec_b64 s[42:43], vcc
	s_cbranch_execz .LBB223_26
; %bb.25:                               ;   in Loop: Header=BB223_10 Depth=1
	v_and_b32_e32 v57, 7, v40
	v_ffbh_u32_e32 v58, v57
	v_min_u32_e32 v61, 32, v58
	v_subrev_u32_e32 v58, 28, v61
	v_lshlrev_b64 v[58:59], v58, v[40:41]
	v_lshrrev_b32_e32 v60, 3, v42
	v_sub_u32_e32 v40, 29, v61
	v_and_b32_e32 v58, 7, v58
	v_cmp_gt_u32_e32 vcc, 8, v42
	v_cndmask_b32_e32 v40, v60, v40, vcc
	v_cndmask_b32_e32 v42, v57, v58, vcc
	v_lshlrev_b32_e32 v41, 24, v41
	v_lshlrev_b32_e32 v42, 20, v42
	v_and_b32_e32 v41, 0x80000000, v41
	v_lshl_add_u32 v40, v40, 23, v52
	v_or3_b32 v57, v41, v40, v42
.LBB223_26:                             ;   in Loop: Header=BB223_10 Depth=1
	s_or_b64 exec, exec, s[42:43]
.LBB223_27:                             ;   in Loop: Header=BB223_10 Depth=1
	s_or_b64 exec, exec, s[40:41]
.LBB223_28:                             ;   in Loop: Header=BB223_10 Depth=1
	s_or_b64 exec, exec, s[16:17]
	global_load_ubyte v41, v[38:39], off offset:12
	s_waitcnt vmcnt(0)
	v_cmp_ne_u16_e32 vcc, 0, v41
	s_and_saveexec_b64 s[16:17], vcc
	s_cbranch_execz .LBB223_34
; %bb.29:                               ;   in Loop: Header=BB223_10 Depth=1
	v_cmp_ne_u16_e32 vcc, s49, v41
	v_bfrev_b32_e32 v56, 1
	s_and_saveexec_b64 s[40:41], vcc
	s_cbranch_execz .LBB223_33
; %bb.30:                               ;   in Loop: Header=BB223_10 Depth=1
	v_and_b32_e32 v40, 0xffff, v41
	v_and_b32_e32 v42, 0x7f, v40
	v_cmp_ne_u32_e32 vcc, s50, v42
	v_mov_b32_e32 v56, 0x7f800001
	s_and_saveexec_b64 s[42:43], vcc
	s_cbranch_execz .LBB223_32
; %bb.31:                               ;   in Loop: Header=BB223_10 Depth=1
	v_and_b32_e32 v56, 7, v40
	v_ffbh_u32_e32 v58, v56
	v_min_u32_e32 v61, 32, v58
	v_subrev_u32_e32 v58, 28, v61
	v_lshlrev_b64 v[58:59], v58, v[40:41]
	v_lshrrev_b32_e32 v60, 3, v42
	v_sub_u32_e32 v40, 29, v61
	v_and_b32_e32 v58, 7, v58
	v_cmp_gt_u32_e32 vcc, 8, v42
	v_cndmask_b32_e32 v40, v60, v40, vcc
	v_cndmask_b32_e32 v42, v56, v58, vcc
	v_lshlrev_b32_e32 v41, 24, v41
	v_lshlrev_b32_e32 v42, 20, v42
	v_and_b32_e32 v41, 0x80000000, v41
	v_lshl_add_u32 v40, v40, 23, v52
	v_or3_b32 v56, v41, v40, v42
.LBB223_32:                             ;   in Loop: Header=BB223_10 Depth=1
	s_or_b64 exec, exec, s[42:43]
.LBB223_33:                             ;   in Loop: Header=BB223_10 Depth=1
	s_or_b64 exec, exec, s[40:41]
.LBB223_34:                             ;   in Loop: Header=BB223_10 Depth=1
	s_or_b64 exec, exec, s[16:17]
	global_load_ubyte v41, v[38:39], off offset:256
	v_mov_b32_e32 v58, 0
	v_mov_b32_e32 v59, 0
	s_waitcnt vmcnt(0)
	v_cmp_ne_u16_e32 vcc, 0, v41
	s_and_saveexec_b64 s[16:17], vcc
	s_cbranch_execz .LBB223_40
; %bb.35:                               ;   in Loop: Header=BB223_10 Depth=1
	v_cmp_ne_u16_e32 vcc, s49, v41
	v_bfrev_b32_e32 v59, 1
	s_and_saveexec_b64 s[40:41], vcc
	s_cbranch_execz .LBB223_39
; %bb.36:                               ;   in Loop: Header=BB223_10 Depth=1
	v_and_b32_e32 v40, 0xffff, v41
	v_and_b32_e32 v42, 0x7f, v40
	v_cmp_ne_u32_e32 vcc, s50, v42
	v_mov_b32_e32 v59, 0x7f800001
	s_and_saveexec_b64 s[42:43], vcc
	s_cbranch_execz .LBB223_38
; %bb.37:                               ;   in Loop: Header=BB223_10 Depth=1
	v_and_b32_e32 v59, 7, v40
	v_ffbh_u32_e32 v60, v59
	v_min_u32_e32 v63, 32, v60
	v_subrev_u32_e32 v60, 28, v63
	v_lshlrev_b64 v[60:61], v60, v[40:41]
	v_lshrrev_b32_e32 v62, 3, v42
	v_sub_u32_e32 v40, 29, v63
	v_and_b32_e32 v60, 7, v60
	v_cmp_gt_u32_e32 vcc, 8, v42
	v_cndmask_b32_e32 v40, v62, v40, vcc
	v_cndmask_b32_e32 v42, v59, v60, vcc
	v_lshlrev_b32_e32 v41, 24, v41
	v_lshlrev_b32_e32 v42, 20, v42
	v_and_b32_e32 v41, 0x80000000, v41
	v_lshl_add_u32 v40, v40, 23, v52
	v_or3_b32 v59, v41, v40, v42
.LBB223_38:                             ;   in Loop: Header=BB223_10 Depth=1
	s_or_b64 exec, exec, s[42:43]
.LBB223_39:                             ;   in Loop: Header=BB223_10 Depth=1
	s_or_b64 exec, exec, s[40:41]
.LBB223_40:                             ;   in Loop: Header=BB223_10 Depth=1
	s_or_b64 exec, exec, s[16:17]
	global_load_ubyte v41, v[38:39], off offset:260
	s_waitcnt vmcnt(0)
	v_cmp_ne_u16_e32 vcc, 0, v41
	s_and_saveexec_b64 s[16:17], vcc
	s_cbranch_execz .LBB223_46
; %bb.41:                               ;   in Loop: Header=BB223_10 Depth=1
	v_cmp_ne_u16_e32 vcc, s49, v41
	v_bfrev_b32_e32 v58, 1
	s_and_saveexec_b64 s[40:41], vcc
	s_cbranch_execz .LBB223_45
; %bb.42:                               ;   in Loop: Header=BB223_10 Depth=1
	v_and_b32_e32 v40, 0xffff, v41
	v_and_b32_e32 v42, 0x7f, v40
	v_cmp_ne_u32_e32 vcc, s50, v42
	v_mov_b32_e32 v58, 0x7f800001
	s_and_saveexec_b64 s[42:43], vcc
	s_cbranch_execz .LBB223_44
; %bb.43:                               ;   in Loop: Header=BB223_10 Depth=1
	v_and_b32_e32 v58, 7, v40
	v_ffbh_u32_e32 v60, v58
	v_min_u32_e32 v63, 32, v60
	v_subrev_u32_e32 v60, 28, v63
	v_lshlrev_b64 v[60:61], v60, v[40:41]
	v_lshrrev_b32_e32 v62, 3, v42
	v_sub_u32_e32 v40, 29, v63
	v_and_b32_e32 v60, 7, v60
	v_cmp_gt_u32_e32 vcc, 8, v42
	v_cndmask_b32_e32 v40, v62, v40, vcc
	v_cndmask_b32_e32 v42, v58, v60, vcc
	v_lshlrev_b32_e32 v41, 24, v41
	v_lshlrev_b32_e32 v42, 20, v42
	v_and_b32_e32 v41, 0x80000000, v41
	v_lshl_add_u32 v40, v40, 23, v52
	v_or3_b32 v58, v41, v40, v42
.LBB223_44:                             ;   in Loop: Header=BB223_10 Depth=1
	s_or_b64 exec, exec, s[42:43]
.LBB223_45:                             ;   in Loop: Header=BB223_10 Depth=1
	s_or_b64 exec, exec, s[40:41]
.LBB223_46:                             ;   in Loop: Header=BB223_10 Depth=1
	s_or_b64 exec, exec, s[16:17]
	v_add_co_u32_e32 v40, vcc, 0x100, v38
	v_addc_co_u32_e32 v41, vcc, 0, v39, vcc
	global_load_ubyte v62, v[40:41], off offset:8
	v_mov_b32_e32 v60, 0
	v_mov_b32_e32 v61, 0
	s_waitcnt vmcnt(0)
	v_cmp_ne_u16_e32 vcc, 0, v62
	s_and_saveexec_b64 s[16:17], vcc
	s_cbranch_execz .LBB223_52
; %bb.47:                               ;   in Loop: Header=BB223_10 Depth=1
	v_cmp_ne_u16_e32 vcc, s49, v62
	v_bfrev_b32_e32 v61, 1
	s_and_saveexec_b64 s[40:41], vcc
	s_cbranch_execz .LBB223_51
; %bb.48:                               ;   in Loop: Header=BB223_10 Depth=1
	v_and_b32_e32 v42, 0xffff, v62
	v_and_b32_e32 v63, 0x7f, v42
	v_cmp_ne_u32_e32 vcc, s50, v63
	v_mov_b32_e32 v61, 0x7f800001
	s_and_saveexec_b64 s[42:43], vcc
	s_cbranch_execz .LBB223_50
; %bb.49:                               ;   in Loop: Header=BB223_10 Depth=1
	v_and_b32_e32 v61, 7, v42
	v_ffbh_u32_e32 v64, v61
	v_min_u32_e32 v67, 32, v64
	v_subrev_u32_e32 v64, 28, v67
	v_lshlrev_b64 v[64:65], v64, v[42:43]
	v_lshrrev_b32_e32 v66, 3, v63
	v_sub_u32_e32 v42, 29, v67
	v_and_b32_e32 v64, 7, v64
	v_cmp_gt_u32_e32 vcc, 8, v63
	v_cndmask_b32_e32 v42, v66, v42, vcc
	v_cndmask_b32_e32 v61, v61, v64, vcc
	v_lshlrev_b32_e32 v62, 24, v62
	v_lshlrev_b32_e32 v61, 20, v61
	v_and_b32_e32 v62, 0x80000000, v62
	v_lshl_add_u32 v42, v42, 23, v52
	v_or3_b32 v61, v62, v42, v61
.LBB223_50:                             ;   in Loop: Header=BB223_10 Depth=1
	s_or_b64 exec, exec, s[42:43]
.LBB223_51:                             ;   in Loop: Header=BB223_10 Depth=1
	s_or_b64 exec, exec, s[40:41]
.LBB223_52:                             ;   in Loop: Header=BB223_10 Depth=1
	s_or_b64 exec, exec, s[16:17]
	global_load_ubyte v41, v[40:41], off offset:12
	s_waitcnt vmcnt(0)
	v_cmp_ne_u16_e32 vcc, 0, v41
	s_and_saveexec_b64 s[16:17], vcc
	s_cbranch_execz .LBB223_58
; %bb.53:                               ;   in Loop: Header=BB223_10 Depth=1
	v_cmp_ne_u16_e32 vcc, s49, v41
	v_bfrev_b32_e32 v60, 1
	s_and_saveexec_b64 s[40:41], vcc
	s_cbranch_execz .LBB223_57
; %bb.54:                               ;   in Loop: Header=BB223_10 Depth=1
	v_and_b32_e32 v40, 0xffff, v41
	v_and_b32_e32 v42, 0x7f, v40
	v_cmp_ne_u32_e32 vcc, s50, v42
	v_mov_b32_e32 v60, 0x7f800001
	s_and_saveexec_b64 s[42:43], vcc
	s_cbranch_execz .LBB223_56
; %bb.55:                               ;   in Loop: Header=BB223_10 Depth=1
	v_and_b32_e32 v60, 7, v40
	v_ffbh_u32_e32 v62, v60
	v_min_u32_e32 v65, 32, v62
	v_subrev_u32_e32 v62, 28, v65
	v_lshlrev_b64 v[62:63], v62, v[40:41]
	v_lshrrev_b32_e32 v64, 3, v42
	v_sub_u32_e32 v40, 29, v65
	v_and_b32_e32 v62, 7, v62
	v_cmp_gt_u32_e32 vcc, 8, v42
	v_cndmask_b32_e32 v40, v64, v40, vcc
	v_cndmask_b32_e32 v42, v60, v62, vcc
	v_lshlrev_b32_e32 v41, 24, v41
	v_lshlrev_b32_e32 v42, 20, v42
	v_and_b32_e32 v41, 0x80000000, v41
	v_lshl_add_u32 v40, v40, 23, v52
	v_or3_b32 v60, v41, v40, v42
.LBB223_56:                             ;   in Loop: Header=BB223_10 Depth=1
	s_or_b64 exec, exec, s[42:43]
.LBB223_57:                             ;   in Loop: Header=BB223_10 Depth=1
	s_or_b64 exec, exec, s[40:41]
.LBB223_58:                             ;   in Loop: Header=BB223_10 Depth=1
	s_or_b64 exec, exec, s[16:17]
	global_load_ubyte v41, v[38:39], off offset:512
	v_mov_b32_e32 v62, 0
	v_mov_b32_e32 v63, 0
	s_waitcnt vmcnt(0)
	v_cmp_ne_u16_e32 vcc, 0, v41
	s_and_saveexec_b64 s[16:17], vcc
	s_cbranch_execz .LBB223_64
; %bb.59:                               ;   in Loop: Header=BB223_10 Depth=1
	v_cmp_ne_u16_e32 vcc, s49, v41
	v_bfrev_b32_e32 v63, 1
	s_and_saveexec_b64 s[40:41], vcc
	s_cbranch_execz .LBB223_63
; %bb.60:                               ;   in Loop: Header=BB223_10 Depth=1
	v_and_b32_e32 v40, 0xffff, v41
	v_and_b32_e32 v42, 0x7f, v40
	v_cmp_ne_u32_e32 vcc, s50, v42
	v_mov_b32_e32 v63, 0x7f800001
	s_and_saveexec_b64 s[42:43], vcc
	s_cbranch_execz .LBB223_62
; %bb.61:                               ;   in Loop: Header=BB223_10 Depth=1
	v_and_b32_e32 v63, 7, v40
	v_ffbh_u32_e32 v64, v63
	v_min_u32_e32 v67, 32, v64
	v_subrev_u32_e32 v64, 28, v67
	v_lshlrev_b64 v[64:65], v64, v[40:41]
	v_lshrrev_b32_e32 v66, 3, v42
	v_sub_u32_e32 v40, 29, v67
	v_and_b32_e32 v64, 7, v64
	v_cmp_gt_u32_e32 vcc, 8, v42
	v_cndmask_b32_e32 v40, v66, v40, vcc
	v_cndmask_b32_e32 v42, v63, v64, vcc
	v_lshlrev_b32_e32 v41, 24, v41
	v_lshlrev_b32_e32 v42, 20, v42
	v_and_b32_e32 v41, 0x80000000, v41
	v_lshl_add_u32 v40, v40, 23, v52
	v_or3_b32 v63, v41, v40, v42
.LBB223_62:                             ;   in Loop: Header=BB223_10 Depth=1
	s_or_b64 exec, exec, s[42:43]
.LBB223_63:                             ;   in Loop: Header=BB223_10 Depth=1
	s_or_b64 exec, exec, s[40:41]
.LBB223_64:                             ;   in Loop: Header=BB223_10 Depth=1
	s_or_b64 exec, exec, s[16:17]
	global_load_ubyte v41, v[38:39], off offset:516
	s_waitcnt vmcnt(0)
	v_cmp_ne_u16_e32 vcc, 0, v41
	s_and_saveexec_b64 s[16:17], vcc
	s_cbranch_execz .LBB223_70
; %bb.65:                               ;   in Loop: Header=BB223_10 Depth=1
	v_cmp_ne_u16_e32 vcc, s49, v41
	v_bfrev_b32_e32 v62, 1
	s_and_saveexec_b64 s[40:41], vcc
	s_cbranch_execz .LBB223_69
; %bb.66:                               ;   in Loop: Header=BB223_10 Depth=1
	v_and_b32_e32 v40, 0xffff, v41
	v_and_b32_e32 v42, 0x7f, v40
	v_cmp_ne_u32_e32 vcc, s50, v42
	v_mov_b32_e32 v62, 0x7f800001
	s_and_saveexec_b64 s[42:43], vcc
	s_cbranch_execz .LBB223_68
; %bb.67:                               ;   in Loop: Header=BB223_10 Depth=1
	v_and_b32_e32 v62, 7, v40
	v_ffbh_u32_e32 v64, v62
	v_min_u32_e32 v67, 32, v64
	v_subrev_u32_e32 v64, 28, v67
	v_lshlrev_b64 v[64:65], v64, v[40:41]
	v_lshrrev_b32_e32 v66, 3, v42
	v_sub_u32_e32 v40, 29, v67
	v_and_b32_e32 v64, 7, v64
	v_cmp_gt_u32_e32 vcc, 8, v42
	v_cndmask_b32_e32 v40, v66, v40, vcc
	v_cndmask_b32_e32 v42, v62, v64, vcc
	v_lshlrev_b32_e32 v41, 24, v41
	v_lshlrev_b32_e32 v42, 20, v42
	v_and_b32_e32 v41, 0x80000000, v41
	v_lshl_add_u32 v40, v40, 23, v52
	v_or3_b32 v62, v41, v40, v42
.LBB223_68:                             ;   in Loop: Header=BB223_10 Depth=1
	s_or_b64 exec, exec, s[42:43]
.LBB223_69:                             ;   in Loop: Header=BB223_10 Depth=1
	s_or_b64 exec, exec, s[40:41]
.LBB223_70:                             ;   in Loop: Header=BB223_10 Depth=1
	s_or_b64 exec, exec, s[16:17]
	v_add_co_u32_e32 v40, vcc, 0x200, v38
	v_addc_co_u32_e32 v41, vcc, 0, v39, vcc
	global_load_ubyte v66, v[40:41], off offset:8
	v_mov_b32_e32 v64, 0
	v_mov_b32_e32 v65, 0
	s_waitcnt vmcnt(0)
	v_cmp_ne_u16_e32 vcc, 0, v66
	s_and_saveexec_b64 s[16:17], vcc
	s_cbranch_execz .LBB223_76
; %bb.71:                               ;   in Loop: Header=BB223_10 Depth=1
	v_cmp_ne_u16_e32 vcc, s49, v66
	v_bfrev_b32_e32 v65, 1
	s_and_saveexec_b64 s[40:41], vcc
	s_cbranch_execz .LBB223_75
; %bb.72:                               ;   in Loop: Header=BB223_10 Depth=1
	v_and_b32_e32 v42, 0xffff, v66
	v_and_b32_e32 v67, 0x7f, v42
	v_cmp_ne_u32_e32 vcc, s50, v67
	v_mov_b32_e32 v65, 0x7f800001
	s_and_saveexec_b64 s[42:43], vcc
	s_cbranch_execz .LBB223_74
; %bb.73:                               ;   in Loop: Header=BB223_10 Depth=1
	v_and_b32_e32 v65, 7, v42
	v_ffbh_u32_e32 v68, v65
	v_min_u32_e32 v71, 32, v68
	v_subrev_u32_e32 v68, 28, v71
	v_lshlrev_b64 v[68:69], v68, v[42:43]
	v_lshrrev_b32_e32 v70, 3, v67
	v_sub_u32_e32 v42, 29, v71
	v_and_b32_e32 v68, 7, v68
	v_cmp_gt_u32_e32 vcc, 8, v67
	v_cndmask_b32_e32 v42, v70, v42, vcc
	v_cndmask_b32_e32 v65, v65, v68, vcc
	v_lshlrev_b32_e32 v66, 24, v66
	v_lshlrev_b32_e32 v65, 20, v65
	v_and_b32_e32 v66, 0x80000000, v66
	v_lshl_add_u32 v42, v42, 23, v52
	v_or3_b32 v65, v66, v42, v65
.LBB223_74:                             ;   in Loop: Header=BB223_10 Depth=1
	s_or_b64 exec, exec, s[42:43]
.LBB223_75:                             ;   in Loop: Header=BB223_10 Depth=1
	s_or_b64 exec, exec, s[40:41]
.LBB223_76:                             ;   in Loop: Header=BB223_10 Depth=1
	s_or_b64 exec, exec, s[16:17]
	global_load_ubyte v41, v[40:41], off offset:12
	s_waitcnt vmcnt(0)
	v_cmp_ne_u16_e32 vcc, 0, v41
	s_and_saveexec_b64 s[16:17], vcc
	s_cbranch_execz .LBB223_82
; %bb.77:                               ;   in Loop: Header=BB223_10 Depth=1
	v_cmp_ne_u16_e32 vcc, s49, v41
	v_bfrev_b32_e32 v64, 1
	s_and_saveexec_b64 s[40:41], vcc
	s_cbranch_execz .LBB223_81
; %bb.78:                               ;   in Loop: Header=BB223_10 Depth=1
	v_and_b32_e32 v40, 0xffff, v41
	v_and_b32_e32 v42, 0x7f, v40
	v_cmp_ne_u32_e32 vcc, s50, v42
	v_mov_b32_e32 v64, 0x7f800001
	s_and_saveexec_b64 s[42:43], vcc
	s_cbranch_execz .LBB223_80
; %bb.79:                               ;   in Loop: Header=BB223_10 Depth=1
	v_and_b32_e32 v64, 7, v40
	v_ffbh_u32_e32 v66, v64
	v_min_u32_e32 v69, 32, v66
	v_subrev_u32_e32 v66, 28, v69
	v_lshlrev_b64 v[66:67], v66, v[40:41]
	v_lshrrev_b32_e32 v68, 3, v42
	v_sub_u32_e32 v40, 29, v69
	v_and_b32_e32 v66, 7, v66
	v_cmp_gt_u32_e32 vcc, 8, v42
	v_cndmask_b32_e32 v40, v68, v40, vcc
	v_cndmask_b32_e32 v42, v64, v66, vcc
	v_lshlrev_b32_e32 v41, 24, v41
	v_lshlrev_b32_e32 v42, 20, v42
	v_and_b32_e32 v41, 0x80000000, v41
	v_lshl_add_u32 v40, v40, 23, v52
	v_or3_b32 v64, v41, v40, v42
.LBB223_80:                             ;   in Loop: Header=BB223_10 Depth=1
	s_or_b64 exec, exec, s[42:43]
.LBB223_81:                             ;   in Loop: Header=BB223_10 Depth=1
	s_or_b64 exec, exec, s[40:41]
.LBB223_82:                             ;   in Loop: Header=BB223_10 Depth=1
	s_or_b64 exec, exec, s[16:17]
	global_load_ubyte v41, v[38:39], off offset:768
	v_mov_b32_e32 v66, 0
	v_mov_b32_e32 v67, 0
	s_waitcnt vmcnt(0)
	v_cmp_ne_u16_e32 vcc, 0, v41
	s_and_saveexec_b64 s[16:17], vcc
	s_cbranch_execz .LBB223_88
; %bb.83:                               ;   in Loop: Header=BB223_10 Depth=1
	v_cmp_ne_u16_e32 vcc, s49, v41
	v_bfrev_b32_e32 v67, 1
	s_and_saveexec_b64 s[40:41], vcc
	s_cbranch_execz .LBB223_87
; %bb.84:                               ;   in Loop: Header=BB223_10 Depth=1
	v_and_b32_e32 v40, 0xffff, v41
	v_and_b32_e32 v42, 0x7f, v40
	v_cmp_ne_u32_e32 vcc, s50, v42
	v_mov_b32_e32 v67, 0x7f800001
	s_and_saveexec_b64 s[42:43], vcc
	s_cbranch_execz .LBB223_86
; %bb.85:                               ;   in Loop: Header=BB223_10 Depth=1
	v_and_b32_e32 v67, 7, v40
	v_ffbh_u32_e32 v68, v67
	v_min_u32_e32 v71, 32, v68
	v_subrev_u32_e32 v68, 28, v71
	v_lshlrev_b64 v[68:69], v68, v[40:41]
	v_lshrrev_b32_e32 v70, 3, v42
	v_sub_u32_e32 v40, 29, v71
	v_and_b32_e32 v68, 7, v68
	v_cmp_gt_u32_e32 vcc, 8, v42
	v_cndmask_b32_e32 v40, v70, v40, vcc
	v_cndmask_b32_e32 v42, v67, v68, vcc
	v_lshlrev_b32_e32 v41, 24, v41
	v_lshlrev_b32_e32 v42, 20, v42
	v_and_b32_e32 v41, 0x80000000, v41
	v_lshl_add_u32 v40, v40, 23, v52
	v_or3_b32 v67, v41, v40, v42
.LBB223_86:                             ;   in Loop: Header=BB223_10 Depth=1
	s_or_b64 exec, exec, s[42:43]
.LBB223_87:                             ;   in Loop: Header=BB223_10 Depth=1
	s_or_b64 exec, exec, s[40:41]
.LBB223_88:                             ;   in Loop: Header=BB223_10 Depth=1
	s_or_b64 exec, exec, s[16:17]
	global_load_ubyte v41, v[38:39], off offset:772
	s_waitcnt vmcnt(0)
	v_cmp_ne_u16_e32 vcc, 0, v41
	s_and_saveexec_b64 s[16:17], vcc
	s_cbranch_execz .LBB223_94
; %bb.89:                               ;   in Loop: Header=BB223_10 Depth=1
	v_cmp_ne_u16_e32 vcc, s49, v41
	v_bfrev_b32_e32 v66, 1
	s_and_saveexec_b64 s[40:41], vcc
	s_cbranch_execz .LBB223_93
; %bb.90:                               ;   in Loop: Header=BB223_10 Depth=1
	v_and_b32_e32 v40, 0xffff, v41
	v_and_b32_e32 v42, 0x7f, v40
	v_cmp_ne_u32_e32 vcc, s50, v42
	v_mov_b32_e32 v66, 0x7f800001
	s_and_saveexec_b64 s[42:43], vcc
	s_cbranch_execz .LBB223_92
; %bb.91:                               ;   in Loop: Header=BB223_10 Depth=1
	v_and_b32_e32 v66, 7, v40
	v_ffbh_u32_e32 v68, v66
	v_min_u32_e32 v71, 32, v68
	v_subrev_u32_e32 v68, 28, v71
	v_lshlrev_b64 v[68:69], v68, v[40:41]
	v_lshrrev_b32_e32 v70, 3, v42
	v_sub_u32_e32 v40, 29, v71
	v_and_b32_e32 v68, 7, v68
	v_cmp_gt_u32_e32 vcc, 8, v42
	v_cndmask_b32_e32 v40, v70, v40, vcc
	v_cndmask_b32_e32 v42, v66, v68, vcc
	v_lshlrev_b32_e32 v41, 24, v41
	v_lshlrev_b32_e32 v42, 20, v42
	v_and_b32_e32 v41, 0x80000000, v41
	v_lshl_add_u32 v40, v40, 23, v52
	v_or3_b32 v66, v41, v40, v42
.LBB223_92:                             ;   in Loop: Header=BB223_10 Depth=1
	s_or_b64 exec, exec, s[42:43]
.LBB223_93:                             ;   in Loop: Header=BB223_10 Depth=1
	s_or_b64 exec, exec, s[40:41]
.LBB223_94:                             ;   in Loop: Header=BB223_10 Depth=1
	s_or_b64 exec, exec, s[16:17]
	v_add_co_u32_e32 v40, vcc, 0x300, v38
	v_addc_co_u32_e32 v41, vcc, 0, v39, vcc
	global_load_ubyte v70, v[40:41], off offset:8
	v_mov_b32_e32 v68, 0
	v_mov_b32_e32 v69, 0
	s_waitcnt vmcnt(0)
	v_cmp_ne_u16_e32 vcc, 0, v70
	s_and_saveexec_b64 s[16:17], vcc
	s_cbranch_execz .LBB223_100
; %bb.95:                               ;   in Loop: Header=BB223_10 Depth=1
	v_cmp_ne_u16_e32 vcc, s49, v70
	v_bfrev_b32_e32 v69, 1
	s_and_saveexec_b64 s[40:41], vcc
	s_cbranch_execz .LBB223_99
; %bb.96:                               ;   in Loop: Header=BB223_10 Depth=1
	v_and_b32_e32 v42, 0xffff, v70
	v_and_b32_e32 v71, 0x7f, v42
	v_cmp_ne_u32_e32 vcc, s50, v71
	v_mov_b32_e32 v69, 0x7f800001
	s_and_saveexec_b64 s[42:43], vcc
	s_cbranch_execz .LBB223_98
; %bb.97:                               ;   in Loop: Header=BB223_10 Depth=1
	v_and_b32_e32 v69, 7, v42
	v_ffbh_u32_e32 v72, v69
	v_min_u32_e32 v75, 32, v72
	v_subrev_u32_e32 v72, 28, v75
	v_lshlrev_b64 v[72:73], v72, v[42:43]
	v_lshrrev_b32_e32 v74, 3, v71
	v_sub_u32_e32 v42, 29, v75
	v_and_b32_e32 v72, 7, v72
	v_cmp_gt_u32_e32 vcc, 8, v71
	v_cndmask_b32_e32 v42, v74, v42, vcc
	v_cndmask_b32_e32 v69, v69, v72, vcc
	v_lshlrev_b32_e32 v70, 24, v70
	v_lshlrev_b32_e32 v69, 20, v69
	v_and_b32_e32 v70, 0x80000000, v70
	v_lshl_add_u32 v42, v42, 23, v52
	v_or3_b32 v69, v70, v42, v69
.LBB223_98:                             ;   in Loop: Header=BB223_10 Depth=1
	s_or_b64 exec, exec, s[42:43]
.LBB223_99:                             ;   in Loop: Header=BB223_10 Depth=1
	s_or_b64 exec, exec, s[40:41]
.LBB223_100:                            ;   in Loop: Header=BB223_10 Depth=1
	s_or_b64 exec, exec, s[16:17]
	global_load_ubyte v41, v[40:41], off offset:12
	s_waitcnt vmcnt(0)
	v_cmp_ne_u16_e32 vcc, 0, v41
	s_and_saveexec_b64 s[16:17], vcc
	s_cbranch_execz .LBB223_106
; %bb.101:                              ;   in Loop: Header=BB223_10 Depth=1
	v_cmp_ne_u16_e32 vcc, s49, v41
	v_bfrev_b32_e32 v68, 1
	s_and_saveexec_b64 s[40:41], vcc
	s_cbranch_execz .LBB223_105
; %bb.102:                              ;   in Loop: Header=BB223_10 Depth=1
	v_and_b32_e32 v40, 0xffff, v41
	v_and_b32_e32 v42, 0x7f, v40
	v_cmp_ne_u32_e32 vcc, s50, v42
	v_mov_b32_e32 v68, 0x7f800001
	s_and_saveexec_b64 s[42:43], vcc
	s_cbranch_execz .LBB223_104
; %bb.103:                              ;   in Loop: Header=BB223_10 Depth=1
	v_and_b32_e32 v68, 7, v40
	v_ffbh_u32_e32 v70, v68
	v_min_u32_e32 v73, 32, v70
	v_subrev_u32_e32 v70, 28, v73
	v_lshlrev_b64 v[70:71], v70, v[40:41]
	v_lshrrev_b32_e32 v72, 3, v42
	v_sub_u32_e32 v40, 29, v73
	v_and_b32_e32 v70, 7, v70
	v_cmp_gt_u32_e32 vcc, 8, v42
	v_cndmask_b32_e32 v40, v72, v40, vcc
	v_cndmask_b32_e32 v42, v68, v70, vcc
	v_lshlrev_b32_e32 v41, 24, v41
	v_lshlrev_b32_e32 v42, 20, v42
	v_and_b32_e32 v41, 0x80000000, v41
	v_lshl_add_u32 v40, v40, 23, v52
	v_or3_b32 v68, v41, v40, v42
.LBB223_104:                            ;   in Loop: Header=BB223_10 Depth=1
	s_or_b64 exec, exec, s[42:43]
.LBB223_105:                            ;   in Loop: Header=BB223_10 Depth=1
	s_or_b64 exec, exec, s[40:41]
.LBB223_106:                            ;   in Loop: Header=BB223_10 Depth=1
	s_or_b64 exec, exec, s[16:17]
	global_load_ubyte v41, v[38:39], off offset:1024
	v_mov_b32_e32 v70, 0
	v_mov_b32_e32 v71, 0
	s_waitcnt vmcnt(0)
	v_cmp_ne_u16_e32 vcc, 0, v41
	s_and_saveexec_b64 s[16:17], vcc
	s_cbranch_execz .LBB223_112
; %bb.107:                              ;   in Loop: Header=BB223_10 Depth=1
	v_cmp_ne_u16_e32 vcc, s49, v41
	v_bfrev_b32_e32 v71, 1
	s_and_saveexec_b64 s[40:41], vcc
	s_cbranch_execz .LBB223_111
; %bb.108:                              ;   in Loop: Header=BB223_10 Depth=1
	v_and_b32_e32 v40, 0xffff, v41
	v_and_b32_e32 v42, 0x7f, v40
	v_cmp_ne_u32_e32 vcc, s50, v42
	v_mov_b32_e32 v71, 0x7f800001
	s_and_saveexec_b64 s[42:43], vcc
	s_cbranch_execz .LBB223_110
; %bb.109:                              ;   in Loop: Header=BB223_10 Depth=1
	v_and_b32_e32 v71, 7, v40
	v_ffbh_u32_e32 v72, v71
	v_min_u32_e32 v75, 32, v72
	v_subrev_u32_e32 v72, 28, v75
	v_lshlrev_b64 v[72:73], v72, v[40:41]
	v_lshrrev_b32_e32 v74, 3, v42
	v_sub_u32_e32 v40, 29, v75
	v_and_b32_e32 v72, 7, v72
	v_cmp_gt_u32_e32 vcc, 8, v42
	v_cndmask_b32_e32 v40, v74, v40, vcc
	v_cndmask_b32_e32 v42, v71, v72, vcc
	v_lshlrev_b32_e32 v41, 24, v41
	v_lshlrev_b32_e32 v42, 20, v42
	v_and_b32_e32 v41, 0x80000000, v41
	v_lshl_add_u32 v40, v40, 23, v52
	v_or3_b32 v71, v41, v40, v42
.LBB223_110:                            ;   in Loop: Header=BB223_10 Depth=1
	s_or_b64 exec, exec, s[42:43]
.LBB223_111:                            ;   in Loop: Header=BB223_10 Depth=1
	s_or_b64 exec, exec, s[40:41]
.LBB223_112:                            ;   in Loop: Header=BB223_10 Depth=1
	s_or_b64 exec, exec, s[16:17]
	global_load_ubyte v41, v[38:39], off offset:1028
	s_waitcnt vmcnt(0)
	v_cmp_ne_u16_e32 vcc, 0, v41
	s_and_saveexec_b64 s[16:17], vcc
	s_cbranch_execz .LBB223_118
; %bb.113:                              ;   in Loop: Header=BB223_10 Depth=1
	v_cmp_ne_u16_e32 vcc, s49, v41
	v_bfrev_b32_e32 v70, 1
	s_and_saveexec_b64 s[40:41], vcc
	s_cbranch_execz .LBB223_117
; %bb.114:                              ;   in Loop: Header=BB223_10 Depth=1
	v_and_b32_e32 v40, 0xffff, v41
	v_and_b32_e32 v42, 0x7f, v40
	v_cmp_ne_u32_e32 vcc, s50, v42
	v_mov_b32_e32 v70, 0x7f800001
	s_and_saveexec_b64 s[42:43], vcc
	s_cbranch_execz .LBB223_116
; %bb.115:                              ;   in Loop: Header=BB223_10 Depth=1
	v_and_b32_e32 v70, 7, v40
	v_ffbh_u32_e32 v72, v70
	v_min_u32_e32 v75, 32, v72
	v_subrev_u32_e32 v72, 28, v75
	v_lshlrev_b64 v[72:73], v72, v[40:41]
	v_lshrrev_b32_e32 v74, 3, v42
	v_sub_u32_e32 v40, 29, v75
	v_and_b32_e32 v72, 7, v72
	v_cmp_gt_u32_e32 vcc, 8, v42
	v_cndmask_b32_e32 v40, v74, v40, vcc
	v_cndmask_b32_e32 v42, v70, v72, vcc
	v_lshlrev_b32_e32 v41, 24, v41
	v_lshlrev_b32_e32 v42, 20, v42
	v_and_b32_e32 v41, 0x80000000, v41
	v_lshl_add_u32 v40, v40, 23, v52
	v_or3_b32 v70, v41, v40, v42
.LBB223_116:                            ;   in Loop: Header=BB223_10 Depth=1
	s_or_b64 exec, exec, s[42:43]
.LBB223_117:                            ;   in Loop: Header=BB223_10 Depth=1
	s_or_b64 exec, exec, s[40:41]
.LBB223_118:                            ;   in Loop: Header=BB223_10 Depth=1
	s_or_b64 exec, exec, s[16:17]
	v_add_co_u32_e32 v40, vcc, 0x400, v38
	v_addc_co_u32_e32 v41, vcc, 0, v39, vcc
	global_load_ubyte v74, v[40:41], off offset:8
	v_mov_b32_e32 v72, 0
	v_mov_b32_e32 v73, 0
	s_waitcnt vmcnt(0)
	v_cmp_ne_u16_e32 vcc, 0, v74
	s_and_saveexec_b64 s[16:17], vcc
	s_cbranch_execz .LBB223_124
; %bb.119:                              ;   in Loop: Header=BB223_10 Depth=1
	v_cmp_ne_u16_e32 vcc, s49, v74
	v_bfrev_b32_e32 v73, 1
	s_and_saveexec_b64 s[40:41], vcc
	s_cbranch_execz .LBB223_123
; %bb.120:                              ;   in Loop: Header=BB223_10 Depth=1
	v_and_b32_e32 v42, 0xffff, v74
	v_and_b32_e32 v75, 0x7f, v42
	v_cmp_ne_u32_e32 vcc, s50, v75
	v_mov_b32_e32 v73, 0x7f800001
	s_and_saveexec_b64 s[42:43], vcc
	s_cbranch_execz .LBB223_122
; %bb.121:                              ;   in Loop: Header=BB223_10 Depth=1
	v_and_b32_e32 v73, 7, v42
	v_ffbh_u32_e32 v76, v73
	v_min_u32_e32 v79, 32, v76
	v_subrev_u32_e32 v76, 28, v79
	v_lshlrev_b64 v[76:77], v76, v[42:43]
	v_lshrrev_b32_e32 v78, 3, v75
	v_sub_u32_e32 v42, 29, v79
	v_and_b32_e32 v76, 7, v76
	v_cmp_gt_u32_e32 vcc, 8, v75
	v_cndmask_b32_e32 v42, v78, v42, vcc
	v_cndmask_b32_e32 v73, v73, v76, vcc
	v_lshlrev_b32_e32 v74, 24, v74
	v_lshlrev_b32_e32 v73, 20, v73
	v_and_b32_e32 v74, 0x80000000, v74
	v_lshl_add_u32 v42, v42, 23, v52
	v_or3_b32 v73, v74, v42, v73
.LBB223_122:                            ;   in Loop: Header=BB223_10 Depth=1
	s_or_b64 exec, exec, s[42:43]
.LBB223_123:                            ;   in Loop: Header=BB223_10 Depth=1
	s_or_b64 exec, exec, s[40:41]
.LBB223_124:                            ;   in Loop: Header=BB223_10 Depth=1
	s_or_b64 exec, exec, s[16:17]
	global_load_ubyte v41, v[40:41], off offset:12
	s_waitcnt vmcnt(0)
	v_cmp_ne_u16_e32 vcc, 0, v41
	s_and_saveexec_b64 s[16:17], vcc
	s_cbranch_execz .LBB223_130
; %bb.125:                              ;   in Loop: Header=BB223_10 Depth=1
	v_cmp_ne_u16_e32 vcc, s49, v41
	v_bfrev_b32_e32 v72, 1
	s_and_saveexec_b64 s[40:41], vcc
	s_cbranch_execz .LBB223_129
; %bb.126:                              ;   in Loop: Header=BB223_10 Depth=1
	v_and_b32_e32 v40, 0xffff, v41
	v_and_b32_e32 v42, 0x7f, v40
	v_cmp_ne_u32_e32 vcc, s50, v42
	v_mov_b32_e32 v72, 0x7f800001
	s_and_saveexec_b64 s[42:43], vcc
	s_cbranch_execz .LBB223_128
; %bb.127:                              ;   in Loop: Header=BB223_10 Depth=1
	v_and_b32_e32 v72, 7, v40
	v_ffbh_u32_e32 v74, v72
	v_min_u32_e32 v77, 32, v74
	v_subrev_u32_e32 v74, 28, v77
	v_lshlrev_b64 v[74:75], v74, v[40:41]
	v_lshrrev_b32_e32 v76, 3, v42
	v_sub_u32_e32 v40, 29, v77
	v_and_b32_e32 v74, 7, v74
	v_cmp_gt_u32_e32 vcc, 8, v42
	v_cndmask_b32_e32 v40, v76, v40, vcc
	v_cndmask_b32_e32 v42, v72, v74, vcc
	v_lshlrev_b32_e32 v41, 24, v41
	v_lshlrev_b32_e32 v42, 20, v42
	v_and_b32_e32 v41, 0x80000000, v41
	v_lshl_add_u32 v40, v40, 23, v52
	v_or3_b32 v72, v41, v40, v42
.LBB223_128:                            ;   in Loop: Header=BB223_10 Depth=1
	s_or_b64 exec, exec, s[42:43]
.LBB223_129:                            ;   in Loop: Header=BB223_10 Depth=1
	s_or_b64 exec, exec, s[40:41]
.LBB223_130:                            ;   in Loop: Header=BB223_10 Depth=1
	s_or_b64 exec, exec, s[16:17]
	global_load_ubyte v41, v[38:39], off offset:1280
	v_mov_b32_e32 v74, 0
	v_mov_b32_e32 v75, 0
	s_waitcnt vmcnt(0)
	v_cmp_ne_u16_e32 vcc, 0, v41
	s_and_saveexec_b64 s[16:17], vcc
	s_cbranch_execz .LBB223_136
; %bb.131:                              ;   in Loop: Header=BB223_10 Depth=1
	v_cmp_ne_u16_e32 vcc, s49, v41
	v_bfrev_b32_e32 v75, 1
	s_and_saveexec_b64 s[40:41], vcc
	s_cbranch_execz .LBB223_135
; %bb.132:                              ;   in Loop: Header=BB223_10 Depth=1
	v_and_b32_e32 v40, 0xffff, v41
	v_and_b32_e32 v42, 0x7f, v40
	v_cmp_ne_u32_e32 vcc, s50, v42
	v_mov_b32_e32 v75, 0x7f800001
	s_and_saveexec_b64 s[42:43], vcc
	s_cbranch_execz .LBB223_134
; %bb.133:                              ;   in Loop: Header=BB223_10 Depth=1
	v_and_b32_e32 v75, 7, v40
	v_ffbh_u32_e32 v76, v75
	v_min_u32_e32 v79, 32, v76
	v_subrev_u32_e32 v76, 28, v79
	v_lshlrev_b64 v[76:77], v76, v[40:41]
	v_lshrrev_b32_e32 v78, 3, v42
	v_sub_u32_e32 v40, 29, v79
	v_and_b32_e32 v76, 7, v76
	v_cmp_gt_u32_e32 vcc, 8, v42
	v_cndmask_b32_e32 v40, v78, v40, vcc
	v_cndmask_b32_e32 v42, v75, v76, vcc
	v_lshlrev_b32_e32 v41, 24, v41
	v_lshlrev_b32_e32 v42, 20, v42
	v_and_b32_e32 v41, 0x80000000, v41
	v_lshl_add_u32 v40, v40, 23, v52
	v_or3_b32 v75, v41, v40, v42
.LBB223_134:                            ;   in Loop: Header=BB223_10 Depth=1
	s_or_b64 exec, exec, s[42:43]
.LBB223_135:                            ;   in Loop: Header=BB223_10 Depth=1
	s_or_b64 exec, exec, s[40:41]
.LBB223_136:                            ;   in Loop: Header=BB223_10 Depth=1
	s_or_b64 exec, exec, s[16:17]
	global_load_ubyte v41, v[38:39], off offset:1284
	s_waitcnt vmcnt(0)
	v_cmp_ne_u16_e32 vcc, 0, v41
	s_and_saveexec_b64 s[16:17], vcc
	s_cbranch_execz .LBB223_142
; %bb.137:                              ;   in Loop: Header=BB223_10 Depth=1
	v_cmp_ne_u16_e32 vcc, s49, v41
	v_bfrev_b32_e32 v74, 1
	s_and_saveexec_b64 s[40:41], vcc
	s_cbranch_execz .LBB223_141
; %bb.138:                              ;   in Loop: Header=BB223_10 Depth=1
	v_and_b32_e32 v40, 0xffff, v41
	v_and_b32_e32 v42, 0x7f, v40
	v_cmp_ne_u32_e32 vcc, s50, v42
	v_mov_b32_e32 v74, 0x7f800001
	s_and_saveexec_b64 s[42:43], vcc
	s_cbranch_execz .LBB223_140
; %bb.139:                              ;   in Loop: Header=BB223_10 Depth=1
	v_and_b32_e32 v74, 7, v40
	v_ffbh_u32_e32 v76, v74
	v_min_u32_e32 v79, 32, v76
	v_subrev_u32_e32 v76, 28, v79
	v_lshlrev_b64 v[76:77], v76, v[40:41]
	v_lshrrev_b32_e32 v78, 3, v42
	v_sub_u32_e32 v40, 29, v79
	v_and_b32_e32 v76, 7, v76
	v_cmp_gt_u32_e32 vcc, 8, v42
	v_cndmask_b32_e32 v40, v78, v40, vcc
	v_cndmask_b32_e32 v42, v74, v76, vcc
	v_lshlrev_b32_e32 v41, 24, v41
	v_lshlrev_b32_e32 v42, 20, v42
	v_and_b32_e32 v41, 0x80000000, v41
	v_lshl_add_u32 v40, v40, 23, v52
	v_or3_b32 v74, v41, v40, v42
.LBB223_140:                            ;   in Loop: Header=BB223_10 Depth=1
	s_or_b64 exec, exec, s[42:43]
.LBB223_141:                            ;   in Loop: Header=BB223_10 Depth=1
	s_or_b64 exec, exec, s[40:41]
.LBB223_142:                            ;   in Loop: Header=BB223_10 Depth=1
	s_or_b64 exec, exec, s[16:17]
	v_add_co_u32_e32 v40, vcc, 0x500, v38
	v_addc_co_u32_e32 v41, vcc, 0, v39, vcc
	global_load_ubyte v78, v[40:41], off offset:8
	v_mov_b32_e32 v76, 0
	v_mov_b32_e32 v77, 0
	s_waitcnt vmcnt(0)
	v_cmp_ne_u16_e32 vcc, 0, v78
	s_and_saveexec_b64 s[16:17], vcc
	s_cbranch_execz .LBB223_148
; %bb.143:                              ;   in Loop: Header=BB223_10 Depth=1
	v_cmp_ne_u16_e32 vcc, s49, v78
	v_bfrev_b32_e32 v77, 1
	s_and_saveexec_b64 s[40:41], vcc
	s_cbranch_execz .LBB223_147
; %bb.144:                              ;   in Loop: Header=BB223_10 Depth=1
	v_and_b32_e32 v42, 0xffff, v78
	v_and_b32_e32 v79, 0x7f, v42
	v_cmp_ne_u32_e32 vcc, s50, v79
	v_mov_b32_e32 v77, 0x7f800001
	s_and_saveexec_b64 s[42:43], vcc
	s_cbranch_execz .LBB223_146
; %bb.145:                              ;   in Loop: Header=BB223_10 Depth=1
	v_and_b32_e32 v77, 7, v42
	v_ffbh_u32_e32 v80, v77
	v_min_u32_e32 v83, 32, v80
	v_subrev_u32_e32 v80, 28, v83
	v_lshlrev_b64 v[80:81], v80, v[42:43]
	v_lshrrev_b32_e32 v82, 3, v79
	v_sub_u32_e32 v42, 29, v83
	v_and_b32_e32 v80, 7, v80
	v_cmp_gt_u32_e32 vcc, 8, v79
	v_cndmask_b32_e32 v42, v82, v42, vcc
	v_cndmask_b32_e32 v77, v77, v80, vcc
	v_lshlrev_b32_e32 v78, 24, v78
	v_lshlrev_b32_e32 v77, 20, v77
	v_and_b32_e32 v78, 0x80000000, v78
	v_lshl_add_u32 v42, v42, 23, v52
	v_or3_b32 v77, v78, v42, v77
.LBB223_146:                            ;   in Loop: Header=BB223_10 Depth=1
	s_or_b64 exec, exec, s[42:43]
.LBB223_147:                            ;   in Loop: Header=BB223_10 Depth=1
	s_or_b64 exec, exec, s[40:41]
.LBB223_148:                            ;   in Loop: Header=BB223_10 Depth=1
	s_or_b64 exec, exec, s[16:17]
	global_load_ubyte v41, v[40:41], off offset:12
	s_waitcnt vmcnt(0)
	v_cmp_ne_u16_e32 vcc, 0, v41
	s_and_saveexec_b64 s[16:17], vcc
	s_cbranch_execz .LBB223_154
; %bb.149:                              ;   in Loop: Header=BB223_10 Depth=1
	v_cmp_ne_u16_e32 vcc, s49, v41
	v_bfrev_b32_e32 v76, 1
	s_and_saveexec_b64 s[40:41], vcc
	s_cbranch_execz .LBB223_153
; %bb.150:                              ;   in Loop: Header=BB223_10 Depth=1
	v_and_b32_e32 v40, 0xffff, v41
	v_and_b32_e32 v42, 0x7f, v40
	v_cmp_ne_u32_e32 vcc, s50, v42
	v_mov_b32_e32 v76, 0x7f800001
	s_and_saveexec_b64 s[42:43], vcc
	s_cbranch_execz .LBB223_152
; %bb.151:                              ;   in Loop: Header=BB223_10 Depth=1
	v_and_b32_e32 v76, 7, v40
	v_ffbh_u32_e32 v78, v76
	v_min_u32_e32 v81, 32, v78
	v_subrev_u32_e32 v78, 28, v81
	v_lshlrev_b64 v[78:79], v78, v[40:41]
	v_lshrrev_b32_e32 v80, 3, v42
	v_sub_u32_e32 v40, 29, v81
	v_and_b32_e32 v78, 7, v78
	v_cmp_gt_u32_e32 vcc, 8, v42
	v_cndmask_b32_e32 v40, v80, v40, vcc
	v_cndmask_b32_e32 v42, v76, v78, vcc
	v_lshlrev_b32_e32 v41, 24, v41
	v_lshlrev_b32_e32 v42, 20, v42
	v_and_b32_e32 v41, 0x80000000, v41
	v_lshl_add_u32 v40, v40, 23, v52
	v_or3_b32 v76, v41, v40, v42
.LBB223_152:                            ;   in Loop: Header=BB223_10 Depth=1
	s_or_b64 exec, exec, s[42:43]
.LBB223_153:                            ;   in Loop: Header=BB223_10 Depth=1
	s_or_b64 exec, exec, s[40:41]
.LBB223_154:                            ;   in Loop: Header=BB223_10 Depth=1
	s_or_b64 exec, exec, s[16:17]
	global_load_ubyte v78, v[38:39], off offset:1536
	v_mov_b32_e32 v41, 0
	v_mov_b32_e32 v42, 0
	s_waitcnt vmcnt(0)
	v_cmp_ne_u16_e32 vcc, 0, v78
	s_and_saveexec_b64 s[16:17], vcc
	s_cbranch_execz .LBB223_160
; %bb.155:                              ;   in Loop: Header=BB223_10 Depth=1
	v_cmp_ne_u16_e32 vcc, s49, v78
	v_bfrev_b32_e32 v42, 1
	s_and_saveexec_b64 s[40:41], vcc
	s_cbranch_execz .LBB223_159
; %bb.156:                              ;   in Loop: Header=BB223_10 Depth=1
	v_and_b32_e32 v40, 0xffff, v78
	v_and_b32_e32 v79, 0x7f, v40
	v_cmp_ne_u32_e32 vcc, s50, v79
	v_mov_b32_e32 v42, 0x7f800001
	s_and_saveexec_b64 s[42:43], vcc
	s_cbranch_execz .LBB223_158
; %bb.157:                              ;   in Loop: Header=BB223_10 Depth=1
	v_and_b32_e32 v42, 7, v40
	v_ffbh_u32_e32 v80, v42
	v_min_u32_e32 v83, 32, v80
	v_subrev_u32_e32 v80, 28, v83
	v_lshlrev_b64 v[80:81], v80, v[40:41]
	v_lshrrev_b32_e32 v82, 3, v79
	v_sub_u32_e32 v40, 29, v83
	v_and_b32_e32 v80, 7, v80
	v_cmp_gt_u32_e32 vcc, 8, v79
	v_cndmask_b32_e32 v40, v82, v40, vcc
	v_cndmask_b32_e32 v42, v42, v80, vcc
	v_lshlrev_b32_e32 v78, 24, v78
	v_lshlrev_b32_e32 v42, 20, v42
	v_and_b32_e32 v78, 0x80000000, v78
	v_lshl_add_u32 v40, v40, 23, v52
	v_or3_b32 v42, v78, v40, v42
.LBB223_158:                            ;   in Loop: Header=BB223_10 Depth=1
	s_or_b64 exec, exec, s[42:43]
.LBB223_159:                            ;   in Loop: Header=BB223_10 Depth=1
	s_or_b64 exec, exec, s[40:41]
.LBB223_160:                            ;   in Loop: Header=BB223_10 Depth=1
	s_or_b64 exec, exec, s[16:17]
	global_load_ubyte v78, v[38:39], off offset:1540
	s_waitcnt vmcnt(0)
	v_cmp_ne_u16_e32 vcc, 0, v78
	s_and_saveexec_b64 s[16:17], vcc
	s_cbranch_execz .LBB223_166
; %bb.161:                              ;   in Loop: Header=BB223_10 Depth=1
	v_cmp_ne_u16_e32 vcc, s49, v78
	v_bfrev_b32_e32 v41, 1
	s_and_saveexec_b64 s[40:41], vcc
	s_cbranch_execz .LBB223_165
; %bb.162:                              ;   in Loop: Header=BB223_10 Depth=1
	v_and_b32_e32 v40, 0xffff, v78
	v_and_b32_e32 v79, 0x7f, v40
	v_cmp_ne_u32_e32 vcc, s50, v79
	v_mov_b32_e32 v41, 0x7f800001
	s_and_saveexec_b64 s[42:43], vcc
	s_cbranch_execz .LBB223_164
; %bb.163:                              ;   in Loop: Header=BB223_10 Depth=1
	v_and_b32_e32 v80, 7, v40
	v_ffbh_u32_e32 v41, v80
	v_min_u32_e32 v82, 32, v41
	v_subrev_u32_e32 v41, 28, v82
	v_lshlrev_b64 v[40:41], v41, v[40:41]
	v_lshrrev_b32_e32 v81, 3, v79
	v_sub_u32_e32 v41, 29, v82
	v_and_b32_e32 v40, 7, v40
	v_cmp_gt_u32_e32 vcc, 8, v79
	v_cndmask_b32_e32 v41, v81, v41, vcc
	v_cndmask_b32_e32 v40, v80, v40, vcc
	v_lshlrev_b32_e32 v78, 24, v78
	v_lshlrev_b32_e32 v40, 20, v40
	v_and_b32_e32 v78, 0x80000000, v78
	v_lshl_add_u32 v41, v41, 23, v52
	v_or3_b32 v41, v78, v41, v40
.LBB223_164:                            ;   in Loop: Header=BB223_10 Depth=1
	s_or_b64 exec, exec, s[42:43]
.LBB223_165:                            ;   in Loop: Header=BB223_10 Depth=1
	s_or_b64 exec, exec, s[40:41]
.LBB223_166:                            ;   in Loop: Header=BB223_10 Depth=1
	s_or_b64 exec, exec, s[16:17]
	v_add_co_u32_e32 v38, vcc, 0x600, v38
	v_addc_co_u32_e32 v39, vcc, 0, v39, vcc
	global_load_ubyte v80, v[38:39], off offset:8
	v_mov_b32_e32 v78, 0
	v_mov_b32_e32 v79, 0
	s_waitcnt vmcnt(0)
	v_cmp_ne_u16_e32 vcc, 0, v80
	s_and_saveexec_b64 s[16:17], vcc
	s_cbranch_execz .LBB223_172
; %bb.167:                              ;   in Loop: Header=BB223_10 Depth=1
	v_cmp_ne_u16_e32 vcc, s49, v80
	v_bfrev_b32_e32 v79, 1
	s_and_saveexec_b64 s[40:41], vcc
	s_cbranch_execz .LBB223_171
; %bb.168:                              ;   in Loop: Header=BB223_10 Depth=1
	v_and_b32_e32 v40, 0xffff, v80
	v_and_b32_e32 v81, 0x7f, v40
	v_cmp_ne_u32_e32 vcc, s50, v81
	v_mov_b32_e32 v79, 0x7f800001
	s_and_saveexec_b64 s[42:43], vcc
	s_cbranch_execz .LBB223_170
; %bb.169:                              ;   in Loop: Header=BB223_10 Depth=1
	v_and_b32_e32 v79, 7, v40
	v_ffbh_u32_e32 v82, v79
	v_min_u32_e32 v85, 32, v82
	v_subrev_u32_e32 v82, 28, v85
	v_lshlrev_b64 v[82:83], v82, v[40:41]
	v_lshrrev_b32_e32 v84, 3, v81
	v_sub_u32_e32 v40, 29, v85
	v_and_b32_e32 v82, 7, v82
	v_cmp_gt_u32_e32 vcc, 8, v81
	v_cndmask_b32_e32 v40, v84, v40, vcc
	v_cndmask_b32_e32 v79, v79, v82, vcc
	v_lshlrev_b32_e32 v80, 24, v80
	v_lshlrev_b32_e32 v79, 20, v79
	v_and_b32_e32 v80, 0x80000000, v80
	v_lshl_add_u32 v40, v40, 23, v52
	v_or3_b32 v79, v80, v40, v79
.LBB223_170:                            ;   in Loop: Header=BB223_10 Depth=1
	s_or_b64 exec, exec, s[42:43]
.LBB223_171:                            ;   in Loop: Header=BB223_10 Depth=1
	s_or_b64 exec, exec, s[40:41]
.LBB223_172:                            ;   in Loop: Header=BB223_10 Depth=1
	s_or_b64 exec, exec, s[16:17]
	global_load_ubyte v39, v[38:39], off offset:12
	s_waitcnt vmcnt(0)
	v_cmp_ne_u16_e32 vcc, 0, v39
	s_and_saveexec_b64 s[16:17], vcc
	s_cbranch_execz .LBB223_178
; %bb.173:                              ;   in Loop: Header=BB223_10 Depth=1
	v_cmp_ne_u16_e32 vcc, s49, v39
	v_bfrev_b32_e32 v78, 1
	s_and_saveexec_b64 s[40:41], vcc
	s_cbranch_execz .LBB223_177
; %bb.174:                              ;   in Loop: Header=BB223_10 Depth=1
	v_and_b32_e32 v38, 0xffff, v39
	v_and_b32_e32 v40, 0x7f, v38
	v_cmp_ne_u32_e32 vcc, s50, v40
	v_mov_b32_e32 v78, 0x7f800001
	s_and_saveexec_b64 s[42:43], vcc
	s_cbranch_execz .LBB223_176
; %bb.175:                              ;   in Loop: Header=BB223_10 Depth=1
	v_and_b32_e32 v78, 7, v38
	v_ffbh_u32_e32 v80, v78
	v_min_u32_e32 v83, 32, v80
	v_subrev_u32_e32 v80, 28, v83
	v_lshlrev_b64 v[80:81], v80, v[38:39]
	v_lshrrev_b32_e32 v82, 3, v40
	v_sub_u32_e32 v38, 29, v83
	v_and_b32_e32 v80, 7, v80
	v_cmp_gt_u32_e32 vcc, 8, v40
	v_cndmask_b32_e32 v38, v82, v38, vcc
	v_cndmask_b32_e32 v40, v78, v80, vcc
	v_lshlrev_b32_e32 v39, 24, v39
	v_lshlrev_b32_e32 v40, 20, v40
	v_and_b32_e32 v39, 0x80000000, v39
	v_lshl_add_u32 v38, v38, 23, v52
	v_or3_b32 v78, v39, v38, v40
.LBB223_176:                            ;   in Loop: Header=BB223_10 Depth=1
	s_or_b64 exec, exec, s[42:43]
.LBB223_177:                            ;   in Loop: Header=BB223_10 Depth=1
	s_or_b64 exec, exec, s[40:41]
.LBB223_178:                            ;   in Loop: Header=BB223_10 Depth=1
	s_or_b64 exec, exec, s[16:17]
	s_waitcnt lgkmcnt(0)
	v_mul_f32_e32 v55, s47, v55
	v_mul_f32_e32 v54, s47, v54
	;; [unrolled: 1-line block ×4, first 2 shown]
	v_fmac_f32_e32 v55, v2, v54
	v_mul_f32_e32 v56, s47, v56
	v_fmac_f32_e32 v55, v4, v57
	v_mul_f32_e32 v59, s47, v59
	;; [unrolled: 2-line block ×20, first 2 shown]
	v_mul_f32_e32 v42, s47, v77
	v_fmac_f32_e32 v55, v23, v74
	v_mul_f32_e32 v39, s47, v41
	v_mul_f32_e32 v41, s47, v76
	v_fmac_f32_e32 v55, v24, v42
	v_fmac_f32_e32 v55, v25, v41
	;; [unrolled: 1-line block ×3, first 2 shown]
	v_mul_f32_e32 v38, s47, v79
	v_fmac_f32_e32 v55, v27, v39
	v_mul_f32_e32 v76, s47, v78
	v_fmac_f32_e32 v55, v28, v38
	v_fmac_f32_e32 v55, v29, v76
	ds_bpermute_b32 v38, v48, v55
	s_waitcnt lgkmcnt(0)
	v_add_f32_e32 v38, v55, v38
	ds_bpermute_b32 v39, v49, v38
	s_and_saveexec_b64 s[16:17], s[2:3]
	s_cbranch_execz .LBB223_9
; %bb.179:                              ;   in Loop: Header=BB223_10 Depth=1
	v_add_u32_e32 v40, s48, v50
	v_cvt_f32_i32_e32 v40, v40
	s_waitcnt lgkmcnt(0)
	v_add_f32_e32 v38, v38, v39
	v_cmp_gt_i32_e32 vcc, s29, v50
	v_max_f32_e32 v39, v47, v47
	v_mul_f32_e32 v40, s45, v40
	v_cndmask_b32_e64 v40, 0, v40, s[4:5]
	v_fmac_f32_e32 v40, s11, v38
	v_cndmask_b32_e32 v38, 0, v40, vcc
	ds_write_b32 v51, v38
	v_max_f32_e32 v38, v39, v40
	v_cndmask_b32_e32 v47, v47, v38, vcc
	s_branch .LBB223_9
.LBB223_180:
	s_or_b64 exec, exec, s[14:15]
.LBB223_181:
	s_or_b64 exec, exec, s[38:39]
	v_xor_b32_e32 v2, 32, v45
	v_cmp_lt_i32_e32 vcc, v2, v46
	v_cndmask_b32_e32 v2, v45, v2, vcc
	v_lshlrev_b32_e32 v2, 2, v2
	ds_bpermute_b32 v3, v2, v47
	v_xor_b32_e32 v5, 16, v45
	v_max_f32_e32 v4, v47, v47
	v_cmp_lt_i32_e32 vcc, v5, v46
	v_xor_b32_e32 v6, 8, v45
	s_waitcnt lgkmcnt(0)
	v_max_f32_e32 v3, v3, v3
	v_max_f32_e32 v4, v4, v3
	v_cndmask_b32_e32 v3, v45, v5, vcc
	v_lshlrev_b32_e32 v3, 2, v3
	ds_bpermute_b32 v5, v3, v4
	v_cmp_lt_i32_e32 vcc, v6, v46
	v_and_b32_e32 v56, 63, v0
	s_waitcnt lgkmcnt(0)
	v_max_f32_e32 v5, v5, v5
	v_max_f32_e32 v4, v4, v5
	v_cndmask_b32_e32 v5, v45, v6, vcc
	v_lshlrev_b32_e32 v7, 2, v5
	ds_bpermute_b32 v5, v7, v4
	v_xor_b32_e32 v6, 4, v45
	v_cmp_lt_i32_e32 vcc, v6, v46
	s_waitcnt lgkmcnt(0)
	v_max_f32_e32 v5, v5, v5
	v_max_f32_e32 v4, v4, v5
	v_cndmask_b32_e32 v5, v45, v6, vcc
	v_lshlrev_b32_e32 v8, 2, v5
	ds_bpermute_b32 v6, v8, v4
	v_cmp_eq_u32_e32 vcc, 0, v56
	v_lshlrev_b32_e32 v5, 2, v44
	s_and_saveexec_b64 s[2:3], vcc
	s_cbranch_execz .LBB223_183
; %bb.182:
	s_waitcnt lgkmcnt(0)
	v_max_f32_e32 v6, v6, v6
	v_max_f32_e32 v4, v4, v4
	;; [unrolled: 1-line block ×3, first 2 shown]
	ds_write_b32 v5, v4 offset:448
.LBB223_183:
	s_or_b64 exec, exec, s[2:3]
	v_cmp_gt_u32_e64 s[2:3], 2, v56
	v_mov_b32_e32 v4, 0xff7fffff
	s_waitcnt lgkmcnt(0)
	v_lshlrev_b32_e32 v6, 2, v56
	s_barrier
	s_and_saveexec_b64 s[4:5], s[2:3]
	s_cbranch_execz .LBB223_185
; %bb.184:
	ds_read_b32 v4, v6 offset:448
.LBB223_185:
	s_or_b64 exec, exec, s[4:5]
	v_xor_b32_e32 v9, 1, v45
	v_cmp_lt_i32_e64 s[4:5], v9, v46
	v_cndmask_b32_e64 v9, v45, v9, s[4:5]
	v_lshlrev_b32_e32 v57, 2, v9
	s_waitcnt lgkmcnt(0)
	ds_bpermute_b32 v9, v57, v4
	v_max_f32_e32 v4, v4, v4
	s_sub_i32 s4, s33, s10
	s_lshl_b32 s4, s4, 4
	s_add_i32 s4, s4, s44
	s_waitcnt lgkmcnt(0)
	v_max_f32_e32 v9, v9, v9
	v_max_f32_e32 v4, v4, v9
	v_lshlrev_b32_e32 v9, 2, v45
	v_and_b32_e32 v9, 0xffffff00, v9
	ds_bpermute_b32 v4, v9, v4
	s_min_i32 s39, s4, s29
	s_sub_i32 s38, s39, s44
	v_cmp_gt_i32_e64 s[4:5], s38, v0
	v_mov_b32_e32 v10, 0
	s_and_saveexec_b64 s[14:15], s[4:5]
	s_cbranch_execz .LBB223_189
; %bb.186:
	v_mov_b32_e32 v10, 0x1d0
	v_lshl_add_u32 v11, v0, 2, v10
	s_mov_b64 s[16:17], 0
	v_mov_b32_e32 v10, 0
	v_mov_b32_e32 v12, v0
.LBB223_187:                            ; =>This Inner Loop Header: Depth=1
	ds_read_b32 v13, v11
	v_add_u32_e32 v12, 0x80, v12
	v_cmp_le_i32_e64 s[10:11], s38, v12
	s_or_b64 s[16:17], s[10:11], s[16:17]
	s_waitcnt lgkmcnt(0)
	v_sub_f32_e32 v13, v13, v4
	v_mul_f32_e32 v13, 0x3fb8aa3b, v13
	v_exp_f32_e32 v13, v13
	ds_write_b32 v11, v13
	v_add_f32_e32 v10, v10, v13
	v_add_u32_e32 v11, 0x200, v11
	s_andn2_b64 exec, exec, s[16:17]
	s_cbranch_execnz .LBB223_187
; %bb.188:
	s_or_b64 exec, exec, s[16:17]
.LBB223_189:
	s_or_b64 exec, exec, s[14:15]
	ds_bpermute_b32 v2, v2, v10
	s_waitcnt lgkmcnt(0)
	v_add_f32_e32 v2, v10, v2
	ds_bpermute_b32 v3, v3, v2
	s_waitcnt lgkmcnt(0)
	v_add_f32_e32 v2, v2, v3
	ds_bpermute_b32 v3, v7, v2
	v_xor_b32_e32 v7, 2, v45
	v_cmp_lt_i32_e64 s[10:11], v7, v46
	v_cndmask_b32_e64 v7, v45, v7, s[10:11]
	v_lshlrev_b32_e32 v58, 2, v7
	s_waitcnt lgkmcnt(0)
	v_add_f32_e32 v2, v2, v3
	ds_bpermute_b32 v3, v8, v2
	s_waitcnt lgkmcnt(0)
	v_add_f32_e32 v2, v2, v3
	ds_bpermute_b32 v3, v58, v2
	;; [unrolled: 3-line block ×3, first 2 shown]
	s_waitcnt lgkmcnt(0)
	v_add_f32_e32 v2, v2, v3
	s_and_saveexec_b64 s[10:11], vcc
	s_cbranch_execz .LBB223_191
; %bb.190:
	ds_write_b32 v5, v2 offset:456
.LBB223_191:
	s_or_b64 exec, exec, s[10:11]
	s_waitcnt lgkmcnt(0)
	s_barrier
	s_and_saveexec_b64 s[10:11], s[2:3]
	s_cbranch_execz .LBB223_193
; %bb.192:
	ds_read_b32 v2, v6 offset:456
.LBB223_193:
	s_or_b64 exec, exec, s[10:11]
	s_waitcnt lgkmcnt(0)
	ds_bpermute_b32 v3, v57, v2
	s_waitcnt lgkmcnt(0)
	v_add_f32_e32 v2, v2, v3
	ds_bpermute_b32 v5, v9, v2
	s_and_saveexec_b64 s[2:3], s[4:5]
	s_cbranch_execz .LBB223_206
; %bb.194:
	s_waitcnt lgkmcnt(0)
	v_add_f32_e32 v2, 0x358637bd, v5
	v_div_scale_f32 v3, s[4:5], v2, v2, 1.0
	v_rcp_f32_e32 v6, v3
	v_div_scale_f32 v7, vcc, 1.0, v2, 1.0
	s_movk_i32 s4, 0x7f
	v_fma_f32 v8, -v3, v6, 1.0
	v_fmac_f32_e32 v6, v8, v6
	v_mul_f32_e32 v8, v7, v6
	v_fma_f32 v9, -v3, v8, v7
	v_fmac_f32_e32 v8, v9, v6
	v_fma_f32 v3, -v3, v8, v7
	v_div_fmas_f32 v3, v3, v6, v8
	v_div_fixup_f32 v2, v3, v2, 1.0
	v_xad_u32 v3, v0, -1, s39
	v_subrev_u32_e32 v6, s44, v3
	v_cmp_lt_u32_e32 vcc, s4, v6
	s_mov_b64 s[10:11], -1
	v_mov_b32_e32 v3, v0
	s_and_saveexec_b64 s[4:5], vcc
	s_cbranch_execz .LBB223_203
; %bb.195:
	v_lshrrev_b32_e32 v6, 7, v6
	v_add_u32_e32 v8, -1, v6
	v_lshrrev_b32_e32 v7, 1, v8
	v_mov_b32_e32 v3, v2
	v_add_u32_e32 v7, 1, v7
	v_cmp_lt_u32_e32 vcc, 13, v8
	v_mov_b32_e32 v10, 0
	s_and_saveexec_b64 s[10:11], vcc
	s_cbranch_execz .LBB223_199
; %bb.196:
	v_mov_b32_e32 v9, 0x1d0
	v_and_b32_e32 v8, -8, v7
	v_lshl_add_u32 v9, v0, 2, v9
	s_mov_b32 s16, 0
	s_mov_b64 s[14:15], 0
.LBB223_197:                            ; =>This Inner Loop Header: Depth=1
	ds_read2st64_b32 v[10:11], v9 offset1:2
	ds_read2st64_b32 v[12:13], v9 offset0:4 offset1:6
	ds_read2st64_b32 v[14:15], v9 offset0:8 offset1:10
	;; [unrolled: 1-line block ×3, first 2 shown]
	v_add_u32_e32 v8, -8, v8
	s_waitcnt lgkmcnt(3)
	v_pk_mul_f32 v[10:11], v[2:3], v[10:11]
	s_waitcnt lgkmcnt(2)
	v_pk_mul_f32 v[12:13], v[2:3], v[12:13]
	ds_write2st64_b32 v9, v10, v11 offset1:2
	ds_write2st64_b32 v9, v12, v13 offset0:4 offset1:6
	ds_read2st64_b32 v[12:13], v9 offset0:16 offset1:18
	s_waitcnt lgkmcnt(4)
	v_pk_mul_f32 v[10:11], v[2:3], v[14:15]
	ds_write2st64_b32 v9, v10, v11 offset0:8 offset1:10
	s_waitcnt lgkmcnt(4)
	v_pk_mul_f32 v[10:11], v[2:3], v[16:17]
	ds_write2st64_b32 v9, v10, v11 offset0:12 offset1:14
	ds_read2st64_b32 v[10:11], v9 offset0:20 offset1:22
	s_waitcnt lgkmcnt(3)
	v_pk_mul_f32 v[12:13], v[2:3], v[12:13]
	ds_read2st64_b32 v[14:15], v9 offset0:24 offset1:26
	ds_write2st64_b32 v9, v12, v13 offset0:16 offset1:18
	ds_read2st64_b32 v[12:13], v9 offset0:28 offset1:30
	s_waitcnt lgkmcnt(3)
	v_pk_mul_f32 v[10:11], v[2:3], v[10:11]
	ds_write2st64_b32 v9, v10, v11 offset0:20 offset1:22
	s_waitcnt lgkmcnt(3)
	v_pk_mul_f32 v[10:11], v[2:3], v[14:15]
	ds_write2st64_b32 v9, v10, v11 offset0:24 offset1:26
	s_waitcnt lgkmcnt(2)
	v_pk_mul_f32 v[10:11], v[2:3], v[12:13]
	s_add_i32 s16, s16, 16
	v_cmp_eq_u32_e32 vcc, 0, v8
	ds_write2st64_b32 v9, v10, v11 offset0:28 offset1:30
	v_add_u32_e32 v9, 0x2000, v9
	s_or_b64 s[14:15], vcc, s[14:15]
	v_mov_b32_e32 v10, s16
	s_andn2_b64 exec, exec, s[14:15]
	s_cbranch_execnz .LBB223_197
; %bb.198:
	s_or_b64 exec, exec, s[14:15]
.LBB223_199:
	s_or_b64 exec, exec, s[10:11]
	v_and_b32_e32 v7, 7, v7
	v_cmp_ne_u32_e32 vcc, 0, v7
	s_and_saveexec_b64 s[10:11], vcc
	s_cbranch_execz .LBB223_202
; %bb.200:
	v_lshlrev_b32_e32 v8, 9, v10
	s_movk_i32 s14, 0x1d0
	v_add3_u32 v8, v8, v43, s14
	s_mov_b64 s[14:15], 0
.LBB223_201:                            ; =>This Inner Loop Header: Depth=1
	ds_read2st64_b32 v[10:11], v8 offset1:2
	v_add_u32_e32 v7, -1, v7
	v_cmp_eq_u32_e32 vcc, 0, v7
	s_or_b64 s[14:15], vcc, s[14:15]
	s_waitcnt lgkmcnt(0)
	v_pk_mul_f32 v[10:11], v[2:3], v[10:11]
	ds_write2st64_b32 v8, v10, v11 offset1:2
	v_add_u32_e32 v8, 0x400, v8
	s_andn2_b64 exec, exec, s[14:15]
	s_cbranch_execnz .LBB223_201
.LBB223_202:
	s_or_b64 exec, exec, s[10:11]
	v_add_u32_e32 v6, 1, v6
	v_and_b32_e32 v7, 0x3fffffe, v6
	v_cmp_ne_u32_e32 vcc, v6, v7
	v_lshl_add_u32 v3, v7, 7, v0
	s_orn2_b64 s[10:11], vcc, exec
.LBB223_203:
	s_or_b64 exec, exec, s[4:5]
	s_and_b64 exec, exec, s[10:11]
	s_cbranch_execz .LBB223_206
; %bb.204:
	v_mov_b32_e32 v6, 0x1d0
	v_lshl_add_u32 v6, v3, 2, v6
	s_mov_b64 s[4:5], 0
.LBB223_205:                            ; =>This Inner Loop Header: Depth=1
	ds_read_b32 v7, v6
	v_add_u32_e32 v3, 0x80, v3
	v_cmp_le_i32_e32 vcc, s38, v3
	s_or_b64 s[4:5], vcc, s[4:5]
	s_waitcnt lgkmcnt(0)
	v_mul_f32_e32 v7, v2, v7
	ds_write_b32 v6, v7
	v_add_u32_e32 v6, 0x200, v6
	s_andn2_b64 exec, exec, s[4:5]
	s_cbranch_execnz .LBB223_205
.LBB223_206:
	s_or_b64 exec, exec, s[2:3]
	s_mul_i32 s2, s25, s28
	v_cmp_eq_u32_e32 vcc, 0, v0
	s_mul_i32 s2, s2, s9
	s_waitcnt lgkmcnt(0)
	s_barrier
	s_and_saveexec_b64 s[4:5], vcc
	s_cbranch_execz .LBB223_208
; %bb.207:
	s_ashr_i32 s3, s2, 31
	s_lshl_b64 s[10:11], s[2:3], 2
	s_add_u32 s3, s22, s10
	s_mul_i32 s14, s25, s6
	s_addc_u32 s9, s23, s11
	s_ashr_i32 s15, s14, 31
	s_lshl_b64 s[14:15], s[14:15], 2
	s_add_u32 s3, s3, s14
	s_addc_u32 s6, s9, s15
	s_ashr_i32 s9, s8, 31
	s_lshl_b64 s[16:17], s[8:9], 2
	s_add_u32 s22, s3, s16
	s_addc_u32 s23, s6, s17
	s_add_u32 s3, s20, s10
	s_addc_u32 s6, s21, s11
	;; [unrolled: 2-line block ×3, first 2 shown]
	s_add_u32 s10, s3, s16
	v_mov_b32_e32 v2, 0
	s_addc_u32 s11, s6, s17
	global_store_dword v2, v4, s[22:23]
	global_store_dword v2, v5, s[10:11]
.LBB223_208:
	s_or_b64 exec, exec, s[4:5]
	s_mov_b32 s6, 0
	v_mov_b32_e32 v59, 0
	v_mov_b32_e32 v7, 0
	;; [unrolled: 1-line block ×7, first 2 shown]
	s_and_saveexec_b64 s[4:5], s[0:1]
	s_cbranch_execz .LBB223_394
; %bb.209:
	s_ashr_i32 s0, s12, 31
	s_add_u32 s1, s36, s12
	v_and_b32_e32 v3, 0xfc, v43
	v_and_b32_e32 v2, 12, v43
	s_load_dword s10, s[18:19], 0x0
	s_addc_u32 s0, s37, s0
	v_add_co_u32_e32 v14, vcc, s1, v3
	v_lshl_add_u32 v3, v44, 4, s44
	s_add_i32 s9, s7, -1
	v_mov_b32_e32 v4, s0
	v_add3_u32 v60, v3, v2, 3
	v_lshlrev_b32_e32 v2, 4, v30
	s_lshl_b64 s[0:1], s[34:35], 2
	v_lshl_or_b32 v2, v44, 6, v2
	s_add_u32 s0, s30, s0
	v_addc_co_u32_e32 v15, vcc, 0, v4, vcc
	v_add_u32_e32 v61, 0x1d0, v2
	v_lshlrev_b64 v[2:3], 2, v[32:33]
	s_addc_u32 s1, s31, s1
	v_mov_b32_e32 v4, s1
	v_add_co_u32_e32 v16, vcc, s0, v2
	s_mov_b32 s3, s13
	s_waitcnt lgkmcnt(0)
	s_mov_b32 s11, s10
	v_mov_b32_e32 v13, 0
	v_addc_co_u32_e32 v17, vcc, v4, v3, vcc
	s_mov_b64 s[12:13], 0
	s_movk_i32 s22, 0x80
	s_movk_i32 s23, 0x7f
	s_brev_b32 s7, 1
	s_mov_b32 s15, 0x7f800001
	s_mov_b32 s28, 0xffffff
	v_bfrev_b32_e32 v33, 60
	v_mov_b32_e32 v62, 7
	v_mov_b32_e32 v63, 24
	;; [unrolled: 1-line block ×9, first 2 shown]
	s_branch .LBB223_211
.LBB223_210:                            ;   in Loop: Header=BB223_211 Depth=1
	s_or_b64 exec, exec, s[0:1]
	s_waitcnt lgkmcnt(0)
	v_mul_f32_e32 v12, v3, v19
	v_fmac_f32_e32 v12, v2, v18
	v_fmac_f32_e32 v12, v4, v20
	v_fmac_f32_e32 v12, v5, v21
	v_add_f32_e32 v10, v10, v12
	v_mul_f32_e32 v12, v3, v25
	v_fmac_f32_e32 v12, v2, v24
	v_fmac_f32_e32 v12, v4, v26
	v_fmac_f32_e32 v12, v5, v27
	v_add_f32_e32 v11, v11, v12
	;; [unrolled: 5-line block ×5, first 2 shown]
	v_mul_f32_e32 v12, v3, v45
	v_mul_f32_e32 v3, v3, v23
	v_fmac_f32_e32 v12, v2, v44
	v_fmac_f32_e32 v3, v2, v22
	v_add_u32_e32 v32, 2, v32
	v_fmac_f32_e32 v12, v4, v46
	v_fmac_f32_e32 v3, v4, v48
	v_cmp_le_i32_e32 vcc, s33, v32
	v_fmac_f32_e32 v12, v5, v47
	v_fmac_f32_e32 v3, v5, v49
	s_or_b64 s[12:13], vcc, s[12:13]
	v_add_co_u32_e32 v16, vcc, 8, v16
	v_add_f32_e32 v7, v7, v12
	v_add_f32_e32 v59, v59, v3
	v_add_u32_e32 v60, 32, v60
	v_add_u32_e32 v61, 0x80, v61
	v_addc_co_u32_e32 v17, vcc, 0, v17, vcc
	s_andn2_b64 exec, exec, s[12:13]
	s_cbranch_execz .LBB223_393
.LBB223_211:                            ; =>This Inner Loop Header: Depth=1
	global_load_dword v2, v[16:17], off
	v_pk_mov_b32 v[24:25], 0, 0
	v_pk_mov_b32 v[20:21], v[24:25], v[24:25] op_sel:[0,1]
	s_waitcnt vmcnt(0)
	v_mad_i64_i32 v[22:23], s[0:1], v2, s3, v[14:15]
	global_load_dword v18, v[22:23], off
	ds_read_b128 v[2:5], v61
	s_waitcnt vmcnt(0)
	v_cmp_ne_u16_sdwa s[16:17], v18, v13 src0_sel:BYTE_0 src1_sel:DWORD
	s_and_saveexec_b64 s[0:1], s[16:17]
	s_cbranch_execz .LBB223_217
; %bb.212:                              ;   in Loop: Header=BB223_211 Depth=1
	v_bfrev_b32_e32 v20, 1
	v_cmp_ne_u16_sdwa s[18:19], v18, s22 src0_sel:BYTE_0 src1_sel:DWORD
	v_mov_b32_e32 v21, 0
	s_and_saveexec_b64 s[16:17], s[18:19]
	s_cbranch_execz .LBB223_216
; %bb.213:                              ;   in Loop: Header=BB223_211 Depth=1
	v_and_b32_e32 v12, 0x7f, v18
	v_mov_b32_e32 v20, 0x7f800001
	v_cmp_ne_u32_e32 vcc, s23, v12
	v_mov_b32_e32 v21, 0
	s_and_saveexec_b64 s[18:19], vcc
	s_cbranch_execz .LBB223_215
; %bb.214:                              ;   in Loop: Header=BB223_211 Depth=1
	v_and_b32_e32 v19, 7, v18
	v_ffbh_u32_e32 v20, v19
	v_min_u32_e32 v27, 32, v20
	v_subrev_u32_e32 v20, 28, v27
	v_lshlrev_b64 v[20:21], v20, v[18:19]
	v_lshrrev_b32_e32 v26, 3, v12
	v_sub_u32_e32 v21, 29, v27
	v_and_b32_e32 v20, 7, v20
	v_cmp_gt_u32_e32 vcc, 8, v12
	v_cndmask_b32_e32 v12, v26, v21, vcc
	v_cndmask_b32_e32 v19, v19, v20, vcc
	v_lshlrev_b32_e32 v19, 20, v19
	v_and_b32_sdwa v20, sext(v18), s7 dst_sel:DWORD dst_unused:UNUSED_PAD src0_sel:BYTE_0 src1_sel:DWORD
	v_lshl_add_u32 v12, v12, 23, v33
	v_or3_b32 v12, v20, v12, v19
	v_pk_mov_b32 v[20:21], v[12:13], v[12:13] op_sel:[0,1]
.LBB223_215:                            ;   in Loop: Header=BB223_211 Depth=1
	s_or_b64 exec, exec, s[18:19]
.LBB223_216:                            ;   in Loop: Header=BB223_211 Depth=1
	s_or_b64 exec, exec, s[16:17]
.LBB223_217:                            ;   in Loop: Header=BB223_211 Depth=1
	s_or_b64 exec, exec, s[0:1]
	v_cmp_ne_u16_sdwa s[16:17], v18, v13 src0_sel:BYTE_1 src1_sel:DWORD
	s_and_saveexec_b64 s[0:1], s[16:17]
	s_cbranch_execz .LBB223_223
; %bb.218:                              ;   in Loop: Header=BB223_211 Depth=1
	v_cmp_ne_u16_sdwa s[18:19], v18, s22 src0_sel:BYTE_1 src1_sel:DWORD
	v_pk_mov_b32 v[24:25], s[6:7], s[6:7] op_sel:[0,1]
	s_and_saveexec_b64 s[16:17], s[18:19]
	s_cbranch_execz .LBB223_222
; %bb.219:                              ;   in Loop: Header=BB223_211 Depth=1
	v_and_b32_sdwa v19, v18, s23 dst_sel:DWORD dst_unused:UNUSED_PAD src0_sel:BYTE_1 src1_sel:DWORD
	s_mov_b32 s14, s6
	v_cmp_ne_u32_e32 vcc, s23, v19
	v_pk_mov_b32 v[24:25], s[14:15], s[14:15] op_sel:[0,1]
	s_and_saveexec_b64 s[18:19], vcc
	s_cbranch_execz .LBB223_221
; %bb.220:                              ;   in Loop: Header=BB223_211 Depth=1
	v_and_b32_sdwa v12, v18, v62 dst_sel:DWORD dst_unused:UNUSED_PAD src0_sel:BYTE_1 src1_sel:DWORD
	v_ffbh_u32_e32 v24, v12
	v_min_u32_e32 v27, 32, v24
	v_subrev_u32_e32 v24, 28, v27
	v_lshlrev_b64 v[24:25], v24, v[12:13]
	v_lshrrev_b32_e32 v26, 3, v19
	v_sub_u32_e32 v25, 29, v27
	v_cmp_gt_u32_e32 vcc, 8, v19
	v_and_b32_e32 v24, 7, v24
	v_cndmask_b32_e32 v19, v26, v25, vcc
	v_cndmask_b32_e32 v12, v12, v24, vcc
	v_lshlrev_b32_e32 v24, 16, v18
	v_lshl_add_u32 v19, v19, 23, v33
	v_and_or_b32 v19, v24, s7, v19
	v_lshlrev_b32_e32 v12, 20, v12
	v_or_b32_e32 v25, v19, v12
	v_mov_b32_e32 v24, v13
.LBB223_221:                            ;   in Loop: Header=BB223_211 Depth=1
	s_or_b64 exec, exec, s[18:19]
.LBB223_222:                            ;   in Loop: Header=BB223_211 Depth=1
	s_or_b64 exec, exec, s[16:17]
.LBB223_223:                            ;   in Loop: Header=BB223_211 Depth=1
	s_or_b64 exec, exec, s[0:1]
	v_lshrrev_b32_e32 v12, 16, v18
	v_pk_mov_b32 v[28:29], 0, 0
	v_cmp_ne_u16_sdwa s[16:17], v12, v13 src0_sel:BYTE_0 src1_sel:DWORD
	v_pk_mov_b32 v[26:27], v[28:29], v[28:29] op_sel:[0,1]
	s_and_saveexec_b64 s[0:1], s[16:17]
	s_cbranch_execz .LBB223_229
; %bb.224:                              ;   in Loop: Header=BB223_211 Depth=1
	v_bfrev_b32_e32 v26, 1
	v_cmp_ne_u16_sdwa s[18:19], v12, s22 src0_sel:BYTE_0 src1_sel:DWORD
	v_mov_b32_e32 v27, 0
	s_and_saveexec_b64 s[16:17], s[18:19]
	s_cbranch_execz .LBB223_228
; %bb.225:                              ;   in Loop: Header=BB223_211 Depth=1
	v_bfe_u32 v19, v18, 16, 7
	v_mov_b32_e32 v26, 0x7f800001
	v_cmp_ne_u32_e32 vcc, s23, v19
	v_mov_b32_e32 v27, 0
	s_and_saveexec_b64 s[18:19], vcc
	s_cbranch_execz .LBB223_227
; %bb.226:                              ;   in Loop: Header=BB223_211 Depth=1
	v_and_b32_e32 v34, 7, v12
	v_ffbh_u32_e32 v26, v34
	v_min_u32_e32 v36, 32, v26
	v_subrev_u32_e32 v26, 28, v36
	v_lshlrev_b64 v[26:27], v26, v[12:13]
	v_lshrrev_b32_e32 v35, 3, v19
	v_sub_u32_e32 v27, 29, v36
	v_and_b32_e32 v26, 7, v26
	v_cmp_gt_u32_e32 vcc, 8, v19
	v_cndmask_b32_e32 v19, v35, v27, vcc
	v_cndmask_b32_e32 v26, v34, v26, vcc
	v_lshlrev_b32_e32 v26, 20, v26
	v_and_b32_sdwa v12, sext(v12), s7 dst_sel:DWORD dst_unused:UNUSED_PAD src0_sel:BYTE_0 src1_sel:DWORD
	v_lshl_add_u32 v19, v19, 23, v33
	v_or3_b32 v12, v12, v19, v26
	v_pk_mov_b32 v[26:27], v[12:13], v[12:13] op_sel:[0,1]
.LBB223_227:                            ;   in Loop: Header=BB223_211 Depth=1
	s_or_b64 exec, exec, s[18:19]
.LBB223_228:                            ;   in Loop: Header=BB223_211 Depth=1
	s_or_b64 exec, exec, s[16:17]
.LBB223_229:                            ;   in Loop: Header=BB223_211 Depth=1
	s_or_b64 exec, exec, s[0:1]
	v_cmp_lt_u32_e32 vcc, s28, v18
	s_and_saveexec_b64 s[0:1], vcc
	s_cbranch_execz .LBB223_235
; %bb.230:                              ;   in Loop: Header=BB223_211 Depth=1
	v_cmp_ne_u32_sdwa s[18:19], v18, s22 src0_sel:BYTE_3 src1_sel:DWORD
	v_pk_mov_b32 v[28:29], s[6:7], s[6:7] op_sel:[0,1]
	s_and_saveexec_b64 s[16:17], s[18:19]
	s_cbranch_execz .LBB223_234
; %bb.231:                              ;   in Loop: Header=BB223_211 Depth=1
	v_bfe_u32 v19, v18, 24, 7
	s_mov_b32 s14, s6
	v_cmp_ne_u32_e32 vcc, s23, v19
	v_pk_mov_b32 v[28:29], s[14:15], s[14:15] op_sel:[0,1]
	s_and_saveexec_b64 s[18:19], vcc
	s_cbranch_execz .LBB223_233
; %bb.232:                              ;   in Loop: Header=BB223_211 Depth=1
	v_and_b32_sdwa v12, v18, v62 dst_sel:DWORD dst_unused:UNUSED_PAD src0_sel:BYTE_3 src1_sel:DWORD
	v_ffbh_u32_e32 v28, v12
	v_min_u32_e32 v35, 32, v28
	v_subrev_u32_e32 v28, 28, v35
	v_lshlrev_b64 v[28:29], v28, v[12:13]
	v_lshrrev_b32_e32 v34, 3, v19
	v_sub_u32_e32 v29, 29, v35
	v_cmp_gt_u32_e32 vcc, 8, v19
	v_and_b32_e32 v28, 7, v28
	v_cndmask_b32_e32 v19, v34, v29, vcc
	v_cndmask_b32_e32 v12, v12, v28, vcc
	v_lshlrev_b32_sdwa v18, v63, v18 dst_sel:DWORD dst_unused:UNUSED_PAD src0_sel:DWORD src1_sel:BYTE_3
	v_lshl_add_u32 v19, v19, 23, v33
	v_and_or_b32 v18, v18, s7, v19
	v_lshlrev_b32_e32 v12, 20, v12
	v_or_b32_e32 v29, v18, v12
	v_mov_b32_e32 v28, v13
.LBB223_233:                            ;   in Loop: Header=BB223_211 Depth=1
	s_or_b64 exec, exec, s[18:19]
.LBB223_234:                            ;   in Loop: Header=BB223_211 Depth=1
	s_or_b64 exec, exec, s[16:17]
.LBB223_235:                            ;   in Loop: Header=BB223_211 Depth=1
	s_or_b64 exec, exec, s[0:1]
	v_or_b32_e32 v19, v25, v21
	v_or_b32_e32 v18, v24, v20
	v_or_b32_e32 v21, v29, v27
	v_or_b32_e32 v20, v28, v26
	v_add_u32_e32 v64, -3, v60
	v_cmp_eq_u32_e32 vcc, s9, v32
	v_pk_mul_f32 v[18:19], s[10:11], v[18:19]
	v_pk_mul_f32 v[20:21], s[10:11], v[20:21]
	v_add_u32_e32 v66, -2, v60
	v_add_u32_e32 v65, -1, v60
	s_and_saveexec_b64 s[16:17], vcc
; %bb.236:                              ;   in Loop: Header=BB223_211 Depth=1
	v_cmp_gt_i32_e64 s[0:1], s29, v64
	v_cndmask_b32_e64 v18, 0, v18, s[0:1]
	v_cmp_gt_i32_e64 s[0:1], s29, v66
	v_cndmask_b32_e64 v19, 0, v19, s[0:1]
	v_cmp_gt_i32_e64 s[0:1], s29, v65
	v_cndmask_b32_e64 v20, 0, v20, s[0:1]
	v_cmp_gt_i32_e64 s[0:1], s29, v60
	v_cndmask_b32_e64 v21, 0, v21, s[0:1]
; %bb.237:                              ;   in Loop: Header=BB223_211 Depth=1
	s_or_b64 exec, exec, s[16:17]
	global_load_dword v24, v[22:23], off offset:256
	v_pk_mov_b32 v[28:29], 0, 0
	v_pk_mov_b32 v[26:27], v[28:29], v[28:29] op_sel:[0,1]
	s_waitcnt vmcnt(0)
	v_cmp_ne_u16_sdwa s[0:1], v24, v13 src0_sel:BYTE_0 src1_sel:DWORD
	s_and_saveexec_b64 s[16:17], s[0:1]
	s_cbranch_execz .LBB223_243
; %bb.238:                              ;   in Loop: Header=BB223_211 Depth=1
	v_bfrev_b32_e32 v26, 1
	v_cmp_ne_u16_sdwa s[0:1], v24, s22 src0_sel:BYTE_0 src1_sel:DWORD
	v_mov_b32_e32 v27, 0
	s_and_saveexec_b64 s[18:19], s[0:1]
	s_cbranch_execz .LBB223_242
; %bb.239:                              ;   in Loop: Header=BB223_211 Depth=1
	v_and_b32_e32 v12, 0x7f, v24
	v_mov_b32_e32 v26, 0x7f800001
	v_cmp_ne_u32_e64 s[0:1], s23, v12
	v_mov_b32_e32 v27, 0
	s_and_saveexec_b64 s[20:21], s[0:1]
	s_cbranch_execz .LBB223_241
; %bb.240:                              ;   in Loop: Header=BB223_211 Depth=1
	v_and_b32_e32 v25, 7, v24
	v_ffbh_u32_e32 v26, v25
	v_min_u32_e32 v35, 32, v26
	v_subrev_u32_e32 v26, 28, v35
	v_lshlrev_b64 v[26:27], v26, v[24:25]
	v_lshrrev_b32_e32 v34, 3, v12
	v_sub_u32_e32 v27, 29, v35
	v_and_b32_e32 v26, 7, v26
	v_cmp_gt_u32_e64 s[0:1], 8, v12
	v_cndmask_b32_e64 v12, v34, v27, s[0:1]
	v_cndmask_b32_e64 v25, v25, v26, s[0:1]
	v_lshlrev_b32_e32 v25, 20, v25
	v_and_b32_sdwa v26, sext(v24), s7 dst_sel:DWORD dst_unused:UNUSED_PAD src0_sel:BYTE_0 src1_sel:DWORD
	v_lshl_add_u32 v12, v12, 23, v33
	v_or3_b32 v12, v26, v12, v25
	v_pk_mov_b32 v[26:27], v[12:13], v[12:13] op_sel:[0,1]
.LBB223_241:                            ;   in Loop: Header=BB223_211 Depth=1
	s_or_b64 exec, exec, s[20:21]
.LBB223_242:                            ;   in Loop: Header=BB223_211 Depth=1
	s_or_b64 exec, exec, s[18:19]
.LBB223_243:                            ;   in Loop: Header=BB223_211 Depth=1
	s_or_b64 exec, exec, s[16:17]
	v_cmp_ne_u16_sdwa s[0:1], v24, v13 src0_sel:BYTE_1 src1_sel:DWORD
	s_and_saveexec_b64 s[16:17], s[0:1]
	s_cbranch_execz .LBB223_249
; %bb.244:                              ;   in Loop: Header=BB223_211 Depth=1
	v_cmp_ne_u16_sdwa s[0:1], v24, s22 src0_sel:BYTE_1 src1_sel:DWORD
	v_pk_mov_b32 v[28:29], s[6:7], s[6:7] op_sel:[0,1]
	s_and_saveexec_b64 s[18:19], s[0:1]
	s_cbranch_execz .LBB223_248
; %bb.245:                              ;   in Loop: Header=BB223_211 Depth=1
	v_and_b32_sdwa v25, v24, s23 dst_sel:DWORD dst_unused:UNUSED_PAD src0_sel:BYTE_1 src1_sel:DWORD
	s_mov_b32 s14, s6
	v_cmp_ne_u32_e64 s[0:1], s23, v25
	v_pk_mov_b32 v[28:29], s[14:15], s[14:15] op_sel:[0,1]
	s_and_saveexec_b64 s[20:21], s[0:1]
	s_cbranch_execz .LBB223_247
; %bb.246:                              ;   in Loop: Header=BB223_211 Depth=1
	v_and_b32_sdwa v12, v24, v62 dst_sel:DWORD dst_unused:UNUSED_PAD src0_sel:BYTE_1 src1_sel:DWORD
	v_ffbh_u32_e32 v28, v12
	v_min_u32_e32 v35, 32, v28
	v_subrev_u32_e32 v28, 28, v35
	v_lshlrev_b64 v[28:29], v28, v[12:13]
	v_lshrrev_b32_e32 v34, 3, v25
	v_sub_u32_e32 v29, 29, v35
	v_cmp_gt_u32_e64 s[0:1], 8, v25
	v_and_b32_e32 v28, 7, v28
	v_cndmask_b32_e64 v25, v34, v29, s[0:1]
	v_cndmask_b32_e64 v12, v12, v28, s[0:1]
	v_lshlrev_b32_e32 v28, 16, v24
	v_lshl_add_u32 v25, v25, 23, v33
	v_and_or_b32 v25, v28, s7, v25
	v_lshlrev_b32_e32 v12, 20, v12
	v_or_b32_e32 v29, v25, v12
	v_mov_b32_e32 v28, v13
.LBB223_247:                            ;   in Loop: Header=BB223_211 Depth=1
	s_or_b64 exec, exec, s[20:21]
.LBB223_248:                            ;   in Loop: Header=BB223_211 Depth=1
	s_or_b64 exec, exec, s[18:19]
.LBB223_249:                            ;   in Loop: Header=BB223_211 Depth=1
	s_or_b64 exec, exec, s[16:17]
	v_lshrrev_b32_e32 v12, 16, v24
	v_pk_mov_b32 v[36:37], 0, 0
	v_cmp_ne_u16_sdwa s[0:1], v12, v13 src0_sel:BYTE_0 src1_sel:DWORD
	v_pk_mov_b32 v[34:35], v[36:37], v[36:37] op_sel:[0,1]
	s_and_saveexec_b64 s[16:17], s[0:1]
	s_cbranch_execz .LBB223_255
; %bb.250:                              ;   in Loop: Header=BB223_211 Depth=1
	v_bfrev_b32_e32 v34, 1
	v_cmp_ne_u16_sdwa s[0:1], v12, s22 src0_sel:BYTE_0 src1_sel:DWORD
	v_mov_b32_e32 v35, 0
	s_and_saveexec_b64 s[18:19], s[0:1]
	s_cbranch_execz .LBB223_254
; %bb.251:                              ;   in Loop: Header=BB223_211 Depth=1
	v_bfe_u32 v25, v24, 16, 7
	v_mov_b32_e32 v34, 0x7f800001
	v_cmp_ne_u32_e64 s[0:1], s23, v25
	v_mov_b32_e32 v35, 0
	s_and_saveexec_b64 s[20:21], s[0:1]
	s_cbranch_execz .LBB223_253
; %bb.252:                              ;   in Loop: Header=BB223_211 Depth=1
	v_and_b32_e32 v38, 7, v12
	v_ffbh_u32_e32 v34, v38
	v_min_u32_e32 v40, 32, v34
	v_subrev_u32_e32 v34, 28, v40
	v_lshlrev_b64 v[34:35], v34, v[12:13]
	v_lshrrev_b32_e32 v39, 3, v25
	v_sub_u32_e32 v35, 29, v40
	v_and_b32_e32 v34, 7, v34
	v_cmp_gt_u32_e64 s[0:1], 8, v25
	v_cndmask_b32_e64 v25, v39, v35, s[0:1]
	v_cndmask_b32_e64 v34, v38, v34, s[0:1]
	v_lshlrev_b32_e32 v34, 20, v34
	v_and_b32_sdwa v12, sext(v12), s7 dst_sel:DWORD dst_unused:UNUSED_PAD src0_sel:BYTE_0 src1_sel:DWORD
	v_lshl_add_u32 v25, v25, 23, v33
	v_or3_b32 v12, v12, v25, v34
	v_pk_mov_b32 v[34:35], v[12:13], v[12:13] op_sel:[0,1]
.LBB223_253:                            ;   in Loop: Header=BB223_211 Depth=1
	s_or_b64 exec, exec, s[20:21]
.LBB223_254:                            ;   in Loop: Header=BB223_211 Depth=1
	s_or_b64 exec, exec, s[18:19]
.LBB223_255:                            ;   in Loop: Header=BB223_211 Depth=1
	s_or_b64 exec, exec, s[16:17]
	v_cmp_lt_u32_e64 s[0:1], s28, v24
	s_and_saveexec_b64 s[16:17], s[0:1]
	s_cbranch_execz .LBB223_261
; %bb.256:                              ;   in Loop: Header=BB223_211 Depth=1
	v_cmp_ne_u32_sdwa s[0:1], v24, s22 src0_sel:BYTE_3 src1_sel:DWORD
	v_pk_mov_b32 v[36:37], s[6:7], s[6:7] op_sel:[0,1]
	s_and_saveexec_b64 s[18:19], s[0:1]
	s_cbranch_execz .LBB223_260
; %bb.257:                              ;   in Loop: Header=BB223_211 Depth=1
	v_bfe_u32 v25, v24, 24, 7
	s_mov_b32 s14, s6
	v_cmp_ne_u32_e64 s[0:1], s23, v25
	v_pk_mov_b32 v[36:37], s[14:15], s[14:15] op_sel:[0,1]
	s_and_saveexec_b64 s[20:21], s[0:1]
	s_cbranch_execz .LBB223_259
; %bb.258:                              ;   in Loop: Header=BB223_211 Depth=1
	v_and_b32_sdwa v12, v24, v62 dst_sel:DWORD dst_unused:UNUSED_PAD src0_sel:BYTE_3 src1_sel:DWORD
	v_ffbh_u32_e32 v36, v12
	v_min_u32_e32 v39, 32, v36
	v_subrev_u32_e32 v36, 28, v39
	v_lshlrev_b64 v[36:37], v36, v[12:13]
	v_lshrrev_b32_e32 v38, 3, v25
	v_sub_u32_e32 v37, 29, v39
	v_cmp_gt_u32_e64 s[0:1], 8, v25
	v_and_b32_e32 v36, 7, v36
	v_cndmask_b32_e64 v25, v38, v37, s[0:1]
	v_cndmask_b32_e64 v12, v12, v36, s[0:1]
	v_lshlrev_b32_sdwa v24, v63, v24 dst_sel:DWORD dst_unused:UNUSED_PAD src0_sel:DWORD src1_sel:BYTE_3
	v_lshl_add_u32 v25, v25, 23, v33
	v_and_or_b32 v24, v24, s7, v25
	v_lshlrev_b32_e32 v12, 20, v12
	v_or_b32_e32 v37, v24, v12
	v_mov_b32_e32 v36, v13
.LBB223_259:                            ;   in Loop: Header=BB223_211 Depth=1
	s_or_b64 exec, exec, s[20:21]
.LBB223_260:                            ;   in Loop: Header=BB223_211 Depth=1
	s_or_b64 exec, exec, s[18:19]
.LBB223_261:                            ;   in Loop: Header=BB223_211 Depth=1
	s_or_b64 exec, exec, s[16:17]
	v_or_b32_e32 v25, v29, v27
	v_or_b32_e32 v24, v28, v26
	v_or_b32_e32 v27, v37, v35
	v_or_b32_e32 v26, v36, v34
	v_pk_mul_f32 v[24:25], s[10:11], v[24:25]
	v_pk_mul_f32 v[26:27], s[10:11], v[26:27]
	s_and_saveexec_b64 s[16:17], vcc
; %bb.262:                              ;   in Loop: Header=BB223_211 Depth=1
	v_cmp_gt_i32_e64 s[0:1], s29, v64
	v_cndmask_b32_e64 v24, 0, v24, s[0:1]
	v_cmp_gt_i32_e64 s[0:1], s29, v66
	v_cndmask_b32_e64 v25, 0, v25, s[0:1]
	;; [unrolled: 2-line block ×4, first 2 shown]
; %bb.263:                              ;   in Loop: Header=BB223_211 Depth=1
	s_or_b64 exec, exec, s[16:17]
	global_load_dword v28, v[22:23], off offset:512
	v_pk_mov_b32 v[36:37], 0, 0
	v_pk_mov_b32 v[34:35], v[36:37], v[36:37] op_sel:[0,1]
	s_waitcnt vmcnt(0)
	v_cmp_ne_u16_sdwa s[0:1], v28, v13 src0_sel:BYTE_0 src1_sel:DWORD
	s_and_saveexec_b64 s[16:17], s[0:1]
	s_cbranch_execz .LBB223_269
; %bb.264:                              ;   in Loop: Header=BB223_211 Depth=1
	v_bfrev_b32_e32 v34, 1
	v_cmp_ne_u16_sdwa s[0:1], v28, s22 src0_sel:BYTE_0 src1_sel:DWORD
	v_mov_b32_e32 v35, 0
	s_and_saveexec_b64 s[18:19], s[0:1]
	s_cbranch_execz .LBB223_268
; %bb.265:                              ;   in Loop: Header=BB223_211 Depth=1
	v_and_b32_e32 v12, 0x7f, v28
	v_mov_b32_e32 v34, 0x7f800001
	v_cmp_ne_u32_e64 s[0:1], s23, v12
	v_mov_b32_e32 v35, 0
	s_and_saveexec_b64 s[20:21], s[0:1]
	s_cbranch_execz .LBB223_267
; %bb.266:                              ;   in Loop: Header=BB223_211 Depth=1
	v_and_b32_e32 v29, 7, v28
	v_ffbh_u32_e32 v34, v29
	v_min_u32_e32 v39, 32, v34
	v_subrev_u32_e32 v34, 28, v39
	v_lshlrev_b64 v[34:35], v34, v[28:29]
	v_lshrrev_b32_e32 v38, 3, v12
	v_sub_u32_e32 v35, 29, v39
	v_and_b32_e32 v34, 7, v34
	v_cmp_gt_u32_e64 s[0:1], 8, v12
	v_cndmask_b32_e64 v12, v38, v35, s[0:1]
	v_cndmask_b32_e64 v29, v29, v34, s[0:1]
	v_lshlrev_b32_e32 v29, 20, v29
	v_and_b32_sdwa v34, sext(v28), s7 dst_sel:DWORD dst_unused:UNUSED_PAD src0_sel:BYTE_0 src1_sel:DWORD
	v_lshl_add_u32 v12, v12, 23, v33
	v_or3_b32 v12, v34, v12, v29
	v_pk_mov_b32 v[34:35], v[12:13], v[12:13] op_sel:[0,1]
.LBB223_267:                            ;   in Loop: Header=BB223_211 Depth=1
	s_or_b64 exec, exec, s[20:21]
.LBB223_268:                            ;   in Loop: Header=BB223_211 Depth=1
	s_or_b64 exec, exec, s[18:19]
.LBB223_269:                            ;   in Loop: Header=BB223_211 Depth=1
	s_or_b64 exec, exec, s[16:17]
	v_cmp_ne_u16_sdwa s[0:1], v28, v13 src0_sel:BYTE_1 src1_sel:DWORD
	s_and_saveexec_b64 s[16:17], s[0:1]
	s_cbranch_execz .LBB223_275
; %bb.270:                              ;   in Loop: Header=BB223_211 Depth=1
	v_cmp_ne_u16_sdwa s[0:1], v28, s22 src0_sel:BYTE_1 src1_sel:DWORD
	v_pk_mov_b32 v[36:37], s[6:7], s[6:7] op_sel:[0,1]
	s_and_saveexec_b64 s[18:19], s[0:1]
	s_cbranch_execz .LBB223_274
; %bb.271:                              ;   in Loop: Header=BB223_211 Depth=1
	v_and_b32_sdwa v29, v28, s23 dst_sel:DWORD dst_unused:UNUSED_PAD src0_sel:BYTE_1 src1_sel:DWORD
	s_mov_b32 s14, s6
	v_cmp_ne_u32_e64 s[0:1], s23, v29
	v_pk_mov_b32 v[36:37], s[14:15], s[14:15] op_sel:[0,1]
	s_and_saveexec_b64 s[20:21], s[0:1]
	s_cbranch_execz .LBB223_273
; %bb.272:                              ;   in Loop: Header=BB223_211 Depth=1
	v_and_b32_sdwa v12, v28, v62 dst_sel:DWORD dst_unused:UNUSED_PAD src0_sel:BYTE_1 src1_sel:DWORD
	v_ffbh_u32_e32 v36, v12
	v_min_u32_e32 v39, 32, v36
	v_subrev_u32_e32 v36, 28, v39
	v_lshlrev_b64 v[36:37], v36, v[12:13]
	v_lshrrev_b32_e32 v38, 3, v29
	v_sub_u32_e32 v37, 29, v39
	v_cmp_gt_u32_e64 s[0:1], 8, v29
	v_and_b32_e32 v36, 7, v36
	v_cndmask_b32_e64 v29, v38, v37, s[0:1]
	v_cndmask_b32_e64 v12, v12, v36, s[0:1]
	v_lshlrev_b32_e32 v36, 16, v28
	v_lshl_add_u32 v29, v29, 23, v33
	v_and_or_b32 v29, v36, s7, v29
	v_lshlrev_b32_e32 v12, 20, v12
	v_or_b32_e32 v37, v29, v12
	v_mov_b32_e32 v36, v13
.LBB223_273:                            ;   in Loop: Header=BB223_211 Depth=1
	s_or_b64 exec, exec, s[20:21]
.LBB223_274:                            ;   in Loop: Header=BB223_211 Depth=1
	s_or_b64 exec, exec, s[18:19]
.LBB223_275:                            ;   in Loop: Header=BB223_211 Depth=1
	s_or_b64 exec, exec, s[16:17]
	v_lshrrev_b32_e32 v12, 16, v28
	v_pk_mov_b32 v[40:41], 0, 0
	v_cmp_ne_u16_sdwa s[0:1], v12, v13 src0_sel:BYTE_0 src1_sel:DWORD
	v_pk_mov_b32 v[38:39], v[40:41], v[40:41] op_sel:[0,1]
	s_and_saveexec_b64 s[16:17], s[0:1]
	s_cbranch_execz .LBB223_281
; %bb.276:                              ;   in Loop: Header=BB223_211 Depth=1
	v_bfrev_b32_e32 v38, 1
	v_cmp_ne_u16_sdwa s[0:1], v12, s22 src0_sel:BYTE_0 src1_sel:DWORD
	v_mov_b32_e32 v39, 0
	s_and_saveexec_b64 s[18:19], s[0:1]
	s_cbranch_execz .LBB223_280
; %bb.277:                              ;   in Loop: Header=BB223_211 Depth=1
	v_bfe_u32 v29, v28, 16, 7
	v_mov_b32_e32 v38, 0x7f800001
	v_cmp_ne_u32_e64 s[0:1], s23, v29
	v_mov_b32_e32 v39, 0
	s_and_saveexec_b64 s[20:21], s[0:1]
	s_cbranch_execz .LBB223_279
; %bb.278:                              ;   in Loop: Header=BB223_211 Depth=1
	v_and_b32_e32 v42, 7, v12
	v_ffbh_u32_e32 v38, v42
	v_min_u32_e32 v44, 32, v38
	v_subrev_u32_e32 v38, 28, v44
	v_lshlrev_b64 v[38:39], v38, v[12:13]
	v_lshrrev_b32_e32 v43, 3, v29
	v_sub_u32_e32 v39, 29, v44
	v_and_b32_e32 v38, 7, v38
	v_cmp_gt_u32_e64 s[0:1], 8, v29
	v_cndmask_b32_e64 v29, v43, v39, s[0:1]
	v_cndmask_b32_e64 v38, v42, v38, s[0:1]
	v_lshlrev_b32_e32 v38, 20, v38
	v_and_b32_sdwa v12, sext(v12), s7 dst_sel:DWORD dst_unused:UNUSED_PAD src0_sel:BYTE_0 src1_sel:DWORD
	v_lshl_add_u32 v29, v29, 23, v33
	v_or3_b32 v12, v12, v29, v38
	v_pk_mov_b32 v[38:39], v[12:13], v[12:13] op_sel:[0,1]
.LBB223_279:                            ;   in Loop: Header=BB223_211 Depth=1
	s_or_b64 exec, exec, s[20:21]
.LBB223_280:                            ;   in Loop: Header=BB223_211 Depth=1
	s_or_b64 exec, exec, s[18:19]
.LBB223_281:                            ;   in Loop: Header=BB223_211 Depth=1
	s_or_b64 exec, exec, s[16:17]
	v_cmp_lt_u32_e64 s[0:1], s28, v28
	s_and_saveexec_b64 s[16:17], s[0:1]
	s_cbranch_execz .LBB223_287
; %bb.282:                              ;   in Loop: Header=BB223_211 Depth=1
	v_cmp_ne_u32_sdwa s[0:1], v28, s22 src0_sel:BYTE_3 src1_sel:DWORD
	v_pk_mov_b32 v[40:41], s[6:7], s[6:7] op_sel:[0,1]
	s_and_saveexec_b64 s[18:19], s[0:1]
	s_cbranch_execz .LBB223_286
; %bb.283:                              ;   in Loop: Header=BB223_211 Depth=1
	v_bfe_u32 v29, v28, 24, 7
	s_mov_b32 s14, s6
	v_cmp_ne_u32_e64 s[0:1], s23, v29
	v_pk_mov_b32 v[40:41], s[14:15], s[14:15] op_sel:[0,1]
	s_and_saveexec_b64 s[20:21], s[0:1]
	s_cbranch_execz .LBB223_285
; %bb.284:                              ;   in Loop: Header=BB223_211 Depth=1
	v_and_b32_sdwa v12, v28, v62 dst_sel:DWORD dst_unused:UNUSED_PAD src0_sel:BYTE_3 src1_sel:DWORD
	v_ffbh_u32_e32 v40, v12
	v_min_u32_e32 v43, 32, v40
	v_subrev_u32_e32 v40, 28, v43
	v_lshlrev_b64 v[40:41], v40, v[12:13]
	v_lshrrev_b32_e32 v42, 3, v29
	v_sub_u32_e32 v41, 29, v43
	v_cmp_gt_u32_e64 s[0:1], 8, v29
	v_and_b32_e32 v40, 7, v40
	v_cndmask_b32_e64 v29, v42, v41, s[0:1]
	v_cndmask_b32_e64 v12, v12, v40, s[0:1]
	v_lshlrev_b32_sdwa v28, v63, v28 dst_sel:DWORD dst_unused:UNUSED_PAD src0_sel:DWORD src1_sel:BYTE_3
	v_lshl_add_u32 v29, v29, 23, v33
	v_and_or_b32 v28, v28, s7, v29
	v_lshlrev_b32_e32 v12, 20, v12
	v_or_b32_e32 v41, v28, v12
	v_mov_b32_e32 v40, v13
.LBB223_285:                            ;   in Loop: Header=BB223_211 Depth=1
	s_or_b64 exec, exec, s[20:21]
.LBB223_286:                            ;   in Loop: Header=BB223_211 Depth=1
	s_or_b64 exec, exec, s[18:19]
.LBB223_287:                            ;   in Loop: Header=BB223_211 Depth=1
	s_or_b64 exec, exec, s[16:17]
	v_or_b32_e32 v29, v37, v35
	v_or_b32_e32 v28, v36, v34
	;; [unrolled: 1-line block ×4, first 2 shown]
	v_pk_mul_f32 v[28:29], s[10:11], v[28:29]
	v_pk_mul_f32 v[34:35], s[10:11], v[34:35]
	s_and_saveexec_b64 s[16:17], vcc
; %bb.288:                              ;   in Loop: Header=BB223_211 Depth=1
	v_cmp_gt_i32_e64 s[0:1], s29, v64
	v_cndmask_b32_e64 v28, 0, v28, s[0:1]
	v_cmp_gt_i32_e64 s[0:1], s29, v66
	v_cndmask_b32_e64 v29, 0, v29, s[0:1]
	;; [unrolled: 2-line block ×4, first 2 shown]
; %bb.289:                              ;   in Loop: Header=BB223_211 Depth=1
	s_or_b64 exec, exec, s[16:17]
	global_load_dword v36, v[22:23], off offset:768
	v_pk_mov_b32 v[40:41], 0, 0
	v_pk_mov_b32 v[38:39], v[40:41], v[40:41] op_sel:[0,1]
	s_waitcnt vmcnt(0)
	v_cmp_ne_u16_sdwa s[0:1], v36, v13 src0_sel:BYTE_0 src1_sel:DWORD
	s_and_saveexec_b64 s[16:17], s[0:1]
	s_cbranch_execz .LBB223_295
; %bb.290:                              ;   in Loop: Header=BB223_211 Depth=1
	v_bfrev_b32_e32 v38, 1
	v_cmp_ne_u16_sdwa s[0:1], v36, s22 src0_sel:BYTE_0 src1_sel:DWORD
	v_mov_b32_e32 v39, 0
	s_and_saveexec_b64 s[18:19], s[0:1]
	s_cbranch_execz .LBB223_294
; %bb.291:                              ;   in Loop: Header=BB223_211 Depth=1
	v_and_b32_e32 v12, 0x7f, v36
	v_mov_b32_e32 v38, 0x7f800001
	v_cmp_ne_u32_e64 s[0:1], s23, v12
	v_mov_b32_e32 v39, 0
	s_and_saveexec_b64 s[20:21], s[0:1]
	s_cbranch_execz .LBB223_293
; %bb.292:                              ;   in Loop: Header=BB223_211 Depth=1
	v_and_b32_e32 v37, 7, v36
	v_ffbh_u32_e32 v38, v37
	v_min_u32_e32 v43, 32, v38
	v_subrev_u32_e32 v38, 28, v43
	v_lshlrev_b64 v[38:39], v38, v[36:37]
	v_lshrrev_b32_e32 v42, 3, v12
	v_sub_u32_e32 v39, 29, v43
	v_and_b32_e32 v38, 7, v38
	v_cmp_gt_u32_e64 s[0:1], 8, v12
	v_cndmask_b32_e64 v12, v42, v39, s[0:1]
	v_cndmask_b32_e64 v37, v37, v38, s[0:1]
	v_lshlrev_b32_e32 v37, 20, v37
	v_and_b32_sdwa v38, sext(v36), s7 dst_sel:DWORD dst_unused:UNUSED_PAD src0_sel:BYTE_0 src1_sel:DWORD
	v_lshl_add_u32 v12, v12, 23, v33
	v_or3_b32 v12, v38, v12, v37
	v_pk_mov_b32 v[38:39], v[12:13], v[12:13] op_sel:[0,1]
.LBB223_293:                            ;   in Loop: Header=BB223_211 Depth=1
	s_or_b64 exec, exec, s[20:21]
.LBB223_294:                            ;   in Loop: Header=BB223_211 Depth=1
	s_or_b64 exec, exec, s[18:19]
.LBB223_295:                            ;   in Loop: Header=BB223_211 Depth=1
	s_or_b64 exec, exec, s[16:17]
	v_cmp_ne_u16_sdwa s[0:1], v36, v13 src0_sel:BYTE_1 src1_sel:DWORD
	s_and_saveexec_b64 s[16:17], s[0:1]
	s_cbranch_execz .LBB223_301
; %bb.296:                              ;   in Loop: Header=BB223_211 Depth=1
	v_cmp_ne_u16_sdwa s[0:1], v36, s22 src0_sel:BYTE_1 src1_sel:DWORD
	v_pk_mov_b32 v[40:41], s[6:7], s[6:7] op_sel:[0,1]
	s_and_saveexec_b64 s[18:19], s[0:1]
	s_cbranch_execz .LBB223_300
; %bb.297:                              ;   in Loop: Header=BB223_211 Depth=1
	v_and_b32_sdwa v37, v36, s23 dst_sel:DWORD dst_unused:UNUSED_PAD src0_sel:BYTE_1 src1_sel:DWORD
	s_mov_b32 s14, s6
	v_cmp_ne_u32_e64 s[0:1], s23, v37
	v_pk_mov_b32 v[40:41], s[14:15], s[14:15] op_sel:[0,1]
	s_and_saveexec_b64 s[20:21], s[0:1]
	s_cbranch_execz .LBB223_299
; %bb.298:                              ;   in Loop: Header=BB223_211 Depth=1
	v_and_b32_sdwa v12, v36, v62 dst_sel:DWORD dst_unused:UNUSED_PAD src0_sel:BYTE_1 src1_sel:DWORD
	v_ffbh_u32_e32 v40, v12
	v_min_u32_e32 v43, 32, v40
	v_subrev_u32_e32 v40, 28, v43
	v_lshlrev_b64 v[40:41], v40, v[12:13]
	v_lshrrev_b32_e32 v42, 3, v37
	v_sub_u32_e32 v41, 29, v43
	v_cmp_gt_u32_e64 s[0:1], 8, v37
	v_and_b32_e32 v40, 7, v40
	v_cndmask_b32_e64 v37, v42, v41, s[0:1]
	v_cndmask_b32_e64 v12, v12, v40, s[0:1]
	v_lshlrev_b32_e32 v40, 16, v36
	v_lshl_add_u32 v37, v37, 23, v33
	v_and_or_b32 v37, v40, s7, v37
	v_lshlrev_b32_e32 v12, 20, v12
	v_or_b32_e32 v41, v37, v12
	v_mov_b32_e32 v40, v13
.LBB223_299:                            ;   in Loop: Header=BB223_211 Depth=1
	s_or_b64 exec, exec, s[20:21]
.LBB223_300:                            ;   in Loop: Header=BB223_211 Depth=1
	s_or_b64 exec, exec, s[18:19]
.LBB223_301:                            ;   in Loop: Header=BB223_211 Depth=1
	s_or_b64 exec, exec, s[16:17]
	v_lshrrev_b32_e32 v12, 16, v36
	v_pk_mov_b32 v[44:45], 0, 0
	v_cmp_ne_u16_sdwa s[0:1], v12, v13 src0_sel:BYTE_0 src1_sel:DWORD
	v_pk_mov_b32 v[42:43], v[44:45], v[44:45] op_sel:[0,1]
	s_and_saveexec_b64 s[16:17], s[0:1]
	s_cbranch_execz .LBB223_307
; %bb.302:                              ;   in Loop: Header=BB223_211 Depth=1
	v_bfrev_b32_e32 v42, 1
	v_cmp_ne_u16_sdwa s[0:1], v12, s22 src0_sel:BYTE_0 src1_sel:DWORD
	v_mov_b32_e32 v43, 0
	s_and_saveexec_b64 s[18:19], s[0:1]
	s_cbranch_execz .LBB223_306
; %bb.303:                              ;   in Loop: Header=BB223_211 Depth=1
	v_bfe_u32 v37, v36, 16, 7
	v_mov_b32_e32 v42, 0x7f800001
	v_cmp_ne_u32_e64 s[0:1], s23, v37
	v_mov_b32_e32 v43, 0
	s_and_saveexec_b64 s[20:21], s[0:1]
	s_cbranch_execz .LBB223_305
; %bb.304:                              ;   in Loop: Header=BB223_211 Depth=1
	v_and_b32_e32 v46, 7, v12
	v_ffbh_u32_e32 v42, v46
	v_min_u32_e32 v48, 32, v42
	v_subrev_u32_e32 v42, 28, v48
	v_lshlrev_b64 v[42:43], v42, v[12:13]
	v_lshrrev_b32_e32 v47, 3, v37
	v_sub_u32_e32 v43, 29, v48
	v_and_b32_e32 v42, 7, v42
	v_cmp_gt_u32_e64 s[0:1], 8, v37
	v_cndmask_b32_e64 v37, v47, v43, s[0:1]
	v_cndmask_b32_e64 v42, v46, v42, s[0:1]
	v_lshlrev_b32_e32 v42, 20, v42
	v_and_b32_sdwa v12, sext(v12), s7 dst_sel:DWORD dst_unused:UNUSED_PAD src0_sel:BYTE_0 src1_sel:DWORD
	v_lshl_add_u32 v37, v37, 23, v33
	v_or3_b32 v12, v12, v37, v42
	v_pk_mov_b32 v[42:43], v[12:13], v[12:13] op_sel:[0,1]
.LBB223_305:                            ;   in Loop: Header=BB223_211 Depth=1
	s_or_b64 exec, exec, s[20:21]
.LBB223_306:                            ;   in Loop: Header=BB223_211 Depth=1
	s_or_b64 exec, exec, s[18:19]
.LBB223_307:                            ;   in Loop: Header=BB223_211 Depth=1
	s_or_b64 exec, exec, s[16:17]
	v_cmp_lt_u32_e64 s[0:1], s28, v36
	s_and_saveexec_b64 s[16:17], s[0:1]
	s_cbranch_execz .LBB223_313
; %bb.308:                              ;   in Loop: Header=BB223_211 Depth=1
	v_cmp_ne_u32_sdwa s[0:1], v36, s22 src0_sel:BYTE_3 src1_sel:DWORD
	v_pk_mov_b32 v[44:45], s[6:7], s[6:7] op_sel:[0,1]
	s_and_saveexec_b64 s[18:19], s[0:1]
	s_cbranch_execz .LBB223_312
; %bb.309:                              ;   in Loop: Header=BB223_211 Depth=1
	v_bfe_u32 v37, v36, 24, 7
	s_mov_b32 s14, s6
	v_cmp_ne_u32_e64 s[0:1], s23, v37
	v_pk_mov_b32 v[44:45], s[14:15], s[14:15] op_sel:[0,1]
	s_and_saveexec_b64 s[20:21], s[0:1]
	s_cbranch_execz .LBB223_311
; %bb.310:                              ;   in Loop: Header=BB223_211 Depth=1
	v_and_b32_sdwa v12, v36, v62 dst_sel:DWORD dst_unused:UNUSED_PAD src0_sel:BYTE_3 src1_sel:DWORD
	v_ffbh_u32_e32 v44, v12
	v_min_u32_e32 v47, 32, v44
	v_subrev_u32_e32 v44, 28, v47
	v_lshlrev_b64 v[44:45], v44, v[12:13]
	v_lshrrev_b32_e32 v46, 3, v37
	v_sub_u32_e32 v45, 29, v47
	v_cmp_gt_u32_e64 s[0:1], 8, v37
	v_and_b32_e32 v44, 7, v44
	v_cndmask_b32_e64 v37, v46, v45, s[0:1]
	v_cndmask_b32_e64 v12, v12, v44, s[0:1]
	v_lshlrev_b32_sdwa v36, v63, v36 dst_sel:DWORD dst_unused:UNUSED_PAD src0_sel:DWORD src1_sel:BYTE_3
	v_lshl_add_u32 v37, v37, 23, v33
	v_and_or_b32 v36, v36, s7, v37
	v_lshlrev_b32_e32 v12, 20, v12
	v_or_b32_e32 v45, v36, v12
	v_mov_b32_e32 v44, v13
.LBB223_311:                            ;   in Loop: Header=BB223_211 Depth=1
	s_or_b64 exec, exec, s[20:21]
.LBB223_312:                            ;   in Loop: Header=BB223_211 Depth=1
	s_or_b64 exec, exec, s[18:19]
.LBB223_313:                            ;   in Loop: Header=BB223_211 Depth=1
	s_or_b64 exec, exec, s[16:17]
	v_or_b32_e32 v37, v41, v39
	v_or_b32_e32 v36, v40, v38
	;; [unrolled: 1-line block ×4, first 2 shown]
	v_pk_mul_f32 v[36:37], s[10:11], v[36:37]
	v_pk_mul_f32 v[38:39], s[10:11], v[38:39]
	s_and_saveexec_b64 s[16:17], vcc
; %bb.314:                              ;   in Loop: Header=BB223_211 Depth=1
	v_cmp_gt_i32_e64 s[0:1], s29, v64
	v_cndmask_b32_e64 v36, 0, v36, s[0:1]
	v_cmp_gt_i32_e64 s[0:1], s29, v66
	v_cndmask_b32_e64 v37, 0, v37, s[0:1]
	;; [unrolled: 2-line block ×4, first 2 shown]
; %bb.315:                              ;   in Loop: Header=BB223_211 Depth=1
	s_or_b64 exec, exec, s[16:17]
	global_load_dword v40, v[22:23], off offset:1024
	v_pk_mov_b32 v[44:45], 0, 0
	v_pk_mov_b32 v[42:43], v[44:45], v[44:45] op_sel:[0,1]
	s_waitcnt vmcnt(0)
	v_cmp_ne_u16_sdwa s[0:1], v40, v13 src0_sel:BYTE_0 src1_sel:DWORD
	s_and_saveexec_b64 s[16:17], s[0:1]
	s_cbranch_execz .LBB223_321
; %bb.316:                              ;   in Loop: Header=BB223_211 Depth=1
	v_bfrev_b32_e32 v42, 1
	v_cmp_ne_u16_sdwa s[0:1], v40, s22 src0_sel:BYTE_0 src1_sel:DWORD
	v_mov_b32_e32 v43, 0
	s_and_saveexec_b64 s[18:19], s[0:1]
	s_cbranch_execz .LBB223_320
; %bb.317:                              ;   in Loop: Header=BB223_211 Depth=1
	v_and_b32_e32 v12, 0x7f, v40
	v_mov_b32_e32 v42, 0x7f800001
	v_cmp_ne_u32_e64 s[0:1], s23, v12
	v_mov_b32_e32 v43, 0
	s_and_saveexec_b64 s[20:21], s[0:1]
	s_cbranch_execz .LBB223_319
; %bb.318:                              ;   in Loop: Header=BB223_211 Depth=1
	v_and_b32_e32 v41, 7, v40
	v_ffbh_u32_e32 v42, v41
	v_min_u32_e32 v47, 32, v42
	v_subrev_u32_e32 v42, 28, v47
	v_lshlrev_b64 v[42:43], v42, v[40:41]
	v_lshrrev_b32_e32 v46, 3, v12
	v_sub_u32_e32 v43, 29, v47
	v_and_b32_e32 v42, 7, v42
	v_cmp_gt_u32_e64 s[0:1], 8, v12
	v_cndmask_b32_e64 v12, v46, v43, s[0:1]
	v_cndmask_b32_e64 v41, v41, v42, s[0:1]
	v_lshlrev_b32_e32 v41, 20, v41
	v_and_b32_sdwa v42, sext(v40), s7 dst_sel:DWORD dst_unused:UNUSED_PAD src0_sel:BYTE_0 src1_sel:DWORD
	v_lshl_add_u32 v12, v12, 23, v33
	v_or3_b32 v12, v42, v12, v41
	v_pk_mov_b32 v[42:43], v[12:13], v[12:13] op_sel:[0,1]
.LBB223_319:                            ;   in Loop: Header=BB223_211 Depth=1
	s_or_b64 exec, exec, s[20:21]
.LBB223_320:                            ;   in Loop: Header=BB223_211 Depth=1
	s_or_b64 exec, exec, s[18:19]
.LBB223_321:                            ;   in Loop: Header=BB223_211 Depth=1
	s_or_b64 exec, exec, s[16:17]
	v_cmp_ne_u16_sdwa s[0:1], v40, v13 src0_sel:BYTE_1 src1_sel:DWORD
	s_and_saveexec_b64 s[16:17], s[0:1]
	s_cbranch_execz .LBB223_327
; %bb.322:                              ;   in Loop: Header=BB223_211 Depth=1
	v_cmp_ne_u16_sdwa s[0:1], v40, s22 src0_sel:BYTE_1 src1_sel:DWORD
	v_pk_mov_b32 v[44:45], s[6:7], s[6:7] op_sel:[0,1]
	s_and_saveexec_b64 s[18:19], s[0:1]
	s_cbranch_execz .LBB223_326
; %bb.323:                              ;   in Loop: Header=BB223_211 Depth=1
	v_and_b32_sdwa v41, v40, s23 dst_sel:DWORD dst_unused:UNUSED_PAD src0_sel:BYTE_1 src1_sel:DWORD
	s_mov_b32 s14, s6
	v_cmp_ne_u32_e64 s[0:1], s23, v41
	v_pk_mov_b32 v[44:45], s[14:15], s[14:15] op_sel:[0,1]
	s_and_saveexec_b64 s[20:21], s[0:1]
	s_cbranch_execz .LBB223_325
; %bb.324:                              ;   in Loop: Header=BB223_211 Depth=1
	v_and_b32_sdwa v12, v40, v62 dst_sel:DWORD dst_unused:UNUSED_PAD src0_sel:BYTE_1 src1_sel:DWORD
	v_ffbh_u32_e32 v44, v12
	v_min_u32_e32 v47, 32, v44
	v_subrev_u32_e32 v44, 28, v47
	v_lshlrev_b64 v[44:45], v44, v[12:13]
	v_lshrrev_b32_e32 v46, 3, v41
	v_sub_u32_e32 v45, 29, v47
	v_cmp_gt_u32_e64 s[0:1], 8, v41
	v_and_b32_e32 v44, 7, v44
	v_cndmask_b32_e64 v41, v46, v45, s[0:1]
	v_cndmask_b32_e64 v12, v12, v44, s[0:1]
	v_lshlrev_b32_e32 v44, 16, v40
	v_lshl_add_u32 v41, v41, 23, v33
	v_and_or_b32 v41, v44, s7, v41
	v_lshlrev_b32_e32 v12, 20, v12
	v_or_b32_e32 v45, v41, v12
	v_mov_b32_e32 v44, v13
.LBB223_325:                            ;   in Loop: Header=BB223_211 Depth=1
	s_or_b64 exec, exec, s[20:21]
.LBB223_326:                            ;   in Loop: Header=BB223_211 Depth=1
	s_or_b64 exec, exec, s[18:19]
.LBB223_327:                            ;   in Loop: Header=BB223_211 Depth=1
	s_or_b64 exec, exec, s[16:17]
	v_lshrrev_b32_e32 v12, 16, v40
	v_pk_mov_b32 v[48:49], 0, 0
	v_cmp_ne_u16_sdwa s[0:1], v12, v13 src0_sel:BYTE_0 src1_sel:DWORD
	v_pk_mov_b32 v[46:47], v[48:49], v[48:49] op_sel:[0,1]
	s_and_saveexec_b64 s[16:17], s[0:1]
	s_cbranch_execz .LBB223_333
; %bb.328:                              ;   in Loop: Header=BB223_211 Depth=1
	v_bfrev_b32_e32 v46, 1
	v_cmp_ne_u16_sdwa s[0:1], v12, s22 src0_sel:BYTE_0 src1_sel:DWORD
	v_mov_b32_e32 v47, 0
	s_and_saveexec_b64 s[18:19], s[0:1]
	s_cbranch_execz .LBB223_332
; %bb.329:                              ;   in Loop: Header=BB223_211 Depth=1
	v_bfe_u32 v41, v40, 16, 7
	v_mov_b32_e32 v46, 0x7f800001
	v_cmp_ne_u32_e64 s[0:1], s23, v41
	v_mov_b32_e32 v47, 0
	s_and_saveexec_b64 s[20:21], s[0:1]
	s_cbranch_execz .LBB223_331
; %bb.330:                              ;   in Loop: Header=BB223_211 Depth=1
	v_and_b32_e32 v50, 7, v12
	v_ffbh_u32_e32 v46, v50
	v_min_u32_e32 v52, 32, v46
	v_subrev_u32_e32 v46, 28, v52
	v_lshlrev_b64 v[46:47], v46, v[12:13]
	v_lshrrev_b32_e32 v51, 3, v41
	v_sub_u32_e32 v47, 29, v52
	v_and_b32_e32 v46, 7, v46
	v_cmp_gt_u32_e64 s[0:1], 8, v41
	v_cndmask_b32_e64 v41, v51, v47, s[0:1]
	v_cndmask_b32_e64 v46, v50, v46, s[0:1]
	v_lshlrev_b32_e32 v46, 20, v46
	v_and_b32_sdwa v12, sext(v12), s7 dst_sel:DWORD dst_unused:UNUSED_PAD src0_sel:BYTE_0 src1_sel:DWORD
	v_lshl_add_u32 v41, v41, 23, v33
	v_or3_b32 v12, v12, v41, v46
	v_pk_mov_b32 v[46:47], v[12:13], v[12:13] op_sel:[0,1]
.LBB223_331:                            ;   in Loop: Header=BB223_211 Depth=1
	s_or_b64 exec, exec, s[20:21]
.LBB223_332:                            ;   in Loop: Header=BB223_211 Depth=1
	s_or_b64 exec, exec, s[18:19]
.LBB223_333:                            ;   in Loop: Header=BB223_211 Depth=1
	s_or_b64 exec, exec, s[16:17]
	v_cmp_lt_u32_e64 s[0:1], s28, v40
	s_and_saveexec_b64 s[16:17], s[0:1]
	s_cbranch_execz .LBB223_339
; %bb.334:                              ;   in Loop: Header=BB223_211 Depth=1
	v_cmp_ne_u32_sdwa s[0:1], v40, s22 src0_sel:BYTE_3 src1_sel:DWORD
	v_pk_mov_b32 v[48:49], s[6:7], s[6:7] op_sel:[0,1]
	s_and_saveexec_b64 s[18:19], s[0:1]
	s_cbranch_execz .LBB223_338
; %bb.335:                              ;   in Loop: Header=BB223_211 Depth=1
	v_bfe_u32 v41, v40, 24, 7
	s_mov_b32 s14, s6
	v_cmp_ne_u32_e64 s[0:1], s23, v41
	v_pk_mov_b32 v[48:49], s[14:15], s[14:15] op_sel:[0,1]
	s_and_saveexec_b64 s[20:21], s[0:1]
	s_cbranch_execz .LBB223_337
; %bb.336:                              ;   in Loop: Header=BB223_211 Depth=1
	v_and_b32_sdwa v12, v40, v62 dst_sel:DWORD dst_unused:UNUSED_PAD src0_sel:BYTE_3 src1_sel:DWORD
	v_ffbh_u32_e32 v48, v12
	v_min_u32_e32 v51, 32, v48
	v_subrev_u32_e32 v48, 28, v51
	v_lshlrev_b64 v[48:49], v48, v[12:13]
	v_lshrrev_b32_e32 v50, 3, v41
	v_sub_u32_e32 v49, 29, v51
	v_cmp_gt_u32_e64 s[0:1], 8, v41
	v_and_b32_e32 v48, 7, v48
	v_cndmask_b32_e64 v41, v50, v49, s[0:1]
	v_cndmask_b32_e64 v12, v12, v48, s[0:1]
	v_lshlrev_b32_sdwa v40, v63, v40 dst_sel:DWORD dst_unused:UNUSED_PAD src0_sel:DWORD src1_sel:BYTE_3
	v_lshl_add_u32 v41, v41, 23, v33
	v_and_or_b32 v40, v40, s7, v41
	v_lshlrev_b32_e32 v12, 20, v12
	v_or_b32_e32 v49, v40, v12
	v_mov_b32_e32 v48, v13
.LBB223_337:                            ;   in Loop: Header=BB223_211 Depth=1
	s_or_b64 exec, exec, s[20:21]
.LBB223_338:                            ;   in Loop: Header=BB223_211 Depth=1
	s_or_b64 exec, exec, s[18:19]
.LBB223_339:                            ;   in Loop: Header=BB223_211 Depth=1
	s_or_b64 exec, exec, s[16:17]
	v_or_b32_e32 v41, v45, v43
	v_or_b32_e32 v40, v44, v42
	;; [unrolled: 1-line block ×4, first 2 shown]
	v_pk_mul_f32 v[40:41], s[10:11], v[40:41]
	v_pk_mul_f32 v[42:43], s[10:11], v[42:43]
	s_and_saveexec_b64 s[16:17], vcc
; %bb.340:                              ;   in Loop: Header=BB223_211 Depth=1
	v_cmp_gt_i32_e64 s[0:1], s29, v64
	v_cndmask_b32_e64 v40, 0, v40, s[0:1]
	v_cmp_gt_i32_e64 s[0:1], s29, v66
	v_cndmask_b32_e64 v41, 0, v41, s[0:1]
	;; [unrolled: 2-line block ×4, first 2 shown]
; %bb.341:                              ;   in Loop: Header=BB223_211 Depth=1
	s_or_b64 exec, exec, s[16:17]
	global_load_dword v44, v[22:23], off offset:1280
	v_pk_mov_b32 v[48:49], 0, 0
	v_pk_mov_b32 v[46:47], v[48:49], v[48:49] op_sel:[0,1]
	s_waitcnt vmcnt(0)
	v_cmp_ne_u16_sdwa s[0:1], v44, v13 src0_sel:BYTE_0 src1_sel:DWORD
	s_and_saveexec_b64 s[16:17], s[0:1]
	s_cbranch_execz .LBB223_347
; %bb.342:                              ;   in Loop: Header=BB223_211 Depth=1
	v_bfrev_b32_e32 v46, 1
	v_cmp_ne_u16_sdwa s[0:1], v44, s22 src0_sel:BYTE_0 src1_sel:DWORD
	v_mov_b32_e32 v47, 0
	s_and_saveexec_b64 s[18:19], s[0:1]
	s_cbranch_execz .LBB223_346
; %bb.343:                              ;   in Loop: Header=BB223_211 Depth=1
	v_and_b32_e32 v12, 0x7f, v44
	v_mov_b32_e32 v46, 0x7f800001
	v_cmp_ne_u32_e64 s[0:1], s23, v12
	v_mov_b32_e32 v47, 0
	s_and_saveexec_b64 s[20:21], s[0:1]
	s_cbranch_execz .LBB223_345
; %bb.344:                              ;   in Loop: Header=BB223_211 Depth=1
	v_and_b32_e32 v45, 7, v44
	v_ffbh_u32_e32 v46, v45
	v_min_u32_e32 v51, 32, v46
	v_subrev_u32_e32 v46, 28, v51
	v_lshlrev_b64 v[46:47], v46, v[44:45]
	v_lshrrev_b32_e32 v50, 3, v12
	v_sub_u32_e32 v47, 29, v51
	v_and_b32_e32 v46, 7, v46
	v_cmp_gt_u32_e64 s[0:1], 8, v12
	v_cndmask_b32_e64 v12, v50, v47, s[0:1]
	v_cndmask_b32_e64 v45, v45, v46, s[0:1]
	v_lshlrev_b32_e32 v45, 20, v45
	v_and_b32_sdwa v46, sext(v44), s7 dst_sel:DWORD dst_unused:UNUSED_PAD src0_sel:BYTE_0 src1_sel:DWORD
	v_lshl_add_u32 v12, v12, 23, v33
	v_or3_b32 v12, v46, v12, v45
	v_pk_mov_b32 v[46:47], v[12:13], v[12:13] op_sel:[0,1]
.LBB223_345:                            ;   in Loop: Header=BB223_211 Depth=1
	s_or_b64 exec, exec, s[20:21]
.LBB223_346:                            ;   in Loop: Header=BB223_211 Depth=1
	s_or_b64 exec, exec, s[18:19]
.LBB223_347:                            ;   in Loop: Header=BB223_211 Depth=1
	s_or_b64 exec, exec, s[16:17]
	v_cmp_ne_u16_sdwa s[0:1], v44, v13 src0_sel:BYTE_1 src1_sel:DWORD
	s_and_saveexec_b64 s[16:17], s[0:1]
	s_cbranch_execz .LBB223_353
; %bb.348:                              ;   in Loop: Header=BB223_211 Depth=1
	v_cmp_ne_u16_sdwa s[0:1], v44, s22 src0_sel:BYTE_1 src1_sel:DWORD
	v_pk_mov_b32 v[48:49], s[6:7], s[6:7] op_sel:[0,1]
	s_and_saveexec_b64 s[18:19], s[0:1]
	s_cbranch_execz .LBB223_352
; %bb.349:                              ;   in Loop: Header=BB223_211 Depth=1
	v_and_b32_sdwa v45, v44, s23 dst_sel:DWORD dst_unused:UNUSED_PAD src0_sel:BYTE_1 src1_sel:DWORD
	s_mov_b32 s14, s6
	v_cmp_ne_u32_e64 s[0:1], s23, v45
	v_pk_mov_b32 v[48:49], s[14:15], s[14:15] op_sel:[0,1]
	s_and_saveexec_b64 s[20:21], s[0:1]
	s_cbranch_execz .LBB223_351
; %bb.350:                              ;   in Loop: Header=BB223_211 Depth=1
	v_and_b32_sdwa v12, v44, v62 dst_sel:DWORD dst_unused:UNUSED_PAD src0_sel:BYTE_1 src1_sel:DWORD
	v_ffbh_u32_e32 v48, v12
	v_min_u32_e32 v51, 32, v48
	v_subrev_u32_e32 v48, 28, v51
	v_lshlrev_b64 v[48:49], v48, v[12:13]
	v_lshrrev_b32_e32 v50, 3, v45
	v_sub_u32_e32 v49, 29, v51
	v_cmp_gt_u32_e64 s[0:1], 8, v45
	v_and_b32_e32 v48, 7, v48
	v_cndmask_b32_e64 v45, v50, v49, s[0:1]
	v_cndmask_b32_e64 v12, v12, v48, s[0:1]
	v_lshlrev_b32_e32 v48, 16, v44
	v_lshl_add_u32 v45, v45, 23, v33
	v_and_or_b32 v45, v48, s7, v45
	v_lshlrev_b32_e32 v12, 20, v12
	v_or_b32_e32 v49, v45, v12
	v_mov_b32_e32 v48, v13
.LBB223_351:                            ;   in Loop: Header=BB223_211 Depth=1
	s_or_b64 exec, exec, s[20:21]
.LBB223_352:                            ;   in Loop: Header=BB223_211 Depth=1
	s_or_b64 exec, exec, s[18:19]
.LBB223_353:                            ;   in Loop: Header=BB223_211 Depth=1
	s_or_b64 exec, exec, s[16:17]
	v_lshrrev_b32_e32 v12, 16, v44
	v_pk_mov_b32 v[52:53], 0, 0
	v_cmp_ne_u16_sdwa s[0:1], v12, v13 src0_sel:BYTE_0 src1_sel:DWORD
	v_pk_mov_b32 v[50:51], v[52:53], v[52:53] op_sel:[0,1]
	s_and_saveexec_b64 s[16:17], s[0:1]
	s_cbranch_execz .LBB223_359
; %bb.354:                              ;   in Loop: Header=BB223_211 Depth=1
	v_bfrev_b32_e32 v50, 1
	v_cmp_ne_u16_sdwa s[0:1], v12, s22 src0_sel:BYTE_0 src1_sel:DWORD
	v_mov_b32_e32 v51, 0
	s_and_saveexec_b64 s[18:19], s[0:1]
	s_cbranch_execz .LBB223_358
; %bb.355:                              ;   in Loop: Header=BB223_211 Depth=1
	v_bfe_u32 v45, v44, 16, 7
	v_mov_b32_e32 v50, 0x7f800001
	v_cmp_ne_u32_e64 s[0:1], s23, v45
	v_mov_b32_e32 v51, 0
	s_and_saveexec_b64 s[20:21], s[0:1]
	s_cbranch_execz .LBB223_357
; %bb.356:                              ;   in Loop: Header=BB223_211 Depth=1
	v_and_b32_e32 v54, 7, v12
	v_ffbh_u32_e32 v50, v54
	v_min_u32_e32 v67, 32, v50
	v_subrev_u32_e32 v50, 28, v67
	v_lshlrev_b64 v[50:51], v50, v[12:13]
	v_lshrrev_b32_e32 v55, 3, v45
	v_sub_u32_e32 v51, 29, v67
	v_and_b32_e32 v50, 7, v50
	v_cmp_gt_u32_e64 s[0:1], 8, v45
	v_cndmask_b32_e64 v45, v55, v51, s[0:1]
	v_cndmask_b32_e64 v50, v54, v50, s[0:1]
	v_lshlrev_b32_e32 v50, 20, v50
	v_and_b32_sdwa v12, sext(v12), s7 dst_sel:DWORD dst_unused:UNUSED_PAD src0_sel:BYTE_0 src1_sel:DWORD
	v_lshl_add_u32 v45, v45, 23, v33
	v_or3_b32 v12, v12, v45, v50
	v_pk_mov_b32 v[50:51], v[12:13], v[12:13] op_sel:[0,1]
.LBB223_357:                            ;   in Loop: Header=BB223_211 Depth=1
	s_or_b64 exec, exec, s[20:21]
.LBB223_358:                            ;   in Loop: Header=BB223_211 Depth=1
	s_or_b64 exec, exec, s[18:19]
.LBB223_359:                            ;   in Loop: Header=BB223_211 Depth=1
	s_or_b64 exec, exec, s[16:17]
	v_cmp_lt_u32_e64 s[0:1], s28, v44
	s_and_saveexec_b64 s[16:17], s[0:1]
	s_cbranch_execz .LBB223_365
; %bb.360:                              ;   in Loop: Header=BB223_211 Depth=1
	v_cmp_ne_u32_sdwa s[0:1], v44, s22 src0_sel:BYTE_3 src1_sel:DWORD
	v_pk_mov_b32 v[52:53], s[6:7], s[6:7] op_sel:[0,1]
	s_and_saveexec_b64 s[18:19], s[0:1]
	s_cbranch_execz .LBB223_364
; %bb.361:                              ;   in Loop: Header=BB223_211 Depth=1
	v_bfe_u32 v45, v44, 24, 7
	s_mov_b32 s14, s6
	v_cmp_ne_u32_e64 s[0:1], s23, v45
	v_pk_mov_b32 v[52:53], s[14:15], s[14:15] op_sel:[0,1]
	s_and_saveexec_b64 s[20:21], s[0:1]
	s_cbranch_execz .LBB223_363
; %bb.362:                              ;   in Loop: Header=BB223_211 Depth=1
	v_and_b32_sdwa v12, v44, v62 dst_sel:DWORD dst_unused:UNUSED_PAD src0_sel:BYTE_3 src1_sel:DWORD
	v_ffbh_u32_e32 v52, v12
	v_min_u32_e32 v55, 32, v52
	v_subrev_u32_e32 v52, 28, v55
	v_lshlrev_b64 v[52:53], v52, v[12:13]
	v_lshrrev_b32_e32 v54, 3, v45
	v_sub_u32_e32 v53, 29, v55
	v_cmp_gt_u32_e64 s[0:1], 8, v45
	v_and_b32_e32 v52, 7, v52
	v_cndmask_b32_e64 v45, v54, v53, s[0:1]
	v_cndmask_b32_e64 v12, v12, v52, s[0:1]
	v_lshlrev_b32_sdwa v44, v63, v44 dst_sel:DWORD dst_unused:UNUSED_PAD src0_sel:DWORD src1_sel:BYTE_3
	v_lshl_add_u32 v45, v45, 23, v33
	v_and_or_b32 v44, v44, s7, v45
	v_lshlrev_b32_e32 v12, 20, v12
	v_or_b32_e32 v53, v44, v12
	v_mov_b32_e32 v52, v13
.LBB223_363:                            ;   in Loop: Header=BB223_211 Depth=1
	s_or_b64 exec, exec, s[20:21]
.LBB223_364:                            ;   in Loop: Header=BB223_211 Depth=1
	s_or_b64 exec, exec, s[18:19]
.LBB223_365:                            ;   in Loop: Header=BB223_211 Depth=1
	s_or_b64 exec, exec, s[16:17]
	v_or_b32_e32 v45, v49, v47
	v_or_b32_e32 v44, v48, v46
	;; [unrolled: 1-line block ×4, first 2 shown]
	v_pk_mul_f32 v[44:45], s[10:11], v[44:45]
	v_pk_mul_f32 v[46:47], s[10:11], v[46:47]
	s_and_saveexec_b64 s[16:17], vcc
; %bb.366:                              ;   in Loop: Header=BB223_211 Depth=1
	v_cmp_gt_i32_e64 s[0:1], s29, v64
	v_cndmask_b32_e64 v44, 0, v44, s[0:1]
	v_cmp_gt_i32_e64 s[0:1], s29, v66
	v_cndmask_b32_e64 v45, 0, v45, s[0:1]
	;; [unrolled: 2-line block ×4, first 2 shown]
; %bb.367:                              ;   in Loop: Header=BB223_211 Depth=1
	s_or_b64 exec, exec, s[16:17]
	global_load_dword v22, v[22:23], off offset:1536
	v_pk_mov_b32 v[50:51], 0, 0
	v_pk_mov_b32 v[48:49], v[50:51], v[50:51] op_sel:[0,1]
	s_waitcnt vmcnt(0)
	v_cmp_ne_u16_sdwa s[0:1], v22, v13 src0_sel:BYTE_0 src1_sel:DWORD
	s_and_saveexec_b64 s[16:17], s[0:1]
	s_cbranch_execz .LBB223_373
; %bb.368:                              ;   in Loop: Header=BB223_211 Depth=1
	v_bfrev_b32_e32 v48, 1
	v_cmp_ne_u16_sdwa s[0:1], v22, s22 src0_sel:BYTE_0 src1_sel:DWORD
	v_mov_b32_e32 v49, 0
	s_and_saveexec_b64 s[18:19], s[0:1]
	s_cbranch_execz .LBB223_372
; %bb.369:                              ;   in Loop: Header=BB223_211 Depth=1
	v_and_b32_e32 v12, 0x7f, v22
	v_mov_b32_e32 v48, 0x7f800001
	v_cmp_ne_u32_e64 s[0:1], s23, v12
	v_mov_b32_e32 v49, 0
	s_and_saveexec_b64 s[20:21], s[0:1]
	s_cbranch_execz .LBB223_371
; %bb.370:                              ;   in Loop: Header=BB223_211 Depth=1
	v_and_b32_e32 v23, 7, v22
	v_ffbh_u32_e32 v48, v23
	v_min_u32_e32 v53, 32, v48
	v_subrev_u32_e32 v48, 28, v53
	v_lshlrev_b64 v[48:49], v48, v[22:23]
	v_lshrrev_b32_e32 v52, 3, v12
	v_sub_u32_e32 v49, 29, v53
	v_and_b32_e32 v48, 7, v48
	v_cmp_gt_u32_e64 s[0:1], 8, v12
	v_cndmask_b32_e64 v12, v52, v49, s[0:1]
	v_cndmask_b32_e64 v23, v23, v48, s[0:1]
	v_lshlrev_b32_e32 v23, 20, v23
	v_and_b32_sdwa v48, sext(v22), s7 dst_sel:DWORD dst_unused:UNUSED_PAD src0_sel:BYTE_0 src1_sel:DWORD
	v_lshl_add_u32 v12, v12, 23, v33
	v_or3_b32 v12, v48, v12, v23
	v_pk_mov_b32 v[48:49], v[12:13], v[12:13] op_sel:[0,1]
.LBB223_371:                            ;   in Loop: Header=BB223_211 Depth=1
	s_or_b64 exec, exec, s[20:21]
.LBB223_372:                            ;   in Loop: Header=BB223_211 Depth=1
	s_or_b64 exec, exec, s[18:19]
.LBB223_373:                            ;   in Loop: Header=BB223_211 Depth=1
	s_or_b64 exec, exec, s[16:17]
	v_cmp_ne_u16_sdwa s[0:1], v22, v13 src0_sel:BYTE_1 src1_sel:DWORD
	s_and_saveexec_b64 s[16:17], s[0:1]
	s_cbranch_execz .LBB223_379
; %bb.374:                              ;   in Loop: Header=BB223_211 Depth=1
	v_cmp_ne_u16_sdwa s[0:1], v22, s22 src0_sel:BYTE_1 src1_sel:DWORD
	v_pk_mov_b32 v[50:51], s[6:7], s[6:7] op_sel:[0,1]
	s_and_saveexec_b64 s[18:19], s[0:1]
	s_cbranch_execz .LBB223_378
; %bb.375:                              ;   in Loop: Header=BB223_211 Depth=1
	v_and_b32_sdwa v23, v22, s23 dst_sel:DWORD dst_unused:UNUSED_PAD src0_sel:BYTE_1 src1_sel:DWORD
	s_mov_b32 s14, s6
	v_cmp_ne_u32_e64 s[0:1], s23, v23
	v_pk_mov_b32 v[50:51], s[14:15], s[14:15] op_sel:[0,1]
	s_and_saveexec_b64 s[20:21], s[0:1]
	s_cbranch_execz .LBB223_377
; %bb.376:                              ;   in Loop: Header=BB223_211 Depth=1
	v_and_b32_sdwa v12, v22, v62 dst_sel:DWORD dst_unused:UNUSED_PAD src0_sel:BYTE_1 src1_sel:DWORD
	v_ffbh_u32_e32 v50, v12
	v_min_u32_e32 v53, 32, v50
	v_subrev_u32_e32 v50, 28, v53
	v_lshlrev_b64 v[50:51], v50, v[12:13]
	v_lshrrev_b32_e32 v52, 3, v23
	v_sub_u32_e32 v51, 29, v53
	v_cmp_gt_u32_e64 s[0:1], 8, v23
	v_and_b32_e32 v50, 7, v50
	v_cndmask_b32_e64 v23, v52, v51, s[0:1]
	v_cndmask_b32_e64 v12, v12, v50, s[0:1]
	v_lshlrev_b32_e32 v50, 16, v22
	v_lshl_add_u32 v23, v23, 23, v33
	v_and_or_b32 v23, v50, s7, v23
	v_lshlrev_b32_e32 v12, 20, v12
	v_or_b32_e32 v51, v23, v12
	v_mov_b32_e32 v50, v13
.LBB223_377:                            ;   in Loop: Header=BB223_211 Depth=1
	s_or_b64 exec, exec, s[20:21]
.LBB223_378:                            ;   in Loop: Header=BB223_211 Depth=1
	s_or_b64 exec, exec, s[18:19]
.LBB223_379:                            ;   in Loop: Header=BB223_211 Depth=1
	s_or_b64 exec, exec, s[16:17]
	v_lshrrev_b32_e32 v12, 16, v22
	v_pk_mov_b32 v[54:55], 0, 0
	v_cmp_ne_u16_sdwa s[0:1], v12, v13 src0_sel:BYTE_0 src1_sel:DWORD
	v_pk_mov_b32 v[52:53], v[54:55], v[54:55] op_sel:[0,1]
	s_and_saveexec_b64 s[16:17], s[0:1]
	s_cbranch_execz .LBB223_385
; %bb.380:                              ;   in Loop: Header=BB223_211 Depth=1
	v_bfrev_b32_e32 v52, 1
	v_cmp_ne_u16_sdwa s[0:1], v12, s22 src0_sel:BYTE_0 src1_sel:DWORD
	v_mov_b32_e32 v53, 0
	s_and_saveexec_b64 s[18:19], s[0:1]
	s_cbranch_execz .LBB223_384
; %bb.381:                              ;   in Loop: Header=BB223_211 Depth=1
	v_bfe_u32 v23, v22, 16, 7
	v_mov_b32_e32 v52, 0x7f800001
	v_cmp_ne_u32_e64 s[0:1], s23, v23
	v_mov_b32_e32 v53, 0
	s_and_saveexec_b64 s[20:21], s[0:1]
	s_cbranch_execz .LBB223_383
; %bb.382:                              ;   in Loop: Header=BB223_211 Depth=1
	v_and_b32_e32 v67, 7, v12
	v_ffbh_u32_e32 v52, v67
	v_min_u32_e32 v69, 32, v52
	v_subrev_u32_e32 v52, 28, v69
	v_lshlrev_b64 v[52:53], v52, v[12:13]
	v_lshrrev_b32_e32 v68, 3, v23
	v_sub_u32_e32 v53, 29, v69
	v_and_b32_e32 v52, 7, v52
	v_cmp_gt_u32_e64 s[0:1], 8, v23
	v_cndmask_b32_e64 v23, v68, v53, s[0:1]
	v_cndmask_b32_e64 v52, v67, v52, s[0:1]
	v_lshlrev_b32_e32 v52, 20, v52
	v_and_b32_sdwa v12, sext(v12), s7 dst_sel:DWORD dst_unused:UNUSED_PAD src0_sel:BYTE_0 src1_sel:DWORD
	v_lshl_add_u32 v23, v23, 23, v33
	v_or3_b32 v12, v12, v23, v52
	v_pk_mov_b32 v[52:53], v[12:13], v[12:13] op_sel:[0,1]
.LBB223_383:                            ;   in Loop: Header=BB223_211 Depth=1
	s_or_b64 exec, exec, s[20:21]
.LBB223_384:                            ;   in Loop: Header=BB223_211 Depth=1
	s_or_b64 exec, exec, s[18:19]
.LBB223_385:                            ;   in Loop: Header=BB223_211 Depth=1
	s_or_b64 exec, exec, s[16:17]
	v_cmp_lt_u32_e64 s[0:1], s28, v22
	s_and_saveexec_b64 s[16:17], s[0:1]
	s_cbranch_execz .LBB223_391
; %bb.386:                              ;   in Loop: Header=BB223_211 Depth=1
	v_cmp_ne_u32_sdwa s[0:1], v22, s22 src0_sel:BYTE_3 src1_sel:DWORD
	v_pk_mov_b32 v[54:55], s[6:7], s[6:7] op_sel:[0,1]
	s_and_saveexec_b64 s[18:19], s[0:1]
	s_cbranch_execz .LBB223_390
; %bb.387:                              ;   in Loop: Header=BB223_211 Depth=1
	v_bfe_u32 v23, v22, 24, 7
	s_mov_b32 s14, s6
	v_cmp_ne_u32_e64 s[0:1], s23, v23
	v_pk_mov_b32 v[54:55], s[14:15], s[14:15] op_sel:[0,1]
	s_and_saveexec_b64 s[20:21], s[0:1]
	s_cbranch_execz .LBB223_389
; %bb.388:                              ;   in Loop: Header=BB223_211 Depth=1
	v_and_b32_sdwa v12, v22, v62 dst_sel:DWORD dst_unused:UNUSED_PAD src0_sel:BYTE_3 src1_sel:DWORD
	v_ffbh_u32_e32 v54, v12
	v_min_u32_e32 v68, 32, v54
	v_subrev_u32_e32 v54, 28, v68
	v_lshlrev_b64 v[54:55], v54, v[12:13]
	v_lshrrev_b32_e32 v67, 3, v23
	v_sub_u32_e32 v55, 29, v68
	v_cmp_gt_u32_e64 s[0:1], 8, v23
	v_and_b32_e32 v54, 7, v54
	v_cndmask_b32_e64 v23, v67, v55, s[0:1]
	v_cndmask_b32_e64 v12, v12, v54, s[0:1]
	v_lshlrev_b32_sdwa v22, v63, v22 dst_sel:DWORD dst_unused:UNUSED_PAD src0_sel:DWORD src1_sel:BYTE_3
	v_lshl_add_u32 v23, v23, 23, v33
	v_and_or_b32 v22, v22, s7, v23
	v_lshlrev_b32_e32 v12, 20, v12
	v_or_b32_e32 v55, v22, v12
	v_mov_b32_e32 v54, v13
.LBB223_389:                            ;   in Loop: Header=BB223_211 Depth=1
	s_or_b64 exec, exec, s[20:21]
.LBB223_390:                            ;   in Loop: Header=BB223_211 Depth=1
	s_or_b64 exec, exec, s[18:19]
.LBB223_391:                            ;   in Loop: Header=BB223_211 Depth=1
	s_or_b64 exec, exec, s[16:17]
	v_or_b32_e32 v23, v51, v49
	v_or_b32_e32 v22, v50, v48
	;; [unrolled: 1-line block ×4, first 2 shown]
	v_pk_mul_f32 v[22:23], s[10:11], v[22:23]
	v_pk_mul_f32 v[48:49], s[10:11], v[48:49]
	s_and_saveexec_b64 s[0:1], vcc
	s_cbranch_execz .LBB223_210
; %bb.392:                              ;   in Loop: Header=BB223_211 Depth=1
	v_cmp_gt_i32_e32 vcc, s29, v64
	v_cndmask_b32_e32 v22, 0, v22, vcc
	v_cmp_gt_i32_e32 vcc, s29, v66
	v_cndmask_b32_e32 v23, 0, v23, vcc
	;; [unrolled: 2-line block ×4, first 2 shown]
	s_branch .LBB223_210
.LBB223_393:
	s_or_b64 exec, exec, s[12:13]
.LBB223_394:
	s_or_b64 exec, exec, s[4:5]
	ds_bpermute_b32 v4, v58, v8
	ds_bpermute_b32 v5, v58, v9
	;; [unrolled: 1-line block ×6, first 2 shown]
	s_waitcnt lgkmcnt(4)
	v_pk_add_f32 v[4:5], v[8:9], v[4:5]
	ds_bpermute_b32 v8, v58, v59
	s_waitcnt lgkmcnt(3)
	v_pk_add_f32 v[2:3], v[10:11], v[2:3]
	ds_bpermute_b32 v10, v57, v2
	;; [unrolled: 3-line block ×3, first 2 shown]
	ds_bpermute_b32 v12, v57, v6
	ds_bpermute_b32 v13, v57, v7
	s_waitcnt lgkmcnt(4)
	v_add_f32_e32 v16, v59, v8
	ds_bpermute_b32 v14, v57, v4
	ds_bpermute_b32 v15, v57, v5
	;; [unrolled: 1-line block ×3, first 2 shown]
	s_waitcnt lgkmcnt(5)
	v_pk_add_f32 v[8:9], v[2:3], v[10:11]
	s_waitcnt lgkmcnt(3)
	v_pk_add_f32 v[2:3], v[6:7], v[12:13]
	v_and_b32_e32 v7, 0x3c3, v0
	s_waitcnt lgkmcnt(1)
	v_pk_add_f32 v[4:5], v[4:5], v[14:15]
	s_waitcnt lgkmcnt(0)
	v_add_f32_e32 v6, v16, v17
	v_cmp_eq_u32_e32 vcc, 64, v7
	s_barrier
	s_and_saveexec_b64 s[0:1], vcc
	s_cbranch_execz .LBB223_396
; %bb.395:
	v_add_u32_e32 v10, 0x1d0, v56
	ds_write2_b32 v10, v8, v9 offset1:16
	ds_write2_b32 v10, v4, v5 offset0:32 offset1:48
	ds_write2_b32 v10, v2, v3 offset0:64 offset1:80
	ds_write_b32 v10, v6 offset:384
.LBB223_396:
	s_or_b64 exec, exec, s[0:1]
	v_cmp_gt_u32_e32 vcc, 64, v0
	s_waitcnt lgkmcnt(0)
	s_barrier
	s_and_saveexec_b64 s[0:1], vcc
	s_cbranch_execz .LBB223_406
; %bb.397:
	v_cmp_eq_u32_e32 vcc, 0, v30
	s_and_saveexec_b64 s[4:5], vcc
	s_cbranch_execnz .LBB223_409
; %bb.398:
	s_or_b64 exec, exec, s[4:5]
	s_and_saveexec_b64 s[4:5], vcc
	s_cbranch_execnz .LBB223_410
.LBB223_399:
	s_or_b64 exec, exec, s[4:5]
	s_and_saveexec_b64 s[4:5], vcc
	s_cbranch_execnz .LBB223_411
.LBB223_400:
	s_or_b64 exec, exec, s[4:5]
	s_and_saveexec_b64 s[4:5], vcc
	s_cbranch_execnz .LBB223_412
.LBB223_401:
	s_or_b64 exec, exec, s[4:5]
	s_and_saveexec_b64 s[4:5], vcc
	s_cbranch_execnz .LBB223_413
.LBB223_402:
	s_or_b64 exec, exec, s[4:5]
	s_and_saveexec_b64 s[4:5], vcc
	s_cbranch_execnz .LBB223_414
.LBB223_403:
	s_or_b64 exec, exec, s[4:5]
	s_and_saveexec_b64 s[4:5], vcc
	s_cbranch_execz .LBB223_405
.LBB223_404:
	v_mov_b32_e32 v0, 0x1d0
	v_lshl_add_u32 v0, v31, 2, v0
	ds_read_b32 v0, v0 offset:384
	s_waitcnt lgkmcnt(0)
	v_add_f32_e32 v6, v6, v0
.LBB223_405:
	s_or_b64 exec, exec, s[4:5]
.LBB223_406:
	s_or_b64 exec, exec, s[0:1]
	v_cmp_eq_u32_e32 vcc, 0, v7
	s_barrier
	s_and_saveexec_b64 s[0:1], vcc
	s_cbranch_execz .LBB223_408
; %bb.407:
	s_mul_i32 s0, s2, 0x70
	s_ashr_i32 s1, s0, 31
	s_lshl_b64 s[0:1], s[0:1], 2
	s_add_u32 s2, s26, s0
	s_mul_i32 s0, s25, s24
	s_addc_u32 s3, s27, s1
	s_ashr_i32 s1, s0, 31
	s_lshl_b64 s[0:1], s[0:1], 2
	s_add_u32 s2, s2, s0
	s_mul_i32 s0, s8, 0x70
	s_addc_u32 s3, s3, s1
	s_ashr_i32 s1, s0, 31
	s_lshl_b64 s[0:1], s[0:1], 2
	s_add_u32 s0, s2, s0
	s_addc_u32 s1, s3, s1
	global_store_dword v1, v8, s[0:1]
	global_store_dword v1, v9, s[0:1] offset:64
	global_store_dword v1, v4, s[0:1] offset:128
	;; [unrolled: 1-line block ×6, first 2 shown]
.LBB223_408:
	s_endpgm
.LBB223_409:
	v_mov_b32_e32 v0, 0x1d0
	v_lshl_add_u32 v0, v31, 2, v0
	ds_read_b32 v0, v0
	s_waitcnt lgkmcnt(0)
	v_add_f32_e32 v8, v8, v0
	s_or_b64 exec, exec, s[4:5]
	s_and_saveexec_b64 s[4:5], vcc
	s_cbranch_execz .LBB223_399
.LBB223_410:
	v_mov_b32_e32 v0, 0x1d0
	v_lshl_add_u32 v0, v31, 2, v0
	ds_read_b32 v0, v0 offset:64
	s_waitcnt lgkmcnt(0)
	v_add_f32_e32 v9, v9, v0
	s_or_b64 exec, exec, s[4:5]
	s_and_saveexec_b64 s[4:5], vcc
	s_cbranch_execz .LBB223_400
.LBB223_411:
	v_mov_b32_e32 v0, 0x1d0
	v_lshl_add_u32 v0, v31, 2, v0
	ds_read_b32 v0, v0 offset:128
	s_waitcnt lgkmcnt(0)
	v_add_f32_e32 v4, v4, v0
	s_or_b64 exec, exec, s[4:5]
	s_and_saveexec_b64 s[4:5], vcc
	s_cbranch_execz .LBB223_401
.LBB223_412:
	v_mov_b32_e32 v0, 0x1d0
	v_lshl_add_u32 v0, v31, 2, v0
	ds_read_b32 v0, v0 offset:192
	s_waitcnt lgkmcnt(0)
	v_add_f32_e32 v5, v5, v0
	s_or_b64 exec, exec, s[4:5]
	s_and_saveexec_b64 s[4:5], vcc
	s_cbranch_execz .LBB223_402
.LBB223_413:
	v_mov_b32_e32 v0, 0x1d0
	v_lshl_add_u32 v0, v31, 2, v0
	ds_read_b32 v0, v0 offset:256
	s_waitcnt lgkmcnt(0)
	v_add_f32_e32 v2, v2, v0
	s_or_b64 exec, exec, s[4:5]
	s_and_saveexec_b64 s[4:5], vcc
	s_cbranch_execz .LBB223_403
.LBB223_414:
	v_mov_b32_e32 v0, 0x1d0
	v_lshl_add_u32 v0, v31, 2, v0
	ds_read_b32 v0, v0 offset:320
	s_waitcnt lgkmcnt(0)
	v_add_f32_e32 v3, v3, v0
	s_or_b64 exec, exec, s[4:5]
	s_and_saveexec_b64 s[4:5], vcc
	s_cbranch_execnz .LBB223_404
	s_branch .LBB223_405
	.section	.rodata,"a",@progbits
	.p2align	6, 0x0
	.amdhsa_kernel _ZN4vllm25paged_attention_v2_kernelIfhLi112ELi16ELi128ELNS_18Fp8KVCacheDataTypeE1ELb0ELi512EEEvPfS2_PT_PKS3_PKT0_S9_ifPKiSB_iPKfiiiSD_SD_iiiii
		.amdhsa_group_segment_fixed_size 464
		.amdhsa_private_segment_fixed_size 0
		.amdhsa_kernarg_size 400
		.amdhsa_user_sgpr_count 6
		.amdhsa_user_sgpr_private_segment_buffer 1
		.amdhsa_user_sgpr_dispatch_ptr 0
		.amdhsa_user_sgpr_queue_ptr 0
		.amdhsa_user_sgpr_kernarg_segment_ptr 1
		.amdhsa_user_sgpr_dispatch_id 0
		.amdhsa_user_sgpr_flat_scratch_init 0
		.amdhsa_user_sgpr_kernarg_preload_length 0
		.amdhsa_user_sgpr_kernarg_preload_offset 0
		.amdhsa_user_sgpr_private_segment_size 0
		.amdhsa_uses_dynamic_stack 0
		.amdhsa_system_sgpr_private_segment_wavefront_offset 0
		.amdhsa_system_sgpr_workgroup_id_x 1
		.amdhsa_system_sgpr_workgroup_id_y 1
		.amdhsa_system_sgpr_workgroup_id_z 1
		.amdhsa_system_sgpr_workgroup_info 0
		.amdhsa_system_vgpr_workitem_id 0
		.amdhsa_next_free_vgpr 86
		.amdhsa_next_free_sgpr 51
		.amdhsa_accum_offset 88
		.amdhsa_reserve_vcc 1
		.amdhsa_reserve_flat_scratch 0
		.amdhsa_float_round_mode_32 0
		.amdhsa_float_round_mode_16_64 0
		.amdhsa_float_denorm_mode_32 3
		.amdhsa_float_denorm_mode_16_64 3
		.amdhsa_dx10_clamp 1
		.amdhsa_ieee_mode 1
		.amdhsa_fp16_overflow 0
		.amdhsa_tg_split 0
		.amdhsa_exception_fp_ieee_invalid_op 0
		.amdhsa_exception_fp_denorm_src 0
		.amdhsa_exception_fp_ieee_div_zero 0
		.amdhsa_exception_fp_ieee_overflow 0
		.amdhsa_exception_fp_ieee_underflow 0
		.amdhsa_exception_fp_ieee_inexact 0
		.amdhsa_exception_int_div_zero 0
	.end_amdhsa_kernel
	.section	.text._ZN4vllm25paged_attention_v2_kernelIfhLi112ELi16ELi128ELNS_18Fp8KVCacheDataTypeE1ELb0ELi512EEEvPfS2_PT_PKS3_PKT0_S9_ifPKiSB_iPKfiiiSD_SD_iiiii,"axG",@progbits,_ZN4vllm25paged_attention_v2_kernelIfhLi112ELi16ELi128ELNS_18Fp8KVCacheDataTypeE1ELb0ELi512EEEvPfS2_PT_PKS3_PKT0_S9_ifPKiSB_iPKfiiiSD_SD_iiiii,comdat
.Lfunc_end223:
	.size	_ZN4vllm25paged_attention_v2_kernelIfhLi112ELi16ELi128ELNS_18Fp8KVCacheDataTypeE1ELb0ELi512EEEvPfS2_PT_PKS3_PKT0_S9_ifPKiSB_iPKfiiiSD_SD_iiiii, .Lfunc_end223-_ZN4vllm25paged_attention_v2_kernelIfhLi112ELi16ELi128ELNS_18Fp8KVCacheDataTypeE1ELb0ELi512EEEvPfS2_PT_PKS3_PKT0_S9_ifPKiSB_iPKfiiiSD_SD_iiiii
                                        ; -- End function
	.section	.AMDGPU.csdata,"",@progbits
; Kernel info:
; codeLenInByte = 15164
; NumSgprs: 55
; NumVgprs: 86
; NumAgprs: 0
; TotalNumVgprs: 86
; ScratchSize: 0
; MemoryBound: 0
; FloatMode: 240
; IeeeMode: 1
; LDSByteSize: 464 bytes/workgroup (compile time only)
; SGPRBlocks: 6
; VGPRBlocks: 10
; NumSGPRsForWavesPerEU: 55
; NumVGPRsForWavesPerEU: 86
; AccumOffset: 88
; Occupancy: 5
; WaveLimiterHint : 1
; COMPUTE_PGM_RSRC2:SCRATCH_EN: 0
; COMPUTE_PGM_RSRC2:USER_SGPR: 6
; COMPUTE_PGM_RSRC2:TRAP_HANDLER: 0
; COMPUTE_PGM_RSRC2:TGID_X_EN: 1
; COMPUTE_PGM_RSRC2:TGID_Y_EN: 1
; COMPUTE_PGM_RSRC2:TGID_Z_EN: 1
; COMPUTE_PGM_RSRC2:TIDIG_COMP_CNT: 0
; COMPUTE_PGM_RSRC3_GFX90A:ACCUM_OFFSET: 21
; COMPUTE_PGM_RSRC3_GFX90A:TG_SPLIT: 0
	.section	.text._ZN4vllm25paged_attention_v2_kernelIfhLi120ELi16ELi128ELNS_18Fp8KVCacheDataTypeE1ELb0ELi512EEEvPfS2_PT_PKS3_PKT0_S9_ifPKiSB_iPKfiiiSD_SD_iiiii,"axG",@progbits,_ZN4vllm25paged_attention_v2_kernelIfhLi120ELi16ELi128ELNS_18Fp8KVCacheDataTypeE1ELb0ELi512EEEvPfS2_PT_PKS3_PKT0_S9_ifPKiSB_iPKfiiiSD_SD_iiiii,comdat
	.protected	_ZN4vllm25paged_attention_v2_kernelIfhLi120ELi16ELi128ELNS_18Fp8KVCacheDataTypeE1ELb0ELi512EEEvPfS2_PT_PKS3_PKT0_S9_ifPKiSB_iPKfiiiSD_SD_iiiii ; -- Begin function _ZN4vllm25paged_attention_v2_kernelIfhLi120ELi16ELi128ELNS_18Fp8KVCacheDataTypeE1ELb0ELi512EEEvPfS2_PT_PKS3_PKT0_S9_ifPKiSB_iPKfiiiSD_SD_iiiii
	.globl	_ZN4vllm25paged_attention_v2_kernelIfhLi120ELi16ELi128ELNS_18Fp8KVCacheDataTypeE1ELb0ELi512EEEvPfS2_PT_PKS3_PKT0_S9_ifPKiSB_iPKfiiiSD_SD_iiiii
	.p2align	8
	.type	_ZN4vllm25paged_attention_v2_kernelIfhLi120ELi16ELi128ELNS_18Fp8KVCacheDataTypeE1ELb0ELi512EEEvPfS2_PT_PKS3_PKT0_S9_ifPKiSB_iPKfiiiSD_SD_iiiii,@function
_ZN4vllm25paged_attention_v2_kernelIfhLi120ELi16ELi128ELNS_18Fp8KVCacheDataTypeE1ELb0ELi512EEEvPfS2_PT_PKS3_PKT0_S9_ifPKiSB_iPKfiiiSD_SD_iiiii: ; @_ZN4vllm25paged_attention_v2_kernelIfhLi120ELi16ELi128ELNS_18Fp8KVCacheDataTypeE1ELb0ELi512EEEvPfS2_PT_PKS3_PKT0_S9_ifPKiSB_iPKfiiiSD_SD_iiiii
; %bb.0:
	s_load_dwordx2 s[0:1], s[4:5], 0x40
	s_mov_b32 s28, s7
	s_ashr_i32 s29, s7, 31
	s_lshl_b64 s[2:3], s[28:29], 2
	s_waitcnt lgkmcnt(0)
	s_add_u32 s0, s0, s2
	s_addc_u32 s1, s1, s3
	s_load_dword s33, s[0:1], 0x0
	s_lshl_b32 s29, s8, 9
	s_waitcnt lgkmcnt(0)
	s_cmp_ge_i32 s29, s33
	s_cbranch_scc1 .LBB224_474
; %bb.1:
	s_load_dword s9, s[4:5], 0x90
	s_load_dwordx2 s[10:11], s[4:5], 0x30
	s_waitcnt lgkmcnt(0)
	s_abs_i32 s2, s9
	s_abs_i32 s0, s10
	v_cvt_f32_u32_e32 v1, s0
	s_sub_i32 s3, 0, s0
	s_xor_b32 s1, s9, s10
	s_ashr_i32 s1, s1, 31
	v_rcp_iflag_f32_e32 v1, v1
	v_mul_f32_e32 v1, 0x4f7ffffe, v1
	v_cvt_u32_f32_e32 v1, v1
	v_readfirstlane_b32 s7, v1
	s_mul_i32 s3, s3, s7
	s_mul_hi_u32 s3, s7, s3
	s_add_i32 s7, s7, s3
	s_mul_hi_u32 s3, s2, s7
	s_mul_i32 s7, s3, s0
	s_sub_i32 s2, s2, s7
	s_add_i32 s10, s3, 1
	s_sub_i32 s7, s2, s0
	s_cmp_ge_u32 s2, s0
	s_cselect_b32 s3, s10, s3
	s_cselect_b32 s2, s7, s2
	s_add_i32 s7, s3, 1
	s_cmp_ge_u32 s2, s0
	s_cselect_b32 s0, s7, s3
	s_xor_b32 s0, s0, s1
	s_sub_i32 s12, s0, s1
	s_abs_i32 s2, s12
	v_cvt_f32_u32_e32 v1, s2
	s_load_dwordx2 s[0:1], s[4:5], 0x50
	s_sub_i32 s7, 0, s2
	s_abs_i32 s3, s6
	v_rcp_iflag_f32_e32 v1, v1
	s_mov_b32 s10, 0
	v_mul_f32_e32 v1, 0x4f7ffffe, v1
	v_cvt_u32_f32_e32 v1, v1
	v_readfirstlane_b32 s13, v1
	s_mul_i32 s7, s7, s13
	s_mul_hi_u32 s7, s13, s7
	s_add_i32 s13, s13, s7
	s_waitcnt lgkmcnt(0)
	s_cmp_eq_u64 s[0:1], 0
	s_mul_hi_u32 s16, s3, s13
	s_cbranch_scc1 .LBB224_3
; %bb.2:
	s_ashr_i32 s7, s6, 31
	s_lshl_b64 s[14:15], s[6:7], 2
	s_add_u32 s0, s0, s14
	s_addc_u32 s1, s1, s15
	s_load_dword s10, s[0:1], 0x0
.LBB224_3:
	s_ashr_i32 s18, s12, 31
	s_load_dwordx4 s[12:15], s[4:5], 0x58
	v_lshrrev_b32_e32 v31, 2, v0
	s_movk_i32 s7, 0x78
	s_ashr_i32 s17, s6, 31
	v_and_b32_e32 v30, 3, v0
	s_mul_i32 s24, s6, 0x78
	v_cmp_gt_u32_e32 vcc, s7, v0
	v_lshlrev_b32_e32 v45, 2, v0
	v_lshlrev_b32_e32 v1, 2, v31
	s_and_saveexec_b64 s[0:1], vcc
	s_cbranch_execz .LBB224_5
; %bb.4:
	s_load_dwordx2 s[20:21], s[4:5], 0x18
	s_waitcnt lgkmcnt(0)
	s_mul_i32 s22, s28, s12
	s_ashr_i32 s23, s22, 31
	s_lshl_b64 s[22:23], s[22:23], 2
	v_mad_u32_u24 v3, v30, s7, v1
	s_add_u32 s12, s20, s22
	s_addc_u32 s15, s21, s23
	s_ashr_i32 s25, s24, 31
	s_lshl_b64 s[20:21], s[24:25], 2
	s_add_u32 s20, s12, s20
	s_addc_u32 s21, s15, s21
	global_load_dword v2, v45, s[20:21]
	s_waitcnt vmcnt(0)
	ds_write_b32 v3, v2
.LBB224_5:
	s_or_b64 exec, exec, s[0:1]
	s_add_i32 s0, s33, 15
	s_ashr_i32 s1, s0, 31
	s_lshr_b32 s1, s1, 28
	s_add_i32 s0, s0, s1
	s_lshl_b32 s7, s8, 5
	s_mul_i32 s1, s16, s2
	s_ashr_i32 s45, s0, 4
	s_add_i32 s0, s7, 32
	s_sub_i32 s1, s3, s1
	s_min_i32 s44, s0, s45
	s_xor_b32 s0, s17, s18
	s_add_i32 s3, s16, 1
	s_waitcnt lgkmcnt(0)
	s_sub_i32 s12, s1, s2
	s_cmp_ge_u32 s1, s2
	s_cselect_b32 s3, s3, s16
	s_cselect_b32 s1, s12, s1
	s_add_i32 s12, s3, 1
	s_cmp_ge_u32 s1, s2
	s_load_dwordx2 s[30:31], s[4:5], 0x38
	s_load_dword s2, s[4:5], 0x48
	v_lshrrev_b32_e32 v46, 6, v0
	s_cselect_b32 s1, s12, s3
	s_xor_b32 s1, s1, s0
	v_or_b32_e32 v32, s7, v46
	s_waitcnt lgkmcnt(0)
	s_mul_i32 s34, s28, s2
	s_sub_i32 s12, s1, s0
	s_ashr_i32 s35, s34, 31
	v_cmp_gt_i32_e64 s[0:1], s44, v32
	v_cmp_le_i32_e32 vcc, s44, v32
	v_mbcnt_lo_u32_b32 v38, -1, 0
	s_barrier
	s_waitcnt lgkmcnt(0)
                                        ; implicit-def: $sgpr15
                                        ; implicit-def: $vgpr47
                                        ; implicit-def: $vgpr48
	s_and_saveexec_b64 s[2:3], vcc
	s_xor_b64 s[2:3], exec, s[2:3]
; %bb.6:
	v_mbcnt_hi_u32_b32 v47, -1, v38
	v_and_b32_e32 v2, 64, v47
	v_add_u32_e32 v48, 64, v2
	s_mov_b32 s15, 0xff7fffff
                                        ; implicit-def: $vgpr38
; %bb.7:
	s_or_saveexec_b64 s[38:39], s[2:3]
	s_load_dwordx4 s[20:23], s[4:5], 0x0
	s_load_dwordx2 s[26:27], s[4:5], 0x10
	s_load_dword s25, s[4:5], 0x98
	s_load_dwordx2 s[36:37], s[4:5], 0x28
	s_load_dwordx4 s[16:19], s[4:5], 0x68
	v_mov_b32_e32 v49, s15
	s_mul_i32 s12, s12, s14
	v_ashrrev_i32_e32 v33, 31, v32
	s_xor_b64 exec, exec, s[38:39]
	s_cbranch_execz .LBB224_193
; %bb.8:
	s_load_dwordx2 s[2:3], s[4:5], 0x20
	s_ashr_i32 s4, s12, 31
	v_bfe_u32 v39, v0, 2, 4
	v_lshlrev_b32_e32 v2, 4, v39
	v_mbcnt_hi_u32_b32 v47, -1, v38
	s_waitcnt lgkmcnt(0)
	s_add_u32 s2, s2, s12
	s_addc_u32 s3, s3, s4
	v_mov_b32_e32 v3, s3
	v_add_co_u32_e32 v34, vcc, s2, v2
	v_and_b32_e32 v38, 64, v47
	v_addc_co_u32_e32 v35, vcc, 0, v3, vcc
	v_mul_u32_u24_e32 v36, 0x78, v30
	v_add_u32_e32 v48, 64, v38
	v_xor_b32_e32 v38, 2, v47
	ds_read2_b64 v[2:5], v36 offset1:1
	ds_read2_b64 v[6:9], v36 offset0:2 offset1:3
	ds_read2_b64 v[10:13], v36 offset0:4 offset1:5
	;; [unrolled: 1-line block ×6, first 2 shown]
	ds_read_b64 v[36:37], v36 offset:112
	v_cmp_lt_i32_e32 vcc, v38, v48
	v_cndmask_b32_e32 v38, v47, v38, vcc
	v_lshlrev_b32_e32 v50, 2, v38
	v_xor_b32_e32 v38, 1, v47
	v_cmp_lt_i32_e32 vcc, v38, v48
	v_cndmask_b32_e32 v38, v47, v38, vcc
	v_lshlrev_b32_e32 v51, 2, v38
	v_lshlrev_b32_e32 v38, 4, v46
	s_load_dword s47, s[16:17], 0x0
	s_sub_i32 s48, 1, s33
	v_add3_u32 v52, s29, v38, v39
	v_lshlrev_b32_e32 v38, 2, v39
	s_lshl_b64 s[14:15], s[34:35], 2
	v_lshl_or_b32 v38, v46, 6, v38
	s_add_u32 s14, s30, s14
	v_add_u32_e32 v53, 0x1f0, v38
	v_lshlrev_b64 v[38:39], 2, v[32:33]
	s_addc_u32 s15, s31, s15
	v_mov_b32_e32 v40, s15
	v_add_co_u32_e32 v38, vcc, s14, v38
	s_mov_b32 s46, s13
	v_cmp_eq_u32_e64 s[2:3], 0, v30
	v_cmp_neq_f32_e64 s[4:5], s10, 0
	v_addc_co_u32_e32 v39, vcc, v40, v39, vcc
	s_mov_b64 s[14:15], 0
	v_mov_b32_e32 v49, 0xff7fffff
	s_movk_i32 s49, 0x80
	s_movk_i32 s50, 0x7f
	v_bfrev_b32_e32 v54, 60
	v_mov_b32_e32 v55, v32
	s_branch .LBB224_10
.LBB224_9:                              ;   in Loop: Header=BB224_10 Depth=1
	s_or_b64 exec, exec, s[16:17]
	v_add_u32_e32 v55, 2, v55
	v_cmp_le_i32_e32 vcc, s44, v55
	s_or_b64 s[14:15], vcc, s[14:15]
	v_add_co_u32_e32 v38, vcc, 8, v38
	v_add_u32_e32 v52, 32, v52
	v_add_u32_e32 v53, 0x80, v53
	v_addc_co_u32_e32 v39, vcc, 0, v39, vcc
	s_andn2_b64 exec, exec, s[14:15]
	s_cbranch_execz .LBB224_192
.LBB224_10:                             ; =>This Inner Loop Header: Depth=1
	global_load_dword v40, v[38:39], off
	v_mov_b32_e32 v56, 0
	s_waitcnt vmcnt(0) lgkmcnt(0)
	v_mad_i64_i32 v[40:41], s[16:17], v40, s46, v[34:35]
	v_add_co_u32_e32 v40, vcc, v40, v30
	v_addc_co_u32_e32 v41, vcc, 0, v41, vcc
	global_load_ubyte v43, v[40:41], off
	s_waitcnt vmcnt(0)
	v_cmp_ne_u16_e32 vcc, 0, v43
	s_and_saveexec_b64 s[16:17], vcc
	s_cbranch_execz .LBB224_16
; %bb.11:                               ;   in Loop: Header=BB224_10 Depth=1
	v_cmp_ne_u16_e32 vcc, s49, v43
	v_bfrev_b32_e32 v56, 1
	s_and_saveexec_b64 s[40:41], vcc
	s_cbranch_execz .LBB224_15
; %bb.12:                               ;   in Loop: Header=BB224_10 Depth=1
	v_and_b32_e32 v42, 0xffff, v43
	v_and_b32_e32 v44, 0x7f, v42
	v_cmp_ne_u32_e32 vcc, s50, v44
	v_mov_b32_e32 v56, 0x7f800001
	s_and_saveexec_b64 s[42:43], vcc
	s_cbranch_execz .LBB224_14
; %bb.13:                               ;   in Loop: Header=BB224_10 Depth=1
	v_and_b32_e32 v58, 7, v42
	v_ffbh_u32_e32 v56, v58
	v_min_u32_e32 v60, 32, v56
	v_subrev_u32_e32 v56, 28, v60
	v_lshlrev_b64 v[56:57], v56, v[42:43]
	v_lshrrev_b32_e32 v59, 3, v44
	v_sub_u32_e32 v42, 29, v60
	v_and_b32_e32 v56, 7, v56
	v_cmp_gt_u32_e32 vcc, 8, v44
	v_cndmask_b32_e32 v42, v59, v42, vcc
	v_cndmask_b32_e32 v44, v58, v56, vcc
	v_lshlrev_b32_e32 v43, 24, v43
	v_lshlrev_b32_e32 v44, 20, v44
	v_and_b32_e32 v43, 0x80000000, v43
	v_lshl_add_u32 v42, v42, 23, v54
	v_or3_b32 v56, v43, v42, v44
.LBB224_14:                             ;   in Loop: Header=BB224_10 Depth=1
	s_or_b64 exec, exec, s[42:43]
.LBB224_15:                             ;   in Loop: Header=BB224_10 Depth=1
	s_or_b64 exec, exec, s[40:41]
.LBB224_16:                             ;   in Loop: Header=BB224_10 Depth=1
	s_or_b64 exec, exec, s[16:17]
	global_load_ubyte v43, v[40:41], off offset:4
	v_mov_b32_e32 v57, 0
	s_waitcnt vmcnt(0)
	v_cmp_ne_u16_e32 vcc, 0, v43
	s_and_saveexec_b64 s[16:17], vcc
	s_cbranch_execz .LBB224_22
; %bb.17:                               ;   in Loop: Header=BB224_10 Depth=1
	v_cmp_ne_u16_e32 vcc, s49, v43
	v_bfrev_b32_e32 v57, 1
	s_and_saveexec_b64 s[40:41], vcc
	s_cbranch_execz .LBB224_21
; %bb.18:                               ;   in Loop: Header=BB224_10 Depth=1
	v_and_b32_e32 v42, 0xffff, v43
	v_and_b32_e32 v44, 0x7f, v42
	v_cmp_ne_u32_e32 vcc, s50, v44
	v_mov_b32_e32 v57, 0x7f800001
	s_and_saveexec_b64 s[42:43], vcc
	s_cbranch_execz .LBB224_20
; %bb.19:                               ;   in Loop: Header=BB224_10 Depth=1
	v_and_b32_e32 v57, 7, v42
	v_ffbh_u32_e32 v58, v57
	v_min_u32_e32 v61, 32, v58
	v_subrev_u32_e32 v58, 28, v61
	v_lshlrev_b64 v[58:59], v58, v[42:43]
	v_lshrrev_b32_e32 v60, 3, v44
	v_sub_u32_e32 v42, 29, v61
	v_and_b32_e32 v58, 7, v58
	v_cmp_gt_u32_e32 vcc, 8, v44
	v_cndmask_b32_e32 v42, v60, v42, vcc
	v_cndmask_b32_e32 v44, v57, v58, vcc
	v_lshlrev_b32_e32 v43, 24, v43
	v_lshlrev_b32_e32 v44, 20, v44
	v_and_b32_e32 v43, 0x80000000, v43
	v_lshl_add_u32 v42, v42, 23, v54
	v_or3_b32 v57, v43, v42, v44
.LBB224_20:                             ;   in Loop: Header=BB224_10 Depth=1
	s_or_b64 exec, exec, s[42:43]
.LBB224_21:                             ;   in Loop: Header=BB224_10 Depth=1
	s_or_b64 exec, exec, s[40:41]
.LBB224_22:                             ;   in Loop: Header=BB224_10 Depth=1
	s_or_b64 exec, exec, s[16:17]
	global_load_ubyte v43, v[40:41], off offset:8
	v_mov_b32_e32 v58, 0
	v_mov_b32_e32 v59, 0
	s_waitcnt vmcnt(0)
	v_cmp_ne_u16_e32 vcc, 0, v43
	s_and_saveexec_b64 s[16:17], vcc
	s_cbranch_execz .LBB224_28
; %bb.23:                               ;   in Loop: Header=BB224_10 Depth=1
	v_cmp_ne_u16_e32 vcc, s49, v43
	v_bfrev_b32_e32 v59, 1
	s_and_saveexec_b64 s[40:41], vcc
	s_cbranch_execz .LBB224_27
; %bb.24:                               ;   in Loop: Header=BB224_10 Depth=1
	v_and_b32_e32 v42, 0xffff, v43
	v_and_b32_e32 v44, 0x7f, v42
	v_cmp_ne_u32_e32 vcc, s50, v44
	v_mov_b32_e32 v59, 0x7f800001
	s_and_saveexec_b64 s[42:43], vcc
	s_cbranch_execz .LBB224_26
; %bb.25:                               ;   in Loop: Header=BB224_10 Depth=1
	v_and_b32_e32 v59, 7, v42
	v_ffbh_u32_e32 v60, v59
	v_min_u32_e32 v63, 32, v60
	v_subrev_u32_e32 v60, 28, v63
	v_lshlrev_b64 v[60:61], v60, v[42:43]
	v_lshrrev_b32_e32 v62, 3, v44
	v_sub_u32_e32 v42, 29, v63
	v_and_b32_e32 v60, 7, v60
	v_cmp_gt_u32_e32 vcc, 8, v44
	v_cndmask_b32_e32 v42, v62, v42, vcc
	v_cndmask_b32_e32 v44, v59, v60, vcc
	v_lshlrev_b32_e32 v43, 24, v43
	v_lshlrev_b32_e32 v44, 20, v44
	v_and_b32_e32 v43, 0x80000000, v43
	v_lshl_add_u32 v42, v42, 23, v54
	v_or3_b32 v59, v43, v42, v44
.LBB224_26:                             ;   in Loop: Header=BB224_10 Depth=1
	s_or_b64 exec, exec, s[42:43]
.LBB224_27:                             ;   in Loop: Header=BB224_10 Depth=1
	s_or_b64 exec, exec, s[40:41]
.LBB224_28:                             ;   in Loop: Header=BB224_10 Depth=1
	s_or_b64 exec, exec, s[16:17]
	global_load_ubyte v43, v[40:41], off offset:12
	s_waitcnt vmcnt(0)
	v_cmp_ne_u16_e32 vcc, 0, v43
	s_and_saveexec_b64 s[16:17], vcc
	s_cbranch_execz .LBB224_34
; %bb.29:                               ;   in Loop: Header=BB224_10 Depth=1
	v_cmp_ne_u16_e32 vcc, s49, v43
	v_bfrev_b32_e32 v58, 1
	s_and_saveexec_b64 s[40:41], vcc
	s_cbranch_execz .LBB224_33
; %bb.30:                               ;   in Loop: Header=BB224_10 Depth=1
	v_and_b32_e32 v42, 0xffff, v43
	v_and_b32_e32 v44, 0x7f, v42
	v_cmp_ne_u32_e32 vcc, s50, v44
	v_mov_b32_e32 v58, 0x7f800001
	s_and_saveexec_b64 s[42:43], vcc
	s_cbranch_execz .LBB224_32
; %bb.31:                               ;   in Loop: Header=BB224_10 Depth=1
	v_and_b32_e32 v58, 7, v42
	v_ffbh_u32_e32 v60, v58
	v_min_u32_e32 v63, 32, v60
	v_subrev_u32_e32 v60, 28, v63
	v_lshlrev_b64 v[60:61], v60, v[42:43]
	v_lshrrev_b32_e32 v62, 3, v44
	v_sub_u32_e32 v42, 29, v63
	v_and_b32_e32 v60, 7, v60
	v_cmp_gt_u32_e32 vcc, 8, v44
	v_cndmask_b32_e32 v42, v62, v42, vcc
	v_cndmask_b32_e32 v44, v58, v60, vcc
	v_lshlrev_b32_e32 v43, 24, v43
	v_lshlrev_b32_e32 v44, 20, v44
	v_and_b32_e32 v43, 0x80000000, v43
	v_lshl_add_u32 v42, v42, 23, v54
	v_or3_b32 v58, v43, v42, v44
.LBB224_32:                             ;   in Loop: Header=BB224_10 Depth=1
	s_or_b64 exec, exec, s[42:43]
.LBB224_33:                             ;   in Loop: Header=BB224_10 Depth=1
	s_or_b64 exec, exec, s[40:41]
.LBB224_34:                             ;   in Loop: Header=BB224_10 Depth=1
	s_or_b64 exec, exec, s[16:17]
	global_load_ubyte v43, v[40:41], off offset:256
	v_mov_b32_e32 v60, 0
	v_mov_b32_e32 v61, 0
	s_waitcnt vmcnt(0)
	v_cmp_ne_u16_e32 vcc, 0, v43
	s_and_saveexec_b64 s[16:17], vcc
	s_cbranch_execz .LBB224_40
; %bb.35:                               ;   in Loop: Header=BB224_10 Depth=1
	v_cmp_ne_u16_e32 vcc, s49, v43
	v_bfrev_b32_e32 v61, 1
	s_and_saveexec_b64 s[40:41], vcc
	s_cbranch_execz .LBB224_39
; %bb.36:                               ;   in Loop: Header=BB224_10 Depth=1
	v_and_b32_e32 v42, 0xffff, v43
	v_and_b32_e32 v44, 0x7f, v42
	v_cmp_ne_u32_e32 vcc, s50, v44
	v_mov_b32_e32 v61, 0x7f800001
	s_and_saveexec_b64 s[42:43], vcc
	s_cbranch_execz .LBB224_38
; %bb.37:                               ;   in Loop: Header=BB224_10 Depth=1
	v_and_b32_e32 v61, 7, v42
	v_ffbh_u32_e32 v62, v61
	v_min_u32_e32 v65, 32, v62
	v_subrev_u32_e32 v62, 28, v65
	v_lshlrev_b64 v[62:63], v62, v[42:43]
	v_lshrrev_b32_e32 v64, 3, v44
	v_sub_u32_e32 v42, 29, v65
	v_and_b32_e32 v62, 7, v62
	v_cmp_gt_u32_e32 vcc, 8, v44
	v_cndmask_b32_e32 v42, v64, v42, vcc
	v_cndmask_b32_e32 v44, v61, v62, vcc
	v_lshlrev_b32_e32 v43, 24, v43
	v_lshlrev_b32_e32 v44, 20, v44
	v_and_b32_e32 v43, 0x80000000, v43
	v_lshl_add_u32 v42, v42, 23, v54
	v_or3_b32 v61, v43, v42, v44
.LBB224_38:                             ;   in Loop: Header=BB224_10 Depth=1
	s_or_b64 exec, exec, s[42:43]
.LBB224_39:                             ;   in Loop: Header=BB224_10 Depth=1
	s_or_b64 exec, exec, s[40:41]
.LBB224_40:                             ;   in Loop: Header=BB224_10 Depth=1
	s_or_b64 exec, exec, s[16:17]
	global_load_ubyte v43, v[40:41], off offset:260
	s_waitcnt vmcnt(0)
	v_cmp_ne_u16_e32 vcc, 0, v43
	s_and_saveexec_b64 s[16:17], vcc
	s_cbranch_execz .LBB224_46
; %bb.41:                               ;   in Loop: Header=BB224_10 Depth=1
	v_cmp_ne_u16_e32 vcc, s49, v43
	v_bfrev_b32_e32 v60, 1
	s_and_saveexec_b64 s[40:41], vcc
	s_cbranch_execz .LBB224_45
; %bb.42:                               ;   in Loop: Header=BB224_10 Depth=1
	v_and_b32_e32 v42, 0xffff, v43
	v_and_b32_e32 v44, 0x7f, v42
	v_cmp_ne_u32_e32 vcc, s50, v44
	v_mov_b32_e32 v60, 0x7f800001
	s_and_saveexec_b64 s[42:43], vcc
	s_cbranch_execz .LBB224_44
; %bb.43:                               ;   in Loop: Header=BB224_10 Depth=1
	v_and_b32_e32 v60, 7, v42
	v_ffbh_u32_e32 v62, v60
	v_min_u32_e32 v65, 32, v62
	v_subrev_u32_e32 v62, 28, v65
	v_lshlrev_b64 v[62:63], v62, v[42:43]
	v_lshrrev_b32_e32 v64, 3, v44
	v_sub_u32_e32 v42, 29, v65
	v_and_b32_e32 v62, 7, v62
	v_cmp_gt_u32_e32 vcc, 8, v44
	v_cndmask_b32_e32 v42, v64, v42, vcc
	v_cndmask_b32_e32 v44, v60, v62, vcc
	v_lshlrev_b32_e32 v43, 24, v43
	v_lshlrev_b32_e32 v44, 20, v44
	v_and_b32_e32 v43, 0x80000000, v43
	v_lshl_add_u32 v42, v42, 23, v54
	v_or3_b32 v60, v43, v42, v44
.LBB224_44:                             ;   in Loop: Header=BB224_10 Depth=1
	s_or_b64 exec, exec, s[42:43]
.LBB224_45:                             ;   in Loop: Header=BB224_10 Depth=1
	s_or_b64 exec, exec, s[40:41]
.LBB224_46:                             ;   in Loop: Header=BB224_10 Depth=1
	s_or_b64 exec, exec, s[16:17]
	v_add_co_u32_e32 v42, vcc, 0x100, v40
	v_addc_co_u32_e32 v43, vcc, 0, v41, vcc
	global_load_ubyte v64, v[42:43], off offset:8
	v_mov_b32_e32 v62, 0
	v_mov_b32_e32 v63, 0
	s_waitcnt vmcnt(0)
	v_cmp_ne_u16_e32 vcc, 0, v64
	s_and_saveexec_b64 s[16:17], vcc
	s_cbranch_execz .LBB224_52
; %bb.47:                               ;   in Loop: Header=BB224_10 Depth=1
	v_cmp_ne_u16_e32 vcc, s49, v64
	v_bfrev_b32_e32 v63, 1
	s_and_saveexec_b64 s[40:41], vcc
	s_cbranch_execz .LBB224_51
; %bb.48:                               ;   in Loop: Header=BB224_10 Depth=1
	v_and_b32_e32 v44, 0xffff, v64
	v_and_b32_e32 v65, 0x7f, v44
	v_cmp_ne_u32_e32 vcc, s50, v65
	v_mov_b32_e32 v63, 0x7f800001
	s_and_saveexec_b64 s[42:43], vcc
	s_cbranch_execz .LBB224_50
; %bb.49:                               ;   in Loop: Header=BB224_10 Depth=1
	v_and_b32_e32 v63, 7, v44
	v_ffbh_u32_e32 v66, v63
	v_min_u32_e32 v69, 32, v66
	v_subrev_u32_e32 v66, 28, v69
	v_lshlrev_b64 v[66:67], v66, v[44:45]
	v_lshrrev_b32_e32 v68, 3, v65
	v_sub_u32_e32 v44, 29, v69
	v_and_b32_e32 v66, 7, v66
	v_cmp_gt_u32_e32 vcc, 8, v65
	v_cndmask_b32_e32 v44, v68, v44, vcc
	v_cndmask_b32_e32 v63, v63, v66, vcc
	v_lshlrev_b32_e32 v64, 24, v64
	v_lshlrev_b32_e32 v63, 20, v63
	v_and_b32_e32 v64, 0x80000000, v64
	v_lshl_add_u32 v44, v44, 23, v54
	v_or3_b32 v63, v64, v44, v63
.LBB224_50:                             ;   in Loop: Header=BB224_10 Depth=1
	s_or_b64 exec, exec, s[42:43]
.LBB224_51:                             ;   in Loop: Header=BB224_10 Depth=1
	s_or_b64 exec, exec, s[40:41]
.LBB224_52:                             ;   in Loop: Header=BB224_10 Depth=1
	s_or_b64 exec, exec, s[16:17]
	global_load_ubyte v43, v[42:43], off offset:12
	s_waitcnt vmcnt(0)
	v_cmp_ne_u16_e32 vcc, 0, v43
	s_and_saveexec_b64 s[16:17], vcc
	s_cbranch_execz .LBB224_58
; %bb.53:                               ;   in Loop: Header=BB224_10 Depth=1
	v_cmp_ne_u16_e32 vcc, s49, v43
	v_bfrev_b32_e32 v62, 1
	s_and_saveexec_b64 s[40:41], vcc
	s_cbranch_execz .LBB224_57
; %bb.54:                               ;   in Loop: Header=BB224_10 Depth=1
	v_and_b32_e32 v42, 0xffff, v43
	v_and_b32_e32 v44, 0x7f, v42
	v_cmp_ne_u32_e32 vcc, s50, v44
	v_mov_b32_e32 v62, 0x7f800001
	s_and_saveexec_b64 s[42:43], vcc
	s_cbranch_execz .LBB224_56
; %bb.55:                               ;   in Loop: Header=BB224_10 Depth=1
	v_and_b32_e32 v62, 7, v42
	v_ffbh_u32_e32 v64, v62
	v_min_u32_e32 v67, 32, v64
	v_subrev_u32_e32 v64, 28, v67
	v_lshlrev_b64 v[64:65], v64, v[42:43]
	v_lshrrev_b32_e32 v66, 3, v44
	v_sub_u32_e32 v42, 29, v67
	v_and_b32_e32 v64, 7, v64
	v_cmp_gt_u32_e32 vcc, 8, v44
	v_cndmask_b32_e32 v42, v66, v42, vcc
	v_cndmask_b32_e32 v44, v62, v64, vcc
	v_lshlrev_b32_e32 v43, 24, v43
	v_lshlrev_b32_e32 v44, 20, v44
	v_and_b32_e32 v43, 0x80000000, v43
	v_lshl_add_u32 v42, v42, 23, v54
	v_or3_b32 v62, v43, v42, v44
.LBB224_56:                             ;   in Loop: Header=BB224_10 Depth=1
	s_or_b64 exec, exec, s[42:43]
.LBB224_57:                             ;   in Loop: Header=BB224_10 Depth=1
	s_or_b64 exec, exec, s[40:41]
.LBB224_58:                             ;   in Loop: Header=BB224_10 Depth=1
	s_or_b64 exec, exec, s[16:17]
	global_load_ubyte v43, v[40:41], off offset:512
	v_mov_b32_e32 v64, 0
	v_mov_b32_e32 v65, 0
	s_waitcnt vmcnt(0)
	v_cmp_ne_u16_e32 vcc, 0, v43
	s_and_saveexec_b64 s[16:17], vcc
	s_cbranch_execz .LBB224_64
; %bb.59:                               ;   in Loop: Header=BB224_10 Depth=1
	v_cmp_ne_u16_e32 vcc, s49, v43
	v_bfrev_b32_e32 v65, 1
	s_and_saveexec_b64 s[40:41], vcc
	s_cbranch_execz .LBB224_63
; %bb.60:                               ;   in Loop: Header=BB224_10 Depth=1
	v_and_b32_e32 v42, 0xffff, v43
	v_and_b32_e32 v44, 0x7f, v42
	v_cmp_ne_u32_e32 vcc, s50, v44
	v_mov_b32_e32 v65, 0x7f800001
	s_and_saveexec_b64 s[42:43], vcc
	s_cbranch_execz .LBB224_62
; %bb.61:                               ;   in Loop: Header=BB224_10 Depth=1
	v_and_b32_e32 v65, 7, v42
	v_ffbh_u32_e32 v66, v65
	v_min_u32_e32 v69, 32, v66
	v_subrev_u32_e32 v66, 28, v69
	v_lshlrev_b64 v[66:67], v66, v[42:43]
	v_lshrrev_b32_e32 v68, 3, v44
	v_sub_u32_e32 v42, 29, v69
	v_and_b32_e32 v66, 7, v66
	v_cmp_gt_u32_e32 vcc, 8, v44
	v_cndmask_b32_e32 v42, v68, v42, vcc
	v_cndmask_b32_e32 v44, v65, v66, vcc
	v_lshlrev_b32_e32 v43, 24, v43
	v_lshlrev_b32_e32 v44, 20, v44
	v_and_b32_e32 v43, 0x80000000, v43
	v_lshl_add_u32 v42, v42, 23, v54
	v_or3_b32 v65, v43, v42, v44
.LBB224_62:                             ;   in Loop: Header=BB224_10 Depth=1
	s_or_b64 exec, exec, s[42:43]
.LBB224_63:                             ;   in Loop: Header=BB224_10 Depth=1
	s_or_b64 exec, exec, s[40:41]
.LBB224_64:                             ;   in Loop: Header=BB224_10 Depth=1
	s_or_b64 exec, exec, s[16:17]
	global_load_ubyte v43, v[40:41], off offset:516
	s_waitcnt vmcnt(0)
	v_cmp_ne_u16_e32 vcc, 0, v43
	s_and_saveexec_b64 s[16:17], vcc
	s_cbranch_execz .LBB224_70
; %bb.65:                               ;   in Loop: Header=BB224_10 Depth=1
	v_cmp_ne_u16_e32 vcc, s49, v43
	v_bfrev_b32_e32 v64, 1
	s_and_saveexec_b64 s[40:41], vcc
	s_cbranch_execz .LBB224_69
; %bb.66:                               ;   in Loop: Header=BB224_10 Depth=1
	v_and_b32_e32 v42, 0xffff, v43
	v_and_b32_e32 v44, 0x7f, v42
	v_cmp_ne_u32_e32 vcc, s50, v44
	v_mov_b32_e32 v64, 0x7f800001
	s_and_saveexec_b64 s[42:43], vcc
	s_cbranch_execz .LBB224_68
; %bb.67:                               ;   in Loop: Header=BB224_10 Depth=1
	v_and_b32_e32 v64, 7, v42
	v_ffbh_u32_e32 v66, v64
	v_min_u32_e32 v69, 32, v66
	v_subrev_u32_e32 v66, 28, v69
	v_lshlrev_b64 v[66:67], v66, v[42:43]
	v_lshrrev_b32_e32 v68, 3, v44
	v_sub_u32_e32 v42, 29, v69
	v_and_b32_e32 v66, 7, v66
	v_cmp_gt_u32_e32 vcc, 8, v44
	v_cndmask_b32_e32 v42, v68, v42, vcc
	v_cndmask_b32_e32 v44, v64, v66, vcc
	v_lshlrev_b32_e32 v43, 24, v43
	v_lshlrev_b32_e32 v44, 20, v44
	v_and_b32_e32 v43, 0x80000000, v43
	v_lshl_add_u32 v42, v42, 23, v54
	v_or3_b32 v64, v43, v42, v44
.LBB224_68:                             ;   in Loop: Header=BB224_10 Depth=1
	s_or_b64 exec, exec, s[42:43]
.LBB224_69:                             ;   in Loop: Header=BB224_10 Depth=1
	s_or_b64 exec, exec, s[40:41]
.LBB224_70:                             ;   in Loop: Header=BB224_10 Depth=1
	s_or_b64 exec, exec, s[16:17]
	v_add_co_u32_e32 v42, vcc, 0x200, v40
	v_addc_co_u32_e32 v43, vcc, 0, v41, vcc
	global_load_ubyte v68, v[42:43], off offset:8
	v_mov_b32_e32 v66, 0
	v_mov_b32_e32 v67, 0
	s_waitcnt vmcnt(0)
	v_cmp_ne_u16_e32 vcc, 0, v68
	s_and_saveexec_b64 s[16:17], vcc
	s_cbranch_execz .LBB224_76
; %bb.71:                               ;   in Loop: Header=BB224_10 Depth=1
	v_cmp_ne_u16_e32 vcc, s49, v68
	v_bfrev_b32_e32 v67, 1
	s_and_saveexec_b64 s[40:41], vcc
	s_cbranch_execz .LBB224_75
; %bb.72:                               ;   in Loop: Header=BB224_10 Depth=1
	v_and_b32_e32 v44, 0xffff, v68
	v_and_b32_e32 v69, 0x7f, v44
	v_cmp_ne_u32_e32 vcc, s50, v69
	v_mov_b32_e32 v67, 0x7f800001
	s_and_saveexec_b64 s[42:43], vcc
	s_cbranch_execz .LBB224_74
; %bb.73:                               ;   in Loop: Header=BB224_10 Depth=1
	v_and_b32_e32 v67, 7, v44
	v_ffbh_u32_e32 v70, v67
	v_min_u32_e32 v73, 32, v70
	v_subrev_u32_e32 v70, 28, v73
	v_lshlrev_b64 v[70:71], v70, v[44:45]
	v_lshrrev_b32_e32 v72, 3, v69
	v_sub_u32_e32 v44, 29, v73
	v_and_b32_e32 v70, 7, v70
	v_cmp_gt_u32_e32 vcc, 8, v69
	v_cndmask_b32_e32 v44, v72, v44, vcc
	v_cndmask_b32_e32 v67, v67, v70, vcc
	v_lshlrev_b32_e32 v68, 24, v68
	v_lshlrev_b32_e32 v67, 20, v67
	v_and_b32_e32 v68, 0x80000000, v68
	v_lshl_add_u32 v44, v44, 23, v54
	v_or3_b32 v67, v68, v44, v67
.LBB224_74:                             ;   in Loop: Header=BB224_10 Depth=1
	s_or_b64 exec, exec, s[42:43]
.LBB224_75:                             ;   in Loop: Header=BB224_10 Depth=1
	s_or_b64 exec, exec, s[40:41]
.LBB224_76:                             ;   in Loop: Header=BB224_10 Depth=1
	s_or_b64 exec, exec, s[16:17]
	global_load_ubyte v43, v[42:43], off offset:12
	s_waitcnt vmcnt(0)
	v_cmp_ne_u16_e32 vcc, 0, v43
	s_and_saveexec_b64 s[16:17], vcc
	s_cbranch_execz .LBB224_82
; %bb.77:                               ;   in Loop: Header=BB224_10 Depth=1
	v_cmp_ne_u16_e32 vcc, s49, v43
	v_bfrev_b32_e32 v66, 1
	s_and_saveexec_b64 s[40:41], vcc
	s_cbranch_execz .LBB224_81
; %bb.78:                               ;   in Loop: Header=BB224_10 Depth=1
	v_and_b32_e32 v42, 0xffff, v43
	v_and_b32_e32 v44, 0x7f, v42
	v_cmp_ne_u32_e32 vcc, s50, v44
	v_mov_b32_e32 v66, 0x7f800001
	s_and_saveexec_b64 s[42:43], vcc
	s_cbranch_execz .LBB224_80
; %bb.79:                               ;   in Loop: Header=BB224_10 Depth=1
	v_and_b32_e32 v66, 7, v42
	v_ffbh_u32_e32 v68, v66
	v_min_u32_e32 v71, 32, v68
	v_subrev_u32_e32 v68, 28, v71
	v_lshlrev_b64 v[68:69], v68, v[42:43]
	v_lshrrev_b32_e32 v70, 3, v44
	v_sub_u32_e32 v42, 29, v71
	v_and_b32_e32 v68, 7, v68
	v_cmp_gt_u32_e32 vcc, 8, v44
	v_cndmask_b32_e32 v42, v70, v42, vcc
	v_cndmask_b32_e32 v44, v66, v68, vcc
	v_lshlrev_b32_e32 v43, 24, v43
	v_lshlrev_b32_e32 v44, 20, v44
	v_and_b32_e32 v43, 0x80000000, v43
	v_lshl_add_u32 v42, v42, 23, v54
	v_or3_b32 v66, v43, v42, v44
.LBB224_80:                             ;   in Loop: Header=BB224_10 Depth=1
	s_or_b64 exec, exec, s[42:43]
.LBB224_81:                             ;   in Loop: Header=BB224_10 Depth=1
	s_or_b64 exec, exec, s[40:41]
.LBB224_82:                             ;   in Loop: Header=BB224_10 Depth=1
	s_or_b64 exec, exec, s[16:17]
	global_load_ubyte v43, v[40:41], off offset:768
	v_mov_b32_e32 v68, 0
	v_mov_b32_e32 v69, 0
	s_waitcnt vmcnt(0)
	v_cmp_ne_u16_e32 vcc, 0, v43
	s_and_saveexec_b64 s[16:17], vcc
	s_cbranch_execz .LBB224_88
; %bb.83:                               ;   in Loop: Header=BB224_10 Depth=1
	v_cmp_ne_u16_e32 vcc, s49, v43
	v_bfrev_b32_e32 v69, 1
	s_and_saveexec_b64 s[40:41], vcc
	s_cbranch_execz .LBB224_87
; %bb.84:                               ;   in Loop: Header=BB224_10 Depth=1
	v_and_b32_e32 v42, 0xffff, v43
	v_and_b32_e32 v44, 0x7f, v42
	v_cmp_ne_u32_e32 vcc, s50, v44
	v_mov_b32_e32 v69, 0x7f800001
	s_and_saveexec_b64 s[42:43], vcc
	s_cbranch_execz .LBB224_86
; %bb.85:                               ;   in Loop: Header=BB224_10 Depth=1
	v_and_b32_e32 v69, 7, v42
	v_ffbh_u32_e32 v70, v69
	v_min_u32_e32 v73, 32, v70
	v_subrev_u32_e32 v70, 28, v73
	v_lshlrev_b64 v[70:71], v70, v[42:43]
	v_lshrrev_b32_e32 v72, 3, v44
	v_sub_u32_e32 v42, 29, v73
	v_and_b32_e32 v70, 7, v70
	v_cmp_gt_u32_e32 vcc, 8, v44
	v_cndmask_b32_e32 v42, v72, v42, vcc
	v_cndmask_b32_e32 v44, v69, v70, vcc
	v_lshlrev_b32_e32 v43, 24, v43
	v_lshlrev_b32_e32 v44, 20, v44
	v_and_b32_e32 v43, 0x80000000, v43
	v_lshl_add_u32 v42, v42, 23, v54
	v_or3_b32 v69, v43, v42, v44
.LBB224_86:                             ;   in Loop: Header=BB224_10 Depth=1
	s_or_b64 exec, exec, s[42:43]
.LBB224_87:                             ;   in Loop: Header=BB224_10 Depth=1
	s_or_b64 exec, exec, s[40:41]
.LBB224_88:                             ;   in Loop: Header=BB224_10 Depth=1
	s_or_b64 exec, exec, s[16:17]
	global_load_ubyte v43, v[40:41], off offset:772
	s_waitcnt vmcnt(0)
	v_cmp_ne_u16_e32 vcc, 0, v43
	s_and_saveexec_b64 s[16:17], vcc
	s_cbranch_execz .LBB224_94
; %bb.89:                               ;   in Loop: Header=BB224_10 Depth=1
	v_cmp_ne_u16_e32 vcc, s49, v43
	v_bfrev_b32_e32 v68, 1
	s_and_saveexec_b64 s[40:41], vcc
	s_cbranch_execz .LBB224_93
; %bb.90:                               ;   in Loop: Header=BB224_10 Depth=1
	v_and_b32_e32 v42, 0xffff, v43
	v_and_b32_e32 v44, 0x7f, v42
	v_cmp_ne_u32_e32 vcc, s50, v44
	v_mov_b32_e32 v68, 0x7f800001
	s_and_saveexec_b64 s[42:43], vcc
	s_cbranch_execz .LBB224_92
; %bb.91:                               ;   in Loop: Header=BB224_10 Depth=1
	v_and_b32_e32 v68, 7, v42
	v_ffbh_u32_e32 v70, v68
	v_min_u32_e32 v73, 32, v70
	v_subrev_u32_e32 v70, 28, v73
	v_lshlrev_b64 v[70:71], v70, v[42:43]
	v_lshrrev_b32_e32 v72, 3, v44
	v_sub_u32_e32 v42, 29, v73
	v_and_b32_e32 v70, 7, v70
	v_cmp_gt_u32_e32 vcc, 8, v44
	v_cndmask_b32_e32 v42, v72, v42, vcc
	v_cndmask_b32_e32 v44, v68, v70, vcc
	v_lshlrev_b32_e32 v43, 24, v43
	v_lshlrev_b32_e32 v44, 20, v44
	v_and_b32_e32 v43, 0x80000000, v43
	v_lshl_add_u32 v42, v42, 23, v54
	v_or3_b32 v68, v43, v42, v44
.LBB224_92:                             ;   in Loop: Header=BB224_10 Depth=1
	s_or_b64 exec, exec, s[42:43]
.LBB224_93:                             ;   in Loop: Header=BB224_10 Depth=1
	s_or_b64 exec, exec, s[40:41]
.LBB224_94:                             ;   in Loop: Header=BB224_10 Depth=1
	s_or_b64 exec, exec, s[16:17]
	v_add_co_u32_e32 v42, vcc, 0x300, v40
	v_addc_co_u32_e32 v43, vcc, 0, v41, vcc
	global_load_ubyte v72, v[42:43], off offset:8
	v_mov_b32_e32 v70, 0
	v_mov_b32_e32 v71, 0
	s_waitcnt vmcnt(0)
	v_cmp_ne_u16_e32 vcc, 0, v72
	s_and_saveexec_b64 s[16:17], vcc
	s_cbranch_execz .LBB224_100
; %bb.95:                               ;   in Loop: Header=BB224_10 Depth=1
	v_cmp_ne_u16_e32 vcc, s49, v72
	v_bfrev_b32_e32 v71, 1
	s_and_saveexec_b64 s[40:41], vcc
	s_cbranch_execz .LBB224_99
; %bb.96:                               ;   in Loop: Header=BB224_10 Depth=1
	v_and_b32_e32 v44, 0xffff, v72
	v_and_b32_e32 v73, 0x7f, v44
	v_cmp_ne_u32_e32 vcc, s50, v73
	v_mov_b32_e32 v71, 0x7f800001
	s_and_saveexec_b64 s[42:43], vcc
	s_cbranch_execz .LBB224_98
; %bb.97:                               ;   in Loop: Header=BB224_10 Depth=1
	v_and_b32_e32 v71, 7, v44
	v_ffbh_u32_e32 v74, v71
	v_min_u32_e32 v77, 32, v74
	v_subrev_u32_e32 v74, 28, v77
	v_lshlrev_b64 v[74:75], v74, v[44:45]
	v_lshrrev_b32_e32 v76, 3, v73
	v_sub_u32_e32 v44, 29, v77
	v_and_b32_e32 v74, 7, v74
	v_cmp_gt_u32_e32 vcc, 8, v73
	v_cndmask_b32_e32 v44, v76, v44, vcc
	v_cndmask_b32_e32 v71, v71, v74, vcc
	v_lshlrev_b32_e32 v72, 24, v72
	v_lshlrev_b32_e32 v71, 20, v71
	v_and_b32_e32 v72, 0x80000000, v72
	v_lshl_add_u32 v44, v44, 23, v54
	v_or3_b32 v71, v72, v44, v71
.LBB224_98:                             ;   in Loop: Header=BB224_10 Depth=1
	s_or_b64 exec, exec, s[42:43]
.LBB224_99:                             ;   in Loop: Header=BB224_10 Depth=1
	s_or_b64 exec, exec, s[40:41]
.LBB224_100:                            ;   in Loop: Header=BB224_10 Depth=1
	s_or_b64 exec, exec, s[16:17]
	global_load_ubyte v43, v[42:43], off offset:12
	s_waitcnt vmcnt(0)
	v_cmp_ne_u16_e32 vcc, 0, v43
	s_and_saveexec_b64 s[16:17], vcc
	s_cbranch_execz .LBB224_106
; %bb.101:                              ;   in Loop: Header=BB224_10 Depth=1
	v_cmp_ne_u16_e32 vcc, s49, v43
	v_bfrev_b32_e32 v70, 1
	s_and_saveexec_b64 s[40:41], vcc
	s_cbranch_execz .LBB224_105
; %bb.102:                              ;   in Loop: Header=BB224_10 Depth=1
	v_and_b32_e32 v42, 0xffff, v43
	v_and_b32_e32 v44, 0x7f, v42
	v_cmp_ne_u32_e32 vcc, s50, v44
	v_mov_b32_e32 v70, 0x7f800001
	s_and_saveexec_b64 s[42:43], vcc
	s_cbranch_execz .LBB224_104
; %bb.103:                              ;   in Loop: Header=BB224_10 Depth=1
	v_and_b32_e32 v70, 7, v42
	v_ffbh_u32_e32 v72, v70
	v_min_u32_e32 v75, 32, v72
	v_subrev_u32_e32 v72, 28, v75
	v_lshlrev_b64 v[72:73], v72, v[42:43]
	v_lshrrev_b32_e32 v74, 3, v44
	v_sub_u32_e32 v42, 29, v75
	v_and_b32_e32 v72, 7, v72
	v_cmp_gt_u32_e32 vcc, 8, v44
	v_cndmask_b32_e32 v42, v74, v42, vcc
	v_cndmask_b32_e32 v44, v70, v72, vcc
	v_lshlrev_b32_e32 v43, 24, v43
	v_lshlrev_b32_e32 v44, 20, v44
	v_and_b32_e32 v43, 0x80000000, v43
	v_lshl_add_u32 v42, v42, 23, v54
	v_or3_b32 v70, v43, v42, v44
.LBB224_104:                            ;   in Loop: Header=BB224_10 Depth=1
	s_or_b64 exec, exec, s[42:43]
.LBB224_105:                            ;   in Loop: Header=BB224_10 Depth=1
	s_or_b64 exec, exec, s[40:41]
.LBB224_106:                            ;   in Loop: Header=BB224_10 Depth=1
	s_or_b64 exec, exec, s[16:17]
	global_load_ubyte v43, v[40:41], off offset:1024
	v_mov_b32_e32 v72, 0
	v_mov_b32_e32 v73, 0
	s_waitcnt vmcnt(0)
	v_cmp_ne_u16_e32 vcc, 0, v43
	s_and_saveexec_b64 s[16:17], vcc
	s_cbranch_execz .LBB224_112
; %bb.107:                              ;   in Loop: Header=BB224_10 Depth=1
	v_cmp_ne_u16_e32 vcc, s49, v43
	v_bfrev_b32_e32 v73, 1
	s_and_saveexec_b64 s[40:41], vcc
	s_cbranch_execz .LBB224_111
; %bb.108:                              ;   in Loop: Header=BB224_10 Depth=1
	v_and_b32_e32 v42, 0xffff, v43
	v_and_b32_e32 v44, 0x7f, v42
	v_cmp_ne_u32_e32 vcc, s50, v44
	v_mov_b32_e32 v73, 0x7f800001
	s_and_saveexec_b64 s[42:43], vcc
	s_cbranch_execz .LBB224_110
; %bb.109:                              ;   in Loop: Header=BB224_10 Depth=1
	v_and_b32_e32 v73, 7, v42
	v_ffbh_u32_e32 v74, v73
	v_min_u32_e32 v77, 32, v74
	v_subrev_u32_e32 v74, 28, v77
	v_lshlrev_b64 v[74:75], v74, v[42:43]
	v_lshrrev_b32_e32 v76, 3, v44
	v_sub_u32_e32 v42, 29, v77
	v_and_b32_e32 v74, 7, v74
	v_cmp_gt_u32_e32 vcc, 8, v44
	v_cndmask_b32_e32 v42, v76, v42, vcc
	v_cndmask_b32_e32 v44, v73, v74, vcc
	v_lshlrev_b32_e32 v43, 24, v43
	v_lshlrev_b32_e32 v44, 20, v44
	v_and_b32_e32 v43, 0x80000000, v43
	v_lshl_add_u32 v42, v42, 23, v54
	v_or3_b32 v73, v43, v42, v44
.LBB224_110:                            ;   in Loop: Header=BB224_10 Depth=1
	s_or_b64 exec, exec, s[42:43]
.LBB224_111:                            ;   in Loop: Header=BB224_10 Depth=1
	s_or_b64 exec, exec, s[40:41]
.LBB224_112:                            ;   in Loop: Header=BB224_10 Depth=1
	s_or_b64 exec, exec, s[16:17]
	global_load_ubyte v43, v[40:41], off offset:1028
	s_waitcnt vmcnt(0)
	v_cmp_ne_u16_e32 vcc, 0, v43
	s_and_saveexec_b64 s[16:17], vcc
	s_cbranch_execz .LBB224_118
; %bb.113:                              ;   in Loop: Header=BB224_10 Depth=1
	v_cmp_ne_u16_e32 vcc, s49, v43
	v_bfrev_b32_e32 v72, 1
	s_and_saveexec_b64 s[40:41], vcc
	s_cbranch_execz .LBB224_117
; %bb.114:                              ;   in Loop: Header=BB224_10 Depth=1
	v_and_b32_e32 v42, 0xffff, v43
	v_and_b32_e32 v44, 0x7f, v42
	v_cmp_ne_u32_e32 vcc, s50, v44
	v_mov_b32_e32 v72, 0x7f800001
	s_and_saveexec_b64 s[42:43], vcc
	s_cbranch_execz .LBB224_116
; %bb.115:                              ;   in Loop: Header=BB224_10 Depth=1
	v_and_b32_e32 v72, 7, v42
	v_ffbh_u32_e32 v74, v72
	v_min_u32_e32 v77, 32, v74
	v_subrev_u32_e32 v74, 28, v77
	v_lshlrev_b64 v[74:75], v74, v[42:43]
	v_lshrrev_b32_e32 v76, 3, v44
	v_sub_u32_e32 v42, 29, v77
	v_and_b32_e32 v74, 7, v74
	v_cmp_gt_u32_e32 vcc, 8, v44
	v_cndmask_b32_e32 v42, v76, v42, vcc
	v_cndmask_b32_e32 v44, v72, v74, vcc
	v_lshlrev_b32_e32 v43, 24, v43
	v_lshlrev_b32_e32 v44, 20, v44
	v_and_b32_e32 v43, 0x80000000, v43
	v_lshl_add_u32 v42, v42, 23, v54
	v_or3_b32 v72, v43, v42, v44
.LBB224_116:                            ;   in Loop: Header=BB224_10 Depth=1
	s_or_b64 exec, exec, s[42:43]
.LBB224_117:                            ;   in Loop: Header=BB224_10 Depth=1
	s_or_b64 exec, exec, s[40:41]
.LBB224_118:                            ;   in Loop: Header=BB224_10 Depth=1
	s_or_b64 exec, exec, s[16:17]
	v_add_co_u32_e32 v42, vcc, 0x400, v40
	v_addc_co_u32_e32 v43, vcc, 0, v41, vcc
	global_load_ubyte v76, v[42:43], off offset:8
	v_mov_b32_e32 v74, 0
	v_mov_b32_e32 v75, 0
	s_waitcnt vmcnt(0)
	v_cmp_ne_u16_e32 vcc, 0, v76
	s_and_saveexec_b64 s[16:17], vcc
	s_cbranch_execz .LBB224_124
; %bb.119:                              ;   in Loop: Header=BB224_10 Depth=1
	v_cmp_ne_u16_e32 vcc, s49, v76
	v_bfrev_b32_e32 v75, 1
	s_and_saveexec_b64 s[40:41], vcc
	s_cbranch_execz .LBB224_123
; %bb.120:                              ;   in Loop: Header=BB224_10 Depth=1
	v_and_b32_e32 v44, 0xffff, v76
	v_and_b32_e32 v77, 0x7f, v44
	v_cmp_ne_u32_e32 vcc, s50, v77
	v_mov_b32_e32 v75, 0x7f800001
	s_and_saveexec_b64 s[42:43], vcc
	s_cbranch_execz .LBB224_122
; %bb.121:                              ;   in Loop: Header=BB224_10 Depth=1
	v_and_b32_e32 v75, 7, v44
	v_ffbh_u32_e32 v78, v75
	v_min_u32_e32 v81, 32, v78
	v_subrev_u32_e32 v78, 28, v81
	v_lshlrev_b64 v[78:79], v78, v[44:45]
	v_lshrrev_b32_e32 v80, 3, v77
	v_sub_u32_e32 v44, 29, v81
	v_and_b32_e32 v78, 7, v78
	v_cmp_gt_u32_e32 vcc, 8, v77
	v_cndmask_b32_e32 v44, v80, v44, vcc
	v_cndmask_b32_e32 v75, v75, v78, vcc
	v_lshlrev_b32_e32 v76, 24, v76
	v_lshlrev_b32_e32 v75, 20, v75
	v_and_b32_e32 v76, 0x80000000, v76
	v_lshl_add_u32 v44, v44, 23, v54
	v_or3_b32 v75, v76, v44, v75
.LBB224_122:                            ;   in Loop: Header=BB224_10 Depth=1
	s_or_b64 exec, exec, s[42:43]
.LBB224_123:                            ;   in Loop: Header=BB224_10 Depth=1
	s_or_b64 exec, exec, s[40:41]
.LBB224_124:                            ;   in Loop: Header=BB224_10 Depth=1
	s_or_b64 exec, exec, s[16:17]
	global_load_ubyte v43, v[42:43], off offset:12
	s_waitcnt vmcnt(0)
	v_cmp_ne_u16_e32 vcc, 0, v43
	s_and_saveexec_b64 s[16:17], vcc
	s_cbranch_execz .LBB224_130
; %bb.125:                              ;   in Loop: Header=BB224_10 Depth=1
	v_cmp_ne_u16_e32 vcc, s49, v43
	v_bfrev_b32_e32 v74, 1
	s_and_saveexec_b64 s[40:41], vcc
	s_cbranch_execz .LBB224_129
; %bb.126:                              ;   in Loop: Header=BB224_10 Depth=1
	v_and_b32_e32 v42, 0xffff, v43
	v_and_b32_e32 v44, 0x7f, v42
	v_cmp_ne_u32_e32 vcc, s50, v44
	v_mov_b32_e32 v74, 0x7f800001
	s_and_saveexec_b64 s[42:43], vcc
	s_cbranch_execz .LBB224_128
; %bb.127:                              ;   in Loop: Header=BB224_10 Depth=1
	v_and_b32_e32 v74, 7, v42
	v_ffbh_u32_e32 v76, v74
	v_min_u32_e32 v79, 32, v76
	v_subrev_u32_e32 v76, 28, v79
	v_lshlrev_b64 v[76:77], v76, v[42:43]
	v_lshrrev_b32_e32 v78, 3, v44
	v_sub_u32_e32 v42, 29, v79
	v_and_b32_e32 v76, 7, v76
	v_cmp_gt_u32_e32 vcc, 8, v44
	v_cndmask_b32_e32 v42, v78, v42, vcc
	v_cndmask_b32_e32 v44, v74, v76, vcc
	v_lshlrev_b32_e32 v43, 24, v43
	v_lshlrev_b32_e32 v44, 20, v44
	v_and_b32_e32 v43, 0x80000000, v43
	v_lshl_add_u32 v42, v42, 23, v54
	v_or3_b32 v74, v43, v42, v44
.LBB224_128:                            ;   in Loop: Header=BB224_10 Depth=1
	s_or_b64 exec, exec, s[42:43]
.LBB224_129:                            ;   in Loop: Header=BB224_10 Depth=1
	s_or_b64 exec, exec, s[40:41]
.LBB224_130:                            ;   in Loop: Header=BB224_10 Depth=1
	s_or_b64 exec, exec, s[16:17]
	global_load_ubyte v43, v[40:41], off offset:1280
	v_mov_b32_e32 v76, 0
	v_mov_b32_e32 v77, 0
	s_waitcnt vmcnt(0)
	v_cmp_ne_u16_e32 vcc, 0, v43
	s_and_saveexec_b64 s[16:17], vcc
	s_cbranch_execz .LBB224_136
; %bb.131:                              ;   in Loop: Header=BB224_10 Depth=1
	v_cmp_ne_u16_e32 vcc, s49, v43
	v_bfrev_b32_e32 v77, 1
	s_and_saveexec_b64 s[40:41], vcc
	s_cbranch_execz .LBB224_135
; %bb.132:                              ;   in Loop: Header=BB224_10 Depth=1
	v_and_b32_e32 v42, 0xffff, v43
	v_and_b32_e32 v44, 0x7f, v42
	v_cmp_ne_u32_e32 vcc, s50, v44
	v_mov_b32_e32 v77, 0x7f800001
	s_and_saveexec_b64 s[42:43], vcc
	s_cbranch_execz .LBB224_134
; %bb.133:                              ;   in Loop: Header=BB224_10 Depth=1
	v_and_b32_e32 v77, 7, v42
	v_ffbh_u32_e32 v78, v77
	v_min_u32_e32 v81, 32, v78
	v_subrev_u32_e32 v78, 28, v81
	v_lshlrev_b64 v[78:79], v78, v[42:43]
	v_lshrrev_b32_e32 v80, 3, v44
	v_sub_u32_e32 v42, 29, v81
	v_and_b32_e32 v78, 7, v78
	v_cmp_gt_u32_e32 vcc, 8, v44
	v_cndmask_b32_e32 v42, v80, v42, vcc
	v_cndmask_b32_e32 v44, v77, v78, vcc
	v_lshlrev_b32_e32 v43, 24, v43
	v_lshlrev_b32_e32 v44, 20, v44
	v_and_b32_e32 v43, 0x80000000, v43
	v_lshl_add_u32 v42, v42, 23, v54
	v_or3_b32 v77, v43, v42, v44
.LBB224_134:                            ;   in Loop: Header=BB224_10 Depth=1
	s_or_b64 exec, exec, s[42:43]
.LBB224_135:                            ;   in Loop: Header=BB224_10 Depth=1
	s_or_b64 exec, exec, s[40:41]
.LBB224_136:                            ;   in Loop: Header=BB224_10 Depth=1
	s_or_b64 exec, exec, s[16:17]
	global_load_ubyte v43, v[40:41], off offset:1284
	s_waitcnt vmcnt(0)
	v_cmp_ne_u16_e32 vcc, 0, v43
	s_and_saveexec_b64 s[16:17], vcc
	s_cbranch_execz .LBB224_142
; %bb.137:                              ;   in Loop: Header=BB224_10 Depth=1
	v_cmp_ne_u16_e32 vcc, s49, v43
	v_bfrev_b32_e32 v76, 1
	s_and_saveexec_b64 s[40:41], vcc
	s_cbranch_execz .LBB224_141
; %bb.138:                              ;   in Loop: Header=BB224_10 Depth=1
	v_and_b32_e32 v42, 0xffff, v43
	v_and_b32_e32 v44, 0x7f, v42
	v_cmp_ne_u32_e32 vcc, s50, v44
	v_mov_b32_e32 v76, 0x7f800001
	s_and_saveexec_b64 s[42:43], vcc
	s_cbranch_execz .LBB224_140
; %bb.139:                              ;   in Loop: Header=BB224_10 Depth=1
	v_and_b32_e32 v76, 7, v42
	v_ffbh_u32_e32 v78, v76
	v_min_u32_e32 v81, 32, v78
	v_subrev_u32_e32 v78, 28, v81
	v_lshlrev_b64 v[78:79], v78, v[42:43]
	v_lshrrev_b32_e32 v80, 3, v44
	v_sub_u32_e32 v42, 29, v81
	v_and_b32_e32 v78, 7, v78
	v_cmp_gt_u32_e32 vcc, 8, v44
	v_cndmask_b32_e32 v42, v80, v42, vcc
	v_cndmask_b32_e32 v44, v76, v78, vcc
	v_lshlrev_b32_e32 v43, 24, v43
	v_lshlrev_b32_e32 v44, 20, v44
	v_and_b32_e32 v43, 0x80000000, v43
	v_lshl_add_u32 v42, v42, 23, v54
	v_or3_b32 v76, v43, v42, v44
.LBB224_140:                            ;   in Loop: Header=BB224_10 Depth=1
	s_or_b64 exec, exec, s[42:43]
.LBB224_141:                            ;   in Loop: Header=BB224_10 Depth=1
	s_or_b64 exec, exec, s[40:41]
.LBB224_142:                            ;   in Loop: Header=BB224_10 Depth=1
	s_or_b64 exec, exec, s[16:17]
	v_add_co_u32_e32 v42, vcc, 0x500, v40
	v_addc_co_u32_e32 v43, vcc, 0, v41, vcc
	global_load_ubyte v80, v[42:43], off offset:8
	v_mov_b32_e32 v78, 0
	v_mov_b32_e32 v79, 0
	s_waitcnt vmcnt(0)
	v_cmp_ne_u16_e32 vcc, 0, v80
	s_and_saveexec_b64 s[16:17], vcc
	s_cbranch_execz .LBB224_148
; %bb.143:                              ;   in Loop: Header=BB224_10 Depth=1
	v_cmp_ne_u16_e32 vcc, s49, v80
	v_bfrev_b32_e32 v79, 1
	s_and_saveexec_b64 s[40:41], vcc
	s_cbranch_execz .LBB224_147
; %bb.144:                              ;   in Loop: Header=BB224_10 Depth=1
	v_and_b32_e32 v44, 0xffff, v80
	v_and_b32_e32 v81, 0x7f, v44
	v_cmp_ne_u32_e32 vcc, s50, v81
	v_mov_b32_e32 v79, 0x7f800001
	s_and_saveexec_b64 s[42:43], vcc
	s_cbranch_execz .LBB224_146
; %bb.145:                              ;   in Loop: Header=BB224_10 Depth=1
	v_and_b32_e32 v79, 7, v44
	v_ffbh_u32_e32 v82, v79
	v_min_u32_e32 v85, 32, v82
	v_subrev_u32_e32 v82, 28, v85
	v_lshlrev_b64 v[82:83], v82, v[44:45]
	v_lshrrev_b32_e32 v84, 3, v81
	v_sub_u32_e32 v44, 29, v85
	v_and_b32_e32 v82, 7, v82
	v_cmp_gt_u32_e32 vcc, 8, v81
	v_cndmask_b32_e32 v44, v84, v44, vcc
	v_cndmask_b32_e32 v79, v79, v82, vcc
	v_lshlrev_b32_e32 v80, 24, v80
	v_lshlrev_b32_e32 v79, 20, v79
	v_and_b32_e32 v80, 0x80000000, v80
	v_lshl_add_u32 v44, v44, 23, v54
	v_or3_b32 v79, v80, v44, v79
.LBB224_146:                            ;   in Loop: Header=BB224_10 Depth=1
	s_or_b64 exec, exec, s[42:43]
.LBB224_147:                            ;   in Loop: Header=BB224_10 Depth=1
	s_or_b64 exec, exec, s[40:41]
.LBB224_148:                            ;   in Loop: Header=BB224_10 Depth=1
	s_or_b64 exec, exec, s[16:17]
	global_load_ubyte v43, v[42:43], off offset:12
	s_waitcnt vmcnt(0)
	v_cmp_ne_u16_e32 vcc, 0, v43
	s_and_saveexec_b64 s[16:17], vcc
	s_cbranch_execz .LBB224_154
; %bb.149:                              ;   in Loop: Header=BB224_10 Depth=1
	v_cmp_ne_u16_e32 vcc, s49, v43
	v_bfrev_b32_e32 v78, 1
	s_and_saveexec_b64 s[40:41], vcc
	s_cbranch_execz .LBB224_153
; %bb.150:                              ;   in Loop: Header=BB224_10 Depth=1
	v_and_b32_e32 v42, 0xffff, v43
	v_and_b32_e32 v44, 0x7f, v42
	v_cmp_ne_u32_e32 vcc, s50, v44
	v_mov_b32_e32 v78, 0x7f800001
	s_and_saveexec_b64 s[42:43], vcc
	s_cbranch_execz .LBB224_152
; %bb.151:                              ;   in Loop: Header=BB224_10 Depth=1
	v_and_b32_e32 v78, 7, v42
	v_ffbh_u32_e32 v80, v78
	v_min_u32_e32 v83, 32, v80
	v_subrev_u32_e32 v80, 28, v83
	v_lshlrev_b64 v[80:81], v80, v[42:43]
	v_lshrrev_b32_e32 v82, 3, v44
	v_sub_u32_e32 v42, 29, v83
	v_and_b32_e32 v80, 7, v80
	v_cmp_gt_u32_e32 vcc, 8, v44
	v_cndmask_b32_e32 v42, v82, v42, vcc
	v_cndmask_b32_e32 v44, v78, v80, vcc
	v_lshlrev_b32_e32 v43, 24, v43
	v_lshlrev_b32_e32 v44, 20, v44
	v_and_b32_e32 v43, 0x80000000, v43
	v_lshl_add_u32 v42, v42, 23, v54
	v_or3_b32 v78, v43, v42, v44
.LBB224_152:                            ;   in Loop: Header=BB224_10 Depth=1
	s_or_b64 exec, exec, s[42:43]
.LBB224_153:                            ;   in Loop: Header=BB224_10 Depth=1
	s_or_b64 exec, exec, s[40:41]
.LBB224_154:                            ;   in Loop: Header=BB224_10 Depth=1
	s_or_b64 exec, exec, s[16:17]
	global_load_ubyte v43, v[40:41], off offset:1536
	v_mov_b32_e32 v80, 0
	v_mov_b32_e32 v81, 0
	s_waitcnt vmcnt(0)
	v_cmp_ne_u16_e32 vcc, 0, v43
	s_and_saveexec_b64 s[16:17], vcc
	s_cbranch_execz .LBB224_160
; %bb.155:                              ;   in Loop: Header=BB224_10 Depth=1
	v_cmp_ne_u16_e32 vcc, s49, v43
	v_bfrev_b32_e32 v81, 1
	s_and_saveexec_b64 s[40:41], vcc
	s_cbranch_execz .LBB224_159
; %bb.156:                              ;   in Loop: Header=BB224_10 Depth=1
	v_and_b32_e32 v42, 0xffff, v43
	v_and_b32_e32 v44, 0x7f, v42
	v_cmp_ne_u32_e32 vcc, s50, v44
	v_mov_b32_e32 v81, 0x7f800001
	s_and_saveexec_b64 s[42:43], vcc
	s_cbranch_execz .LBB224_158
; %bb.157:                              ;   in Loop: Header=BB224_10 Depth=1
	v_and_b32_e32 v81, 7, v42
	v_ffbh_u32_e32 v82, v81
	v_min_u32_e32 v85, 32, v82
	v_subrev_u32_e32 v82, 28, v85
	v_lshlrev_b64 v[82:83], v82, v[42:43]
	v_lshrrev_b32_e32 v84, 3, v44
	v_sub_u32_e32 v42, 29, v85
	v_and_b32_e32 v82, 7, v82
	v_cmp_gt_u32_e32 vcc, 8, v44
	v_cndmask_b32_e32 v42, v84, v42, vcc
	v_cndmask_b32_e32 v44, v81, v82, vcc
	v_lshlrev_b32_e32 v43, 24, v43
	v_lshlrev_b32_e32 v44, 20, v44
	v_and_b32_e32 v43, 0x80000000, v43
	v_lshl_add_u32 v42, v42, 23, v54
	v_or3_b32 v81, v43, v42, v44
.LBB224_158:                            ;   in Loop: Header=BB224_10 Depth=1
	s_or_b64 exec, exec, s[42:43]
.LBB224_159:                            ;   in Loop: Header=BB224_10 Depth=1
	s_or_b64 exec, exec, s[40:41]
.LBB224_160:                            ;   in Loop: Header=BB224_10 Depth=1
	s_or_b64 exec, exec, s[16:17]
	global_load_ubyte v43, v[40:41], off offset:1540
	s_waitcnt vmcnt(0)
	v_cmp_ne_u16_e32 vcc, 0, v43
	s_and_saveexec_b64 s[16:17], vcc
	s_cbranch_execz .LBB224_166
; %bb.161:                              ;   in Loop: Header=BB224_10 Depth=1
	v_cmp_ne_u16_e32 vcc, s49, v43
	v_bfrev_b32_e32 v80, 1
	s_and_saveexec_b64 s[40:41], vcc
	s_cbranch_execz .LBB224_165
; %bb.162:                              ;   in Loop: Header=BB224_10 Depth=1
	v_and_b32_e32 v42, 0xffff, v43
	v_and_b32_e32 v44, 0x7f, v42
	v_cmp_ne_u32_e32 vcc, s50, v44
	v_mov_b32_e32 v80, 0x7f800001
	s_and_saveexec_b64 s[42:43], vcc
	s_cbranch_execz .LBB224_164
; %bb.163:                              ;   in Loop: Header=BB224_10 Depth=1
	v_and_b32_e32 v80, 7, v42
	v_ffbh_u32_e32 v82, v80
	v_min_u32_e32 v85, 32, v82
	v_subrev_u32_e32 v82, 28, v85
	v_lshlrev_b64 v[82:83], v82, v[42:43]
	v_lshrrev_b32_e32 v84, 3, v44
	v_sub_u32_e32 v42, 29, v85
	v_and_b32_e32 v82, 7, v82
	v_cmp_gt_u32_e32 vcc, 8, v44
	v_cndmask_b32_e32 v42, v84, v42, vcc
	v_cndmask_b32_e32 v44, v80, v82, vcc
	v_lshlrev_b32_e32 v43, 24, v43
	v_lshlrev_b32_e32 v44, 20, v44
	v_and_b32_e32 v43, 0x80000000, v43
	v_lshl_add_u32 v42, v42, 23, v54
	v_or3_b32 v80, v43, v42, v44
.LBB224_164:                            ;   in Loop: Header=BB224_10 Depth=1
	s_or_b64 exec, exec, s[42:43]
.LBB224_165:                            ;   in Loop: Header=BB224_10 Depth=1
	s_or_b64 exec, exec, s[40:41]
.LBB224_166:                            ;   in Loop: Header=BB224_10 Depth=1
	s_or_b64 exec, exec, s[16:17]
	v_add_co_u32_e32 v42, vcc, 0x600, v40
	v_addc_co_u32_e32 v43, vcc, 0, v41, vcc
	global_load_ubyte v84, v[42:43], off offset:8
	v_mov_b32_e32 v82, 0
	v_mov_b32_e32 v83, 0
	s_waitcnt vmcnt(0)
	v_cmp_ne_u16_e32 vcc, 0, v84
	s_and_saveexec_b64 s[16:17], vcc
	s_cbranch_execz .LBB224_172
; %bb.167:                              ;   in Loop: Header=BB224_10 Depth=1
	v_cmp_ne_u16_e32 vcc, s49, v84
	v_bfrev_b32_e32 v83, 1
	s_and_saveexec_b64 s[40:41], vcc
	s_cbranch_execz .LBB224_171
; %bb.168:                              ;   in Loop: Header=BB224_10 Depth=1
	v_and_b32_e32 v44, 0xffff, v84
	v_and_b32_e32 v85, 0x7f, v44
	v_cmp_ne_u32_e32 vcc, s50, v85
	v_mov_b32_e32 v83, 0x7f800001
	s_and_saveexec_b64 s[42:43], vcc
	s_cbranch_execz .LBB224_170
; %bb.169:                              ;   in Loop: Header=BB224_10 Depth=1
	v_and_b32_e32 v83, 7, v44
	v_ffbh_u32_e32 v86, v83
	v_min_u32_e32 v89, 32, v86
	v_subrev_u32_e32 v86, 28, v89
	v_lshlrev_b64 v[86:87], v86, v[44:45]
	v_lshrrev_b32_e32 v88, 3, v85
	v_sub_u32_e32 v44, 29, v89
	v_and_b32_e32 v86, 7, v86
	v_cmp_gt_u32_e32 vcc, 8, v85
	v_cndmask_b32_e32 v44, v88, v44, vcc
	v_cndmask_b32_e32 v83, v83, v86, vcc
	v_lshlrev_b32_e32 v84, 24, v84
	v_lshlrev_b32_e32 v83, 20, v83
	v_and_b32_e32 v84, 0x80000000, v84
	v_lshl_add_u32 v44, v44, 23, v54
	v_or3_b32 v83, v84, v44, v83
.LBB224_170:                            ;   in Loop: Header=BB224_10 Depth=1
	s_or_b64 exec, exec, s[42:43]
.LBB224_171:                            ;   in Loop: Header=BB224_10 Depth=1
	s_or_b64 exec, exec, s[40:41]
.LBB224_172:                            ;   in Loop: Header=BB224_10 Depth=1
	s_or_b64 exec, exec, s[16:17]
	global_load_ubyte v43, v[42:43], off offset:12
	s_waitcnt vmcnt(0)
	v_cmp_ne_u16_e32 vcc, 0, v43
	s_and_saveexec_b64 s[16:17], vcc
	s_cbranch_execz .LBB224_178
; %bb.173:                              ;   in Loop: Header=BB224_10 Depth=1
	v_cmp_ne_u16_e32 vcc, s49, v43
	v_bfrev_b32_e32 v82, 1
	s_and_saveexec_b64 s[40:41], vcc
	s_cbranch_execz .LBB224_177
; %bb.174:                              ;   in Loop: Header=BB224_10 Depth=1
	v_and_b32_e32 v42, 0xffff, v43
	v_and_b32_e32 v44, 0x7f, v42
	v_cmp_ne_u32_e32 vcc, s50, v44
	v_mov_b32_e32 v82, 0x7f800001
	s_and_saveexec_b64 s[42:43], vcc
	s_cbranch_execz .LBB224_176
; %bb.175:                              ;   in Loop: Header=BB224_10 Depth=1
	v_and_b32_e32 v82, 7, v42
	v_ffbh_u32_e32 v84, v82
	v_min_u32_e32 v87, 32, v84
	v_subrev_u32_e32 v84, 28, v87
	v_lshlrev_b64 v[84:85], v84, v[42:43]
	v_lshrrev_b32_e32 v86, 3, v44
	v_sub_u32_e32 v42, 29, v87
	v_and_b32_e32 v84, 7, v84
	v_cmp_gt_u32_e32 vcc, 8, v44
	v_cndmask_b32_e32 v42, v86, v42, vcc
	v_cndmask_b32_e32 v44, v82, v84, vcc
	v_lshlrev_b32_e32 v43, 24, v43
	v_lshlrev_b32_e32 v44, 20, v44
	v_and_b32_e32 v43, 0x80000000, v43
	v_lshl_add_u32 v42, v42, 23, v54
	v_or3_b32 v82, v43, v42, v44
.LBB224_176:                            ;   in Loop: Header=BB224_10 Depth=1
	s_or_b64 exec, exec, s[42:43]
.LBB224_177:                            ;   in Loop: Header=BB224_10 Depth=1
	s_or_b64 exec, exec, s[40:41]
.LBB224_178:                            ;   in Loop: Header=BB224_10 Depth=1
	s_or_b64 exec, exec, s[16:17]
	global_load_ubyte v84, v[40:41], off offset:1792
	v_mov_b32_e32 v43, 0
	v_mov_b32_e32 v44, 0
	s_waitcnt vmcnt(0)
	v_cmp_ne_u16_e32 vcc, 0, v84
	s_and_saveexec_b64 s[16:17], vcc
	s_cbranch_execz .LBB224_184
; %bb.179:                              ;   in Loop: Header=BB224_10 Depth=1
	v_cmp_ne_u16_e32 vcc, s49, v84
	v_bfrev_b32_e32 v44, 1
	s_and_saveexec_b64 s[40:41], vcc
	s_cbranch_execz .LBB224_183
; %bb.180:                              ;   in Loop: Header=BB224_10 Depth=1
	v_and_b32_e32 v42, 0xffff, v84
	v_and_b32_e32 v85, 0x7f, v42
	v_cmp_ne_u32_e32 vcc, s50, v85
	v_mov_b32_e32 v44, 0x7f800001
	s_and_saveexec_b64 s[42:43], vcc
	s_cbranch_execz .LBB224_182
; %bb.181:                              ;   in Loop: Header=BB224_10 Depth=1
	v_and_b32_e32 v44, 7, v42
	v_ffbh_u32_e32 v86, v44
	v_min_u32_e32 v89, 32, v86
	v_subrev_u32_e32 v86, 28, v89
	v_lshlrev_b64 v[86:87], v86, v[42:43]
	v_lshrrev_b32_e32 v88, 3, v85
	v_sub_u32_e32 v42, 29, v89
	v_and_b32_e32 v86, 7, v86
	v_cmp_gt_u32_e32 vcc, 8, v85
	v_cndmask_b32_e32 v42, v88, v42, vcc
	v_cndmask_b32_e32 v44, v44, v86, vcc
	v_lshlrev_b32_e32 v84, 24, v84
	v_lshlrev_b32_e32 v44, 20, v44
	v_and_b32_e32 v84, 0x80000000, v84
	v_lshl_add_u32 v42, v42, 23, v54
	v_or3_b32 v44, v84, v42, v44
.LBB224_182:                            ;   in Loop: Header=BB224_10 Depth=1
	s_or_b64 exec, exec, s[42:43]
.LBB224_183:                            ;   in Loop: Header=BB224_10 Depth=1
	s_or_b64 exec, exec, s[40:41]
.LBB224_184:                            ;   in Loop: Header=BB224_10 Depth=1
	s_or_b64 exec, exec, s[16:17]
	global_load_ubyte v41, v[40:41], off offset:1796
	s_waitcnt vmcnt(0)
	v_cmp_ne_u16_e32 vcc, 0, v41
	s_and_saveexec_b64 s[16:17], vcc
	s_cbranch_execz .LBB224_190
; %bb.185:                              ;   in Loop: Header=BB224_10 Depth=1
	v_cmp_ne_u16_e32 vcc, s49, v41
	v_bfrev_b32_e32 v43, 1
	s_and_saveexec_b64 s[40:41], vcc
	s_cbranch_execz .LBB224_189
; %bb.186:                              ;   in Loop: Header=BB224_10 Depth=1
	v_and_b32_e32 v40, 0xffff, v41
	v_and_b32_e32 v42, 0x7f, v40
	v_cmp_ne_u32_e32 vcc, s50, v42
	v_mov_b32_e32 v43, 0x7f800001
	s_and_saveexec_b64 s[42:43], vcc
	s_cbranch_execz .LBB224_188
; %bb.187:                              ;   in Loop: Header=BB224_10 Depth=1
	v_and_b32_e32 v43, 7, v40
	v_ffbh_u32_e32 v84, v43
	v_min_u32_e32 v87, 32, v84
	v_subrev_u32_e32 v84, 28, v87
	v_lshlrev_b64 v[84:85], v84, v[40:41]
	v_lshrrev_b32_e32 v86, 3, v42
	v_sub_u32_e32 v40, 29, v87
	v_and_b32_e32 v84, 7, v84
	v_cmp_gt_u32_e32 vcc, 8, v42
	v_cndmask_b32_e32 v40, v86, v40, vcc
	v_cndmask_b32_e32 v42, v43, v84, vcc
	v_lshlrev_b32_e32 v41, 24, v41
	v_lshlrev_b32_e32 v42, 20, v42
	v_and_b32_e32 v41, 0x80000000, v41
	v_lshl_add_u32 v40, v40, 23, v54
	v_or3_b32 v43, v41, v40, v42
.LBB224_188:                            ;   in Loop: Header=BB224_10 Depth=1
	s_or_b64 exec, exec, s[42:43]
.LBB224_189:                            ;   in Loop: Header=BB224_10 Depth=1
	s_or_b64 exec, exec, s[40:41]
.LBB224_190:                            ;   in Loop: Header=BB224_10 Depth=1
	s_or_b64 exec, exec, s[16:17]
	s_waitcnt lgkmcnt(0)
	v_mul_f32_e32 v57, s47, v57
	v_mul_f32_e32 v56, s47, v56
	;; [unrolled: 1-line block ×4, first 2 shown]
	v_fmac_f32_e32 v57, v2, v56
	v_mul_f32_e32 v58, s47, v58
	v_fmac_f32_e32 v57, v4, v59
	v_mul_f32_e32 v61, s47, v61
	;; [unrolled: 2-line block ×22, first 2 shown]
	v_mul_f32_e32 v44, s47, v80
	v_mul_f32_e32 v80, s47, v81
	v_fmac_f32_e32 v57, v25, v78
	v_fmac_f32_e32 v57, v26, v80
	v_mul_f32_e32 v42, s47, v83
	v_fmac_f32_e32 v57, v27, v44
	v_mul_f32_e32 v41, s47, v82
	v_fmac_f32_e32 v57, v28, v42
	v_fmac_f32_e32 v57, v29, v41
	v_mul_f32_e32 v43, s47, v43
	v_fmac_f32_e32 v57, v36, v40
	v_fmac_f32_e32 v57, v37, v43
	ds_bpermute_b32 v40, v50, v57
	s_waitcnt lgkmcnt(0)
	v_add_f32_e32 v40, v57, v40
	ds_bpermute_b32 v41, v51, v40
	s_and_saveexec_b64 s[16:17], s[2:3]
	s_cbranch_execz .LBB224_9
; %bb.191:                              ;   in Loop: Header=BB224_10 Depth=1
	v_add_u32_e32 v42, s48, v52
	v_cvt_f32_i32_e32 v42, v42
	s_waitcnt lgkmcnt(0)
	v_add_f32_e32 v40, v40, v41
	v_cmp_gt_i32_e32 vcc, s33, v52
	v_max_f32_e32 v41, v49, v49
	v_mul_f32_e32 v42, s10, v42
	v_cndmask_b32_e64 v42, 0, v42, s[4:5]
	v_fmac_f32_e32 v42, s11, v40
	v_cndmask_b32_e32 v40, 0, v42, vcc
	ds_write_b32 v53, v40
	v_max_f32_e32 v40, v41, v42
	v_cndmask_b32_e32 v49, v49, v40, vcc
	s_branch .LBB224_9
.LBB224_192:
	s_or_b64 exec, exec, s[14:15]
.LBB224_193:
	s_or_b64 exec, exec, s[38:39]
	v_xor_b32_e32 v2, 32, v47
	v_cmp_lt_i32_e32 vcc, v2, v48
	v_cndmask_b32_e32 v2, v47, v2, vcc
	v_lshlrev_b32_e32 v2, 2, v2
	ds_bpermute_b32 v3, v2, v49
	v_xor_b32_e32 v5, 16, v47
	v_max_f32_e32 v4, v49, v49
	v_cmp_lt_i32_e32 vcc, v5, v48
	v_xor_b32_e32 v6, 8, v47
	s_waitcnt lgkmcnt(0)
	v_max_f32_e32 v3, v3, v3
	v_max_f32_e32 v4, v4, v3
	v_cndmask_b32_e32 v3, v47, v5, vcc
	v_lshlrev_b32_e32 v3, 2, v3
	ds_bpermute_b32 v5, v3, v4
	v_cmp_lt_i32_e32 vcc, v6, v48
	s_waitcnt lgkmcnt(0)
	v_max_f32_e32 v5, v5, v5
	v_max_f32_e32 v4, v4, v5
	v_cndmask_b32_e32 v5, v47, v6, vcc
	v_lshlrev_b32_e32 v8, 2, v5
	ds_bpermute_b32 v5, v8, v4
	v_xor_b32_e32 v6, 4, v47
	v_cmp_lt_i32_e32 vcc, v6, v48
	s_waitcnt lgkmcnt(0)
	v_max_f32_e32 v5, v5, v5
	v_max_f32_e32 v5, v4, v5
	v_cndmask_b32_e32 v4, v47, v6, vcc
	v_lshlrev_b32_e32 v9, 2, v4
	ds_bpermute_b32 v7, v9, v5
	v_and_b32_e32 v4, 63, v0
	v_cmp_eq_u32_e32 vcc, 0, v4
	v_lshlrev_b32_e32 v6, 2, v46
	s_and_saveexec_b64 s[2:3], vcc
	s_cbranch_execz .LBB224_195
; %bb.194:
	s_waitcnt lgkmcnt(0)
	v_max_f32_e32 v7, v7, v7
	v_max_f32_e32 v5, v5, v5
	;; [unrolled: 1-line block ×3, first 2 shown]
	ds_write_b32 v6, v5 offset:480
.LBB224_195:
	s_or_b64 exec, exec, s[2:3]
	v_cmp_gt_u32_e64 s[2:3], 2, v4
	v_mov_b32_e32 v5, 0xff7fffff
	s_waitcnt lgkmcnt(0)
	v_lshlrev_b32_e32 v7, 2, v4
	s_barrier
	s_and_saveexec_b64 s[4:5], s[2:3]
	s_cbranch_execz .LBB224_197
; %bb.196:
	ds_read_b32 v5, v7 offset:480
.LBB224_197:
	s_or_b64 exec, exec, s[4:5]
	v_xor_b32_e32 v10, 1, v47
	v_cmp_lt_i32_e64 s[4:5], v10, v48
	v_cndmask_b32_e64 v10, v47, v10, s[4:5]
	v_lshlrev_b32_e32 v15, 2, v10
	s_waitcnt lgkmcnt(0)
	ds_bpermute_b32 v10, v15, v5
	v_max_f32_e32 v5, v5, v5
	s_sub_i32 s4, s44, s7
	s_lshl_b32 s4, s4, 4
	s_add_i32 s4, s4, s29
	s_waitcnt lgkmcnt(0)
	v_max_f32_e32 v10, v10, v10
	v_max_f32_e32 v5, v5, v10
	v_lshlrev_b32_e32 v10, 2, v47
	v_and_b32_e32 v10, 0xffffff00, v10
	ds_bpermute_b32 v5, v10, v5
	s_min_i32 s38, s4, s33
	s_sub_i32 s7, s38, s29
	v_cmp_gt_i32_e64 s[4:5], s7, v0
	v_mov_b32_e32 v11, 0
	s_and_saveexec_b64 s[14:15], s[4:5]
	s_cbranch_execz .LBB224_201
; %bb.198:
	v_mov_b32_e32 v11, 0x1f0
	v_lshl_add_u32 v12, v0, 2, v11
	s_mov_b64 s[16:17], 0
	v_mov_b32_e32 v11, 0
	v_mov_b32_e32 v13, v0
.LBB224_199:                            ; =>This Inner Loop Header: Depth=1
	ds_read_b32 v14, v12
	v_add_u32_e32 v13, 0x80, v13
	v_cmp_le_i32_e64 s[10:11], s7, v13
	s_or_b64 s[16:17], s[10:11], s[16:17]
	s_waitcnt lgkmcnt(0)
	v_sub_f32_e32 v14, v14, v5
	v_mul_f32_e32 v14, 0x3fb8aa3b, v14
	v_exp_f32_e32 v14, v14
	ds_write_b32 v12, v14
	v_add_f32_e32 v11, v11, v14
	v_add_u32_e32 v12, 0x200, v12
	s_andn2_b64 exec, exec, s[16:17]
	s_cbranch_execnz .LBB224_199
; %bb.200:
	s_or_b64 exec, exec, s[16:17]
.LBB224_201:
	s_or_b64 exec, exec, s[14:15]
	ds_bpermute_b32 v2, v2, v11
	s_waitcnt lgkmcnt(0)
	v_add_f32_e32 v2, v11, v2
	ds_bpermute_b32 v3, v3, v2
	s_waitcnt lgkmcnt(0)
	v_add_f32_e32 v2, v2, v3
	ds_bpermute_b32 v3, v8, v2
	v_xor_b32_e32 v8, 2, v47
	v_cmp_lt_i32_e64 s[10:11], v8, v48
	v_cndmask_b32_e64 v8, v47, v8, s[10:11]
	v_lshlrev_b32_e32 v19, 2, v8
	s_waitcnt lgkmcnt(0)
	v_add_f32_e32 v2, v2, v3
	ds_bpermute_b32 v3, v9, v2
	s_waitcnt lgkmcnt(0)
	v_add_f32_e32 v2, v2, v3
	ds_bpermute_b32 v3, v19, v2
	;; [unrolled: 3-line block ×3, first 2 shown]
	s_waitcnt lgkmcnt(0)
	v_add_f32_e32 v2, v2, v3
	s_and_saveexec_b64 s[10:11], vcc
	s_cbranch_execz .LBB224_203
; %bb.202:
	ds_write_b32 v6, v2 offset:488
.LBB224_203:
	s_or_b64 exec, exec, s[10:11]
	s_waitcnt lgkmcnt(0)
	s_barrier
	s_and_saveexec_b64 s[10:11], s[2:3]
	s_cbranch_execz .LBB224_205
; %bb.204:
	ds_read_b32 v2, v7 offset:488
.LBB224_205:
	s_or_b64 exec, exec, s[10:11]
	s_waitcnt lgkmcnt(0)
	ds_bpermute_b32 v3, v15, v2
	s_waitcnt lgkmcnt(0)
	v_add_f32_e32 v2, v2, v3
	ds_bpermute_b32 v6, v10, v2
	s_and_saveexec_b64 s[2:3], s[4:5]
	s_cbranch_execz .LBB224_218
; %bb.206:
	s_waitcnt lgkmcnt(0)
	v_add_f32_e32 v2, 0x358637bd, v6
	v_div_scale_f32 v3, s[4:5], v2, v2, 1.0
	v_rcp_f32_e32 v7, v3
	v_div_scale_f32 v8, vcc, 1.0, v2, 1.0
	s_movk_i32 s4, 0x7f
	v_fma_f32 v9, -v3, v7, 1.0
	v_fmac_f32_e32 v7, v9, v7
	v_mul_f32_e32 v9, v8, v7
	v_fma_f32 v10, -v3, v9, v8
	v_fmac_f32_e32 v9, v10, v7
	v_fma_f32 v3, -v3, v9, v8
	v_div_fmas_f32 v3, v3, v7, v9
	v_div_fixup_f32 v2, v3, v2, 1.0
	v_xad_u32 v3, v0, -1, s38
	v_subrev_u32_e32 v7, s29, v3
	v_cmp_lt_u32_e32 vcc, s4, v7
	s_mov_b64 s[10:11], -1
	v_mov_b32_e32 v3, v0
	s_and_saveexec_b64 s[4:5], vcc
	s_cbranch_execz .LBB224_215
; %bb.207:
	v_lshrrev_b32_e32 v7, 7, v7
	v_add_u32_e32 v9, -1, v7
	v_lshrrev_b32_e32 v8, 1, v9
	v_mov_b32_e32 v3, v2
	v_add_u32_e32 v8, 1, v8
	v_cmp_lt_u32_e32 vcc, 13, v9
	v_mov_b32_e32 v11, 0
	s_and_saveexec_b64 s[10:11], vcc
	s_cbranch_execz .LBB224_211
; %bb.208:
	v_mov_b32_e32 v10, 0x1f0
	v_and_b32_e32 v9, -8, v8
	v_lshl_add_u32 v10, v0, 2, v10
	s_mov_b32 s16, 0
	s_mov_b64 s[14:15], 0
.LBB224_209:                            ; =>This Inner Loop Header: Depth=1
	ds_read2st64_b32 v[12:13], v10 offset1:2
	ds_read2st64_b32 v[16:17], v10 offset0:4 offset1:6
	ds_read2st64_b32 v[20:21], v10 offset0:8 offset1:10
	;; [unrolled: 1-line block ×3, first 2 shown]
	v_add_u32_e32 v9, -8, v9
	s_waitcnt lgkmcnt(3)
	v_pk_mul_f32 v[12:13], v[2:3], v[12:13]
	s_waitcnt lgkmcnt(2)
	v_pk_mul_f32 v[16:17], v[2:3], v[16:17]
	ds_write2st64_b32 v10, v12, v13 offset1:2
	ds_write2st64_b32 v10, v16, v17 offset0:4 offset1:6
	ds_read2st64_b32 v[16:17], v10 offset0:16 offset1:18
	s_waitcnt lgkmcnt(4)
	v_pk_mul_f32 v[12:13], v[2:3], v[20:21]
	ds_write2st64_b32 v10, v12, v13 offset0:8 offset1:10
	s_waitcnt lgkmcnt(4)
	v_pk_mul_f32 v[12:13], v[2:3], v[22:23]
	ds_write2st64_b32 v10, v12, v13 offset0:12 offset1:14
	ds_read2st64_b32 v[12:13], v10 offset0:20 offset1:22
	s_waitcnt lgkmcnt(3)
	v_pk_mul_f32 v[16:17], v[2:3], v[16:17]
	ds_read2st64_b32 v[20:21], v10 offset0:24 offset1:26
	ds_write2st64_b32 v10, v16, v17 offset0:16 offset1:18
	ds_read2st64_b32 v[16:17], v10 offset0:28 offset1:30
	s_waitcnt lgkmcnt(3)
	v_pk_mul_f32 v[12:13], v[2:3], v[12:13]
	ds_write2st64_b32 v10, v12, v13 offset0:20 offset1:22
	s_waitcnt lgkmcnt(3)
	v_pk_mul_f32 v[12:13], v[2:3], v[20:21]
	ds_write2st64_b32 v10, v12, v13 offset0:24 offset1:26
	s_waitcnt lgkmcnt(2)
	v_pk_mul_f32 v[12:13], v[2:3], v[16:17]
	s_add_i32 s16, s16, 16
	v_cmp_eq_u32_e32 vcc, 0, v9
	ds_write2st64_b32 v10, v12, v13 offset0:28 offset1:30
	v_add_u32_e32 v10, 0x2000, v10
	s_or_b64 s[14:15], vcc, s[14:15]
	v_mov_b32_e32 v11, s16
	s_andn2_b64 exec, exec, s[14:15]
	s_cbranch_execnz .LBB224_209
; %bb.210:
	s_or_b64 exec, exec, s[14:15]
.LBB224_211:
	s_or_b64 exec, exec, s[10:11]
	v_and_b32_e32 v8, 7, v8
	v_cmp_ne_u32_e32 vcc, 0, v8
	s_and_saveexec_b64 s[10:11], vcc
	s_cbranch_execz .LBB224_214
; %bb.212:
	v_lshlrev_b32_e32 v9, 9, v11
	s_movk_i32 s14, 0x1f0
	v_add3_u32 v9, v9, v45, s14
	s_mov_b64 s[14:15], 0
.LBB224_213:                            ; =>This Inner Loop Header: Depth=1
	ds_read2st64_b32 v[10:11], v9 offset1:2
	v_add_u32_e32 v8, -1, v8
	v_cmp_eq_u32_e32 vcc, 0, v8
	s_or_b64 s[14:15], vcc, s[14:15]
	s_waitcnt lgkmcnt(0)
	v_pk_mul_f32 v[10:11], v[2:3], v[10:11]
	ds_write2st64_b32 v9, v10, v11 offset1:2
	v_add_u32_e32 v9, 0x400, v9
	s_andn2_b64 exec, exec, s[14:15]
	s_cbranch_execnz .LBB224_213
.LBB224_214:
	s_or_b64 exec, exec, s[10:11]
	v_add_u32_e32 v7, 1, v7
	v_and_b32_e32 v8, 0x3fffffe, v7
	v_cmp_ne_u32_e32 vcc, v7, v8
	v_lshl_add_u32 v3, v8, 7, v0
	s_orn2_b64 s[10:11], vcc, exec
.LBB224_215:
	s_or_b64 exec, exec, s[4:5]
	s_and_b64 exec, exec, s[10:11]
	s_cbranch_execz .LBB224_218
; %bb.216:
	v_mov_b32_e32 v7, 0x1f0
	v_lshl_add_u32 v7, v3, 2, v7
	s_mov_b64 s[4:5], 0
.LBB224_217:                            ; =>This Inner Loop Header: Depth=1
	ds_read_b32 v8, v7
	v_add_u32_e32 v3, 0x80, v3
	v_cmp_le_i32_e32 vcc, s7, v3
	s_or_b64 s[4:5], vcc, s[4:5]
	s_waitcnt lgkmcnt(0)
	v_mul_f32_e32 v8, v2, v8
	ds_write_b32 v7, v8
	v_add_u32_e32 v7, 0x200, v7
	s_andn2_b64 exec, exec, s[4:5]
	s_cbranch_execnz .LBB224_217
.LBB224_218:
	s_or_b64 exec, exec, s[2:3]
	s_mul_i32 s2, s25, s28
	v_cmp_eq_u32_e32 vcc, 0, v0
	s_mul_i32 s4, s2, s9
	s_waitcnt lgkmcnt(0)
	s_barrier
	s_and_saveexec_b64 s[2:3], vcc
	s_cbranch_execz .LBB224_220
; %bb.219:
	s_ashr_i32 s5, s4, 31
	s_lshl_b64 s[10:11], s[4:5], 2
	s_add_u32 s5, s22, s10
	s_mul_i32 s6, s25, s6
	s_addc_u32 s9, s23, s11
	s_ashr_i32 s7, s6, 31
	s_lshl_b64 s[6:7], s[6:7], 2
	s_add_u32 s5, s5, s6
	s_addc_u32 s17, s9, s7
	s_ashr_i32 s9, s8, 31
	s_lshl_b64 s[14:15], s[8:9], 2
	s_add_u32 s16, s5, s14
	s_addc_u32 s17, s17, s15
	s_add_u32 s5, s20, s10
	s_addc_u32 s9, s21, s11
	;; [unrolled: 2-line block ×3, first 2 shown]
	s_add_u32 s6, s5, s14
	v_mov_b32_e32 v2, 0
	s_addc_u32 s7, s7, s15
	global_store_dword v2, v5, s[16:17]
	global_store_dword v2, v6, s[6:7]
.LBB224_220:
	s_or_b64 exec, exec, s[2:3]
	s_mov_b32 s10, 0
	v_mov_b32_e32 v7, 0
	v_lshrrev_b32_e32 v66, 2, v4
	v_mov_b32_e32 v6, 0
	v_mov_b32_e32 v9, 0
	;; [unrolled: 1-line block ×7, first 2 shown]
	s_and_saveexec_b64 s[6:7], s[0:1]
	s_cbranch_execz .LBB224_434
; %bb.221:
	s_ashr_i32 s0, s12, 31
	s_add_u32 s2, s36, s12
	v_and_b32_e32 v2, 12, v45
	s_addc_u32 s3, s37, s0
	v_or_b32_e32 v3, 0x70, v66
	s_movk_i32 s0, 0x78
	s_load_dword s12, s[18:19], 0x0
	v_cmp_gt_u32_e32 vcc, s0, v3
	v_lshl_or_b32 v18, v3, 4, v2
	v_lshl_add_u32 v3, v46, 4, s29
	s_add_i32 s45, s45, -1
	v_lshl_or_b32 v14, v66, 4, v2
	v_add3_u32 v67, v3, v2, 3
	v_lshlrev_b32_e32 v2, 4, v30
	s_lshl_b64 s[0:1], s[34:35], 2
	v_lshl_or_b32 v2, v46, 6, v2
	s_add_u32 s0, s30, s0
	v_add_u32_e32 v68, 0x1f0, v2
	v_lshlrev_b64 v[2:3], 2, v[32:33]
	s_addc_u32 s1, s31, s1
	v_mov_b32_e32 v4, s1
	v_add_co_u32_e64 v20, s[0:1], s0, v2
	s_mov_b32 s5, s13
	v_mov_b32_e32 v17, 0
	s_waitcnt lgkmcnt(0)
	s_mov_b32 s13, s12
	v_addc_co_u32_e64 v21, s[0:1], v4, v3, s[0:1]
	s_mov_b64 s[14:15], 0
	v_pk_mov_b32 v[22:23], s[2:3], s[2:3] op_sel:[0,1]
	s_movk_i32 s9, 0x80
	s_movk_i32 s30, 0x7f
	s_brev_b32 s11, 1
	s_mov_b32 s17, 0x7f800001
	s_mov_b32 s31, 0xffffff
	v_bfrev_b32_e32 v33, 60
	v_mov_b32_e32 v69, 7
	v_mov_b32_e32 v70, 24
	;; [unrolled: 1-line block ×10, first 2 shown]
	s_branch .LBB224_224
.LBB224_222:                            ;   in Loop: Header=BB224_224 Depth=1
	s_or_b64 exec, exec, s[2:3]
	s_waitcnt lgkmcnt(0)
	v_mul_f32_e32 v16, v3, v29
	v_fmac_f32_e32 v16, v2, v28
	v_fmac_f32_e32 v16, v4, v58
	;; [unrolled: 1-line block ×3, first 2 shown]
	v_add_f32_e32 v7, v7, v16
.LBB224_223:                            ;   in Loop: Header=BB224_224 Depth=1
	s_or_b64 exec, exec, s[18:19]
	s_waitcnt lgkmcnt(0)
	v_mul_f32_e32 v16, v3, v25
	v_fmac_f32_e32 v16, v2, v24
	v_fmac_f32_e32 v16, v4, v26
	v_fmac_f32_e32 v16, v5, v27
	v_add_f32_e32 v12, v12, v16
	v_mul_f32_e32 v16, v3, v35
	v_fmac_f32_e32 v16, v2, v34
	v_fmac_f32_e32 v16, v4, v36
	v_fmac_f32_e32 v16, v5, v37
	v_add_f32_e32 v13, v13, v16
	;; [unrolled: 5-line block ×5, first 2 shown]
	v_mul_f32_e32 v16, v3, v53
	v_mul_f32_e32 v3, v3, v39
	v_fmac_f32_e32 v16, v2, v52
	v_fmac_f32_e32 v3, v2, v38
	v_add_u32_e32 v32, 2, v32
	v_fmac_f32_e32 v16, v4, v54
	v_fmac_f32_e32 v3, v4, v56
	v_cmp_le_i32_e64 s[0:1], s44, v32
	v_fmac_f32_e32 v16, v5, v55
	v_fmac_f32_e32 v3, v5, v57
	s_or_b64 s[14:15], s[0:1], s[14:15]
	v_add_co_u32_e64 v20, s[0:1], 8, v20
	v_add_f32_e32 v9, v9, v16
	v_add_f32_e32 v6, v6, v3
	v_add_u32_e32 v67, 32, v67
	v_add_u32_e32 v68, 0x80, v68
	v_addc_co_u32_e64 v21, s[0:1], 0, v21, s[0:1]
	s_andn2_b64 exec, exec, s[14:15]
	s_cbranch_execz .LBB224_433
.LBB224_224:                            ; =>This Inner Loop Header: Depth=1
	global_load_dword v2, v[20:21], off
	v_pk_mov_b32 v[34:35], 0, 0
	v_pk_mov_b32 v[26:27], v[34:35], v[34:35] op_sel:[0,1]
	s_waitcnt vmcnt(0)
	v_mad_i64_i32 v[28:29], s[0:1], v2, s5, v[22:23]
	v_add_co_u32_e64 v38, s[0:1], v28, v14
	v_addc_co_u32_e64 v39, s[0:1], 0, v29, s[0:1]
	global_load_dword v24, v[38:39], off
	ds_read_b128 v[2:5], v68
	s_waitcnt vmcnt(0)
	v_cmp_ne_u16_sdwa s[0:1], v24, v17 src0_sel:BYTE_0 src1_sel:DWORD
	s_and_saveexec_b64 s[2:3], s[0:1]
	s_cbranch_execz .LBB224_230
; %bb.225:                              ;   in Loop: Header=BB224_224 Depth=1
	v_bfrev_b32_e32 v26, 1
	v_cmp_ne_u16_sdwa s[0:1], v24, s9 src0_sel:BYTE_0 src1_sel:DWORD
	v_mov_b32_e32 v27, 0
	s_and_saveexec_b64 s[18:19], s[0:1]
	s_cbranch_execz .LBB224_229
; %bb.226:                              ;   in Loop: Header=BB224_224 Depth=1
	v_and_b32_e32 v16, 0x7f, v24
	v_mov_b32_e32 v26, 0x7f800001
	v_cmp_ne_u32_e64 s[0:1], s30, v16
	v_mov_b32_e32 v27, 0
	s_and_saveexec_b64 s[20:21], s[0:1]
	s_cbranch_execz .LBB224_228
; %bb.227:                              ;   in Loop: Header=BB224_224 Depth=1
	v_and_b32_e32 v25, 7, v24
	v_ffbh_u32_e32 v26, v25
	v_min_u32_e32 v37, 32, v26
	v_subrev_u32_e32 v26, 28, v37
	v_lshlrev_b64 v[26:27], v26, v[24:25]
	v_lshrrev_b32_e32 v36, 3, v16
	v_sub_u32_e32 v27, 29, v37
	v_and_b32_e32 v26, 7, v26
	v_cmp_gt_u32_e64 s[0:1], 8, v16
	v_cndmask_b32_e64 v16, v36, v27, s[0:1]
	v_cndmask_b32_e64 v25, v25, v26, s[0:1]
	v_lshlrev_b32_e32 v25, 20, v25
	v_and_b32_sdwa v26, sext(v24), s11 dst_sel:DWORD dst_unused:UNUSED_PAD src0_sel:BYTE_0 src1_sel:DWORD
	v_lshl_add_u32 v16, v16, 23, v33
	v_or3_b32 v16, v26, v16, v25
	v_pk_mov_b32 v[26:27], v[16:17], v[16:17] op_sel:[0,1]
.LBB224_228:                            ;   in Loop: Header=BB224_224 Depth=1
	s_or_b64 exec, exec, s[20:21]
.LBB224_229:                            ;   in Loop: Header=BB224_224 Depth=1
	s_or_b64 exec, exec, s[18:19]
.LBB224_230:                            ;   in Loop: Header=BB224_224 Depth=1
	s_or_b64 exec, exec, s[2:3]
	v_cmp_ne_u16_sdwa s[0:1], v24, v17 src0_sel:BYTE_1 src1_sel:DWORD
	s_and_saveexec_b64 s[2:3], s[0:1]
	s_cbranch_execz .LBB224_236
; %bb.231:                              ;   in Loop: Header=BB224_224 Depth=1
	v_cmp_ne_u16_sdwa s[0:1], v24, s9 src0_sel:BYTE_1 src1_sel:DWORD
	v_pk_mov_b32 v[34:35], s[10:11], s[10:11] op_sel:[0,1]
	s_and_saveexec_b64 s[18:19], s[0:1]
	s_cbranch_execz .LBB224_235
; %bb.232:                              ;   in Loop: Header=BB224_224 Depth=1
	v_and_b32_sdwa v25, v24, s30 dst_sel:DWORD dst_unused:UNUSED_PAD src0_sel:BYTE_1 src1_sel:DWORD
	s_mov_b32 s16, s10
	v_cmp_ne_u32_e64 s[0:1], s30, v25
	v_pk_mov_b32 v[34:35], s[16:17], s[16:17] op_sel:[0,1]
	s_and_saveexec_b64 s[20:21], s[0:1]
	s_cbranch_execz .LBB224_234
; %bb.233:                              ;   in Loop: Header=BB224_224 Depth=1
	v_and_b32_sdwa v16, v24, v69 dst_sel:DWORD dst_unused:UNUSED_PAD src0_sel:BYTE_1 src1_sel:DWORD
	v_ffbh_u32_e32 v34, v16
	v_min_u32_e32 v37, 32, v34
	v_subrev_u32_e32 v34, 28, v37
	v_lshlrev_b64 v[34:35], v34, v[16:17]
	v_lshrrev_b32_e32 v36, 3, v25
	v_sub_u32_e32 v35, 29, v37
	v_cmp_gt_u32_e64 s[0:1], 8, v25
	v_and_b32_e32 v34, 7, v34
	v_cndmask_b32_e64 v25, v36, v35, s[0:1]
	v_cndmask_b32_e64 v16, v16, v34, s[0:1]
	v_lshlrev_b32_e32 v34, 16, v24
	v_lshl_add_u32 v25, v25, 23, v33
	v_and_or_b32 v25, v34, s11, v25
	v_lshlrev_b32_e32 v16, 20, v16
	v_or_b32_e32 v35, v25, v16
	v_mov_b32_e32 v34, v17
.LBB224_234:                            ;   in Loop: Header=BB224_224 Depth=1
	s_or_b64 exec, exec, s[20:21]
.LBB224_235:                            ;   in Loop: Header=BB224_224 Depth=1
	s_or_b64 exec, exec, s[18:19]
.LBB224_236:                            ;   in Loop: Header=BB224_224 Depth=1
	s_or_b64 exec, exec, s[2:3]
	v_lshrrev_b32_e32 v16, 16, v24
	v_pk_mov_b32 v[40:41], 0, 0
	v_cmp_ne_u16_sdwa s[0:1], v16, v17 src0_sel:BYTE_0 src1_sel:DWORD
	v_pk_mov_b32 v[36:37], v[40:41], v[40:41] op_sel:[0,1]
	s_and_saveexec_b64 s[2:3], s[0:1]
	s_cbranch_execz .LBB224_242
; %bb.237:                              ;   in Loop: Header=BB224_224 Depth=1
	v_bfrev_b32_e32 v36, 1
	v_cmp_ne_u16_sdwa s[0:1], v16, s9 src0_sel:BYTE_0 src1_sel:DWORD
	v_mov_b32_e32 v37, 0
	s_and_saveexec_b64 s[18:19], s[0:1]
	s_cbranch_execz .LBB224_241
; %bb.238:                              ;   in Loop: Header=BB224_224 Depth=1
	v_bfe_u32 v25, v24, 16, 7
	v_mov_b32_e32 v36, 0x7f800001
	v_cmp_ne_u32_e64 s[0:1], s30, v25
	v_mov_b32_e32 v37, 0
	s_and_saveexec_b64 s[20:21], s[0:1]
	s_cbranch_execz .LBB224_240
; %bb.239:                              ;   in Loop: Header=BB224_224 Depth=1
	v_and_b32_e32 v42, 7, v16
	v_ffbh_u32_e32 v36, v42
	v_min_u32_e32 v44, 32, v36
	v_subrev_u32_e32 v36, 28, v44
	v_lshlrev_b64 v[36:37], v36, v[16:17]
	v_lshrrev_b32_e32 v43, 3, v25
	v_sub_u32_e32 v37, 29, v44
	v_and_b32_e32 v36, 7, v36
	v_cmp_gt_u32_e64 s[0:1], 8, v25
	v_cndmask_b32_e64 v25, v43, v37, s[0:1]
	v_cndmask_b32_e64 v36, v42, v36, s[0:1]
	v_lshlrev_b32_e32 v36, 20, v36
	v_and_b32_sdwa v16, sext(v16), s11 dst_sel:DWORD dst_unused:UNUSED_PAD src0_sel:BYTE_0 src1_sel:DWORD
	v_lshl_add_u32 v25, v25, 23, v33
	v_or3_b32 v16, v16, v25, v36
	v_pk_mov_b32 v[36:37], v[16:17], v[16:17] op_sel:[0,1]
.LBB224_240:                            ;   in Loop: Header=BB224_224 Depth=1
	s_or_b64 exec, exec, s[20:21]
.LBB224_241:                            ;   in Loop: Header=BB224_224 Depth=1
	s_or_b64 exec, exec, s[18:19]
.LBB224_242:                            ;   in Loop: Header=BB224_224 Depth=1
	s_or_b64 exec, exec, s[2:3]
	v_cmp_lt_u32_e64 s[0:1], s31, v24
	s_and_saveexec_b64 s[2:3], s[0:1]
	s_cbranch_execz .LBB224_248
; %bb.243:                              ;   in Loop: Header=BB224_224 Depth=1
	v_cmp_ne_u32_sdwa s[0:1], v24, s9 src0_sel:BYTE_3 src1_sel:DWORD
	v_pk_mov_b32 v[40:41], s[10:11], s[10:11] op_sel:[0,1]
	s_and_saveexec_b64 s[18:19], s[0:1]
	s_cbranch_execz .LBB224_247
; %bb.244:                              ;   in Loop: Header=BB224_224 Depth=1
	v_bfe_u32 v25, v24, 24, 7
	s_mov_b32 s16, s10
	v_cmp_ne_u32_e64 s[0:1], s30, v25
	v_pk_mov_b32 v[40:41], s[16:17], s[16:17] op_sel:[0,1]
	s_and_saveexec_b64 s[20:21], s[0:1]
	s_cbranch_execz .LBB224_246
; %bb.245:                              ;   in Loop: Header=BB224_224 Depth=1
	v_and_b32_sdwa v16, v24, v69 dst_sel:DWORD dst_unused:UNUSED_PAD src0_sel:BYTE_3 src1_sel:DWORD
	v_ffbh_u32_e32 v40, v16
	v_min_u32_e32 v43, 32, v40
	v_subrev_u32_e32 v40, 28, v43
	v_lshlrev_b64 v[40:41], v40, v[16:17]
	v_lshrrev_b32_e32 v42, 3, v25
	v_sub_u32_e32 v41, 29, v43
	v_cmp_gt_u32_e64 s[0:1], 8, v25
	v_and_b32_e32 v40, 7, v40
	v_cndmask_b32_e64 v25, v42, v41, s[0:1]
	v_cndmask_b32_e64 v16, v16, v40, s[0:1]
	v_lshlrev_b32_sdwa v24, v70, v24 dst_sel:DWORD dst_unused:UNUSED_PAD src0_sel:DWORD src1_sel:BYTE_3
	v_lshl_add_u32 v25, v25, 23, v33
	v_and_or_b32 v24, v24, s11, v25
	v_lshlrev_b32_e32 v16, 20, v16
	v_or_b32_e32 v41, v24, v16
	v_mov_b32_e32 v40, v17
.LBB224_246:                            ;   in Loop: Header=BB224_224 Depth=1
	s_or_b64 exec, exec, s[20:21]
.LBB224_247:                            ;   in Loop: Header=BB224_224 Depth=1
	s_or_b64 exec, exec, s[18:19]
.LBB224_248:                            ;   in Loop: Header=BB224_224 Depth=1
	s_or_b64 exec, exec, s[2:3]
	v_or_b32_e32 v25, v35, v27
	v_or_b32_e32 v24, v34, v26
	;; [unrolled: 1-line block ×4, first 2 shown]
	v_add_u32_e32 v71, -3, v67
	v_cmp_eq_u32_e64 s[0:1], s45, v32
	v_pk_mul_f32 v[24:25], s[12:13], v[24:25]
	v_pk_mul_f32 v[26:27], s[12:13], v[26:27]
	s_and_saveexec_b64 s[18:19], s[0:1]
; %bb.249:                              ;   in Loop: Header=BB224_224 Depth=1
	v_cmp_gt_i32_e64 s[2:3], s33, v71
	v_add_u32_e32 v16, -2, v67
	v_cndmask_b32_e64 v24, 0, v24, s[2:3]
	v_cmp_gt_i32_e64 s[2:3], s33, v16
	v_add_u32_e32 v16, -1, v67
	v_cndmask_b32_e64 v25, 0, v25, s[2:3]
	v_cmp_gt_i32_e64 s[2:3], s33, v16
	v_cndmask_b32_e64 v26, 0, v26, s[2:3]
	v_cmp_gt_i32_e64 s[2:3], s33, v67
	v_cndmask_b32_e64 v27, 0, v27, s[2:3]
; %bb.250:                              ;   in Loop: Header=BB224_224 Depth=1
	s_or_b64 exec, exec, s[18:19]
	global_load_dword v34, v[38:39], off offset:256
	v_pk_mov_b32 v[40:41], 0, 0
	v_pk_mov_b32 v[36:37], v[40:41], v[40:41] op_sel:[0,1]
	s_waitcnt vmcnt(0)
	v_cmp_ne_u16_sdwa s[2:3], v34, v17 src0_sel:BYTE_0 src1_sel:DWORD
	s_and_saveexec_b64 s[18:19], s[2:3]
	s_cbranch_execz .LBB224_256
; %bb.251:                              ;   in Loop: Header=BB224_224 Depth=1
	v_bfrev_b32_e32 v36, 1
	v_cmp_ne_u16_sdwa s[2:3], v34, s9 src0_sel:BYTE_0 src1_sel:DWORD
	v_mov_b32_e32 v37, 0
	s_and_saveexec_b64 s[20:21], s[2:3]
	s_cbranch_execz .LBB224_255
; %bb.252:                              ;   in Loop: Header=BB224_224 Depth=1
	v_and_b32_e32 v16, 0x7f, v34
	v_mov_b32_e32 v36, 0x7f800001
	v_cmp_ne_u32_e64 s[2:3], s30, v16
	v_mov_b32_e32 v37, 0
	s_and_saveexec_b64 s[22:23], s[2:3]
	s_cbranch_execz .LBB224_254
; %bb.253:                              ;   in Loop: Header=BB224_224 Depth=1
	v_and_b32_e32 v35, 7, v34
	v_ffbh_u32_e32 v36, v35
	v_min_u32_e32 v43, 32, v36
	v_subrev_u32_e32 v36, 28, v43
	v_lshlrev_b64 v[36:37], v36, v[34:35]
	v_lshrrev_b32_e32 v42, 3, v16
	v_sub_u32_e32 v37, 29, v43
	v_and_b32_e32 v36, 7, v36
	v_cmp_gt_u32_e64 s[2:3], 8, v16
	v_cndmask_b32_e64 v16, v42, v37, s[2:3]
	v_cndmask_b32_e64 v35, v35, v36, s[2:3]
	v_lshlrev_b32_e32 v35, 20, v35
	v_and_b32_sdwa v36, sext(v34), s11 dst_sel:DWORD dst_unused:UNUSED_PAD src0_sel:BYTE_0 src1_sel:DWORD
	v_lshl_add_u32 v16, v16, 23, v33
	v_or3_b32 v16, v36, v16, v35
	v_pk_mov_b32 v[36:37], v[16:17], v[16:17] op_sel:[0,1]
.LBB224_254:                            ;   in Loop: Header=BB224_224 Depth=1
	s_or_b64 exec, exec, s[22:23]
.LBB224_255:                            ;   in Loop: Header=BB224_224 Depth=1
	s_or_b64 exec, exec, s[20:21]
.LBB224_256:                            ;   in Loop: Header=BB224_224 Depth=1
	s_or_b64 exec, exec, s[18:19]
	v_cmp_ne_u16_sdwa s[2:3], v34, v17 src0_sel:BYTE_1 src1_sel:DWORD
	s_and_saveexec_b64 s[18:19], s[2:3]
	s_cbranch_execz .LBB224_262
; %bb.257:                              ;   in Loop: Header=BB224_224 Depth=1
	v_cmp_ne_u16_sdwa s[2:3], v34, s9 src0_sel:BYTE_1 src1_sel:DWORD
	v_pk_mov_b32 v[40:41], s[10:11], s[10:11] op_sel:[0,1]
	s_and_saveexec_b64 s[20:21], s[2:3]
	s_cbranch_execz .LBB224_261
; %bb.258:                              ;   in Loop: Header=BB224_224 Depth=1
	v_and_b32_sdwa v35, v34, s30 dst_sel:DWORD dst_unused:UNUSED_PAD src0_sel:BYTE_1 src1_sel:DWORD
	s_mov_b32 s16, s10
	v_cmp_ne_u32_e64 s[2:3], s30, v35
	v_pk_mov_b32 v[40:41], s[16:17], s[16:17] op_sel:[0,1]
	s_and_saveexec_b64 s[22:23], s[2:3]
	s_cbranch_execz .LBB224_260
; %bb.259:                              ;   in Loop: Header=BB224_224 Depth=1
	v_and_b32_sdwa v16, v34, v69 dst_sel:DWORD dst_unused:UNUSED_PAD src0_sel:BYTE_1 src1_sel:DWORD
	v_ffbh_u32_e32 v40, v16
	v_min_u32_e32 v43, 32, v40
	v_subrev_u32_e32 v40, 28, v43
	v_lshlrev_b64 v[40:41], v40, v[16:17]
	v_lshrrev_b32_e32 v42, 3, v35
	v_sub_u32_e32 v41, 29, v43
	v_cmp_gt_u32_e64 s[2:3], 8, v35
	v_and_b32_e32 v40, 7, v40
	v_cndmask_b32_e64 v35, v42, v41, s[2:3]
	v_cndmask_b32_e64 v16, v16, v40, s[2:3]
	v_lshlrev_b32_e32 v40, 16, v34
	v_lshl_add_u32 v35, v35, 23, v33
	v_and_or_b32 v35, v40, s11, v35
	v_lshlrev_b32_e32 v16, 20, v16
	v_or_b32_e32 v41, v35, v16
	v_mov_b32_e32 v40, v17
.LBB224_260:                            ;   in Loop: Header=BB224_224 Depth=1
	s_or_b64 exec, exec, s[22:23]
.LBB224_261:                            ;   in Loop: Header=BB224_224 Depth=1
	s_or_b64 exec, exec, s[20:21]
.LBB224_262:                            ;   in Loop: Header=BB224_224 Depth=1
	s_or_b64 exec, exec, s[18:19]
	v_lshrrev_b32_e32 v16, 16, v34
	v_pk_mov_b32 v[44:45], 0, 0
	v_cmp_ne_u16_sdwa s[2:3], v16, v17 src0_sel:BYTE_0 src1_sel:DWORD
	v_pk_mov_b32 v[42:43], v[44:45], v[44:45] op_sel:[0,1]
	s_and_saveexec_b64 s[18:19], s[2:3]
	s_cbranch_execz .LBB224_268
; %bb.263:                              ;   in Loop: Header=BB224_224 Depth=1
	v_bfrev_b32_e32 v42, 1
	v_cmp_ne_u16_sdwa s[2:3], v16, s9 src0_sel:BYTE_0 src1_sel:DWORD
	v_mov_b32_e32 v43, 0
	s_and_saveexec_b64 s[20:21], s[2:3]
	s_cbranch_execz .LBB224_267
; %bb.264:                              ;   in Loop: Header=BB224_224 Depth=1
	v_bfe_u32 v35, v34, 16, 7
	v_mov_b32_e32 v42, 0x7f800001
	v_cmp_ne_u32_e64 s[2:3], s30, v35
	v_mov_b32_e32 v43, 0
	s_and_saveexec_b64 s[22:23], s[2:3]
	s_cbranch_execz .LBB224_266
; %bb.265:                              ;   in Loop: Header=BB224_224 Depth=1
	v_and_b32_e32 v46, 7, v16
	v_ffbh_u32_e32 v42, v46
	v_min_u32_e32 v48, 32, v42
	v_subrev_u32_e32 v42, 28, v48
	v_lshlrev_b64 v[42:43], v42, v[16:17]
	v_lshrrev_b32_e32 v47, 3, v35
	v_sub_u32_e32 v43, 29, v48
	v_and_b32_e32 v42, 7, v42
	v_cmp_gt_u32_e64 s[2:3], 8, v35
	v_cndmask_b32_e64 v35, v47, v43, s[2:3]
	v_cndmask_b32_e64 v42, v46, v42, s[2:3]
	v_lshlrev_b32_e32 v42, 20, v42
	v_and_b32_sdwa v16, sext(v16), s11 dst_sel:DWORD dst_unused:UNUSED_PAD src0_sel:BYTE_0 src1_sel:DWORD
	v_lshl_add_u32 v35, v35, 23, v33
	v_or3_b32 v16, v16, v35, v42
	v_pk_mov_b32 v[42:43], v[16:17], v[16:17] op_sel:[0,1]
.LBB224_266:                            ;   in Loop: Header=BB224_224 Depth=1
	s_or_b64 exec, exec, s[22:23]
.LBB224_267:                            ;   in Loop: Header=BB224_224 Depth=1
	s_or_b64 exec, exec, s[20:21]
.LBB224_268:                            ;   in Loop: Header=BB224_224 Depth=1
	s_or_b64 exec, exec, s[18:19]
	v_cmp_lt_u32_e64 s[2:3], s31, v34
	s_and_saveexec_b64 s[18:19], s[2:3]
	s_cbranch_execz .LBB224_274
; %bb.269:                              ;   in Loop: Header=BB224_224 Depth=1
	v_cmp_ne_u32_sdwa s[2:3], v34, s9 src0_sel:BYTE_3 src1_sel:DWORD
	v_pk_mov_b32 v[44:45], s[10:11], s[10:11] op_sel:[0,1]
	s_and_saveexec_b64 s[20:21], s[2:3]
	s_cbranch_execz .LBB224_273
; %bb.270:                              ;   in Loop: Header=BB224_224 Depth=1
	v_bfe_u32 v35, v34, 24, 7
	s_mov_b32 s16, s10
	v_cmp_ne_u32_e64 s[2:3], s30, v35
	v_pk_mov_b32 v[44:45], s[16:17], s[16:17] op_sel:[0,1]
	s_and_saveexec_b64 s[22:23], s[2:3]
	s_cbranch_execz .LBB224_272
; %bb.271:                              ;   in Loop: Header=BB224_224 Depth=1
	v_and_b32_sdwa v16, v34, v69 dst_sel:DWORD dst_unused:UNUSED_PAD src0_sel:BYTE_3 src1_sel:DWORD
	v_ffbh_u32_e32 v44, v16
	v_min_u32_e32 v47, 32, v44
	v_subrev_u32_e32 v44, 28, v47
	v_lshlrev_b64 v[44:45], v44, v[16:17]
	v_lshrrev_b32_e32 v46, 3, v35
	v_sub_u32_e32 v45, 29, v47
	v_cmp_gt_u32_e64 s[2:3], 8, v35
	v_and_b32_e32 v44, 7, v44
	v_cndmask_b32_e64 v35, v46, v45, s[2:3]
	v_cndmask_b32_e64 v16, v16, v44, s[2:3]
	v_lshlrev_b32_sdwa v34, v70, v34 dst_sel:DWORD dst_unused:UNUSED_PAD src0_sel:DWORD src1_sel:BYTE_3
	v_lshl_add_u32 v35, v35, 23, v33
	v_and_or_b32 v34, v34, s11, v35
	v_lshlrev_b32_e32 v16, 20, v16
	v_or_b32_e32 v45, v34, v16
	v_mov_b32_e32 v44, v17
.LBB224_272:                            ;   in Loop: Header=BB224_224 Depth=1
	s_or_b64 exec, exec, s[22:23]
.LBB224_273:                            ;   in Loop: Header=BB224_224 Depth=1
	s_or_b64 exec, exec, s[20:21]
.LBB224_274:                            ;   in Loop: Header=BB224_224 Depth=1
	s_or_b64 exec, exec, s[18:19]
	v_or_b32_e32 v35, v41, v37
	v_or_b32_e32 v34, v40, v36
	;; [unrolled: 1-line block ×4, first 2 shown]
	v_pk_mul_f32 v[34:35], s[12:13], v[34:35]
	v_pk_mul_f32 v[36:37], s[12:13], v[36:37]
	s_and_saveexec_b64 s[18:19], s[0:1]
; %bb.275:                              ;   in Loop: Header=BB224_224 Depth=1
	v_cmp_gt_i32_e64 s[2:3], s33, v71
	v_add_u32_e32 v16, -2, v67
	v_cndmask_b32_e64 v34, 0, v34, s[2:3]
	v_cmp_gt_i32_e64 s[2:3], s33, v16
	v_add_u32_e32 v16, -1, v67
	v_cndmask_b32_e64 v35, 0, v35, s[2:3]
	v_cmp_gt_i32_e64 s[2:3], s33, v16
	v_cndmask_b32_e64 v36, 0, v36, s[2:3]
	v_cmp_gt_i32_e64 s[2:3], s33, v67
	v_cndmask_b32_e64 v37, 0, v37, s[2:3]
; %bb.276:                              ;   in Loop: Header=BB224_224 Depth=1
	s_or_b64 exec, exec, s[18:19]
	global_load_dword v40, v[38:39], off offset:512
	v_pk_mov_b32 v[44:45], 0, 0
	v_pk_mov_b32 v[42:43], v[44:45], v[44:45] op_sel:[0,1]
	s_waitcnt vmcnt(0)
	v_cmp_ne_u16_sdwa s[2:3], v40, v17 src0_sel:BYTE_0 src1_sel:DWORD
	s_and_saveexec_b64 s[18:19], s[2:3]
	s_cbranch_execz .LBB224_282
; %bb.277:                              ;   in Loop: Header=BB224_224 Depth=1
	v_bfrev_b32_e32 v42, 1
	v_cmp_ne_u16_sdwa s[2:3], v40, s9 src0_sel:BYTE_0 src1_sel:DWORD
	v_mov_b32_e32 v43, 0
	s_and_saveexec_b64 s[20:21], s[2:3]
	s_cbranch_execz .LBB224_281
; %bb.278:                              ;   in Loop: Header=BB224_224 Depth=1
	v_and_b32_e32 v16, 0x7f, v40
	v_mov_b32_e32 v42, 0x7f800001
	v_cmp_ne_u32_e64 s[2:3], s30, v16
	v_mov_b32_e32 v43, 0
	s_and_saveexec_b64 s[22:23], s[2:3]
	s_cbranch_execz .LBB224_280
; %bb.279:                              ;   in Loop: Header=BB224_224 Depth=1
	v_and_b32_e32 v41, 7, v40
	v_ffbh_u32_e32 v42, v41
	v_min_u32_e32 v47, 32, v42
	v_subrev_u32_e32 v42, 28, v47
	v_lshlrev_b64 v[42:43], v42, v[40:41]
	v_lshrrev_b32_e32 v46, 3, v16
	v_sub_u32_e32 v43, 29, v47
	v_and_b32_e32 v42, 7, v42
	v_cmp_gt_u32_e64 s[2:3], 8, v16
	v_cndmask_b32_e64 v16, v46, v43, s[2:3]
	v_cndmask_b32_e64 v41, v41, v42, s[2:3]
	v_lshlrev_b32_e32 v41, 20, v41
	v_and_b32_sdwa v42, sext(v40), s11 dst_sel:DWORD dst_unused:UNUSED_PAD src0_sel:BYTE_0 src1_sel:DWORD
	v_lshl_add_u32 v16, v16, 23, v33
	v_or3_b32 v16, v42, v16, v41
	v_pk_mov_b32 v[42:43], v[16:17], v[16:17] op_sel:[0,1]
.LBB224_280:                            ;   in Loop: Header=BB224_224 Depth=1
	s_or_b64 exec, exec, s[22:23]
.LBB224_281:                            ;   in Loop: Header=BB224_224 Depth=1
	s_or_b64 exec, exec, s[20:21]
.LBB224_282:                            ;   in Loop: Header=BB224_224 Depth=1
	s_or_b64 exec, exec, s[18:19]
	v_cmp_ne_u16_sdwa s[2:3], v40, v17 src0_sel:BYTE_1 src1_sel:DWORD
	s_and_saveexec_b64 s[18:19], s[2:3]
	s_cbranch_execz .LBB224_288
; %bb.283:                              ;   in Loop: Header=BB224_224 Depth=1
	v_cmp_ne_u16_sdwa s[2:3], v40, s9 src0_sel:BYTE_1 src1_sel:DWORD
	v_pk_mov_b32 v[44:45], s[10:11], s[10:11] op_sel:[0,1]
	s_and_saveexec_b64 s[20:21], s[2:3]
	s_cbranch_execz .LBB224_287
; %bb.284:                              ;   in Loop: Header=BB224_224 Depth=1
	v_and_b32_sdwa v41, v40, s30 dst_sel:DWORD dst_unused:UNUSED_PAD src0_sel:BYTE_1 src1_sel:DWORD
	s_mov_b32 s16, s10
	v_cmp_ne_u32_e64 s[2:3], s30, v41
	v_pk_mov_b32 v[44:45], s[16:17], s[16:17] op_sel:[0,1]
	s_and_saveexec_b64 s[22:23], s[2:3]
	s_cbranch_execz .LBB224_286
; %bb.285:                              ;   in Loop: Header=BB224_224 Depth=1
	v_and_b32_sdwa v16, v40, v69 dst_sel:DWORD dst_unused:UNUSED_PAD src0_sel:BYTE_1 src1_sel:DWORD
	v_ffbh_u32_e32 v44, v16
	v_min_u32_e32 v47, 32, v44
	v_subrev_u32_e32 v44, 28, v47
	v_lshlrev_b64 v[44:45], v44, v[16:17]
	v_lshrrev_b32_e32 v46, 3, v41
	v_sub_u32_e32 v45, 29, v47
	v_cmp_gt_u32_e64 s[2:3], 8, v41
	v_and_b32_e32 v44, 7, v44
	v_cndmask_b32_e64 v41, v46, v45, s[2:3]
	v_cndmask_b32_e64 v16, v16, v44, s[2:3]
	v_lshlrev_b32_e32 v44, 16, v40
	v_lshl_add_u32 v41, v41, 23, v33
	v_and_or_b32 v41, v44, s11, v41
	v_lshlrev_b32_e32 v16, 20, v16
	v_or_b32_e32 v45, v41, v16
	v_mov_b32_e32 v44, v17
.LBB224_286:                            ;   in Loop: Header=BB224_224 Depth=1
	s_or_b64 exec, exec, s[22:23]
.LBB224_287:                            ;   in Loop: Header=BB224_224 Depth=1
	s_or_b64 exec, exec, s[20:21]
.LBB224_288:                            ;   in Loop: Header=BB224_224 Depth=1
	s_or_b64 exec, exec, s[18:19]
	v_lshrrev_b32_e32 v16, 16, v40
	v_pk_mov_b32 v[48:49], 0, 0
	v_cmp_ne_u16_sdwa s[2:3], v16, v17 src0_sel:BYTE_0 src1_sel:DWORD
	v_pk_mov_b32 v[46:47], v[48:49], v[48:49] op_sel:[0,1]
	s_and_saveexec_b64 s[18:19], s[2:3]
	s_cbranch_execz .LBB224_294
; %bb.289:                              ;   in Loop: Header=BB224_224 Depth=1
	v_bfrev_b32_e32 v46, 1
	v_cmp_ne_u16_sdwa s[2:3], v16, s9 src0_sel:BYTE_0 src1_sel:DWORD
	v_mov_b32_e32 v47, 0
	s_and_saveexec_b64 s[20:21], s[2:3]
	s_cbranch_execz .LBB224_293
; %bb.290:                              ;   in Loop: Header=BB224_224 Depth=1
	v_bfe_u32 v41, v40, 16, 7
	v_mov_b32_e32 v46, 0x7f800001
	v_cmp_ne_u32_e64 s[2:3], s30, v41
	v_mov_b32_e32 v47, 0
	s_and_saveexec_b64 s[22:23], s[2:3]
	s_cbranch_execz .LBB224_292
; %bb.291:                              ;   in Loop: Header=BB224_224 Depth=1
	v_and_b32_e32 v50, 7, v16
	v_ffbh_u32_e32 v46, v50
	v_min_u32_e32 v52, 32, v46
	v_subrev_u32_e32 v46, 28, v52
	v_lshlrev_b64 v[46:47], v46, v[16:17]
	v_lshrrev_b32_e32 v51, 3, v41
	v_sub_u32_e32 v47, 29, v52
	v_and_b32_e32 v46, 7, v46
	v_cmp_gt_u32_e64 s[2:3], 8, v41
	v_cndmask_b32_e64 v41, v51, v47, s[2:3]
	v_cndmask_b32_e64 v46, v50, v46, s[2:3]
	v_lshlrev_b32_e32 v46, 20, v46
	v_and_b32_sdwa v16, sext(v16), s11 dst_sel:DWORD dst_unused:UNUSED_PAD src0_sel:BYTE_0 src1_sel:DWORD
	v_lshl_add_u32 v41, v41, 23, v33
	v_or3_b32 v16, v16, v41, v46
	v_pk_mov_b32 v[46:47], v[16:17], v[16:17] op_sel:[0,1]
.LBB224_292:                            ;   in Loop: Header=BB224_224 Depth=1
	s_or_b64 exec, exec, s[22:23]
.LBB224_293:                            ;   in Loop: Header=BB224_224 Depth=1
	s_or_b64 exec, exec, s[20:21]
.LBB224_294:                            ;   in Loop: Header=BB224_224 Depth=1
	s_or_b64 exec, exec, s[18:19]
	v_cmp_lt_u32_e64 s[2:3], s31, v40
	s_and_saveexec_b64 s[18:19], s[2:3]
	s_cbranch_execz .LBB224_300
; %bb.295:                              ;   in Loop: Header=BB224_224 Depth=1
	v_cmp_ne_u32_sdwa s[2:3], v40, s9 src0_sel:BYTE_3 src1_sel:DWORD
	v_pk_mov_b32 v[48:49], s[10:11], s[10:11] op_sel:[0,1]
	s_and_saveexec_b64 s[20:21], s[2:3]
	s_cbranch_execz .LBB224_299
; %bb.296:                              ;   in Loop: Header=BB224_224 Depth=1
	v_bfe_u32 v41, v40, 24, 7
	s_mov_b32 s16, s10
	v_cmp_ne_u32_e64 s[2:3], s30, v41
	v_pk_mov_b32 v[48:49], s[16:17], s[16:17] op_sel:[0,1]
	s_and_saveexec_b64 s[22:23], s[2:3]
	s_cbranch_execz .LBB224_298
; %bb.297:                              ;   in Loop: Header=BB224_224 Depth=1
	v_and_b32_sdwa v16, v40, v69 dst_sel:DWORD dst_unused:UNUSED_PAD src0_sel:BYTE_3 src1_sel:DWORD
	v_ffbh_u32_e32 v48, v16
	v_min_u32_e32 v51, 32, v48
	v_subrev_u32_e32 v48, 28, v51
	v_lshlrev_b64 v[48:49], v48, v[16:17]
	v_lshrrev_b32_e32 v50, 3, v41
	v_sub_u32_e32 v49, 29, v51
	v_cmp_gt_u32_e64 s[2:3], 8, v41
	v_and_b32_e32 v48, 7, v48
	v_cndmask_b32_e64 v41, v50, v49, s[2:3]
	v_cndmask_b32_e64 v16, v16, v48, s[2:3]
	v_lshlrev_b32_sdwa v40, v70, v40 dst_sel:DWORD dst_unused:UNUSED_PAD src0_sel:DWORD src1_sel:BYTE_3
	v_lshl_add_u32 v41, v41, 23, v33
	v_and_or_b32 v40, v40, s11, v41
	v_lshlrev_b32_e32 v16, 20, v16
	v_or_b32_e32 v49, v40, v16
	v_mov_b32_e32 v48, v17
.LBB224_298:                            ;   in Loop: Header=BB224_224 Depth=1
	s_or_b64 exec, exec, s[22:23]
.LBB224_299:                            ;   in Loop: Header=BB224_224 Depth=1
	s_or_b64 exec, exec, s[20:21]
.LBB224_300:                            ;   in Loop: Header=BB224_224 Depth=1
	s_or_b64 exec, exec, s[18:19]
	v_or_b32_e32 v41, v45, v43
	v_or_b32_e32 v40, v44, v42
	;; [unrolled: 1-line block ×4, first 2 shown]
	v_pk_mul_f32 v[40:41], s[12:13], v[40:41]
	v_pk_mul_f32 v[42:43], s[12:13], v[42:43]
	s_and_saveexec_b64 s[18:19], s[0:1]
; %bb.301:                              ;   in Loop: Header=BB224_224 Depth=1
	v_cmp_gt_i32_e64 s[2:3], s33, v71
	v_add_u32_e32 v16, -2, v67
	v_cndmask_b32_e64 v40, 0, v40, s[2:3]
	v_cmp_gt_i32_e64 s[2:3], s33, v16
	v_add_u32_e32 v16, -1, v67
	v_cndmask_b32_e64 v41, 0, v41, s[2:3]
	v_cmp_gt_i32_e64 s[2:3], s33, v16
	v_cndmask_b32_e64 v42, 0, v42, s[2:3]
	v_cmp_gt_i32_e64 s[2:3], s33, v67
	v_cndmask_b32_e64 v43, 0, v43, s[2:3]
; %bb.302:                              ;   in Loop: Header=BB224_224 Depth=1
	s_or_b64 exec, exec, s[18:19]
	global_load_dword v44, v[38:39], off offset:768
	v_pk_mov_b32 v[48:49], 0, 0
	v_pk_mov_b32 v[46:47], v[48:49], v[48:49] op_sel:[0,1]
	s_waitcnt vmcnt(0)
	v_cmp_ne_u16_sdwa s[2:3], v44, v17 src0_sel:BYTE_0 src1_sel:DWORD
	s_and_saveexec_b64 s[18:19], s[2:3]
	s_cbranch_execz .LBB224_308
; %bb.303:                              ;   in Loop: Header=BB224_224 Depth=1
	v_bfrev_b32_e32 v46, 1
	v_cmp_ne_u16_sdwa s[2:3], v44, s9 src0_sel:BYTE_0 src1_sel:DWORD
	v_mov_b32_e32 v47, 0
	s_and_saveexec_b64 s[20:21], s[2:3]
	s_cbranch_execz .LBB224_307
; %bb.304:                              ;   in Loop: Header=BB224_224 Depth=1
	v_and_b32_e32 v16, 0x7f, v44
	v_mov_b32_e32 v46, 0x7f800001
	v_cmp_ne_u32_e64 s[2:3], s30, v16
	v_mov_b32_e32 v47, 0
	s_and_saveexec_b64 s[22:23], s[2:3]
	s_cbranch_execz .LBB224_306
; %bb.305:                              ;   in Loop: Header=BB224_224 Depth=1
	v_and_b32_e32 v45, 7, v44
	v_ffbh_u32_e32 v46, v45
	v_min_u32_e32 v51, 32, v46
	v_subrev_u32_e32 v46, 28, v51
	v_lshlrev_b64 v[46:47], v46, v[44:45]
	v_lshrrev_b32_e32 v50, 3, v16
	v_sub_u32_e32 v47, 29, v51
	v_and_b32_e32 v46, 7, v46
	v_cmp_gt_u32_e64 s[2:3], 8, v16
	v_cndmask_b32_e64 v16, v50, v47, s[2:3]
	v_cndmask_b32_e64 v45, v45, v46, s[2:3]
	v_lshlrev_b32_e32 v45, 20, v45
	v_and_b32_sdwa v46, sext(v44), s11 dst_sel:DWORD dst_unused:UNUSED_PAD src0_sel:BYTE_0 src1_sel:DWORD
	v_lshl_add_u32 v16, v16, 23, v33
	v_or3_b32 v16, v46, v16, v45
	v_pk_mov_b32 v[46:47], v[16:17], v[16:17] op_sel:[0,1]
.LBB224_306:                            ;   in Loop: Header=BB224_224 Depth=1
	s_or_b64 exec, exec, s[22:23]
.LBB224_307:                            ;   in Loop: Header=BB224_224 Depth=1
	s_or_b64 exec, exec, s[20:21]
.LBB224_308:                            ;   in Loop: Header=BB224_224 Depth=1
	s_or_b64 exec, exec, s[18:19]
	v_cmp_ne_u16_sdwa s[2:3], v44, v17 src0_sel:BYTE_1 src1_sel:DWORD
	s_and_saveexec_b64 s[18:19], s[2:3]
	s_cbranch_execz .LBB224_314
; %bb.309:                              ;   in Loop: Header=BB224_224 Depth=1
	v_cmp_ne_u16_sdwa s[2:3], v44, s9 src0_sel:BYTE_1 src1_sel:DWORD
	v_pk_mov_b32 v[48:49], s[10:11], s[10:11] op_sel:[0,1]
	s_and_saveexec_b64 s[20:21], s[2:3]
	s_cbranch_execz .LBB224_313
; %bb.310:                              ;   in Loop: Header=BB224_224 Depth=1
	v_and_b32_sdwa v45, v44, s30 dst_sel:DWORD dst_unused:UNUSED_PAD src0_sel:BYTE_1 src1_sel:DWORD
	s_mov_b32 s16, s10
	v_cmp_ne_u32_e64 s[2:3], s30, v45
	v_pk_mov_b32 v[48:49], s[16:17], s[16:17] op_sel:[0,1]
	s_and_saveexec_b64 s[22:23], s[2:3]
	s_cbranch_execz .LBB224_312
; %bb.311:                              ;   in Loop: Header=BB224_224 Depth=1
	v_and_b32_sdwa v16, v44, v69 dst_sel:DWORD dst_unused:UNUSED_PAD src0_sel:BYTE_1 src1_sel:DWORD
	v_ffbh_u32_e32 v48, v16
	v_min_u32_e32 v51, 32, v48
	v_subrev_u32_e32 v48, 28, v51
	v_lshlrev_b64 v[48:49], v48, v[16:17]
	v_lshrrev_b32_e32 v50, 3, v45
	v_sub_u32_e32 v49, 29, v51
	v_cmp_gt_u32_e64 s[2:3], 8, v45
	v_and_b32_e32 v48, 7, v48
	v_cndmask_b32_e64 v45, v50, v49, s[2:3]
	v_cndmask_b32_e64 v16, v16, v48, s[2:3]
	v_lshlrev_b32_e32 v48, 16, v44
	v_lshl_add_u32 v45, v45, 23, v33
	v_and_or_b32 v45, v48, s11, v45
	v_lshlrev_b32_e32 v16, 20, v16
	v_or_b32_e32 v49, v45, v16
	v_mov_b32_e32 v48, v17
.LBB224_312:                            ;   in Loop: Header=BB224_224 Depth=1
	s_or_b64 exec, exec, s[22:23]
.LBB224_313:                            ;   in Loop: Header=BB224_224 Depth=1
	s_or_b64 exec, exec, s[20:21]
.LBB224_314:                            ;   in Loop: Header=BB224_224 Depth=1
	s_or_b64 exec, exec, s[18:19]
	v_lshrrev_b32_e32 v16, 16, v44
	v_pk_mov_b32 v[52:53], 0, 0
	v_cmp_ne_u16_sdwa s[2:3], v16, v17 src0_sel:BYTE_0 src1_sel:DWORD
	v_pk_mov_b32 v[50:51], v[52:53], v[52:53] op_sel:[0,1]
	s_and_saveexec_b64 s[18:19], s[2:3]
	s_cbranch_execz .LBB224_320
; %bb.315:                              ;   in Loop: Header=BB224_224 Depth=1
	v_bfrev_b32_e32 v50, 1
	v_cmp_ne_u16_sdwa s[2:3], v16, s9 src0_sel:BYTE_0 src1_sel:DWORD
	v_mov_b32_e32 v51, 0
	s_and_saveexec_b64 s[20:21], s[2:3]
	s_cbranch_execz .LBB224_319
; %bb.316:                              ;   in Loop: Header=BB224_224 Depth=1
	v_bfe_u32 v45, v44, 16, 7
	v_mov_b32_e32 v50, 0x7f800001
	v_cmp_ne_u32_e64 s[2:3], s30, v45
	v_mov_b32_e32 v51, 0
	s_and_saveexec_b64 s[22:23], s[2:3]
	s_cbranch_execz .LBB224_318
; %bb.317:                              ;   in Loop: Header=BB224_224 Depth=1
	v_and_b32_e32 v54, 7, v16
	v_ffbh_u32_e32 v50, v54
	v_min_u32_e32 v56, 32, v50
	v_subrev_u32_e32 v50, 28, v56
	v_lshlrev_b64 v[50:51], v50, v[16:17]
	v_lshrrev_b32_e32 v55, 3, v45
	v_sub_u32_e32 v51, 29, v56
	v_and_b32_e32 v50, 7, v50
	v_cmp_gt_u32_e64 s[2:3], 8, v45
	v_cndmask_b32_e64 v45, v55, v51, s[2:3]
	v_cndmask_b32_e64 v50, v54, v50, s[2:3]
	v_lshlrev_b32_e32 v50, 20, v50
	v_and_b32_sdwa v16, sext(v16), s11 dst_sel:DWORD dst_unused:UNUSED_PAD src0_sel:BYTE_0 src1_sel:DWORD
	v_lshl_add_u32 v45, v45, 23, v33
	v_or3_b32 v16, v16, v45, v50
	v_pk_mov_b32 v[50:51], v[16:17], v[16:17] op_sel:[0,1]
.LBB224_318:                            ;   in Loop: Header=BB224_224 Depth=1
	s_or_b64 exec, exec, s[22:23]
.LBB224_319:                            ;   in Loop: Header=BB224_224 Depth=1
	s_or_b64 exec, exec, s[20:21]
.LBB224_320:                            ;   in Loop: Header=BB224_224 Depth=1
	s_or_b64 exec, exec, s[18:19]
	v_cmp_lt_u32_e64 s[2:3], s31, v44
	s_and_saveexec_b64 s[18:19], s[2:3]
	s_cbranch_execz .LBB224_326
; %bb.321:                              ;   in Loop: Header=BB224_224 Depth=1
	v_cmp_ne_u32_sdwa s[2:3], v44, s9 src0_sel:BYTE_3 src1_sel:DWORD
	v_pk_mov_b32 v[52:53], s[10:11], s[10:11] op_sel:[0,1]
	s_and_saveexec_b64 s[20:21], s[2:3]
	s_cbranch_execz .LBB224_325
; %bb.322:                              ;   in Loop: Header=BB224_224 Depth=1
	v_bfe_u32 v45, v44, 24, 7
	s_mov_b32 s16, s10
	v_cmp_ne_u32_e64 s[2:3], s30, v45
	v_pk_mov_b32 v[52:53], s[16:17], s[16:17] op_sel:[0,1]
	s_and_saveexec_b64 s[22:23], s[2:3]
	s_cbranch_execz .LBB224_324
; %bb.323:                              ;   in Loop: Header=BB224_224 Depth=1
	v_and_b32_sdwa v16, v44, v69 dst_sel:DWORD dst_unused:UNUSED_PAD src0_sel:BYTE_3 src1_sel:DWORD
	v_ffbh_u32_e32 v52, v16
	v_min_u32_e32 v55, 32, v52
	v_subrev_u32_e32 v52, 28, v55
	v_lshlrev_b64 v[52:53], v52, v[16:17]
	v_lshrrev_b32_e32 v54, 3, v45
	v_sub_u32_e32 v53, 29, v55
	v_cmp_gt_u32_e64 s[2:3], 8, v45
	v_and_b32_e32 v52, 7, v52
	v_cndmask_b32_e64 v45, v54, v53, s[2:3]
	v_cndmask_b32_e64 v16, v16, v52, s[2:3]
	v_lshlrev_b32_sdwa v44, v70, v44 dst_sel:DWORD dst_unused:UNUSED_PAD src0_sel:DWORD src1_sel:BYTE_3
	v_lshl_add_u32 v45, v45, 23, v33
	v_and_or_b32 v44, v44, s11, v45
	v_lshlrev_b32_e32 v16, 20, v16
	v_or_b32_e32 v53, v44, v16
	v_mov_b32_e32 v52, v17
.LBB224_324:                            ;   in Loop: Header=BB224_224 Depth=1
	s_or_b64 exec, exec, s[22:23]
.LBB224_325:                            ;   in Loop: Header=BB224_224 Depth=1
	s_or_b64 exec, exec, s[20:21]
.LBB224_326:                            ;   in Loop: Header=BB224_224 Depth=1
	s_or_b64 exec, exec, s[18:19]
	v_or_b32_e32 v45, v49, v47
	v_or_b32_e32 v44, v48, v46
	;; [unrolled: 1-line block ×4, first 2 shown]
	v_pk_mul_f32 v[44:45], s[12:13], v[44:45]
	v_pk_mul_f32 v[46:47], s[12:13], v[46:47]
	s_and_saveexec_b64 s[18:19], s[0:1]
; %bb.327:                              ;   in Loop: Header=BB224_224 Depth=1
	v_cmp_gt_i32_e64 s[2:3], s33, v71
	v_add_u32_e32 v16, -2, v67
	v_cndmask_b32_e64 v44, 0, v44, s[2:3]
	v_cmp_gt_i32_e64 s[2:3], s33, v16
	v_add_u32_e32 v16, -1, v67
	v_cndmask_b32_e64 v45, 0, v45, s[2:3]
	v_cmp_gt_i32_e64 s[2:3], s33, v16
	v_cndmask_b32_e64 v46, 0, v46, s[2:3]
	v_cmp_gt_i32_e64 s[2:3], s33, v67
	v_cndmask_b32_e64 v47, 0, v47, s[2:3]
; %bb.328:                              ;   in Loop: Header=BB224_224 Depth=1
	s_or_b64 exec, exec, s[18:19]
	global_load_dword v48, v[38:39], off offset:1024
	v_pk_mov_b32 v[52:53], 0, 0
	v_pk_mov_b32 v[50:51], v[52:53], v[52:53] op_sel:[0,1]
	s_waitcnt vmcnt(0)
	v_cmp_ne_u16_sdwa s[2:3], v48, v17 src0_sel:BYTE_0 src1_sel:DWORD
	s_and_saveexec_b64 s[18:19], s[2:3]
	s_cbranch_execz .LBB224_334
; %bb.329:                              ;   in Loop: Header=BB224_224 Depth=1
	v_bfrev_b32_e32 v50, 1
	v_cmp_ne_u16_sdwa s[2:3], v48, s9 src0_sel:BYTE_0 src1_sel:DWORD
	v_mov_b32_e32 v51, 0
	s_and_saveexec_b64 s[20:21], s[2:3]
	s_cbranch_execz .LBB224_333
; %bb.330:                              ;   in Loop: Header=BB224_224 Depth=1
	v_and_b32_e32 v16, 0x7f, v48
	v_mov_b32_e32 v50, 0x7f800001
	v_cmp_ne_u32_e64 s[2:3], s30, v16
	v_mov_b32_e32 v51, 0
	s_and_saveexec_b64 s[22:23], s[2:3]
	s_cbranch_execz .LBB224_332
; %bb.331:                              ;   in Loop: Header=BB224_224 Depth=1
	v_and_b32_e32 v49, 7, v48
	v_ffbh_u32_e32 v50, v49
	v_min_u32_e32 v55, 32, v50
	v_subrev_u32_e32 v50, 28, v55
	v_lshlrev_b64 v[50:51], v50, v[48:49]
	v_lshrrev_b32_e32 v54, 3, v16
	v_sub_u32_e32 v51, 29, v55
	v_and_b32_e32 v50, 7, v50
	v_cmp_gt_u32_e64 s[2:3], 8, v16
	v_cndmask_b32_e64 v16, v54, v51, s[2:3]
	v_cndmask_b32_e64 v49, v49, v50, s[2:3]
	v_lshlrev_b32_e32 v49, 20, v49
	v_and_b32_sdwa v50, sext(v48), s11 dst_sel:DWORD dst_unused:UNUSED_PAD src0_sel:BYTE_0 src1_sel:DWORD
	v_lshl_add_u32 v16, v16, 23, v33
	v_or3_b32 v16, v50, v16, v49
	v_pk_mov_b32 v[50:51], v[16:17], v[16:17] op_sel:[0,1]
.LBB224_332:                            ;   in Loop: Header=BB224_224 Depth=1
	s_or_b64 exec, exec, s[22:23]
.LBB224_333:                            ;   in Loop: Header=BB224_224 Depth=1
	s_or_b64 exec, exec, s[20:21]
.LBB224_334:                            ;   in Loop: Header=BB224_224 Depth=1
	s_or_b64 exec, exec, s[18:19]
	v_cmp_ne_u16_sdwa s[2:3], v48, v17 src0_sel:BYTE_1 src1_sel:DWORD
	s_and_saveexec_b64 s[18:19], s[2:3]
	s_cbranch_execz .LBB224_340
; %bb.335:                              ;   in Loop: Header=BB224_224 Depth=1
	v_cmp_ne_u16_sdwa s[2:3], v48, s9 src0_sel:BYTE_1 src1_sel:DWORD
	v_pk_mov_b32 v[52:53], s[10:11], s[10:11] op_sel:[0,1]
	s_and_saveexec_b64 s[20:21], s[2:3]
	s_cbranch_execz .LBB224_339
; %bb.336:                              ;   in Loop: Header=BB224_224 Depth=1
	v_and_b32_sdwa v49, v48, s30 dst_sel:DWORD dst_unused:UNUSED_PAD src0_sel:BYTE_1 src1_sel:DWORD
	s_mov_b32 s16, s10
	v_cmp_ne_u32_e64 s[2:3], s30, v49
	v_pk_mov_b32 v[52:53], s[16:17], s[16:17] op_sel:[0,1]
	s_and_saveexec_b64 s[22:23], s[2:3]
	s_cbranch_execz .LBB224_338
; %bb.337:                              ;   in Loop: Header=BB224_224 Depth=1
	v_and_b32_sdwa v16, v48, v69 dst_sel:DWORD dst_unused:UNUSED_PAD src0_sel:BYTE_1 src1_sel:DWORD
	v_ffbh_u32_e32 v52, v16
	v_min_u32_e32 v55, 32, v52
	v_subrev_u32_e32 v52, 28, v55
	v_lshlrev_b64 v[52:53], v52, v[16:17]
	v_lshrrev_b32_e32 v54, 3, v49
	v_sub_u32_e32 v53, 29, v55
	v_cmp_gt_u32_e64 s[2:3], 8, v49
	v_and_b32_e32 v52, 7, v52
	v_cndmask_b32_e64 v49, v54, v53, s[2:3]
	v_cndmask_b32_e64 v16, v16, v52, s[2:3]
	v_lshlrev_b32_e32 v52, 16, v48
	v_lshl_add_u32 v49, v49, 23, v33
	v_and_or_b32 v49, v52, s11, v49
	v_lshlrev_b32_e32 v16, 20, v16
	v_or_b32_e32 v53, v49, v16
	v_mov_b32_e32 v52, v17
.LBB224_338:                            ;   in Loop: Header=BB224_224 Depth=1
	s_or_b64 exec, exec, s[22:23]
.LBB224_339:                            ;   in Loop: Header=BB224_224 Depth=1
	s_or_b64 exec, exec, s[20:21]
.LBB224_340:                            ;   in Loop: Header=BB224_224 Depth=1
	s_or_b64 exec, exec, s[18:19]
	v_lshrrev_b32_e32 v16, 16, v48
	v_pk_mov_b32 v[56:57], 0, 0
	v_cmp_ne_u16_sdwa s[2:3], v16, v17 src0_sel:BYTE_0 src1_sel:DWORD
	v_pk_mov_b32 v[54:55], v[56:57], v[56:57] op_sel:[0,1]
	s_and_saveexec_b64 s[18:19], s[2:3]
	s_cbranch_execz .LBB224_346
; %bb.341:                              ;   in Loop: Header=BB224_224 Depth=1
	v_bfrev_b32_e32 v54, 1
	v_cmp_ne_u16_sdwa s[2:3], v16, s9 src0_sel:BYTE_0 src1_sel:DWORD
	v_mov_b32_e32 v55, 0
	s_and_saveexec_b64 s[20:21], s[2:3]
	s_cbranch_execz .LBB224_345
; %bb.342:                              ;   in Loop: Header=BB224_224 Depth=1
	v_bfe_u32 v49, v48, 16, 7
	v_mov_b32_e32 v54, 0x7f800001
	v_cmp_ne_u32_e64 s[2:3], s30, v49
	v_mov_b32_e32 v55, 0
	s_and_saveexec_b64 s[22:23], s[2:3]
	s_cbranch_execz .LBB224_344
; %bb.343:                              ;   in Loop: Header=BB224_224 Depth=1
	v_and_b32_e32 v58, 7, v16
	v_ffbh_u32_e32 v54, v58
	v_min_u32_e32 v60, 32, v54
	v_subrev_u32_e32 v54, 28, v60
	v_lshlrev_b64 v[54:55], v54, v[16:17]
	v_lshrrev_b32_e32 v59, 3, v49
	v_sub_u32_e32 v55, 29, v60
	v_and_b32_e32 v54, 7, v54
	v_cmp_gt_u32_e64 s[2:3], 8, v49
	v_cndmask_b32_e64 v49, v59, v55, s[2:3]
	v_cndmask_b32_e64 v54, v58, v54, s[2:3]
	v_lshlrev_b32_e32 v54, 20, v54
	v_and_b32_sdwa v16, sext(v16), s11 dst_sel:DWORD dst_unused:UNUSED_PAD src0_sel:BYTE_0 src1_sel:DWORD
	v_lshl_add_u32 v49, v49, 23, v33
	v_or3_b32 v16, v16, v49, v54
	v_pk_mov_b32 v[54:55], v[16:17], v[16:17] op_sel:[0,1]
.LBB224_344:                            ;   in Loop: Header=BB224_224 Depth=1
	s_or_b64 exec, exec, s[22:23]
.LBB224_345:                            ;   in Loop: Header=BB224_224 Depth=1
	s_or_b64 exec, exec, s[20:21]
.LBB224_346:                            ;   in Loop: Header=BB224_224 Depth=1
	s_or_b64 exec, exec, s[18:19]
	v_cmp_lt_u32_e64 s[2:3], s31, v48
	s_and_saveexec_b64 s[18:19], s[2:3]
	s_cbranch_execz .LBB224_352
; %bb.347:                              ;   in Loop: Header=BB224_224 Depth=1
	v_cmp_ne_u32_sdwa s[2:3], v48, s9 src0_sel:BYTE_3 src1_sel:DWORD
	v_pk_mov_b32 v[56:57], s[10:11], s[10:11] op_sel:[0,1]
	s_and_saveexec_b64 s[20:21], s[2:3]
	s_cbranch_execz .LBB224_351
; %bb.348:                              ;   in Loop: Header=BB224_224 Depth=1
	v_bfe_u32 v49, v48, 24, 7
	s_mov_b32 s16, s10
	v_cmp_ne_u32_e64 s[2:3], s30, v49
	v_pk_mov_b32 v[56:57], s[16:17], s[16:17] op_sel:[0,1]
	s_and_saveexec_b64 s[22:23], s[2:3]
	s_cbranch_execz .LBB224_350
; %bb.349:                              ;   in Loop: Header=BB224_224 Depth=1
	v_and_b32_sdwa v16, v48, v69 dst_sel:DWORD dst_unused:UNUSED_PAD src0_sel:BYTE_3 src1_sel:DWORD
	v_ffbh_u32_e32 v56, v16
	v_min_u32_e32 v59, 32, v56
	v_subrev_u32_e32 v56, 28, v59
	v_lshlrev_b64 v[56:57], v56, v[16:17]
	v_lshrrev_b32_e32 v58, 3, v49
	v_sub_u32_e32 v57, 29, v59
	v_cmp_gt_u32_e64 s[2:3], 8, v49
	v_and_b32_e32 v56, 7, v56
	v_cndmask_b32_e64 v49, v58, v57, s[2:3]
	v_cndmask_b32_e64 v16, v16, v56, s[2:3]
	v_lshlrev_b32_sdwa v48, v70, v48 dst_sel:DWORD dst_unused:UNUSED_PAD src0_sel:DWORD src1_sel:BYTE_3
	v_lshl_add_u32 v49, v49, 23, v33
	v_and_or_b32 v48, v48, s11, v49
	v_lshlrev_b32_e32 v16, 20, v16
	v_or_b32_e32 v57, v48, v16
	v_mov_b32_e32 v56, v17
.LBB224_350:                            ;   in Loop: Header=BB224_224 Depth=1
	s_or_b64 exec, exec, s[22:23]
.LBB224_351:                            ;   in Loop: Header=BB224_224 Depth=1
	s_or_b64 exec, exec, s[20:21]
.LBB224_352:                            ;   in Loop: Header=BB224_224 Depth=1
	s_or_b64 exec, exec, s[18:19]
	v_or_b32_e32 v49, v53, v51
	v_or_b32_e32 v48, v52, v50
	;; [unrolled: 1-line block ×4, first 2 shown]
	v_pk_mul_f32 v[48:49], s[12:13], v[48:49]
	v_pk_mul_f32 v[50:51], s[12:13], v[50:51]
	s_and_saveexec_b64 s[18:19], s[0:1]
; %bb.353:                              ;   in Loop: Header=BB224_224 Depth=1
	v_cmp_gt_i32_e64 s[2:3], s33, v71
	v_add_u32_e32 v16, -2, v67
	v_cndmask_b32_e64 v48, 0, v48, s[2:3]
	v_cmp_gt_i32_e64 s[2:3], s33, v16
	v_add_u32_e32 v16, -1, v67
	v_cndmask_b32_e64 v49, 0, v49, s[2:3]
	v_cmp_gt_i32_e64 s[2:3], s33, v16
	v_cndmask_b32_e64 v50, 0, v50, s[2:3]
	v_cmp_gt_i32_e64 s[2:3], s33, v67
	v_cndmask_b32_e64 v51, 0, v51, s[2:3]
; %bb.354:                              ;   in Loop: Header=BB224_224 Depth=1
	s_or_b64 exec, exec, s[18:19]
	global_load_dword v52, v[38:39], off offset:1280
	v_pk_mov_b32 v[56:57], 0, 0
	v_pk_mov_b32 v[54:55], v[56:57], v[56:57] op_sel:[0,1]
	s_waitcnt vmcnt(0)
	v_cmp_ne_u16_sdwa s[2:3], v52, v17 src0_sel:BYTE_0 src1_sel:DWORD
	s_and_saveexec_b64 s[18:19], s[2:3]
	s_cbranch_execz .LBB224_360
; %bb.355:                              ;   in Loop: Header=BB224_224 Depth=1
	v_bfrev_b32_e32 v54, 1
	v_cmp_ne_u16_sdwa s[2:3], v52, s9 src0_sel:BYTE_0 src1_sel:DWORD
	v_mov_b32_e32 v55, 0
	s_and_saveexec_b64 s[20:21], s[2:3]
	s_cbranch_execz .LBB224_359
; %bb.356:                              ;   in Loop: Header=BB224_224 Depth=1
	v_and_b32_e32 v16, 0x7f, v52
	v_mov_b32_e32 v54, 0x7f800001
	v_cmp_ne_u32_e64 s[2:3], s30, v16
	v_mov_b32_e32 v55, 0
	s_and_saveexec_b64 s[22:23], s[2:3]
	s_cbranch_execz .LBB224_358
; %bb.357:                              ;   in Loop: Header=BB224_224 Depth=1
	v_and_b32_e32 v53, 7, v52
	v_ffbh_u32_e32 v54, v53
	v_min_u32_e32 v59, 32, v54
	v_subrev_u32_e32 v54, 28, v59
	v_lshlrev_b64 v[54:55], v54, v[52:53]
	v_lshrrev_b32_e32 v58, 3, v16
	v_sub_u32_e32 v55, 29, v59
	v_and_b32_e32 v54, 7, v54
	v_cmp_gt_u32_e64 s[2:3], 8, v16
	v_cndmask_b32_e64 v16, v58, v55, s[2:3]
	v_cndmask_b32_e64 v53, v53, v54, s[2:3]
	v_lshlrev_b32_e32 v53, 20, v53
	v_and_b32_sdwa v54, sext(v52), s11 dst_sel:DWORD dst_unused:UNUSED_PAD src0_sel:BYTE_0 src1_sel:DWORD
	v_lshl_add_u32 v16, v16, 23, v33
	v_or3_b32 v16, v54, v16, v53
	v_pk_mov_b32 v[54:55], v[16:17], v[16:17] op_sel:[0,1]
.LBB224_358:                            ;   in Loop: Header=BB224_224 Depth=1
	s_or_b64 exec, exec, s[22:23]
.LBB224_359:                            ;   in Loop: Header=BB224_224 Depth=1
	s_or_b64 exec, exec, s[20:21]
.LBB224_360:                            ;   in Loop: Header=BB224_224 Depth=1
	s_or_b64 exec, exec, s[18:19]
	v_cmp_ne_u16_sdwa s[2:3], v52, v17 src0_sel:BYTE_1 src1_sel:DWORD
	s_and_saveexec_b64 s[18:19], s[2:3]
	s_cbranch_execz .LBB224_366
; %bb.361:                              ;   in Loop: Header=BB224_224 Depth=1
	v_cmp_ne_u16_sdwa s[2:3], v52, s9 src0_sel:BYTE_1 src1_sel:DWORD
	v_pk_mov_b32 v[56:57], s[10:11], s[10:11] op_sel:[0,1]
	s_and_saveexec_b64 s[20:21], s[2:3]
	s_cbranch_execz .LBB224_365
; %bb.362:                              ;   in Loop: Header=BB224_224 Depth=1
	v_and_b32_sdwa v53, v52, s30 dst_sel:DWORD dst_unused:UNUSED_PAD src0_sel:BYTE_1 src1_sel:DWORD
	s_mov_b32 s16, s10
	v_cmp_ne_u32_e64 s[2:3], s30, v53
	v_pk_mov_b32 v[56:57], s[16:17], s[16:17] op_sel:[0,1]
	s_and_saveexec_b64 s[22:23], s[2:3]
	s_cbranch_execz .LBB224_364
; %bb.363:                              ;   in Loop: Header=BB224_224 Depth=1
	v_and_b32_sdwa v16, v52, v69 dst_sel:DWORD dst_unused:UNUSED_PAD src0_sel:BYTE_1 src1_sel:DWORD
	v_ffbh_u32_e32 v56, v16
	v_min_u32_e32 v59, 32, v56
	v_subrev_u32_e32 v56, 28, v59
	v_lshlrev_b64 v[56:57], v56, v[16:17]
	v_lshrrev_b32_e32 v58, 3, v53
	v_sub_u32_e32 v57, 29, v59
	v_cmp_gt_u32_e64 s[2:3], 8, v53
	v_and_b32_e32 v56, 7, v56
	v_cndmask_b32_e64 v53, v58, v57, s[2:3]
	v_cndmask_b32_e64 v16, v16, v56, s[2:3]
	v_lshlrev_b32_e32 v56, 16, v52
	v_lshl_add_u32 v53, v53, 23, v33
	v_and_or_b32 v53, v56, s11, v53
	v_lshlrev_b32_e32 v16, 20, v16
	v_or_b32_e32 v57, v53, v16
	v_mov_b32_e32 v56, v17
.LBB224_364:                            ;   in Loop: Header=BB224_224 Depth=1
	s_or_b64 exec, exec, s[22:23]
.LBB224_365:                            ;   in Loop: Header=BB224_224 Depth=1
	s_or_b64 exec, exec, s[20:21]
.LBB224_366:                            ;   in Loop: Header=BB224_224 Depth=1
	s_or_b64 exec, exec, s[18:19]
	v_lshrrev_b32_e32 v16, 16, v52
	v_pk_mov_b32 v[60:61], 0, 0
	v_cmp_ne_u16_sdwa s[2:3], v16, v17 src0_sel:BYTE_0 src1_sel:DWORD
	v_pk_mov_b32 v[58:59], v[60:61], v[60:61] op_sel:[0,1]
	s_and_saveexec_b64 s[18:19], s[2:3]
	s_cbranch_execz .LBB224_372
; %bb.367:                              ;   in Loop: Header=BB224_224 Depth=1
	v_bfrev_b32_e32 v58, 1
	v_cmp_ne_u16_sdwa s[2:3], v16, s9 src0_sel:BYTE_0 src1_sel:DWORD
	v_mov_b32_e32 v59, 0
	s_and_saveexec_b64 s[20:21], s[2:3]
	s_cbranch_execz .LBB224_371
; %bb.368:                              ;   in Loop: Header=BB224_224 Depth=1
	v_bfe_u32 v53, v52, 16, 7
	v_mov_b32_e32 v58, 0x7f800001
	v_cmp_ne_u32_e64 s[2:3], s30, v53
	v_mov_b32_e32 v59, 0
	s_and_saveexec_b64 s[22:23], s[2:3]
	s_cbranch_execz .LBB224_370
; %bb.369:                              ;   in Loop: Header=BB224_224 Depth=1
	v_and_b32_e32 v62, 7, v16
	v_ffbh_u32_e32 v58, v62
	v_min_u32_e32 v64, 32, v58
	v_subrev_u32_e32 v58, 28, v64
	v_lshlrev_b64 v[58:59], v58, v[16:17]
	v_lshrrev_b32_e32 v63, 3, v53
	v_sub_u32_e32 v59, 29, v64
	v_and_b32_e32 v58, 7, v58
	v_cmp_gt_u32_e64 s[2:3], 8, v53
	v_cndmask_b32_e64 v53, v63, v59, s[2:3]
	v_cndmask_b32_e64 v58, v62, v58, s[2:3]
	v_lshlrev_b32_e32 v58, 20, v58
	v_and_b32_sdwa v16, sext(v16), s11 dst_sel:DWORD dst_unused:UNUSED_PAD src0_sel:BYTE_0 src1_sel:DWORD
	v_lshl_add_u32 v53, v53, 23, v33
	v_or3_b32 v16, v16, v53, v58
	v_pk_mov_b32 v[58:59], v[16:17], v[16:17] op_sel:[0,1]
.LBB224_370:                            ;   in Loop: Header=BB224_224 Depth=1
	s_or_b64 exec, exec, s[22:23]
.LBB224_371:                            ;   in Loop: Header=BB224_224 Depth=1
	s_or_b64 exec, exec, s[20:21]
.LBB224_372:                            ;   in Loop: Header=BB224_224 Depth=1
	s_or_b64 exec, exec, s[18:19]
	v_cmp_lt_u32_e64 s[2:3], s31, v52
	s_and_saveexec_b64 s[18:19], s[2:3]
	s_cbranch_execz .LBB224_378
; %bb.373:                              ;   in Loop: Header=BB224_224 Depth=1
	v_cmp_ne_u32_sdwa s[2:3], v52, s9 src0_sel:BYTE_3 src1_sel:DWORD
	v_pk_mov_b32 v[60:61], s[10:11], s[10:11] op_sel:[0,1]
	s_and_saveexec_b64 s[20:21], s[2:3]
	s_cbranch_execz .LBB224_377
; %bb.374:                              ;   in Loop: Header=BB224_224 Depth=1
	v_bfe_u32 v53, v52, 24, 7
	s_mov_b32 s16, s10
	v_cmp_ne_u32_e64 s[2:3], s30, v53
	v_pk_mov_b32 v[60:61], s[16:17], s[16:17] op_sel:[0,1]
	s_and_saveexec_b64 s[22:23], s[2:3]
	s_cbranch_execz .LBB224_376
; %bb.375:                              ;   in Loop: Header=BB224_224 Depth=1
	v_and_b32_sdwa v16, v52, v69 dst_sel:DWORD dst_unused:UNUSED_PAD src0_sel:BYTE_3 src1_sel:DWORD
	v_ffbh_u32_e32 v60, v16
	v_min_u32_e32 v63, 32, v60
	v_subrev_u32_e32 v60, 28, v63
	v_lshlrev_b64 v[60:61], v60, v[16:17]
	v_lshrrev_b32_e32 v62, 3, v53
	v_sub_u32_e32 v61, 29, v63
	v_cmp_gt_u32_e64 s[2:3], 8, v53
	v_and_b32_e32 v60, 7, v60
	v_cndmask_b32_e64 v53, v62, v61, s[2:3]
	v_cndmask_b32_e64 v16, v16, v60, s[2:3]
	v_lshlrev_b32_sdwa v52, v70, v52 dst_sel:DWORD dst_unused:UNUSED_PAD src0_sel:DWORD src1_sel:BYTE_3
	v_lshl_add_u32 v53, v53, 23, v33
	v_and_or_b32 v52, v52, s11, v53
	v_lshlrev_b32_e32 v16, 20, v16
	v_or_b32_e32 v61, v52, v16
	v_mov_b32_e32 v60, v17
.LBB224_376:                            ;   in Loop: Header=BB224_224 Depth=1
	s_or_b64 exec, exec, s[22:23]
.LBB224_377:                            ;   in Loop: Header=BB224_224 Depth=1
	s_or_b64 exec, exec, s[20:21]
.LBB224_378:                            ;   in Loop: Header=BB224_224 Depth=1
	s_or_b64 exec, exec, s[18:19]
	v_or_b32_e32 v53, v57, v55
	v_or_b32_e32 v52, v56, v54
	;; [unrolled: 1-line block ×4, first 2 shown]
	v_pk_mul_f32 v[52:53], s[12:13], v[52:53]
	v_pk_mul_f32 v[54:55], s[12:13], v[54:55]
	s_and_saveexec_b64 s[18:19], s[0:1]
; %bb.379:                              ;   in Loop: Header=BB224_224 Depth=1
	v_cmp_gt_i32_e64 s[2:3], s33, v71
	v_add_u32_e32 v16, -2, v67
	v_cndmask_b32_e64 v52, 0, v52, s[2:3]
	v_cmp_gt_i32_e64 s[2:3], s33, v16
	v_add_u32_e32 v16, -1, v67
	v_cndmask_b32_e64 v53, 0, v53, s[2:3]
	v_cmp_gt_i32_e64 s[2:3], s33, v16
	v_cndmask_b32_e64 v54, 0, v54, s[2:3]
	v_cmp_gt_i32_e64 s[2:3], s33, v67
	v_cndmask_b32_e64 v55, 0, v55, s[2:3]
; %bb.380:                              ;   in Loop: Header=BB224_224 Depth=1
	s_or_b64 exec, exec, s[18:19]
	global_load_dword v38, v[38:39], off offset:1536
	v_pk_mov_b32 v[58:59], 0, 0
	v_pk_mov_b32 v[56:57], v[58:59], v[58:59] op_sel:[0,1]
	s_waitcnt vmcnt(0)
	v_cmp_ne_u16_sdwa s[2:3], v38, v17 src0_sel:BYTE_0 src1_sel:DWORD
	s_and_saveexec_b64 s[18:19], s[2:3]
	s_cbranch_execz .LBB224_386
; %bb.381:                              ;   in Loop: Header=BB224_224 Depth=1
	v_bfrev_b32_e32 v56, 1
	v_cmp_ne_u16_sdwa s[2:3], v38, s9 src0_sel:BYTE_0 src1_sel:DWORD
	v_mov_b32_e32 v57, 0
	s_and_saveexec_b64 s[20:21], s[2:3]
	s_cbranch_execz .LBB224_385
; %bb.382:                              ;   in Loop: Header=BB224_224 Depth=1
	v_and_b32_e32 v16, 0x7f, v38
	v_mov_b32_e32 v56, 0x7f800001
	v_cmp_ne_u32_e64 s[2:3], s30, v16
	v_mov_b32_e32 v57, 0
	s_and_saveexec_b64 s[22:23], s[2:3]
	s_cbranch_execz .LBB224_384
; %bb.383:                              ;   in Loop: Header=BB224_224 Depth=1
	v_and_b32_e32 v39, 7, v38
	v_ffbh_u32_e32 v56, v39
	v_min_u32_e32 v61, 32, v56
	v_subrev_u32_e32 v56, 28, v61
	v_lshlrev_b64 v[56:57], v56, v[38:39]
	v_lshrrev_b32_e32 v60, 3, v16
	v_sub_u32_e32 v57, 29, v61
	v_and_b32_e32 v56, 7, v56
	v_cmp_gt_u32_e64 s[2:3], 8, v16
	v_cndmask_b32_e64 v16, v60, v57, s[2:3]
	v_cndmask_b32_e64 v39, v39, v56, s[2:3]
	v_lshlrev_b32_e32 v39, 20, v39
	v_and_b32_sdwa v56, sext(v38), s11 dst_sel:DWORD dst_unused:UNUSED_PAD src0_sel:BYTE_0 src1_sel:DWORD
	v_lshl_add_u32 v16, v16, 23, v33
	v_or3_b32 v16, v56, v16, v39
	v_pk_mov_b32 v[56:57], v[16:17], v[16:17] op_sel:[0,1]
.LBB224_384:                            ;   in Loop: Header=BB224_224 Depth=1
	s_or_b64 exec, exec, s[22:23]
.LBB224_385:                            ;   in Loop: Header=BB224_224 Depth=1
	s_or_b64 exec, exec, s[20:21]
.LBB224_386:                            ;   in Loop: Header=BB224_224 Depth=1
	s_or_b64 exec, exec, s[18:19]
	v_cmp_ne_u16_sdwa s[2:3], v38, v17 src0_sel:BYTE_1 src1_sel:DWORD
	s_and_saveexec_b64 s[18:19], s[2:3]
	s_cbranch_execz .LBB224_392
; %bb.387:                              ;   in Loop: Header=BB224_224 Depth=1
	v_cmp_ne_u16_sdwa s[2:3], v38, s9 src0_sel:BYTE_1 src1_sel:DWORD
	v_pk_mov_b32 v[58:59], s[10:11], s[10:11] op_sel:[0,1]
	s_and_saveexec_b64 s[20:21], s[2:3]
	s_cbranch_execz .LBB224_391
; %bb.388:                              ;   in Loop: Header=BB224_224 Depth=1
	v_and_b32_sdwa v39, v38, s30 dst_sel:DWORD dst_unused:UNUSED_PAD src0_sel:BYTE_1 src1_sel:DWORD
	s_mov_b32 s16, s10
	v_cmp_ne_u32_e64 s[2:3], s30, v39
	v_pk_mov_b32 v[58:59], s[16:17], s[16:17] op_sel:[0,1]
	s_and_saveexec_b64 s[22:23], s[2:3]
	s_cbranch_execz .LBB224_390
; %bb.389:                              ;   in Loop: Header=BB224_224 Depth=1
	v_and_b32_sdwa v16, v38, v69 dst_sel:DWORD dst_unused:UNUSED_PAD src0_sel:BYTE_1 src1_sel:DWORD
	v_ffbh_u32_e32 v58, v16
	v_min_u32_e32 v61, 32, v58
	v_subrev_u32_e32 v58, 28, v61
	v_lshlrev_b64 v[58:59], v58, v[16:17]
	v_lshrrev_b32_e32 v60, 3, v39
	v_sub_u32_e32 v59, 29, v61
	v_cmp_gt_u32_e64 s[2:3], 8, v39
	v_and_b32_e32 v58, 7, v58
	v_cndmask_b32_e64 v39, v60, v59, s[2:3]
	v_cndmask_b32_e64 v16, v16, v58, s[2:3]
	v_lshlrev_b32_e32 v58, 16, v38
	v_lshl_add_u32 v39, v39, 23, v33
	v_and_or_b32 v39, v58, s11, v39
	v_lshlrev_b32_e32 v16, 20, v16
	v_or_b32_e32 v59, v39, v16
	v_mov_b32_e32 v58, v17
.LBB224_390:                            ;   in Loop: Header=BB224_224 Depth=1
	s_or_b64 exec, exec, s[22:23]
.LBB224_391:                            ;   in Loop: Header=BB224_224 Depth=1
	s_or_b64 exec, exec, s[20:21]
.LBB224_392:                            ;   in Loop: Header=BB224_224 Depth=1
	s_or_b64 exec, exec, s[18:19]
	v_lshrrev_b32_e32 v16, 16, v38
	v_pk_mov_b32 v[62:63], 0, 0
	v_cmp_ne_u16_sdwa s[2:3], v16, v17 src0_sel:BYTE_0 src1_sel:DWORD
	v_pk_mov_b32 v[60:61], v[62:63], v[62:63] op_sel:[0,1]
	s_and_saveexec_b64 s[18:19], s[2:3]
	s_cbranch_execz .LBB224_398
; %bb.393:                              ;   in Loop: Header=BB224_224 Depth=1
	v_bfrev_b32_e32 v60, 1
	v_cmp_ne_u16_sdwa s[2:3], v16, s9 src0_sel:BYTE_0 src1_sel:DWORD
	v_mov_b32_e32 v61, 0
	s_and_saveexec_b64 s[20:21], s[2:3]
	s_cbranch_execz .LBB224_397
; %bb.394:                              ;   in Loop: Header=BB224_224 Depth=1
	v_bfe_u32 v39, v38, 16, 7
	v_mov_b32_e32 v60, 0x7f800001
	v_cmp_ne_u32_e64 s[2:3], s30, v39
	v_mov_b32_e32 v61, 0
	s_and_saveexec_b64 s[22:23], s[2:3]
	s_cbranch_execz .LBB224_396
; %bb.395:                              ;   in Loop: Header=BB224_224 Depth=1
	v_and_b32_e32 v64, 7, v16
	v_ffbh_u32_e32 v60, v64
	v_min_u32_e32 v72, 32, v60
	v_subrev_u32_e32 v60, 28, v72
	v_lshlrev_b64 v[60:61], v60, v[16:17]
	v_lshrrev_b32_e32 v65, 3, v39
	v_sub_u32_e32 v61, 29, v72
	v_and_b32_e32 v60, 7, v60
	v_cmp_gt_u32_e64 s[2:3], 8, v39
	v_cndmask_b32_e64 v39, v65, v61, s[2:3]
	v_cndmask_b32_e64 v60, v64, v60, s[2:3]
	v_lshlrev_b32_e32 v60, 20, v60
	v_and_b32_sdwa v16, sext(v16), s11 dst_sel:DWORD dst_unused:UNUSED_PAD src0_sel:BYTE_0 src1_sel:DWORD
	v_lshl_add_u32 v39, v39, 23, v33
	v_or3_b32 v16, v16, v39, v60
	v_pk_mov_b32 v[60:61], v[16:17], v[16:17] op_sel:[0,1]
.LBB224_396:                            ;   in Loop: Header=BB224_224 Depth=1
	s_or_b64 exec, exec, s[22:23]
.LBB224_397:                            ;   in Loop: Header=BB224_224 Depth=1
	s_or_b64 exec, exec, s[20:21]
.LBB224_398:                            ;   in Loop: Header=BB224_224 Depth=1
	s_or_b64 exec, exec, s[18:19]
	v_cmp_lt_u32_e64 s[2:3], s31, v38
	s_and_saveexec_b64 s[18:19], s[2:3]
	s_cbranch_execz .LBB224_404
; %bb.399:                              ;   in Loop: Header=BB224_224 Depth=1
	v_cmp_ne_u32_sdwa s[2:3], v38, s9 src0_sel:BYTE_3 src1_sel:DWORD
	v_pk_mov_b32 v[62:63], s[10:11], s[10:11] op_sel:[0,1]
	s_and_saveexec_b64 s[20:21], s[2:3]
	s_cbranch_execz .LBB224_403
; %bb.400:                              ;   in Loop: Header=BB224_224 Depth=1
	v_bfe_u32 v39, v38, 24, 7
	s_mov_b32 s16, s10
	v_cmp_ne_u32_e64 s[2:3], s30, v39
	v_pk_mov_b32 v[62:63], s[16:17], s[16:17] op_sel:[0,1]
	s_and_saveexec_b64 s[22:23], s[2:3]
	s_cbranch_execz .LBB224_402
; %bb.401:                              ;   in Loop: Header=BB224_224 Depth=1
	v_and_b32_sdwa v16, v38, v69 dst_sel:DWORD dst_unused:UNUSED_PAD src0_sel:BYTE_3 src1_sel:DWORD
	v_ffbh_u32_e32 v62, v16
	v_min_u32_e32 v65, 32, v62
	v_subrev_u32_e32 v62, 28, v65
	v_lshlrev_b64 v[62:63], v62, v[16:17]
	v_lshrrev_b32_e32 v64, 3, v39
	v_sub_u32_e32 v63, 29, v65
	v_cmp_gt_u32_e64 s[2:3], 8, v39
	v_and_b32_e32 v62, 7, v62
	v_cndmask_b32_e64 v39, v64, v63, s[2:3]
	v_cndmask_b32_e64 v16, v16, v62, s[2:3]
	v_lshlrev_b32_sdwa v38, v70, v38 dst_sel:DWORD dst_unused:UNUSED_PAD src0_sel:DWORD src1_sel:BYTE_3
	v_lshl_add_u32 v39, v39, 23, v33
	v_and_or_b32 v38, v38, s11, v39
	v_lshlrev_b32_e32 v16, 20, v16
	v_or_b32_e32 v63, v38, v16
	v_mov_b32_e32 v62, v17
.LBB224_402:                            ;   in Loop: Header=BB224_224 Depth=1
	s_or_b64 exec, exec, s[22:23]
.LBB224_403:                            ;   in Loop: Header=BB224_224 Depth=1
	s_or_b64 exec, exec, s[20:21]
.LBB224_404:                            ;   in Loop: Header=BB224_224 Depth=1
	s_or_b64 exec, exec, s[18:19]
	v_or_b32_e32 v39, v59, v57
	v_or_b32_e32 v38, v58, v56
	;; [unrolled: 1-line block ×4, first 2 shown]
	v_pk_mul_f32 v[38:39], s[12:13], v[38:39]
	v_pk_mul_f32 v[56:57], s[12:13], v[56:57]
	s_and_saveexec_b64 s[18:19], s[0:1]
; %bb.405:                              ;   in Loop: Header=BB224_224 Depth=1
	v_cmp_gt_i32_e64 s[2:3], s33, v71
	v_add_u32_e32 v16, -2, v67
	v_cndmask_b32_e64 v38, 0, v38, s[2:3]
	v_cmp_gt_i32_e64 s[2:3], s33, v16
	v_add_u32_e32 v16, -1, v67
	v_cndmask_b32_e64 v39, 0, v39, s[2:3]
	v_cmp_gt_i32_e64 s[2:3], s33, v16
	v_cndmask_b32_e64 v56, 0, v56, s[2:3]
	v_cmp_gt_i32_e64 s[2:3], s33, v67
	v_cndmask_b32_e64 v57, 0, v57, s[2:3]
; %bb.406:                              ;   in Loop: Header=BB224_224 Depth=1
	s_or_b64 exec, exec, s[18:19]
	s_and_saveexec_b64 s[18:19], vcc
	s_cbranch_execz .LBB224_223
; %bb.407:                              ;   in Loop: Header=BB224_224 Depth=1
	v_add_co_u32_e64 v28, s[2:3], v28, v18
	v_addc_co_u32_e64 v29, s[2:3], 0, v29, s[2:3]
	global_load_dword v28, v[28:29], off
	v_pk_mov_b32 v[60:61], 0, 0
	v_pk_mov_b32 v[58:59], v[60:61], v[60:61] op_sel:[0,1]
	s_waitcnt vmcnt(0)
	v_cmp_ne_u16_sdwa s[2:3], v28, v17 src0_sel:BYTE_0 src1_sel:DWORD
	s_and_saveexec_b64 s[20:21], s[2:3]
	s_cbranch_execz .LBB224_413
; %bb.408:                              ;   in Loop: Header=BB224_224 Depth=1
	v_bfrev_b32_e32 v58, 1
	v_cmp_ne_u16_sdwa s[2:3], v28, s9 src0_sel:BYTE_0 src1_sel:DWORD
	v_mov_b32_e32 v59, 0
	s_and_saveexec_b64 s[22:23], s[2:3]
	s_cbranch_execz .LBB224_412
; %bb.409:                              ;   in Loop: Header=BB224_224 Depth=1
	v_and_b32_e32 v16, 0x7f, v28
	v_mov_b32_e32 v58, 0x7f800001
	v_cmp_ne_u32_e64 s[2:3], s30, v16
	v_mov_b32_e32 v59, 0
	s_and_saveexec_b64 s[28:29], s[2:3]
	s_cbranch_execz .LBB224_411
; %bb.410:                              ;   in Loop: Header=BB224_224 Depth=1
	v_and_b32_e32 v29, 7, v28
	v_ffbh_u32_e32 v58, v29
	v_min_u32_e32 v63, 32, v58
	v_subrev_u32_e32 v58, 28, v63
	v_lshlrev_b64 v[58:59], v58, v[28:29]
	v_lshrrev_b32_e32 v62, 3, v16
	v_sub_u32_e32 v59, 29, v63
	v_and_b32_e32 v58, 7, v58
	v_cmp_gt_u32_e64 s[2:3], 8, v16
	v_cndmask_b32_e64 v16, v62, v59, s[2:3]
	v_cndmask_b32_e64 v29, v29, v58, s[2:3]
	v_lshlrev_b32_e32 v29, 20, v29
	v_and_b32_sdwa v58, sext(v28), s11 dst_sel:DWORD dst_unused:UNUSED_PAD src0_sel:BYTE_0 src1_sel:DWORD
	v_lshl_add_u32 v16, v16, 23, v33
	v_or3_b32 v16, v58, v16, v29
	v_pk_mov_b32 v[58:59], v[16:17], v[16:17] op_sel:[0,1]
.LBB224_411:                            ;   in Loop: Header=BB224_224 Depth=1
	s_or_b64 exec, exec, s[28:29]
.LBB224_412:                            ;   in Loop: Header=BB224_224 Depth=1
	s_or_b64 exec, exec, s[22:23]
.LBB224_413:                            ;   in Loop: Header=BB224_224 Depth=1
	s_or_b64 exec, exec, s[20:21]
	v_cmp_ne_u16_sdwa s[2:3], v28, v17 src0_sel:BYTE_1 src1_sel:DWORD
	s_and_saveexec_b64 s[20:21], s[2:3]
	s_cbranch_execz .LBB224_419
; %bb.414:                              ;   in Loop: Header=BB224_224 Depth=1
	v_cmp_ne_u16_sdwa s[2:3], v28, s9 src0_sel:BYTE_1 src1_sel:DWORD
	v_pk_mov_b32 v[60:61], s[10:11], s[10:11] op_sel:[0,1]
	s_and_saveexec_b64 s[22:23], s[2:3]
	s_cbranch_execz .LBB224_418
; %bb.415:                              ;   in Loop: Header=BB224_224 Depth=1
	v_and_b32_sdwa v29, v28, s30 dst_sel:DWORD dst_unused:UNUSED_PAD src0_sel:BYTE_1 src1_sel:DWORD
	s_mov_b32 s16, s10
	v_cmp_ne_u32_e64 s[2:3], s30, v29
	v_pk_mov_b32 v[60:61], s[16:17], s[16:17] op_sel:[0,1]
	s_and_saveexec_b64 s[28:29], s[2:3]
	s_cbranch_execz .LBB224_417
; %bb.416:                              ;   in Loop: Header=BB224_224 Depth=1
	v_and_b32_sdwa v16, v28, v69 dst_sel:DWORD dst_unused:UNUSED_PAD src0_sel:BYTE_1 src1_sel:DWORD
	v_ffbh_u32_e32 v60, v16
	v_min_u32_e32 v63, 32, v60
	v_subrev_u32_e32 v60, 28, v63
	v_lshlrev_b64 v[60:61], v60, v[16:17]
	v_lshrrev_b32_e32 v62, 3, v29
	v_sub_u32_e32 v61, 29, v63
	v_cmp_gt_u32_e64 s[2:3], 8, v29
	v_and_b32_e32 v60, 7, v60
	v_cndmask_b32_e64 v29, v62, v61, s[2:3]
	v_cndmask_b32_e64 v16, v16, v60, s[2:3]
	v_lshlrev_b32_e32 v60, 16, v28
	v_lshl_add_u32 v29, v29, 23, v33
	v_and_or_b32 v29, v60, s11, v29
	v_lshlrev_b32_e32 v16, 20, v16
	v_or_b32_e32 v61, v29, v16
	v_mov_b32_e32 v60, v17
.LBB224_417:                            ;   in Loop: Header=BB224_224 Depth=1
	s_or_b64 exec, exec, s[28:29]
.LBB224_418:                            ;   in Loop: Header=BB224_224 Depth=1
	s_or_b64 exec, exec, s[22:23]
.LBB224_419:                            ;   in Loop: Header=BB224_224 Depth=1
	s_or_b64 exec, exec, s[20:21]
	v_lshrrev_b32_e32 v16, 16, v28
	v_pk_mov_b32 v[64:65], 0, 0
	v_cmp_ne_u16_sdwa s[2:3], v16, v17 src0_sel:BYTE_0 src1_sel:DWORD
	v_pk_mov_b32 v[62:63], v[64:65], v[64:65] op_sel:[0,1]
	s_and_saveexec_b64 s[20:21], s[2:3]
	s_cbranch_execz .LBB224_425
; %bb.420:                              ;   in Loop: Header=BB224_224 Depth=1
	v_bfrev_b32_e32 v62, 1
	v_cmp_ne_u16_sdwa s[2:3], v16, s9 src0_sel:BYTE_0 src1_sel:DWORD
	v_mov_b32_e32 v63, 0
	s_and_saveexec_b64 s[22:23], s[2:3]
	s_cbranch_execz .LBB224_424
; %bb.421:                              ;   in Loop: Header=BB224_224 Depth=1
	v_bfe_u32 v29, v28, 16, 7
	v_mov_b32_e32 v62, 0x7f800001
	v_cmp_ne_u32_e64 s[2:3], s30, v29
	v_mov_b32_e32 v63, 0
	s_and_saveexec_b64 s[28:29], s[2:3]
	s_cbranch_execz .LBB224_423
; %bb.422:                              ;   in Loop: Header=BB224_224 Depth=1
	v_and_b32_e32 v72, 7, v16
	v_ffbh_u32_e32 v62, v72
	v_min_u32_e32 v74, 32, v62
	v_subrev_u32_e32 v62, 28, v74
	v_lshlrev_b64 v[62:63], v62, v[16:17]
	v_lshrrev_b32_e32 v73, 3, v29
	v_sub_u32_e32 v63, 29, v74
	v_and_b32_e32 v62, 7, v62
	v_cmp_gt_u32_e64 s[2:3], 8, v29
	v_cndmask_b32_e64 v29, v73, v63, s[2:3]
	v_cndmask_b32_e64 v62, v72, v62, s[2:3]
	v_lshlrev_b32_e32 v62, 20, v62
	v_and_b32_sdwa v16, sext(v16), s11 dst_sel:DWORD dst_unused:UNUSED_PAD src0_sel:BYTE_0 src1_sel:DWORD
	v_lshl_add_u32 v29, v29, 23, v33
	v_or3_b32 v16, v16, v29, v62
	v_pk_mov_b32 v[62:63], v[16:17], v[16:17] op_sel:[0,1]
.LBB224_423:                            ;   in Loop: Header=BB224_224 Depth=1
	s_or_b64 exec, exec, s[28:29]
.LBB224_424:                            ;   in Loop: Header=BB224_224 Depth=1
	s_or_b64 exec, exec, s[22:23]
.LBB224_425:                            ;   in Loop: Header=BB224_224 Depth=1
	s_or_b64 exec, exec, s[20:21]
	v_cmp_lt_u32_e64 s[2:3], s31, v28
	s_and_saveexec_b64 s[20:21], s[2:3]
	s_cbranch_execz .LBB224_431
; %bb.426:                              ;   in Loop: Header=BB224_224 Depth=1
	v_cmp_ne_u32_sdwa s[2:3], v28, s9 src0_sel:BYTE_3 src1_sel:DWORD
	v_pk_mov_b32 v[64:65], s[10:11], s[10:11] op_sel:[0,1]
	s_and_saveexec_b64 s[22:23], s[2:3]
	s_cbranch_execz .LBB224_430
; %bb.427:                              ;   in Loop: Header=BB224_224 Depth=1
	v_bfe_u32 v29, v28, 24, 7
	s_mov_b32 s16, s10
	v_cmp_ne_u32_e64 s[2:3], s30, v29
	v_pk_mov_b32 v[64:65], s[16:17], s[16:17] op_sel:[0,1]
	s_and_saveexec_b64 s[28:29], s[2:3]
	s_cbranch_execz .LBB224_429
; %bb.428:                              ;   in Loop: Header=BB224_224 Depth=1
	v_and_b32_sdwa v16, v28, v69 dst_sel:DWORD dst_unused:UNUSED_PAD src0_sel:BYTE_3 src1_sel:DWORD
	v_ffbh_u32_e32 v64, v16
	v_min_u32_e32 v73, 32, v64
	v_subrev_u32_e32 v64, 28, v73
	v_lshlrev_b64 v[64:65], v64, v[16:17]
	v_lshrrev_b32_e32 v72, 3, v29
	v_sub_u32_e32 v65, 29, v73
	v_cmp_gt_u32_e64 s[2:3], 8, v29
	v_and_b32_e32 v64, 7, v64
	v_cndmask_b32_e64 v29, v72, v65, s[2:3]
	v_cndmask_b32_e64 v16, v16, v64, s[2:3]
	v_lshlrev_b32_sdwa v28, v70, v28 dst_sel:DWORD dst_unused:UNUSED_PAD src0_sel:DWORD src1_sel:BYTE_3
	v_lshl_add_u32 v29, v29, 23, v33
	v_and_or_b32 v28, v28, s11, v29
	v_lshlrev_b32_e32 v16, 20, v16
	v_or_b32_e32 v65, v28, v16
	v_mov_b32_e32 v64, v17
.LBB224_429:                            ;   in Loop: Header=BB224_224 Depth=1
	s_or_b64 exec, exec, s[28:29]
.LBB224_430:                            ;   in Loop: Header=BB224_224 Depth=1
	s_or_b64 exec, exec, s[22:23]
.LBB224_431:                            ;   in Loop: Header=BB224_224 Depth=1
	s_or_b64 exec, exec, s[20:21]
	v_or_b32_e32 v29, v61, v59
	v_or_b32_e32 v28, v60, v58
	;; [unrolled: 1-line block ×4, first 2 shown]
	v_pk_mul_f32 v[28:29], s[12:13], v[28:29]
	v_pk_mul_f32 v[58:59], s[12:13], v[58:59]
	s_and_saveexec_b64 s[2:3], s[0:1]
	s_cbranch_execz .LBB224_222
; %bb.432:                              ;   in Loop: Header=BB224_224 Depth=1
	v_cmp_gt_i32_e64 s[0:1], s33, v71
	v_add_u32_e32 v16, -2, v67
	v_cndmask_b32_e64 v28, 0, v28, s[0:1]
	v_cmp_gt_i32_e64 s[0:1], s33, v16
	v_add_u32_e32 v16, -1, v67
	v_cndmask_b32_e64 v29, 0, v29, s[0:1]
	v_cmp_gt_i32_e64 s[0:1], s33, v16
	v_cndmask_b32_e64 v58, 0, v58, s[0:1]
	v_cmp_gt_i32_e64 s[0:1], s33, v67
	v_cndmask_b32_e64 v59, 0, v59, s[0:1]
	s_branch .LBB224_222
.LBB224_433:
	s_or_b64 exec, exec, s[14:15]
.LBB224_434:
	s_or_b64 exec, exec, s[6:7]
	ds_bpermute_b32 v4, v19, v10
	ds_bpermute_b32 v5, v19, v11
	;; [unrolled: 1-line block ×5, first 2 shown]
	s_waitcnt lgkmcnt(0)
	v_pk_add_f32 v[4:5], v[10:11], v[4:5]
	ds_bpermute_b32 v10, v19, v8
	ds_bpermute_b32 v11, v19, v9
	;; [unrolled: 1-line block ×3, first 2 shown]
	v_pk_add_f32 v[2:3], v[12:13], v[2:3]
	ds_bpermute_b32 v16, v15, v4
	ds_bpermute_b32 v17, v15, v5
	s_waitcnt lgkmcnt(3)
	v_pk_add_f32 v[10:11], v[8:9], v[10:11]
	ds_bpermute_b32 v20, v15, v10
	ds_bpermute_b32 v21, v15, v11
	s_waitcnt lgkmcnt(4)
	v_pk_add_f32 v[18:19], v[6:7], v[18:19]
	ds_bpermute_b32 v12, v15, v2
	ds_bpermute_b32 v13, v15, v3
	;; [unrolled: 1-line block ×4, first 2 shown]
	s_waitcnt lgkmcnt(6)
	v_pk_add_f32 v[6:7], v[4:5], v[16:17]
	s_waitcnt lgkmcnt(4)
	v_pk_add_f32 v[4:5], v[10:11], v[20:21]
	v_and_b32_e32 v10, 0x3c0, v0
	s_waitcnt lgkmcnt(2)
	v_pk_add_f32 v[8:9], v[2:3], v[12:13]
	s_waitcnt lgkmcnt(0)
	v_pk_add_f32 v[2:3], v[18:19], v[14:15]
	v_cmp_eq_u32_e32 vcc, 64, v10
	s_barrier
	s_and_saveexec_b64 s[2:3], vcc
	s_cbranch_execz .LBB224_439
; %bb.435:
	v_cmp_eq_u32_e32 vcc, 0, v30
	s_and_saveexec_b64 s[0:1], vcc
	s_cbranch_execz .LBB224_437
; %bb.436:
	v_mov_b32_e32 v10, 0x1f0
	v_lshl_add_u32 v10, v66, 2, v10
	ds_write2_b32 v10, v8, v9 offset1:16
	ds_write2_b32 v10, v6, v7 offset0:32 offset1:48
	ds_write2_b32 v10, v4, v5 offset0:64 offset1:80
	ds_write_b32 v10, v2 offset:384
.LBB224_437:
	s_or_b64 exec, exec, s[0:1]
	v_or_b32_e32 v10, 0x70, v66
	s_movk_i32 s0, 0x78
	v_cmp_gt_u32_e64 s[0:1], s0, v10
	s_and_b64 s[0:1], vcc, s[0:1]
	s_and_b64 exec, exec, s[0:1]
	s_cbranch_execz .LBB224_439
; %bb.438:
	v_mov_b32_e32 v10, 0x1f0
	v_lshl_add_u32 v10, v66, 2, v10
	ds_write_b32 v10, v3 offset:448
.LBB224_439:
	s_or_b64 exec, exec, s[2:3]
	v_cmp_gt_u32_e32 vcc, 64, v0
	s_waitcnt lgkmcnt(0)
	s_barrier
	s_and_saveexec_b64 s[6:7], vcc
	s_cbranch_execz .LBB224_457
; %bb.440:
	v_cmp_eq_u32_e64 s[0:1], 0, v30
	s_and_saveexec_b64 s[2:3], s[0:1]
	s_cbranch_execz .LBB224_442
; %bb.441:
	v_mov_b32_e32 v0, 0x1f0
	v_lshl_add_u32 v0, v31, 2, v0
	ds_read_b32 v0, v0
	s_waitcnt lgkmcnt(0)
	v_add_f32_e32 v8, v8, v0
.LBB224_442:
	s_or_b64 exec, exec, s[2:3]
	v_or_b32_e32 v0, 16, v31
	s_movk_i32 s5, 0x78
	v_cmp_gt_u32_e64 s[2:3], s5, v0
	s_and_b64 s[10:11], s[0:1], s[2:3]
	s_and_saveexec_b64 s[2:3], s[10:11]
	s_cbranch_execz .LBB224_444
; %bb.443:
	v_mov_b32_e32 v0, 0x1f0
	v_lshl_add_u32 v0, v31, 2, v0
	ds_read_b32 v0, v0 offset:64
	s_waitcnt lgkmcnt(0)
	v_add_f32_e32 v9, v9, v0
.LBB224_444:
	s_or_b64 exec, exec, s[2:3]
	v_or_b32_e32 v0, 32, v31
	v_cmp_gt_u32_e64 s[2:3], s5, v0
	s_and_b64 s[10:11], s[0:1], s[2:3]
	s_and_saveexec_b64 s[2:3], s[10:11]
	s_cbranch_execz .LBB224_446
; %bb.445:
	v_mov_b32_e32 v0, 0x1f0
	v_lshl_add_u32 v0, v31, 2, v0
	ds_read_b32 v0, v0 offset:128
	s_waitcnt lgkmcnt(0)
	v_add_f32_e32 v6, v6, v0
.LBB224_446:
	s_or_b64 exec, exec, s[2:3]
	v_or_b32_e32 v0, 48, v31
	;; [unrolled: 13-line block ×6, first 2 shown]
	s_movk_i32 s2, 0x78
	v_cmp_gt_u32_e64 s[2:3], s2, v0
	s_and_b64 s[2:3], s[0:1], s[2:3]
	s_and_saveexec_b64 s[0:1], s[2:3]
	s_cbranch_execz .LBB224_456
; %bb.455:
	v_mov_b32_e32 v0, 0x1f0
	v_lshl_add_u32 v0, v31, 2, v0
	ds_read_b32 v0, v0 offset:448
	s_waitcnt lgkmcnt(0)
	v_add_f32_e32 v3, v3, v0
.LBB224_456:
	s_or_b64 exec, exec, s[0:1]
.LBB224_457:
	s_or_b64 exec, exec, s[6:7]
	s_barrier
	s_and_saveexec_b64 s[0:1], vcc
	s_cbranch_execz .LBB224_474
; %bb.458:
	s_mul_i32 s0, s4, 0x78
	s_ashr_i32 s1, s0, 31
	s_lshl_b64 s[0:1], s[0:1], 2
	s_add_u32 s2, s26, s0
	s_mul_i32 s0, s25, s24
	s_addc_u32 s3, s27, s1
	s_ashr_i32 s1, s0, 31
	s_lshl_b64 s[0:1], s[0:1], 2
	s_add_u32 s2, s2, s0
	s_mul_i32 s0, s8, 0x78
	s_addc_u32 s3, s3, s1
	s_ashr_i32 s1, s0, 31
	s_lshl_b64 s[0:1], s[0:1], 2
	s_add_u32 s2, s2, s0
	s_movk_i32 s5, 0x78
	s_addc_u32 s3, s3, s1
	v_cmp_eq_u32_e32 vcc, 0, v30
	s_and_saveexec_b64 s[0:1], vcc
	s_cbranch_execz .LBB224_460
; %bb.459:
	global_store_dword v1, v8, s[2:3]
.LBB224_460:
	s_or_b64 exec, exec, s[0:1]
	v_or_b32_e32 v0, 16, v31
	v_cmp_gt_u32_e64 s[0:1], s5, v0
	s_and_b64 s[4:5], vcc, s[0:1]
	s_and_saveexec_b64 s[0:1], s[4:5]
	s_cbranch_execz .LBB224_462
; %bb.461:
	global_store_dword v1, v9, s[2:3] offset:64
.LBB224_462:
	s_or_b64 exec, exec, s[0:1]
	v_or_b32_e32 v0, 32, v31
	s_movk_i32 s4, 0x78
	v_cmp_gt_u32_e64 s[0:1], s4, v0
	s_and_b64 s[6:7], vcc, s[0:1]
	s_and_saveexec_b64 s[0:1], s[6:7]
	s_cbranch_execz .LBB224_464
; %bb.463:
	global_store_dword v1, v6, s[2:3] offset:128
.LBB224_464:
	s_or_b64 exec, exec, s[0:1]
	v_or_b32_e32 v0, 48, v31
	v_cmp_gt_u32_e64 s[0:1], s4, v0
	s_and_b64 s[4:5], vcc, s[0:1]
	s_and_saveexec_b64 s[0:1], s[4:5]
	s_cbranch_execz .LBB224_466
; %bb.465:
	global_store_dword v1, v7, s[2:3] offset:192
.LBB224_466:
	s_or_b64 exec, exec, s[0:1]
	v_or_b32_e32 v0, 64, v31
	s_movk_i32 s4, 0x78
	v_cmp_gt_u32_e64 s[0:1], s4, v0
	s_and_b64 s[6:7], vcc, s[0:1]
	s_and_saveexec_b64 s[0:1], s[6:7]
	s_cbranch_execz .LBB224_468
; %bb.467:
	global_store_dword v1, v4, s[2:3] offset:256
.LBB224_468:
	;; [unrolled: 19-line block ×3, first 2 shown]
	s_or_b64 exec, exec, s[0:1]
	v_or_b32_e32 v0, 0x70, v31
	v_cmp_gt_u32_e64 s[0:1], s4, v0
	s_and_b64 s[0:1], vcc, s[0:1]
	s_and_b64 exec, exec, s[0:1]
	s_cbranch_execz .LBB224_474
; %bb.473:
	global_store_dword v1, v3, s[2:3] offset:448
.LBB224_474:
	s_endpgm
	.section	.rodata,"a",@progbits
	.p2align	6, 0x0
	.amdhsa_kernel _ZN4vllm25paged_attention_v2_kernelIfhLi120ELi16ELi128ELNS_18Fp8KVCacheDataTypeE1ELb0ELi512EEEvPfS2_PT_PKS3_PKT0_S9_ifPKiSB_iPKfiiiSD_SD_iiiii
		.amdhsa_group_segment_fixed_size 496
		.amdhsa_private_segment_fixed_size 0
		.amdhsa_kernarg_size 400
		.amdhsa_user_sgpr_count 6
		.amdhsa_user_sgpr_private_segment_buffer 1
		.amdhsa_user_sgpr_dispatch_ptr 0
		.amdhsa_user_sgpr_queue_ptr 0
		.amdhsa_user_sgpr_kernarg_segment_ptr 1
		.amdhsa_user_sgpr_dispatch_id 0
		.amdhsa_user_sgpr_flat_scratch_init 0
		.amdhsa_user_sgpr_kernarg_preload_length 0
		.amdhsa_user_sgpr_kernarg_preload_offset 0
		.amdhsa_user_sgpr_private_segment_size 0
		.amdhsa_uses_dynamic_stack 0
		.amdhsa_system_sgpr_private_segment_wavefront_offset 0
		.amdhsa_system_sgpr_workgroup_id_x 1
		.amdhsa_system_sgpr_workgroup_id_y 1
		.amdhsa_system_sgpr_workgroup_id_z 1
		.amdhsa_system_sgpr_workgroup_info 0
		.amdhsa_system_vgpr_workitem_id 0
		.amdhsa_next_free_vgpr 90
		.amdhsa_next_free_sgpr 51
		.amdhsa_accum_offset 92
		.amdhsa_reserve_vcc 1
		.amdhsa_reserve_flat_scratch 0
		.amdhsa_float_round_mode_32 0
		.amdhsa_float_round_mode_16_64 0
		.amdhsa_float_denorm_mode_32 3
		.amdhsa_float_denorm_mode_16_64 3
		.amdhsa_dx10_clamp 1
		.amdhsa_ieee_mode 1
		.amdhsa_fp16_overflow 0
		.amdhsa_tg_split 0
		.amdhsa_exception_fp_ieee_invalid_op 0
		.amdhsa_exception_fp_denorm_src 0
		.amdhsa_exception_fp_ieee_div_zero 0
		.amdhsa_exception_fp_ieee_overflow 0
		.amdhsa_exception_fp_ieee_underflow 0
		.amdhsa_exception_fp_ieee_inexact 0
		.amdhsa_exception_int_div_zero 0
	.end_amdhsa_kernel
	.section	.text._ZN4vllm25paged_attention_v2_kernelIfhLi120ELi16ELi128ELNS_18Fp8KVCacheDataTypeE1ELb0ELi512EEEvPfS2_PT_PKS3_PKT0_S9_ifPKiSB_iPKfiiiSD_SD_iiiii,"axG",@progbits,_ZN4vllm25paged_attention_v2_kernelIfhLi120ELi16ELi128ELNS_18Fp8KVCacheDataTypeE1ELb0ELi512EEEvPfS2_PT_PKS3_PKT0_S9_ifPKiSB_iPKfiiiSD_SD_iiiii,comdat
.Lfunc_end224:
	.size	_ZN4vllm25paged_attention_v2_kernelIfhLi120ELi16ELi128ELNS_18Fp8KVCacheDataTypeE1ELb0ELi512EEEvPfS2_PT_PKS3_PKT0_S9_ifPKiSB_iPKfiiiSD_SD_iiiii, .Lfunc_end224-_ZN4vllm25paged_attention_v2_kernelIfhLi120ELi16ELi128ELNS_18Fp8KVCacheDataTypeE1ELb0ELi512EEEvPfS2_PT_PKS3_PKT0_S9_ifPKiSB_iPKfiiiSD_SD_iiiii
                                        ; -- End function
	.section	.AMDGPU.csdata,"",@progbits
; Kernel info:
; codeLenInByte = 17148
; NumSgprs: 55
; NumVgprs: 90
; NumAgprs: 0
; TotalNumVgprs: 90
; ScratchSize: 0
; MemoryBound: 0
; FloatMode: 240
; IeeeMode: 1
; LDSByteSize: 496 bytes/workgroup (compile time only)
; SGPRBlocks: 6
; VGPRBlocks: 11
; NumSGPRsForWavesPerEU: 55
; NumVGPRsForWavesPerEU: 90
; AccumOffset: 92
; Occupancy: 5
; WaveLimiterHint : 1
; COMPUTE_PGM_RSRC2:SCRATCH_EN: 0
; COMPUTE_PGM_RSRC2:USER_SGPR: 6
; COMPUTE_PGM_RSRC2:TRAP_HANDLER: 0
; COMPUTE_PGM_RSRC2:TGID_X_EN: 1
; COMPUTE_PGM_RSRC2:TGID_Y_EN: 1
; COMPUTE_PGM_RSRC2:TGID_Z_EN: 1
; COMPUTE_PGM_RSRC2:TIDIG_COMP_CNT: 0
; COMPUTE_PGM_RSRC3_GFX90A:ACCUM_OFFSET: 22
; COMPUTE_PGM_RSRC3_GFX90A:TG_SPLIT: 0
	.section	.text._ZN4vllm25paged_attention_v2_kernelIfhLi128ELi16ELi128ELNS_18Fp8KVCacheDataTypeE1ELb0ELi512EEEvPfS2_PT_PKS3_PKT0_S9_ifPKiSB_iPKfiiiSD_SD_iiiii,"axG",@progbits,_ZN4vllm25paged_attention_v2_kernelIfhLi128ELi16ELi128ELNS_18Fp8KVCacheDataTypeE1ELb0ELi512EEEvPfS2_PT_PKS3_PKT0_S9_ifPKiSB_iPKfiiiSD_SD_iiiii,comdat
	.protected	_ZN4vllm25paged_attention_v2_kernelIfhLi128ELi16ELi128ELNS_18Fp8KVCacheDataTypeE1ELb0ELi512EEEvPfS2_PT_PKS3_PKT0_S9_ifPKiSB_iPKfiiiSD_SD_iiiii ; -- Begin function _ZN4vllm25paged_attention_v2_kernelIfhLi128ELi16ELi128ELNS_18Fp8KVCacheDataTypeE1ELb0ELi512EEEvPfS2_PT_PKS3_PKT0_S9_ifPKiSB_iPKfiiiSD_SD_iiiii
	.globl	_ZN4vllm25paged_attention_v2_kernelIfhLi128ELi16ELi128ELNS_18Fp8KVCacheDataTypeE1ELb0ELi512EEEvPfS2_PT_PKS3_PKT0_S9_ifPKiSB_iPKfiiiSD_SD_iiiii
	.p2align	8
	.type	_ZN4vllm25paged_attention_v2_kernelIfhLi128ELi16ELi128ELNS_18Fp8KVCacheDataTypeE1ELb0ELi512EEEvPfS2_PT_PKS3_PKT0_S9_ifPKiSB_iPKfiiiSD_SD_iiiii,@function
_ZN4vllm25paged_attention_v2_kernelIfhLi128ELi16ELi128ELNS_18Fp8KVCacheDataTypeE1ELb0ELi512EEEvPfS2_PT_PKS3_PKT0_S9_ifPKiSB_iPKfiiiSD_SD_iiiii: ; @_ZN4vllm25paged_attention_v2_kernelIfhLi128ELi16ELi128ELNS_18Fp8KVCacheDataTypeE1ELb0ELi512EEEvPfS2_PT_PKS3_PKT0_S9_ifPKiSB_iPKfiiiSD_SD_iiiii
; %bb.0:
	s_load_dwordx2 s[0:1], s[4:5], 0x40
	s_mov_b32 s28, s7
	s_ashr_i32 s29, s7, 31
	s_lshl_b64 s[2:3], s[28:29], 2
	s_waitcnt lgkmcnt(0)
	s_add_u32 s0, s0, s2
	s_addc_u32 s1, s1, s3
	s_load_dword s29, s[0:1], 0x0
	s_lshl_b32 s44, s8, 9
	s_waitcnt lgkmcnt(0)
	s_cmp_ge_i32 s44, s29
	s_cbranch_scc1 .LBB225_459
; %bb.1:
	s_load_dword s9, s[4:5], 0x90
	s_load_dwordx2 s[10:11], s[4:5], 0x30
	s_mov_b32 s45, 0
	s_waitcnt lgkmcnt(0)
	s_abs_i32 s2, s9
	s_abs_i32 s0, s10
	v_cvt_f32_u32_e32 v1, s0
	s_sub_i32 s3, 0, s0
	s_xor_b32 s1, s9, s10
	s_ashr_i32 s1, s1, 31
	v_rcp_iflag_f32_e32 v1, v1
	v_mul_f32_e32 v1, 0x4f7ffffe, v1
	v_cvt_u32_f32_e32 v1, v1
	v_readfirstlane_b32 s7, v1
	s_mul_i32 s3, s3, s7
	s_mul_hi_u32 s3, s7, s3
	s_add_i32 s7, s7, s3
	s_mul_hi_u32 s3, s2, s7
	s_mul_i32 s7, s3, s0
	s_sub_i32 s2, s2, s7
	s_add_i32 s10, s3, 1
	s_sub_i32 s7, s2, s0
	s_cmp_ge_u32 s2, s0
	s_cselect_b32 s3, s10, s3
	s_cselect_b32 s2, s7, s2
	s_add_i32 s7, s3, 1
	s_cmp_ge_u32 s2, s0
	s_cselect_b32 s0, s7, s3
	s_xor_b32 s0, s0, s1
	s_sub_i32 s10, s0, s1
	s_abs_i32 s2, s10
	v_cvt_f32_u32_e32 v1, s2
	s_load_dwordx2 s[0:1], s[4:5], 0x50
	s_sub_i32 s7, 0, s2
	s_abs_i32 s3, s6
	v_rcp_iflag_f32_e32 v1, v1
	v_mul_f32_e32 v1, 0x4f7ffffe, v1
	v_cvt_u32_f32_e32 v1, v1
	v_readfirstlane_b32 s12, v1
	s_mul_i32 s7, s7, s12
	s_mul_hi_u32 s7, s12, s7
	s_add_i32 s12, s12, s7
	s_waitcnt lgkmcnt(0)
	s_cmp_eq_u64 s[0:1], 0
	s_mul_hi_u32 s16, s3, s12
	s_cbranch_scc1 .LBB225_3
; %bb.2:
	s_ashr_i32 s7, s6, 31
	s_lshl_b64 s[12:13], s[6:7], 2
	s_add_u32 s0, s0, s12
	s_addc_u32 s1, s1, s13
	s_load_dword s45, s[0:1], 0x0
.LBB225_3:
	s_load_dwordx4 s[12:15], s[4:5], 0x58
	v_lshrrev_b32_e32 v35, 2, v0
	s_movk_i32 s0, 0x80
	s_ashr_i32 s17, s6, 31
	s_ashr_i32 s18, s10, 31
	v_and_b32_e32 v34, 3, v0
	s_lshl_b32 s24, s6, 7
	v_cmp_gt_u32_e32 vcc, s0, v0
	v_lshlrev_b32_e32 v47, 2, v0
	v_lshlrev_b32_e32 v1, 2, v35
	s_and_saveexec_b64 s[0:1], vcc
	s_cbranch_execz .LBB225_5
; %bb.4:
	s_load_dwordx2 s[20:21], s[4:5], 0x18
	s_waitcnt lgkmcnt(0)
	s_mul_i32 s22, s28, s12
	s_ashr_i32 s23, s22, 31
	s_lshl_b64 s[22:23], s[22:23], 2
	v_lshl_add_u32 v3, v34, 7, v1
	s_add_u32 s7, s20, s22
	s_addc_u32 s10, s21, s23
	s_ashr_i32 s25, s24, 31
	s_lshl_b64 s[20:21], s[24:25], 2
	s_add_u32 s20, s7, s20
	s_addc_u32 s21, s10, s21
	global_load_dword v2, v47, s[20:21]
	s_waitcnt vmcnt(0)
	ds_write_b32 v3, v2
.LBB225_5:
	s_or_b64 exec, exec, s[0:1]
	s_add_i32 s0, s29, 15
	s_ashr_i32 s1, s0, 31
	s_lshr_b32 s1, s1, 28
	s_add_i32 s0, s0, s1
	s_lshl_b32 s10, s8, 5
	s_mul_i32 s1, s16, s2
	s_ashr_i32 s7, s0, 4
	s_add_i32 s0, s10, 32
	s_sub_i32 s1, s3, s1
	s_min_i32 s33, s0, s7
	s_xor_b32 s0, s17, s18
	s_add_i32 s3, s16, 1
	s_waitcnt lgkmcnt(0)
	s_sub_i32 s12, s1, s2
	s_cmp_ge_u32 s1, s2
	s_cselect_b32 s3, s3, s16
	s_cselect_b32 s1, s12, s1
	s_add_i32 s12, s3, 1
	s_cmp_ge_u32 s1, s2
	s_load_dwordx2 s[30:31], s[4:5], 0x38
	s_load_dword s2, s[4:5], 0x48
	v_lshrrev_b32_e32 v48, 6, v0
	s_cselect_b32 s1, s12, s3
	s_xor_b32 s1, s1, s0
	v_or_b32_e32 v36, s10, v48
	s_waitcnt lgkmcnt(0)
	s_mul_i32 s34, s28, s2
	s_sub_i32 s12, s1, s0
	s_ashr_i32 s35, s34, 31
	v_cmp_gt_i32_e64 s[0:1], s33, v36
	v_cmp_le_i32_e32 vcc, s33, v36
	v_mbcnt_lo_u32_b32 v40, -1, 0
	s_barrier
	s_waitcnt lgkmcnt(0)
                                        ; implicit-def: $sgpr15
                                        ; implicit-def: $vgpr49
                                        ; implicit-def: $vgpr50
	s_and_saveexec_b64 s[2:3], vcc
	s_xor_b64 s[2:3], exec, s[2:3]
; %bb.6:
	v_mbcnt_hi_u32_b32 v49, -1, v40
	v_and_b32_e32 v2, 64, v49
	v_add_u32_e32 v50, 64, v2
	s_mov_b32 s15, 0xff7fffff
                                        ; implicit-def: $vgpr40
; %bb.7:
	s_or_saveexec_b64 s[38:39], s[2:3]
	s_load_dwordx4 s[20:23], s[4:5], 0x0
	s_load_dwordx2 s[26:27], s[4:5], 0x10
	s_load_dword s25, s[4:5], 0x98
	s_load_dwordx2 s[36:37], s[4:5], 0x28
	s_load_dwordx4 s[16:19], s[4:5], 0x68
	v_mov_b32_e32 v51, s15
	s_mul_i32 s12, s12, s14
	v_ashrrev_i32_e32 v37, 31, v36
	s_xor_b64 exec, exec, s[38:39]
	s_cbranch_execz .LBB225_205
; %bb.8:
	s_load_dwordx2 s[2:3], s[4:5], 0x20
	s_ashr_i32 s4, s12, 31
	v_bfe_u32 v41, v0, 2, 4
	v_lshlrev_b32_e32 v2, 4, v41
	v_mbcnt_hi_u32_b32 v49, -1, v40
	s_waitcnt lgkmcnt(0)
	s_add_u32 s2, s2, s12
	s_addc_u32 s3, s3, s4
	v_mov_b32_e32 v3, s3
	v_add_co_u32_e32 v38, vcc, s2, v2
	v_and_b32_e32 v40, 64, v49
	v_addc_co_u32_e32 v39, vcc, 0, v3, vcc
	v_lshlrev_b32_e32 v30, 7, v34
	v_add_u32_e32 v50, 64, v40
	v_xor_b32_e32 v40, 2, v49
	ds_read_b128 v[2:5], v30
	ds_read_b128 v[6:9], v30 offset:16
	ds_read_b128 v[10:13], v30 offset:32
	;; [unrolled: 1-line block ×7, first 2 shown]
	v_cmp_lt_i32_e32 vcc, v40, v50
	v_cndmask_b32_e32 v40, v49, v40, vcc
	v_lshlrev_b32_e32 v52, 2, v40
	v_xor_b32_e32 v40, 1, v49
	v_cmp_lt_i32_e32 vcc, v40, v50
	v_cndmask_b32_e32 v40, v49, v40, vcc
	v_lshlrev_b32_e32 v53, 2, v40
	v_lshlrev_b32_e32 v40, 4, v48
	s_load_dword s47, s[16:17], 0x0
	s_sub_i32 s48, 1, s29
	v_add3_u32 v54, s44, v40, v41
	v_lshlrev_b32_e32 v40, 2, v41
	s_lshl_b64 s[14:15], s[34:35], 2
	v_lshl_or_b32 v40, v48, 6, v40
	s_add_u32 s14, s30, s14
	v_add_u32_e32 v55, 0x210, v40
	v_lshlrev_b64 v[40:41], 2, v[36:37]
	s_addc_u32 s15, s31, s15
	v_mov_b32_e32 v42, s15
	v_add_co_u32_e32 v40, vcc, s14, v40
	s_mov_b32 s46, s13
	v_cmp_eq_u32_e64 s[2:3], 0, v34
	v_cmp_neq_f32_e64 s[4:5], s45, 0
	v_addc_co_u32_e32 v41, vcc, v42, v41, vcc
	s_mov_b64 s[14:15], 0
	v_mov_b32_e32 v51, 0xff7fffff
	s_movk_i32 s49, 0x80
	s_movk_i32 s50, 0x7f
	v_bfrev_b32_e32 v56, 60
	v_mov_b32_e32 v57, v36
	s_branch .LBB225_10
.LBB225_9:                              ;   in Loop: Header=BB225_10 Depth=1
	s_or_b64 exec, exec, s[16:17]
	v_add_u32_e32 v57, 2, v57
	v_cmp_le_i32_e32 vcc, s33, v57
	s_or_b64 s[14:15], vcc, s[14:15]
	v_add_co_u32_e32 v40, vcc, 8, v40
	v_add_u32_e32 v54, 32, v54
	v_add_u32_e32 v55, 0x80, v55
	v_addc_co_u32_e32 v41, vcc, 0, v41, vcc
	s_andn2_b64 exec, exec, s[14:15]
	s_cbranch_execz .LBB225_204
.LBB225_10:                             ; =>This Inner Loop Header: Depth=1
	global_load_dword v42, v[40:41], off
	v_mov_b32_e32 v58, 0
	s_waitcnt vmcnt(0) lgkmcnt(0)
	v_mad_i64_i32 v[42:43], s[16:17], v42, s46, v[38:39]
	v_add_co_u32_e32 v42, vcc, v42, v34
	v_addc_co_u32_e32 v43, vcc, 0, v43, vcc
	global_load_ubyte v45, v[42:43], off
	s_waitcnt vmcnt(0)
	v_cmp_ne_u16_e32 vcc, 0, v45
	s_and_saveexec_b64 s[16:17], vcc
	s_cbranch_execz .LBB225_16
; %bb.11:                               ;   in Loop: Header=BB225_10 Depth=1
	v_cmp_ne_u16_e32 vcc, s49, v45
	v_bfrev_b32_e32 v58, 1
	s_and_saveexec_b64 s[40:41], vcc
	s_cbranch_execz .LBB225_15
; %bb.12:                               ;   in Loop: Header=BB225_10 Depth=1
	v_and_b32_e32 v44, 0xffff, v45
	v_and_b32_e32 v46, 0x7f, v44
	v_cmp_ne_u32_e32 vcc, s50, v46
	v_mov_b32_e32 v58, 0x7f800001
	s_and_saveexec_b64 s[42:43], vcc
	s_cbranch_execz .LBB225_14
; %bb.13:                               ;   in Loop: Header=BB225_10 Depth=1
	v_and_b32_e32 v60, 7, v44
	v_ffbh_u32_e32 v58, v60
	v_min_u32_e32 v62, 32, v58
	v_subrev_u32_e32 v58, 28, v62
	v_lshlrev_b64 v[58:59], v58, v[44:45]
	v_lshrrev_b32_e32 v61, 3, v46
	v_sub_u32_e32 v44, 29, v62
	v_and_b32_e32 v58, 7, v58
	v_cmp_gt_u32_e32 vcc, 8, v46
	v_cndmask_b32_e32 v44, v61, v44, vcc
	v_cndmask_b32_e32 v46, v60, v58, vcc
	v_lshlrev_b32_e32 v45, 24, v45
	v_lshlrev_b32_e32 v46, 20, v46
	v_and_b32_e32 v45, 0x80000000, v45
	v_lshl_add_u32 v44, v44, 23, v56
	v_or3_b32 v58, v45, v44, v46
.LBB225_14:                             ;   in Loop: Header=BB225_10 Depth=1
	s_or_b64 exec, exec, s[42:43]
.LBB225_15:                             ;   in Loop: Header=BB225_10 Depth=1
	s_or_b64 exec, exec, s[40:41]
.LBB225_16:                             ;   in Loop: Header=BB225_10 Depth=1
	s_or_b64 exec, exec, s[16:17]
	global_load_ubyte v45, v[42:43], off offset:4
	v_mov_b32_e32 v59, 0
	s_waitcnt vmcnt(0)
	v_cmp_ne_u16_e32 vcc, 0, v45
	s_and_saveexec_b64 s[16:17], vcc
	s_cbranch_execz .LBB225_22
; %bb.17:                               ;   in Loop: Header=BB225_10 Depth=1
	v_cmp_ne_u16_e32 vcc, s49, v45
	v_bfrev_b32_e32 v59, 1
	s_and_saveexec_b64 s[40:41], vcc
	s_cbranch_execz .LBB225_21
; %bb.18:                               ;   in Loop: Header=BB225_10 Depth=1
	v_and_b32_e32 v44, 0xffff, v45
	v_and_b32_e32 v46, 0x7f, v44
	v_cmp_ne_u32_e32 vcc, s50, v46
	v_mov_b32_e32 v59, 0x7f800001
	s_and_saveexec_b64 s[42:43], vcc
	s_cbranch_execz .LBB225_20
; %bb.19:                               ;   in Loop: Header=BB225_10 Depth=1
	v_and_b32_e32 v59, 7, v44
	v_ffbh_u32_e32 v60, v59
	v_min_u32_e32 v63, 32, v60
	v_subrev_u32_e32 v60, 28, v63
	v_lshlrev_b64 v[60:61], v60, v[44:45]
	v_lshrrev_b32_e32 v62, 3, v46
	v_sub_u32_e32 v44, 29, v63
	v_and_b32_e32 v60, 7, v60
	v_cmp_gt_u32_e32 vcc, 8, v46
	v_cndmask_b32_e32 v44, v62, v44, vcc
	v_cndmask_b32_e32 v46, v59, v60, vcc
	v_lshlrev_b32_e32 v45, 24, v45
	v_lshlrev_b32_e32 v46, 20, v46
	v_and_b32_e32 v45, 0x80000000, v45
	v_lshl_add_u32 v44, v44, 23, v56
	v_or3_b32 v59, v45, v44, v46
.LBB225_20:                             ;   in Loop: Header=BB225_10 Depth=1
	s_or_b64 exec, exec, s[42:43]
.LBB225_21:                             ;   in Loop: Header=BB225_10 Depth=1
	s_or_b64 exec, exec, s[40:41]
.LBB225_22:                             ;   in Loop: Header=BB225_10 Depth=1
	s_or_b64 exec, exec, s[16:17]
	global_load_ubyte v45, v[42:43], off offset:8
	v_mov_b32_e32 v60, 0
	v_mov_b32_e32 v61, 0
	s_waitcnt vmcnt(0)
	v_cmp_ne_u16_e32 vcc, 0, v45
	s_and_saveexec_b64 s[16:17], vcc
	s_cbranch_execz .LBB225_28
; %bb.23:                               ;   in Loop: Header=BB225_10 Depth=1
	v_cmp_ne_u16_e32 vcc, s49, v45
	v_bfrev_b32_e32 v61, 1
	s_and_saveexec_b64 s[40:41], vcc
	s_cbranch_execz .LBB225_27
; %bb.24:                               ;   in Loop: Header=BB225_10 Depth=1
	v_and_b32_e32 v44, 0xffff, v45
	v_and_b32_e32 v46, 0x7f, v44
	v_cmp_ne_u32_e32 vcc, s50, v46
	v_mov_b32_e32 v61, 0x7f800001
	s_and_saveexec_b64 s[42:43], vcc
	s_cbranch_execz .LBB225_26
; %bb.25:                               ;   in Loop: Header=BB225_10 Depth=1
	v_and_b32_e32 v61, 7, v44
	v_ffbh_u32_e32 v62, v61
	v_min_u32_e32 v65, 32, v62
	v_subrev_u32_e32 v62, 28, v65
	v_lshlrev_b64 v[62:63], v62, v[44:45]
	v_lshrrev_b32_e32 v64, 3, v46
	v_sub_u32_e32 v44, 29, v65
	v_and_b32_e32 v62, 7, v62
	v_cmp_gt_u32_e32 vcc, 8, v46
	v_cndmask_b32_e32 v44, v64, v44, vcc
	v_cndmask_b32_e32 v46, v61, v62, vcc
	v_lshlrev_b32_e32 v45, 24, v45
	v_lshlrev_b32_e32 v46, 20, v46
	v_and_b32_e32 v45, 0x80000000, v45
	v_lshl_add_u32 v44, v44, 23, v56
	v_or3_b32 v61, v45, v44, v46
.LBB225_26:                             ;   in Loop: Header=BB225_10 Depth=1
	s_or_b64 exec, exec, s[42:43]
.LBB225_27:                             ;   in Loop: Header=BB225_10 Depth=1
	s_or_b64 exec, exec, s[40:41]
.LBB225_28:                             ;   in Loop: Header=BB225_10 Depth=1
	s_or_b64 exec, exec, s[16:17]
	global_load_ubyte v45, v[42:43], off offset:12
	s_waitcnt vmcnt(0)
	v_cmp_ne_u16_e32 vcc, 0, v45
	s_and_saveexec_b64 s[16:17], vcc
	s_cbranch_execz .LBB225_34
; %bb.29:                               ;   in Loop: Header=BB225_10 Depth=1
	v_cmp_ne_u16_e32 vcc, s49, v45
	v_bfrev_b32_e32 v60, 1
	s_and_saveexec_b64 s[40:41], vcc
	s_cbranch_execz .LBB225_33
; %bb.30:                               ;   in Loop: Header=BB225_10 Depth=1
	v_and_b32_e32 v44, 0xffff, v45
	v_and_b32_e32 v46, 0x7f, v44
	v_cmp_ne_u32_e32 vcc, s50, v46
	v_mov_b32_e32 v60, 0x7f800001
	s_and_saveexec_b64 s[42:43], vcc
	s_cbranch_execz .LBB225_32
; %bb.31:                               ;   in Loop: Header=BB225_10 Depth=1
	v_and_b32_e32 v60, 7, v44
	v_ffbh_u32_e32 v62, v60
	v_min_u32_e32 v65, 32, v62
	v_subrev_u32_e32 v62, 28, v65
	v_lshlrev_b64 v[62:63], v62, v[44:45]
	v_lshrrev_b32_e32 v64, 3, v46
	v_sub_u32_e32 v44, 29, v65
	v_and_b32_e32 v62, 7, v62
	v_cmp_gt_u32_e32 vcc, 8, v46
	v_cndmask_b32_e32 v44, v64, v44, vcc
	v_cndmask_b32_e32 v46, v60, v62, vcc
	v_lshlrev_b32_e32 v45, 24, v45
	v_lshlrev_b32_e32 v46, 20, v46
	v_and_b32_e32 v45, 0x80000000, v45
	v_lshl_add_u32 v44, v44, 23, v56
	v_or3_b32 v60, v45, v44, v46
.LBB225_32:                             ;   in Loop: Header=BB225_10 Depth=1
	s_or_b64 exec, exec, s[42:43]
.LBB225_33:                             ;   in Loop: Header=BB225_10 Depth=1
	s_or_b64 exec, exec, s[40:41]
.LBB225_34:                             ;   in Loop: Header=BB225_10 Depth=1
	s_or_b64 exec, exec, s[16:17]
	global_load_ubyte v45, v[42:43], off offset:256
	v_mov_b32_e32 v62, 0
	v_mov_b32_e32 v63, 0
	s_waitcnt vmcnt(0)
	v_cmp_ne_u16_e32 vcc, 0, v45
	s_and_saveexec_b64 s[16:17], vcc
	s_cbranch_execz .LBB225_40
; %bb.35:                               ;   in Loop: Header=BB225_10 Depth=1
	v_cmp_ne_u16_e32 vcc, s49, v45
	v_bfrev_b32_e32 v63, 1
	s_and_saveexec_b64 s[40:41], vcc
	s_cbranch_execz .LBB225_39
; %bb.36:                               ;   in Loop: Header=BB225_10 Depth=1
	v_and_b32_e32 v44, 0xffff, v45
	v_and_b32_e32 v46, 0x7f, v44
	v_cmp_ne_u32_e32 vcc, s50, v46
	v_mov_b32_e32 v63, 0x7f800001
	s_and_saveexec_b64 s[42:43], vcc
	s_cbranch_execz .LBB225_38
; %bb.37:                               ;   in Loop: Header=BB225_10 Depth=1
	v_and_b32_e32 v63, 7, v44
	v_ffbh_u32_e32 v64, v63
	v_min_u32_e32 v67, 32, v64
	v_subrev_u32_e32 v64, 28, v67
	v_lshlrev_b64 v[64:65], v64, v[44:45]
	v_lshrrev_b32_e32 v66, 3, v46
	v_sub_u32_e32 v44, 29, v67
	v_and_b32_e32 v64, 7, v64
	v_cmp_gt_u32_e32 vcc, 8, v46
	v_cndmask_b32_e32 v44, v66, v44, vcc
	v_cndmask_b32_e32 v46, v63, v64, vcc
	v_lshlrev_b32_e32 v45, 24, v45
	v_lshlrev_b32_e32 v46, 20, v46
	v_and_b32_e32 v45, 0x80000000, v45
	v_lshl_add_u32 v44, v44, 23, v56
	v_or3_b32 v63, v45, v44, v46
.LBB225_38:                             ;   in Loop: Header=BB225_10 Depth=1
	s_or_b64 exec, exec, s[42:43]
.LBB225_39:                             ;   in Loop: Header=BB225_10 Depth=1
	s_or_b64 exec, exec, s[40:41]
.LBB225_40:                             ;   in Loop: Header=BB225_10 Depth=1
	s_or_b64 exec, exec, s[16:17]
	global_load_ubyte v45, v[42:43], off offset:260
	s_waitcnt vmcnt(0)
	v_cmp_ne_u16_e32 vcc, 0, v45
	s_and_saveexec_b64 s[16:17], vcc
	s_cbranch_execz .LBB225_46
; %bb.41:                               ;   in Loop: Header=BB225_10 Depth=1
	v_cmp_ne_u16_e32 vcc, s49, v45
	v_bfrev_b32_e32 v62, 1
	s_and_saveexec_b64 s[40:41], vcc
	s_cbranch_execz .LBB225_45
; %bb.42:                               ;   in Loop: Header=BB225_10 Depth=1
	v_and_b32_e32 v44, 0xffff, v45
	v_and_b32_e32 v46, 0x7f, v44
	v_cmp_ne_u32_e32 vcc, s50, v46
	v_mov_b32_e32 v62, 0x7f800001
	s_and_saveexec_b64 s[42:43], vcc
	s_cbranch_execz .LBB225_44
; %bb.43:                               ;   in Loop: Header=BB225_10 Depth=1
	v_and_b32_e32 v62, 7, v44
	v_ffbh_u32_e32 v64, v62
	v_min_u32_e32 v67, 32, v64
	v_subrev_u32_e32 v64, 28, v67
	v_lshlrev_b64 v[64:65], v64, v[44:45]
	v_lshrrev_b32_e32 v66, 3, v46
	v_sub_u32_e32 v44, 29, v67
	v_and_b32_e32 v64, 7, v64
	v_cmp_gt_u32_e32 vcc, 8, v46
	v_cndmask_b32_e32 v44, v66, v44, vcc
	v_cndmask_b32_e32 v46, v62, v64, vcc
	v_lshlrev_b32_e32 v45, 24, v45
	v_lshlrev_b32_e32 v46, 20, v46
	v_and_b32_e32 v45, 0x80000000, v45
	v_lshl_add_u32 v44, v44, 23, v56
	v_or3_b32 v62, v45, v44, v46
.LBB225_44:                             ;   in Loop: Header=BB225_10 Depth=1
	s_or_b64 exec, exec, s[42:43]
.LBB225_45:                             ;   in Loop: Header=BB225_10 Depth=1
	s_or_b64 exec, exec, s[40:41]
.LBB225_46:                             ;   in Loop: Header=BB225_10 Depth=1
	s_or_b64 exec, exec, s[16:17]
	v_add_co_u32_e32 v44, vcc, 0x100, v42
	v_addc_co_u32_e32 v45, vcc, 0, v43, vcc
	global_load_ubyte v66, v[44:45], off offset:8
	v_mov_b32_e32 v64, 0
	v_mov_b32_e32 v65, 0
	s_waitcnt vmcnt(0)
	v_cmp_ne_u16_e32 vcc, 0, v66
	s_and_saveexec_b64 s[16:17], vcc
	s_cbranch_execz .LBB225_52
; %bb.47:                               ;   in Loop: Header=BB225_10 Depth=1
	v_cmp_ne_u16_e32 vcc, s49, v66
	v_bfrev_b32_e32 v65, 1
	s_and_saveexec_b64 s[40:41], vcc
	s_cbranch_execz .LBB225_51
; %bb.48:                               ;   in Loop: Header=BB225_10 Depth=1
	v_and_b32_e32 v46, 0xffff, v66
	v_and_b32_e32 v67, 0x7f, v46
	v_cmp_ne_u32_e32 vcc, s50, v67
	v_mov_b32_e32 v65, 0x7f800001
	s_and_saveexec_b64 s[42:43], vcc
	s_cbranch_execz .LBB225_50
; %bb.49:                               ;   in Loop: Header=BB225_10 Depth=1
	v_and_b32_e32 v65, 7, v46
	v_ffbh_u32_e32 v68, v65
	v_min_u32_e32 v71, 32, v68
	v_subrev_u32_e32 v68, 28, v71
	v_lshlrev_b64 v[68:69], v68, v[46:47]
	v_lshrrev_b32_e32 v70, 3, v67
	v_sub_u32_e32 v46, 29, v71
	v_and_b32_e32 v68, 7, v68
	v_cmp_gt_u32_e32 vcc, 8, v67
	v_cndmask_b32_e32 v46, v70, v46, vcc
	v_cndmask_b32_e32 v65, v65, v68, vcc
	v_lshlrev_b32_e32 v66, 24, v66
	v_lshlrev_b32_e32 v65, 20, v65
	v_and_b32_e32 v66, 0x80000000, v66
	v_lshl_add_u32 v46, v46, 23, v56
	v_or3_b32 v65, v66, v46, v65
.LBB225_50:                             ;   in Loop: Header=BB225_10 Depth=1
	s_or_b64 exec, exec, s[42:43]
.LBB225_51:                             ;   in Loop: Header=BB225_10 Depth=1
	s_or_b64 exec, exec, s[40:41]
.LBB225_52:                             ;   in Loop: Header=BB225_10 Depth=1
	s_or_b64 exec, exec, s[16:17]
	global_load_ubyte v45, v[44:45], off offset:12
	s_waitcnt vmcnt(0)
	v_cmp_ne_u16_e32 vcc, 0, v45
	s_and_saveexec_b64 s[16:17], vcc
	s_cbranch_execz .LBB225_58
; %bb.53:                               ;   in Loop: Header=BB225_10 Depth=1
	v_cmp_ne_u16_e32 vcc, s49, v45
	v_bfrev_b32_e32 v64, 1
	s_and_saveexec_b64 s[40:41], vcc
	s_cbranch_execz .LBB225_57
; %bb.54:                               ;   in Loop: Header=BB225_10 Depth=1
	v_and_b32_e32 v44, 0xffff, v45
	v_and_b32_e32 v46, 0x7f, v44
	v_cmp_ne_u32_e32 vcc, s50, v46
	v_mov_b32_e32 v64, 0x7f800001
	s_and_saveexec_b64 s[42:43], vcc
	s_cbranch_execz .LBB225_56
; %bb.55:                               ;   in Loop: Header=BB225_10 Depth=1
	v_and_b32_e32 v64, 7, v44
	v_ffbh_u32_e32 v66, v64
	v_min_u32_e32 v69, 32, v66
	v_subrev_u32_e32 v66, 28, v69
	v_lshlrev_b64 v[66:67], v66, v[44:45]
	v_lshrrev_b32_e32 v68, 3, v46
	v_sub_u32_e32 v44, 29, v69
	v_and_b32_e32 v66, 7, v66
	v_cmp_gt_u32_e32 vcc, 8, v46
	v_cndmask_b32_e32 v44, v68, v44, vcc
	v_cndmask_b32_e32 v46, v64, v66, vcc
	v_lshlrev_b32_e32 v45, 24, v45
	v_lshlrev_b32_e32 v46, 20, v46
	v_and_b32_e32 v45, 0x80000000, v45
	v_lshl_add_u32 v44, v44, 23, v56
	v_or3_b32 v64, v45, v44, v46
.LBB225_56:                             ;   in Loop: Header=BB225_10 Depth=1
	s_or_b64 exec, exec, s[42:43]
.LBB225_57:                             ;   in Loop: Header=BB225_10 Depth=1
	s_or_b64 exec, exec, s[40:41]
.LBB225_58:                             ;   in Loop: Header=BB225_10 Depth=1
	s_or_b64 exec, exec, s[16:17]
	global_load_ubyte v45, v[42:43], off offset:512
	v_mov_b32_e32 v66, 0
	v_mov_b32_e32 v67, 0
	s_waitcnt vmcnt(0)
	v_cmp_ne_u16_e32 vcc, 0, v45
	s_and_saveexec_b64 s[16:17], vcc
	s_cbranch_execz .LBB225_64
; %bb.59:                               ;   in Loop: Header=BB225_10 Depth=1
	v_cmp_ne_u16_e32 vcc, s49, v45
	v_bfrev_b32_e32 v67, 1
	s_and_saveexec_b64 s[40:41], vcc
	s_cbranch_execz .LBB225_63
; %bb.60:                               ;   in Loop: Header=BB225_10 Depth=1
	v_and_b32_e32 v44, 0xffff, v45
	v_and_b32_e32 v46, 0x7f, v44
	v_cmp_ne_u32_e32 vcc, s50, v46
	v_mov_b32_e32 v67, 0x7f800001
	s_and_saveexec_b64 s[42:43], vcc
	s_cbranch_execz .LBB225_62
; %bb.61:                               ;   in Loop: Header=BB225_10 Depth=1
	v_and_b32_e32 v67, 7, v44
	v_ffbh_u32_e32 v68, v67
	v_min_u32_e32 v71, 32, v68
	v_subrev_u32_e32 v68, 28, v71
	v_lshlrev_b64 v[68:69], v68, v[44:45]
	v_lshrrev_b32_e32 v70, 3, v46
	v_sub_u32_e32 v44, 29, v71
	v_and_b32_e32 v68, 7, v68
	v_cmp_gt_u32_e32 vcc, 8, v46
	v_cndmask_b32_e32 v44, v70, v44, vcc
	v_cndmask_b32_e32 v46, v67, v68, vcc
	v_lshlrev_b32_e32 v45, 24, v45
	v_lshlrev_b32_e32 v46, 20, v46
	v_and_b32_e32 v45, 0x80000000, v45
	v_lshl_add_u32 v44, v44, 23, v56
	v_or3_b32 v67, v45, v44, v46
.LBB225_62:                             ;   in Loop: Header=BB225_10 Depth=1
	s_or_b64 exec, exec, s[42:43]
.LBB225_63:                             ;   in Loop: Header=BB225_10 Depth=1
	s_or_b64 exec, exec, s[40:41]
.LBB225_64:                             ;   in Loop: Header=BB225_10 Depth=1
	s_or_b64 exec, exec, s[16:17]
	global_load_ubyte v45, v[42:43], off offset:516
	s_waitcnt vmcnt(0)
	v_cmp_ne_u16_e32 vcc, 0, v45
	s_and_saveexec_b64 s[16:17], vcc
	s_cbranch_execz .LBB225_70
; %bb.65:                               ;   in Loop: Header=BB225_10 Depth=1
	v_cmp_ne_u16_e32 vcc, s49, v45
	v_bfrev_b32_e32 v66, 1
	s_and_saveexec_b64 s[40:41], vcc
	s_cbranch_execz .LBB225_69
; %bb.66:                               ;   in Loop: Header=BB225_10 Depth=1
	v_and_b32_e32 v44, 0xffff, v45
	v_and_b32_e32 v46, 0x7f, v44
	v_cmp_ne_u32_e32 vcc, s50, v46
	v_mov_b32_e32 v66, 0x7f800001
	s_and_saveexec_b64 s[42:43], vcc
	s_cbranch_execz .LBB225_68
; %bb.67:                               ;   in Loop: Header=BB225_10 Depth=1
	v_and_b32_e32 v66, 7, v44
	v_ffbh_u32_e32 v68, v66
	v_min_u32_e32 v71, 32, v68
	v_subrev_u32_e32 v68, 28, v71
	v_lshlrev_b64 v[68:69], v68, v[44:45]
	v_lshrrev_b32_e32 v70, 3, v46
	v_sub_u32_e32 v44, 29, v71
	v_and_b32_e32 v68, 7, v68
	v_cmp_gt_u32_e32 vcc, 8, v46
	v_cndmask_b32_e32 v44, v70, v44, vcc
	v_cndmask_b32_e32 v46, v66, v68, vcc
	v_lshlrev_b32_e32 v45, 24, v45
	v_lshlrev_b32_e32 v46, 20, v46
	v_and_b32_e32 v45, 0x80000000, v45
	v_lshl_add_u32 v44, v44, 23, v56
	v_or3_b32 v66, v45, v44, v46
.LBB225_68:                             ;   in Loop: Header=BB225_10 Depth=1
	s_or_b64 exec, exec, s[42:43]
.LBB225_69:                             ;   in Loop: Header=BB225_10 Depth=1
	s_or_b64 exec, exec, s[40:41]
.LBB225_70:                             ;   in Loop: Header=BB225_10 Depth=1
	s_or_b64 exec, exec, s[16:17]
	v_add_co_u32_e32 v44, vcc, 0x200, v42
	v_addc_co_u32_e32 v45, vcc, 0, v43, vcc
	global_load_ubyte v70, v[44:45], off offset:8
	v_mov_b32_e32 v68, 0
	v_mov_b32_e32 v69, 0
	s_waitcnt vmcnt(0)
	v_cmp_ne_u16_e32 vcc, 0, v70
	s_and_saveexec_b64 s[16:17], vcc
	s_cbranch_execz .LBB225_76
; %bb.71:                               ;   in Loop: Header=BB225_10 Depth=1
	v_cmp_ne_u16_e32 vcc, s49, v70
	v_bfrev_b32_e32 v69, 1
	s_and_saveexec_b64 s[40:41], vcc
	s_cbranch_execz .LBB225_75
; %bb.72:                               ;   in Loop: Header=BB225_10 Depth=1
	v_and_b32_e32 v46, 0xffff, v70
	v_and_b32_e32 v71, 0x7f, v46
	v_cmp_ne_u32_e32 vcc, s50, v71
	v_mov_b32_e32 v69, 0x7f800001
	s_and_saveexec_b64 s[42:43], vcc
	s_cbranch_execz .LBB225_74
; %bb.73:                               ;   in Loop: Header=BB225_10 Depth=1
	v_and_b32_e32 v69, 7, v46
	v_ffbh_u32_e32 v72, v69
	v_min_u32_e32 v75, 32, v72
	v_subrev_u32_e32 v72, 28, v75
	v_lshlrev_b64 v[72:73], v72, v[46:47]
	v_lshrrev_b32_e32 v74, 3, v71
	v_sub_u32_e32 v46, 29, v75
	v_and_b32_e32 v72, 7, v72
	v_cmp_gt_u32_e32 vcc, 8, v71
	v_cndmask_b32_e32 v46, v74, v46, vcc
	v_cndmask_b32_e32 v69, v69, v72, vcc
	v_lshlrev_b32_e32 v70, 24, v70
	v_lshlrev_b32_e32 v69, 20, v69
	v_and_b32_e32 v70, 0x80000000, v70
	v_lshl_add_u32 v46, v46, 23, v56
	v_or3_b32 v69, v70, v46, v69
.LBB225_74:                             ;   in Loop: Header=BB225_10 Depth=1
	s_or_b64 exec, exec, s[42:43]
.LBB225_75:                             ;   in Loop: Header=BB225_10 Depth=1
	s_or_b64 exec, exec, s[40:41]
.LBB225_76:                             ;   in Loop: Header=BB225_10 Depth=1
	s_or_b64 exec, exec, s[16:17]
	global_load_ubyte v45, v[44:45], off offset:12
	s_waitcnt vmcnt(0)
	v_cmp_ne_u16_e32 vcc, 0, v45
	s_and_saveexec_b64 s[16:17], vcc
	s_cbranch_execz .LBB225_82
; %bb.77:                               ;   in Loop: Header=BB225_10 Depth=1
	v_cmp_ne_u16_e32 vcc, s49, v45
	v_bfrev_b32_e32 v68, 1
	s_and_saveexec_b64 s[40:41], vcc
	s_cbranch_execz .LBB225_81
; %bb.78:                               ;   in Loop: Header=BB225_10 Depth=1
	v_and_b32_e32 v44, 0xffff, v45
	v_and_b32_e32 v46, 0x7f, v44
	v_cmp_ne_u32_e32 vcc, s50, v46
	v_mov_b32_e32 v68, 0x7f800001
	s_and_saveexec_b64 s[42:43], vcc
	s_cbranch_execz .LBB225_80
; %bb.79:                               ;   in Loop: Header=BB225_10 Depth=1
	v_and_b32_e32 v68, 7, v44
	v_ffbh_u32_e32 v70, v68
	v_min_u32_e32 v73, 32, v70
	v_subrev_u32_e32 v70, 28, v73
	v_lshlrev_b64 v[70:71], v70, v[44:45]
	v_lshrrev_b32_e32 v72, 3, v46
	v_sub_u32_e32 v44, 29, v73
	v_and_b32_e32 v70, 7, v70
	v_cmp_gt_u32_e32 vcc, 8, v46
	v_cndmask_b32_e32 v44, v72, v44, vcc
	v_cndmask_b32_e32 v46, v68, v70, vcc
	v_lshlrev_b32_e32 v45, 24, v45
	v_lshlrev_b32_e32 v46, 20, v46
	v_and_b32_e32 v45, 0x80000000, v45
	v_lshl_add_u32 v44, v44, 23, v56
	v_or3_b32 v68, v45, v44, v46
.LBB225_80:                             ;   in Loop: Header=BB225_10 Depth=1
	s_or_b64 exec, exec, s[42:43]
.LBB225_81:                             ;   in Loop: Header=BB225_10 Depth=1
	s_or_b64 exec, exec, s[40:41]
.LBB225_82:                             ;   in Loop: Header=BB225_10 Depth=1
	s_or_b64 exec, exec, s[16:17]
	global_load_ubyte v45, v[42:43], off offset:768
	v_mov_b32_e32 v70, 0
	v_mov_b32_e32 v71, 0
	s_waitcnt vmcnt(0)
	v_cmp_ne_u16_e32 vcc, 0, v45
	s_and_saveexec_b64 s[16:17], vcc
	s_cbranch_execz .LBB225_88
; %bb.83:                               ;   in Loop: Header=BB225_10 Depth=1
	v_cmp_ne_u16_e32 vcc, s49, v45
	v_bfrev_b32_e32 v71, 1
	s_and_saveexec_b64 s[40:41], vcc
	s_cbranch_execz .LBB225_87
; %bb.84:                               ;   in Loop: Header=BB225_10 Depth=1
	v_and_b32_e32 v44, 0xffff, v45
	v_and_b32_e32 v46, 0x7f, v44
	v_cmp_ne_u32_e32 vcc, s50, v46
	v_mov_b32_e32 v71, 0x7f800001
	s_and_saveexec_b64 s[42:43], vcc
	s_cbranch_execz .LBB225_86
; %bb.85:                               ;   in Loop: Header=BB225_10 Depth=1
	v_and_b32_e32 v71, 7, v44
	v_ffbh_u32_e32 v72, v71
	v_min_u32_e32 v75, 32, v72
	v_subrev_u32_e32 v72, 28, v75
	v_lshlrev_b64 v[72:73], v72, v[44:45]
	v_lshrrev_b32_e32 v74, 3, v46
	v_sub_u32_e32 v44, 29, v75
	v_and_b32_e32 v72, 7, v72
	v_cmp_gt_u32_e32 vcc, 8, v46
	v_cndmask_b32_e32 v44, v74, v44, vcc
	v_cndmask_b32_e32 v46, v71, v72, vcc
	v_lshlrev_b32_e32 v45, 24, v45
	v_lshlrev_b32_e32 v46, 20, v46
	v_and_b32_e32 v45, 0x80000000, v45
	v_lshl_add_u32 v44, v44, 23, v56
	v_or3_b32 v71, v45, v44, v46
.LBB225_86:                             ;   in Loop: Header=BB225_10 Depth=1
	s_or_b64 exec, exec, s[42:43]
.LBB225_87:                             ;   in Loop: Header=BB225_10 Depth=1
	s_or_b64 exec, exec, s[40:41]
.LBB225_88:                             ;   in Loop: Header=BB225_10 Depth=1
	s_or_b64 exec, exec, s[16:17]
	global_load_ubyte v45, v[42:43], off offset:772
	s_waitcnt vmcnt(0)
	v_cmp_ne_u16_e32 vcc, 0, v45
	s_and_saveexec_b64 s[16:17], vcc
	s_cbranch_execz .LBB225_94
; %bb.89:                               ;   in Loop: Header=BB225_10 Depth=1
	v_cmp_ne_u16_e32 vcc, s49, v45
	v_bfrev_b32_e32 v70, 1
	s_and_saveexec_b64 s[40:41], vcc
	s_cbranch_execz .LBB225_93
; %bb.90:                               ;   in Loop: Header=BB225_10 Depth=1
	v_and_b32_e32 v44, 0xffff, v45
	v_and_b32_e32 v46, 0x7f, v44
	v_cmp_ne_u32_e32 vcc, s50, v46
	v_mov_b32_e32 v70, 0x7f800001
	s_and_saveexec_b64 s[42:43], vcc
	s_cbranch_execz .LBB225_92
; %bb.91:                               ;   in Loop: Header=BB225_10 Depth=1
	v_and_b32_e32 v70, 7, v44
	v_ffbh_u32_e32 v72, v70
	v_min_u32_e32 v75, 32, v72
	v_subrev_u32_e32 v72, 28, v75
	v_lshlrev_b64 v[72:73], v72, v[44:45]
	v_lshrrev_b32_e32 v74, 3, v46
	v_sub_u32_e32 v44, 29, v75
	v_and_b32_e32 v72, 7, v72
	v_cmp_gt_u32_e32 vcc, 8, v46
	v_cndmask_b32_e32 v44, v74, v44, vcc
	v_cndmask_b32_e32 v46, v70, v72, vcc
	v_lshlrev_b32_e32 v45, 24, v45
	v_lshlrev_b32_e32 v46, 20, v46
	v_and_b32_e32 v45, 0x80000000, v45
	v_lshl_add_u32 v44, v44, 23, v56
	v_or3_b32 v70, v45, v44, v46
.LBB225_92:                             ;   in Loop: Header=BB225_10 Depth=1
	s_or_b64 exec, exec, s[42:43]
.LBB225_93:                             ;   in Loop: Header=BB225_10 Depth=1
	s_or_b64 exec, exec, s[40:41]
.LBB225_94:                             ;   in Loop: Header=BB225_10 Depth=1
	s_or_b64 exec, exec, s[16:17]
	v_add_co_u32_e32 v44, vcc, 0x300, v42
	v_addc_co_u32_e32 v45, vcc, 0, v43, vcc
	global_load_ubyte v74, v[44:45], off offset:8
	v_mov_b32_e32 v72, 0
	v_mov_b32_e32 v73, 0
	s_waitcnt vmcnt(0)
	v_cmp_ne_u16_e32 vcc, 0, v74
	s_and_saveexec_b64 s[16:17], vcc
	s_cbranch_execz .LBB225_100
; %bb.95:                               ;   in Loop: Header=BB225_10 Depth=1
	v_cmp_ne_u16_e32 vcc, s49, v74
	v_bfrev_b32_e32 v73, 1
	s_and_saveexec_b64 s[40:41], vcc
	s_cbranch_execz .LBB225_99
; %bb.96:                               ;   in Loop: Header=BB225_10 Depth=1
	v_and_b32_e32 v46, 0xffff, v74
	v_and_b32_e32 v75, 0x7f, v46
	v_cmp_ne_u32_e32 vcc, s50, v75
	v_mov_b32_e32 v73, 0x7f800001
	s_and_saveexec_b64 s[42:43], vcc
	s_cbranch_execz .LBB225_98
; %bb.97:                               ;   in Loop: Header=BB225_10 Depth=1
	v_and_b32_e32 v73, 7, v46
	v_ffbh_u32_e32 v76, v73
	v_min_u32_e32 v79, 32, v76
	v_subrev_u32_e32 v76, 28, v79
	v_lshlrev_b64 v[76:77], v76, v[46:47]
	v_lshrrev_b32_e32 v78, 3, v75
	v_sub_u32_e32 v46, 29, v79
	v_and_b32_e32 v76, 7, v76
	v_cmp_gt_u32_e32 vcc, 8, v75
	v_cndmask_b32_e32 v46, v78, v46, vcc
	v_cndmask_b32_e32 v73, v73, v76, vcc
	v_lshlrev_b32_e32 v74, 24, v74
	v_lshlrev_b32_e32 v73, 20, v73
	v_and_b32_e32 v74, 0x80000000, v74
	v_lshl_add_u32 v46, v46, 23, v56
	v_or3_b32 v73, v74, v46, v73
.LBB225_98:                             ;   in Loop: Header=BB225_10 Depth=1
	s_or_b64 exec, exec, s[42:43]
.LBB225_99:                             ;   in Loop: Header=BB225_10 Depth=1
	s_or_b64 exec, exec, s[40:41]
.LBB225_100:                            ;   in Loop: Header=BB225_10 Depth=1
	s_or_b64 exec, exec, s[16:17]
	global_load_ubyte v45, v[44:45], off offset:12
	s_waitcnt vmcnt(0)
	v_cmp_ne_u16_e32 vcc, 0, v45
	s_and_saveexec_b64 s[16:17], vcc
	s_cbranch_execz .LBB225_106
; %bb.101:                              ;   in Loop: Header=BB225_10 Depth=1
	v_cmp_ne_u16_e32 vcc, s49, v45
	v_bfrev_b32_e32 v72, 1
	s_and_saveexec_b64 s[40:41], vcc
	s_cbranch_execz .LBB225_105
; %bb.102:                              ;   in Loop: Header=BB225_10 Depth=1
	v_and_b32_e32 v44, 0xffff, v45
	v_and_b32_e32 v46, 0x7f, v44
	v_cmp_ne_u32_e32 vcc, s50, v46
	v_mov_b32_e32 v72, 0x7f800001
	s_and_saveexec_b64 s[42:43], vcc
	s_cbranch_execz .LBB225_104
; %bb.103:                              ;   in Loop: Header=BB225_10 Depth=1
	v_and_b32_e32 v72, 7, v44
	v_ffbh_u32_e32 v74, v72
	v_min_u32_e32 v77, 32, v74
	v_subrev_u32_e32 v74, 28, v77
	v_lshlrev_b64 v[74:75], v74, v[44:45]
	v_lshrrev_b32_e32 v76, 3, v46
	v_sub_u32_e32 v44, 29, v77
	v_and_b32_e32 v74, 7, v74
	v_cmp_gt_u32_e32 vcc, 8, v46
	v_cndmask_b32_e32 v44, v76, v44, vcc
	v_cndmask_b32_e32 v46, v72, v74, vcc
	v_lshlrev_b32_e32 v45, 24, v45
	v_lshlrev_b32_e32 v46, 20, v46
	v_and_b32_e32 v45, 0x80000000, v45
	v_lshl_add_u32 v44, v44, 23, v56
	v_or3_b32 v72, v45, v44, v46
.LBB225_104:                            ;   in Loop: Header=BB225_10 Depth=1
	s_or_b64 exec, exec, s[42:43]
.LBB225_105:                            ;   in Loop: Header=BB225_10 Depth=1
	s_or_b64 exec, exec, s[40:41]
.LBB225_106:                            ;   in Loop: Header=BB225_10 Depth=1
	s_or_b64 exec, exec, s[16:17]
	global_load_ubyte v45, v[42:43], off offset:1024
	v_mov_b32_e32 v74, 0
	v_mov_b32_e32 v75, 0
	s_waitcnt vmcnt(0)
	v_cmp_ne_u16_e32 vcc, 0, v45
	s_and_saveexec_b64 s[16:17], vcc
	s_cbranch_execz .LBB225_112
; %bb.107:                              ;   in Loop: Header=BB225_10 Depth=1
	v_cmp_ne_u16_e32 vcc, s49, v45
	v_bfrev_b32_e32 v75, 1
	s_and_saveexec_b64 s[40:41], vcc
	s_cbranch_execz .LBB225_111
; %bb.108:                              ;   in Loop: Header=BB225_10 Depth=1
	v_and_b32_e32 v44, 0xffff, v45
	v_and_b32_e32 v46, 0x7f, v44
	v_cmp_ne_u32_e32 vcc, s50, v46
	v_mov_b32_e32 v75, 0x7f800001
	s_and_saveexec_b64 s[42:43], vcc
	s_cbranch_execz .LBB225_110
; %bb.109:                              ;   in Loop: Header=BB225_10 Depth=1
	v_and_b32_e32 v75, 7, v44
	v_ffbh_u32_e32 v76, v75
	v_min_u32_e32 v79, 32, v76
	v_subrev_u32_e32 v76, 28, v79
	v_lshlrev_b64 v[76:77], v76, v[44:45]
	v_lshrrev_b32_e32 v78, 3, v46
	v_sub_u32_e32 v44, 29, v79
	v_and_b32_e32 v76, 7, v76
	v_cmp_gt_u32_e32 vcc, 8, v46
	v_cndmask_b32_e32 v44, v78, v44, vcc
	v_cndmask_b32_e32 v46, v75, v76, vcc
	v_lshlrev_b32_e32 v45, 24, v45
	v_lshlrev_b32_e32 v46, 20, v46
	v_and_b32_e32 v45, 0x80000000, v45
	v_lshl_add_u32 v44, v44, 23, v56
	v_or3_b32 v75, v45, v44, v46
.LBB225_110:                            ;   in Loop: Header=BB225_10 Depth=1
	s_or_b64 exec, exec, s[42:43]
.LBB225_111:                            ;   in Loop: Header=BB225_10 Depth=1
	s_or_b64 exec, exec, s[40:41]
.LBB225_112:                            ;   in Loop: Header=BB225_10 Depth=1
	s_or_b64 exec, exec, s[16:17]
	global_load_ubyte v45, v[42:43], off offset:1028
	s_waitcnt vmcnt(0)
	v_cmp_ne_u16_e32 vcc, 0, v45
	s_and_saveexec_b64 s[16:17], vcc
	s_cbranch_execz .LBB225_118
; %bb.113:                              ;   in Loop: Header=BB225_10 Depth=1
	v_cmp_ne_u16_e32 vcc, s49, v45
	v_bfrev_b32_e32 v74, 1
	s_and_saveexec_b64 s[40:41], vcc
	s_cbranch_execz .LBB225_117
; %bb.114:                              ;   in Loop: Header=BB225_10 Depth=1
	v_and_b32_e32 v44, 0xffff, v45
	v_and_b32_e32 v46, 0x7f, v44
	v_cmp_ne_u32_e32 vcc, s50, v46
	v_mov_b32_e32 v74, 0x7f800001
	s_and_saveexec_b64 s[42:43], vcc
	s_cbranch_execz .LBB225_116
; %bb.115:                              ;   in Loop: Header=BB225_10 Depth=1
	v_and_b32_e32 v74, 7, v44
	v_ffbh_u32_e32 v76, v74
	v_min_u32_e32 v79, 32, v76
	v_subrev_u32_e32 v76, 28, v79
	v_lshlrev_b64 v[76:77], v76, v[44:45]
	v_lshrrev_b32_e32 v78, 3, v46
	v_sub_u32_e32 v44, 29, v79
	v_and_b32_e32 v76, 7, v76
	v_cmp_gt_u32_e32 vcc, 8, v46
	v_cndmask_b32_e32 v44, v78, v44, vcc
	v_cndmask_b32_e32 v46, v74, v76, vcc
	v_lshlrev_b32_e32 v45, 24, v45
	v_lshlrev_b32_e32 v46, 20, v46
	v_and_b32_e32 v45, 0x80000000, v45
	v_lshl_add_u32 v44, v44, 23, v56
	v_or3_b32 v74, v45, v44, v46
.LBB225_116:                            ;   in Loop: Header=BB225_10 Depth=1
	s_or_b64 exec, exec, s[42:43]
.LBB225_117:                            ;   in Loop: Header=BB225_10 Depth=1
	s_or_b64 exec, exec, s[40:41]
.LBB225_118:                            ;   in Loop: Header=BB225_10 Depth=1
	s_or_b64 exec, exec, s[16:17]
	v_add_co_u32_e32 v44, vcc, 0x400, v42
	v_addc_co_u32_e32 v45, vcc, 0, v43, vcc
	global_load_ubyte v78, v[44:45], off offset:8
	v_mov_b32_e32 v76, 0
	v_mov_b32_e32 v77, 0
	s_waitcnt vmcnt(0)
	v_cmp_ne_u16_e32 vcc, 0, v78
	s_and_saveexec_b64 s[16:17], vcc
	s_cbranch_execz .LBB225_124
; %bb.119:                              ;   in Loop: Header=BB225_10 Depth=1
	v_cmp_ne_u16_e32 vcc, s49, v78
	v_bfrev_b32_e32 v77, 1
	s_and_saveexec_b64 s[40:41], vcc
	s_cbranch_execz .LBB225_123
; %bb.120:                              ;   in Loop: Header=BB225_10 Depth=1
	v_and_b32_e32 v46, 0xffff, v78
	v_and_b32_e32 v79, 0x7f, v46
	v_cmp_ne_u32_e32 vcc, s50, v79
	v_mov_b32_e32 v77, 0x7f800001
	s_and_saveexec_b64 s[42:43], vcc
	s_cbranch_execz .LBB225_122
; %bb.121:                              ;   in Loop: Header=BB225_10 Depth=1
	v_and_b32_e32 v77, 7, v46
	v_ffbh_u32_e32 v80, v77
	v_min_u32_e32 v83, 32, v80
	v_subrev_u32_e32 v80, 28, v83
	v_lshlrev_b64 v[80:81], v80, v[46:47]
	v_lshrrev_b32_e32 v82, 3, v79
	v_sub_u32_e32 v46, 29, v83
	v_and_b32_e32 v80, 7, v80
	v_cmp_gt_u32_e32 vcc, 8, v79
	v_cndmask_b32_e32 v46, v82, v46, vcc
	v_cndmask_b32_e32 v77, v77, v80, vcc
	v_lshlrev_b32_e32 v78, 24, v78
	v_lshlrev_b32_e32 v77, 20, v77
	v_and_b32_e32 v78, 0x80000000, v78
	v_lshl_add_u32 v46, v46, 23, v56
	v_or3_b32 v77, v78, v46, v77
.LBB225_122:                            ;   in Loop: Header=BB225_10 Depth=1
	s_or_b64 exec, exec, s[42:43]
.LBB225_123:                            ;   in Loop: Header=BB225_10 Depth=1
	s_or_b64 exec, exec, s[40:41]
.LBB225_124:                            ;   in Loop: Header=BB225_10 Depth=1
	s_or_b64 exec, exec, s[16:17]
	global_load_ubyte v45, v[44:45], off offset:12
	s_waitcnt vmcnt(0)
	v_cmp_ne_u16_e32 vcc, 0, v45
	s_and_saveexec_b64 s[16:17], vcc
	s_cbranch_execz .LBB225_130
; %bb.125:                              ;   in Loop: Header=BB225_10 Depth=1
	v_cmp_ne_u16_e32 vcc, s49, v45
	v_bfrev_b32_e32 v76, 1
	s_and_saveexec_b64 s[40:41], vcc
	s_cbranch_execz .LBB225_129
; %bb.126:                              ;   in Loop: Header=BB225_10 Depth=1
	v_and_b32_e32 v44, 0xffff, v45
	v_and_b32_e32 v46, 0x7f, v44
	v_cmp_ne_u32_e32 vcc, s50, v46
	v_mov_b32_e32 v76, 0x7f800001
	s_and_saveexec_b64 s[42:43], vcc
	s_cbranch_execz .LBB225_128
; %bb.127:                              ;   in Loop: Header=BB225_10 Depth=1
	v_and_b32_e32 v76, 7, v44
	v_ffbh_u32_e32 v78, v76
	v_min_u32_e32 v81, 32, v78
	v_subrev_u32_e32 v78, 28, v81
	v_lshlrev_b64 v[78:79], v78, v[44:45]
	v_lshrrev_b32_e32 v80, 3, v46
	v_sub_u32_e32 v44, 29, v81
	v_and_b32_e32 v78, 7, v78
	v_cmp_gt_u32_e32 vcc, 8, v46
	v_cndmask_b32_e32 v44, v80, v44, vcc
	v_cndmask_b32_e32 v46, v76, v78, vcc
	v_lshlrev_b32_e32 v45, 24, v45
	v_lshlrev_b32_e32 v46, 20, v46
	v_and_b32_e32 v45, 0x80000000, v45
	v_lshl_add_u32 v44, v44, 23, v56
	v_or3_b32 v76, v45, v44, v46
.LBB225_128:                            ;   in Loop: Header=BB225_10 Depth=1
	s_or_b64 exec, exec, s[42:43]
.LBB225_129:                            ;   in Loop: Header=BB225_10 Depth=1
	s_or_b64 exec, exec, s[40:41]
.LBB225_130:                            ;   in Loop: Header=BB225_10 Depth=1
	s_or_b64 exec, exec, s[16:17]
	global_load_ubyte v45, v[42:43], off offset:1280
	v_mov_b32_e32 v78, 0
	v_mov_b32_e32 v79, 0
	s_waitcnt vmcnt(0)
	v_cmp_ne_u16_e32 vcc, 0, v45
	s_and_saveexec_b64 s[16:17], vcc
	s_cbranch_execz .LBB225_136
; %bb.131:                              ;   in Loop: Header=BB225_10 Depth=1
	v_cmp_ne_u16_e32 vcc, s49, v45
	v_bfrev_b32_e32 v79, 1
	s_and_saveexec_b64 s[40:41], vcc
	s_cbranch_execz .LBB225_135
; %bb.132:                              ;   in Loop: Header=BB225_10 Depth=1
	v_and_b32_e32 v44, 0xffff, v45
	v_and_b32_e32 v46, 0x7f, v44
	v_cmp_ne_u32_e32 vcc, s50, v46
	v_mov_b32_e32 v79, 0x7f800001
	s_and_saveexec_b64 s[42:43], vcc
	s_cbranch_execz .LBB225_134
; %bb.133:                              ;   in Loop: Header=BB225_10 Depth=1
	v_and_b32_e32 v79, 7, v44
	v_ffbh_u32_e32 v80, v79
	v_min_u32_e32 v83, 32, v80
	v_subrev_u32_e32 v80, 28, v83
	v_lshlrev_b64 v[80:81], v80, v[44:45]
	v_lshrrev_b32_e32 v82, 3, v46
	v_sub_u32_e32 v44, 29, v83
	v_and_b32_e32 v80, 7, v80
	v_cmp_gt_u32_e32 vcc, 8, v46
	v_cndmask_b32_e32 v44, v82, v44, vcc
	v_cndmask_b32_e32 v46, v79, v80, vcc
	v_lshlrev_b32_e32 v45, 24, v45
	v_lshlrev_b32_e32 v46, 20, v46
	v_and_b32_e32 v45, 0x80000000, v45
	v_lshl_add_u32 v44, v44, 23, v56
	v_or3_b32 v79, v45, v44, v46
.LBB225_134:                            ;   in Loop: Header=BB225_10 Depth=1
	s_or_b64 exec, exec, s[42:43]
.LBB225_135:                            ;   in Loop: Header=BB225_10 Depth=1
	s_or_b64 exec, exec, s[40:41]
.LBB225_136:                            ;   in Loop: Header=BB225_10 Depth=1
	s_or_b64 exec, exec, s[16:17]
	global_load_ubyte v45, v[42:43], off offset:1284
	s_waitcnt vmcnt(0)
	v_cmp_ne_u16_e32 vcc, 0, v45
	s_and_saveexec_b64 s[16:17], vcc
	s_cbranch_execz .LBB225_142
; %bb.137:                              ;   in Loop: Header=BB225_10 Depth=1
	v_cmp_ne_u16_e32 vcc, s49, v45
	v_bfrev_b32_e32 v78, 1
	s_and_saveexec_b64 s[40:41], vcc
	s_cbranch_execz .LBB225_141
; %bb.138:                              ;   in Loop: Header=BB225_10 Depth=1
	v_and_b32_e32 v44, 0xffff, v45
	v_and_b32_e32 v46, 0x7f, v44
	v_cmp_ne_u32_e32 vcc, s50, v46
	v_mov_b32_e32 v78, 0x7f800001
	s_and_saveexec_b64 s[42:43], vcc
	s_cbranch_execz .LBB225_140
; %bb.139:                              ;   in Loop: Header=BB225_10 Depth=1
	v_and_b32_e32 v78, 7, v44
	v_ffbh_u32_e32 v80, v78
	v_min_u32_e32 v83, 32, v80
	v_subrev_u32_e32 v80, 28, v83
	v_lshlrev_b64 v[80:81], v80, v[44:45]
	v_lshrrev_b32_e32 v82, 3, v46
	v_sub_u32_e32 v44, 29, v83
	v_and_b32_e32 v80, 7, v80
	v_cmp_gt_u32_e32 vcc, 8, v46
	v_cndmask_b32_e32 v44, v82, v44, vcc
	v_cndmask_b32_e32 v46, v78, v80, vcc
	v_lshlrev_b32_e32 v45, 24, v45
	v_lshlrev_b32_e32 v46, 20, v46
	v_and_b32_e32 v45, 0x80000000, v45
	v_lshl_add_u32 v44, v44, 23, v56
	v_or3_b32 v78, v45, v44, v46
.LBB225_140:                            ;   in Loop: Header=BB225_10 Depth=1
	s_or_b64 exec, exec, s[42:43]
.LBB225_141:                            ;   in Loop: Header=BB225_10 Depth=1
	s_or_b64 exec, exec, s[40:41]
.LBB225_142:                            ;   in Loop: Header=BB225_10 Depth=1
	s_or_b64 exec, exec, s[16:17]
	v_add_co_u32_e32 v44, vcc, 0x500, v42
	v_addc_co_u32_e32 v45, vcc, 0, v43, vcc
	global_load_ubyte v82, v[44:45], off offset:8
	v_mov_b32_e32 v80, 0
	v_mov_b32_e32 v81, 0
	s_waitcnt vmcnt(0)
	v_cmp_ne_u16_e32 vcc, 0, v82
	s_and_saveexec_b64 s[16:17], vcc
	s_cbranch_execz .LBB225_148
; %bb.143:                              ;   in Loop: Header=BB225_10 Depth=1
	v_cmp_ne_u16_e32 vcc, s49, v82
	v_bfrev_b32_e32 v81, 1
	s_and_saveexec_b64 s[40:41], vcc
	s_cbranch_execz .LBB225_147
; %bb.144:                              ;   in Loop: Header=BB225_10 Depth=1
	v_and_b32_e32 v46, 0xffff, v82
	v_and_b32_e32 v83, 0x7f, v46
	v_cmp_ne_u32_e32 vcc, s50, v83
	v_mov_b32_e32 v81, 0x7f800001
	s_and_saveexec_b64 s[42:43], vcc
	s_cbranch_execz .LBB225_146
; %bb.145:                              ;   in Loop: Header=BB225_10 Depth=1
	v_and_b32_e32 v81, 7, v46
	v_ffbh_u32_e32 v84, v81
	v_min_u32_e32 v87, 32, v84
	v_subrev_u32_e32 v84, 28, v87
	v_lshlrev_b64 v[84:85], v84, v[46:47]
	v_lshrrev_b32_e32 v86, 3, v83
	v_sub_u32_e32 v46, 29, v87
	v_and_b32_e32 v84, 7, v84
	v_cmp_gt_u32_e32 vcc, 8, v83
	v_cndmask_b32_e32 v46, v86, v46, vcc
	v_cndmask_b32_e32 v81, v81, v84, vcc
	v_lshlrev_b32_e32 v82, 24, v82
	v_lshlrev_b32_e32 v81, 20, v81
	v_and_b32_e32 v82, 0x80000000, v82
	v_lshl_add_u32 v46, v46, 23, v56
	v_or3_b32 v81, v82, v46, v81
.LBB225_146:                            ;   in Loop: Header=BB225_10 Depth=1
	s_or_b64 exec, exec, s[42:43]
.LBB225_147:                            ;   in Loop: Header=BB225_10 Depth=1
	s_or_b64 exec, exec, s[40:41]
.LBB225_148:                            ;   in Loop: Header=BB225_10 Depth=1
	s_or_b64 exec, exec, s[16:17]
	global_load_ubyte v45, v[44:45], off offset:12
	s_waitcnt vmcnt(0)
	v_cmp_ne_u16_e32 vcc, 0, v45
	s_and_saveexec_b64 s[16:17], vcc
	s_cbranch_execz .LBB225_154
; %bb.149:                              ;   in Loop: Header=BB225_10 Depth=1
	v_cmp_ne_u16_e32 vcc, s49, v45
	v_bfrev_b32_e32 v80, 1
	s_and_saveexec_b64 s[40:41], vcc
	s_cbranch_execz .LBB225_153
; %bb.150:                              ;   in Loop: Header=BB225_10 Depth=1
	v_and_b32_e32 v44, 0xffff, v45
	v_and_b32_e32 v46, 0x7f, v44
	v_cmp_ne_u32_e32 vcc, s50, v46
	v_mov_b32_e32 v80, 0x7f800001
	s_and_saveexec_b64 s[42:43], vcc
	s_cbranch_execz .LBB225_152
; %bb.151:                              ;   in Loop: Header=BB225_10 Depth=1
	v_and_b32_e32 v80, 7, v44
	v_ffbh_u32_e32 v82, v80
	v_min_u32_e32 v85, 32, v82
	v_subrev_u32_e32 v82, 28, v85
	v_lshlrev_b64 v[82:83], v82, v[44:45]
	v_lshrrev_b32_e32 v84, 3, v46
	v_sub_u32_e32 v44, 29, v85
	v_and_b32_e32 v82, 7, v82
	v_cmp_gt_u32_e32 vcc, 8, v46
	v_cndmask_b32_e32 v44, v84, v44, vcc
	v_cndmask_b32_e32 v46, v80, v82, vcc
	v_lshlrev_b32_e32 v45, 24, v45
	v_lshlrev_b32_e32 v46, 20, v46
	v_and_b32_e32 v45, 0x80000000, v45
	v_lshl_add_u32 v44, v44, 23, v56
	v_or3_b32 v80, v45, v44, v46
.LBB225_152:                            ;   in Loop: Header=BB225_10 Depth=1
	s_or_b64 exec, exec, s[42:43]
.LBB225_153:                            ;   in Loop: Header=BB225_10 Depth=1
	s_or_b64 exec, exec, s[40:41]
.LBB225_154:                            ;   in Loop: Header=BB225_10 Depth=1
	s_or_b64 exec, exec, s[16:17]
	global_load_ubyte v45, v[42:43], off offset:1536
	v_mov_b32_e32 v82, 0
	v_mov_b32_e32 v83, 0
	s_waitcnt vmcnt(0)
	v_cmp_ne_u16_e32 vcc, 0, v45
	s_and_saveexec_b64 s[16:17], vcc
	s_cbranch_execz .LBB225_160
; %bb.155:                              ;   in Loop: Header=BB225_10 Depth=1
	v_cmp_ne_u16_e32 vcc, s49, v45
	v_bfrev_b32_e32 v83, 1
	s_and_saveexec_b64 s[40:41], vcc
	s_cbranch_execz .LBB225_159
; %bb.156:                              ;   in Loop: Header=BB225_10 Depth=1
	v_and_b32_e32 v44, 0xffff, v45
	v_and_b32_e32 v46, 0x7f, v44
	v_cmp_ne_u32_e32 vcc, s50, v46
	v_mov_b32_e32 v83, 0x7f800001
	s_and_saveexec_b64 s[42:43], vcc
	s_cbranch_execz .LBB225_158
; %bb.157:                              ;   in Loop: Header=BB225_10 Depth=1
	v_and_b32_e32 v83, 7, v44
	v_ffbh_u32_e32 v84, v83
	v_min_u32_e32 v87, 32, v84
	v_subrev_u32_e32 v84, 28, v87
	v_lshlrev_b64 v[84:85], v84, v[44:45]
	v_lshrrev_b32_e32 v86, 3, v46
	v_sub_u32_e32 v44, 29, v87
	v_and_b32_e32 v84, 7, v84
	v_cmp_gt_u32_e32 vcc, 8, v46
	v_cndmask_b32_e32 v44, v86, v44, vcc
	v_cndmask_b32_e32 v46, v83, v84, vcc
	v_lshlrev_b32_e32 v45, 24, v45
	v_lshlrev_b32_e32 v46, 20, v46
	v_and_b32_e32 v45, 0x80000000, v45
	v_lshl_add_u32 v44, v44, 23, v56
	v_or3_b32 v83, v45, v44, v46
.LBB225_158:                            ;   in Loop: Header=BB225_10 Depth=1
	s_or_b64 exec, exec, s[42:43]
.LBB225_159:                            ;   in Loop: Header=BB225_10 Depth=1
	s_or_b64 exec, exec, s[40:41]
.LBB225_160:                            ;   in Loop: Header=BB225_10 Depth=1
	s_or_b64 exec, exec, s[16:17]
	global_load_ubyte v45, v[42:43], off offset:1540
	s_waitcnt vmcnt(0)
	v_cmp_ne_u16_e32 vcc, 0, v45
	s_and_saveexec_b64 s[16:17], vcc
	s_cbranch_execz .LBB225_166
; %bb.161:                              ;   in Loop: Header=BB225_10 Depth=1
	v_cmp_ne_u16_e32 vcc, s49, v45
	v_bfrev_b32_e32 v82, 1
	s_and_saveexec_b64 s[40:41], vcc
	s_cbranch_execz .LBB225_165
; %bb.162:                              ;   in Loop: Header=BB225_10 Depth=1
	v_and_b32_e32 v44, 0xffff, v45
	v_and_b32_e32 v46, 0x7f, v44
	v_cmp_ne_u32_e32 vcc, s50, v46
	v_mov_b32_e32 v82, 0x7f800001
	s_and_saveexec_b64 s[42:43], vcc
	s_cbranch_execz .LBB225_164
; %bb.163:                              ;   in Loop: Header=BB225_10 Depth=1
	v_and_b32_e32 v82, 7, v44
	v_ffbh_u32_e32 v84, v82
	v_min_u32_e32 v87, 32, v84
	v_subrev_u32_e32 v84, 28, v87
	v_lshlrev_b64 v[84:85], v84, v[44:45]
	v_lshrrev_b32_e32 v86, 3, v46
	v_sub_u32_e32 v44, 29, v87
	v_and_b32_e32 v84, 7, v84
	v_cmp_gt_u32_e32 vcc, 8, v46
	v_cndmask_b32_e32 v44, v86, v44, vcc
	v_cndmask_b32_e32 v46, v82, v84, vcc
	v_lshlrev_b32_e32 v45, 24, v45
	v_lshlrev_b32_e32 v46, 20, v46
	v_and_b32_e32 v45, 0x80000000, v45
	v_lshl_add_u32 v44, v44, 23, v56
	v_or3_b32 v82, v45, v44, v46
.LBB225_164:                            ;   in Loop: Header=BB225_10 Depth=1
	s_or_b64 exec, exec, s[42:43]
.LBB225_165:                            ;   in Loop: Header=BB225_10 Depth=1
	s_or_b64 exec, exec, s[40:41]
.LBB225_166:                            ;   in Loop: Header=BB225_10 Depth=1
	s_or_b64 exec, exec, s[16:17]
	v_add_co_u32_e32 v44, vcc, 0x600, v42
	v_addc_co_u32_e32 v45, vcc, 0, v43, vcc
	global_load_ubyte v86, v[44:45], off offset:8
	v_mov_b32_e32 v84, 0
	v_mov_b32_e32 v85, 0
	s_waitcnt vmcnt(0)
	v_cmp_ne_u16_e32 vcc, 0, v86
	s_and_saveexec_b64 s[16:17], vcc
	s_cbranch_execz .LBB225_172
; %bb.167:                              ;   in Loop: Header=BB225_10 Depth=1
	v_cmp_ne_u16_e32 vcc, s49, v86
	v_bfrev_b32_e32 v85, 1
	s_and_saveexec_b64 s[40:41], vcc
	s_cbranch_execz .LBB225_171
; %bb.168:                              ;   in Loop: Header=BB225_10 Depth=1
	v_and_b32_e32 v46, 0xffff, v86
	v_and_b32_e32 v87, 0x7f, v46
	v_cmp_ne_u32_e32 vcc, s50, v87
	v_mov_b32_e32 v85, 0x7f800001
	s_and_saveexec_b64 s[42:43], vcc
	s_cbranch_execz .LBB225_170
; %bb.169:                              ;   in Loop: Header=BB225_10 Depth=1
	v_and_b32_e32 v85, 7, v46
	v_ffbh_u32_e32 v88, v85
	v_min_u32_e32 v91, 32, v88
	v_subrev_u32_e32 v88, 28, v91
	v_lshlrev_b64 v[88:89], v88, v[46:47]
	v_lshrrev_b32_e32 v90, 3, v87
	v_sub_u32_e32 v46, 29, v91
	v_and_b32_e32 v88, 7, v88
	v_cmp_gt_u32_e32 vcc, 8, v87
	v_cndmask_b32_e32 v46, v90, v46, vcc
	v_cndmask_b32_e32 v85, v85, v88, vcc
	v_lshlrev_b32_e32 v86, 24, v86
	v_lshlrev_b32_e32 v85, 20, v85
	v_and_b32_e32 v86, 0x80000000, v86
	v_lshl_add_u32 v46, v46, 23, v56
	v_or3_b32 v85, v86, v46, v85
.LBB225_170:                            ;   in Loop: Header=BB225_10 Depth=1
	s_or_b64 exec, exec, s[42:43]
.LBB225_171:                            ;   in Loop: Header=BB225_10 Depth=1
	s_or_b64 exec, exec, s[40:41]
.LBB225_172:                            ;   in Loop: Header=BB225_10 Depth=1
	s_or_b64 exec, exec, s[16:17]
	global_load_ubyte v45, v[44:45], off offset:12
	s_waitcnt vmcnt(0)
	v_cmp_ne_u16_e32 vcc, 0, v45
	s_and_saveexec_b64 s[16:17], vcc
	s_cbranch_execz .LBB225_178
; %bb.173:                              ;   in Loop: Header=BB225_10 Depth=1
	v_cmp_ne_u16_e32 vcc, s49, v45
	v_bfrev_b32_e32 v84, 1
	s_and_saveexec_b64 s[40:41], vcc
	s_cbranch_execz .LBB225_177
; %bb.174:                              ;   in Loop: Header=BB225_10 Depth=1
	v_and_b32_e32 v44, 0xffff, v45
	v_and_b32_e32 v46, 0x7f, v44
	v_cmp_ne_u32_e32 vcc, s50, v46
	v_mov_b32_e32 v84, 0x7f800001
	s_and_saveexec_b64 s[42:43], vcc
	s_cbranch_execz .LBB225_176
; %bb.175:                              ;   in Loop: Header=BB225_10 Depth=1
	v_and_b32_e32 v84, 7, v44
	v_ffbh_u32_e32 v86, v84
	v_min_u32_e32 v89, 32, v86
	v_subrev_u32_e32 v86, 28, v89
	v_lshlrev_b64 v[86:87], v86, v[44:45]
	v_lshrrev_b32_e32 v88, 3, v46
	v_sub_u32_e32 v44, 29, v89
	v_and_b32_e32 v86, 7, v86
	v_cmp_gt_u32_e32 vcc, 8, v46
	v_cndmask_b32_e32 v44, v88, v44, vcc
	v_cndmask_b32_e32 v46, v84, v86, vcc
	v_lshlrev_b32_e32 v45, 24, v45
	v_lshlrev_b32_e32 v46, 20, v46
	v_and_b32_e32 v45, 0x80000000, v45
	v_lshl_add_u32 v44, v44, 23, v56
	v_or3_b32 v84, v45, v44, v46
.LBB225_176:                            ;   in Loop: Header=BB225_10 Depth=1
	s_or_b64 exec, exec, s[42:43]
.LBB225_177:                            ;   in Loop: Header=BB225_10 Depth=1
	s_or_b64 exec, exec, s[40:41]
.LBB225_178:                            ;   in Loop: Header=BB225_10 Depth=1
	s_or_b64 exec, exec, s[16:17]
	global_load_ubyte v86, v[42:43], off offset:1792
	v_mov_b32_e32 v45, 0
	v_mov_b32_e32 v46, 0
	s_waitcnt vmcnt(0)
	v_cmp_ne_u16_e32 vcc, 0, v86
	s_and_saveexec_b64 s[16:17], vcc
	s_cbranch_execz .LBB225_184
; %bb.179:                              ;   in Loop: Header=BB225_10 Depth=1
	v_cmp_ne_u16_e32 vcc, s49, v86
	v_bfrev_b32_e32 v46, 1
	s_and_saveexec_b64 s[40:41], vcc
	s_cbranch_execz .LBB225_183
; %bb.180:                              ;   in Loop: Header=BB225_10 Depth=1
	v_and_b32_e32 v44, 0xffff, v86
	v_and_b32_e32 v87, 0x7f, v44
	v_cmp_ne_u32_e32 vcc, s50, v87
	v_mov_b32_e32 v46, 0x7f800001
	s_and_saveexec_b64 s[42:43], vcc
	s_cbranch_execz .LBB225_182
; %bb.181:                              ;   in Loop: Header=BB225_10 Depth=1
	v_and_b32_e32 v46, 7, v44
	v_ffbh_u32_e32 v88, v46
	v_min_u32_e32 v91, 32, v88
	v_subrev_u32_e32 v88, 28, v91
	v_lshlrev_b64 v[88:89], v88, v[44:45]
	v_lshrrev_b32_e32 v90, 3, v87
	v_sub_u32_e32 v44, 29, v91
	v_and_b32_e32 v88, 7, v88
	v_cmp_gt_u32_e32 vcc, 8, v87
	v_cndmask_b32_e32 v44, v90, v44, vcc
	v_cndmask_b32_e32 v46, v46, v88, vcc
	v_lshlrev_b32_e32 v86, 24, v86
	v_lshlrev_b32_e32 v46, 20, v46
	v_and_b32_e32 v86, 0x80000000, v86
	v_lshl_add_u32 v44, v44, 23, v56
	v_or3_b32 v46, v86, v44, v46
.LBB225_182:                            ;   in Loop: Header=BB225_10 Depth=1
	s_or_b64 exec, exec, s[42:43]
.LBB225_183:                            ;   in Loop: Header=BB225_10 Depth=1
	s_or_b64 exec, exec, s[40:41]
.LBB225_184:                            ;   in Loop: Header=BB225_10 Depth=1
	s_or_b64 exec, exec, s[16:17]
	global_load_ubyte v86, v[42:43], off offset:1796
	s_waitcnt vmcnt(0)
	v_cmp_ne_u16_e32 vcc, 0, v86
	s_and_saveexec_b64 s[16:17], vcc
	s_cbranch_execz .LBB225_190
; %bb.185:                              ;   in Loop: Header=BB225_10 Depth=1
	v_cmp_ne_u16_e32 vcc, s49, v86
	v_bfrev_b32_e32 v45, 1
	s_and_saveexec_b64 s[40:41], vcc
	s_cbranch_execz .LBB225_189
; %bb.186:                              ;   in Loop: Header=BB225_10 Depth=1
	v_and_b32_e32 v44, 0xffff, v86
	v_and_b32_e32 v87, 0x7f, v44
	v_cmp_ne_u32_e32 vcc, s50, v87
	v_mov_b32_e32 v45, 0x7f800001
	s_and_saveexec_b64 s[42:43], vcc
	s_cbranch_execz .LBB225_188
; %bb.187:                              ;   in Loop: Header=BB225_10 Depth=1
	v_and_b32_e32 v88, 7, v44
	v_ffbh_u32_e32 v45, v88
	v_min_u32_e32 v90, 32, v45
	v_subrev_u32_e32 v45, 28, v90
	v_lshlrev_b64 v[44:45], v45, v[44:45]
	v_lshrrev_b32_e32 v89, 3, v87
	v_sub_u32_e32 v45, 29, v90
	v_and_b32_e32 v44, 7, v44
	v_cmp_gt_u32_e32 vcc, 8, v87
	v_cndmask_b32_e32 v45, v89, v45, vcc
	v_cndmask_b32_e32 v44, v88, v44, vcc
	v_lshlrev_b32_e32 v86, 24, v86
	v_lshlrev_b32_e32 v44, 20, v44
	v_and_b32_e32 v86, 0x80000000, v86
	v_lshl_add_u32 v45, v45, 23, v56
	v_or3_b32 v45, v86, v45, v44
.LBB225_188:                            ;   in Loop: Header=BB225_10 Depth=1
	s_or_b64 exec, exec, s[42:43]
.LBB225_189:                            ;   in Loop: Header=BB225_10 Depth=1
	s_or_b64 exec, exec, s[40:41]
.LBB225_190:                            ;   in Loop: Header=BB225_10 Depth=1
	s_or_b64 exec, exec, s[16:17]
	v_add_co_u32_e32 v42, vcc, 0x700, v42
	v_addc_co_u32_e32 v43, vcc, 0, v43, vcc
	global_load_ubyte v88, v[42:43], off offset:8
	v_mov_b32_e32 v86, 0
	v_mov_b32_e32 v87, 0
	s_waitcnt vmcnt(0)
	v_cmp_ne_u16_e32 vcc, 0, v88
	s_and_saveexec_b64 s[16:17], vcc
	s_cbranch_execz .LBB225_196
; %bb.191:                              ;   in Loop: Header=BB225_10 Depth=1
	v_cmp_ne_u16_e32 vcc, s49, v88
	v_bfrev_b32_e32 v87, 1
	s_and_saveexec_b64 s[40:41], vcc
	s_cbranch_execz .LBB225_195
; %bb.192:                              ;   in Loop: Header=BB225_10 Depth=1
	v_and_b32_e32 v44, 0xffff, v88
	v_and_b32_e32 v89, 0x7f, v44
	v_cmp_ne_u32_e32 vcc, s50, v89
	v_mov_b32_e32 v87, 0x7f800001
	s_and_saveexec_b64 s[42:43], vcc
	s_cbranch_execz .LBB225_194
; %bb.193:                              ;   in Loop: Header=BB225_10 Depth=1
	v_and_b32_e32 v87, 7, v44
	v_ffbh_u32_e32 v90, v87
	v_min_u32_e32 v93, 32, v90
	v_subrev_u32_e32 v90, 28, v93
	v_lshlrev_b64 v[90:91], v90, v[44:45]
	v_lshrrev_b32_e32 v92, 3, v89
	v_sub_u32_e32 v44, 29, v93
	v_and_b32_e32 v90, 7, v90
	v_cmp_gt_u32_e32 vcc, 8, v89
	v_cndmask_b32_e32 v44, v92, v44, vcc
	v_cndmask_b32_e32 v87, v87, v90, vcc
	v_lshlrev_b32_e32 v88, 24, v88
	v_lshlrev_b32_e32 v87, 20, v87
	v_and_b32_e32 v88, 0x80000000, v88
	v_lshl_add_u32 v44, v44, 23, v56
	v_or3_b32 v87, v88, v44, v87
.LBB225_194:                            ;   in Loop: Header=BB225_10 Depth=1
	s_or_b64 exec, exec, s[42:43]
.LBB225_195:                            ;   in Loop: Header=BB225_10 Depth=1
	s_or_b64 exec, exec, s[40:41]
.LBB225_196:                            ;   in Loop: Header=BB225_10 Depth=1
	s_or_b64 exec, exec, s[16:17]
	global_load_ubyte v43, v[42:43], off offset:12
	s_waitcnt vmcnt(0)
	v_cmp_ne_u16_e32 vcc, 0, v43
	s_and_saveexec_b64 s[16:17], vcc
	s_cbranch_execz .LBB225_202
; %bb.197:                              ;   in Loop: Header=BB225_10 Depth=1
	v_cmp_ne_u16_e32 vcc, s49, v43
	v_bfrev_b32_e32 v86, 1
	s_and_saveexec_b64 s[40:41], vcc
	s_cbranch_execz .LBB225_201
; %bb.198:                              ;   in Loop: Header=BB225_10 Depth=1
	v_and_b32_e32 v42, 0xffff, v43
	v_and_b32_e32 v44, 0x7f, v42
	v_cmp_ne_u32_e32 vcc, s50, v44
	v_mov_b32_e32 v86, 0x7f800001
	s_and_saveexec_b64 s[42:43], vcc
	s_cbranch_execz .LBB225_200
; %bb.199:                              ;   in Loop: Header=BB225_10 Depth=1
	v_and_b32_e32 v86, 7, v42
	v_ffbh_u32_e32 v88, v86
	v_min_u32_e32 v91, 32, v88
	v_subrev_u32_e32 v88, 28, v91
	v_lshlrev_b64 v[88:89], v88, v[42:43]
	v_lshrrev_b32_e32 v90, 3, v44
	v_sub_u32_e32 v42, 29, v91
	v_and_b32_e32 v88, 7, v88
	v_cmp_gt_u32_e32 vcc, 8, v44
	v_cndmask_b32_e32 v42, v90, v42, vcc
	v_cndmask_b32_e32 v44, v86, v88, vcc
	v_lshlrev_b32_e32 v43, 24, v43
	v_lshlrev_b32_e32 v44, 20, v44
	v_and_b32_e32 v43, 0x80000000, v43
	v_lshl_add_u32 v42, v42, 23, v56
	v_or3_b32 v86, v43, v42, v44
.LBB225_200:                            ;   in Loop: Header=BB225_10 Depth=1
	s_or_b64 exec, exec, s[42:43]
.LBB225_201:                            ;   in Loop: Header=BB225_10 Depth=1
	s_or_b64 exec, exec, s[40:41]
.LBB225_202:                            ;   in Loop: Header=BB225_10 Depth=1
	s_or_b64 exec, exec, s[16:17]
	s_waitcnt lgkmcnt(0)
	v_mul_f32_e32 v59, s47, v59
	v_mul_f32_e32 v58, s47, v58
	;; [unrolled: 1-line block ×4, first 2 shown]
	v_fmac_f32_e32 v59, v2, v58
	v_mul_f32_e32 v60, s47, v60
	v_fmac_f32_e32 v59, v4, v61
	v_mul_f32_e32 v63, s47, v63
	;; [unrolled: 2-line block ×24, first 2 shown]
	v_mul_f32_e32 v46, s47, v85
	v_fmac_f32_e32 v59, v27, v82
	v_mul_f32_e32 v43, s47, v45
	v_mul_f32_e32 v45, s47, v84
	v_fmac_f32_e32 v59, v28, v46
	v_fmac_f32_e32 v59, v29, v45
	;; [unrolled: 1-line block ×3, first 2 shown]
	v_mul_f32_e32 v42, s47, v87
	v_fmac_f32_e32 v59, v31, v43
	v_mul_f32_e32 v84, s47, v86
	v_fmac_f32_e32 v59, v32, v42
	v_fmac_f32_e32 v59, v33, v84
	ds_bpermute_b32 v42, v52, v59
	s_waitcnt lgkmcnt(0)
	v_add_f32_e32 v42, v59, v42
	ds_bpermute_b32 v43, v53, v42
	s_and_saveexec_b64 s[16:17], s[2:3]
	s_cbranch_execz .LBB225_9
; %bb.203:                              ;   in Loop: Header=BB225_10 Depth=1
	v_add_u32_e32 v44, s48, v54
	v_cvt_f32_i32_e32 v44, v44
	s_waitcnt lgkmcnt(0)
	v_add_f32_e32 v42, v42, v43
	v_cmp_gt_i32_e32 vcc, s29, v54
	v_max_f32_e32 v43, v51, v51
	v_mul_f32_e32 v44, s45, v44
	v_cndmask_b32_e64 v44, 0, v44, s[4:5]
	v_fmac_f32_e32 v44, s11, v42
	v_cndmask_b32_e32 v42, 0, v44, vcc
	ds_write_b32 v55, v42
	v_max_f32_e32 v42, v43, v44
	v_cndmask_b32_e32 v51, v51, v42, vcc
	s_branch .LBB225_9
.LBB225_204:
	s_or_b64 exec, exec, s[14:15]
.LBB225_205:
	s_or_b64 exec, exec, s[38:39]
	v_xor_b32_e32 v2, 32, v49
	v_cmp_lt_i32_e32 vcc, v2, v50
	v_cndmask_b32_e32 v2, v49, v2, vcc
	v_lshlrev_b32_e32 v2, 2, v2
	ds_bpermute_b32 v3, v2, v51
	v_xor_b32_e32 v5, 16, v49
	v_max_f32_e32 v4, v51, v51
	v_cmp_lt_i32_e32 vcc, v5, v50
	v_xor_b32_e32 v6, 8, v49
	s_waitcnt lgkmcnt(0)
	v_max_f32_e32 v3, v3, v3
	v_max_f32_e32 v4, v4, v3
	v_cndmask_b32_e32 v3, v49, v5, vcc
	v_lshlrev_b32_e32 v3, 2, v3
	ds_bpermute_b32 v5, v3, v4
	v_cmp_lt_i32_e32 vcc, v6, v50
	v_and_b32_e32 v62, 63, v0
	s_waitcnt lgkmcnt(0)
	v_max_f32_e32 v5, v5, v5
	v_max_f32_e32 v4, v4, v5
	v_cndmask_b32_e32 v5, v49, v6, vcc
	v_lshlrev_b32_e32 v7, 2, v5
	ds_bpermute_b32 v5, v7, v4
	v_xor_b32_e32 v6, 4, v49
	v_cmp_lt_i32_e32 vcc, v6, v50
	s_waitcnt lgkmcnt(0)
	v_max_f32_e32 v5, v5, v5
	v_max_f32_e32 v4, v4, v5
	v_cndmask_b32_e32 v5, v49, v6, vcc
	v_lshlrev_b32_e32 v8, 2, v5
	ds_bpermute_b32 v6, v8, v4
	v_cmp_eq_u32_e32 vcc, 0, v62
	v_lshlrev_b32_e32 v5, 2, v48
	s_and_saveexec_b64 s[2:3], vcc
	s_cbranch_execz .LBB225_207
; %bb.206:
	s_waitcnt lgkmcnt(0)
	v_max_f32_e32 v6, v6, v6
	v_max_f32_e32 v4, v4, v4
	;; [unrolled: 1-line block ×3, first 2 shown]
	ds_write_b32 v5, v4 offset:512
.LBB225_207:
	s_or_b64 exec, exec, s[2:3]
	v_cmp_gt_u32_e64 s[2:3], 2, v62
	v_mov_b32_e32 v4, 0xff7fffff
	s_waitcnt lgkmcnt(0)
	v_lshlrev_b32_e32 v6, 2, v62
	s_barrier
	s_and_saveexec_b64 s[4:5], s[2:3]
	s_cbranch_execz .LBB225_209
; %bb.208:
	ds_read_b32 v4, v6 offset:512
.LBB225_209:
	s_or_b64 exec, exec, s[4:5]
	v_xor_b32_e32 v9, 1, v49
	v_cmp_lt_i32_e64 s[4:5], v9, v50
	v_cndmask_b32_e64 v9, v49, v9, s[4:5]
	v_lshlrev_b32_e32 v63, 2, v9
	s_waitcnt lgkmcnt(0)
	ds_bpermute_b32 v9, v63, v4
	v_max_f32_e32 v4, v4, v4
	s_sub_i32 s4, s33, s10
	s_lshl_b32 s4, s4, 4
	s_add_i32 s4, s4, s44
	s_waitcnt lgkmcnt(0)
	v_max_f32_e32 v9, v9, v9
	v_max_f32_e32 v4, v4, v9
	v_lshlrev_b32_e32 v9, 2, v49
	v_and_b32_e32 v9, 0xffffff00, v9
	ds_bpermute_b32 v4, v9, v4
	s_min_i32 s39, s4, s29
	s_sub_i32 s38, s39, s44
	v_cmp_gt_i32_e64 s[4:5], s38, v0
	v_mov_b32_e32 v10, 0
	s_and_saveexec_b64 s[14:15], s[4:5]
	s_cbranch_execz .LBB225_213
; %bb.210:
	v_mov_b32_e32 v10, 0x210
	v_lshl_add_u32 v11, v0, 2, v10
	s_mov_b64 s[16:17], 0
	v_mov_b32_e32 v10, 0
	v_mov_b32_e32 v12, v0
.LBB225_211:                            ; =>This Inner Loop Header: Depth=1
	ds_read_b32 v13, v11
	v_add_u32_e32 v12, 0x80, v12
	v_cmp_le_i32_e64 s[10:11], s38, v12
	s_or_b64 s[16:17], s[10:11], s[16:17]
	s_waitcnt lgkmcnt(0)
	v_sub_f32_e32 v13, v13, v4
	v_mul_f32_e32 v13, 0x3fb8aa3b, v13
	v_exp_f32_e32 v13, v13
	ds_write_b32 v11, v13
	v_add_f32_e32 v10, v10, v13
	v_add_u32_e32 v11, 0x200, v11
	s_andn2_b64 exec, exec, s[16:17]
	s_cbranch_execnz .LBB225_211
; %bb.212:
	s_or_b64 exec, exec, s[16:17]
.LBB225_213:
	s_or_b64 exec, exec, s[14:15]
	ds_bpermute_b32 v2, v2, v10
	s_waitcnt lgkmcnt(0)
	v_add_f32_e32 v2, v10, v2
	ds_bpermute_b32 v3, v3, v2
	s_waitcnt lgkmcnt(0)
	v_add_f32_e32 v2, v2, v3
	ds_bpermute_b32 v3, v7, v2
	v_xor_b32_e32 v7, 2, v49
	v_cmp_lt_i32_e64 s[10:11], v7, v50
	v_cndmask_b32_e64 v7, v49, v7, s[10:11]
	v_lshlrev_b32_e32 v64, 2, v7
	s_waitcnt lgkmcnt(0)
	v_add_f32_e32 v2, v2, v3
	ds_bpermute_b32 v3, v8, v2
	s_waitcnt lgkmcnt(0)
	v_add_f32_e32 v2, v2, v3
	ds_bpermute_b32 v3, v64, v2
	;; [unrolled: 3-line block ×3, first 2 shown]
	s_waitcnt lgkmcnt(0)
	v_add_f32_e32 v2, v2, v3
	s_and_saveexec_b64 s[10:11], vcc
	s_cbranch_execz .LBB225_215
; %bb.214:
	ds_write_b32 v5, v2 offset:520
.LBB225_215:
	s_or_b64 exec, exec, s[10:11]
	s_waitcnt lgkmcnt(0)
	s_barrier
	s_and_saveexec_b64 s[10:11], s[2:3]
	s_cbranch_execz .LBB225_217
; %bb.216:
	ds_read_b32 v2, v6 offset:520
.LBB225_217:
	s_or_b64 exec, exec, s[10:11]
	s_waitcnt lgkmcnt(0)
	ds_bpermute_b32 v3, v63, v2
	s_waitcnt lgkmcnt(0)
	v_add_f32_e32 v2, v2, v3
	ds_bpermute_b32 v5, v9, v2
	s_and_saveexec_b64 s[2:3], s[4:5]
	s_cbranch_execz .LBB225_230
; %bb.218:
	s_waitcnt lgkmcnt(0)
	v_add_f32_e32 v2, 0x358637bd, v5
	v_div_scale_f32 v3, s[4:5], v2, v2, 1.0
	v_rcp_f32_e32 v6, v3
	v_div_scale_f32 v7, vcc, 1.0, v2, 1.0
	s_movk_i32 s4, 0x7f
	v_fma_f32 v8, -v3, v6, 1.0
	v_fmac_f32_e32 v6, v8, v6
	v_mul_f32_e32 v8, v7, v6
	v_fma_f32 v9, -v3, v8, v7
	v_fmac_f32_e32 v8, v9, v6
	v_fma_f32 v3, -v3, v8, v7
	v_div_fmas_f32 v3, v3, v6, v8
	v_div_fixup_f32 v2, v3, v2, 1.0
	v_xad_u32 v3, v0, -1, s39
	v_subrev_u32_e32 v6, s44, v3
	v_cmp_lt_u32_e32 vcc, s4, v6
	s_mov_b64 s[10:11], -1
	v_mov_b32_e32 v3, v0
	s_and_saveexec_b64 s[4:5], vcc
	s_cbranch_execz .LBB225_227
; %bb.219:
	v_lshrrev_b32_e32 v6, 7, v6
	v_add_u32_e32 v8, -1, v6
	v_lshrrev_b32_e32 v7, 1, v8
	v_mov_b32_e32 v3, v2
	v_add_u32_e32 v7, 1, v7
	v_cmp_lt_u32_e32 vcc, 13, v8
	v_mov_b32_e32 v10, 0
	s_and_saveexec_b64 s[10:11], vcc
	s_cbranch_execz .LBB225_223
; %bb.220:
	v_mov_b32_e32 v9, 0x210
	v_and_b32_e32 v8, -8, v7
	v_lshl_add_u32 v9, v0, 2, v9
	s_mov_b32 s16, 0
	s_mov_b64 s[14:15], 0
.LBB225_221:                            ; =>This Inner Loop Header: Depth=1
	ds_read2st64_b32 v[10:11], v9 offset1:2
	ds_read2st64_b32 v[12:13], v9 offset0:4 offset1:6
	ds_read2st64_b32 v[14:15], v9 offset0:8 offset1:10
	;; [unrolled: 1-line block ×3, first 2 shown]
	v_add_u32_e32 v8, -8, v8
	s_waitcnt lgkmcnt(3)
	v_pk_mul_f32 v[10:11], v[2:3], v[10:11]
	s_waitcnt lgkmcnt(2)
	v_pk_mul_f32 v[12:13], v[2:3], v[12:13]
	ds_write2st64_b32 v9, v10, v11 offset1:2
	ds_write2st64_b32 v9, v12, v13 offset0:4 offset1:6
	ds_read2st64_b32 v[12:13], v9 offset0:16 offset1:18
	s_waitcnt lgkmcnt(4)
	v_pk_mul_f32 v[10:11], v[2:3], v[14:15]
	ds_write2st64_b32 v9, v10, v11 offset0:8 offset1:10
	s_waitcnt lgkmcnt(4)
	v_pk_mul_f32 v[10:11], v[2:3], v[16:17]
	ds_write2st64_b32 v9, v10, v11 offset0:12 offset1:14
	ds_read2st64_b32 v[10:11], v9 offset0:20 offset1:22
	s_waitcnt lgkmcnt(3)
	v_pk_mul_f32 v[12:13], v[2:3], v[12:13]
	ds_read2st64_b32 v[14:15], v9 offset0:24 offset1:26
	ds_write2st64_b32 v9, v12, v13 offset0:16 offset1:18
	ds_read2st64_b32 v[12:13], v9 offset0:28 offset1:30
	s_waitcnt lgkmcnt(3)
	v_pk_mul_f32 v[10:11], v[2:3], v[10:11]
	ds_write2st64_b32 v9, v10, v11 offset0:20 offset1:22
	s_waitcnt lgkmcnt(3)
	v_pk_mul_f32 v[10:11], v[2:3], v[14:15]
	ds_write2st64_b32 v9, v10, v11 offset0:24 offset1:26
	s_waitcnt lgkmcnt(2)
	v_pk_mul_f32 v[10:11], v[2:3], v[12:13]
	s_add_i32 s16, s16, 16
	v_cmp_eq_u32_e32 vcc, 0, v8
	ds_write2st64_b32 v9, v10, v11 offset0:28 offset1:30
	v_add_u32_e32 v9, 0x2000, v9
	s_or_b64 s[14:15], vcc, s[14:15]
	v_mov_b32_e32 v10, s16
	s_andn2_b64 exec, exec, s[14:15]
	s_cbranch_execnz .LBB225_221
; %bb.222:
	s_or_b64 exec, exec, s[14:15]
.LBB225_223:
	s_or_b64 exec, exec, s[10:11]
	v_and_b32_e32 v7, 7, v7
	v_cmp_ne_u32_e32 vcc, 0, v7
	s_and_saveexec_b64 s[10:11], vcc
	s_cbranch_execz .LBB225_226
; %bb.224:
	v_lshlrev_b32_e32 v8, 9, v10
	s_movk_i32 s14, 0x210
	v_add3_u32 v8, v8, v47, s14
	s_mov_b64 s[14:15], 0
.LBB225_225:                            ; =>This Inner Loop Header: Depth=1
	ds_read2st64_b32 v[10:11], v8 offset1:2
	v_add_u32_e32 v7, -1, v7
	v_cmp_eq_u32_e32 vcc, 0, v7
	s_or_b64 s[14:15], vcc, s[14:15]
	s_waitcnt lgkmcnt(0)
	v_pk_mul_f32 v[10:11], v[2:3], v[10:11]
	ds_write2st64_b32 v8, v10, v11 offset1:2
	v_add_u32_e32 v8, 0x400, v8
	s_andn2_b64 exec, exec, s[14:15]
	s_cbranch_execnz .LBB225_225
.LBB225_226:
	s_or_b64 exec, exec, s[10:11]
	v_add_u32_e32 v6, 1, v6
	v_and_b32_e32 v7, 0x3fffffe, v6
	v_cmp_ne_u32_e32 vcc, v6, v7
	v_lshl_add_u32 v3, v7, 7, v0
	s_orn2_b64 s[10:11], vcc, exec
.LBB225_227:
	s_or_b64 exec, exec, s[4:5]
	s_and_b64 exec, exec, s[10:11]
	s_cbranch_execz .LBB225_230
; %bb.228:
	v_mov_b32_e32 v6, 0x210
	v_lshl_add_u32 v6, v3, 2, v6
	s_mov_b64 s[4:5], 0
.LBB225_229:                            ; =>This Inner Loop Header: Depth=1
	ds_read_b32 v7, v6
	v_add_u32_e32 v3, 0x80, v3
	v_cmp_le_i32_e32 vcc, s38, v3
	s_or_b64 s[4:5], vcc, s[4:5]
	s_waitcnt lgkmcnt(0)
	v_mul_f32_e32 v7, v2, v7
	ds_write_b32 v6, v7
	v_add_u32_e32 v6, 0x200, v6
	s_andn2_b64 exec, exec, s[4:5]
	s_cbranch_execnz .LBB225_229
.LBB225_230:
	s_or_b64 exec, exec, s[2:3]
	s_mul_i32 s2, s25, s28
	v_cmp_eq_u32_e32 vcc, 0, v0
	s_mul_i32 s2, s2, s9
	s_waitcnt lgkmcnt(0)
	s_barrier
	s_and_saveexec_b64 s[4:5], vcc
	s_cbranch_execz .LBB225_232
; %bb.231:
	s_ashr_i32 s3, s2, 31
	s_lshl_b64 s[10:11], s[2:3], 2
	s_add_u32 s3, s22, s10
	s_mul_i32 s14, s25, s6
	s_addc_u32 s9, s23, s11
	s_ashr_i32 s15, s14, 31
	s_lshl_b64 s[14:15], s[14:15], 2
	s_add_u32 s3, s3, s14
	s_addc_u32 s6, s9, s15
	s_ashr_i32 s9, s8, 31
	s_lshl_b64 s[16:17], s[8:9], 2
	s_add_u32 s22, s3, s16
	s_addc_u32 s23, s6, s17
	s_add_u32 s3, s20, s10
	s_addc_u32 s6, s21, s11
	;; [unrolled: 2-line block ×3, first 2 shown]
	s_add_u32 s10, s3, s16
	v_mov_b32_e32 v2, 0
	s_addc_u32 s11, s6, s17
	global_store_dword v2, v4, s[22:23]
	global_store_dword v2, v5, s[10:11]
.LBB225_232:
	s_or_b64 exec, exec, s[4:5]
	s_mov_b32 s6, 0
	v_mov_b32_e32 v7, 0
	v_mov_b32_e32 v6, 0
	;; [unrolled: 1-line block ×8, first 2 shown]
	s_and_saveexec_b64 s[4:5], s[0:1]
	s_cbranch_execz .LBB225_444
; %bb.233:
	s_ashr_i32 s0, s12, 31
	s_add_u32 s1, s36, s12
	v_and_b32_e32 v3, 0xfc, v47
	v_and_b32_e32 v2, 12, v47
	s_load_dword s10, s[18:19], 0x0
	s_addc_u32 s0, s37, s0
	v_add_co_u32_e32 v16, vcc, s1, v3
	v_lshl_add_u32 v3, v48, 4, s44
	s_add_i32 s9, s7, -1
	v_mov_b32_e32 v4, s0
	v_add3_u32 v65, v3, v2, 3
	v_lshlrev_b32_e32 v2, 4, v34
	s_lshl_b64 s[0:1], s[34:35], 2
	v_lshl_or_b32 v2, v48, 6, v2
	s_add_u32 s0, s30, s0
	v_addc_co_u32_e32 v17, vcc, 0, v4, vcc
	v_add_u32_e32 v66, 0x210, v2
	v_lshlrev_b64 v[2:3], 2, v[36:37]
	s_addc_u32 s1, s31, s1
	v_mov_b32_e32 v4, s1
	v_add_co_u32_e32 v18, vcc, s0, v2
	s_mov_b32 s3, s13
	s_waitcnt lgkmcnt(0)
	s_mov_b32 s11, s10
	v_mov_b32_e32 v15, 0
	v_addc_co_u32_e32 v19, vcc, v4, v3, vcc
	s_mov_b64 s[12:13], 0
	s_movk_i32 s22, 0x80
	s_movk_i32 s23, 0x7f
	s_brev_b32 s7, 1
	s_mov_b32 s15, 0x7f800001
	s_mov_b32 s28, 0xffffff
	v_bfrev_b32_e32 v37, 60
	v_mov_b32_e32 v67, 7
	v_mov_b32_e32 v68, 24
	;; [unrolled: 1-line block ×10, first 2 shown]
	s_branch .LBB225_235
.LBB225_234:                            ;   in Loop: Header=BB225_235 Depth=1
	s_or_b64 exec, exec, s[0:1]
	s_waitcnt lgkmcnt(0)
	v_mul_f32_e32 v14, v3, v21
	v_fmac_f32_e32 v14, v2, v20
	v_fmac_f32_e32 v14, v4, v22
	v_fmac_f32_e32 v14, v5, v23
	v_add_f32_e32 v12, v12, v14
	v_mul_f32_e32 v14, v3, v27
	v_fmac_f32_e32 v14, v2, v26
	v_fmac_f32_e32 v14, v4, v28
	v_fmac_f32_e32 v14, v5, v29
	v_add_f32_e32 v13, v13, v14
	;; [unrolled: 5-line block ×6, first 2 shown]
	v_mul_f32_e32 v14, v3, v51
	v_mul_f32_e32 v3, v3, v25
	v_fmac_f32_e32 v14, v2, v50
	v_fmac_f32_e32 v3, v2, v24
	v_add_u32_e32 v36, 2, v36
	v_fmac_f32_e32 v14, v4, v52
	v_fmac_f32_e32 v3, v4, v54
	v_cmp_le_i32_e32 vcc, s33, v36
	v_fmac_f32_e32 v14, v5, v53
	v_fmac_f32_e32 v3, v5, v55
	s_or_b64 s[12:13], vcc, s[12:13]
	v_add_co_u32_e32 v18, vcc, 8, v18
	v_add_f32_e32 v6, v6, v14
	v_add_f32_e32 v7, v7, v3
	v_add_u32_e32 v65, 32, v65
	v_add_u32_e32 v66, 0x80, v66
	v_addc_co_u32_e32 v19, vcc, 0, v19, vcc
	s_andn2_b64 exec, exec, s[12:13]
	s_cbranch_execz .LBB225_443
.LBB225_235:                            ; =>This Inner Loop Header: Depth=1
	global_load_dword v2, v[18:19], off
	v_pk_mov_b32 v[26:27], 0, 0
	v_pk_mov_b32 v[22:23], v[26:27], v[26:27] op_sel:[0,1]
	s_waitcnt vmcnt(0)
	v_mad_i64_i32 v[24:25], s[0:1], v2, s3, v[16:17]
	global_load_dword v20, v[24:25], off
	ds_read_b128 v[2:5], v66
	s_waitcnt vmcnt(0)
	v_cmp_ne_u16_sdwa s[16:17], v20, v15 src0_sel:BYTE_0 src1_sel:DWORD
	s_and_saveexec_b64 s[0:1], s[16:17]
	s_cbranch_execz .LBB225_241
; %bb.236:                              ;   in Loop: Header=BB225_235 Depth=1
	v_bfrev_b32_e32 v22, 1
	v_cmp_ne_u16_sdwa s[18:19], v20, s22 src0_sel:BYTE_0 src1_sel:DWORD
	v_mov_b32_e32 v23, 0
	s_and_saveexec_b64 s[16:17], s[18:19]
	s_cbranch_execz .LBB225_240
; %bb.237:                              ;   in Loop: Header=BB225_235 Depth=1
	v_and_b32_e32 v14, 0x7f, v20
	v_mov_b32_e32 v22, 0x7f800001
	v_cmp_ne_u32_e32 vcc, s23, v14
	v_mov_b32_e32 v23, 0
	s_and_saveexec_b64 s[18:19], vcc
	s_cbranch_execz .LBB225_239
; %bb.238:                              ;   in Loop: Header=BB225_235 Depth=1
	v_and_b32_e32 v21, 7, v20
	v_ffbh_u32_e32 v22, v21
	v_min_u32_e32 v29, 32, v22
	v_subrev_u32_e32 v22, 28, v29
	v_lshlrev_b64 v[22:23], v22, v[20:21]
	v_lshrrev_b32_e32 v28, 3, v14
	v_sub_u32_e32 v23, 29, v29
	v_and_b32_e32 v22, 7, v22
	v_cmp_gt_u32_e32 vcc, 8, v14
	v_cndmask_b32_e32 v14, v28, v23, vcc
	v_cndmask_b32_e32 v21, v21, v22, vcc
	v_lshlrev_b32_e32 v21, 20, v21
	v_and_b32_sdwa v22, sext(v20), s7 dst_sel:DWORD dst_unused:UNUSED_PAD src0_sel:BYTE_0 src1_sel:DWORD
	v_lshl_add_u32 v14, v14, 23, v37
	v_or3_b32 v14, v22, v14, v21
	v_pk_mov_b32 v[22:23], v[14:15], v[14:15] op_sel:[0,1]
.LBB225_239:                            ;   in Loop: Header=BB225_235 Depth=1
	s_or_b64 exec, exec, s[18:19]
.LBB225_240:                            ;   in Loop: Header=BB225_235 Depth=1
	s_or_b64 exec, exec, s[16:17]
.LBB225_241:                            ;   in Loop: Header=BB225_235 Depth=1
	s_or_b64 exec, exec, s[0:1]
	v_cmp_ne_u16_sdwa s[16:17], v20, v15 src0_sel:BYTE_1 src1_sel:DWORD
	s_and_saveexec_b64 s[0:1], s[16:17]
	s_cbranch_execz .LBB225_247
; %bb.242:                              ;   in Loop: Header=BB225_235 Depth=1
	v_cmp_ne_u16_sdwa s[18:19], v20, s22 src0_sel:BYTE_1 src1_sel:DWORD
	v_pk_mov_b32 v[26:27], s[6:7], s[6:7] op_sel:[0,1]
	s_and_saveexec_b64 s[16:17], s[18:19]
	s_cbranch_execz .LBB225_246
; %bb.243:                              ;   in Loop: Header=BB225_235 Depth=1
	v_and_b32_sdwa v21, v20, s23 dst_sel:DWORD dst_unused:UNUSED_PAD src0_sel:BYTE_1 src1_sel:DWORD
	s_mov_b32 s14, s6
	v_cmp_ne_u32_e32 vcc, s23, v21
	v_pk_mov_b32 v[26:27], s[14:15], s[14:15] op_sel:[0,1]
	s_and_saveexec_b64 s[18:19], vcc
	s_cbranch_execz .LBB225_245
; %bb.244:                              ;   in Loop: Header=BB225_235 Depth=1
	v_and_b32_sdwa v14, v20, v67 dst_sel:DWORD dst_unused:UNUSED_PAD src0_sel:BYTE_1 src1_sel:DWORD
	v_ffbh_u32_e32 v26, v14
	v_min_u32_e32 v29, 32, v26
	v_subrev_u32_e32 v26, 28, v29
	v_lshlrev_b64 v[26:27], v26, v[14:15]
	v_lshrrev_b32_e32 v28, 3, v21
	v_sub_u32_e32 v27, 29, v29
	v_cmp_gt_u32_e32 vcc, 8, v21
	v_and_b32_e32 v26, 7, v26
	v_cndmask_b32_e32 v21, v28, v27, vcc
	v_cndmask_b32_e32 v14, v14, v26, vcc
	v_lshlrev_b32_e32 v26, 16, v20
	v_lshl_add_u32 v21, v21, 23, v37
	v_and_or_b32 v21, v26, s7, v21
	v_lshlrev_b32_e32 v14, 20, v14
	v_or_b32_e32 v27, v21, v14
	v_mov_b32_e32 v26, v15
.LBB225_245:                            ;   in Loop: Header=BB225_235 Depth=1
	s_or_b64 exec, exec, s[18:19]
.LBB225_246:                            ;   in Loop: Header=BB225_235 Depth=1
	s_or_b64 exec, exec, s[16:17]
.LBB225_247:                            ;   in Loop: Header=BB225_235 Depth=1
	s_or_b64 exec, exec, s[0:1]
	v_lshrrev_b32_e32 v14, 16, v20
	v_pk_mov_b32 v[30:31], 0, 0
	v_cmp_ne_u16_sdwa s[16:17], v14, v15 src0_sel:BYTE_0 src1_sel:DWORD
	v_pk_mov_b32 v[28:29], v[30:31], v[30:31] op_sel:[0,1]
	s_and_saveexec_b64 s[0:1], s[16:17]
	s_cbranch_execz .LBB225_253
; %bb.248:                              ;   in Loop: Header=BB225_235 Depth=1
	v_bfrev_b32_e32 v28, 1
	v_cmp_ne_u16_sdwa s[18:19], v14, s22 src0_sel:BYTE_0 src1_sel:DWORD
	v_mov_b32_e32 v29, 0
	s_and_saveexec_b64 s[16:17], s[18:19]
	s_cbranch_execz .LBB225_252
; %bb.249:                              ;   in Loop: Header=BB225_235 Depth=1
	v_bfe_u32 v21, v20, 16, 7
	v_mov_b32_e32 v28, 0x7f800001
	v_cmp_ne_u32_e32 vcc, s23, v21
	v_mov_b32_e32 v29, 0
	s_and_saveexec_b64 s[18:19], vcc
	s_cbranch_execz .LBB225_251
; %bb.250:                              ;   in Loop: Header=BB225_235 Depth=1
	v_and_b32_e32 v32, 7, v14
	v_ffbh_u32_e32 v28, v32
	v_min_u32_e32 v38, 32, v28
	v_subrev_u32_e32 v28, 28, v38
	v_lshlrev_b64 v[28:29], v28, v[14:15]
	v_lshrrev_b32_e32 v33, 3, v21
	v_sub_u32_e32 v29, 29, v38
	v_and_b32_e32 v28, 7, v28
	v_cmp_gt_u32_e32 vcc, 8, v21
	v_cndmask_b32_e32 v21, v33, v29, vcc
	v_cndmask_b32_e32 v28, v32, v28, vcc
	v_lshlrev_b32_e32 v28, 20, v28
	v_and_b32_sdwa v14, sext(v14), s7 dst_sel:DWORD dst_unused:UNUSED_PAD src0_sel:BYTE_0 src1_sel:DWORD
	v_lshl_add_u32 v21, v21, 23, v37
	v_or3_b32 v14, v14, v21, v28
	v_pk_mov_b32 v[28:29], v[14:15], v[14:15] op_sel:[0,1]
.LBB225_251:                            ;   in Loop: Header=BB225_235 Depth=1
	s_or_b64 exec, exec, s[18:19]
.LBB225_252:                            ;   in Loop: Header=BB225_235 Depth=1
	s_or_b64 exec, exec, s[16:17]
.LBB225_253:                            ;   in Loop: Header=BB225_235 Depth=1
	s_or_b64 exec, exec, s[0:1]
	v_cmp_lt_u32_e32 vcc, s28, v20
	s_and_saveexec_b64 s[0:1], vcc
	s_cbranch_execz .LBB225_259
; %bb.254:                              ;   in Loop: Header=BB225_235 Depth=1
	v_cmp_ne_u32_sdwa s[18:19], v20, s22 src0_sel:BYTE_3 src1_sel:DWORD
	v_pk_mov_b32 v[30:31], s[6:7], s[6:7] op_sel:[0,1]
	s_and_saveexec_b64 s[16:17], s[18:19]
	s_cbranch_execz .LBB225_258
; %bb.255:                              ;   in Loop: Header=BB225_235 Depth=1
	v_bfe_u32 v21, v20, 24, 7
	s_mov_b32 s14, s6
	v_cmp_ne_u32_e32 vcc, s23, v21
	v_pk_mov_b32 v[30:31], s[14:15], s[14:15] op_sel:[0,1]
	s_and_saveexec_b64 s[18:19], vcc
	s_cbranch_execz .LBB225_257
; %bb.256:                              ;   in Loop: Header=BB225_235 Depth=1
	v_and_b32_sdwa v14, v20, v67 dst_sel:DWORD dst_unused:UNUSED_PAD src0_sel:BYTE_3 src1_sel:DWORD
	v_ffbh_u32_e32 v30, v14
	v_min_u32_e32 v33, 32, v30
	v_subrev_u32_e32 v30, 28, v33
	v_lshlrev_b64 v[30:31], v30, v[14:15]
	v_lshrrev_b32_e32 v32, 3, v21
	v_sub_u32_e32 v31, 29, v33
	v_cmp_gt_u32_e32 vcc, 8, v21
	v_and_b32_e32 v30, 7, v30
	v_cndmask_b32_e32 v21, v32, v31, vcc
	v_cndmask_b32_e32 v14, v14, v30, vcc
	v_lshlrev_b32_sdwa v20, v68, v20 dst_sel:DWORD dst_unused:UNUSED_PAD src0_sel:DWORD src1_sel:BYTE_3
	v_lshl_add_u32 v21, v21, 23, v37
	v_and_or_b32 v20, v20, s7, v21
	v_lshlrev_b32_e32 v14, 20, v14
	v_or_b32_e32 v31, v20, v14
	v_mov_b32_e32 v30, v15
.LBB225_257:                            ;   in Loop: Header=BB225_235 Depth=1
	s_or_b64 exec, exec, s[18:19]
.LBB225_258:                            ;   in Loop: Header=BB225_235 Depth=1
	s_or_b64 exec, exec, s[16:17]
.LBB225_259:                            ;   in Loop: Header=BB225_235 Depth=1
	s_or_b64 exec, exec, s[0:1]
	v_or_b32_e32 v21, v27, v23
	v_or_b32_e32 v20, v26, v22
	v_or_b32_e32 v23, v31, v29
	v_or_b32_e32 v22, v30, v28
	v_add_u32_e32 v69, -3, v65
	v_cmp_eq_u32_e32 vcc, s9, v36
	v_pk_mul_f32 v[20:21], s[10:11], v[20:21]
	v_pk_mul_f32 v[22:23], s[10:11], v[22:23]
	v_add_u32_e32 v71, -2, v65
	v_add_u32_e32 v70, -1, v65
	s_and_saveexec_b64 s[16:17], vcc
; %bb.260:                              ;   in Loop: Header=BB225_235 Depth=1
	v_cmp_gt_i32_e64 s[0:1], s29, v69
	v_cndmask_b32_e64 v20, 0, v20, s[0:1]
	v_cmp_gt_i32_e64 s[0:1], s29, v71
	v_cndmask_b32_e64 v21, 0, v21, s[0:1]
	;; [unrolled: 2-line block ×4, first 2 shown]
; %bb.261:                              ;   in Loop: Header=BB225_235 Depth=1
	s_or_b64 exec, exec, s[16:17]
	global_load_dword v26, v[24:25], off offset:256
	v_pk_mov_b32 v[30:31], 0, 0
	v_pk_mov_b32 v[28:29], v[30:31], v[30:31] op_sel:[0,1]
	s_waitcnt vmcnt(0)
	v_cmp_ne_u16_sdwa s[0:1], v26, v15 src0_sel:BYTE_0 src1_sel:DWORD
	s_and_saveexec_b64 s[16:17], s[0:1]
	s_cbranch_execz .LBB225_267
; %bb.262:                              ;   in Loop: Header=BB225_235 Depth=1
	v_bfrev_b32_e32 v28, 1
	v_cmp_ne_u16_sdwa s[0:1], v26, s22 src0_sel:BYTE_0 src1_sel:DWORD
	v_mov_b32_e32 v29, 0
	s_and_saveexec_b64 s[18:19], s[0:1]
	s_cbranch_execz .LBB225_266
; %bb.263:                              ;   in Loop: Header=BB225_235 Depth=1
	v_and_b32_e32 v14, 0x7f, v26
	v_mov_b32_e32 v28, 0x7f800001
	v_cmp_ne_u32_e64 s[0:1], s23, v14
	v_mov_b32_e32 v29, 0
	s_and_saveexec_b64 s[20:21], s[0:1]
	s_cbranch_execz .LBB225_265
; %bb.264:                              ;   in Loop: Header=BB225_235 Depth=1
	v_and_b32_e32 v27, 7, v26
	v_ffbh_u32_e32 v28, v27
	v_min_u32_e32 v33, 32, v28
	v_subrev_u32_e32 v28, 28, v33
	v_lshlrev_b64 v[28:29], v28, v[26:27]
	v_lshrrev_b32_e32 v32, 3, v14
	v_sub_u32_e32 v29, 29, v33
	v_and_b32_e32 v28, 7, v28
	v_cmp_gt_u32_e64 s[0:1], 8, v14
	v_cndmask_b32_e64 v14, v32, v29, s[0:1]
	v_cndmask_b32_e64 v27, v27, v28, s[0:1]
	v_lshlrev_b32_e32 v27, 20, v27
	v_and_b32_sdwa v28, sext(v26), s7 dst_sel:DWORD dst_unused:UNUSED_PAD src0_sel:BYTE_0 src1_sel:DWORD
	v_lshl_add_u32 v14, v14, 23, v37
	v_or3_b32 v14, v28, v14, v27
	v_pk_mov_b32 v[28:29], v[14:15], v[14:15] op_sel:[0,1]
.LBB225_265:                            ;   in Loop: Header=BB225_235 Depth=1
	s_or_b64 exec, exec, s[20:21]
.LBB225_266:                            ;   in Loop: Header=BB225_235 Depth=1
	s_or_b64 exec, exec, s[18:19]
.LBB225_267:                            ;   in Loop: Header=BB225_235 Depth=1
	s_or_b64 exec, exec, s[16:17]
	v_cmp_ne_u16_sdwa s[0:1], v26, v15 src0_sel:BYTE_1 src1_sel:DWORD
	s_and_saveexec_b64 s[16:17], s[0:1]
	s_cbranch_execz .LBB225_273
; %bb.268:                              ;   in Loop: Header=BB225_235 Depth=1
	v_cmp_ne_u16_sdwa s[0:1], v26, s22 src0_sel:BYTE_1 src1_sel:DWORD
	v_pk_mov_b32 v[30:31], s[6:7], s[6:7] op_sel:[0,1]
	s_and_saveexec_b64 s[18:19], s[0:1]
	s_cbranch_execz .LBB225_272
; %bb.269:                              ;   in Loop: Header=BB225_235 Depth=1
	v_and_b32_sdwa v27, v26, s23 dst_sel:DWORD dst_unused:UNUSED_PAD src0_sel:BYTE_1 src1_sel:DWORD
	s_mov_b32 s14, s6
	v_cmp_ne_u32_e64 s[0:1], s23, v27
	v_pk_mov_b32 v[30:31], s[14:15], s[14:15] op_sel:[0,1]
	s_and_saveexec_b64 s[20:21], s[0:1]
	s_cbranch_execz .LBB225_271
; %bb.270:                              ;   in Loop: Header=BB225_235 Depth=1
	v_and_b32_sdwa v14, v26, v67 dst_sel:DWORD dst_unused:UNUSED_PAD src0_sel:BYTE_1 src1_sel:DWORD
	v_ffbh_u32_e32 v30, v14
	v_min_u32_e32 v33, 32, v30
	v_subrev_u32_e32 v30, 28, v33
	v_lshlrev_b64 v[30:31], v30, v[14:15]
	v_lshrrev_b32_e32 v32, 3, v27
	v_sub_u32_e32 v31, 29, v33
	v_cmp_gt_u32_e64 s[0:1], 8, v27
	v_and_b32_e32 v30, 7, v30
	v_cndmask_b32_e64 v27, v32, v31, s[0:1]
	v_cndmask_b32_e64 v14, v14, v30, s[0:1]
	v_lshlrev_b32_e32 v30, 16, v26
	v_lshl_add_u32 v27, v27, 23, v37
	v_and_or_b32 v27, v30, s7, v27
	v_lshlrev_b32_e32 v14, 20, v14
	v_or_b32_e32 v31, v27, v14
	v_mov_b32_e32 v30, v15
.LBB225_271:                            ;   in Loop: Header=BB225_235 Depth=1
	s_or_b64 exec, exec, s[20:21]
.LBB225_272:                            ;   in Loop: Header=BB225_235 Depth=1
	s_or_b64 exec, exec, s[18:19]
.LBB225_273:                            ;   in Loop: Header=BB225_235 Depth=1
	s_or_b64 exec, exec, s[16:17]
	v_lshrrev_b32_e32 v14, 16, v26
	v_pk_mov_b32 v[38:39], 0, 0
	v_cmp_ne_u16_sdwa s[0:1], v14, v15 src0_sel:BYTE_0 src1_sel:DWORD
	v_pk_mov_b32 v[32:33], v[38:39], v[38:39] op_sel:[0,1]
	s_and_saveexec_b64 s[16:17], s[0:1]
	s_cbranch_execz .LBB225_279
; %bb.274:                              ;   in Loop: Header=BB225_235 Depth=1
	v_bfrev_b32_e32 v32, 1
	v_cmp_ne_u16_sdwa s[0:1], v14, s22 src0_sel:BYTE_0 src1_sel:DWORD
	v_mov_b32_e32 v33, 0
	s_and_saveexec_b64 s[18:19], s[0:1]
	s_cbranch_execz .LBB225_278
; %bb.275:                              ;   in Loop: Header=BB225_235 Depth=1
	v_bfe_u32 v27, v26, 16, 7
	v_mov_b32_e32 v32, 0x7f800001
	v_cmp_ne_u32_e64 s[0:1], s23, v27
	v_mov_b32_e32 v33, 0
	s_and_saveexec_b64 s[20:21], s[0:1]
	s_cbranch_execz .LBB225_277
; %bb.276:                              ;   in Loop: Header=BB225_235 Depth=1
	v_and_b32_e32 v40, 7, v14
	v_ffbh_u32_e32 v32, v40
	v_min_u32_e32 v42, 32, v32
	v_subrev_u32_e32 v32, 28, v42
	v_lshlrev_b64 v[32:33], v32, v[14:15]
	v_lshrrev_b32_e32 v41, 3, v27
	v_sub_u32_e32 v33, 29, v42
	v_and_b32_e32 v32, 7, v32
	v_cmp_gt_u32_e64 s[0:1], 8, v27
	v_cndmask_b32_e64 v27, v41, v33, s[0:1]
	v_cndmask_b32_e64 v32, v40, v32, s[0:1]
	v_lshlrev_b32_e32 v32, 20, v32
	v_and_b32_sdwa v14, sext(v14), s7 dst_sel:DWORD dst_unused:UNUSED_PAD src0_sel:BYTE_0 src1_sel:DWORD
	v_lshl_add_u32 v27, v27, 23, v37
	v_or3_b32 v14, v14, v27, v32
	v_pk_mov_b32 v[32:33], v[14:15], v[14:15] op_sel:[0,1]
.LBB225_277:                            ;   in Loop: Header=BB225_235 Depth=1
	s_or_b64 exec, exec, s[20:21]
.LBB225_278:                            ;   in Loop: Header=BB225_235 Depth=1
	s_or_b64 exec, exec, s[18:19]
.LBB225_279:                            ;   in Loop: Header=BB225_235 Depth=1
	s_or_b64 exec, exec, s[16:17]
	v_cmp_lt_u32_e64 s[0:1], s28, v26
	s_and_saveexec_b64 s[16:17], s[0:1]
	s_cbranch_execz .LBB225_285
; %bb.280:                              ;   in Loop: Header=BB225_235 Depth=1
	v_cmp_ne_u32_sdwa s[0:1], v26, s22 src0_sel:BYTE_3 src1_sel:DWORD
	v_pk_mov_b32 v[38:39], s[6:7], s[6:7] op_sel:[0,1]
	s_and_saveexec_b64 s[18:19], s[0:1]
	s_cbranch_execz .LBB225_284
; %bb.281:                              ;   in Loop: Header=BB225_235 Depth=1
	v_bfe_u32 v27, v26, 24, 7
	s_mov_b32 s14, s6
	v_cmp_ne_u32_e64 s[0:1], s23, v27
	v_pk_mov_b32 v[38:39], s[14:15], s[14:15] op_sel:[0,1]
	s_and_saveexec_b64 s[20:21], s[0:1]
	s_cbranch_execz .LBB225_283
; %bb.282:                              ;   in Loop: Header=BB225_235 Depth=1
	v_and_b32_sdwa v14, v26, v67 dst_sel:DWORD dst_unused:UNUSED_PAD src0_sel:BYTE_3 src1_sel:DWORD
	v_ffbh_u32_e32 v38, v14
	v_min_u32_e32 v41, 32, v38
	v_subrev_u32_e32 v38, 28, v41
	v_lshlrev_b64 v[38:39], v38, v[14:15]
	v_lshrrev_b32_e32 v40, 3, v27
	v_sub_u32_e32 v39, 29, v41
	v_cmp_gt_u32_e64 s[0:1], 8, v27
	v_and_b32_e32 v38, 7, v38
	v_cndmask_b32_e64 v27, v40, v39, s[0:1]
	v_cndmask_b32_e64 v14, v14, v38, s[0:1]
	v_lshlrev_b32_sdwa v26, v68, v26 dst_sel:DWORD dst_unused:UNUSED_PAD src0_sel:DWORD src1_sel:BYTE_3
	v_lshl_add_u32 v27, v27, 23, v37
	v_and_or_b32 v26, v26, s7, v27
	v_lshlrev_b32_e32 v14, 20, v14
	v_or_b32_e32 v39, v26, v14
	v_mov_b32_e32 v38, v15
.LBB225_283:                            ;   in Loop: Header=BB225_235 Depth=1
	s_or_b64 exec, exec, s[20:21]
.LBB225_284:                            ;   in Loop: Header=BB225_235 Depth=1
	s_or_b64 exec, exec, s[18:19]
.LBB225_285:                            ;   in Loop: Header=BB225_235 Depth=1
	s_or_b64 exec, exec, s[16:17]
	v_or_b32_e32 v27, v31, v29
	v_or_b32_e32 v26, v30, v28
	;; [unrolled: 1-line block ×4, first 2 shown]
	v_pk_mul_f32 v[26:27], s[10:11], v[26:27]
	v_pk_mul_f32 v[28:29], s[10:11], v[28:29]
	s_and_saveexec_b64 s[16:17], vcc
; %bb.286:                              ;   in Loop: Header=BB225_235 Depth=1
	v_cmp_gt_i32_e64 s[0:1], s29, v69
	v_cndmask_b32_e64 v26, 0, v26, s[0:1]
	v_cmp_gt_i32_e64 s[0:1], s29, v71
	v_cndmask_b32_e64 v27, 0, v27, s[0:1]
	v_cmp_gt_i32_e64 s[0:1], s29, v70
	v_cndmask_b32_e64 v28, 0, v28, s[0:1]
	v_cmp_gt_i32_e64 s[0:1], s29, v65
	v_cndmask_b32_e64 v29, 0, v29, s[0:1]
; %bb.287:                              ;   in Loop: Header=BB225_235 Depth=1
	s_or_b64 exec, exec, s[16:17]
	global_load_dword v30, v[24:25], off offset:512
	v_pk_mov_b32 v[38:39], 0, 0
	v_pk_mov_b32 v[32:33], v[38:39], v[38:39] op_sel:[0,1]
	s_waitcnt vmcnt(0)
	v_cmp_ne_u16_sdwa s[0:1], v30, v15 src0_sel:BYTE_0 src1_sel:DWORD
	s_and_saveexec_b64 s[16:17], s[0:1]
	s_cbranch_execz .LBB225_293
; %bb.288:                              ;   in Loop: Header=BB225_235 Depth=1
	v_bfrev_b32_e32 v32, 1
	v_cmp_ne_u16_sdwa s[0:1], v30, s22 src0_sel:BYTE_0 src1_sel:DWORD
	v_mov_b32_e32 v33, 0
	s_and_saveexec_b64 s[18:19], s[0:1]
	s_cbranch_execz .LBB225_292
; %bb.289:                              ;   in Loop: Header=BB225_235 Depth=1
	v_and_b32_e32 v14, 0x7f, v30
	v_mov_b32_e32 v32, 0x7f800001
	v_cmp_ne_u32_e64 s[0:1], s23, v14
	v_mov_b32_e32 v33, 0
	s_and_saveexec_b64 s[20:21], s[0:1]
	s_cbranch_execz .LBB225_291
; %bb.290:                              ;   in Loop: Header=BB225_235 Depth=1
	v_and_b32_e32 v31, 7, v30
	v_ffbh_u32_e32 v32, v31
	v_min_u32_e32 v41, 32, v32
	v_subrev_u32_e32 v32, 28, v41
	v_lshlrev_b64 v[32:33], v32, v[30:31]
	v_lshrrev_b32_e32 v40, 3, v14
	v_sub_u32_e32 v33, 29, v41
	v_and_b32_e32 v32, 7, v32
	v_cmp_gt_u32_e64 s[0:1], 8, v14
	v_cndmask_b32_e64 v14, v40, v33, s[0:1]
	v_cndmask_b32_e64 v31, v31, v32, s[0:1]
	v_lshlrev_b32_e32 v31, 20, v31
	v_and_b32_sdwa v32, sext(v30), s7 dst_sel:DWORD dst_unused:UNUSED_PAD src0_sel:BYTE_0 src1_sel:DWORD
	v_lshl_add_u32 v14, v14, 23, v37
	v_or3_b32 v14, v32, v14, v31
	v_pk_mov_b32 v[32:33], v[14:15], v[14:15] op_sel:[0,1]
.LBB225_291:                            ;   in Loop: Header=BB225_235 Depth=1
	s_or_b64 exec, exec, s[20:21]
.LBB225_292:                            ;   in Loop: Header=BB225_235 Depth=1
	s_or_b64 exec, exec, s[18:19]
.LBB225_293:                            ;   in Loop: Header=BB225_235 Depth=1
	s_or_b64 exec, exec, s[16:17]
	v_cmp_ne_u16_sdwa s[0:1], v30, v15 src0_sel:BYTE_1 src1_sel:DWORD
	s_and_saveexec_b64 s[16:17], s[0:1]
	s_cbranch_execz .LBB225_299
; %bb.294:                              ;   in Loop: Header=BB225_235 Depth=1
	v_cmp_ne_u16_sdwa s[0:1], v30, s22 src0_sel:BYTE_1 src1_sel:DWORD
	v_pk_mov_b32 v[38:39], s[6:7], s[6:7] op_sel:[0,1]
	s_and_saveexec_b64 s[18:19], s[0:1]
	s_cbranch_execz .LBB225_298
; %bb.295:                              ;   in Loop: Header=BB225_235 Depth=1
	v_and_b32_sdwa v31, v30, s23 dst_sel:DWORD dst_unused:UNUSED_PAD src0_sel:BYTE_1 src1_sel:DWORD
	s_mov_b32 s14, s6
	v_cmp_ne_u32_e64 s[0:1], s23, v31
	v_pk_mov_b32 v[38:39], s[14:15], s[14:15] op_sel:[0,1]
	s_and_saveexec_b64 s[20:21], s[0:1]
	s_cbranch_execz .LBB225_297
; %bb.296:                              ;   in Loop: Header=BB225_235 Depth=1
	v_and_b32_sdwa v14, v30, v67 dst_sel:DWORD dst_unused:UNUSED_PAD src0_sel:BYTE_1 src1_sel:DWORD
	v_ffbh_u32_e32 v38, v14
	v_min_u32_e32 v41, 32, v38
	v_subrev_u32_e32 v38, 28, v41
	v_lshlrev_b64 v[38:39], v38, v[14:15]
	v_lshrrev_b32_e32 v40, 3, v31
	v_sub_u32_e32 v39, 29, v41
	v_cmp_gt_u32_e64 s[0:1], 8, v31
	v_and_b32_e32 v38, 7, v38
	v_cndmask_b32_e64 v31, v40, v39, s[0:1]
	v_cndmask_b32_e64 v14, v14, v38, s[0:1]
	v_lshlrev_b32_e32 v38, 16, v30
	v_lshl_add_u32 v31, v31, 23, v37
	v_and_or_b32 v31, v38, s7, v31
	v_lshlrev_b32_e32 v14, 20, v14
	v_or_b32_e32 v39, v31, v14
	v_mov_b32_e32 v38, v15
.LBB225_297:                            ;   in Loop: Header=BB225_235 Depth=1
	s_or_b64 exec, exec, s[20:21]
.LBB225_298:                            ;   in Loop: Header=BB225_235 Depth=1
	s_or_b64 exec, exec, s[18:19]
.LBB225_299:                            ;   in Loop: Header=BB225_235 Depth=1
	s_or_b64 exec, exec, s[16:17]
	v_lshrrev_b32_e32 v14, 16, v30
	v_pk_mov_b32 v[42:43], 0, 0
	v_cmp_ne_u16_sdwa s[0:1], v14, v15 src0_sel:BYTE_0 src1_sel:DWORD
	v_pk_mov_b32 v[40:41], v[42:43], v[42:43] op_sel:[0,1]
	s_and_saveexec_b64 s[16:17], s[0:1]
	s_cbranch_execz .LBB225_305
; %bb.300:                              ;   in Loop: Header=BB225_235 Depth=1
	v_bfrev_b32_e32 v40, 1
	v_cmp_ne_u16_sdwa s[0:1], v14, s22 src0_sel:BYTE_0 src1_sel:DWORD
	v_mov_b32_e32 v41, 0
	s_and_saveexec_b64 s[18:19], s[0:1]
	s_cbranch_execz .LBB225_304
; %bb.301:                              ;   in Loop: Header=BB225_235 Depth=1
	v_bfe_u32 v31, v30, 16, 7
	v_mov_b32_e32 v40, 0x7f800001
	v_cmp_ne_u32_e64 s[0:1], s23, v31
	v_mov_b32_e32 v41, 0
	s_and_saveexec_b64 s[20:21], s[0:1]
	s_cbranch_execz .LBB225_303
; %bb.302:                              ;   in Loop: Header=BB225_235 Depth=1
	v_and_b32_e32 v44, 7, v14
	v_ffbh_u32_e32 v40, v44
	v_min_u32_e32 v46, 32, v40
	v_subrev_u32_e32 v40, 28, v46
	v_lshlrev_b64 v[40:41], v40, v[14:15]
	v_lshrrev_b32_e32 v45, 3, v31
	v_sub_u32_e32 v41, 29, v46
	v_and_b32_e32 v40, 7, v40
	v_cmp_gt_u32_e64 s[0:1], 8, v31
	v_cndmask_b32_e64 v31, v45, v41, s[0:1]
	v_cndmask_b32_e64 v40, v44, v40, s[0:1]
	v_lshlrev_b32_e32 v40, 20, v40
	v_and_b32_sdwa v14, sext(v14), s7 dst_sel:DWORD dst_unused:UNUSED_PAD src0_sel:BYTE_0 src1_sel:DWORD
	v_lshl_add_u32 v31, v31, 23, v37
	v_or3_b32 v14, v14, v31, v40
	v_pk_mov_b32 v[40:41], v[14:15], v[14:15] op_sel:[0,1]
.LBB225_303:                            ;   in Loop: Header=BB225_235 Depth=1
	s_or_b64 exec, exec, s[20:21]
.LBB225_304:                            ;   in Loop: Header=BB225_235 Depth=1
	s_or_b64 exec, exec, s[18:19]
.LBB225_305:                            ;   in Loop: Header=BB225_235 Depth=1
	s_or_b64 exec, exec, s[16:17]
	v_cmp_lt_u32_e64 s[0:1], s28, v30
	s_and_saveexec_b64 s[16:17], s[0:1]
	s_cbranch_execz .LBB225_311
; %bb.306:                              ;   in Loop: Header=BB225_235 Depth=1
	v_cmp_ne_u32_sdwa s[0:1], v30, s22 src0_sel:BYTE_3 src1_sel:DWORD
	v_pk_mov_b32 v[42:43], s[6:7], s[6:7] op_sel:[0,1]
	s_and_saveexec_b64 s[18:19], s[0:1]
	s_cbranch_execz .LBB225_310
; %bb.307:                              ;   in Loop: Header=BB225_235 Depth=1
	v_bfe_u32 v31, v30, 24, 7
	s_mov_b32 s14, s6
	v_cmp_ne_u32_e64 s[0:1], s23, v31
	v_pk_mov_b32 v[42:43], s[14:15], s[14:15] op_sel:[0,1]
	s_and_saveexec_b64 s[20:21], s[0:1]
	s_cbranch_execz .LBB225_309
; %bb.308:                              ;   in Loop: Header=BB225_235 Depth=1
	v_and_b32_sdwa v14, v30, v67 dst_sel:DWORD dst_unused:UNUSED_PAD src0_sel:BYTE_3 src1_sel:DWORD
	v_ffbh_u32_e32 v42, v14
	v_min_u32_e32 v45, 32, v42
	v_subrev_u32_e32 v42, 28, v45
	v_lshlrev_b64 v[42:43], v42, v[14:15]
	v_lshrrev_b32_e32 v44, 3, v31
	v_sub_u32_e32 v43, 29, v45
	v_cmp_gt_u32_e64 s[0:1], 8, v31
	v_and_b32_e32 v42, 7, v42
	v_cndmask_b32_e64 v31, v44, v43, s[0:1]
	v_cndmask_b32_e64 v14, v14, v42, s[0:1]
	v_lshlrev_b32_sdwa v30, v68, v30 dst_sel:DWORD dst_unused:UNUSED_PAD src0_sel:DWORD src1_sel:BYTE_3
	v_lshl_add_u32 v31, v31, 23, v37
	v_and_or_b32 v30, v30, s7, v31
	v_lshlrev_b32_e32 v14, 20, v14
	v_or_b32_e32 v43, v30, v14
	v_mov_b32_e32 v42, v15
.LBB225_309:                            ;   in Loop: Header=BB225_235 Depth=1
	s_or_b64 exec, exec, s[20:21]
.LBB225_310:                            ;   in Loop: Header=BB225_235 Depth=1
	s_or_b64 exec, exec, s[18:19]
.LBB225_311:                            ;   in Loop: Header=BB225_235 Depth=1
	s_or_b64 exec, exec, s[16:17]
	v_or_b32_e32 v31, v39, v33
	v_or_b32_e32 v30, v38, v32
	;; [unrolled: 1-line block ×4, first 2 shown]
	v_pk_mul_f32 v[30:31], s[10:11], v[30:31]
	v_pk_mul_f32 v[32:33], s[10:11], v[32:33]
	s_and_saveexec_b64 s[16:17], vcc
; %bb.312:                              ;   in Loop: Header=BB225_235 Depth=1
	v_cmp_gt_i32_e64 s[0:1], s29, v69
	v_cndmask_b32_e64 v30, 0, v30, s[0:1]
	v_cmp_gt_i32_e64 s[0:1], s29, v71
	v_cndmask_b32_e64 v31, 0, v31, s[0:1]
	;; [unrolled: 2-line block ×4, first 2 shown]
; %bb.313:                              ;   in Loop: Header=BB225_235 Depth=1
	s_or_b64 exec, exec, s[16:17]
	global_load_dword v38, v[24:25], off offset:768
	v_pk_mov_b32 v[42:43], 0, 0
	v_pk_mov_b32 v[40:41], v[42:43], v[42:43] op_sel:[0,1]
	s_waitcnt vmcnt(0)
	v_cmp_ne_u16_sdwa s[0:1], v38, v15 src0_sel:BYTE_0 src1_sel:DWORD
	s_and_saveexec_b64 s[16:17], s[0:1]
	s_cbranch_execz .LBB225_319
; %bb.314:                              ;   in Loop: Header=BB225_235 Depth=1
	v_bfrev_b32_e32 v40, 1
	v_cmp_ne_u16_sdwa s[0:1], v38, s22 src0_sel:BYTE_0 src1_sel:DWORD
	v_mov_b32_e32 v41, 0
	s_and_saveexec_b64 s[18:19], s[0:1]
	s_cbranch_execz .LBB225_318
; %bb.315:                              ;   in Loop: Header=BB225_235 Depth=1
	v_and_b32_e32 v14, 0x7f, v38
	v_mov_b32_e32 v40, 0x7f800001
	v_cmp_ne_u32_e64 s[0:1], s23, v14
	v_mov_b32_e32 v41, 0
	s_and_saveexec_b64 s[20:21], s[0:1]
	s_cbranch_execz .LBB225_317
; %bb.316:                              ;   in Loop: Header=BB225_235 Depth=1
	v_and_b32_e32 v39, 7, v38
	v_ffbh_u32_e32 v40, v39
	v_min_u32_e32 v45, 32, v40
	v_subrev_u32_e32 v40, 28, v45
	v_lshlrev_b64 v[40:41], v40, v[38:39]
	v_lshrrev_b32_e32 v44, 3, v14
	v_sub_u32_e32 v41, 29, v45
	v_and_b32_e32 v40, 7, v40
	v_cmp_gt_u32_e64 s[0:1], 8, v14
	v_cndmask_b32_e64 v14, v44, v41, s[0:1]
	v_cndmask_b32_e64 v39, v39, v40, s[0:1]
	v_lshlrev_b32_e32 v39, 20, v39
	v_and_b32_sdwa v40, sext(v38), s7 dst_sel:DWORD dst_unused:UNUSED_PAD src0_sel:BYTE_0 src1_sel:DWORD
	v_lshl_add_u32 v14, v14, 23, v37
	v_or3_b32 v14, v40, v14, v39
	v_pk_mov_b32 v[40:41], v[14:15], v[14:15] op_sel:[0,1]
.LBB225_317:                            ;   in Loop: Header=BB225_235 Depth=1
	s_or_b64 exec, exec, s[20:21]
.LBB225_318:                            ;   in Loop: Header=BB225_235 Depth=1
	s_or_b64 exec, exec, s[18:19]
.LBB225_319:                            ;   in Loop: Header=BB225_235 Depth=1
	s_or_b64 exec, exec, s[16:17]
	v_cmp_ne_u16_sdwa s[0:1], v38, v15 src0_sel:BYTE_1 src1_sel:DWORD
	s_and_saveexec_b64 s[16:17], s[0:1]
	s_cbranch_execz .LBB225_325
; %bb.320:                              ;   in Loop: Header=BB225_235 Depth=1
	v_cmp_ne_u16_sdwa s[0:1], v38, s22 src0_sel:BYTE_1 src1_sel:DWORD
	v_pk_mov_b32 v[42:43], s[6:7], s[6:7] op_sel:[0,1]
	s_and_saveexec_b64 s[18:19], s[0:1]
	s_cbranch_execz .LBB225_324
; %bb.321:                              ;   in Loop: Header=BB225_235 Depth=1
	v_and_b32_sdwa v39, v38, s23 dst_sel:DWORD dst_unused:UNUSED_PAD src0_sel:BYTE_1 src1_sel:DWORD
	s_mov_b32 s14, s6
	v_cmp_ne_u32_e64 s[0:1], s23, v39
	v_pk_mov_b32 v[42:43], s[14:15], s[14:15] op_sel:[0,1]
	s_and_saveexec_b64 s[20:21], s[0:1]
	s_cbranch_execz .LBB225_323
; %bb.322:                              ;   in Loop: Header=BB225_235 Depth=1
	v_and_b32_sdwa v14, v38, v67 dst_sel:DWORD dst_unused:UNUSED_PAD src0_sel:BYTE_1 src1_sel:DWORD
	v_ffbh_u32_e32 v42, v14
	v_min_u32_e32 v45, 32, v42
	v_subrev_u32_e32 v42, 28, v45
	v_lshlrev_b64 v[42:43], v42, v[14:15]
	v_lshrrev_b32_e32 v44, 3, v39
	v_sub_u32_e32 v43, 29, v45
	v_cmp_gt_u32_e64 s[0:1], 8, v39
	v_and_b32_e32 v42, 7, v42
	v_cndmask_b32_e64 v39, v44, v43, s[0:1]
	v_cndmask_b32_e64 v14, v14, v42, s[0:1]
	v_lshlrev_b32_e32 v42, 16, v38
	v_lshl_add_u32 v39, v39, 23, v37
	v_and_or_b32 v39, v42, s7, v39
	v_lshlrev_b32_e32 v14, 20, v14
	v_or_b32_e32 v43, v39, v14
	v_mov_b32_e32 v42, v15
.LBB225_323:                            ;   in Loop: Header=BB225_235 Depth=1
	s_or_b64 exec, exec, s[20:21]
.LBB225_324:                            ;   in Loop: Header=BB225_235 Depth=1
	s_or_b64 exec, exec, s[18:19]
.LBB225_325:                            ;   in Loop: Header=BB225_235 Depth=1
	s_or_b64 exec, exec, s[16:17]
	v_lshrrev_b32_e32 v14, 16, v38
	v_pk_mov_b32 v[46:47], 0, 0
	v_cmp_ne_u16_sdwa s[0:1], v14, v15 src0_sel:BYTE_0 src1_sel:DWORD
	v_pk_mov_b32 v[44:45], v[46:47], v[46:47] op_sel:[0,1]
	s_and_saveexec_b64 s[16:17], s[0:1]
	s_cbranch_execz .LBB225_331
; %bb.326:                              ;   in Loop: Header=BB225_235 Depth=1
	v_bfrev_b32_e32 v44, 1
	v_cmp_ne_u16_sdwa s[0:1], v14, s22 src0_sel:BYTE_0 src1_sel:DWORD
	v_mov_b32_e32 v45, 0
	s_and_saveexec_b64 s[18:19], s[0:1]
	s_cbranch_execz .LBB225_330
; %bb.327:                              ;   in Loop: Header=BB225_235 Depth=1
	v_bfe_u32 v39, v38, 16, 7
	v_mov_b32_e32 v44, 0x7f800001
	v_cmp_ne_u32_e64 s[0:1], s23, v39
	v_mov_b32_e32 v45, 0
	s_and_saveexec_b64 s[20:21], s[0:1]
	s_cbranch_execz .LBB225_329
; %bb.328:                              ;   in Loop: Header=BB225_235 Depth=1
	v_and_b32_e32 v48, 7, v14
	v_ffbh_u32_e32 v44, v48
	v_min_u32_e32 v50, 32, v44
	v_subrev_u32_e32 v44, 28, v50
	v_lshlrev_b64 v[44:45], v44, v[14:15]
	v_lshrrev_b32_e32 v49, 3, v39
	v_sub_u32_e32 v45, 29, v50
	v_and_b32_e32 v44, 7, v44
	v_cmp_gt_u32_e64 s[0:1], 8, v39
	v_cndmask_b32_e64 v39, v49, v45, s[0:1]
	v_cndmask_b32_e64 v44, v48, v44, s[0:1]
	v_lshlrev_b32_e32 v44, 20, v44
	v_and_b32_sdwa v14, sext(v14), s7 dst_sel:DWORD dst_unused:UNUSED_PAD src0_sel:BYTE_0 src1_sel:DWORD
	v_lshl_add_u32 v39, v39, 23, v37
	v_or3_b32 v14, v14, v39, v44
	v_pk_mov_b32 v[44:45], v[14:15], v[14:15] op_sel:[0,1]
.LBB225_329:                            ;   in Loop: Header=BB225_235 Depth=1
	s_or_b64 exec, exec, s[20:21]
.LBB225_330:                            ;   in Loop: Header=BB225_235 Depth=1
	s_or_b64 exec, exec, s[18:19]
.LBB225_331:                            ;   in Loop: Header=BB225_235 Depth=1
	s_or_b64 exec, exec, s[16:17]
	v_cmp_lt_u32_e64 s[0:1], s28, v38
	s_and_saveexec_b64 s[16:17], s[0:1]
	s_cbranch_execz .LBB225_337
; %bb.332:                              ;   in Loop: Header=BB225_235 Depth=1
	v_cmp_ne_u32_sdwa s[0:1], v38, s22 src0_sel:BYTE_3 src1_sel:DWORD
	v_pk_mov_b32 v[46:47], s[6:7], s[6:7] op_sel:[0,1]
	s_and_saveexec_b64 s[18:19], s[0:1]
	s_cbranch_execz .LBB225_336
; %bb.333:                              ;   in Loop: Header=BB225_235 Depth=1
	v_bfe_u32 v39, v38, 24, 7
	s_mov_b32 s14, s6
	v_cmp_ne_u32_e64 s[0:1], s23, v39
	v_pk_mov_b32 v[46:47], s[14:15], s[14:15] op_sel:[0,1]
	s_and_saveexec_b64 s[20:21], s[0:1]
	s_cbranch_execz .LBB225_335
; %bb.334:                              ;   in Loop: Header=BB225_235 Depth=1
	v_and_b32_sdwa v14, v38, v67 dst_sel:DWORD dst_unused:UNUSED_PAD src0_sel:BYTE_3 src1_sel:DWORD
	v_ffbh_u32_e32 v46, v14
	v_min_u32_e32 v49, 32, v46
	v_subrev_u32_e32 v46, 28, v49
	v_lshlrev_b64 v[46:47], v46, v[14:15]
	v_lshrrev_b32_e32 v48, 3, v39
	v_sub_u32_e32 v47, 29, v49
	v_cmp_gt_u32_e64 s[0:1], 8, v39
	v_and_b32_e32 v46, 7, v46
	v_cndmask_b32_e64 v39, v48, v47, s[0:1]
	v_cndmask_b32_e64 v14, v14, v46, s[0:1]
	v_lshlrev_b32_sdwa v38, v68, v38 dst_sel:DWORD dst_unused:UNUSED_PAD src0_sel:DWORD src1_sel:BYTE_3
	v_lshl_add_u32 v39, v39, 23, v37
	v_and_or_b32 v38, v38, s7, v39
	v_lshlrev_b32_e32 v14, 20, v14
	v_or_b32_e32 v47, v38, v14
	v_mov_b32_e32 v46, v15
.LBB225_335:                            ;   in Loop: Header=BB225_235 Depth=1
	s_or_b64 exec, exec, s[20:21]
.LBB225_336:                            ;   in Loop: Header=BB225_235 Depth=1
	s_or_b64 exec, exec, s[18:19]
.LBB225_337:                            ;   in Loop: Header=BB225_235 Depth=1
	s_or_b64 exec, exec, s[16:17]
	v_or_b32_e32 v39, v43, v41
	v_or_b32_e32 v38, v42, v40
	v_or_b32_e32 v41, v47, v45
	v_or_b32_e32 v40, v46, v44
	v_pk_mul_f32 v[38:39], s[10:11], v[38:39]
	v_pk_mul_f32 v[40:41], s[10:11], v[40:41]
	s_and_saveexec_b64 s[16:17], vcc
; %bb.338:                              ;   in Loop: Header=BB225_235 Depth=1
	v_cmp_gt_i32_e64 s[0:1], s29, v69
	v_cndmask_b32_e64 v38, 0, v38, s[0:1]
	v_cmp_gt_i32_e64 s[0:1], s29, v71
	v_cndmask_b32_e64 v39, 0, v39, s[0:1]
	;; [unrolled: 2-line block ×4, first 2 shown]
; %bb.339:                              ;   in Loop: Header=BB225_235 Depth=1
	s_or_b64 exec, exec, s[16:17]
	global_load_dword v42, v[24:25], off offset:1024
	v_pk_mov_b32 v[46:47], 0, 0
	v_pk_mov_b32 v[44:45], v[46:47], v[46:47] op_sel:[0,1]
	s_waitcnt vmcnt(0)
	v_cmp_ne_u16_sdwa s[0:1], v42, v15 src0_sel:BYTE_0 src1_sel:DWORD
	s_and_saveexec_b64 s[16:17], s[0:1]
	s_cbranch_execz .LBB225_345
; %bb.340:                              ;   in Loop: Header=BB225_235 Depth=1
	v_bfrev_b32_e32 v44, 1
	v_cmp_ne_u16_sdwa s[0:1], v42, s22 src0_sel:BYTE_0 src1_sel:DWORD
	v_mov_b32_e32 v45, 0
	s_and_saveexec_b64 s[18:19], s[0:1]
	s_cbranch_execz .LBB225_344
; %bb.341:                              ;   in Loop: Header=BB225_235 Depth=1
	v_and_b32_e32 v14, 0x7f, v42
	v_mov_b32_e32 v44, 0x7f800001
	v_cmp_ne_u32_e64 s[0:1], s23, v14
	v_mov_b32_e32 v45, 0
	s_and_saveexec_b64 s[20:21], s[0:1]
	s_cbranch_execz .LBB225_343
; %bb.342:                              ;   in Loop: Header=BB225_235 Depth=1
	v_and_b32_e32 v43, 7, v42
	v_ffbh_u32_e32 v44, v43
	v_min_u32_e32 v49, 32, v44
	v_subrev_u32_e32 v44, 28, v49
	v_lshlrev_b64 v[44:45], v44, v[42:43]
	v_lshrrev_b32_e32 v48, 3, v14
	v_sub_u32_e32 v45, 29, v49
	v_and_b32_e32 v44, 7, v44
	v_cmp_gt_u32_e64 s[0:1], 8, v14
	v_cndmask_b32_e64 v14, v48, v45, s[0:1]
	v_cndmask_b32_e64 v43, v43, v44, s[0:1]
	v_lshlrev_b32_e32 v43, 20, v43
	v_and_b32_sdwa v44, sext(v42), s7 dst_sel:DWORD dst_unused:UNUSED_PAD src0_sel:BYTE_0 src1_sel:DWORD
	v_lshl_add_u32 v14, v14, 23, v37
	v_or3_b32 v14, v44, v14, v43
	v_pk_mov_b32 v[44:45], v[14:15], v[14:15] op_sel:[0,1]
.LBB225_343:                            ;   in Loop: Header=BB225_235 Depth=1
	s_or_b64 exec, exec, s[20:21]
.LBB225_344:                            ;   in Loop: Header=BB225_235 Depth=1
	s_or_b64 exec, exec, s[18:19]
.LBB225_345:                            ;   in Loop: Header=BB225_235 Depth=1
	s_or_b64 exec, exec, s[16:17]
	v_cmp_ne_u16_sdwa s[0:1], v42, v15 src0_sel:BYTE_1 src1_sel:DWORD
	s_and_saveexec_b64 s[16:17], s[0:1]
	s_cbranch_execz .LBB225_351
; %bb.346:                              ;   in Loop: Header=BB225_235 Depth=1
	v_cmp_ne_u16_sdwa s[0:1], v42, s22 src0_sel:BYTE_1 src1_sel:DWORD
	v_pk_mov_b32 v[46:47], s[6:7], s[6:7] op_sel:[0,1]
	s_and_saveexec_b64 s[18:19], s[0:1]
	s_cbranch_execz .LBB225_350
; %bb.347:                              ;   in Loop: Header=BB225_235 Depth=1
	v_and_b32_sdwa v43, v42, s23 dst_sel:DWORD dst_unused:UNUSED_PAD src0_sel:BYTE_1 src1_sel:DWORD
	s_mov_b32 s14, s6
	v_cmp_ne_u32_e64 s[0:1], s23, v43
	v_pk_mov_b32 v[46:47], s[14:15], s[14:15] op_sel:[0,1]
	s_and_saveexec_b64 s[20:21], s[0:1]
	s_cbranch_execz .LBB225_349
; %bb.348:                              ;   in Loop: Header=BB225_235 Depth=1
	v_and_b32_sdwa v14, v42, v67 dst_sel:DWORD dst_unused:UNUSED_PAD src0_sel:BYTE_1 src1_sel:DWORD
	v_ffbh_u32_e32 v46, v14
	v_min_u32_e32 v49, 32, v46
	v_subrev_u32_e32 v46, 28, v49
	v_lshlrev_b64 v[46:47], v46, v[14:15]
	v_lshrrev_b32_e32 v48, 3, v43
	v_sub_u32_e32 v47, 29, v49
	v_cmp_gt_u32_e64 s[0:1], 8, v43
	v_and_b32_e32 v46, 7, v46
	v_cndmask_b32_e64 v43, v48, v47, s[0:1]
	v_cndmask_b32_e64 v14, v14, v46, s[0:1]
	v_lshlrev_b32_e32 v46, 16, v42
	v_lshl_add_u32 v43, v43, 23, v37
	v_and_or_b32 v43, v46, s7, v43
	v_lshlrev_b32_e32 v14, 20, v14
	v_or_b32_e32 v47, v43, v14
	v_mov_b32_e32 v46, v15
.LBB225_349:                            ;   in Loop: Header=BB225_235 Depth=1
	s_or_b64 exec, exec, s[20:21]
.LBB225_350:                            ;   in Loop: Header=BB225_235 Depth=1
	s_or_b64 exec, exec, s[18:19]
.LBB225_351:                            ;   in Loop: Header=BB225_235 Depth=1
	s_or_b64 exec, exec, s[16:17]
	v_lshrrev_b32_e32 v14, 16, v42
	v_pk_mov_b32 v[50:51], 0, 0
	v_cmp_ne_u16_sdwa s[0:1], v14, v15 src0_sel:BYTE_0 src1_sel:DWORD
	v_pk_mov_b32 v[48:49], v[50:51], v[50:51] op_sel:[0,1]
	s_and_saveexec_b64 s[16:17], s[0:1]
	s_cbranch_execz .LBB225_357
; %bb.352:                              ;   in Loop: Header=BB225_235 Depth=1
	v_bfrev_b32_e32 v48, 1
	v_cmp_ne_u16_sdwa s[0:1], v14, s22 src0_sel:BYTE_0 src1_sel:DWORD
	v_mov_b32_e32 v49, 0
	s_and_saveexec_b64 s[18:19], s[0:1]
	s_cbranch_execz .LBB225_356
; %bb.353:                              ;   in Loop: Header=BB225_235 Depth=1
	v_bfe_u32 v43, v42, 16, 7
	v_mov_b32_e32 v48, 0x7f800001
	v_cmp_ne_u32_e64 s[0:1], s23, v43
	v_mov_b32_e32 v49, 0
	s_and_saveexec_b64 s[20:21], s[0:1]
	s_cbranch_execz .LBB225_355
; %bb.354:                              ;   in Loop: Header=BB225_235 Depth=1
	v_and_b32_e32 v52, 7, v14
	v_ffbh_u32_e32 v48, v52
	v_min_u32_e32 v54, 32, v48
	v_subrev_u32_e32 v48, 28, v54
	v_lshlrev_b64 v[48:49], v48, v[14:15]
	v_lshrrev_b32_e32 v53, 3, v43
	v_sub_u32_e32 v49, 29, v54
	v_and_b32_e32 v48, 7, v48
	v_cmp_gt_u32_e64 s[0:1], 8, v43
	v_cndmask_b32_e64 v43, v53, v49, s[0:1]
	v_cndmask_b32_e64 v48, v52, v48, s[0:1]
	v_lshlrev_b32_e32 v48, 20, v48
	v_and_b32_sdwa v14, sext(v14), s7 dst_sel:DWORD dst_unused:UNUSED_PAD src0_sel:BYTE_0 src1_sel:DWORD
	v_lshl_add_u32 v43, v43, 23, v37
	v_or3_b32 v14, v14, v43, v48
	v_pk_mov_b32 v[48:49], v[14:15], v[14:15] op_sel:[0,1]
.LBB225_355:                            ;   in Loop: Header=BB225_235 Depth=1
	s_or_b64 exec, exec, s[20:21]
.LBB225_356:                            ;   in Loop: Header=BB225_235 Depth=1
	s_or_b64 exec, exec, s[18:19]
.LBB225_357:                            ;   in Loop: Header=BB225_235 Depth=1
	s_or_b64 exec, exec, s[16:17]
	v_cmp_lt_u32_e64 s[0:1], s28, v42
	s_and_saveexec_b64 s[16:17], s[0:1]
	s_cbranch_execz .LBB225_363
; %bb.358:                              ;   in Loop: Header=BB225_235 Depth=1
	v_cmp_ne_u32_sdwa s[0:1], v42, s22 src0_sel:BYTE_3 src1_sel:DWORD
	v_pk_mov_b32 v[50:51], s[6:7], s[6:7] op_sel:[0,1]
	s_and_saveexec_b64 s[18:19], s[0:1]
	s_cbranch_execz .LBB225_362
; %bb.359:                              ;   in Loop: Header=BB225_235 Depth=1
	v_bfe_u32 v43, v42, 24, 7
	s_mov_b32 s14, s6
	v_cmp_ne_u32_e64 s[0:1], s23, v43
	v_pk_mov_b32 v[50:51], s[14:15], s[14:15] op_sel:[0,1]
	s_and_saveexec_b64 s[20:21], s[0:1]
	s_cbranch_execz .LBB225_361
; %bb.360:                              ;   in Loop: Header=BB225_235 Depth=1
	v_and_b32_sdwa v14, v42, v67 dst_sel:DWORD dst_unused:UNUSED_PAD src0_sel:BYTE_3 src1_sel:DWORD
	v_ffbh_u32_e32 v50, v14
	v_min_u32_e32 v53, 32, v50
	v_subrev_u32_e32 v50, 28, v53
	v_lshlrev_b64 v[50:51], v50, v[14:15]
	v_lshrrev_b32_e32 v52, 3, v43
	v_sub_u32_e32 v51, 29, v53
	v_cmp_gt_u32_e64 s[0:1], 8, v43
	v_and_b32_e32 v50, 7, v50
	v_cndmask_b32_e64 v43, v52, v51, s[0:1]
	v_cndmask_b32_e64 v14, v14, v50, s[0:1]
	v_lshlrev_b32_sdwa v42, v68, v42 dst_sel:DWORD dst_unused:UNUSED_PAD src0_sel:DWORD src1_sel:BYTE_3
	v_lshl_add_u32 v43, v43, 23, v37
	v_and_or_b32 v42, v42, s7, v43
	v_lshlrev_b32_e32 v14, 20, v14
	v_or_b32_e32 v51, v42, v14
	v_mov_b32_e32 v50, v15
.LBB225_361:                            ;   in Loop: Header=BB225_235 Depth=1
	s_or_b64 exec, exec, s[20:21]
.LBB225_362:                            ;   in Loop: Header=BB225_235 Depth=1
	s_or_b64 exec, exec, s[18:19]
.LBB225_363:                            ;   in Loop: Header=BB225_235 Depth=1
	s_or_b64 exec, exec, s[16:17]
	v_or_b32_e32 v43, v47, v45
	v_or_b32_e32 v42, v46, v44
	;; [unrolled: 1-line block ×4, first 2 shown]
	v_pk_mul_f32 v[42:43], s[10:11], v[42:43]
	v_pk_mul_f32 v[44:45], s[10:11], v[44:45]
	s_and_saveexec_b64 s[16:17], vcc
; %bb.364:                              ;   in Loop: Header=BB225_235 Depth=1
	v_cmp_gt_i32_e64 s[0:1], s29, v69
	v_cndmask_b32_e64 v42, 0, v42, s[0:1]
	v_cmp_gt_i32_e64 s[0:1], s29, v71
	v_cndmask_b32_e64 v43, 0, v43, s[0:1]
	;; [unrolled: 2-line block ×4, first 2 shown]
; %bb.365:                              ;   in Loop: Header=BB225_235 Depth=1
	s_or_b64 exec, exec, s[16:17]
	global_load_dword v46, v[24:25], off offset:1280
	v_pk_mov_b32 v[50:51], 0, 0
	v_pk_mov_b32 v[48:49], v[50:51], v[50:51] op_sel:[0,1]
	s_waitcnt vmcnt(0)
	v_cmp_ne_u16_sdwa s[0:1], v46, v15 src0_sel:BYTE_0 src1_sel:DWORD
	s_and_saveexec_b64 s[16:17], s[0:1]
	s_cbranch_execz .LBB225_371
; %bb.366:                              ;   in Loop: Header=BB225_235 Depth=1
	v_bfrev_b32_e32 v48, 1
	v_cmp_ne_u16_sdwa s[0:1], v46, s22 src0_sel:BYTE_0 src1_sel:DWORD
	v_mov_b32_e32 v49, 0
	s_and_saveexec_b64 s[18:19], s[0:1]
	s_cbranch_execz .LBB225_370
; %bb.367:                              ;   in Loop: Header=BB225_235 Depth=1
	v_and_b32_e32 v14, 0x7f, v46
	v_mov_b32_e32 v48, 0x7f800001
	v_cmp_ne_u32_e64 s[0:1], s23, v14
	v_mov_b32_e32 v49, 0
	s_and_saveexec_b64 s[20:21], s[0:1]
	s_cbranch_execz .LBB225_369
; %bb.368:                              ;   in Loop: Header=BB225_235 Depth=1
	v_and_b32_e32 v47, 7, v46
	v_ffbh_u32_e32 v48, v47
	v_min_u32_e32 v53, 32, v48
	v_subrev_u32_e32 v48, 28, v53
	v_lshlrev_b64 v[48:49], v48, v[46:47]
	v_lshrrev_b32_e32 v52, 3, v14
	v_sub_u32_e32 v49, 29, v53
	v_and_b32_e32 v48, 7, v48
	v_cmp_gt_u32_e64 s[0:1], 8, v14
	v_cndmask_b32_e64 v14, v52, v49, s[0:1]
	v_cndmask_b32_e64 v47, v47, v48, s[0:1]
	v_lshlrev_b32_e32 v47, 20, v47
	v_and_b32_sdwa v48, sext(v46), s7 dst_sel:DWORD dst_unused:UNUSED_PAD src0_sel:BYTE_0 src1_sel:DWORD
	v_lshl_add_u32 v14, v14, 23, v37
	v_or3_b32 v14, v48, v14, v47
	v_pk_mov_b32 v[48:49], v[14:15], v[14:15] op_sel:[0,1]
.LBB225_369:                            ;   in Loop: Header=BB225_235 Depth=1
	s_or_b64 exec, exec, s[20:21]
.LBB225_370:                            ;   in Loop: Header=BB225_235 Depth=1
	s_or_b64 exec, exec, s[18:19]
.LBB225_371:                            ;   in Loop: Header=BB225_235 Depth=1
	s_or_b64 exec, exec, s[16:17]
	v_cmp_ne_u16_sdwa s[0:1], v46, v15 src0_sel:BYTE_1 src1_sel:DWORD
	s_and_saveexec_b64 s[16:17], s[0:1]
	s_cbranch_execz .LBB225_377
; %bb.372:                              ;   in Loop: Header=BB225_235 Depth=1
	v_cmp_ne_u16_sdwa s[0:1], v46, s22 src0_sel:BYTE_1 src1_sel:DWORD
	v_pk_mov_b32 v[50:51], s[6:7], s[6:7] op_sel:[0,1]
	s_and_saveexec_b64 s[18:19], s[0:1]
	s_cbranch_execz .LBB225_376
; %bb.373:                              ;   in Loop: Header=BB225_235 Depth=1
	v_and_b32_sdwa v47, v46, s23 dst_sel:DWORD dst_unused:UNUSED_PAD src0_sel:BYTE_1 src1_sel:DWORD
	s_mov_b32 s14, s6
	v_cmp_ne_u32_e64 s[0:1], s23, v47
	v_pk_mov_b32 v[50:51], s[14:15], s[14:15] op_sel:[0,1]
	s_and_saveexec_b64 s[20:21], s[0:1]
	s_cbranch_execz .LBB225_375
; %bb.374:                              ;   in Loop: Header=BB225_235 Depth=1
	v_and_b32_sdwa v14, v46, v67 dst_sel:DWORD dst_unused:UNUSED_PAD src0_sel:BYTE_1 src1_sel:DWORD
	v_ffbh_u32_e32 v50, v14
	v_min_u32_e32 v53, 32, v50
	v_subrev_u32_e32 v50, 28, v53
	v_lshlrev_b64 v[50:51], v50, v[14:15]
	v_lshrrev_b32_e32 v52, 3, v47
	v_sub_u32_e32 v51, 29, v53
	v_cmp_gt_u32_e64 s[0:1], 8, v47
	v_and_b32_e32 v50, 7, v50
	v_cndmask_b32_e64 v47, v52, v51, s[0:1]
	v_cndmask_b32_e64 v14, v14, v50, s[0:1]
	v_lshlrev_b32_e32 v50, 16, v46
	v_lshl_add_u32 v47, v47, 23, v37
	v_and_or_b32 v47, v50, s7, v47
	v_lshlrev_b32_e32 v14, 20, v14
	v_or_b32_e32 v51, v47, v14
	v_mov_b32_e32 v50, v15
.LBB225_375:                            ;   in Loop: Header=BB225_235 Depth=1
	s_or_b64 exec, exec, s[20:21]
.LBB225_376:                            ;   in Loop: Header=BB225_235 Depth=1
	s_or_b64 exec, exec, s[18:19]
.LBB225_377:                            ;   in Loop: Header=BB225_235 Depth=1
	s_or_b64 exec, exec, s[16:17]
	v_lshrrev_b32_e32 v14, 16, v46
	v_pk_mov_b32 v[54:55], 0, 0
	v_cmp_ne_u16_sdwa s[0:1], v14, v15 src0_sel:BYTE_0 src1_sel:DWORD
	v_pk_mov_b32 v[52:53], v[54:55], v[54:55] op_sel:[0,1]
	s_and_saveexec_b64 s[16:17], s[0:1]
	s_cbranch_execz .LBB225_383
; %bb.378:                              ;   in Loop: Header=BB225_235 Depth=1
	v_bfrev_b32_e32 v52, 1
	v_cmp_ne_u16_sdwa s[0:1], v14, s22 src0_sel:BYTE_0 src1_sel:DWORD
	v_mov_b32_e32 v53, 0
	s_and_saveexec_b64 s[18:19], s[0:1]
	s_cbranch_execz .LBB225_382
; %bb.379:                              ;   in Loop: Header=BB225_235 Depth=1
	v_bfe_u32 v47, v46, 16, 7
	v_mov_b32_e32 v52, 0x7f800001
	v_cmp_ne_u32_e64 s[0:1], s23, v47
	v_mov_b32_e32 v53, 0
	s_and_saveexec_b64 s[20:21], s[0:1]
	s_cbranch_execz .LBB225_381
; %bb.380:                              ;   in Loop: Header=BB225_235 Depth=1
	v_and_b32_e32 v56, 7, v14
	v_ffbh_u32_e32 v52, v56
	v_min_u32_e32 v58, 32, v52
	v_subrev_u32_e32 v52, 28, v58
	v_lshlrev_b64 v[52:53], v52, v[14:15]
	v_lshrrev_b32_e32 v57, 3, v47
	v_sub_u32_e32 v53, 29, v58
	v_and_b32_e32 v52, 7, v52
	v_cmp_gt_u32_e64 s[0:1], 8, v47
	v_cndmask_b32_e64 v47, v57, v53, s[0:1]
	v_cndmask_b32_e64 v52, v56, v52, s[0:1]
	v_lshlrev_b32_e32 v52, 20, v52
	v_and_b32_sdwa v14, sext(v14), s7 dst_sel:DWORD dst_unused:UNUSED_PAD src0_sel:BYTE_0 src1_sel:DWORD
	v_lshl_add_u32 v47, v47, 23, v37
	v_or3_b32 v14, v14, v47, v52
	v_pk_mov_b32 v[52:53], v[14:15], v[14:15] op_sel:[0,1]
.LBB225_381:                            ;   in Loop: Header=BB225_235 Depth=1
	s_or_b64 exec, exec, s[20:21]
.LBB225_382:                            ;   in Loop: Header=BB225_235 Depth=1
	s_or_b64 exec, exec, s[18:19]
.LBB225_383:                            ;   in Loop: Header=BB225_235 Depth=1
	s_or_b64 exec, exec, s[16:17]
	v_cmp_lt_u32_e64 s[0:1], s28, v46
	s_and_saveexec_b64 s[16:17], s[0:1]
	s_cbranch_execz .LBB225_389
; %bb.384:                              ;   in Loop: Header=BB225_235 Depth=1
	v_cmp_ne_u32_sdwa s[0:1], v46, s22 src0_sel:BYTE_3 src1_sel:DWORD
	v_pk_mov_b32 v[54:55], s[6:7], s[6:7] op_sel:[0,1]
	s_and_saveexec_b64 s[18:19], s[0:1]
	s_cbranch_execz .LBB225_388
; %bb.385:                              ;   in Loop: Header=BB225_235 Depth=1
	v_bfe_u32 v47, v46, 24, 7
	s_mov_b32 s14, s6
	v_cmp_ne_u32_e64 s[0:1], s23, v47
	v_pk_mov_b32 v[54:55], s[14:15], s[14:15] op_sel:[0,1]
	s_and_saveexec_b64 s[20:21], s[0:1]
	s_cbranch_execz .LBB225_387
; %bb.386:                              ;   in Loop: Header=BB225_235 Depth=1
	v_and_b32_sdwa v14, v46, v67 dst_sel:DWORD dst_unused:UNUSED_PAD src0_sel:BYTE_3 src1_sel:DWORD
	v_ffbh_u32_e32 v54, v14
	v_min_u32_e32 v57, 32, v54
	v_subrev_u32_e32 v54, 28, v57
	v_lshlrev_b64 v[54:55], v54, v[14:15]
	v_lshrrev_b32_e32 v56, 3, v47
	v_sub_u32_e32 v55, 29, v57
	v_cmp_gt_u32_e64 s[0:1], 8, v47
	v_and_b32_e32 v54, 7, v54
	v_cndmask_b32_e64 v47, v56, v55, s[0:1]
	v_cndmask_b32_e64 v14, v14, v54, s[0:1]
	v_lshlrev_b32_sdwa v46, v68, v46 dst_sel:DWORD dst_unused:UNUSED_PAD src0_sel:DWORD src1_sel:BYTE_3
	v_lshl_add_u32 v47, v47, 23, v37
	v_and_or_b32 v46, v46, s7, v47
	v_lshlrev_b32_e32 v14, 20, v14
	v_or_b32_e32 v55, v46, v14
	v_mov_b32_e32 v54, v15
.LBB225_387:                            ;   in Loop: Header=BB225_235 Depth=1
	s_or_b64 exec, exec, s[20:21]
.LBB225_388:                            ;   in Loop: Header=BB225_235 Depth=1
	s_or_b64 exec, exec, s[18:19]
.LBB225_389:                            ;   in Loop: Header=BB225_235 Depth=1
	s_or_b64 exec, exec, s[16:17]
	v_or_b32_e32 v47, v51, v49
	v_or_b32_e32 v46, v50, v48
	;; [unrolled: 1-line block ×4, first 2 shown]
	v_pk_mul_f32 v[46:47], s[10:11], v[46:47]
	v_pk_mul_f32 v[48:49], s[10:11], v[48:49]
	s_and_saveexec_b64 s[16:17], vcc
; %bb.390:                              ;   in Loop: Header=BB225_235 Depth=1
	v_cmp_gt_i32_e64 s[0:1], s29, v69
	v_cndmask_b32_e64 v46, 0, v46, s[0:1]
	v_cmp_gt_i32_e64 s[0:1], s29, v71
	v_cndmask_b32_e64 v47, 0, v47, s[0:1]
	;; [unrolled: 2-line block ×4, first 2 shown]
; %bb.391:                              ;   in Loop: Header=BB225_235 Depth=1
	s_or_b64 exec, exec, s[16:17]
	global_load_dword v50, v[24:25], off offset:1536
	v_pk_mov_b32 v[54:55], 0, 0
	v_pk_mov_b32 v[52:53], v[54:55], v[54:55] op_sel:[0,1]
	s_waitcnt vmcnt(0)
	v_cmp_ne_u16_sdwa s[0:1], v50, v15 src0_sel:BYTE_0 src1_sel:DWORD
	s_and_saveexec_b64 s[16:17], s[0:1]
	s_cbranch_execz .LBB225_397
; %bb.392:                              ;   in Loop: Header=BB225_235 Depth=1
	v_bfrev_b32_e32 v52, 1
	v_cmp_ne_u16_sdwa s[0:1], v50, s22 src0_sel:BYTE_0 src1_sel:DWORD
	v_mov_b32_e32 v53, 0
	s_and_saveexec_b64 s[18:19], s[0:1]
	s_cbranch_execz .LBB225_396
; %bb.393:                              ;   in Loop: Header=BB225_235 Depth=1
	v_and_b32_e32 v14, 0x7f, v50
	v_mov_b32_e32 v52, 0x7f800001
	v_cmp_ne_u32_e64 s[0:1], s23, v14
	v_mov_b32_e32 v53, 0
	s_and_saveexec_b64 s[20:21], s[0:1]
	s_cbranch_execz .LBB225_395
; %bb.394:                              ;   in Loop: Header=BB225_235 Depth=1
	v_and_b32_e32 v51, 7, v50
	v_ffbh_u32_e32 v52, v51
	v_min_u32_e32 v57, 32, v52
	v_subrev_u32_e32 v52, 28, v57
	v_lshlrev_b64 v[52:53], v52, v[50:51]
	v_lshrrev_b32_e32 v56, 3, v14
	v_sub_u32_e32 v53, 29, v57
	v_and_b32_e32 v52, 7, v52
	v_cmp_gt_u32_e64 s[0:1], 8, v14
	v_cndmask_b32_e64 v14, v56, v53, s[0:1]
	v_cndmask_b32_e64 v51, v51, v52, s[0:1]
	v_lshlrev_b32_e32 v51, 20, v51
	v_and_b32_sdwa v52, sext(v50), s7 dst_sel:DWORD dst_unused:UNUSED_PAD src0_sel:BYTE_0 src1_sel:DWORD
	v_lshl_add_u32 v14, v14, 23, v37
	v_or3_b32 v14, v52, v14, v51
	v_pk_mov_b32 v[52:53], v[14:15], v[14:15] op_sel:[0,1]
.LBB225_395:                            ;   in Loop: Header=BB225_235 Depth=1
	s_or_b64 exec, exec, s[20:21]
.LBB225_396:                            ;   in Loop: Header=BB225_235 Depth=1
	s_or_b64 exec, exec, s[18:19]
.LBB225_397:                            ;   in Loop: Header=BB225_235 Depth=1
	s_or_b64 exec, exec, s[16:17]
	v_cmp_ne_u16_sdwa s[0:1], v50, v15 src0_sel:BYTE_1 src1_sel:DWORD
	s_and_saveexec_b64 s[16:17], s[0:1]
	s_cbranch_execz .LBB225_403
; %bb.398:                              ;   in Loop: Header=BB225_235 Depth=1
	v_cmp_ne_u16_sdwa s[0:1], v50, s22 src0_sel:BYTE_1 src1_sel:DWORD
	v_pk_mov_b32 v[54:55], s[6:7], s[6:7] op_sel:[0,1]
	s_and_saveexec_b64 s[18:19], s[0:1]
	s_cbranch_execz .LBB225_402
; %bb.399:                              ;   in Loop: Header=BB225_235 Depth=1
	v_and_b32_sdwa v51, v50, s23 dst_sel:DWORD dst_unused:UNUSED_PAD src0_sel:BYTE_1 src1_sel:DWORD
	s_mov_b32 s14, s6
	v_cmp_ne_u32_e64 s[0:1], s23, v51
	v_pk_mov_b32 v[54:55], s[14:15], s[14:15] op_sel:[0,1]
	s_and_saveexec_b64 s[20:21], s[0:1]
	s_cbranch_execz .LBB225_401
; %bb.400:                              ;   in Loop: Header=BB225_235 Depth=1
	v_and_b32_sdwa v14, v50, v67 dst_sel:DWORD dst_unused:UNUSED_PAD src0_sel:BYTE_1 src1_sel:DWORD
	v_ffbh_u32_e32 v54, v14
	v_min_u32_e32 v57, 32, v54
	v_subrev_u32_e32 v54, 28, v57
	v_lshlrev_b64 v[54:55], v54, v[14:15]
	v_lshrrev_b32_e32 v56, 3, v51
	v_sub_u32_e32 v55, 29, v57
	v_cmp_gt_u32_e64 s[0:1], 8, v51
	v_and_b32_e32 v54, 7, v54
	v_cndmask_b32_e64 v51, v56, v55, s[0:1]
	v_cndmask_b32_e64 v14, v14, v54, s[0:1]
	v_lshlrev_b32_e32 v54, 16, v50
	v_lshl_add_u32 v51, v51, 23, v37
	v_and_or_b32 v51, v54, s7, v51
	v_lshlrev_b32_e32 v14, 20, v14
	v_or_b32_e32 v55, v51, v14
	v_mov_b32_e32 v54, v15
.LBB225_401:                            ;   in Loop: Header=BB225_235 Depth=1
	s_or_b64 exec, exec, s[20:21]
.LBB225_402:                            ;   in Loop: Header=BB225_235 Depth=1
	s_or_b64 exec, exec, s[18:19]
.LBB225_403:                            ;   in Loop: Header=BB225_235 Depth=1
	s_or_b64 exec, exec, s[16:17]
	v_lshrrev_b32_e32 v14, 16, v50
	v_pk_mov_b32 v[58:59], 0, 0
	v_cmp_ne_u16_sdwa s[0:1], v14, v15 src0_sel:BYTE_0 src1_sel:DWORD
	v_pk_mov_b32 v[56:57], v[58:59], v[58:59] op_sel:[0,1]
	s_and_saveexec_b64 s[16:17], s[0:1]
	s_cbranch_execz .LBB225_409
; %bb.404:                              ;   in Loop: Header=BB225_235 Depth=1
	v_bfrev_b32_e32 v56, 1
	v_cmp_ne_u16_sdwa s[0:1], v14, s22 src0_sel:BYTE_0 src1_sel:DWORD
	v_mov_b32_e32 v57, 0
	s_and_saveexec_b64 s[18:19], s[0:1]
	s_cbranch_execz .LBB225_408
; %bb.405:                              ;   in Loop: Header=BB225_235 Depth=1
	v_bfe_u32 v51, v50, 16, 7
	v_mov_b32_e32 v56, 0x7f800001
	v_cmp_ne_u32_e64 s[0:1], s23, v51
	v_mov_b32_e32 v57, 0
	s_and_saveexec_b64 s[20:21], s[0:1]
	s_cbranch_execz .LBB225_407
; %bb.406:                              ;   in Loop: Header=BB225_235 Depth=1
	v_and_b32_e32 v60, 7, v14
	v_ffbh_u32_e32 v56, v60
	v_min_u32_e32 v72, 32, v56
	v_subrev_u32_e32 v56, 28, v72
	v_lshlrev_b64 v[56:57], v56, v[14:15]
	v_lshrrev_b32_e32 v61, 3, v51
	v_sub_u32_e32 v57, 29, v72
	v_and_b32_e32 v56, 7, v56
	v_cmp_gt_u32_e64 s[0:1], 8, v51
	v_cndmask_b32_e64 v51, v61, v57, s[0:1]
	v_cndmask_b32_e64 v56, v60, v56, s[0:1]
	v_lshlrev_b32_e32 v56, 20, v56
	v_and_b32_sdwa v14, sext(v14), s7 dst_sel:DWORD dst_unused:UNUSED_PAD src0_sel:BYTE_0 src1_sel:DWORD
	v_lshl_add_u32 v51, v51, 23, v37
	v_or3_b32 v14, v14, v51, v56
	v_pk_mov_b32 v[56:57], v[14:15], v[14:15] op_sel:[0,1]
.LBB225_407:                            ;   in Loop: Header=BB225_235 Depth=1
	s_or_b64 exec, exec, s[20:21]
.LBB225_408:                            ;   in Loop: Header=BB225_235 Depth=1
	s_or_b64 exec, exec, s[18:19]
.LBB225_409:                            ;   in Loop: Header=BB225_235 Depth=1
	s_or_b64 exec, exec, s[16:17]
	v_cmp_lt_u32_e64 s[0:1], s28, v50
	s_and_saveexec_b64 s[16:17], s[0:1]
	s_cbranch_execz .LBB225_415
; %bb.410:                              ;   in Loop: Header=BB225_235 Depth=1
	v_cmp_ne_u32_sdwa s[0:1], v50, s22 src0_sel:BYTE_3 src1_sel:DWORD
	v_pk_mov_b32 v[58:59], s[6:7], s[6:7] op_sel:[0,1]
	s_and_saveexec_b64 s[18:19], s[0:1]
	s_cbranch_execz .LBB225_414
; %bb.411:                              ;   in Loop: Header=BB225_235 Depth=1
	v_bfe_u32 v51, v50, 24, 7
	s_mov_b32 s14, s6
	v_cmp_ne_u32_e64 s[0:1], s23, v51
	v_pk_mov_b32 v[58:59], s[14:15], s[14:15] op_sel:[0,1]
	s_and_saveexec_b64 s[20:21], s[0:1]
	s_cbranch_execz .LBB225_413
; %bb.412:                              ;   in Loop: Header=BB225_235 Depth=1
	v_and_b32_sdwa v14, v50, v67 dst_sel:DWORD dst_unused:UNUSED_PAD src0_sel:BYTE_3 src1_sel:DWORD
	v_ffbh_u32_e32 v58, v14
	v_min_u32_e32 v61, 32, v58
	v_subrev_u32_e32 v58, 28, v61
	v_lshlrev_b64 v[58:59], v58, v[14:15]
	v_lshrrev_b32_e32 v60, 3, v51
	v_sub_u32_e32 v59, 29, v61
	v_cmp_gt_u32_e64 s[0:1], 8, v51
	v_and_b32_e32 v58, 7, v58
	v_cndmask_b32_e64 v51, v60, v59, s[0:1]
	v_cndmask_b32_e64 v14, v14, v58, s[0:1]
	v_lshlrev_b32_sdwa v50, v68, v50 dst_sel:DWORD dst_unused:UNUSED_PAD src0_sel:DWORD src1_sel:BYTE_3
	v_lshl_add_u32 v51, v51, 23, v37
	v_and_or_b32 v50, v50, s7, v51
	v_lshlrev_b32_e32 v14, 20, v14
	v_or_b32_e32 v59, v50, v14
	v_mov_b32_e32 v58, v15
.LBB225_413:                            ;   in Loop: Header=BB225_235 Depth=1
	s_or_b64 exec, exec, s[20:21]
.LBB225_414:                            ;   in Loop: Header=BB225_235 Depth=1
	s_or_b64 exec, exec, s[18:19]
.LBB225_415:                            ;   in Loop: Header=BB225_235 Depth=1
	s_or_b64 exec, exec, s[16:17]
	v_or_b32_e32 v51, v55, v53
	v_or_b32_e32 v50, v54, v52
	;; [unrolled: 1-line block ×4, first 2 shown]
	v_pk_mul_f32 v[50:51], s[10:11], v[50:51]
	v_pk_mul_f32 v[52:53], s[10:11], v[52:53]
	s_and_saveexec_b64 s[16:17], vcc
; %bb.416:                              ;   in Loop: Header=BB225_235 Depth=1
	v_cmp_gt_i32_e64 s[0:1], s29, v69
	v_cndmask_b32_e64 v50, 0, v50, s[0:1]
	v_cmp_gt_i32_e64 s[0:1], s29, v71
	v_cndmask_b32_e64 v51, 0, v51, s[0:1]
	;; [unrolled: 2-line block ×4, first 2 shown]
; %bb.417:                              ;   in Loop: Header=BB225_235 Depth=1
	s_or_b64 exec, exec, s[16:17]
	global_load_dword v24, v[24:25], off offset:1792
	v_pk_mov_b32 v[56:57], 0, 0
	v_pk_mov_b32 v[54:55], v[56:57], v[56:57] op_sel:[0,1]
	s_waitcnt vmcnt(0)
	v_cmp_ne_u16_sdwa s[0:1], v24, v15 src0_sel:BYTE_0 src1_sel:DWORD
	s_and_saveexec_b64 s[16:17], s[0:1]
	s_cbranch_execz .LBB225_423
; %bb.418:                              ;   in Loop: Header=BB225_235 Depth=1
	v_bfrev_b32_e32 v54, 1
	v_cmp_ne_u16_sdwa s[0:1], v24, s22 src0_sel:BYTE_0 src1_sel:DWORD
	v_mov_b32_e32 v55, 0
	s_and_saveexec_b64 s[18:19], s[0:1]
	s_cbranch_execz .LBB225_422
; %bb.419:                              ;   in Loop: Header=BB225_235 Depth=1
	v_and_b32_e32 v14, 0x7f, v24
	v_mov_b32_e32 v54, 0x7f800001
	v_cmp_ne_u32_e64 s[0:1], s23, v14
	v_mov_b32_e32 v55, 0
	s_and_saveexec_b64 s[20:21], s[0:1]
	s_cbranch_execz .LBB225_421
; %bb.420:                              ;   in Loop: Header=BB225_235 Depth=1
	v_and_b32_e32 v25, 7, v24
	v_ffbh_u32_e32 v54, v25
	v_min_u32_e32 v59, 32, v54
	v_subrev_u32_e32 v54, 28, v59
	v_lshlrev_b64 v[54:55], v54, v[24:25]
	v_lshrrev_b32_e32 v58, 3, v14
	v_sub_u32_e32 v55, 29, v59
	v_and_b32_e32 v54, 7, v54
	v_cmp_gt_u32_e64 s[0:1], 8, v14
	v_cndmask_b32_e64 v14, v58, v55, s[0:1]
	v_cndmask_b32_e64 v25, v25, v54, s[0:1]
	v_lshlrev_b32_e32 v25, 20, v25
	v_and_b32_sdwa v54, sext(v24), s7 dst_sel:DWORD dst_unused:UNUSED_PAD src0_sel:BYTE_0 src1_sel:DWORD
	v_lshl_add_u32 v14, v14, 23, v37
	v_or3_b32 v14, v54, v14, v25
	v_pk_mov_b32 v[54:55], v[14:15], v[14:15] op_sel:[0,1]
.LBB225_421:                            ;   in Loop: Header=BB225_235 Depth=1
	s_or_b64 exec, exec, s[20:21]
.LBB225_422:                            ;   in Loop: Header=BB225_235 Depth=1
	s_or_b64 exec, exec, s[18:19]
.LBB225_423:                            ;   in Loop: Header=BB225_235 Depth=1
	s_or_b64 exec, exec, s[16:17]
	v_cmp_ne_u16_sdwa s[0:1], v24, v15 src0_sel:BYTE_1 src1_sel:DWORD
	s_and_saveexec_b64 s[16:17], s[0:1]
	s_cbranch_execz .LBB225_429
; %bb.424:                              ;   in Loop: Header=BB225_235 Depth=1
	v_cmp_ne_u16_sdwa s[0:1], v24, s22 src0_sel:BYTE_1 src1_sel:DWORD
	v_pk_mov_b32 v[56:57], s[6:7], s[6:7] op_sel:[0,1]
	s_and_saveexec_b64 s[18:19], s[0:1]
	s_cbranch_execz .LBB225_428
; %bb.425:                              ;   in Loop: Header=BB225_235 Depth=1
	v_and_b32_sdwa v25, v24, s23 dst_sel:DWORD dst_unused:UNUSED_PAD src0_sel:BYTE_1 src1_sel:DWORD
	s_mov_b32 s14, s6
	v_cmp_ne_u32_e64 s[0:1], s23, v25
	v_pk_mov_b32 v[56:57], s[14:15], s[14:15] op_sel:[0,1]
	s_and_saveexec_b64 s[20:21], s[0:1]
	s_cbranch_execz .LBB225_427
; %bb.426:                              ;   in Loop: Header=BB225_235 Depth=1
	v_and_b32_sdwa v14, v24, v67 dst_sel:DWORD dst_unused:UNUSED_PAD src0_sel:BYTE_1 src1_sel:DWORD
	v_ffbh_u32_e32 v56, v14
	v_min_u32_e32 v59, 32, v56
	v_subrev_u32_e32 v56, 28, v59
	v_lshlrev_b64 v[56:57], v56, v[14:15]
	v_lshrrev_b32_e32 v58, 3, v25
	v_sub_u32_e32 v57, 29, v59
	v_cmp_gt_u32_e64 s[0:1], 8, v25
	v_and_b32_e32 v56, 7, v56
	v_cndmask_b32_e64 v25, v58, v57, s[0:1]
	v_cndmask_b32_e64 v14, v14, v56, s[0:1]
	v_lshlrev_b32_e32 v56, 16, v24
	v_lshl_add_u32 v25, v25, 23, v37
	v_and_or_b32 v25, v56, s7, v25
	v_lshlrev_b32_e32 v14, 20, v14
	v_or_b32_e32 v57, v25, v14
	v_mov_b32_e32 v56, v15
.LBB225_427:                            ;   in Loop: Header=BB225_235 Depth=1
	s_or_b64 exec, exec, s[20:21]
.LBB225_428:                            ;   in Loop: Header=BB225_235 Depth=1
	s_or_b64 exec, exec, s[18:19]
.LBB225_429:                            ;   in Loop: Header=BB225_235 Depth=1
	s_or_b64 exec, exec, s[16:17]
	v_lshrrev_b32_e32 v14, 16, v24
	v_pk_mov_b32 v[60:61], 0, 0
	v_cmp_ne_u16_sdwa s[0:1], v14, v15 src0_sel:BYTE_0 src1_sel:DWORD
	v_pk_mov_b32 v[58:59], v[60:61], v[60:61] op_sel:[0,1]
	s_and_saveexec_b64 s[16:17], s[0:1]
	s_cbranch_execz .LBB225_435
; %bb.430:                              ;   in Loop: Header=BB225_235 Depth=1
	v_bfrev_b32_e32 v58, 1
	v_cmp_ne_u16_sdwa s[0:1], v14, s22 src0_sel:BYTE_0 src1_sel:DWORD
	v_mov_b32_e32 v59, 0
	s_and_saveexec_b64 s[18:19], s[0:1]
	s_cbranch_execz .LBB225_434
; %bb.431:                              ;   in Loop: Header=BB225_235 Depth=1
	v_bfe_u32 v25, v24, 16, 7
	v_mov_b32_e32 v58, 0x7f800001
	v_cmp_ne_u32_e64 s[0:1], s23, v25
	v_mov_b32_e32 v59, 0
	s_and_saveexec_b64 s[20:21], s[0:1]
	s_cbranch_execz .LBB225_433
; %bb.432:                              ;   in Loop: Header=BB225_235 Depth=1
	v_and_b32_e32 v72, 7, v14
	v_ffbh_u32_e32 v58, v72
	v_min_u32_e32 v74, 32, v58
	v_subrev_u32_e32 v58, 28, v74
	v_lshlrev_b64 v[58:59], v58, v[14:15]
	v_lshrrev_b32_e32 v73, 3, v25
	v_sub_u32_e32 v59, 29, v74
	v_and_b32_e32 v58, 7, v58
	v_cmp_gt_u32_e64 s[0:1], 8, v25
	v_cndmask_b32_e64 v25, v73, v59, s[0:1]
	v_cndmask_b32_e64 v58, v72, v58, s[0:1]
	v_lshlrev_b32_e32 v58, 20, v58
	v_and_b32_sdwa v14, sext(v14), s7 dst_sel:DWORD dst_unused:UNUSED_PAD src0_sel:BYTE_0 src1_sel:DWORD
	v_lshl_add_u32 v25, v25, 23, v37
	v_or3_b32 v14, v14, v25, v58
	v_pk_mov_b32 v[58:59], v[14:15], v[14:15] op_sel:[0,1]
.LBB225_433:                            ;   in Loop: Header=BB225_235 Depth=1
	s_or_b64 exec, exec, s[20:21]
.LBB225_434:                            ;   in Loop: Header=BB225_235 Depth=1
	s_or_b64 exec, exec, s[18:19]
.LBB225_435:                            ;   in Loop: Header=BB225_235 Depth=1
	s_or_b64 exec, exec, s[16:17]
	v_cmp_lt_u32_e64 s[0:1], s28, v24
	s_and_saveexec_b64 s[16:17], s[0:1]
	s_cbranch_execz .LBB225_441
; %bb.436:                              ;   in Loop: Header=BB225_235 Depth=1
	v_cmp_ne_u32_sdwa s[0:1], v24, s22 src0_sel:BYTE_3 src1_sel:DWORD
	v_pk_mov_b32 v[60:61], s[6:7], s[6:7] op_sel:[0,1]
	s_and_saveexec_b64 s[18:19], s[0:1]
	s_cbranch_execz .LBB225_440
; %bb.437:                              ;   in Loop: Header=BB225_235 Depth=1
	v_bfe_u32 v25, v24, 24, 7
	s_mov_b32 s14, s6
	v_cmp_ne_u32_e64 s[0:1], s23, v25
	v_pk_mov_b32 v[60:61], s[14:15], s[14:15] op_sel:[0,1]
	s_and_saveexec_b64 s[20:21], s[0:1]
	s_cbranch_execz .LBB225_439
; %bb.438:                              ;   in Loop: Header=BB225_235 Depth=1
	v_and_b32_sdwa v14, v24, v67 dst_sel:DWORD dst_unused:UNUSED_PAD src0_sel:BYTE_3 src1_sel:DWORD
	v_ffbh_u32_e32 v60, v14
	v_min_u32_e32 v73, 32, v60
	v_subrev_u32_e32 v60, 28, v73
	v_lshlrev_b64 v[60:61], v60, v[14:15]
	v_lshrrev_b32_e32 v72, 3, v25
	v_sub_u32_e32 v61, 29, v73
	v_cmp_gt_u32_e64 s[0:1], 8, v25
	v_and_b32_e32 v60, 7, v60
	v_cndmask_b32_e64 v25, v72, v61, s[0:1]
	v_cndmask_b32_e64 v14, v14, v60, s[0:1]
	v_lshlrev_b32_sdwa v24, v68, v24 dst_sel:DWORD dst_unused:UNUSED_PAD src0_sel:DWORD src1_sel:BYTE_3
	v_lshl_add_u32 v25, v25, 23, v37
	v_and_or_b32 v24, v24, s7, v25
	v_lshlrev_b32_e32 v14, 20, v14
	v_or_b32_e32 v61, v24, v14
	v_mov_b32_e32 v60, v15
.LBB225_439:                            ;   in Loop: Header=BB225_235 Depth=1
	s_or_b64 exec, exec, s[20:21]
.LBB225_440:                            ;   in Loop: Header=BB225_235 Depth=1
	s_or_b64 exec, exec, s[18:19]
.LBB225_441:                            ;   in Loop: Header=BB225_235 Depth=1
	s_or_b64 exec, exec, s[16:17]
	v_or_b32_e32 v25, v57, v55
	v_or_b32_e32 v24, v56, v54
	;; [unrolled: 1-line block ×4, first 2 shown]
	v_pk_mul_f32 v[24:25], s[10:11], v[24:25]
	v_pk_mul_f32 v[54:55], s[10:11], v[54:55]
	s_and_saveexec_b64 s[0:1], vcc
	s_cbranch_execz .LBB225_234
; %bb.442:                              ;   in Loop: Header=BB225_235 Depth=1
	v_cmp_gt_i32_e32 vcc, s29, v69
	v_cndmask_b32_e32 v24, 0, v24, vcc
	v_cmp_gt_i32_e32 vcc, s29, v71
	v_cndmask_b32_e32 v25, 0, v25, vcc
	;; [unrolled: 2-line block ×4, first 2 shown]
	s_branch .LBB225_234
.LBB225_443:
	s_or_b64 exec, exec, s[12:13]
.LBB225_444:
	s_or_b64 exec, exec, s[4:5]
	ds_bpermute_b32 v4, v64, v10
	ds_bpermute_b32 v5, v64, v11
	;; [unrolled: 1-line block ×6, first 2 shown]
	s_waitcnt lgkmcnt(4)
	v_pk_add_f32 v[4:5], v[10:11], v[4:5]
	ds_bpermute_b32 v10, v64, v8
	ds_bpermute_b32 v11, v64, v9
	s_waitcnt lgkmcnt(4)
	v_pk_add_f32 v[2:3], v[12:13], v[2:3]
	ds_bpermute_b32 v12, v63, v2
	ds_bpermute_b32 v13, v63, v3
	s_waitcnt lgkmcnt(4)
	v_pk_add_f32 v[16:17], v[6:7], v[16:17]
	s_waitcnt lgkmcnt(2)
	v_pk_add_f32 v[10:11], v[8:9], v[10:11]
	ds_bpermute_b32 v18, v63, v10
	ds_bpermute_b32 v19, v63, v11
	;; [unrolled: 1-line block ×6, first 2 shown]
	s_waitcnt lgkmcnt(6)
	v_pk_add_f32 v[8:9], v[2:3], v[12:13]
	s_waitcnt lgkmcnt(4)
	v_pk_add_f32 v[2:3], v[10:11], v[18:19]
	v_and_b32_e32 v10, 0x3c3, v0
	s_waitcnt lgkmcnt(2)
	v_pk_add_f32 v[6:7], v[4:5], v[14:15]
	s_waitcnt lgkmcnt(0)
	v_pk_add_f32 v[4:5], v[16:17], v[20:21]
	v_cmp_eq_u32_e32 vcc, 64, v10
	s_barrier
	s_and_saveexec_b64 s[0:1], vcc
	s_cbranch_execz .LBB225_446
; %bb.445:
	v_add_u32_e32 v11, 0x210, v62
	ds_write2_b32 v11, v8, v9 offset1:16
	ds_write2_b32 v11, v6, v7 offset0:32 offset1:48
	ds_write2_b32 v11, v2, v3 offset0:64 offset1:80
	;; [unrolled: 1-line block ×3, first 2 shown]
.LBB225_446:
	s_or_b64 exec, exec, s[0:1]
	v_cmp_gt_u32_e32 vcc, 64, v0
	s_waitcnt lgkmcnt(0)
	s_barrier
	s_and_saveexec_b64 s[0:1], vcc
	s_cbranch_execz .LBB225_457
; %bb.447:
	v_cmp_eq_u32_e32 vcc, 0, v34
	s_and_saveexec_b64 s[4:5], vcc
	s_cbranch_execnz .LBB225_460
; %bb.448:
	s_or_b64 exec, exec, s[4:5]
	s_and_saveexec_b64 s[4:5], vcc
	s_cbranch_execnz .LBB225_461
.LBB225_449:
	s_or_b64 exec, exec, s[4:5]
	s_and_saveexec_b64 s[4:5], vcc
	s_cbranch_execnz .LBB225_462
.LBB225_450:
	s_or_b64 exec, exec, s[4:5]
	s_and_saveexec_b64 s[4:5], vcc
	s_cbranch_execnz .LBB225_463
.LBB225_451:
	s_or_b64 exec, exec, s[4:5]
	s_and_saveexec_b64 s[4:5], vcc
	s_cbranch_execnz .LBB225_464
.LBB225_452:
	s_or_b64 exec, exec, s[4:5]
	s_and_saveexec_b64 s[4:5], vcc
	s_cbranch_execnz .LBB225_465
.LBB225_453:
	s_or_b64 exec, exec, s[4:5]
	s_and_saveexec_b64 s[4:5], vcc
	s_cbranch_execnz .LBB225_466
.LBB225_454:
	s_or_b64 exec, exec, s[4:5]
	s_and_saveexec_b64 s[4:5], vcc
	s_cbranch_execz .LBB225_456
.LBB225_455:
	v_mov_b32_e32 v0, 0x210
	v_lshl_add_u32 v0, v35, 2, v0
	ds_read_b32 v0, v0 offset:448
	s_waitcnt lgkmcnt(0)
	v_add_f32_e32 v5, v5, v0
.LBB225_456:
	s_or_b64 exec, exec, s[4:5]
.LBB225_457:
	s_or_b64 exec, exec, s[0:1]
	v_cmp_eq_u32_e32 vcc, 0, v10
	s_barrier
	s_and_saveexec_b64 s[0:1], vcc
	s_cbranch_execz .LBB225_459
; %bb.458:
	s_lshl_b32 s0, s2, 7
	s_ashr_i32 s1, s0, 31
	s_lshl_b64 s[0:1], s[0:1], 2
	s_add_u32 s2, s26, s0
	s_mul_i32 s0, s25, s24
	s_addc_u32 s3, s27, s1
	s_ashr_i32 s1, s0, 31
	s_lshl_b64 s[0:1], s[0:1], 2
	s_add_u32 s2, s2, s0
	s_addc_u32 s3, s3, s1
	s_lshl_b32 s0, s8, 7
	s_ashr_i32 s1, s0, 31
	s_lshl_b64 s[0:1], s[0:1], 2
	s_add_u32 s0, s2, s0
	s_addc_u32 s1, s3, s1
	global_store_dword v1, v8, s[0:1]
	global_store_dword v1, v9, s[0:1] offset:64
	global_store_dword v1, v6, s[0:1] offset:128
	;; [unrolled: 1-line block ×7, first 2 shown]
.LBB225_459:
	s_endpgm
.LBB225_460:
	v_mov_b32_e32 v0, 0x210
	v_lshl_add_u32 v0, v35, 2, v0
	ds_read_b32 v0, v0
	s_waitcnt lgkmcnt(0)
	v_add_f32_e32 v8, v8, v0
	s_or_b64 exec, exec, s[4:5]
	s_and_saveexec_b64 s[4:5], vcc
	s_cbranch_execz .LBB225_449
.LBB225_461:
	v_mov_b32_e32 v0, 0x210
	v_lshl_add_u32 v0, v35, 2, v0
	ds_read_b32 v0, v0 offset:64
	s_waitcnt lgkmcnt(0)
	v_add_f32_e32 v9, v9, v0
	s_or_b64 exec, exec, s[4:5]
	s_and_saveexec_b64 s[4:5], vcc
	s_cbranch_execz .LBB225_450
.LBB225_462:
	v_mov_b32_e32 v0, 0x210
	v_lshl_add_u32 v0, v35, 2, v0
	ds_read_b32 v0, v0 offset:128
	s_waitcnt lgkmcnt(0)
	v_add_f32_e32 v6, v6, v0
	s_or_b64 exec, exec, s[4:5]
	s_and_saveexec_b64 s[4:5], vcc
	s_cbranch_execz .LBB225_451
.LBB225_463:
	v_mov_b32_e32 v0, 0x210
	v_lshl_add_u32 v0, v35, 2, v0
	ds_read_b32 v0, v0 offset:192
	s_waitcnt lgkmcnt(0)
	v_add_f32_e32 v7, v7, v0
	s_or_b64 exec, exec, s[4:5]
	s_and_saveexec_b64 s[4:5], vcc
	s_cbranch_execz .LBB225_452
.LBB225_464:
	v_mov_b32_e32 v0, 0x210
	v_lshl_add_u32 v0, v35, 2, v0
	ds_read_b32 v0, v0 offset:256
	s_waitcnt lgkmcnt(0)
	v_add_f32_e32 v2, v2, v0
	s_or_b64 exec, exec, s[4:5]
	s_and_saveexec_b64 s[4:5], vcc
	s_cbranch_execz .LBB225_453
.LBB225_465:
	v_mov_b32_e32 v0, 0x210
	v_lshl_add_u32 v0, v35, 2, v0
	ds_read_b32 v0, v0 offset:320
	s_waitcnt lgkmcnt(0)
	v_add_f32_e32 v3, v3, v0
	s_or_b64 exec, exec, s[4:5]
	s_and_saveexec_b64 s[4:5], vcc
	s_cbranch_execz .LBB225_454
.LBB225_466:
	v_mov_b32_e32 v0, 0x210
	v_lshl_add_u32 v0, v35, 2, v0
	ds_read_b32 v0, v0 offset:384
	s_waitcnt lgkmcnt(0)
	v_add_f32_e32 v4, v4, v0
	s_or_b64 exec, exec, s[4:5]
	s_and_saveexec_b64 s[4:5], vcc
	s_cbranch_execnz .LBB225_455
	s_branch .LBB225_456
	.section	.rodata,"a",@progbits
	.p2align	6, 0x0
	.amdhsa_kernel _ZN4vllm25paged_attention_v2_kernelIfhLi128ELi16ELi128ELNS_18Fp8KVCacheDataTypeE1ELb0ELi512EEEvPfS2_PT_PKS3_PKT0_S9_ifPKiSB_iPKfiiiSD_SD_iiiii
		.amdhsa_group_segment_fixed_size 528
		.amdhsa_private_segment_fixed_size 0
		.amdhsa_kernarg_size 400
		.amdhsa_user_sgpr_count 6
		.amdhsa_user_sgpr_private_segment_buffer 1
		.amdhsa_user_sgpr_dispatch_ptr 0
		.amdhsa_user_sgpr_queue_ptr 0
		.amdhsa_user_sgpr_kernarg_segment_ptr 1
		.amdhsa_user_sgpr_dispatch_id 0
		.amdhsa_user_sgpr_flat_scratch_init 0
		.amdhsa_user_sgpr_kernarg_preload_length 0
		.amdhsa_user_sgpr_kernarg_preload_offset 0
		.amdhsa_user_sgpr_private_segment_size 0
		.amdhsa_uses_dynamic_stack 0
		.amdhsa_system_sgpr_private_segment_wavefront_offset 0
		.amdhsa_system_sgpr_workgroup_id_x 1
		.amdhsa_system_sgpr_workgroup_id_y 1
		.amdhsa_system_sgpr_workgroup_id_z 1
		.amdhsa_system_sgpr_workgroup_info 0
		.amdhsa_system_vgpr_workitem_id 0
		.amdhsa_next_free_vgpr 94
		.amdhsa_next_free_sgpr 51
		.amdhsa_accum_offset 96
		.amdhsa_reserve_vcc 1
		.amdhsa_reserve_flat_scratch 0
		.amdhsa_float_round_mode_32 0
		.amdhsa_float_round_mode_16_64 0
		.amdhsa_float_denorm_mode_32 3
		.amdhsa_float_denorm_mode_16_64 3
		.amdhsa_dx10_clamp 1
		.amdhsa_ieee_mode 1
		.amdhsa_fp16_overflow 0
		.amdhsa_tg_split 0
		.amdhsa_exception_fp_ieee_invalid_op 0
		.amdhsa_exception_fp_denorm_src 0
		.amdhsa_exception_fp_ieee_div_zero 0
		.amdhsa_exception_fp_ieee_overflow 0
		.amdhsa_exception_fp_ieee_underflow 0
		.amdhsa_exception_fp_ieee_inexact 0
		.amdhsa_exception_int_div_zero 0
	.end_amdhsa_kernel
	.section	.text._ZN4vllm25paged_attention_v2_kernelIfhLi128ELi16ELi128ELNS_18Fp8KVCacheDataTypeE1ELb0ELi512EEEvPfS2_PT_PKS3_PKT0_S9_ifPKiSB_iPKfiiiSD_SD_iiiii,"axG",@progbits,_ZN4vllm25paged_attention_v2_kernelIfhLi128ELi16ELi128ELNS_18Fp8KVCacheDataTypeE1ELb0ELi512EEEvPfS2_PT_PKS3_PKT0_S9_ifPKiSB_iPKfiiiSD_SD_iiiii,comdat
.Lfunc_end225:
	.size	_ZN4vllm25paged_attention_v2_kernelIfhLi128ELi16ELi128ELNS_18Fp8KVCacheDataTypeE1ELb0ELi512EEEvPfS2_PT_PKS3_PKT0_S9_ifPKiSB_iPKfiiiSD_SD_iiiii, .Lfunc_end225-_ZN4vllm25paged_attention_v2_kernelIfhLi128ELi16ELi128ELNS_18Fp8KVCacheDataTypeE1ELb0ELi512EEEvPfS2_PT_PKS3_PKT0_S9_ifPKiSB_iPKfiiiSD_SD_iiiii
                                        ; -- End function
	.section	.AMDGPU.csdata,"",@progbits
; Kernel info:
; codeLenInByte = 16896
; NumSgprs: 55
; NumVgprs: 94
; NumAgprs: 0
; TotalNumVgprs: 94
; ScratchSize: 0
; MemoryBound: 0
; FloatMode: 240
; IeeeMode: 1
; LDSByteSize: 528 bytes/workgroup (compile time only)
; SGPRBlocks: 6
; VGPRBlocks: 11
; NumSGPRsForWavesPerEU: 55
; NumVGPRsForWavesPerEU: 94
; AccumOffset: 96
; Occupancy: 5
; WaveLimiterHint : 1
; COMPUTE_PGM_RSRC2:SCRATCH_EN: 0
; COMPUTE_PGM_RSRC2:USER_SGPR: 6
; COMPUTE_PGM_RSRC2:TRAP_HANDLER: 0
; COMPUTE_PGM_RSRC2:TGID_X_EN: 1
; COMPUTE_PGM_RSRC2:TGID_Y_EN: 1
; COMPUTE_PGM_RSRC2:TGID_Z_EN: 1
; COMPUTE_PGM_RSRC2:TIDIG_COMP_CNT: 0
; COMPUTE_PGM_RSRC3_GFX90A:ACCUM_OFFSET: 23
; COMPUTE_PGM_RSRC3_GFX90A:TG_SPLIT: 0
	.section	.text._ZN4vllm25paged_attention_v2_kernelIfhLi192ELi16ELi128ELNS_18Fp8KVCacheDataTypeE1ELb0ELi512EEEvPfS2_PT_PKS3_PKT0_S9_ifPKiSB_iPKfiiiSD_SD_iiiii,"axG",@progbits,_ZN4vllm25paged_attention_v2_kernelIfhLi192ELi16ELi128ELNS_18Fp8KVCacheDataTypeE1ELb0ELi512EEEvPfS2_PT_PKS3_PKT0_S9_ifPKiSB_iPKfiiiSD_SD_iiiii,comdat
	.protected	_ZN4vllm25paged_attention_v2_kernelIfhLi192ELi16ELi128ELNS_18Fp8KVCacheDataTypeE1ELb0ELi512EEEvPfS2_PT_PKS3_PKT0_S9_ifPKiSB_iPKfiiiSD_SD_iiiii ; -- Begin function _ZN4vllm25paged_attention_v2_kernelIfhLi192ELi16ELi128ELNS_18Fp8KVCacheDataTypeE1ELb0ELi512EEEvPfS2_PT_PKS3_PKT0_S9_ifPKiSB_iPKfiiiSD_SD_iiiii
	.globl	_ZN4vllm25paged_attention_v2_kernelIfhLi192ELi16ELi128ELNS_18Fp8KVCacheDataTypeE1ELb0ELi512EEEvPfS2_PT_PKS3_PKT0_S9_ifPKiSB_iPKfiiiSD_SD_iiiii
	.p2align	8
	.type	_ZN4vllm25paged_attention_v2_kernelIfhLi192ELi16ELi128ELNS_18Fp8KVCacheDataTypeE1ELb0ELi512EEEvPfS2_PT_PKS3_PKT0_S9_ifPKiSB_iPKfiiiSD_SD_iiiii,@function
_ZN4vllm25paged_attention_v2_kernelIfhLi192ELi16ELi128ELNS_18Fp8KVCacheDataTypeE1ELb0ELi512EEEvPfS2_PT_PKS3_PKT0_S9_ifPKiSB_iPKfiiiSD_SD_iiiii: ; @_ZN4vllm25paged_attention_v2_kernelIfhLi192ELi16ELi128ELNS_18Fp8KVCacheDataTypeE1ELb0ELi512EEEvPfS2_PT_PKS3_PKT0_S9_ifPKiSB_iPKfiiiSD_SD_iiiii
; %bb.0:
	s_load_dwordx2 s[0:1], s[4:5], 0x40
	s_mov_b32 s36, s7
	s_ashr_i32 s37, s7, 31
	s_lshl_b64 s[2:3], s[36:37], 2
	s_waitcnt lgkmcnt(0)
	s_add_u32 s0, s0, s2
	s_addc_u32 s1, s1, s3
	s_load_dword s37, s[0:1], 0x0
	s_lshl_b32 s44, s8, 9
	s_waitcnt lgkmcnt(0)
	s_cmp_ge_i32 s44, s37
	s_cbranch_scc1 .LBB226_666
; %bb.1:
	s_load_dword s9, s[4:5], 0x90
	s_load_dwordx2 s[10:11], s[4:5], 0x30
	s_waitcnt lgkmcnt(0)
	s_abs_i32 s2, s9
	s_abs_i32 s0, s10
	v_cvt_f32_u32_e32 v1, s0
	s_sub_i32 s3, 0, s0
	s_xor_b32 s1, s9, s10
	s_ashr_i32 s1, s1, 31
	v_rcp_iflag_f32_e32 v1, v1
	v_mul_f32_e32 v1, 0x4f7ffffe, v1
	v_cvt_u32_f32_e32 v1, v1
	v_readfirstlane_b32 s7, v1
	s_mul_i32 s3, s3, s7
	s_mul_hi_u32 s3, s7, s3
	s_add_i32 s7, s7, s3
	s_mul_hi_u32 s3, s2, s7
	s_mul_i32 s7, s3, s0
	s_sub_i32 s2, s2, s7
	s_add_i32 s10, s3, 1
	s_sub_i32 s7, s2, s0
	s_cmp_ge_u32 s2, s0
	s_cselect_b32 s3, s10, s3
	s_cselect_b32 s2, s7, s2
	s_add_i32 s7, s3, 1
	s_cmp_ge_u32 s2, s0
	s_cselect_b32 s0, s7, s3
	s_xor_b32 s0, s0, s1
	s_sub_i32 s26, s0, s1
	s_abs_i32 s24, s26
	v_cvt_f32_u32_e32 v1, s24
	s_load_dwordx2 s[0:1], s[4:5], 0x50
	s_sub_i32 s2, 0, s24
	s_abs_i32 s25, s6
	v_rcp_iflag_f32_e32 v1, v1
	s_mov_b32 s10, 0
	v_mul_f32_e32 v1, 0x4f7ffffe, v1
	v_cvt_u32_f32_e32 v1, v1
	v_readfirstlane_b32 s3, v1
	s_mul_i32 s2, s2, s3
	s_mul_hi_u32 s2, s3, s2
	s_add_i32 s2, s3, s2
	s_waitcnt lgkmcnt(0)
	s_cmp_eq_u64 s[0:1], 0
	s_cbranch_scc1 .LBB226_3
; %bb.2:
	s_ashr_i32 s7, s6, 31
	s_lshl_b64 s[12:13], s[6:7], 2
	s_add_u32 s0, s0, s12
	s_addc_u32 s1, s1, s13
	s_load_dword s10, s[0:1], 0x0
.LBB226_3:
	s_load_dwordx4 s[20:23], s[4:5], 0x0
	s_load_dwordx2 s[28:29], s[4:5], 0x10
	s_load_dwordx4 s[12:15], s[4:5], 0x20
	s_load_dwordx2 s[34:35], s[4:5], 0x38
	s_load_dword s33, s[4:5], 0x98
	s_load_dwordx4 s[16:19], s[4:5], 0x58
	s_mul_hi_u32 s27, s25, s2
	v_lshrrev_b32_e32 v51, 2, v0
	s_movk_i32 s2, 0xc0
	s_mul_i32 s30, s6, 0xc0
	v_and_b32_e32 v50, 3, v0
	s_ashr_i32 s31, s30, 31
	v_cmp_gt_u32_e32 vcc, s2, v0
	v_lshlrev_b32_e32 v1, 2, v51
	s_and_saveexec_b64 s[0:1], vcc
	s_cbranch_execz .LBB226_6
; %bb.4:
	s_load_dwordx2 s[38:39], s[4:5], 0x18
	s_waitcnt lgkmcnt(0)
	s_mul_i32 s40, s36, s16
	s_ashr_i32 s41, s40, 31
	v_mad_u32_u24 v5, v50, s2, v1
	s_lshl_b64 s[2:3], s[40:41], 2
	s_lshl_b64 s[40:41], s[30:31], 2
	s_add_u32 s2, s2, s40
	s_addc_u32 s3, s3, s41
	v_or_b32_e32 v2, v1, v50
	s_add_u32 s2, s38, s2
	v_lshlrev_b32_e32 v2, 2, v2
	s_addc_u32 s3, s39, s3
	v_mov_b32_e32 v3, s3
	v_add_co_u32_e32 v2, vcc, s2, v2
	v_subrev_u32_e32 v4, 32, v51
	v_addc_co_u32_e32 v3, vcc, 0, v3, vcc
	s_mov_b64 s[2:3], 0
.LBB226_5:                              ; =>This Inner Loop Header: Depth=1
	global_load_dword v6, v[2:3], off
	v_add_co_u32_e32 v2, vcc, 0x200, v2
	v_add_u32_e32 v4, 32, v4
	v_addc_co_u32_e32 v3, vcc, 0, v3, vcc
	v_cmp_lt_u32_e32 vcc, 15, v4
	s_or_b64 s[2:3], vcc, s[2:3]
	s_waitcnt vmcnt(0)
	ds_write_b32 v5, v6
	v_add_u32_e32 v5, 0x80, v5
	s_andn2_b64 exec, exec, s[2:3]
	s_cbranch_execnz .LBB226_5
.LBB226_6:
	s_or_b64 exec, exec, s[0:1]
	s_add_i32 s2, s37, 15
	s_ashr_i32 s3, s2, 31
	s_ashr_i32 s0, s6, 31
	;; [unrolled: 1-line block ×3, first 2 shown]
	s_lshr_b32 s3, s3, 28
	s_add_i32 s2, s2, s3
	s_lshl_b32 s45, s8, 5
	s_xor_b32 s0, s0, s1
	s_mul_i32 s1, s27, s24
	s_ashr_i32 s7, s2, 4
	s_add_i32 s2, s45, 32
	s_sub_i32 s1, s25, s1
	s_min_i32 s31, s2, s7
	s_add_i32 s2, s27, 1
	s_sub_i32 s3, s1, s24
	s_cmp_ge_u32 s1, s24
	s_cselect_b32 s2, s2, s27
	s_cselect_b32 s1, s3, s1
	s_add_i32 s3, s2, 1
	s_cmp_ge_u32 s1, s24
	s_cselect_b32 s1, s3, s2
	s_load_dword s2, s[4:5], 0x48
	v_lshrrev_b32_e32 v63, 6, v0
	s_xor_b32 s1, s1, s0
	v_or_b32_e32 v52, s45, v63
	s_waitcnt lgkmcnt(0)
	s_sub_i32 s16, s1, s0
	s_mul_i32 s38, s36, s2
	s_ashr_i32 s39, s38, 31
	v_cmp_gt_i32_e64 s[0:1], s31, v52
	v_cmp_le_i32_e32 vcc, s31, v52
	v_mbcnt_lo_u32_b32 v42, -1, 0
	s_barrier
	s_waitcnt lgkmcnt(0)
                                        ; implicit-def: $sgpr19
                                        ; implicit-def: $vgpr64
                                        ; implicit-def: $vgpr65
	s_and_saveexec_b64 s[2:3], vcc
	s_xor_b64 s[2:3], exec, s[2:3]
; %bb.7:
	v_mbcnt_hi_u32_b32 v64, -1, v42
	v_and_b32_e32 v2, 64, v64
	v_add_u32_e32 v65, 64, v2
	s_mov_b32 s19, 0xff7fffff
                                        ; implicit-def: $vgpr42
; %bb.8:
	s_or_saveexec_b64 s[40:41], s[2:3]
	s_load_dwordx4 s[24:27], s[4:5], 0x68
	v_mov_b32_e32 v66, s19
	s_mul_i32 s16, s16, s18
	v_ashrrev_i32_e32 v53, 31, v52
	s_xor_b64 exec, exec, s[40:41]
	s_cbranch_execz .LBB226_302
; %bb.9:
	s_ashr_i32 s2, s16, 31
	v_bfe_u32 v43, v0, 2, 4
	s_add_u32 s3, s12, s16
	s_addc_u32 s2, s13, s2
	v_lshlrev_b32_e32 v2, 4, v43
	v_mbcnt_hi_u32_b32 v64, -1, v42
	v_mov_b32_e32 v3, s2
	v_add_co_u32_e32 v54, vcc, s3, v2
	v_and_b32_e32 v42, 64, v64
	v_addc_co_u32_e32 v55, vcc, 0, v3, vcc
	v_add_u32_e32 v65, 64, v42
	v_xor_b32_e32 v42, 2, v64
	v_cmp_lt_i32_e32 vcc, v42, v65
	v_mul_u32_u24_e32 v46, 0xc0, v50
	v_cndmask_b32_e32 v42, v64, v42, vcc
	ds_read_b128 v[2:5], v46
	ds_read_b128 v[6:9], v46 offset:16
	ds_read_b128 v[10:13], v46 offset:32
	;; [unrolled: 1-line block ×9, first 2 shown]
	v_lshlrev_b32_e32 v67, 2, v42
	v_xor_b32_e32 v42, 1, v64
	v_cmp_lt_i32_e32 vcc, v42, v65
	v_cndmask_b32_e32 v42, v64, v42, vcc
	v_lshlrev_b32_e32 v68, 2, v42
	v_lshlrev_b32_e32 v42, 4, v63
	s_sub_i32 s48, 1, s37
	v_add3_u32 v69, s44, v42, v43
	v_lshlrev_b32_e32 v42, 2, v43
	s_lshl_b64 s[12:13], s[38:39], 2
	v_lshl_or_b32 v42, v63, 6, v42
	s_add_u32 s12, s34, s12
	v_add_u32_e32 v70, 0x310, v42
	v_lshlrev_b64 v[42:43], 2, v[52:53]
	s_addc_u32 s13, s35, s13
	v_mov_b32_e32 v44, s13
	v_add_co_u32_e32 v56, vcc, s12, v42
	s_waitcnt lgkmcnt(0)
	s_load_dword s47, s[24:25], 0x0
	v_addc_co_u32_e32 v57, vcc, v44, v43, vcc
	ds_read_b128 v[42:45], v46 offset:160
	ds_read_b128 v[46:49], v46 offset:176
	s_mov_b32 s46, s17
	v_cmp_eq_u32_e64 s[2:3], 0, v50
	v_cmp_neq_f32_e64 s[4:5], s10, 0
	s_mov_b64 s[12:13], 0
	v_mov_b32_e32 v66, 0xff7fffff
	s_movk_i32 s49, 0x80
	s_movk_i32 s50, 0x7f
	v_bfrev_b32_e32 v71, 60
	v_mov_b32_e32 v72, v52
	s_branch .LBB226_11
.LBB226_10:                             ;   in Loop: Header=BB226_11 Depth=1
	s_or_b64 exec, exec, s[18:19]
	v_add_u32_e32 v72, 2, v72
	v_cmp_le_i32_e32 vcc, s31, v72
	s_or_b64 s[12:13], vcc, s[12:13]
	v_add_co_u32_e32 v56, vcc, 8, v56
	v_add_u32_e32 v69, 32, v69
	v_add_u32_e32 v70, 0x80, v70
	v_addc_co_u32_e32 v57, vcc, 0, v57, vcc
	s_andn2_b64 exec, exec, s[12:13]
	s_cbranch_execz .LBB226_301
.LBB226_11:                             ; =>This Inner Loop Header: Depth=1
	global_load_dword v58, v[56:57], off
	v_mov_b32_e32 v73, 0
	s_waitcnt vmcnt(0) lgkmcnt(0)
	v_mad_i64_i32 v[58:59], s[18:19], v58, s46, v[54:55]
	v_add_co_u32_e32 v58, vcc, v58, v50
	v_addc_co_u32_e32 v59, vcc, 0, v59, vcc
	global_load_ubyte v61, v[58:59], off
	s_waitcnt vmcnt(0)
	v_cmp_ne_u16_e32 vcc, 0, v61
	s_and_saveexec_b64 s[18:19], vcc
	s_cbranch_execz .LBB226_17
; %bb.12:                               ;   in Loop: Header=BB226_11 Depth=1
	v_cmp_ne_u16_e32 vcc, s49, v61
	v_bfrev_b32_e32 v73, 1
	s_and_saveexec_b64 s[24:25], vcc
	s_cbranch_execz .LBB226_16
; %bb.13:                               ;   in Loop: Header=BB226_11 Depth=1
	v_and_b32_e32 v60, 0xffff, v61
	v_and_b32_e32 v62, 0x7f, v60
	v_cmp_ne_u32_e32 vcc, s50, v62
	v_mov_b32_e32 v73, 0x7f800001
	s_and_saveexec_b64 s[42:43], vcc
	s_cbranch_execz .LBB226_15
; %bb.14:                               ;   in Loop: Header=BB226_11 Depth=1
	v_and_b32_e32 v73, 7, v60
	v_ffbh_u32_e32 v74, v73
	v_min_u32_e32 v77, 32, v74
	v_subrev_u32_e32 v74, 28, v77
	v_lshlrev_b64 v[74:75], v74, v[60:61]
	v_lshrrev_b32_e32 v76, 3, v62
	v_sub_u32_e32 v60, 29, v77
	v_and_b32_e32 v74, 7, v74
	v_cmp_gt_u32_e32 vcc, 8, v62
	v_cndmask_b32_e32 v60, v76, v60, vcc
	v_cndmask_b32_e32 v62, v73, v74, vcc
	v_lshlrev_b32_e32 v61, 24, v61
	v_lshlrev_b32_e32 v62, 20, v62
	v_and_b32_e32 v61, 0x80000000, v61
	v_lshl_add_u32 v60, v60, 23, v71
	v_or3_b32 v73, v61, v60, v62
.LBB226_15:                             ;   in Loop: Header=BB226_11 Depth=1
	s_or_b64 exec, exec, s[42:43]
.LBB226_16:                             ;   in Loop: Header=BB226_11 Depth=1
	s_or_b64 exec, exec, s[24:25]
.LBB226_17:                             ;   in Loop: Header=BB226_11 Depth=1
	s_or_b64 exec, exec, s[18:19]
	global_load_ubyte v61, v[58:59], off offset:4
	v_mov_b32_e32 v74, 0
	s_waitcnt vmcnt(0)
	v_cmp_ne_u16_e32 vcc, 0, v61
	s_and_saveexec_b64 s[18:19], vcc
	s_cbranch_execz .LBB226_23
; %bb.18:                               ;   in Loop: Header=BB226_11 Depth=1
	v_cmp_ne_u16_e32 vcc, s49, v61
	v_bfrev_b32_e32 v74, 1
	s_and_saveexec_b64 s[24:25], vcc
	s_cbranch_execz .LBB226_22
; %bb.19:                               ;   in Loop: Header=BB226_11 Depth=1
	v_and_b32_e32 v60, 0xffff, v61
	v_and_b32_e32 v62, 0x7f, v60
	v_cmp_ne_u32_e32 vcc, s50, v62
	v_mov_b32_e32 v74, 0x7f800001
	s_and_saveexec_b64 s[42:43], vcc
	s_cbranch_execz .LBB226_21
; %bb.20:                               ;   in Loop: Header=BB226_11 Depth=1
	v_and_b32_e32 v76, 7, v60
	v_ffbh_u32_e32 v74, v76
	v_min_u32_e32 v78, 32, v74
	v_subrev_u32_e32 v74, 28, v78
	v_lshlrev_b64 v[74:75], v74, v[60:61]
	v_lshrrev_b32_e32 v77, 3, v62
	v_sub_u32_e32 v60, 29, v78
	v_and_b32_e32 v74, 7, v74
	v_cmp_gt_u32_e32 vcc, 8, v62
	v_cndmask_b32_e32 v60, v77, v60, vcc
	v_cndmask_b32_e32 v62, v76, v74, vcc
	v_lshlrev_b32_e32 v61, 24, v61
	v_lshlrev_b32_e32 v62, 20, v62
	v_and_b32_e32 v61, 0x80000000, v61
	v_lshl_add_u32 v60, v60, 23, v71
	v_or3_b32 v74, v61, v60, v62
.LBB226_21:                             ;   in Loop: Header=BB226_11 Depth=1
	s_or_b64 exec, exec, s[42:43]
.LBB226_22:                             ;   in Loop: Header=BB226_11 Depth=1
	s_or_b64 exec, exec, s[24:25]
.LBB226_23:                             ;   in Loop: Header=BB226_11 Depth=1
	s_or_b64 exec, exec, s[18:19]
	global_load_ubyte v61, v[58:59], off offset:8
	v_mov_b32_e32 v75, 0
	v_mov_b32_e32 v76, 0
	s_waitcnt vmcnt(0)
	v_cmp_ne_u16_e32 vcc, 0, v61
	s_and_saveexec_b64 s[18:19], vcc
	s_cbranch_execz .LBB226_29
; %bb.24:                               ;   in Loop: Header=BB226_11 Depth=1
	v_cmp_ne_u16_e32 vcc, s49, v61
	v_bfrev_b32_e32 v76, 1
	s_and_saveexec_b64 s[24:25], vcc
	s_cbranch_execz .LBB226_28
; %bb.25:                               ;   in Loop: Header=BB226_11 Depth=1
	v_and_b32_e32 v60, 0xffff, v61
	v_and_b32_e32 v62, 0x7f, v60
	v_cmp_ne_u32_e32 vcc, s50, v62
	v_mov_b32_e32 v76, 0x7f800001
	s_and_saveexec_b64 s[42:43], vcc
	s_cbranch_execz .LBB226_27
; %bb.26:                               ;   in Loop: Header=BB226_11 Depth=1
	v_and_b32_e32 v78, 7, v60
	v_ffbh_u32_e32 v76, v78
	v_min_u32_e32 v80, 32, v76
	v_subrev_u32_e32 v76, 28, v80
	v_lshlrev_b64 v[76:77], v76, v[60:61]
	v_lshrrev_b32_e32 v79, 3, v62
	v_sub_u32_e32 v60, 29, v80
	v_and_b32_e32 v76, 7, v76
	v_cmp_gt_u32_e32 vcc, 8, v62
	v_cndmask_b32_e32 v60, v79, v60, vcc
	v_cndmask_b32_e32 v62, v78, v76, vcc
	v_lshlrev_b32_e32 v61, 24, v61
	v_lshlrev_b32_e32 v62, 20, v62
	v_and_b32_e32 v61, 0x80000000, v61
	v_lshl_add_u32 v60, v60, 23, v71
	v_or3_b32 v76, v61, v60, v62
.LBB226_27:                             ;   in Loop: Header=BB226_11 Depth=1
	s_or_b64 exec, exec, s[42:43]
.LBB226_28:                             ;   in Loop: Header=BB226_11 Depth=1
	s_or_b64 exec, exec, s[24:25]
.LBB226_29:                             ;   in Loop: Header=BB226_11 Depth=1
	s_or_b64 exec, exec, s[18:19]
	global_load_ubyte v61, v[58:59], off offset:12
	s_waitcnt vmcnt(0)
	v_cmp_ne_u16_e32 vcc, 0, v61
	s_and_saveexec_b64 s[18:19], vcc
	s_cbranch_execz .LBB226_35
; %bb.30:                               ;   in Loop: Header=BB226_11 Depth=1
	v_cmp_ne_u16_e32 vcc, s49, v61
	v_bfrev_b32_e32 v75, 1
	s_and_saveexec_b64 s[24:25], vcc
	s_cbranch_execz .LBB226_34
; %bb.31:                               ;   in Loop: Header=BB226_11 Depth=1
	v_and_b32_e32 v60, 0xffff, v61
	v_and_b32_e32 v62, 0x7f, v60
	v_cmp_ne_u32_e32 vcc, s50, v62
	v_mov_b32_e32 v75, 0x7f800001
	s_and_saveexec_b64 s[42:43], vcc
	s_cbranch_execz .LBB226_33
; %bb.32:                               ;   in Loop: Header=BB226_11 Depth=1
	v_and_b32_e32 v75, 7, v60
	v_ffbh_u32_e32 v78, v75
	v_min_u32_e32 v80, 32, v78
	v_subrev_u32_e32 v78, 28, v80
	v_lshlrev_b64 v[78:79], v78, v[60:61]
	v_lshrrev_b32_e32 v77, 3, v62
	v_sub_u32_e32 v60, 29, v80
	v_and_b32_e32 v78, 7, v78
	v_cmp_gt_u32_e32 vcc, 8, v62
	v_cndmask_b32_e32 v60, v77, v60, vcc
	v_cndmask_b32_e32 v62, v75, v78, vcc
	v_lshlrev_b32_e32 v61, 24, v61
	v_lshlrev_b32_e32 v62, 20, v62
	v_and_b32_e32 v61, 0x80000000, v61
	v_lshl_add_u32 v60, v60, 23, v71
	v_or3_b32 v75, v61, v60, v62
.LBB226_33:                             ;   in Loop: Header=BB226_11 Depth=1
	s_or_b64 exec, exec, s[42:43]
.LBB226_34:                             ;   in Loop: Header=BB226_11 Depth=1
	s_or_b64 exec, exec, s[24:25]
.LBB226_35:                             ;   in Loop: Header=BB226_11 Depth=1
	s_or_b64 exec, exec, s[18:19]
	global_load_ubyte v61, v[58:59], off offset:256
	v_mov_b32_e32 v77, 0
	v_mov_b32_e32 v78, 0
	s_waitcnt vmcnt(0)
	v_cmp_ne_u16_e32 vcc, 0, v61
	s_and_saveexec_b64 s[18:19], vcc
	s_cbranch_execz .LBB226_41
; %bb.36:                               ;   in Loop: Header=BB226_11 Depth=1
	v_cmp_ne_u16_e32 vcc, s49, v61
	v_bfrev_b32_e32 v78, 1
	s_and_saveexec_b64 s[24:25], vcc
	s_cbranch_execz .LBB226_40
; %bb.37:                               ;   in Loop: Header=BB226_11 Depth=1
	v_and_b32_e32 v60, 0xffff, v61
	v_and_b32_e32 v62, 0x7f, v60
	v_cmp_ne_u32_e32 vcc, s50, v62
	v_mov_b32_e32 v78, 0x7f800001
	s_and_saveexec_b64 s[42:43], vcc
	s_cbranch_execz .LBB226_39
; %bb.38:                               ;   in Loop: Header=BB226_11 Depth=1
	v_and_b32_e32 v80, 7, v60
	v_ffbh_u32_e32 v78, v80
	v_min_u32_e32 v82, 32, v78
	v_subrev_u32_e32 v78, 28, v82
	v_lshlrev_b64 v[78:79], v78, v[60:61]
	v_lshrrev_b32_e32 v81, 3, v62
	v_sub_u32_e32 v60, 29, v82
	v_and_b32_e32 v78, 7, v78
	v_cmp_gt_u32_e32 vcc, 8, v62
	v_cndmask_b32_e32 v60, v81, v60, vcc
	v_cndmask_b32_e32 v62, v80, v78, vcc
	v_lshlrev_b32_e32 v61, 24, v61
	v_lshlrev_b32_e32 v62, 20, v62
	v_and_b32_e32 v61, 0x80000000, v61
	v_lshl_add_u32 v60, v60, 23, v71
	v_or3_b32 v78, v61, v60, v62
.LBB226_39:                             ;   in Loop: Header=BB226_11 Depth=1
	s_or_b64 exec, exec, s[42:43]
.LBB226_40:                             ;   in Loop: Header=BB226_11 Depth=1
	s_or_b64 exec, exec, s[24:25]
.LBB226_41:                             ;   in Loop: Header=BB226_11 Depth=1
	s_or_b64 exec, exec, s[18:19]
	global_load_ubyte v61, v[58:59], off offset:260
	s_waitcnt vmcnt(0)
	v_cmp_ne_u16_e32 vcc, 0, v61
	s_and_saveexec_b64 s[18:19], vcc
	s_cbranch_execz .LBB226_47
; %bb.42:                               ;   in Loop: Header=BB226_11 Depth=1
	v_cmp_ne_u16_e32 vcc, s49, v61
	v_bfrev_b32_e32 v77, 1
	s_and_saveexec_b64 s[24:25], vcc
	s_cbranch_execz .LBB226_46
; %bb.43:                               ;   in Loop: Header=BB226_11 Depth=1
	v_and_b32_e32 v60, 0xffff, v61
	v_and_b32_e32 v62, 0x7f, v60
	v_cmp_ne_u32_e32 vcc, s50, v62
	v_mov_b32_e32 v77, 0x7f800001
	s_and_saveexec_b64 s[42:43], vcc
	s_cbranch_execz .LBB226_45
; %bb.44:                               ;   in Loop: Header=BB226_11 Depth=1
	v_and_b32_e32 v77, 7, v60
	v_ffbh_u32_e32 v80, v77
	v_min_u32_e32 v82, 32, v80
	v_subrev_u32_e32 v80, 28, v82
	v_lshlrev_b64 v[80:81], v80, v[60:61]
	v_lshrrev_b32_e32 v79, 3, v62
	v_sub_u32_e32 v60, 29, v82
	v_and_b32_e32 v80, 7, v80
	v_cmp_gt_u32_e32 vcc, 8, v62
	v_cndmask_b32_e32 v60, v79, v60, vcc
	v_cndmask_b32_e32 v62, v77, v80, vcc
	v_lshlrev_b32_e32 v61, 24, v61
	v_lshlrev_b32_e32 v62, 20, v62
	v_and_b32_e32 v61, 0x80000000, v61
	v_lshl_add_u32 v60, v60, 23, v71
	v_or3_b32 v77, v61, v60, v62
.LBB226_45:                             ;   in Loop: Header=BB226_11 Depth=1
	s_or_b64 exec, exec, s[42:43]
.LBB226_46:                             ;   in Loop: Header=BB226_11 Depth=1
	s_or_b64 exec, exec, s[24:25]
.LBB226_47:                             ;   in Loop: Header=BB226_11 Depth=1
	s_or_b64 exec, exec, s[18:19]
	v_add_co_u32_e32 v60, vcc, 0x100, v58
	v_addc_co_u32_e32 v61, vcc, 0, v59, vcc
	global_load_ubyte v81, v[60:61], off offset:8
	v_mov_b32_e32 v79, 0
	v_mov_b32_e32 v80, 0
	s_waitcnt vmcnt(0)
	v_cmp_ne_u16_e32 vcc, 0, v81
	s_and_saveexec_b64 s[18:19], vcc
	s_cbranch_execz .LBB226_53
; %bb.48:                               ;   in Loop: Header=BB226_11 Depth=1
	v_cmp_ne_u16_e32 vcc, s49, v81
	v_bfrev_b32_e32 v80, 1
	s_and_saveexec_b64 s[24:25], vcc
	s_cbranch_execz .LBB226_52
; %bb.49:                               ;   in Loop: Header=BB226_11 Depth=1
	v_and_b32_e32 v62, 0xffff, v81
	v_and_b32_e32 v82, 0x7f, v62
	v_cmp_ne_u32_e32 vcc, s50, v82
	v_mov_b32_e32 v80, 0x7f800001
	s_and_saveexec_b64 s[42:43], vcc
	s_cbranch_execz .LBB226_51
; %bb.50:                               ;   in Loop: Header=BB226_11 Depth=1
	v_and_b32_e32 v80, 7, v62
	v_ffbh_u32_e32 v84, v80
	v_min_u32_e32 v86, 32, v84
	v_subrev_u32_e32 v84, 28, v86
	v_lshlrev_b64 v[84:85], v84, v[62:63]
	v_lshrrev_b32_e32 v83, 3, v82
	v_sub_u32_e32 v62, 29, v86
	v_and_b32_e32 v84, 7, v84
	v_cmp_gt_u32_e32 vcc, 8, v82
	v_cndmask_b32_e32 v62, v83, v62, vcc
	v_cndmask_b32_e32 v80, v80, v84, vcc
	v_lshlrev_b32_e32 v81, 24, v81
	v_lshlrev_b32_e32 v80, 20, v80
	v_and_b32_e32 v81, 0x80000000, v81
	v_lshl_add_u32 v62, v62, 23, v71
	v_or3_b32 v80, v81, v62, v80
.LBB226_51:                             ;   in Loop: Header=BB226_11 Depth=1
	s_or_b64 exec, exec, s[42:43]
.LBB226_52:                             ;   in Loop: Header=BB226_11 Depth=1
	s_or_b64 exec, exec, s[24:25]
.LBB226_53:                             ;   in Loop: Header=BB226_11 Depth=1
	s_or_b64 exec, exec, s[18:19]
	global_load_ubyte v61, v[60:61], off offset:12
	s_waitcnt vmcnt(0)
	v_cmp_ne_u16_e32 vcc, 0, v61
	s_and_saveexec_b64 s[18:19], vcc
	s_cbranch_execz .LBB226_59
; %bb.54:                               ;   in Loop: Header=BB226_11 Depth=1
	v_cmp_ne_u16_e32 vcc, s49, v61
	v_bfrev_b32_e32 v79, 1
	s_and_saveexec_b64 s[24:25], vcc
	s_cbranch_execz .LBB226_58
; %bb.55:                               ;   in Loop: Header=BB226_11 Depth=1
	v_and_b32_e32 v60, 0xffff, v61
	v_and_b32_e32 v62, 0x7f, v60
	v_cmp_ne_u32_e32 vcc, s50, v62
	v_mov_b32_e32 v79, 0x7f800001
	s_and_saveexec_b64 s[42:43], vcc
	s_cbranch_execz .LBB226_57
; %bb.56:                               ;   in Loop: Header=BB226_11 Depth=1
	v_and_b32_e32 v79, 7, v60
	v_ffbh_u32_e32 v82, v79
	v_min_u32_e32 v84, 32, v82
	v_subrev_u32_e32 v82, 28, v84
	v_lshlrev_b64 v[82:83], v82, v[60:61]
	v_lshrrev_b32_e32 v81, 3, v62
	v_sub_u32_e32 v60, 29, v84
	v_and_b32_e32 v82, 7, v82
	v_cmp_gt_u32_e32 vcc, 8, v62
	v_cndmask_b32_e32 v60, v81, v60, vcc
	v_cndmask_b32_e32 v62, v79, v82, vcc
	v_lshlrev_b32_e32 v61, 24, v61
	v_lshlrev_b32_e32 v62, 20, v62
	v_and_b32_e32 v61, 0x80000000, v61
	v_lshl_add_u32 v60, v60, 23, v71
	v_or3_b32 v79, v61, v60, v62
.LBB226_57:                             ;   in Loop: Header=BB226_11 Depth=1
	s_or_b64 exec, exec, s[42:43]
.LBB226_58:                             ;   in Loop: Header=BB226_11 Depth=1
	s_or_b64 exec, exec, s[24:25]
.LBB226_59:                             ;   in Loop: Header=BB226_11 Depth=1
	s_or_b64 exec, exec, s[18:19]
	global_load_ubyte v61, v[58:59], off offset:512
	v_mov_b32_e32 v81, 0
	v_mov_b32_e32 v82, 0
	s_waitcnt vmcnt(0)
	v_cmp_ne_u16_e32 vcc, 0, v61
	s_and_saveexec_b64 s[18:19], vcc
	s_cbranch_execz .LBB226_65
; %bb.60:                               ;   in Loop: Header=BB226_11 Depth=1
	v_cmp_ne_u16_e32 vcc, s49, v61
	v_bfrev_b32_e32 v82, 1
	s_and_saveexec_b64 s[24:25], vcc
	s_cbranch_execz .LBB226_64
; %bb.61:                               ;   in Loop: Header=BB226_11 Depth=1
	v_and_b32_e32 v60, 0xffff, v61
	v_and_b32_e32 v62, 0x7f, v60
	v_cmp_ne_u32_e32 vcc, s50, v62
	v_mov_b32_e32 v82, 0x7f800001
	s_and_saveexec_b64 s[42:43], vcc
	s_cbranch_execz .LBB226_63
; %bb.62:                               ;   in Loop: Header=BB226_11 Depth=1
	v_and_b32_e32 v84, 7, v60
	v_ffbh_u32_e32 v82, v84
	v_min_u32_e32 v86, 32, v82
	v_subrev_u32_e32 v82, 28, v86
	v_lshlrev_b64 v[82:83], v82, v[60:61]
	v_lshrrev_b32_e32 v85, 3, v62
	v_sub_u32_e32 v60, 29, v86
	v_and_b32_e32 v82, 7, v82
	v_cmp_gt_u32_e32 vcc, 8, v62
	v_cndmask_b32_e32 v60, v85, v60, vcc
	v_cndmask_b32_e32 v62, v84, v82, vcc
	v_lshlrev_b32_e32 v61, 24, v61
	v_lshlrev_b32_e32 v62, 20, v62
	v_and_b32_e32 v61, 0x80000000, v61
	v_lshl_add_u32 v60, v60, 23, v71
	v_or3_b32 v82, v61, v60, v62
.LBB226_63:                             ;   in Loop: Header=BB226_11 Depth=1
	s_or_b64 exec, exec, s[42:43]
.LBB226_64:                             ;   in Loop: Header=BB226_11 Depth=1
	s_or_b64 exec, exec, s[24:25]
.LBB226_65:                             ;   in Loop: Header=BB226_11 Depth=1
	s_or_b64 exec, exec, s[18:19]
	global_load_ubyte v61, v[58:59], off offset:516
	s_waitcnt vmcnt(0)
	v_cmp_ne_u16_e32 vcc, 0, v61
	s_and_saveexec_b64 s[18:19], vcc
	s_cbranch_execz .LBB226_71
; %bb.66:                               ;   in Loop: Header=BB226_11 Depth=1
	v_cmp_ne_u16_e32 vcc, s49, v61
	v_bfrev_b32_e32 v81, 1
	s_and_saveexec_b64 s[24:25], vcc
	s_cbranch_execz .LBB226_70
; %bb.67:                               ;   in Loop: Header=BB226_11 Depth=1
	v_and_b32_e32 v60, 0xffff, v61
	v_and_b32_e32 v62, 0x7f, v60
	v_cmp_ne_u32_e32 vcc, s50, v62
	v_mov_b32_e32 v81, 0x7f800001
	s_and_saveexec_b64 s[42:43], vcc
	s_cbranch_execz .LBB226_69
; %bb.68:                               ;   in Loop: Header=BB226_11 Depth=1
	v_and_b32_e32 v81, 7, v60
	v_ffbh_u32_e32 v84, v81
	v_min_u32_e32 v86, 32, v84
	v_subrev_u32_e32 v84, 28, v86
	v_lshlrev_b64 v[84:85], v84, v[60:61]
	v_lshrrev_b32_e32 v83, 3, v62
	v_sub_u32_e32 v60, 29, v86
	v_and_b32_e32 v84, 7, v84
	v_cmp_gt_u32_e32 vcc, 8, v62
	v_cndmask_b32_e32 v60, v83, v60, vcc
	v_cndmask_b32_e32 v62, v81, v84, vcc
	v_lshlrev_b32_e32 v61, 24, v61
	v_lshlrev_b32_e32 v62, 20, v62
	v_and_b32_e32 v61, 0x80000000, v61
	v_lshl_add_u32 v60, v60, 23, v71
	v_or3_b32 v81, v61, v60, v62
.LBB226_69:                             ;   in Loop: Header=BB226_11 Depth=1
	s_or_b64 exec, exec, s[42:43]
.LBB226_70:                             ;   in Loop: Header=BB226_11 Depth=1
	s_or_b64 exec, exec, s[24:25]
.LBB226_71:                             ;   in Loop: Header=BB226_11 Depth=1
	s_or_b64 exec, exec, s[18:19]
	v_add_co_u32_e32 v60, vcc, 0x200, v58
	v_addc_co_u32_e32 v61, vcc, 0, v59, vcc
	global_load_ubyte v85, v[60:61], off offset:8
	v_mov_b32_e32 v83, 0
	v_mov_b32_e32 v84, 0
	s_waitcnt vmcnt(0)
	v_cmp_ne_u16_e32 vcc, 0, v85
	s_and_saveexec_b64 s[18:19], vcc
	s_cbranch_execz .LBB226_77
; %bb.72:                               ;   in Loop: Header=BB226_11 Depth=1
	v_cmp_ne_u16_e32 vcc, s49, v85
	v_bfrev_b32_e32 v84, 1
	s_and_saveexec_b64 s[24:25], vcc
	s_cbranch_execz .LBB226_76
; %bb.73:                               ;   in Loop: Header=BB226_11 Depth=1
	v_and_b32_e32 v62, 0xffff, v85
	v_and_b32_e32 v86, 0x7f, v62
	v_cmp_ne_u32_e32 vcc, s50, v86
	v_mov_b32_e32 v84, 0x7f800001
	s_and_saveexec_b64 s[42:43], vcc
	s_cbranch_execz .LBB226_75
; %bb.74:                               ;   in Loop: Header=BB226_11 Depth=1
	v_and_b32_e32 v84, 7, v62
	v_ffbh_u32_e32 v88, v84
	v_min_u32_e32 v90, 32, v88
	v_subrev_u32_e32 v88, 28, v90
	v_lshlrev_b64 v[88:89], v88, v[62:63]
	v_lshrrev_b32_e32 v87, 3, v86
	v_sub_u32_e32 v62, 29, v90
	v_and_b32_e32 v88, 7, v88
	v_cmp_gt_u32_e32 vcc, 8, v86
	v_cndmask_b32_e32 v62, v87, v62, vcc
	v_cndmask_b32_e32 v84, v84, v88, vcc
	v_lshlrev_b32_e32 v85, 24, v85
	v_lshlrev_b32_e32 v84, 20, v84
	v_and_b32_e32 v85, 0x80000000, v85
	v_lshl_add_u32 v62, v62, 23, v71
	v_or3_b32 v84, v85, v62, v84
.LBB226_75:                             ;   in Loop: Header=BB226_11 Depth=1
	s_or_b64 exec, exec, s[42:43]
.LBB226_76:                             ;   in Loop: Header=BB226_11 Depth=1
	s_or_b64 exec, exec, s[24:25]
.LBB226_77:                             ;   in Loop: Header=BB226_11 Depth=1
	s_or_b64 exec, exec, s[18:19]
	global_load_ubyte v61, v[60:61], off offset:12
	s_waitcnt vmcnt(0)
	v_cmp_ne_u16_e32 vcc, 0, v61
	s_and_saveexec_b64 s[18:19], vcc
	s_cbranch_execz .LBB226_83
; %bb.78:                               ;   in Loop: Header=BB226_11 Depth=1
	v_cmp_ne_u16_e32 vcc, s49, v61
	v_bfrev_b32_e32 v83, 1
	s_and_saveexec_b64 s[24:25], vcc
	s_cbranch_execz .LBB226_82
; %bb.79:                               ;   in Loop: Header=BB226_11 Depth=1
	v_and_b32_e32 v60, 0xffff, v61
	v_and_b32_e32 v62, 0x7f, v60
	v_cmp_ne_u32_e32 vcc, s50, v62
	v_mov_b32_e32 v83, 0x7f800001
	s_and_saveexec_b64 s[42:43], vcc
	s_cbranch_execz .LBB226_81
; %bb.80:                               ;   in Loop: Header=BB226_11 Depth=1
	v_and_b32_e32 v83, 7, v60
	v_ffbh_u32_e32 v86, v83
	v_min_u32_e32 v88, 32, v86
	v_subrev_u32_e32 v86, 28, v88
	v_lshlrev_b64 v[86:87], v86, v[60:61]
	v_lshrrev_b32_e32 v85, 3, v62
	v_sub_u32_e32 v60, 29, v88
	v_and_b32_e32 v86, 7, v86
	v_cmp_gt_u32_e32 vcc, 8, v62
	v_cndmask_b32_e32 v60, v85, v60, vcc
	v_cndmask_b32_e32 v62, v83, v86, vcc
	v_lshlrev_b32_e32 v61, 24, v61
	v_lshlrev_b32_e32 v62, 20, v62
	v_and_b32_e32 v61, 0x80000000, v61
	v_lshl_add_u32 v60, v60, 23, v71
	v_or3_b32 v83, v61, v60, v62
.LBB226_81:                             ;   in Loop: Header=BB226_11 Depth=1
	s_or_b64 exec, exec, s[42:43]
.LBB226_82:                             ;   in Loop: Header=BB226_11 Depth=1
	s_or_b64 exec, exec, s[24:25]
.LBB226_83:                             ;   in Loop: Header=BB226_11 Depth=1
	s_or_b64 exec, exec, s[18:19]
	global_load_ubyte v61, v[58:59], off offset:768
	v_mov_b32_e32 v85, 0
	v_mov_b32_e32 v86, 0
	s_waitcnt vmcnt(0)
	v_cmp_ne_u16_e32 vcc, 0, v61
	s_and_saveexec_b64 s[18:19], vcc
	s_cbranch_execz .LBB226_89
; %bb.84:                               ;   in Loop: Header=BB226_11 Depth=1
	v_cmp_ne_u16_e32 vcc, s49, v61
	v_bfrev_b32_e32 v86, 1
	s_and_saveexec_b64 s[24:25], vcc
	s_cbranch_execz .LBB226_88
; %bb.85:                               ;   in Loop: Header=BB226_11 Depth=1
	v_and_b32_e32 v60, 0xffff, v61
	v_and_b32_e32 v62, 0x7f, v60
	v_cmp_ne_u32_e32 vcc, s50, v62
	v_mov_b32_e32 v86, 0x7f800001
	s_and_saveexec_b64 s[42:43], vcc
	s_cbranch_execz .LBB226_87
; %bb.86:                               ;   in Loop: Header=BB226_11 Depth=1
	v_and_b32_e32 v88, 7, v60
	v_ffbh_u32_e32 v86, v88
	v_min_u32_e32 v90, 32, v86
	v_subrev_u32_e32 v86, 28, v90
	v_lshlrev_b64 v[86:87], v86, v[60:61]
	v_lshrrev_b32_e32 v89, 3, v62
	v_sub_u32_e32 v60, 29, v90
	v_and_b32_e32 v86, 7, v86
	v_cmp_gt_u32_e32 vcc, 8, v62
	v_cndmask_b32_e32 v60, v89, v60, vcc
	v_cndmask_b32_e32 v62, v88, v86, vcc
	v_lshlrev_b32_e32 v61, 24, v61
	v_lshlrev_b32_e32 v62, 20, v62
	v_and_b32_e32 v61, 0x80000000, v61
	v_lshl_add_u32 v60, v60, 23, v71
	v_or3_b32 v86, v61, v60, v62
.LBB226_87:                             ;   in Loop: Header=BB226_11 Depth=1
	s_or_b64 exec, exec, s[42:43]
.LBB226_88:                             ;   in Loop: Header=BB226_11 Depth=1
	s_or_b64 exec, exec, s[24:25]
.LBB226_89:                             ;   in Loop: Header=BB226_11 Depth=1
	s_or_b64 exec, exec, s[18:19]
	global_load_ubyte v61, v[58:59], off offset:772
	s_waitcnt vmcnt(0)
	v_cmp_ne_u16_e32 vcc, 0, v61
	s_and_saveexec_b64 s[18:19], vcc
	s_cbranch_execz .LBB226_95
; %bb.90:                               ;   in Loop: Header=BB226_11 Depth=1
	v_cmp_ne_u16_e32 vcc, s49, v61
	v_bfrev_b32_e32 v85, 1
	s_and_saveexec_b64 s[24:25], vcc
	s_cbranch_execz .LBB226_94
; %bb.91:                               ;   in Loop: Header=BB226_11 Depth=1
	v_and_b32_e32 v60, 0xffff, v61
	v_and_b32_e32 v62, 0x7f, v60
	v_cmp_ne_u32_e32 vcc, s50, v62
	v_mov_b32_e32 v85, 0x7f800001
	s_and_saveexec_b64 s[42:43], vcc
	s_cbranch_execz .LBB226_93
; %bb.92:                               ;   in Loop: Header=BB226_11 Depth=1
	v_and_b32_e32 v85, 7, v60
	v_ffbh_u32_e32 v88, v85
	v_min_u32_e32 v90, 32, v88
	v_subrev_u32_e32 v88, 28, v90
	v_lshlrev_b64 v[88:89], v88, v[60:61]
	v_lshrrev_b32_e32 v87, 3, v62
	v_sub_u32_e32 v60, 29, v90
	v_and_b32_e32 v88, 7, v88
	v_cmp_gt_u32_e32 vcc, 8, v62
	v_cndmask_b32_e32 v60, v87, v60, vcc
	v_cndmask_b32_e32 v62, v85, v88, vcc
	v_lshlrev_b32_e32 v61, 24, v61
	v_lshlrev_b32_e32 v62, 20, v62
	v_and_b32_e32 v61, 0x80000000, v61
	v_lshl_add_u32 v60, v60, 23, v71
	v_or3_b32 v85, v61, v60, v62
.LBB226_93:                             ;   in Loop: Header=BB226_11 Depth=1
	s_or_b64 exec, exec, s[42:43]
.LBB226_94:                             ;   in Loop: Header=BB226_11 Depth=1
	s_or_b64 exec, exec, s[24:25]
.LBB226_95:                             ;   in Loop: Header=BB226_11 Depth=1
	s_or_b64 exec, exec, s[18:19]
	v_add_co_u32_e32 v60, vcc, 0x300, v58
	v_addc_co_u32_e32 v61, vcc, 0, v59, vcc
	global_load_ubyte v89, v[60:61], off offset:8
	v_mov_b32_e32 v87, 0
	v_mov_b32_e32 v88, 0
	s_waitcnt vmcnt(0)
	v_cmp_ne_u16_e32 vcc, 0, v89
	s_and_saveexec_b64 s[18:19], vcc
	s_cbranch_execz .LBB226_101
; %bb.96:                               ;   in Loop: Header=BB226_11 Depth=1
	v_cmp_ne_u16_e32 vcc, s49, v89
	v_bfrev_b32_e32 v88, 1
	s_and_saveexec_b64 s[24:25], vcc
	s_cbranch_execz .LBB226_100
; %bb.97:                               ;   in Loop: Header=BB226_11 Depth=1
	v_and_b32_e32 v62, 0xffff, v89
	v_and_b32_e32 v90, 0x7f, v62
	v_cmp_ne_u32_e32 vcc, s50, v90
	v_mov_b32_e32 v88, 0x7f800001
	s_and_saveexec_b64 s[42:43], vcc
	s_cbranch_execz .LBB226_99
; %bb.98:                               ;   in Loop: Header=BB226_11 Depth=1
	v_and_b32_e32 v88, 7, v62
	v_ffbh_u32_e32 v92, v88
	v_min_u32_e32 v94, 32, v92
	v_subrev_u32_e32 v92, 28, v94
	v_lshlrev_b64 v[92:93], v92, v[62:63]
	v_lshrrev_b32_e32 v91, 3, v90
	v_sub_u32_e32 v62, 29, v94
	v_and_b32_e32 v92, 7, v92
	v_cmp_gt_u32_e32 vcc, 8, v90
	v_cndmask_b32_e32 v62, v91, v62, vcc
	v_cndmask_b32_e32 v88, v88, v92, vcc
	v_lshlrev_b32_e32 v89, 24, v89
	v_lshlrev_b32_e32 v88, 20, v88
	v_and_b32_e32 v89, 0x80000000, v89
	v_lshl_add_u32 v62, v62, 23, v71
	v_or3_b32 v88, v89, v62, v88
.LBB226_99:                             ;   in Loop: Header=BB226_11 Depth=1
	s_or_b64 exec, exec, s[42:43]
.LBB226_100:                            ;   in Loop: Header=BB226_11 Depth=1
	s_or_b64 exec, exec, s[24:25]
.LBB226_101:                            ;   in Loop: Header=BB226_11 Depth=1
	s_or_b64 exec, exec, s[18:19]
	global_load_ubyte v61, v[60:61], off offset:12
	s_waitcnt vmcnt(0)
	v_cmp_ne_u16_e32 vcc, 0, v61
	s_and_saveexec_b64 s[18:19], vcc
	s_cbranch_execz .LBB226_107
; %bb.102:                              ;   in Loop: Header=BB226_11 Depth=1
	v_cmp_ne_u16_e32 vcc, s49, v61
	v_bfrev_b32_e32 v87, 1
	s_and_saveexec_b64 s[24:25], vcc
	s_cbranch_execz .LBB226_106
; %bb.103:                              ;   in Loop: Header=BB226_11 Depth=1
	v_and_b32_e32 v60, 0xffff, v61
	v_and_b32_e32 v62, 0x7f, v60
	v_cmp_ne_u32_e32 vcc, s50, v62
	v_mov_b32_e32 v87, 0x7f800001
	s_and_saveexec_b64 s[42:43], vcc
	s_cbranch_execz .LBB226_105
; %bb.104:                              ;   in Loop: Header=BB226_11 Depth=1
	v_and_b32_e32 v87, 7, v60
	v_ffbh_u32_e32 v90, v87
	v_min_u32_e32 v92, 32, v90
	v_subrev_u32_e32 v90, 28, v92
	v_lshlrev_b64 v[90:91], v90, v[60:61]
	v_lshrrev_b32_e32 v89, 3, v62
	v_sub_u32_e32 v60, 29, v92
	v_and_b32_e32 v90, 7, v90
	v_cmp_gt_u32_e32 vcc, 8, v62
	v_cndmask_b32_e32 v60, v89, v60, vcc
	v_cndmask_b32_e32 v62, v87, v90, vcc
	v_lshlrev_b32_e32 v61, 24, v61
	v_lshlrev_b32_e32 v62, 20, v62
	v_and_b32_e32 v61, 0x80000000, v61
	v_lshl_add_u32 v60, v60, 23, v71
	v_or3_b32 v87, v61, v60, v62
.LBB226_105:                            ;   in Loop: Header=BB226_11 Depth=1
	s_or_b64 exec, exec, s[42:43]
.LBB226_106:                            ;   in Loop: Header=BB226_11 Depth=1
	s_or_b64 exec, exec, s[24:25]
.LBB226_107:                            ;   in Loop: Header=BB226_11 Depth=1
	s_or_b64 exec, exec, s[18:19]
	global_load_ubyte v61, v[58:59], off offset:1024
	v_mov_b32_e32 v89, 0
	v_mov_b32_e32 v90, 0
	s_waitcnt vmcnt(0)
	v_cmp_ne_u16_e32 vcc, 0, v61
	s_and_saveexec_b64 s[18:19], vcc
	s_cbranch_execz .LBB226_113
; %bb.108:                              ;   in Loop: Header=BB226_11 Depth=1
	v_cmp_ne_u16_e32 vcc, s49, v61
	v_bfrev_b32_e32 v90, 1
	s_and_saveexec_b64 s[24:25], vcc
	s_cbranch_execz .LBB226_112
; %bb.109:                              ;   in Loop: Header=BB226_11 Depth=1
	v_and_b32_e32 v60, 0xffff, v61
	v_and_b32_e32 v62, 0x7f, v60
	v_cmp_ne_u32_e32 vcc, s50, v62
	v_mov_b32_e32 v90, 0x7f800001
	s_and_saveexec_b64 s[42:43], vcc
	s_cbranch_execz .LBB226_111
; %bb.110:                              ;   in Loop: Header=BB226_11 Depth=1
	v_and_b32_e32 v92, 7, v60
	v_ffbh_u32_e32 v90, v92
	v_min_u32_e32 v94, 32, v90
	v_subrev_u32_e32 v90, 28, v94
	v_lshlrev_b64 v[90:91], v90, v[60:61]
	v_lshrrev_b32_e32 v93, 3, v62
	v_sub_u32_e32 v60, 29, v94
	v_and_b32_e32 v90, 7, v90
	v_cmp_gt_u32_e32 vcc, 8, v62
	v_cndmask_b32_e32 v60, v93, v60, vcc
	v_cndmask_b32_e32 v62, v92, v90, vcc
	v_lshlrev_b32_e32 v61, 24, v61
	v_lshlrev_b32_e32 v62, 20, v62
	v_and_b32_e32 v61, 0x80000000, v61
	v_lshl_add_u32 v60, v60, 23, v71
	v_or3_b32 v90, v61, v60, v62
.LBB226_111:                            ;   in Loop: Header=BB226_11 Depth=1
	s_or_b64 exec, exec, s[42:43]
.LBB226_112:                            ;   in Loop: Header=BB226_11 Depth=1
	s_or_b64 exec, exec, s[24:25]
.LBB226_113:                            ;   in Loop: Header=BB226_11 Depth=1
	s_or_b64 exec, exec, s[18:19]
	global_load_ubyte v61, v[58:59], off offset:1028
	s_waitcnt vmcnt(0)
	v_cmp_ne_u16_e32 vcc, 0, v61
	s_and_saveexec_b64 s[18:19], vcc
	s_cbranch_execz .LBB226_119
; %bb.114:                              ;   in Loop: Header=BB226_11 Depth=1
	v_cmp_ne_u16_e32 vcc, s49, v61
	v_bfrev_b32_e32 v89, 1
	s_and_saveexec_b64 s[24:25], vcc
	s_cbranch_execz .LBB226_118
; %bb.115:                              ;   in Loop: Header=BB226_11 Depth=1
	v_and_b32_e32 v60, 0xffff, v61
	v_and_b32_e32 v62, 0x7f, v60
	v_cmp_ne_u32_e32 vcc, s50, v62
	v_mov_b32_e32 v89, 0x7f800001
	s_and_saveexec_b64 s[42:43], vcc
	s_cbranch_execz .LBB226_117
; %bb.116:                              ;   in Loop: Header=BB226_11 Depth=1
	v_and_b32_e32 v89, 7, v60
	v_ffbh_u32_e32 v92, v89
	v_min_u32_e32 v94, 32, v92
	v_subrev_u32_e32 v92, 28, v94
	v_lshlrev_b64 v[92:93], v92, v[60:61]
	v_lshrrev_b32_e32 v91, 3, v62
	v_sub_u32_e32 v60, 29, v94
	v_and_b32_e32 v92, 7, v92
	v_cmp_gt_u32_e32 vcc, 8, v62
	v_cndmask_b32_e32 v60, v91, v60, vcc
	v_cndmask_b32_e32 v62, v89, v92, vcc
	v_lshlrev_b32_e32 v61, 24, v61
	v_lshlrev_b32_e32 v62, 20, v62
	v_and_b32_e32 v61, 0x80000000, v61
	v_lshl_add_u32 v60, v60, 23, v71
	v_or3_b32 v89, v61, v60, v62
.LBB226_117:                            ;   in Loop: Header=BB226_11 Depth=1
	s_or_b64 exec, exec, s[42:43]
.LBB226_118:                            ;   in Loop: Header=BB226_11 Depth=1
	s_or_b64 exec, exec, s[24:25]
.LBB226_119:                            ;   in Loop: Header=BB226_11 Depth=1
	s_or_b64 exec, exec, s[18:19]
	v_add_co_u32_e32 v60, vcc, 0x400, v58
	v_addc_co_u32_e32 v61, vcc, 0, v59, vcc
	global_load_ubyte v93, v[60:61], off offset:8
	v_mov_b32_e32 v91, 0
	v_mov_b32_e32 v92, 0
	s_waitcnt vmcnt(0)
	v_cmp_ne_u16_e32 vcc, 0, v93
	s_and_saveexec_b64 s[18:19], vcc
	s_cbranch_execz .LBB226_125
; %bb.120:                              ;   in Loop: Header=BB226_11 Depth=1
	v_cmp_ne_u16_e32 vcc, s49, v93
	v_bfrev_b32_e32 v92, 1
	s_and_saveexec_b64 s[24:25], vcc
	s_cbranch_execz .LBB226_124
; %bb.121:                              ;   in Loop: Header=BB226_11 Depth=1
	v_and_b32_e32 v62, 0xffff, v93
	v_and_b32_e32 v94, 0x7f, v62
	v_cmp_ne_u32_e32 vcc, s50, v94
	v_mov_b32_e32 v92, 0x7f800001
	s_and_saveexec_b64 s[42:43], vcc
	s_cbranch_execz .LBB226_123
; %bb.122:                              ;   in Loop: Header=BB226_11 Depth=1
	v_and_b32_e32 v92, 7, v62
	v_ffbh_u32_e32 v96, v92
	v_min_u32_e32 v98, 32, v96
	v_subrev_u32_e32 v96, 28, v98
	v_lshlrev_b64 v[96:97], v96, v[62:63]
	v_lshrrev_b32_e32 v95, 3, v94
	v_sub_u32_e32 v62, 29, v98
	v_and_b32_e32 v96, 7, v96
	v_cmp_gt_u32_e32 vcc, 8, v94
	v_cndmask_b32_e32 v62, v95, v62, vcc
	v_cndmask_b32_e32 v92, v92, v96, vcc
	v_lshlrev_b32_e32 v93, 24, v93
	v_lshlrev_b32_e32 v92, 20, v92
	v_and_b32_e32 v93, 0x80000000, v93
	v_lshl_add_u32 v62, v62, 23, v71
	v_or3_b32 v92, v93, v62, v92
.LBB226_123:                            ;   in Loop: Header=BB226_11 Depth=1
	s_or_b64 exec, exec, s[42:43]
.LBB226_124:                            ;   in Loop: Header=BB226_11 Depth=1
	s_or_b64 exec, exec, s[24:25]
.LBB226_125:                            ;   in Loop: Header=BB226_11 Depth=1
	s_or_b64 exec, exec, s[18:19]
	global_load_ubyte v61, v[60:61], off offset:12
	s_waitcnt vmcnt(0)
	v_cmp_ne_u16_e32 vcc, 0, v61
	s_and_saveexec_b64 s[18:19], vcc
	s_cbranch_execz .LBB226_131
; %bb.126:                              ;   in Loop: Header=BB226_11 Depth=1
	v_cmp_ne_u16_e32 vcc, s49, v61
	v_bfrev_b32_e32 v91, 1
	s_and_saveexec_b64 s[24:25], vcc
	s_cbranch_execz .LBB226_130
; %bb.127:                              ;   in Loop: Header=BB226_11 Depth=1
	v_and_b32_e32 v60, 0xffff, v61
	v_and_b32_e32 v62, 0x7f, v60
	v_cmp_ne_u32_e32 vcc, s50, v62
	v_mov_b32_e32 v91, 0x7f800001
	s_and_saveexec_b64 s[42:43], vcc
	s_cbranch_execz .LBB226_129
; %bb.128:                              ;   in Loop: Header=BB226_11 Depth=1
	v_and_b32_e32 v91, 7, v60
	v_ffbh_u32_e32 v94, v91
	v_min_u32_e32 v96, 32, v94
	v_subrev_u32_e32 v94, 28, v96
	v_lshlrev_b64 v[94:95], v94, v[60:61]
	v_lshrrev_b32_e32 v93, 3, v62
	v_sub_u32_e32 v60, 29, v96
	v_and_b32_e32 v94, 7, v94
	v_cmp_gt_u32_e32 vcc, 8, v62
	v_cndmask_b32_e32 v60, v93, v60, vcc
	v_cndmask_b32_e32 v62, v91, v94, vcc
	v_lshlrev_b32_e32 v61, 24, v61
	v_lshlrev_b32_e32 v62, 20, v62
	v_and_b32_e32 v61, 0x80000000, v61
	v_lshl_add_u32 v60, v60, 23, v71
	v_or3_b32 v91, v61, v60, v62
.LBB226_129:                            ;   in Loop: Header=BB226_11 Depth=1
	s_or_b64 exec, exec, s[42:43]
.LBB226_130:                            ;   in Loop: Header=BB226_11 Depth=1
	s_or_b64 exec, exec, s[24:25]
.LBB226_131:                            ;   in Loop: Header=BB226_11 Depth=1
	s_or_b64 exec, exec, s[18:19]
	global_load_ubyte v61, v[58:59], off offset:1280
	v_mov_b32_e32 v93, 0
	v_mov_b32_e32 v94, 0
	s_waitcnt vmcnt(0)
	v_cmp_ne_u16_e32 vcc, 0, v61
	s_and_saveexec_b64 s[18:19], vcc
	s_cbranch_execz .LBB226_137
; %bb.132:                              ;   in Loop: Header=BB226_11 Depth=1
	v_cmp_ne_u16_e32 vcc, s49, v61
	v_bfrev_b32_e32 v94, 1
	s_and_saveexec_b64 s[24:25], vcc
	s_cbranch_execz .LBB226_136
; %bb.133:                              ;   in Loop: Header=BB226_11 Depth=1
	v_and_b32_e32 v60, 0xffff, v61
	v_and_b32_e32 v62, 0x7f, v60
	v_cmp_ne_u32_e32 vcc, s50, v62
	v_mov_b32_e32 v94, 0x7f800001
	s_and_saveexec_b64 s[42:43], vcc
	s_cbranch_execz .LBB226_135
; %bb.134:                              ;   in Loop: Header=BB226_11 Depth=1
	v_and_b32_e32 v96, 7, v60
	v_ffbh_u32_e32 v94, v96
	v_min_u32_e32 v98, 32, v94
	v_subrev_u32_e32 v94, 28, v98
	v_lshlrev_b64 v[94:95], v94, v[60:61]
	v_lshrrev_b32_e32 v97, 3, v62
	v_sub_u32_e32 v60, 29, v98
	v_and_b32_e32 v94, 7, v94
	v_cmp_gt_u32_e32 vcc, 8, v62
	v_cndmask_b32_e32 v60, v97, v60, vcc
	v_cndmask_b32_e32 v62, v96, v94, vcc
	v_lshlrev_b32_e32 v61, 24, v61
	v_lshlrev_b32_e32 v62, 20, v62
	v_and_b32_e32 v61, 0x80000000, v61
	v_lshl_add_u32 v60, v60, 23, v71
	v_or3_b32 v94, v61, v60, v62
.LBB226_135:                            ;   in Loop: Header=BB226_11 Depth=1
	s_or_b64 exec, exec, s[42:43]
.LBB226_136:                            ;   in Loop: Header=BB226_11 Depth=1
	s_or_b64 exec, exec, s[24:25]
.LBB226_137:                            ;   in Loop: Header=BB226_11 Depth=1
	s_or_b64 exec, exec, s[18:19]
	global_load_ubyte v61, v[58:59], off offset:1284
	s_waitcnt vmcnt(0)
	v_cmp_ne_u16_e32 vcc, 0, v61
	s_and_saveexec_b64 s[18:19], vcc
	s_cbranch_execz .LBB226_143
; %bb.138:                              ;   in Loop: Header=BB226_11 Depth=1
	v_cmp_ne_u16_e32 vcc, s49, v61
	v_bfrev_b32_e32 v93, 1
	s_and_saveexec_b64 s[24:25], vcc
	s_cbranch_execz .LBB226_142
; %bb.139:                              ;   in Loop: Header=BB226_11 Depth=1
	v_and_b32_e32 v60, 0xffff, v61
	v_and_b32_e32 v62, 0x7f, v60
	v_cmp_ne_u32_e32 vcc, s50, v62
	v_mov_b32_e32 v93, 0x7f800001
	s_and_saveexec_b64 s[42:43], vcc
	s_cbranch_execz .LBB226_141
; %bb.140:                              ;   in Loop: Header=BB226_11 Depth=1
	v_and_b32_e32 v93, 7, v60
	v_ffbh_u32_e32 v96, v93
	v_min_u32_e32 v98, 32, v96
	v_subrev_u32_e32 v96, 28, v98
	v_lshlrev_b64 v[96:97], v96, v[60:61]
	v_lshrrev_b32_e32 v95, 3, v62
	v_sub_u32_e32 v60, 29, v98
	v_and_b32_e32 v96, 7, v96
	v_cmp_gt_u32_e32 vcc, 8, v62
	v_cndmask_b32_e32 v60, v95, v60, vcc
	v_cndmask_b32_e32 v62, v93, v96, vcc
	v_lshlrev_b32_e32 v61, 24, v61
	v_lshlrev_b32_e32 v62, 20, v62
	v_and_b32_e32 v61, 0x80000000, v61
	v_lshl_add_u32 v60, v60, 23, v71
	v_or3_b32 v93, v61, v60, v62
.LBB226_141:                            ;   in Loop: Header=BB226_11 Depth=1
	s_or_b64 exec, exec, s[42:43]
.LBB226_142:                            ;   in Loop: Header=BB226_11 Depth=1
	s_or_b64 exec, exec, s[24:25]
.LBB226_143:                            ;   in Loop: Header=BB226_11 Depth=1
	s_or_b64 exec, exec, s[18:19]
	v_add_co_u32_e32 v60, vcc, 0x500, v58
	v_addc_co_u32_e32 v61, vcc, 0, v59, vcc
	global_load_ubyte v97, v[60:61], off offset:8
	v_mov_b32_e32 v95, 0
	v_mov_b32_e32 v96, 0
	s_waitcnt vmcnt(0)
	v_cmp_ne_u16_e32 vcc, 0, v97
	s_and_saveexec_b64 s[18:19], vcc
	s_cbranch_execz .LBB226_149
; %bb.144:                              ;   in Loop: Header=BB226_11 Depth=1
	v_cmp_ne_u16_e32 vcc, s49, v97
	v_bfrev_b32_e32 v96, 1
	s_and_saveexec_b64 s[24:25], vcc
	s_cbranch_execz .LBB226_148
; %bb.145:                              ;   in Loop: Header=BB226_11 Depth=1
	v_and_b32_e32 v62, 0xffff, v97
	v_and_b32_e32 v98, 0x7f, v62
	v_cmp_ne_u32_e32 vcc, s50, v98
	v_mov_b32_e32 v96, 0x7f800001
	s_and_saveexec_b64 s[42:43], vcc
	s_cbranch_execz .LBB226_147
; %bb.146:                              ;   in Loop: Header=BB226_11 Depth=1
	v_and_b32_e32 v96, 7, v62
	v_ffbh_u32_e32 v100, v96
	v_min_u32_e32 v102, 32, v100
	v_subrev_u32_e32 v100, 28, v102
	v_lshlrev_b64 v[100:101], v100, v[62:63]
	v_lshrrev_b32_e32 v99, 3, v98
	v_sub_u32_e32 v62, 29, v102
	v_and_b32_e32 v100, 7, v100
	v_cmp_gt_u32_e32 vcc, 8, v98
	v_cndmask_b32_e32 v62, v99, v62, vcc
	v_cndmask_b32_e32 v96, v96, v100, vcc
	v_lshlrev_b32_e32 v97, 24, v97
	v_lshlrev_b32_e32 v96, 20, v96
	v_and_b32_e32 v97, 0x80000000, v97
	v_lshl_add_u32 v62, v62, 23, v71
	v_or3_b32 v96, v97, v62, v96
.LBB226_147:                            ;   in Loop: Header=BB226_11 Depth=1
	s_or_b64 exec, exec, s[42:43]
.LBB226_148:                            ;   in Loop: Header=BB226_11 Depth=1
	s_or_b64 exec, exec, s[24:25]
.LBB226_149:                            ;   in Loop: Header=BB226_11 Depth=1
	s_or_b64 exec, exec, s[18:19]
	global_load_ubyte v61, v[60:61], off offset:12
	s_waitcnt vmcnt(0)
	v_cmp_ne_u16_e32 vcc, 0, v61
	s_and_saveexec_b64 s[18:19], vcc
	s_cbranch_execz .LBB226_155
; %bb.150:                              ;   in Loop: Header=BB226_11 Depth=1
	v_cmp_ne_u16_e32 vcc, s49, v61
	v_bfrev_b32_e32 v95, 1
	s_and_saveexec_b64 s[24:25], vcc
	s_cbranch_execz .LBB226_154
; %bb.151:                              ;   in Loop: Header=BB226_11 Depth=1
	v_and_b32_e32 v60, 0xffff, v61
	v_and_b32_e32 v62, 0x7f, v60
	v_cmp_ne_u32_e32 vcc, s50, v62
	v_mov_b32_e32 v95, 0x7f800001
	s_and_saveexec_b64 s[42:43], vcc
	s_cbranch_execz .LBB226_153
; %bb.152:                              ;   in Loop: Header=BB226_11 Depth=1
	v_and_b32_e32 v95, 7, v60
	v_ffbh_u32_e32 v98, v95
	v_min_u32_e32 v100, 32, v98
	v_subrev_u32_e32 v98, 28, v100
	v_lshlrev_b64 v[98:99], v98, v[60:61]
	v_lshrrev_b32_e32 v97, 3, v62
	v_sub_u32_e32 v60, 29, v100
	v_and_b32_e32 v98, 7, v98
	v_cmp_gt_u32_e32 vcc, 8, v62
	v_cndmask_b32_e32 v60, v97, v60, vcc
	v_cndmask_b32_e32 v62, v95, v98, vcc
	v_lshlrev_b32_e32 v61, 24, v61
	v_lshlrev_b32_e32 v62, 20, v62
	v_and_b32_e32 v61, 0x80000000, v61
	v_lshl_add_u32 v60, v60, 23, v71
	v_or3_b32 v95, v61, v60, v62
.LBB226_153:                            ;   in Loop: Header=BB226_11 Depth=1
	s_or_b64 exec, exec, s[42:43]
.LBB226_154:                            ;   in Loop: Header=BB226_11 Depth=1
	s_or_b64 exec, exec, s[24:25]
.LBB226_155:                            ;   in Loop: Header=BB226_11 Depth=1
	s_or_b64 exec, exec, s[18:19]
	global_load_ubyte v61, v[58:59], off offset:1536
	v_mov_b32_e32 v97, 0
	v_mov_b32_e32 v98, 0
	s_waitcnt vmcnt(0)
	v_cmp_ne_u16_e32 vcc, 0, v61
	s_and_saveexec_b64 s[18:19], vcc
	s_cbranch_execz .LBB226_161
; %bb.156:                              ;   in Loop: Header=BB226_11 Depth=1
	v_cmp_ne_u16_e32 vcc, s49, v61
	v_bfrev_b32_e32 v98, 1
	s_and_saveexec_b64 s[24:25], vcc
	s_cbranch_execz .LBB226_160
; %bb.157:                              ;   in Loop: Header=BB226_11 Depth=1
	v_and_b32_e32 v60, 0xffff, v61
	v_and_b32_e32 v62, 0x7f, v60
	v_cmp_ne_u32_e32 vcc, s50, v62
	v_mov_b32_e32 v98, 0x7f800001
	s_and_saveexec_b64 s[42:43], vcc
	s_cbranch_execz .LBB226_159
; %bb.158:                              ;   in Loop: Header=BB226_11 Depth=1
	v_and_b32_e32 v100, 7, v60
	v_ffbh_u32_e32 v98, v100
	v_min_u32_e32 v102, 32, v98
	v_subrev_u32_e32 v98, 28, v102
	v_lshlrev_b64 v[98:99], v98, v[60:61]
	v_lshrrev_b32_e32 v101, 3, v62
	v_sub_u32_e32 v60, 29, v102
	v_and_b32_e32 v98, 7, v98
	v_cmp_gt_u32_e32 vcc, 8, v62
	v_cndmask_b32_e32 v60, v101, v60, vcc
	v_cndmask_b32_e32 v62, v100, v98, vcc
	v_lshlrev_b32_e32 v61, 24, v61
	v_lshlrev_b32_e32 v62, 20, v62
	v_and_b32_e32 v61, 0x80000000, v61
	v_lshl_add_u32 v60, v60, 23, v71
	v_or3_b32 v98, v61, v60, v62
.LBB226_159:                            ;   in Loop: Header=BB226_11 Depth=1
	s_or_b64 exec, exec, s[42:43]
.LBB226_160:                            ;   in Loop: Header=BB226_11 Depth=1
	s_or_b64 exec, exec, s[24:25]
.LBB226_161:                            ;   in Loop: Header=BB226_11 Depth=1
	s_or_b64 exec, exec, s[18:19]
	global_load_ubyte v61, v[58:59], off offset:1540
	s_waitcnt vmcnt(0)
	v_cmp_ne_u16_e32 vcc, 0, v61
	s_and_saveexec_b64 s[18:19], vcc
	s_cbranch_execz .LBB226_167
; %bb.162:                              ;   in Loop: Header=BB226_11 Depth=1
	v_cmp_ne_u16_e32 vcc, s49, v61
	v_bfrev_b32_e32 v97, 1
	s_and_saveexec_b64 s[24:25], vcc
	s_cbranch_execz .LBB226_166
; %bb.163:                              ;   in Loop: Header=BB226_11 Depth=1
	v_and_b32_e32 v60, 0xffff, v61
	v_and_b32_e32 v62, 0x7f, v60
	v_cmp_ne_u32_e32 vcc, s50, v62
	v_mov_b32_e32 v97, 0x7f800001
	s_and_saveexec_b64 s[42:43], vcc
	s_cbranch_execz .LBB226_165
; %bb.164:                              ;   in Loop: Header=BB226_11 Depth=1
	v_and_b32_e32 v97, 7, v60
	v_ffbh_u32_e32 v100, v97
	v_min_u32_e32 v102, 32, v100
	v_subrev_u32_e32 v100, 28, v102
	v_lshlrev_b64 v[100:101], v100, v[60:61]
	v_lshrrev_b32_e32 v99, 3, v62
	v_sub_u32_e32 v60, 29, v102
	v_and_b32_e32 v100, 7, v100
	v_cmp_gt_u32_e32 vcc, 8, v62
	v_cndmask_b32_e32 v60, v99, v60, vcc
	v_cndmask_b32_e32 v62, v97, v100, vcc
	v_lshlrev_b32_e32 v61, 24, v61
	v_lshlrev_b32_e32 v62, 20, v62
	v_and_b32_e32 v61, 0x80000000, v61
	v_lshl_add_u32 v60, v60, 23, v71
	v_or3_b32 v97, v61, v60, v62
.LBB226_165:                            ;   in Loop: Header=BB226_11 Depth=1
	s_or_b64 exec, exec, s[42:43]
.LBB226_166:                            ;   in Loop: Header=BB226_11 Depth=1
	s_or_b64 exec, exec, s[24:25]
.LBB226_167:                            ;   in Loop: Header=BB226_11 Depth=1
	s_or_b64 exec, exec, s[18:19]
	v_add_co_u32_e32 v60, vcc, 0x600, v58
	v_addc_co_u32_e32 v61, vcc, 0, v59, vcc
	global_load_ubyte v101, v[60:61], off offset:8
	v_mov_b32_e32 v99, 0
	v_mov_b32_e32 v100, 0
	s_waitcnt vmcnt(0)
	v_cmp_ne_u16_e32 vcc, 0, v101
	s_and_saveexec_b64 s[18:19], vcc
	s_cbranch_execz .LBB226_173
; %bb.168:                              ;   in Loop: Header=BB226_11 Depth=1
	v_cmp_ne_u16_e32 vcc, s49, v101
	v_bfrev_b32_e32 v100, 1
	s_and_saveexec_b64 s[24:25], vcc
	s_cbranch_execz .LBB226_172
; %bb.169:                              ;   in Loop: Header=BB226_11 Depth=1
	v_and_b32_e32 v62, 0xffff, v101
	v_and_b32_e32 v102, 0x7f, v62
	v_cmp_ne_u32_e32 vcc, s50, v102
	v_mov_b32_e32 v100, 0x7f800001
	s_and_saveexec_b64 s[42:43], vcc
	s_cbranch_execz .LBB226_171
; %bb.170:                              ;   in Loop: Header=BB226_11 Depth=1
	v_and_b32_e32 v100, 7, v62
	v_ffbh_u32_e32 v104, v100
	v_min_u32_e32 v106, 32, v104
	v_subrev_u32_e32 v104, 28, v106
	v_lshlrev_b64 v[104:105], v104, v[62:63]
	v_lshrrev_b32_e32 v103, 3, v102
	v_sub_u32_e32 v62, 29, v106
	v_and_b32_e32 v104, 7, v104
	v_cmp_gt_u32_e32 vcc, 8, v102
	v_cndmask_b32_e32 v62, v103, v62, vcc
	v_cndmask_b32_e32 v100, v100, v104, vcc
	v_lshlrev_b32_e32 v101, 24, v101
	v_lshlrev_b32_e32 v100, 20, v100
	v_and_b32_e32 v101, 0x80000000, v101
	v_lshl_add_u32 v62, v62, 23, v71
	v_or3_b32 v100, v101, v62, v100
.LBB226_171:                            ;   in Loop: Header=BB226_11 Depth=1
	s_or_b64 exec, exec, s[42:43]
.LBB226_172:                            ;   in Loop: Header=BB226_11 Depth=1
	s_or_b64 exec, exec, s[24:25]
.LBB226_173:                            ;   in Loop: Header=BB226_11 Depth=1
	s_or_b64 exec, exec, s[18:19]
	global_load_ubyte v61, v[60:61], off offset:12
	s_waitcnt vmcnt(0)
	v_cmp_ne_u16_e32 vcc, 0, v61
	s_and_saveexec_b64 s[18:19], vcc
	s_cbranch_execz .LBB226_179
; %bb.174:                              ;   in Loop: Header=BB226_11 Depth=1
	v_cmp_ne_u16_e32 vcc, s49, v61
	v_bfrev_b32_e32 v99, 1
	s_and_saveexec_b64 s[24:25], vcc
	s_cbranch_execz .LBB226_178
; %bb.175:                              ;   in Loop: Header=BB226_11 Depth=1
	v_and_b32_e32 v60, 0xffff, v61
	v_and_b32_e32 v62, 0x7f, v60
	v_cmp_ne_u32_e32 vcc, s50, v62
	v_mov_b32_e32 v99, 0x7f800001
	s_and_saveexec_b64 s[42:43], vcc
	s_cbranch_execz .LBB226_177
; %bb.176:                              ;   in Loop: Header=BB226_11 Depth=1
	v_and_b32_e32 v99, 7, v60
	v_ffbh_u32_e32 v102, v99
	v_min_u32_e32 v104, 32, v102
	v_subrev_u32_e32 v102, 28, v104
	v_lshlrev_b64 v[102:103], v102, v[60:61]
	v_lshrrev_b32_e32 v101, 3, v62
	v_sub_u32_e32 v60, 29, v104
	v_and_b32_e32 v102, 7, v102
	v_cmp_gt_u32_e32 vcc, 8, v62
	v_cndmask_b32_e32 v60, v101, v60, vcc
	v_cndmask_b32_e32 v62, v99, v102, vcc
	v_lshlrev_b32_e32 v61, 24, v61
	v_lshlrev_b32_e32 v62, 20, v62
	v_and_b32_e32 v61, 0x80000000, v61
	v_lshl_add_u32 v60, v60, 23, v71
	v_or3_b32 v99, v61, v60, v62
.LBB226_177:                            ;   in Loop: Header=BB226_11 Depth=1
	s_or_b64 exec, exec, s[42:43]
.LBB226_178:                            ;   in Loop: Header=BB226_11 Depth=1
	s_or_b64 exec, exec, s[24:25]
.LBB226_179:                            ;   in Loop: Header=BB226_11 Depth=1
	s_or_b64 exec, exec, s[18:19]
	global_load_ubyte v61, v[58:59], off offset:1792
	v_mov_b32_e32 v101, 0
	v_mov_b32_e32 v102, 0
	s_waitcnt vmcnt(0)
	v_cmp_ne_u16_e32 vcc, 0, v61
	s_and_saveexec_b64 s[18:19], vcc
	s_cbranch_execz .LBB226_185
; %bb.180:                              ;   in Loop: Header=BB226_11 Depth=1
	v_cmp_ne_u16_e32 vcc, s49, v61
	v_bfrev_b32_e32 v102, 1
	s_and_saveexec_b64 s[24:25], vcc
	s_cbranch_execz .LBB226_184
; %bb.181:                              ;   in Loop: Header=BB226_11 Depth=1
	v_and_b32_e32 v60, 0xffff, v61
	v_and_b32_e32 v62, 0x7f, v60
	v_cmp_ne_u32_e32 vcc, s50, v62
	v_mov_b32_e32 v102, 0x7f800001
	s_and_saveexec_b64 s[42:43], vcc
	s_cbranch_execz .LBB226_183
; %bb.182:                              ;   in Loop: Header=BB226_11 Depth=1
	v_and_b32_e32 v104, 7, v60
	v_ffbh_u32_e32 v102, v104
	v_min_u32_e32 v106, 32, v102
	v_subrev_u32_e32 v102, 28, v106
	v_lshlrev_b64 v[102:103], v102, v[60:61]
	v_lshrrev_b32_e32 v105, 3, v62
	v_sub_u32_e32 v60, 29, v106
	v_and_b32_e32 v102, 7, v102
	v_cmp_gt_u32_e32 vcc, 8, v62
	v_cndmask_b32_e32 v60, v105, v60, vcc
	v_cndmask_b32_e32 v62, v104, v102, vcc
	v_lshlrev_b32_e32 v61, 24, v61
	v_lshlrev_b32_e32 v62, 20, v62
	v_and_b32_e32 v61, 0x80000000, v61
	v_lshl_add_u32 v60, v60, 23, v71
	v_or3_b32 v102, v61, v60, v62
.LBB226_183:                            ;   in Loop: Header=BB226_11 Depth=1
	s_or_b64 exec, exec, s[42:43]
.LBB226_184:                            ;   in Loop: Header=BB226_11 Depth=1
	s_or_b64 exec, exec, s[24:25]
.LBB226_185:                            ;   in Loop: Header=BB226_11 Depth=1
	s_or_b64 exec, exec, s[18:19]
	global_load_ubyte v61, v[58:59], off offset:1796
	s_waitcnt vmcnt(0)
	v_cmp_ne_u16_e32 vcc, 0, v61
	s_and_saveexec_b64 s[18:19], vcc
	s_cbranch_execz .LBB226_191
; %bb.186:                              ;   in Loop: Header=BB226_11 Depth=1
	v_cmp_ne_u16_e32 vcc, s49, v61
	v_bfrev_b32_e32 v101, 1
	s_and_saveexec_b64 s[24:25], vcc
	s_cbranch_execz .LBB226_190
; %bb.187:                              ;   in Loop: Header=BB226_11 Depth=1
	v_and_b32_e32 v60, 0xffff, v61
	v_and_b32_e32 v62, 0x7f, v60
	v_cmp_ne_u32_e32 vcc, s50, v62
	v_mov_b32_e32 v101, 0x7f800001
	s_and_saveexec_b64 s[42:43], vcc
	s_cbranch_execz .LBB226_189
; %bb.188:                              ;   in Loop: Header=BB226_11 Depth=1
	v_and_b32_e32 v101, 7, v60
	v_ffbh_u32_e32 v104, v101
	v_min_u32_e32 v106, 32, v104
	v_subrev_u32_e32 v104, 28, v106
	v_lshlrev_b64 v[104:105], v104, v[60:61]
	v_lshrrev_b32_e32 v103, 3, v62
	v_sub_u32_e32 v60, 29, v106
	v_and_b32_e32 v104, 7, v104
	v_cmp_gt_u32_e32 vcc, 8, v62
	v_cndmask_b32_e32 v60, v103, v60, vcc
	v_cndmask_b32_e32 v62, v101, v104, vcc
	v_lshlrev_b32_e32 v61, 24, v61
	v_lshlrev_b32_e32 v62, 20, v62
	v_and_b32_e32 v61, 0x80000000, v61
	v_lshl_add_u32 v60, v60, 23, v71
	v_or3_b32 v101, v61, v60, v62
.LBB226_189:                            ;   in Loop: Header=BB226_11 Depth=1
	s_or_b64 exec, exec, s[42:43]
.LBB226_190:                            ;   in Loop: Header=BB226_11 Depth=1
	s_or_b64 exec, exec, s[24:25]
.LBB226_191:                            ;   in Loop: Header=BB226_11 Depth=1
	s_or_b64 exec, exec, s[18:19]
	v_add_co_u32_e32 v60, vcc, 0x700, v58
	v_addc_co_u32_e32 v61, vcc, 0, v59, vcc
	global_load_ubyte v105, v[60:61], off offset:8
	v_mov_b32_e32 v103, 0
	v_mov_b32_e32 v104, 0
	s_waitcnt vmcnt(0)
	v_cmp_ne_u16_e32 vcc, 0, v105
	s_and_saveexec_b64 s[18:19], vcc
	s_cbranch_execz .LBB226_197
; %bb.192:                              ;   in Loop: Header=BB226_11 Depth=1
	v_cmp_ne_u16_e32 vcc, s49, v105
	v_bfrev_b32_e32 v104, 1
	s_and_saveexec_b64 s[24:25], vcc
	s_cbranch_execz .LBB226_196
; %bb.193:                              ;   in Loop: Header=BB226_11 Depth=1
	v_and_b32_e32 v62, 0xffff, v105
	v_and_b32_e32 v106, 0x7f, v62
	v_cmp_ne_u32_e32 vcc, s50, v106
	v_mov_b32_e32 v104, 0x7f800001
	s_and_saveexec_b64 s[42:43], vcc
	s_cbranch_execz .LBB226_195
; %bb.194:                              ;   in Loop: Header=BB226_11 Depth=1
	v_and_b32_e32 v104, 7, v62
	v_ffbh_u32_e32 v108, v104
	v_min_u32_e32 v110, 32, v108
	v_subrev_u32_e32 v108, 28, v110
	v_lshlrev_b64 v[108:109], v108, v[62:63]
	v_lshrrev_b32_e32 v107, 3, v106
	v_sub_u32_e32 v62, 29, v110
	v_and_b32_e32 v108, 7, v108
	v_cmp_gt_u32_e32 vcc, 8, v106
	v_cndmask_b32_e32 v62, v107, v62, vcc
	v_cndmask_b32_e32 v104, v104, v108, vcc
	v_lshlrev_b32_e32 v105, 24, v105
	v_lshlrev_b32_e32 v104, 20, v104
	v_and_b32_e32 v105, 0x80000000, v105
	v_lshl_add_u32 v62, v62, 23, v71
	v_or3_b32 v104, v105, v62, v104
.LBB226_195:                            ;   in Loop: Header=BB226_11 Depth=1
	s_or_b64 exec, exec, s[42:43]
.LBB226_196:                            ;   in Loop: Header=BB226_11 Depth=1
	s_or_b64 exec, exec, s[24:25]
.LBB226_197:                            ;   in Loop: Header=BB226_11 Depth=1
	s_or_b64 exec, exec, s[18:19]
	global_load_ubyte v61, v[60:61], off offset:12
	s_waitcnt vmcnt(0)
	v_cmp_ne_u16_e32 vcc, 0, v61
	s_and_saveexec_b64 s[18:19], vcc
	s_cbranch_execz .LBB226_203
; %bb.198:                              ;   in Loop: Header=BB226_11 Depth=1
	v_cmp_ne_u16_e32 vcc, s49, v61
	v_bfrev_b32_e32 v103, 1
	s_and_saveexec_b64 s[24:25], vcc
	s_cbranch_execz .LBB226_202
; %bb.199:                              ;   in Loop: Header=BB226_11 Depth=1
	v_and_b32_e32 v60, 0xffff, v61
	v_and_b32_e32 v62, 0x7f, v60
	v_cmp_ne_u32_e32 vcc, s50, v62
	v_mov_b32_e32 v103, 0x7f800001
	s_and_saveexec_b64 s[42:43], vcc
	s_cbranch_execz .LBB226_201
; %bb.200:                              ;   in Loop: Header=BB226_11 Depth=1
	v_and_b32_e32 v103, 7, v60
	v_ffbh_u32_e32 v106, v103
	v_min_u32_e32 v108, 32, v106
	v_subrev_u32_e32 v106, 28, v108
	v_lshlrev_b64 v[106:107], v106, v[60:61]
	v_lshrrev_b32_e32 v105, 3, v62
	v_sub_u32_e32 v60, 29, v108
	v_and_b32_e32 v106, 7, v106
	v_cmp_gt_u32_e32 vcc, 8, v62
	v_cndmask_b32_e32 v60, v105, v60, vcc
	v_cndmask_b32_e32 v62, v103, v106, vcc
	v_lshlrev_b32_e32 v61, 24, v61
	v_lshlrev_b32_e32 v62, 20, v62
	v_and_b32_e32 v61, 0x80000000, v61
	v_lshl_add_u32 v60, v60, 23, v71
	v_or3_b32 v103, v61, v60, v62
.LBB226_201:                            ;   in Loop: Header=BB226_11 Depth=1
	s_or_b64 exec, exec, s[42:43]
.LBB226_202:                            ;   in Loop: Header=BB226_11 Depth=1
	s_or_b64 exec, exec, s[24:25]
.LBB226_203:                            ;   in Loop: Header=BB226_11 Depth=1
	s_or_b64 exec, exec, s[18:19]
	global_load_ubyte v61, v[58:59], off offset:2048
	v_mov_b32_e32 v105, 0
	v_mov_b32_e32 v106, 0
	s_waitcnt vmcnt(0)
	v_cmp_ne_u16_e32 vcc, 0, v61
	s_and_saveexec_b64 s[18:19], vcc
	s_cbranch_execz .LBB226_209
; %bb.204:                              ;   in Loop: Header=BB226_11 Depth=1
	v_cmp_ne_u16_e32 vcc, s49, v61
	v_bfrev_b32_e32 v106, 1
	s_and_saveexec_b64 s[24:25], vcc
	s_cbranch_execz .LBB226_208
; %bb.205:                              ;   in Loop: Header=BB226_11 Depth=1
	v_and_b32_e32 v60, 0xffff, v61
	v_and_b32_e32 v62, 0x7f, v60
	v_cmp_ne_u32_e32 vcc, s50, v62
	v_mov_b32_e32 v106, 0x7f800001
	s_and_saveexec_b64 s[42:43], vcc
	s_cbranch_execz .LBB226_207
; %bb.206:                              ;   in Loop: Header=BB226_11 Depth=1
	v_and_b32_e32 v108, 7, v60
	v_ffbh_u32_e32 v106, v108
	v_min_u32_e32 v110, 32, v106
	v_subrev_u32_e32 v106, 28, v110
	v_lshlrev_b64 v[106:107], v106, v[60:61]
	v_lshrrev_b32_e32 v109, 3, v62
	v_sub_u32_e32 v60, 29, v110
	v_and_b32_e32 v106, 7, v106
	v_cmp_gt_u32_e32 vcc, 8, v62
	v_cndmask_b32_e32 v60, v109, v60, vcc
	v_cndmask_b32_e32 v62, v108, v106, vcc
	v_lshlrev_b32_e32 v61, 24, v61
	v_lshlrev_b32_e32 v62, 20, v62
	v_and_b32_e32 v61, 0x80000000, v61
	v_lshl_add_u32 v60, v60, 23, v71
	v_or3_b32 v106, v61, v60, v62
.LBB226_207:                            ;   in Loop: Header=BB226_11 Depth=1
	s_or_b64 exec, exec, s[42:43]
.LBB226_208:                            ;   in Loop: Header=BB226_11 Depth=1
	s_or_b64 exec, exec, s[24:25]
.LBB226_209:                            ;   in Loop: Header=BB226_11 Depth=1
	s_or_b64 exec, exec, s[18:19]
	global_load_ubyte v61, v[58:59], off offset:2052
	s_waitcnt vmcnt(0)
	v_cmp_ne_u16_e32 vcc, 0, v61
	s_and_saveexec_b64 s[18:19], vcc
	s_cbranch_execz .LBB226_215
; %bb.210:                              ;   in Loop: Header=BB226_11 Depth=1
	v_cmp_ne_u16_e32 vcc, s49, v61
	v_bfrev_b32_e32 v105, 1
	s_and_saveexec_b64 s[24:25], vcc
	s_cbranch_execz .LBB226_214
; %bb.211:                              ;   in Loop: Header=BB226_11 Depth=1
	v_and_b32_e32 v60, 0xffff, v61
	v_and_b32_e32 v62, 0x7f, v60
	v_cmp_ne_u32_e32 vcc, s50, v62
	v_mov_b32_e32 v105, 0x7f800001
	s_and_saveexec_b64 s[42:43], vcc
	s_cbranch_execz .LBB226_213
; %bb.212:                              ;   in Loop: Header=BB226_11 Depth=1
	v_and_b32_e32 v105, 7, v60
	v_ffbh_u32_e32 v108, v105
	v_min_u32_e32 v110, 32, v108
	v_subrev_u32_e32 v108, 28, v110
	v_lshlrev_b64 v[108:109], v108, v[60:61]
	v_lshrrev_b32_e32 v107, 3, v62
	v_sub_u32_e32 v60, 29, v110
	v_and_b32_e32 v108, 7, v108
	v_cmp_gt_u32_e32 vcc, 8, v62
	v_cndmask_b32_e32 v60, v107, v60, vcc
	v_cndmask_b32_e32 v62, v105, v108, vcc
	v_lshlrev_b32_e32 v61, 24, v61
	v_lshlrev_b32_e32 v62, 20, v62
	v_and_b32_e32 v61, 0x80000000, v61
	v_lshl_add_u32 v60, v60, 23, v71
	v_or3_b32 v105, v61, v60, v62
.LBB226_213:                            ;   in Loop: Header=BB226_11 Depth=1
	s_or_b64 exec, exec, s[42:43]
.LBB226_214:                            ;   in Loop: Header=BB226_11 Depth=1
	s_or_b64 exec, exec, s[24:25]
.LBB226_215:                            ;   in Loop: Header=BB226_11 Depth=1
	s_or_b64 exec, exec, s[18:19]
	v_add_co_u32_e32 v60, vcc, 0x800, v58
	v_addc_co_u32_e32 v61, vcc, 0, v59, vcc
	global_load_ubyte v109, v[60:61], off offset:8
	v_mov_b32_e32 v107, 0
	v_mov_b32_e32 v108, 0
	s_waitcnt vmcnt(0)
	v_cmp_ne_u16_e32 vcc, 0, v109
	s_and_saveexec_b64 s[18:19], vcc
	s_cbranch_execz .LBB226_221
; %bb.216:                              ;   in Loop: Header=BB226_11 Depth=1
	v_cmp_ne_u16_e32 vcc, s49, v109
	v_bfrev_b32_e32 v108, 1
	s_and_saveexec_b64 s[24:25], vcc
	s_cbranch_execz .LBB226_220
; %bb.217:                              ;   in Loop: Header=BB226_11 Depth=1
	v_and_b32_e32 v62, 0xffff, v109
	v_and_b32_e32 v110, 0x7f, v62
	v_cmp_ne_u32_e32 vcc, s50, v110
	v_mov_b32_e32 v108, 0x7f800001
	s_and_saveexec_b64 s[42:43], vcc
	s_cbranch_execz .LBB226_219
; %bb.218:                              ;   in Loop: Header=BB226_11 Depth=1
	v_and_b32_e32 v108, 7, v62
	v_ffbh_u32_e32 v112, v108
	v_min_u32_e32 v114, 32, v112
	v_subrev_u32_e32 v112, 28, v114
	v_lshlrev_b64 v[112:113], v112, v[62:63]
	v_lshrrev_b32_e32 v111, 3, v110
	v_sub_u32_e32 v62, 29, v114
	v_and_b32_e32 v112, 7, v112
	v_cmp_gt_u32_e32 vcc, 8, v110
	v_cndmask_b32_e32 v62, v111, v62, vcc
	v_cndmask_b32_e32 v108, v108, v112, vcc
	v_lshlrev_b32_e32 v109, 24, v109
	v_lshlrev_b32_e32 v108, 20, v108
	v_and_b32_e32 v109, 0x80000000, v109
	v_lshl_add_u32 v62, v62, 23, v71
	v_or3_b32 v108, v109, v62, v108
.LBB226_219:                            ;   in Loop: Header=BB226_11 Depth=1
	s_or_b64 exec, exec, s[42:43]
.LBB226_220:                            ;   in Loop: Header=BB226_11 Depth=1
	s_or_b64 exec, exec, s[24:25]
.LBB226_221:                            ;   in Loop: Header=BB226_11 Depth=1
	s_or_b64 exec, exec, s[18:19]
	global_load_ubyte v61, v[60:61], off offset:12
	s_waitcnt vmcnt(0)
	v_cmp_ne_u16_e32 vcc, 0, v61
	s_and_saveexec_b64 s[18:19], vcc
	s_cbranch_execz .LBB226_227
; %bb.222:                              ;   in Loop: Header=BB226_11 Depth=1
	v_cmp_ne_u16_e32 vcc, s49, v61
	v_bfrev_b32_e32 v107, 1
	s_and_saveexec_b64 s[24:25], vcc
	s_cbranch_execz .LBB226_226
; %bb.223:                              ;   in Loop: Header=BB226_11 Depth=1
	v_and_b32_e32 v60, 0xffff, v61
	v_and_b32_e32 v62, 0x7f, v60
	v_cmp_ne_u32_e32 vcc, s50, v62
	v_mov_b32_e32 v107, 0x7f800001
	s_and_saveexec_b64 s[42:43], vcc
	s_cbranch_execz .LBB226_225
; %bb.224:                              ;   in Loop: Header=BB226_11 Depth=1
	v_and_b32_e32 v107, 7, v60
	v_ffbh_u32_e32 v110, v107
	v_min_u32_e32 v112, 32, v110
	v_subrev_u32_e32 v110, 28, v112
	v_lshlrev_b64 v[110:111], v110, v[60:61]
	v_lshrrev_b32_e32 v109, 3, v62
	v_sub_u32_e32 v60, 29, v112
	v_and_b32_e32 v110, 7, v110
	v_cmp_gt_u32_e32 vcc, 8, v62
	v_cndmask_b32_e32 v60, v109, v60, vcc
	v_cndmask_b32_e32 v62, v107, v110, vcc
	v_lshlrev_b32_e32 v61, 24, v61
	v_lshlrev_b32_e32 v62, 20, v62
	v_and_b32_e32 v61, 0x80000000, v61
	v_lshl_add_u32 v60, v60, 23, v71
	v_or3_b32 v107, v61, v60, v62
.LBB226_225:                            ;   in Loop: Header=BB226_11 Depth=1
	s_or_b64 exec, exec, s[42:43]
.LBB226_226:                            ;   in Loop: Header=BB226_11 Depth=1
	s_or_b64 exec, exec, s[24:25]
.LBB226_227:                            ;   in Loop: Header=BB226_11 Depth=1
	s_or_b64 exec, exec, s[18:19]
	global_load_ubyte v61, v[58:59], off offset:2304
	v_mov_b32_e32 v109, 0
	v_mov_b32_e32 v110, 0
	s_waitcnt vmcnt(0)
	v_cmp_ne_u16_e32 vcc, 0, v61
	s_and_saveexec_b64 s[18:19], vcc
	s_cbranch_execz .LBB226_233
; %bb.228:                              ;   in Loop: Header=BB226_11 Depth=1
	v_cmp_ne_u16_e32 vcc, s49, v61
	v_bfrev_b32_e32 v110, 1
	s_and_saveexec_b64 s[24:25], vcc
	s_cbranch_execz .LBB226_232
; %bb.229:                              ;   in Loop: Header=BB226_11 Depth=1
	v_and_b32_e32 v60, 0xffff, v61
	v_and_b32_e32 v62, 0x7f, v60
	v_cmp_ne_u32_e32 vcc, s50, v62
	v_mov_b32_e32 v110, 0x7f800001
	s_and_saveexec_b64 s[42:43], vcc
	s_cbranch_execz .LBB226_231
; %bb.230:                              ;   in Loop: Header=BB226_11 Depth=1
	v_and_b32_e32 v112, 7, v60
	v_ffbh_u32_e32 v110, v112
	v_min_u32_e32 v114, 32, v110
	v_subrev_u32_e32 v110, 28, v114
	v_lshlrev_b64 v[110:111], v110, v[60:61]
	v_lshrrev_b32_e32 v113, 3, v62
	v_sub_u32_e32 v60, 29, v114
	v_and_b32_e32 v110, 7, v110
	v_cmp_gt_u32_e32 vcc, 8, v62
	v_cndmask_b32_e32 v60, v113, v60, vcc
	v_cndmask_b32_e32 v62, v112, v110, vcc
	v_lshlrev_b32_e32 v61, 24, v61
	v_lshlrev_b32_e32 v62, 20, v62
	v_and_b32_e32 v61, 0x80000000, v61
	v_lshl_add_u32 v60, v60, 23, v71
	v_or3_b32 v110, v61, v60, v62
.LBB226_231:                            ;   in Loop: Header=BB226_11 Depth=1
	s_or_b64 exec, exec, s[42:43]
.LBB226_232:                            ;   in Loop: Header=BB226_11 Depth=1
	s_or_b64 exec, exec, s[24:25]
.LBB226_233:                            ;   in Loop: Header=BB226_11 Depth=1
	s_or_b64 exec, exec, s[18:19]
	global_load_ubyte v61, v[58:59], off offset:2308
	s_waitcnt vmcnt(0)
	v_cmp_ne_u16_e32 vcc, 0, v61
	s_and_saveexec_b64 s[18:19], vcc
	s_cbranch_execz .LBB226_239
; %bb.234:                              ;   in Loop: Header=BB226_11 Depth=1
	v_cmp_ne_u16_e32 vcc, s49, v61
	v_bfrev_b32_e32 v109, 1
	s_and_saveexec_b64 s[24:25], vcc
	s_cbranch_execz .LBB226_238
; %bb.235:                              ;   in Loop: Header=BB226_11 Depth=1
	v_and_b32_e32 v60, 0xffff, v61
	v_and_b32_e32 v62, 0x7f, v60
	v_cmp_ne_u32_e32 vcc, s50, v62
	v_mov_b32_e32 v109, 0x7f800001
	s_and_saveexec_b64 s[42:43], vcc
	s_cbranch_execz .LBB226_237
; %bb.236:                              ;   in Loop: Header=BB226_11 Depth=1
	v_and_b32_e32 v109, 7, v60
	v_ffbh_u32_e32 v112, v109
	v_min_u32_e32 v114, 32, v112
	v_subrev_u32_e32 v112, 28, v114
	v_lshlrev_b64 v[112:113], v112, v[60:61]
	v_lshrrev_b32_e32 v111, 3, v62
	v_sub_u32_e32 v60, 29, v114
	v_and_b32_e32 v112, 7, v112
	v_cmp_gt_u32_e32 vcc, 8, v62
	v_cndmask_b32_e32 v60, v111, v60, vcc
	v_cndmask_b32_e32 v62, v109, v112, vcc
	v_lshlrev_b32_e32 v61, 24, v61
	v_lshlrev_b32_e32 v62, 20, v62
	v_and_b32_e32 v61, 0x80000000, v61
	v_lshl_add_u32 v60, v60, 23, v71
	v_or3_b32 v109, v61, v60, v62
.LBB226_237:                            ;   in Loop: Header=BB226_11 Depth=1
	s_or_b64 exec, exec, s[42:43]
.LBB226_238:                            ;   in Loop: Header=BB226_11 Depth=1
	s_or_b64 exec, exec, s[24:25]
.LBB226_239:                            ;   in Loop: Header=BB226_11 Depth=1
	s_or_b64 exec, exec, s[18:19]
	v_add_co_u32_e32 v60, vcc, 0x900, v58
	v_addc_co_u32_e32 v61, vcc, 0, v59, vcc
	global_load_ubyte v113, v[60:61], off offset:8
	v_mov_b32_e32 v111, 0
	v_mov_b32_e32 v112, 0
	s_waitcnt vmcnt(0)
	v_cmp_ne_u16_e32 vcc, 0, v113
	s_and_saveexec_b64 s[18:19], vcc
	s_cbranch_execz .LBB226_245
; %bb.240:                              ;   in Loop: Header=BB226_11 Depth=1
	v_cmp_ne_u16_e32 vcc, s49, v113
	v_bfrev_b32_e32 v112, 1
	s_and_saveexec_b64 s[24:25], vcc
	s_cbranch_execz .LBB226_244
; %bb.241:                              ;   in Loop: Header=BB226_11 Depth=1
	v_and_b32_e32 v62, 0xffff, v113
	v_and_b32_e32 v114, 0x7f, v62
	v_cmp_ne_u32_e32 vcc, s50, v114
	v_mov_b32_e32 v112, 0x7f800001
	s_and_saveexec_b64 s[42:43], vcc
	s_cbranch_execz .LBB226_243
; %bb.242:                              ;   in Loop: Header=BB226_11 Depth=1
	v_and_b32_e32 v112, 7, v62
	v_ffbh_u32_e32 v116, v112
	v_min_u32_e32 v118, 32, v116
	v_subrev_u32_e32 v116, 28, v118
	v_lshlrev_b64 v[116:117], v116, v[62:63]
	v_lshrrev_b32_e32 v115, 3, v114
	v_sub_u32_e32 v62, 29, v118
	v_and_b32_e32 v116, 7, v116
	v_cmp_gt_u32_e32 vcc, 8, v114
	v_cndmask_b32_e32 v62, v115, v62, vcc
	v_cndmask_b32_e32 v112, v112, v116, vcc
	v_lshlrev_b32_e32 v113, 24, v113
	v_lshlrev_b32_e32 v112, 20, v112
	v_and_b32_e32 v113, 0x80000000, v113
	v_lshl_add_u32 v62, v62, 23, v71
	v_or3_b32 v112, v113, v62, v112
.LBB226_243:                            ;   in Loop: Header=BB226_11 Depth=1
	s_or_b64 exec, exec, s[42:43]
.LBB226_244:                            ;   in Loop: Header=BB226_11 Depth=1
	s_or_b64 exec, exec, s[24:25]
.LBB226_245:                            ;   in Loop: Header=BB226_11 Depth=1
	s_or_b64 exec, exec, s[18:19]
	global_load_ubyte v61, v[60:61], off offset:12
	s_waitcnt vmcnt(0)
	v_cmp_ne_u16_e32 vcc, 0, v61
	s_and_saveexec_b64 s[18:19], vcc
	s_cbranch_execz .LBB226_251
; %bb.246:                              ;   in Loop: Header=BB226_11 Depth=1
	v_cmp_ne_u16_e32 vcc, s49, v61
	v_bfrev_b32_e32 v111, 1
	s_and_saveexec_b64 s[24:25], vcc
	s_cbranch_execz .LBB226_250
; %bb.247:                              ;   in Loop: Header=BB226_11 Depth=1
	v_and_b32_e32 v60, 0xffff, v61
	v_and_b32_e32 v62, 0x7f, v60
	v_cmp_ne_u32_e32 vcc, s50, v62
	v_mov_b32_e32 v111, 0x7f800001
	s_and_saveexec_b64 s[42:43], vcc
	s_cbranch_execz .LBB226_249
; %bb.248:                              ;   in Loop: Header=BB226_11 Depth=1
	v_and_b32_e32 v111, 7, v60
	v_ffbh_u32_e32 v114, v111
	v_min_u32_e32 v116, 32, v114
	v_subrev_u32_e32 v114, 28, v116
	v_lshlrev_b64 v[114:115], v114, v[60:61]
	v_lshrrev_b32_e32 v113, 3, v62
	v_sub_u32_e32 v60, 29, v116
	v_and_b32_e32 v114, 7, v114
	v_cmp_gt_u32_e32 vcc, 8, v62
	v_cndmask_b32_e32 v60, v113, v60, vcc
	v_cndmask_b32_e32 v62, v111, v114, vcc
	v_lshlrev_b32_e32 v61, 24, v61
	v_lshlrev_b32_e32 v62, 20, v62
	v_and_b32_e32 v61, 0x80000000, v61
	v_lshl_add_u32 v60, v60, 23, v71
	v_or3_b32 v111, v61, v60, v62
.LBB226_249:                            ;   in Loop: Header=BB226_11 Depth=1
	s_or_b64 exec, exec, s[42:43]
.LBB226_250:                            ;   in Loop: Header=BB226_11 Depth=1
	s_or_b64 exec, exec, s[24:25]
.LBB226_251:                            ;   in Loop: Header=BB226_11 Depth=1
	s_or_b64 exec, exec, s[18:19]
	global_load_ubyte v61, v[58:59], off offset:2560
	v_mov_b32_e32 v113, 0
	v_mov_b32_e32 v114, 0
	s_waitcnt vmcnt(0)
	v_cmp_ne_u16_e32 vcc, 0, v61
	s_and_saveexec_b64 s[18:19], vcc
	s_cbranch_execz .LBB226_257
; %bb.252:                              ;   in Loop: Header=BB226_11 Depth=1
	v_cmp_ne_u16_e32 vcc, s49, v61
	v_bfrev_b32_e32 v114, 1
	s_and_saveexec_b64 s[24:25], vcc
	s_cbranch_execz .LBB226_256
; %bb.253:                              ;   in Loop: Header=BB226_11 Depth=1
	v_and_b32_e32 v60, 0xffff, v61
	v_and_b32_e32 v62, 0x7f, v60
	v_cmp_ne_u32_e32 vcc, s50, v62
	v_mov_b32_e32 v114, 0x7f800001
	s_and_saveexec_b64 s[42:43], vcc
	s_cbranch_execz .LBB226_255
; %bb.254:                              ;   in Loop: Header=BB226_11 Depth=1
	v_and_b32_e32 v116, 7, v60
	v_ffbh_u32_e32 v114, v116
	v_min_u32_e32 v118, 32, v114
	v_subrev_u32_e32 v114, 28, v118
	v_lshlrev_b64 v[114:115], v114, v[60:61]
	v_lshrrev_b32_e32 v117, 3, v62
	v_sub_u32_e32 v60, 29, v118
	v_and_b32_e32 v114, 7, v114
	v_cmp_gt_u32_e32 vcc, 8, v62
	v_cndmask_b32_e32 v60, v117, v60, vcc
	v_cndmask_b32_e32 v62, v116, v114, vcc
	v_lshlrev_b32_e32 v61, 24, v61
	v_lshlrev_b32_e32 v62, 20, v62
	v_and_b32_e32 v61, 0x80000000, v61
	v_lshl_add_u32 v60, v60, 23, v71
	v_or3_b32 v114, v61, v60, v62
.LBB226_255:                            ;   in Loop: Header=BB226_11 Depth=1
	s_or_b64 exec, exec, s[42:43]
.LBB226_256:                            ;   in Loop: Header=BB226_11 Depth=1
	s_or_b64 exec, exec, s[24:25]
.LBB226_257:                            ;   in Loop: Header=BB226_11 Depth=1
	s_or_b64 exec, exec, s[18:19]
	global_load_ubyte v61, v[58:59], off offset:2564
	s_waitcnt vmcnt(0)
	v_cmp_ne_u16_e32 vcc, 0, v61
	s_and_saveexec_b64 s[18:19], vcc
	s_cbranch_execz .LBB226_263
; %bb.258:                              ;   in Loop: Header=BB226_11 Depth=1
	v_cmp_ne_u16_e32 vcc, s49, v61
	v_bfrev_b32_e32 v113, 1
	s_and_saveexec_b64 s[24:25], vcc
	s_cbranch_execz .LBB226_262
; %bb.259:                              ;   in Loop: Header=BB226_11 Depth=1
	v_and_b32_e32 v60, 0xffff, v61
	v_and_b32_e32 v62, 0x7f, v60
	v_cmp_ne_u32_e32 vcc, s50, v62
	v_mov_b32_e32 v113, 0x7f800001
	s_and_saveexec_b64 s[42:43], vcc
	s_cbranch_execz .LBB226_261
; %bb.260:                              ;   in Loop: Header=BB226_11 Depth=1
	v_and_b32_e32 v113, 7, v60
	v_ffbh_u32_e32 v116, v113
	v_min_u32_e32 v118, 32, v116
	v_subrev_u32_e32 v116, 28, v118
	v_lshlrev_b64 v[116:117], v116, v[60:61]
	v_lshrrev_b32_e32 v115, 3, v62
	v_sub_u32_e32 v60, 29, v118
	v_and_b32_e32 v116, 7, v116
	v_cmp_gt_u32_e32 vcc, 8, v62
	v_cndmask_b32_e32 v60, v115, v60, vcc
	v_cndmask_b32_e32 v62, v113, v116, vcc
	v_lshlrev_b32_e32 v61, 24, v61
	v_lshlrev_b32_e32 v62, 20, v62
	v_and_b32_e32 v61, 0x80000000, v61
	v_lshl_add_u32 v60, v60, 23, v71
	v_or3_b32 v113, v61, v60, v62
.LBB226_261:                            ;   in Loop: Header=BB226_11 Depth=1
	s_or_b64 exec, exec, s[42:43]
.LBB226_262:                            ;   in Loop: Header=BB226_11 Depth=1
	s_or_b64 exec, exec, s[24:25]
.LBB226_263:                            ;   in Loop: Header=BB226_11 Depth=1
	s_or_b64 exec, exec, s[18:19]
	v_add_co_u32_e32 v60, vcc, 0xa00, v58
	v_addc_co_u32_e32 v61, vcc, 0, v59, vcc
	global_load_ubyte v117, v[60:61], off offset:8
	v_mov_b32_e32 v115, 0
	v_mov_b32_e32 v116, 0
	s_waitcnt vmcnt(0)
	v_cmp_ne_u16_e32 vcc, 0, v117
	s_and_saveexec_b64 s[18:19], vcc
	s_cbranch_execz .LBB226_269
; %bb.264:                              ;   in Loop: Header=BB226_11 Depth=1
	v_cmp_ne_u16_e32 vcc, s49, v117
	v_bfrev_b32_e32 v116, 1
	s_and_saveexec_b64 s[24:25], vcc
	s_cbranch_execz .LBB226_268
; %bb.265:                              ;   in Loop: Header=BB226_11 Depth=1
	v_and_b32_e32 v62, 0xffff, v117
	v_and_b32_e32 v118, 0x7f, v62
	v_cmp_ne_u32_e32 vcc, s50, v118
	v_mov_b32_e32 v116, 0x7f800001
	s_and_saveexec_b64 s[42:43], vcc
	s_cbranch_execz .LBB226_267
; %bb.266:                              ;   in Loop: Header=BB226_11 Depth=1
	v_and_b32_e32 v116, 7, v62
	v_ffbh_u32_e32 v120, v116
	v_min_u32_e32 v122, 32, v120
	v_subrev_u32_e32 v120, 28, v122
	v_lshlrev_b64 v[120:121], v120, v[62:63]
	v_lshrrev_b32_e32 v119, 3, v118
	v_sub_u32_e32 v62, 29, v122
	v_and_b32_e32 v120, 7, v120
	v_cmp_gt_u32_e32 vcc, 8, v118
	v_cndmask_b32_e32 v62, v119, v62, vcc
	v_cndmask_b32_e32 v116, v116, v120, vcc
	v_lshlrev_b32_e32 v117, 24, v117
	v_lshlrev_b32_e32 v116, 20, v116
	v_and_b32_e32 v117, 0x80000000, v117
	v_lshl_add_u32 v62, v62, 23, v71
	v_or3_b32 v116, v117, v62, v116
.LBB226_267:                            ;   in Loop: Header=BB226_11 Depth=1
	s_or_b64 exec, exec, s[42:43]
.LBB226_268:                            ;   in Loop: Header=BB226_11 Depth=1
	s_or_b64 exec, exec, s[24:25]
.LBB226_269:                            ;   in Loop: Header=BB226_11 Depth=1
	s_or_b64 exec, exec, s[18:19]
	global_load_ubyte v61, v[60:61], off offset:12
	s_waitcnt vmcnt(0)
	v_cmp_ne_u16_e32 vcc, 0, v61
	s_and_saveexec_b64 s[18:19], vcc
	s_cbranch_execz .LBB226_275
; %bb.270:                              ;   in Loop: Header=BB226_11 Depth=1
	v_cmp_ne_u16_e32 vcc, s49, v61
	v_bfrev_b32_e32 v115, 1
	s_and_saveexec_b64 s[24:25], vcc
	s_cbranch_execz .LBB226_274
; %bb.271:                              ;   in Loop: Header=BB226_11 Depth=1
	v_and_b32_e32 v60, 0xffff, v61
	v_and_b32_e32 v62, 0x7f, v60
	v_cmp_ne_u32_e32 vcc, s50, v62
	v_mov_b32_e32 v115, 0x7f800001
	s_and_saveexec_b64 s[42:43], vcc
	s_cbranch_execz .LBB226_273
; %bb.272:                              ;   in Loop: Header=BB226_11 Depth=1
	v_and_b32_e32 v115, 7, v60
	v_ffbh_u32_e32 v118, v115
	v_min_u32_e32 v120, 32, v118
	v_subrev_u32_e32 v118, 28, v120
	v_lshlrev_b64 v[118:119], v118, v[60:61]
	v_lshrrev_b32_e32 v117, 3, v62
	v_sub_u32_e32 v60, 29, v120
	v_and_b32_e32 v118, 7, v118
	v_cmp_gt_u32_e32 vcc, 8, v62
	v_cndmask_b32_e32 v60, v117, v60, vcc
	v_cndmask_b32_e32 v62, v115, v118, vcc
	v_lshlrev_b32_e32 v61, 24, v61
	v_lshlrev_b32_e32 v62, 20, v62
	v_and_b32_e32 v61, 0x80000000, v61
	v_lshl_add_u32 v60, v60, 23, v71
	v_or3_b32 v115, v61, v60, v62
.LBB226_273:                            ;   in Loop: Header=BB226_11 Depth=1
	s_or_b64 exec, exec, s[42:43]
.LBB226_274:                            ;   in Loop: Header=BB226_11 Depth=1
	s_or_b64 exec, exec, s[24:25]
.LBB226_275:                            ;   in Loop: Header=BB226_11 Depth=1
	s_or_b64 exec, exec, s[18:19]
	global_load_ubyte v117, v[58:59], off offset:2816
	v_mov_b32_e32 v61, 0
	v_mov_b32_e32 v62, 0
	s_waitcnt vmcnt(0)
	v_cmp_ne_u16_e32 vcc, 0, v117
	s_and_saveexec_b64 s[18:19], vcc
	s_cbranch_execz .LBB226_281
; %bb.276:                              ;   in Loop: Header=BB226_11 Depth=1
	v_cmp_ne_u16_e32 vcc, s49, v117
	v_bfrev_b32_e32 v62, 1
	s_and_saveexec_b64 s[24:25], vcc
	s_cbranch_execz .LBB226_280
; %bb.277:                              ;   in Loop: Header=BB226_11 Depth=1
	v_and_b32_e32 v60, 0xffff, v117
	v_and_b32_e32 v118, 0x7f, v60
	v_cmp_ne_u32_e32 vcc, s50, v118
	v_mov_b32_e32 v62, 0x7f800001
	s_and_saveexec_b64 s[42:43], vcc
	s_cbranch_execz .LBB226_279
; %bb.278:                              ;   in Loop: Header=BB226_11 Depth=1
	v_and_b32_e32 v62, 7, v60
	v_ffbh_u32_e32 v120, v62
	v_min_u32_e32 v122, 32, v120
	v_subrev_u32_e32 v120, 28, v122
	v_lshlrev_b64 v[120:121], v120, v[60:61]
	v_lshrrev_b32_e32 v119, 3, v118
	v_sub_u32_e32 v60, 29, v122
	v_and_b32_e32 v120, 7, v120
	v_cmp_gt_u32_e32 vcc, 8, v118
	v_cndmask_b32_e32 v60, v119, v60, vcc
	v_cndmask_b32_e32 v62, v62, v120, vcc
	v_lshlrev_b32_e32 v117, 24, v117
	v_lshlrev_b32_e32 v62, 20, v62
	v_and_b32_e32 v117, 0x80000000, v117
	v_lshl_add_u32 v60, v60, 23, v71
	v_or3_b32 v62, v117, v60, v62
.LBB226_279:                            ;   in Loop: Header=BB226_11 Depth=1
	s_or_b64 exec, exec, s[42:43]
.LBB226_280:                            ;   in Loop: Header=BB226_11 Depth=1
	s_or_b64 exec, exec, s[24:25]
.LBB226_281:                            ;   in Loop: Header=BB226_11 Depth=1
	s_or_b64 exec, exec, s[18:19]
	global_load_ubyte v117, v[58:59], off offset:2820
	s_waitcnt vmcnt(0)
	v_cmp_ne_u16_e32 vcc, 0, v117
	s_and_saveexec_b64 s[18:19], vcc
	s_cbranch_execz .LBB226_287
; %bb.282:                              ;   in Loop: Header=BB226_11 Depth=1
	v_cmp_ne_u16_e32 vcc, s49, v117
	v_bfrev_b32_e32 v61, 1
	s_and_saveexec_b64 s[24:25], vcc
	s_cbranch_execz .LBB226_286
; %bb.283:                              ;   in Loop: Header=BB226_11 Depth=1
	v_and_b32_e32 v60, 0xffff, v117
	v_and_b32_e32 v118, 0x7f, v60
	v_cmp_ne_u32_e32 vcc, s50, v118
	v_mov_b32_e32 v61, 0x7f800001
	s_and_saveexec_b64 s[42:43], vcc
	s_cbranch_execz .LBB226_285
; %bb.284:                              ;   in Loop: Header=BB226_11 Depth=1
	v_and_b32_e32 v119, 7, v60
	v_ffbh_u32_e32 v61, v119
	v_min_u32_e32 v121, 32, v61
	v_subrev_u32_e32 v61, 28, v121
	v_lshlrev_b64 v[60:61], v61, v[60:61]
	v_lshrrev_b32_e32 v120, 3, v118
	v_sub_u32_e32 v61, 29, v121
	v_and_b32_e32 v60, 7, v60
	v_cmp_gt_u32_e32 vcc, 8, v118
	v_cndmask_b32_e32 v61, v120, v61, vcc
	v_cndmask_b32_e32 v60, v119, v60, vcc
	v_lshlrev_b32_e32 v117, 24, v117
	v_lshlrev_b32_e32 v60, 20, v60
	v_and_b32_e32 v117, 0x80000000, v117
	v_lshl_add_u32 v61, v61, 23, v71
	v_or3_b32 v61, v117, v61, v60
.LBB226_285:                            ;   in Loop: Header=BB226_11 Depth=1
	s_or_b64 exec, exec, s[42:43]
.LBB226_286:                            ;   in Loop: Header=BB226_11 Depth=1
	s_or_b64 exec, exec, s[24:25]
.LBB226_287:                            ;   in Loop: Header=BB226_11 Depth=1
	s_or_b64 exec, exec, s[18:19]
	v_add_co_u32_e32 v58, vcc, 0xb00, v58
	v_addc_co_u32_e32 v59, vcc, 0, v59, vcc
	global_load_ubyte v119, v[58:59], off offset:8
	v_mov_b32_e32 v117, 0
	v_mov_b32_e32 v118, 0
	s_waitcnt vmcnt(0)
	v_cmp_ne_u16_e32 vcc, 0, v119
	s_and_saveexec_b64 s[18:19], vcc
	s_cbranch_execz .LBB226_293
; %bb.288:                              ;   in Loop: Header=BB226_11 Depth=1
	v_cmp_ne_u16_e32 vcc, s49, v119
	v_bfrev_b32_e32 v118, 1
	s_and_saveexec_b64 s[24:25], vcc
	s_cbranch_execz .LBB226_292
; %bb.289:                              ;   in Loop: Header=BB226_11 Depth=1
	v_and_b32_e32 v60, 0xffff, v119
	v_and_b32_e32 v120, 0x7f, v60
	v_cmp_ne_u32_e32 vcc, s50, v120
	v_mov_b32_e32 v118, 0x7f800001
	s_and_saveexec_b64 s[42:43], vcc
	s_cbranch_execz .LBB226_291
; %bb.290:                              ;   in Loop: Header=BB226_11 Depth=1
	v_and_b32_e32 v118, 7, v60
	v_ffbh_u32_e32 v122, v118
	v_min_u32_e32 v124, 32, v122
	v_subrev_u32_e32 v122, 28, v124
	v_lshlrev_b64 v[122:123], v122, v[60:61]
	v_lshrrev_b32_e32 v121, 3, v120
	v_sub_u32_e32 v60, 29, v124
	v_and_b32_e32 v122, 7, v122
	v_cmp_gt_u32_e32 vcc, 8, v120
	v_cndmask_b32_e32 v60, v121, v60, vcc
	v_cndmask_b32_e32 v118, v118, v122, vcc
	v_lshlrev_b32_e32 v119, 24, v119
	v_lshlrev_b32_e32 v118, 20, v118
	v_and_b32_e32 v119, 0x80000000, v119
	v_lshl_add_u32 v60, v60, 23, v71
	v_or3_b32 v118, v119, v60, v118
.LBB226_291:                            ;   in Loop: Header=BB226_11 Depth=1
	s_or_b64 exec, exec, s[42:43]
.LBB226_292:                            ;   in Loop: Header=BB226_11 Depth=1
	s_or_b64 exec, exec, s[24:25]
.LBB226_293:                            ;   in Loop: Header=BB226_11 Depth=1
	s_or_b64 exec, exec, s[18:19]
	global_load_ubyte v59, v[58:59], off offset:12
	s_waitcnt vmcnt(0)
	v_cmp_ne_u16_e32 vcc, 0, v59
	s_and_saveexec_b64 s[18:19], vcc
	s_cbranch_execz .LBB226_299
; %bb.294:                              ;   in Loop: Header=BB226_11 Depth=1
	v_cmp_ne_u16_e32 vcc, s49, v59
	v_bfrev_b32_e32 v117, 1
	s_and_saveexec_b64 s[24:25], vcc
	s_cbranch_execz .LBB226_298
; %bb.295:                              ;   in Loop: Header=BB226_11 Depth=1
	v_and_b32_e32 v58, 0xffff, v59
	v_and_b32_e32 v60, 0x7f, v58
	v_cmp_ne_u32_e32 vcc, s50, v60
	v_mov_b32_e32 v117, 0x7f800001
	s_and_saveexec_b64 s[42:43], vcc
	s_cbranch_execz .LBB226_297
; %bb.296:                              ;   in Loop: Header=BB226_11 Depth=1
	v_and_b32_e32 v117, 7, v58
	v_ffbh_u32_e32 v120, v117
	v_min_u32_e32 v122, 32, v120
	v_subrev_u32_e32 v120, 28, v122
	v_lshlrev_b64 v[120:121], v120, v[58:59]
	v_lshrrev_b32_e32 v119, 3, v60
	v_sub_u32_e32 v58, 29, v122
	v_and_b32_e32 v120, 7, v120
	v_cmp_gt_u32_e32 vcc, 8, v60
	v_cndmask_b32_e32 v58, v119, v58, vcc
	v_cndmask_b32_e32 v60, v117, v120, vcc
	v_lshlrev_b32_e32 v59, 24, v59
	v_lshlrev_b32_e32 v60, 20, v60
	v_and_b32_e32 v59, 0x80000000, v59
	v_lshl_add_u32 v58, v58, 23, v71
	v_or3_b32 v117, v59, v58, v60
.LBB226_297:                            ;   in Loop: Header=BB226_11 Depth=1
	s_or_b64 exec, exec, s[42:43]
.LBB226_298:                            ;   in Loop: Header=BB226_11 Depth=1
	s_or_b64 exec, exec, s[24:25]
.LBB226_299:                            ;   in Loop: Header=BB226_11 Depth=1
	s_or_b64 exec, exec, s[18:19]
	s_waitcnt lgkmcnt(0)
	v_mul_f32_e32 v74, s47, v74
	v_mul_f32_e32 v73, s47, v73
	;; [unrolled: 1-line block ×4, first 2 shown]
	v_fmac_f32_e32 v74, v2, v73
	v_mul_f32_e32 v75, s47, v75
	v_fmac_f32_e32 v74, v4, v76
	v_mul_f32_e32 v78, s47, v78
	;; [unrolled: 2-line block ×40, first 2 shown]
	v_mul_f32_e32 v62, s47, v116
	v_fmac_f32_e32 v74, v43, v113
	v_mul_f32_e32 v59, s47, v61
	v_mul_f32_e32 v61, s47, v115
	v_fmac_f32_e32 v74, v44, v62
	v_fmac_f32_e32 v74, v45, v61
	;; [unrolled: 1-line block ×3, first 2 shown]
	v_mul_f32_e32 v58, s47, v118
	v_fmac_f32_e32 v74, v47, v59
	v_mul_f32_e32 v115, s47, v117
	v_fmac_f32_e32 v74, v48, v58
	v_fmac_f32_e32 v74, v49, v115
	ds_bpermute_b32 v58, v67, v74
	s_waitcnt lgkmcnt(0)
	v_add_f32_e32 v58, v74, v58
	ds_bpermute_b32 v59, v68, v58
	s_and_saveexec_b64 s[18:19], s[2:3]
	s_cbranch_execz .LBB226_10
; %bb.300:                              ;   in Loop: Header=BB226_11 Depth=1
	v_add_u32_e32 v60, s48, v69
	v_cvt_f32_i32_e32 v60, v60
	s_waitcnt lgkmcnt(0)
	v_add_f32_e32 v58, v58, v59
	v_cmp_gt_i32_e32 vcc, s37, v69
	v_max_f32_e32 v59, v66, v66
	v_mul_f32_e32 v60, s10, v60
	v_cndmask_b32_e64 v60, 0, v60, s[4:5]
	v_fmac_f32_e32 v60, s11, v58
	v_cndmask_b32_e32 v58, 0, v60, vcc
	ds_write_b32 v70, v58
	v_max_f32_e32 v58, v59, v60
	v_cndmask_b32_e32 v66, v66, v58, vcc
	s_branch .LBB226_10
.LBB226_301:
	s_or_b64 exec, exec, s[12:13]
.LBB226_302:
	s_or_b64 exec, exec, s[40:41]
	v_xor_b32_e32 v2, 32, v64
	v_cmp_lt_i32_e32 vcc, v2, v65
	v_cndmask_b32_e32 v2, v64, v2, vcc
	v_lshlrev_b32_e32 v2, 2, v2
	ds_bpermute_b32 v3, v2, v66
	v_xor_b32_e32 v5, 16, v64
	v_max_f32_e32 v4, v66, v66
	v_cmp_lt_i32_e32 vcc, v5, v65
	v_xor_b32_e32 v6, 8, v64
	s_waitcnt lgkmcnt(0)
	v_max_f32_e32 v3, v3, v3
	v_max_f32_e32 v4, v4, v3
	v_cndmask_b32_e32 v3, v64, v5, vcc
	v_lshlrev_b32_e32 v3, 2, v3
	ds_bpermute_b32 v5, v3, v4
	v_cmp_lt_i32_e32 vcc, v6, v65
	v_and_b32_e32 v82, 63, v0
	s_waitcnt lgkmcnt(0)
	v_max_f32_e32 v5, v5, v5
	v_max_f32_e32 v4, v4, v5
	v_cndmask_b32_e32 v5, v64, v6, vcc
	v_lshlrev_b32_e32 v7, 2, v5
	ds_bpermute_b32 v5, v7, v4
	v_xor_b32_e32 v6, 4, v64
	v_cmp_lt_i32_e32 vcc, v6, v65
	s_waitcnt lgkmcnt(0)
	v_max_f32_e32 v5, v5, v5
	v_max_f32_e32 v4, v4, v5
	v_cndmask_b32_e32 v5, v64, v6, vcc
	v_lshlrev_b32_e32 v8, 2, v5
	ds_bpermute_b32 v6, v8, v4
	v_cmp_eq_u32_e32 vcc, 0, v82
	v_lshlrev_b32_e32 v5, 2, v63
	s_and_saveexec_b64 s[2:3], vcc
	s_cbranch_execz .LBB226_304
; %bb.303:
	s_waitcnt lgkmcnt(0)
	v_max_f32_e32 v6, v6, v6
	v_max_f32_e32 v4, v4, v4
	;; [unrolled: 1-line block ×3, first 2 shown]
	ds_write_b32 v5, v4 offset:768
.LBB226_304:
	s_or_b64 exec, exec, s[2:3]
	v_cmp_gt_u32_e64 s[2:3], 2, v82
	v_mov_b32_e32 v4, 0xff7fffff
	s_waitcnt lgkmcnt(0)
	v_lshlrev_b32_e32 v6, 2, v82
	s_barrier
	s_and_saveexec_b64 s[4:5], s[2:3]
	s_cbranch_execz .LBB226_306
; %bb.305:
	ds_read_b32 v4, v6 offset:768
.LBB226_306:
	s_or_b64 exec, exec, s[4:5]
	v_xor_b32_e32 v9, 1, v64
	v_cmp_lt_i32_e64 s[4:5], v9, v65
	v_cndmask_b32_e64 v9, v64, v9, s[4:5]
	v_lshlrev_b32_e32 v83, 2, v9
	s_waitcnt lgkmcnt(0)
	ds_bpermute_b32 v9, v83, v4
	v_max_f32_e32 v4, v4, v4
	s_sub_i32 s4, s31, s45
	s_lshl_b32 s4, s4, 4
	s_add_i32 s4, s4, s44
	s_waitcnt lgkmcnt(0)
	v_max_f32_e32 v9, v9, v9
	v_max_f32_e32 v4, v4, v9
	v_lshlrev_b32_e32 v9, 2, v64
	v_and_b32_e32 v9, 0xffffff00, v9
	ds_bpermute_b32 v4, v9, v4
	s_min_i32 s25, s4, s37
	s_sub_i32 s24, s25, s44
	v_cmp_gt_i32_e64 s[4:5], s24, v0
	v_mov_b32_e32 v10, 0
	s_and_saveexec_b64 s[12:13], s[4:5]
	s_cbranch_execz .LBB226_310
; %bb.307:
	v_mov_b32_e32 v10, 0x310
	v_lshl_add_u32 v11, v0, 2, v10
	s_mov_b64 s[18:19], 0
	v_mov_b32_e32 v10, 0
	v_mov_b32_e32 v12, v0
.LBB226_308:                            ; =>This Inner Loop Header: Depth=1
	ds_read_b32 v13, v11
	v_add_u32_e32 v12, 0x80, v12
	v_cmp_le_i32_e64 s[10:11], s24, v12
	s_or_b64 s[18:19], s[10:11], s[18:19]
	s_waitcnt lgkmcnt(0)
	v_sub_f32_e32 v13, v13, v4
	v_mul_f32_e32 v13, 0x3fb8aa3b, v13
	v_exp_f32_e32 v13, v13
	ds_write_b32 v11, v13
	v_add_f32_e32 v10, v10, v13
	v_add_u32_e32 v11, 0x200, v11
	s_andn2_b64 exec, exec, s[18:19]
	s_cbranch_execnz .LBB226_308
; %bb.309:
	s_or_b64 exec, exec, s[18:19]
.LBB226_310:
	s_or_b64 exec, exec, s[12:13]
	ds_bpermute_b32 v2, v2, v10
	s_waitcnt lgkmcnt(0)
	v_add_f32_e32 v2, v10, v2
	ds_bpermute_b32 v3, v3, v2
	s_waitcnt lgkmcnt(0)
	v_add_f32_e32 v2, v2, v3
	ds_bpermute_b32 v3, v7, v2
	v_xor_b32_e32 v7, 2, v64
	v_cmp_lt_i32_e64 s[10:11], v7, v65
	v_cndmask_b32_e64 v7, v64, v7, s[10:11]
	v_lshlrev_b32_e32 v84, 2, v7
	s_waitcnt lgkmcnt(0)
	v_add_f32_e32 v2, v2, v3
	ds_bpermute_b32 v3, v8, v2
	s_waitcnt lgkmcnt(0)
	v_add_f32_e32 v2, v2, v3
	ds_bpermute_b32 v3, v84, v2
	s_waitcnt lgkmcnt(0)
	v_add_f32_e32 v2, v2, v3
	ds_bpermute_b32 v3, v83, v2
	s_waitcnt lgkmcnt(0)
	v_add_f32_e32 v2, v2, v3
	s_and_saveexec_b64 s[10:11], vcc
	s_cbranch_execz .LBB226_312
; %bb.311:
	ds_write_b32 v5, v2 offset:776
.LBB226_312:
	s_or_b64 exec, exec, s[10:11]
	s_waitcnt lgkmcnt(0)
	s_barrier
	s_and_saveexec_b64 s[10:11], s[2:3]
	s_cbranch_execz .LBB226_314
; %bb.313:
	ds_read_b32 v2, v6 offset:776
.LBB226_314:
	s_or_b64 exec, exec, s[10:11]
	s_waitcnt lgkmcnt(0)
	ds_bpermute_b32 v3, v83, v2
	s_waitcnt lgkmcnt(0)
	v_add_f32_e32 v2, v2, v3
	ds_bpermute_b32 v5, v9, v2
	s_and_saveexec_b64 s[2:3], s[4:5]
	s_cbranch_execz .LBB226_327
; %bb.315:
	s_waitcnt lgkmcnt(0)
	v_add_f32_e32 v2, 0x358637bd, v5
	v_div_scale_f32 v3, s[4:5], v2, v2, 1.0
	v_rcp_f32_e32 v6, v3
	v_div_scale_f32 v7, vcc, 1.0, v2, 1.0
	s_movk_i32 s4, 0x7f
	v_fma_f32 v8, -v3, v6, 1.0
	v_fmac_f32_e32 v6, v8, v6
	v_mul_f32_e32 v8, v7, v6
	v_fma_f32 v9, -v3, v8, v7
	v_fmac_f32_e32 v8, v9, v6
	v_fma_f32 v3, -v3, v8, v7
	v_div_fmas_f32 v3, v3, v6, v8
	v_div_fixup_f32 v2, v3, v2, 1.0
	v_xad_u32 v3, v0, -1, s25
	v_subrev_u32_e32 v6, s44, v3
	v_cmp_lt_u32_e32 vcc, s4, v6
	s_mov_b64 s[10:11], -1
	v_mov_b32_e32 v3, v0
	s_and_saveexec_b64 s[4:5], vcc
	s_cbranch_execz .LBB226_324
; %bb.316:
	v_lshrrev_b32_e32 v6, 7, v6
	v_add_u32_e32 v8, -1, v6
	v_lshrrev_b32_e32 v7, 1, v8
	v_mov_b32_e32 v3, v2
	v_add_u32_e32 v7, 1, v7
	v_cmp_lt_u32_e32 vcc, 13, v8
	v_mov_b32_e32 v10, 0
	s_and_saveexec_b64 s[10:11], vcc
	s_cbranch_execz .LBB226_320
; %bb.317:
	v_mov_b32_e32 v9, 0x310
	v_and_b32_e32 v8, -8, v7
	v_lshl_add_u32 v9, v0, 2, v9
	s_mov_b32 s18, 0
	s_mov_b64 s[12:13], 0
.LBB226_318:                            ; =>This Inner Loop Header: Depth=1
	ds_read2st64_b32 v[10:11], v9 offset1:2
	ds_read2st64_b32 v[12:13], v9 offset0:4 offset1:6
	ds_read2st64_b32 v[14:15], v9 offset0:8 offset1:10
	;; [unrolled: 1-line block ×3, first 2 shown]
	v_add_u32_e32 v8, -8, v8
	s_waitcnt lgkmcnt(3)
	v_pk_mul_f32 v[10:11], v[2:3], v[10:11]
	s_waitcnt lgkmcnt(2)
	v_pk_mul_f32 v[12:13], v[2:3], v[12:13]
	ds_write2st64_b32 v9, v10, v11 offset1:2
	ds_write2st64_b32 v9, v12, v13 offset0:4 offset1:6
	ds_read2st64_b32 v[12:13], v9 offset0:16 offset1:18
	s_waitcnt lgkmcnt(4)
	v_pk_mul_f32 v[10:11], v[2:3], v[14:15]
	ds_write2st64_b32 v9, v10, v11 offset0:8 offset1:10
	s_waitcnt lgkmcnt(4)
	v_pk_mul_f32 v[10:11], v[2:3], v[16:17]
	ds_write2st64_b32 v9, v10, v11 offset0:12 offset1:14
	ds_read2st64_b32 v[10:11], v9 offset0:20 offset1:22
	s_waitcnt lgkmcnt(3)
	v_pk_mul_f32 v[12:13], v[2:3], v[12:13]
	ds_read2st64_b32 v[14:15], v9 offset0:24 offset1:26
	ds_write2st64_b32 v9, v12, v13 offset0:16 offset1:18
	ds_read2st64_b32 v[12:13], v9 offset0:28 offset1:30
	s_waitcnt lgkmcnt(3)
	v_pk_mul_f32 v[10:11], v[2:3], v[10:11]
	ds_write2st64_b32 v9, v10, v11 offset0:20 offset1:22
	s_waitcnt lgkmcnt(3)
	v_pk_mul_f32 v[10:11], v[2:3], v[14:15]
	ds_write2st64_b32 v9, v10, v11 offset0:24 offset1:26
	s_waitcnt lgkmcnt(2)
	v_pk_mul_f32 v[10:11], v[2:3], v[12:13]
	s_add_i32 s18, s18, 16
	v_cmp_eq_u32_e32 vcc, 0, v8
	ds_write2st64_b32 v9, v10, v11 offset0:28 offset1:30
	v_add_u32_e32 v9, 0x2000, v9
	s_or_b64 s[12:13], vcc, s[12:13]
	v_mov_b32_e32 v10, s18
	s_andn2_b64 exec, exec, s[12:13]
	s_cbranch_execnz .LBB226_318
; %bb.319:
	s_or_b64 exec, exec, s[12:13]
.LBB226_320:
	s_or_b64 exec, exec, s[10:11]
	v_and_b32_e32 v7, 7, v7
	v_cmp_ne_u32_e32 vcc, 0, v7
	s_and_saveexec_b64 s[10:11], vcc
	s_cbranch_execz .LBB226_323
; %bb.321:
	v_lshlrev_b32_e32 v8, 9, v10
	v_lshlrev_b32_e32 v9, 2, v0
	s_movk_i32 s12, 0x310
	v_add3_u32 v8, v8, v9, s12
	s_mov_b64 s[12:13], 0
.LBB226_322:                            ; =>This Inner Loop Header: Depth=1
	ds_read2st64_b32 v[10:11], v8 offset1:2
	v_add_u32_e32 v7, -1, v7
	v_cmp_eq_u32_e32 vcc, 0, v7
	s_or_b64 s[12:13], vcc, s[12:13]
	s_waitcnt lgkmcnt(0)
	v_pk_mul_f32 v[10:11], v[2:3], v[10:11]
	ds_write2st64_b32 v8, v10, v11 offset1:2
	v_add_u32_e32 v8, 0x400, v8
	s_andn2_b64 exec, exec, s[12:13]
	s_cbranch_execnz .LBB226_322
.LBB226_323:
	s_or_b64 exec, exec, s[10:11]
	v_add_u32_e32 v6, 1, v6
	v_and_b32_e32 v7, 0x3fffffe, v6
	v_cmp_ne_u32_e32 vcc, v6, v7
	v_lshl_add_u32 v3, v7, 7, v0
	s_orn2_b64 s[10:11], vcc, exec
.LBB226_324:
	s_or_b64 exec, exec, s[4:5]
	s_and_b64 exec, exec, s[10:11]
	s_cbranch_execz .LBB226_327
; %bb.325:
	v_mov_b32_e32 v6, 0x310
	v_lshl_add_u32 v6, v3, 2, v6
	s_mov_b64 s[4:5], 0
.LBB226_326:                            ; =>This Inner Loop Header: Depth=1
	ds_read_b32 v7, v6
	v_add_u32_e32 v3, 0x80, v3
	v_cmp_le_i32_e32 vcc, s24, v3
	s_or_b64 s[4:5], vcc, s[4:5]
	s_waitcnt lgkmcnt(0)
	v_mul_f32_e32 v7, v2, v7
	ds_write_b32 v6, v7
	v_add_u32_e32 v6, 0x200, v6
	s_andn2_b64 exec, exec, s[4:5]
	s_cbranch_execnz .LBB226_326
.LBB226_327:
	s_or_b64 exec, exec, s[2:3]
	s_mul_i32 s2, s33, s36
	v_cmp_eq_u32_e32 vcc, 0, v0
	s_mul_i32 s2, s2, s9
	s_waitcnt lgkmcnt(0)
	s_barrier
	s_and_saveexec_b64 s[4:5], vcc
	s_cbranch_execz .LBB226_329
; %bb.328:
	s_ashr_i32 s3, s2, 31
	s_lshl_b64 s[10:11], s[2:3], 2
	s_add_u32 s3, s22, s10
	s_mul_i32 s12, s33, s6
	s_addc_u32 s9, s23, s11
	s_ashr_i32 s13, s12, 31
	s_lshl_b64 s[12:13], s[12:13], 2
	s_add_u32 s3, s3, s12
	s_addc_u32 s6, s9, s13
	s_ashr_i32 s9, s8, 31
	s_lshl_b64 s[18:19], s[8:9], 2
	s_add_u32 s22, s3, s18
	s_addc_u32 s23, s6, s19
	s_add_u32 s3, s20, s10
	s_addc_u32 s6, s21, s11
	;; [unrolled: 2-line block ×3, first 2 shown]
	s_add_u32 s10, s3, s18
	v_mov_b32_e32 v2, 0
	s_addc_u32 s11, s6, s19
	global_store_dword v2, v4, s[22:23]
	global_store_dword v2, v5, s[10:11]
.LBB226_329:
	s_or_b64 exec, exec, s[4:5]
	s_mov_b32 s6, 0
	v_mov_b32_e32 v7, 0
	v_mov_b32_e32 v6, 0
	;; [unrolled: 1-line block ×12, first 2 shown]
	s_and_saveexec_b64 s[4:5], s[0:1]
	s_cbranch_execz .LBB226_645
; %bb.330:
	v_lshlrev_b32_e32 v2, 2, v0
	s_ashr_i32 s0, s16, 31
	v_and_b32_e32 v3, 12, v2
	s_add_u32 s1, s14, s16
	v_and_b32_e32 v2, 0xfc, v2
	s_load_dword s10, s[26:27], 0x0
	s_addc_u32 s0, s15, s0
	v_add_co_u32_e32 v20, vcc, s1, v2
	v_lshl_add_u32 v2, v63, 4, s44
	s_add_i32 s9, s7, -1
	v_mov_b32_e32 v4, s0
	v_add3_u32 v85, v2, v3, 3
	v_lshlrev_b32_e32 v2, 4, v50
	s_lshl_b64 s[0:1], s[38:39], 2
	v_lshl_or_b32 v2, v63, 6, v2
	s_add_u32 s0, s34, s0
	v_addc_co_u32_e32 v21, vcc, 0, v4, vcc
	v_add_u32_e32 v86, 0x310, v2
	v_lshlrev_b64 v[2:3], 2, v[52:53]
	s_addc_u32 s1, s35, s1
	v_mov_b32_e32 v4, s1
	v_add_co_u32_e32 v22, vcc, s0, v2
	s_mov_b32 s3, s17
	s_waitcnt lgkmcnt(0)
	s_mov_b32 s11, s10
	v_mov_b32_e32 v19, 0
	v_addc_co_u32_e32 v23, vcc, v4, v3, vcc
	s_mov_b64 s[12:13], 0
	s_movk_i32 s22, 0x80
	s_movk_i32 s23, 0x7f
	s_brev_b32 s7, 1
	s_mov_b32 s15, 0x7f800001
	s_mov_b32 s24, 0xffffff
	v_bfrev_b32_e32 v53, 60
	v_mov_b32_e32 v87, 7
	v_mov_b32_e32 v88, 24
	;; [unrolled: 1-line block ×14, first 2 shown]
	s_branch .LBB226_332
.LBB226_331:                            ;   in Loop: Header=BB226_332 Depth=1
	s_or_b64 exec, exec, s[0:1]
	s_waitcnt lgkmcnt(0)
	v_mul_f32_e32 v18, v3, v71
	v_fmac_f32_e32 v18, v2, v70
	v_fmac_f32_e32 v18, v4, v72
	v_fmac_f32_e32 v18, v5, v73
	v_add_f32_e32 v6, v6, v18
	v_mul_f32_e32 v18, v3, v67
	v_fmac_f32_e32 v18, v2, v66
	v_fmac_f32_e32 v18, v4, v68
	v_fmac_f32_e32 v18, v5, v69
	v_add_f32_e32 v9, v9, v18
	;; [unrolled: 5-line block ×10, first 2 shown]
	v_mul_f32_e32 v18, v3, v25
	v_mul_f32_e32 v3, v3, v29
	v_fmac_f32_e32 v18, v2, v24
	v_fmac_f32_e32 v3, v2, v28
	v_add_u32_e32 v52, 2, v52
	v_fmac_f32_e32 v18, v4, v26
	v_fmac_f32_e32 v3, v4, v74
	v_cmp_le_i32_e32 vcc, s31, v52
	v_fmac_f32_e32 v18, v5, v27
	v_fmac_f32_e32 v3, v5, v75
	s_or_b64 s[12:13], vcc, s[12:13]
	v_add_co_u32_e32 v22, vcc, 8, v22
	v_add_f32_e32 v16, v16, v18
	v_add_f32_e32 v7, v7, v3
	v_add_u32_e32 v85, 32, v85
	v_add_u32_e32 v86, 0x80, v86
	v_addc_co_u32_e32 v23, vcc, 0, v23, vcc
	s_andn2_b64 exec, exec, s[12:13]
	s_cbranch_execz .LBB226_644
.LBB226_332:                            ; =>This Inner Loop Header: Depth=1
	global_load_dword v2, v[22:23], off
	v_pk_mov_b32 v[30:31], 0, 0
	v_pk_mov_b32 v[26:27], v[30:31], v[30:31] op_sel:[0,1]
	s_waitcnt vmcnt(0)
	v_mad_i64_i32 v[28:29], s[0:1], v2, s3, v[20:21]
	global_load_dword v24, v[28:29], off
	ds_read_b128 v[2:5], v86
	s_waitcnt vmcnt(0)
	v_cmp_ne_u16_sdwa s[16:17], v24, v19 src0_sel:BYTE_0 src1_sel:DWORD
	s_and_saveexec_b64 s[0:1], s[16:17]
	s_cbranch_execz .LBB226_338
; %bb.333:                              ;   in Loop: Header=BB226_332 Depth=1
	v_bfrev_b32_e32 v26, 1
	v_cmp_ne_u16_sdwa s[18:19], v24, s22 src0_sel:BYTE_0 src1_sel:DWORD
	v_mov_b32_e32 v27, 0
	s_and_saveexec_b64 s[16:17], s[18:19]
	s_cbranch_execz .LBB226_337
; %bb.334:                              ;   in Loop: Header=BB226_332 Depth=1
	v_and_b32_e32 v18, 0x7f, v24
	v_mov_b32_e32 v26, 0x7f800001
	v_cmp_ne_u32_e32 vcc, s23, v18
	v_mov_b32_e32 v27, 0
	s_and_saveexec_b64 s[18:19], vcc
	s_cbranch_execz .LBB226_336
; %bb.335:                              ;   in Loop: Header=BB226_332 Depth=1
	v_and_b32_e32 v25, 7, v24
	v_ffbh_u32_e32 v26, v25
	v_min_u32_e32 v33, 32, v26
	v_subrev_u32_e32 v26, 28, v33
	v_lshlrev_b64 v[26:27], v26, v[24:25]
	v_lshrrev_b32_e32 v32, 3, v18
	v_sub_u32_e32 v27, 29, v33
	v_and_b32_e32 v26, 7, v26
	v_cmp_gt_u32_e32 vcc, 8, v18
	v_cndmask_b32_e32 v18, v32, v27, vcc
	v_cndmask_b32_e32 v25, v25, v26, vcc
	v_lshlrev_b32_e32 v25, 20, v25
	v_and_b32_sdwa v26, sext(v24), s7 dst_sel:DWORD dst_unused:UNUSED_PAD src0_sel:BYTE_0 src1_sel:DWORD
	v_lshl_add_u32 v18, v18, 23, v53
	v_or3_b32 v18, v26, v18, v25
	v_pk_mov_b32 v[26:27], v[18:19], v[18:19] op_sel:[0,1]
.LBB226_336:                            ;   in Loop: Header=BB226_332 Depth=1
	s_or_b64 exec, exec, s[18:19]
.LBB226_337:                            ;   in Loop: Header=BB226_332 Depth=1
	s_or_b64 exec, exec, s[16:17]
.LBB226_338:                            ;   in Loop: Header=BB226_332 Depth=1
	s_or_b64 exec, exec, s[0:1]
	v_cmp_ne_u16_sdwa s[16:17], v24, v19 src0_sel:BYTE_1 src1_sel:DWORD
	s_and_saveexec_b64 s[0:1], s[16:17]
	s_cbranch_execz .LBB226_344
; %bb.339:                              ;   in Loop: Header=BB226_332 Depth=1
	v_cmp_ne_u16_sdwa s[18:19], v24, s22 src0_sel:BYTE_1 src1_sel:DWORD
	v_pk_mov_b32 v[30:31], s[6:7], s[6:7] op_sel:[0,1]
	s_and_saveexec_b64 s[16:17], s[18:19]
	s_cbranch_execz .LBB226_343
; %bb.340:                              ;   in Loop: Header=BB226_332 Depth=1
	v_and_b32_sdwa v25, v24, s23 dst_sel:DWORD dst_unused:UNUSED_PAD src0_sel:BYTE_1 src1_sel:DWORD
	s_mov_b32 s14, s6
	v_cmp_ne_u32_e32 vcc, s23, v25
	v_pk_mov_b32 v[30:31], s[14:15], s[14:15] op_sel:[0,1]
	s_and_saveexec_b64 s[18:19], vcc
	s_cbranch_execz .LBB226_342
; %bb.341:                              ;   in Loop: Header=BB226_332 Depth=1
	v_and_b32_sdwa v18, v24, v87 dst_sel:DWORD dst_unused:UNUSED_PAD src0_sel:BYTE_1 src1_sel:DWORD
	v_ffbh_u32_e32 v30, v18
	v_min_u32_e32 v33, 32, v30
	v_subrev_u32_e32 v30, 28, v33
	v_lshlrev_b64 v[30:31], v30, v[18:19]
	v_lshrrev_b32_e32 v32, 3, v25
	v_sub_u32_e32 v31, 29, v33
	v_cmp_gt_u32_e32 vcc, 8, v25
	v_and_b32_e32 v30, 7, v30
	v_cndmask_b32_e32 v25, v32, v31, vcc
	v_cndmask_b32_e32 v18, v18, v30, vcc
	v_lshlrev_b32_e32 v30, 16, v24
	v_lshl_add_u32 v25, v25, 23, v53
	v_and_or_b32 v25, v30, s7, v25
	v_lshlrev_b32_e32 v18, 20, v18
	v_or_b32_e32 v31, v25, v18
	v_mov_b32_e32 v30, v19
.LBB226_342:                            ;   in Loop: Header=BB226_332 Depth=1
	s_or_b64 exec, exec, s[18:19]
.LBB226_343:                            ;   in Loop: Header=BB226_332 Depth=1
	s_or_b64 exec, exec, s[16:17]
.LBB226_344:                            ;   in Loop: Header=BB226_332 Depth=1
	s_or_b64 exec, exec, s[0:1]
	v_lshrrev_b32_e32 v18, 16, v24
	v_pk_mov_b32 v[34:35], 0, 0
	v_cmp_ne_u16_sdwa s[16:17], v18, v19 src0_sel:BYTE_0 src1_sel:DWORD
	v_pk_mov_b32 v[32:33], v[34:35], v[34:35] op_sel:[0,1]
	s_and_saveexec_b64 s[0:1], s[16:17]
	s_cbranch_execz .LBB226_350
; %bb.345:                              ;   in Loop: Header=BB226_332 Depth=1
	v_bfrev_b32_e32 v32, 1
	v_cmp_ne_u16_sdwa s[18:19], v18, s22 src0_sel:BYTE_0 src1_sel:DWORD
	v_mov_b32_e32 v33, 0
	s_and_saveexec_b64 s[16:17], s[18:19]
	s_cbranch_execz .LBB226_349
; %bb.346:                              ;   in Loop: Header=BB226_332 Depth=1
	v_bfe_u32 v25, v24, 16, 7
	v_mov_b32_e32 v32, 0x7f800001
	v_cmp_ne_u32_e32 vcc, s23, v25
	v_mov_b32_e32 v33, 0
	s_and_saveexec_b64 s[18:19], vcc
	s_cbranch_execz .LBB226_348
; %bb.347:                              ;   in Loop: Header=BB226_332 Depth=1
	v_and_b32_e32 v36, 7, v18
	v_ffbh_u32_e32 v32, v36
	v_min_u32_e32 v38, 32, v32
	v_subrev_u32_e32 v32, 28, v38
	v_lshlrev_b64 v[32:33], v32, v[18:19]
	v_lshrrev_b32_e32 v37, 3, v25
	v_sub_u32_e32 v33, 29, v38
	v_and_b32_e32 v32, 7, v32
	v_cmp_gt_u32_e32 vcc, 8, v25
	v_cndmask_b32_e32 v25, v37, v33, vcc
	v_cndmask_b32_e32 v32, v36, v32, vcc
	v_lshlrev_b32_e32 v32, 20, v32
	v_and_b32_sdwa v18, sext(v18), s7 dst_sel:DWORD dst_unused:UNUSED_PAD src0_sel:BYTE_0 src1_sel:DWORD
	v_lshl_add_u32 v25, v25, 23, v53
	v_or3_b32 v18, v18, v25, v32
	v_pk_mov_b32 v[32:33], v[18:19], v[18:19] op_sel:[0,1]
.LBB226_348:                            ;   in Loop: Header=BB226_332 Depth=1
	s_or_b64 exec, exec, s[18:19]
.LBB226_349:                            ;   in Loop: Header=BB226_332 Depth=1
	s_or_b64 exec, exec, s[16:17]
.LBB226_350:                            ;   in Loop: Header=BB226_332 Depth=1
	s_or_b64 exec, exec, s[0:1]
	v_cmp_lt_u32_e32 vcc, s24, v24
	s_and_saveexec_b64 s[0:1], vcc
	s_cbranch_execz .LBB226_356
; %bb.351:                              ;   in Loop: Header=BB226_332 Depth=1
	v_cmp_ne_u32_sdwa s[18:19], v24, s22 src0_sel:BYTE_3 src1_sel:DWORD
	v_pk_mov_b32 v[34:35], s[6:7], s[6:7] op_sel:[0,1]
	s_and_saveexec_b64 s[16:17], s[18:19]
	s_cbranch_execz .LBB226_355
; %bb.352:                              ;   in Loop: Header=BB226_332 Depth=1
	v_bfe_u32 v25, v24, 24, 7
	s_mov_b32 s14, s6
	v_cmp_ne_u32_e32 vcc, s23, v25
	v_pk_mov_b32 v[34:35], s[14:15], s[14:15] op_sel:[0,1]
	s_and_saveexec_b64 s[18:19], vcc
	s_cbranch_execz .LBB226_354
; %bb.353:                              ;   in Loop: Header=BB226_332 Depth=1
	v_and_b32_sdwa v18, v24, v87 dst_sel:DWORD dst_unused:UNUSED_PAD src0_sel:BYTE_3 src1_sel:DWORD
	v_ffbh_u32_e32 v34, v18
	v_min_u32_e32 v37, 32, v34
	v_subrev_u32_e32 v34, 28, v37
	v_lshlrev_b64 v[34:35], v34, v[18:19]
	v_lshrrev_b32_e32 v36, 3, v25
	v_sub_u32_e32 v35, 29, v37
	v_cmp_gt_u32_e32 vcc, 8, v25
	v_and_b32_e32 v34, 7, v34
	v_cndmask_b32_e32 v25, v36, v35, vcc
	v_cndmask_b32_e32 v18, v18, v34, vcc
	v_lshlrev_b32_sdwa v24, v88, v24 dst_sel:DWORD dst_unused:UNUSED_PAD src0_sel:DWORD src1_sel:BYTE_3
	v_lshl_add_u32 v25, v25, 23, v53
	v_and_or_b32 v24, v24, s7, v25
	v_lshlrev_b32_e32 v18, 20, v18
	v_or_b32_e32 v35, v24, v18
	v_mov_b32_e32 v34, v19
.LBB226_354:                            ;   in Loop: Header=BB226_332 Depth=1
	s_or_b64 exec, exec, s[18:19]
.LBB226_355:                            ;   in Loop: Header=BB226_332 Depth=1
	s_or_b64 exec, exec, s[16:17]
.LBB226_356:                            ;   in Loop: Header=BB226_332 Depth=1
	s_or_b64 exec, exec, s[0:1]
	v_or_b32_e32 v25, v31, v27
	v_or_b32_e32 v24, v30, v26
	;; [unrolled: 1-line block ×4, first 2 shown]
	v_add_u32_e32 v89, -3, v85
	v_cmp_eq_u32_e32 vcc, s9, v52
	v_pk_mul_f32 v[24:25], s[10:11], v[24:25]
	v_pk_mul_f32 v[26:27], s[10:11], v[26:27]
	v_add_u32_e32 v91, -2, v85
	v_add_u32_e32 v90, -1, v85
	s_and_saveexec_b64 s[16:17], vcc
; %bb.357:                              ;   in Loop: Header=BB226_332 Depth=1
	v_cmp_gt_i32_e64 s[0:1], s37, v89
	v_cndmask_b32_e64 v24, 0, v24, s[0:1]
	v_cmp_gt_i32_e64 s[0:1], s37, v91
	v_cndmask_b32_e64 v25, 0, v25, s[0:1]
	;; [unrolled: 2-line block ×4, first 2 shown]
; %bb.358:                              ;   in Loop: Header=BB226_332 Depth=1
	s_or_b64 exec, exec, s[16:17]
	global_load_dword v30, v[28:29], off offset:256
	v_pk_mov_b32 v[34:35], 0, 0
	v_pk_mov_b32 v[32:33], v[34:35], v[34:35] op_sel:[0,1]
	s_waitcnt vmcnt(0)
	v_cmp_ne_u16_sdwa s[0:1], v30, v19 src0_sel:BYTE_0 src1_sel:DWORD
	s_and_saveexec_b64 s[16:17], s[0:1]
	s_cbranch_execz .LBB226_364
; %bb.359:                              ;   in Loop: Header=BB226_332 Depth=1
	v_bfrev_b32_e32 v32, 1
	v_cmp_ne_u16_sdwa s[0:1], v30, s22 src0_sel:BYTE_0 src1_sel:DWORD
	v_mov_b32_e32 v33, 0
	s_and_saveexec_b64 s[18:19], s[0:1]
	s_cbranch_execz .LBB226_363
; %bb.360:                              ;   in Loop: Header=BB226_332 Depth=1
	v_and_b32_e32 v18, 0x7f, v30
	v_mov_b32_e32 v32, 0x7f800001
	v_cmp_ne_u32_e64 s[0:1], s23, v18
	v_mov_b32_e32 v33, 0
	s_and_saveexec_b64 s[20:21], s[0:1]
	s_cbranch_execz .LBB226_362
; %bb.361:                              ;   in Loop: Header=BB226_332 Depth=1
	v_and_b32_e32 v31, 7, v30
	v_ffbh_u32_e32 v32, v31
	v_min_u32_e32 v37, 32, v32
	v_subrev_u32_e32 v32, 28, v37
	v_lshlrev_b64 v[32:33], v32, v[30:31]
	v_lshrrev_b32_e32 v36, 3, v18
	v_sub_u32_e32 v33, 29, v37
	v_and_b32_e32 v32, 7, v32
	v_cmp_gt_u32_e64 s[0:1], 8, v18
	v_cndmask_b32_e64 v18, v36, v33, s[0:1]
	v_cndmask_b32_e64 v31, v31, v32, s[0:1]
	v_lshlrev_b32_e32 v31, 20, v31
	v_and_b32_sdwa v32, sext(v30), s7 dst_sel:DWORD dst_unused:UNUSED_PAD src0_sel:BYTE_0 src1_sel:DWORD
	v_lshl_add_u32 v18, v18, 23, v53
	v_or3_b32 v18, v32, v18, v31
	v_pk_mov_b32 v[32:33], v[18:19], v[18:19] op_sel:[0,1]
.LBB226_362:                            ;   in Loop: Header=BB226_332 Depth=1
	s_or_b64 exec, exec, s[20:21]
.LBB226_363:                            ;   in Loop: Header=BB226_332 Depth=1
	s_or_b64 exec, exec, s[18:19]
.LBB226_364:                            ;   in Loop: Header=BB226_332 Depth=1
	s_or_b64 exec, exec, s[16:17]
	v_cmp_ne_u16_sdwa s[0:1], v30, v19 src0_sel:BYTE_1 src1_sel:DWORD
	s_and_saveexec_b64 s[16:17], s[0:1]
	s_cbranch_execz .LBB226_370
; %bb.365:                              ;   in Loop: Header=BB226_332 Depth=1
	v_cmp_ne_u16_sdwa s[0:1], v30, s22 src0_sel:BYTE_1 src1_sel:DWORD
	v_pk_mov_b32 v[34:35], s[6:7], s[6:7] op_sel:[0,1]
	s_and_saveexec_b64 s[18:19], s[0:1]
	s_cbranch_execz .LBB226_369
; %bb.366:                              ;   in Loop: Header=BB226_332 Depth=1
	v_and_b32_sdwa v31, v30, s23 dst_sel:DWORD dst_unused:UNUSED_PAD src0_sel:BYTE_1 src1_sel:DWORD
	s_mov_b32 s14, s6
	v_cmp_ne_u32_e64 s[0:1], s23, v31
	v_pk_mov_b32 v[34:35], s[14:15], s[14:15] op_sel:[0,1]
	s_and_saveexec_b64 s[20:21], s[0:1]
	s_cbranch_execz .LBB226_368
; %bb.367:                              ;   in Loop: Header=BB226_332 Depth=1
	v_and_b32_sdwa v18, v30, v87 dst_sel:DWORD dst_unused:UNUSED_PAD src0_sel:BYTE_1 src1_sel:DWORD
	v_ffbh_u32_e32 v34, v18
	v_min_u32_e32 v37, 32, v34
	v_subrev_u32_e32 v34, 28, v37
	v_lshlrev_b64 v[34:35], v34, v[18:19]
	v_lshrrev_b32_e32 v36, 3, v31
	v_sub_u32_e32 v35, 29, v37
	v_cmp_gt_u32_e64 s[0:1], 8, v31
	v_and_b32_e32 v34, 7, v34
	v_cndmask_b32_e64 v31, v36, v35, s[0:1]
	v_cndmask_b32_e64 v18, v18, v34, s[0:1]
	v_lshlrev_b32_e32 v34, 16, v30
	v_lshl_add_u32 v31, v31, 23, v53
	v_and_or_b32 v31, v34, s7, v31
	v_lshlrev_b32_e32 v18, 20, v18
	v_or_b32_e32 v35, v31, v18
	v_mov_b32_e32 v34, v19
.LBB226_368:                            ;   in Loop: Header=BB226_332 Depth=1
	s_or_b64 exec, exec, s[20:21]
.LBB226_369:                            ;   in Loop: Header=BB226_332 Depth=1
	s_or_b64 exec, exec, s[18:19]
.LBB226_370:                            ;   in Loop: Header=BB226_332 Depth=1
	s_or_b64 exec, exec, s[16:17]
	v_lshrrev_b32_e32 v18, 16, v30
	v_pk_mov_b32 v[38:39], 0, 0
	v_cmp_ne_u16_sdwa s[0:1], v18, v19 src0_sel:BYTE_0 src1_sel:DWORD
	v_pk_mov_b32 v[36:37], v[38:39], v[38:39] op_sel:[0,1]
	s_and_saveexec_b64 s[16:17], s[0:1]
	s_cbranch_execz .LBB226_376
; %bb.371:                              ;   in Loop: Header=BB226_332 Depth=1
	v_bfrev_b32_e32 v36, 1
	v_cmp_ne_u16_sdwa s[0:1], v18, s22 src0_sel:BYTE_0 src1_sel:DWORD
	v_mov_b32_e32 v37, 0
	s_and_saveexec_b64 s[18:19], s[0:1]
	s_cbranch_execz .LBB226_375
; %bb.372:                              ;   in Loop: Header=BB226_332 Depth=1
	v_bfe_u32 v31, v30, 16, 7
	v_mov_b32_e32 v36, 0x7f800001
	v_cmp_ne_u32_e64 s[0:1], s23, v31
	v_mov_b32_e32 v37, 0
	s_and_saveexec_b64 s[20:21], s[0:1]
	s_cbranch_execz .LBB226_374
; %bb.373:                              ;   in Loop: Header=BB226_332 Depth=1
	v_and_b32_e32 v40, 7, v18
	v_ffbh_u32_e32 v36, v40
	v_min_u32_e32 v42, 32, v36
	v_subrev_u32_e32 v36, 28, v42
	v_lshlrev_b64 v[36:37], v36, v[18:19]
	v_lshrrev_b32_e32 v41, 3, v31
	v_sub_u32_e32 v37, 29, v42
	v_and_b32_e32 v36, 7, v36
	v_cmp_gt_u32_e64 s[0:1], 8, v31
	v_cndmask_b32_e64 v31, v41, v37, s[0:1]
	v_cndmask_b32_e64 v36, v40, v36, s[0:1]
	v_lshlrev_b32_e32 v36, 20, v36
	v_and_b32_sdwa v18, sext(v18), s7 dst_sel:DWORD dst_unused:UNUSED_PAD src0_sel:BYTE_0 src1_sel:DWORD
	v_lshl_add_u32 v31, v31, 23, v53
	v_or3_b32 v18, v18, v31, v36
	v_pk_mov_b32 v[36:37], v[18:19], v[18:19] op_sel:[0,1]
.LBB226_374:                            ;   in Loop: Header=BB226_332 Depth=1
	s_or_b64 exec, exec, s[20:21]
.LBB226_375:                            ;   in Loop: Header=BB226_332 Depth=1
	s_or_b64 exec, exec, s[18:19]
.LBB226_376:                            ;   in Loop: Header=BB226_332 Depth=1
	s_or_b64 exec, exec, s[16:17]
	v_cmp_lt_u32_e64 s[0:1], s24, v30
	s_and_saveexec_b64 s[16:17], s[0:1]
	s_cbranch_execz .LBB226_382
; %bb.377:                              ;   in Loop: Header=BB226_332 Depth=1
	v_cmp_ne_u32_sdwa s[0:1], v30, s22 src0_sel:BYTE_3 src1_sel:DWORD
	v_pk_mov_b32 v[38:39], s[6:7], s[6:7] op_sel:[0,1]
	s_and_saveexec_b64 s[18:19], s[0:1]
	s_cbranch_execz .LBB226_381
; %bb.378:                              ;   in Loop: Header=BB226_332 Depth=1
	v_bfe_u32 v31, v30, 24, 7
	s_mov_b32 s14, s6
	v_cmp_ne_u32_e64 s[0:1], s23, v31
	v_pk_mov_b32 v[38:39], s[14:15], s[14:15] op_sel:[0,1]
	s_and_saveexec_b64 s[20:21], s[0:1]
	s_cbranch_execz .LBB226_380
; %bb.379:                              ;   in Loop: Header=BB226_332 Depth=1
	v_and_b32_sdwa v18, v30, v87 dst_sel:DWORD dst_unused:UNUSED_PAD src0_sel:BYTE_3 src1_sel:DWORD
	v_ffbh_u32_e32 v38, v18
	v_min_u32_e32 v41, 32, v38
	v_subrev_u32_e32 v38, 28, v41
	v_lshlrev_b64 v[38:39], v38, v[18:19]
	v_lshrrev_b32_e32 v40, 3, v31
	v_sub_u32_e32 v39, 29, v41
	v_cmp_gt_u32_e64 s[0:1], 8, v31
	v_and_b32_e32 v38, 7, v38
	v_cndmask_b32_e64 v31, v40, v39, s[0:1]
	v_cndmask_b32_e64 v18, v18, v38, s[0:1]
	v_lshlrev_b32_sdwa v30, v88, v30 dst_sel:DWORD dst_unused:UNUSED_PAD src0_sel:DWORD src1_sel:BYTE_3
	v_lshl_add_u32 v31, v31, 23, v53
	v_and_or_b32 v30, v30, s7, v31
	v_lshlrev_b32_e32 v18, 20, v18
	v_or_b32_e32 v39, v30, v18
	v_mov_b32_e32 v38, v19
.LBB226_380:                            ;   in Loop: Header=BB226_332 Depth=1
	s_or_b64 exec, exec, s[20:21]
.LBB226_381:                            ;   in Loop: Header=BB226_332 Depth=1
	s_or_b64 exec, exec, s[18:19]
.LBB226_382:                            ;   in Loop: Header=BB226_332 Depth=1
	s_or_b64 exec, exec, s[16:17]
	v_or_b32_e32 v31, v35, v33
	v_or_b32_e32 v30, v34, v32
	;; [unrolled: 1-line block ×4, first 2 shown]
	v_pk_mul_f32 v[30:31], s[10:11], v[30:31]
	v_pk_mul_f32 v[32:33], s[10:11], v[32:33]
	s_and_saveexec_b64 s[16:17], vcc
; %bb.383:                              ;   in Loop: Header=BB226_332 Depth=1
	v_cmp_gt_i32_e64 s[0:1], s37, v89
	v_cndmask_b32_e64 v30, 0, v30, s[0:1]
	v_cmp_gt_i32_e64 s[0:1], s37, v91
	v_cndmask_b32_e64 v31, 0, v31, s[0:1]
	;; [unrolled: 2-line block ×4, first 2 shown]
; %bb.384:                              ;   in Loop: Header=BB226_332 Depth=1
	s_or_b64 exec, exec, s[16:17]
	global_load_dword v34, v[28:29], off offset:512
	v_pk_mov_b32 v[38:39], 0, 0
	v_pk_mov_b32 v[36:37], v[38:39], v[38:39] op_sel:[0,1]
	s_waitcnt vmcnt(0)
	v_cmp_ne_u16_sdwa s[0:1], v34, v19 src0_sel:BYTE_0 src1_sel:DWORD
	s_and_saveexec_b64 s[16:17], s[0:1]
	s_cbranch_execz .LBB226_390
; %bb.385:                              ;   in Loop: Header=BB226_332 Depth=1
	v_bfrev_b32_e32 v36, 1
	v_cmp_ne_u16_sdwa s[0:1], v34, s22 src0_sel:BYTE_0 src1_sel:DWORD
	v_mov_b32_e32 v37, 0
	s_and_saveexec_b64 s[18:19], s[0:1]
	s_cbranch_execz .LBB226_389
; %bb.386:                              ;   in Loop: Header=BB226_332 Depth=1
	v_and_b32_e32 v18, 0x7f, v34
	v_mov_b32_e32 v36, 0x7f800001
	v_cmp_ne_u32_e64 s[0:1], s23, v18
	v_mov_b32_e32 v37, 0
	s_and_saveexec_b64 s[20:21], s[0:1]
	s_cbranch_execz .LBB226_388
; %bb.387:                              ;   in Loop: Header=BB226_332 Depth=1
	v_and_b32_e32 v35, 7, v34
	v_ffbh_u32_e32 v36, v35
	v_min_u32_e32 v41, 32, v36
	v_subrev_u32_e32 v36, 28, v41
	v_lshlrev_b64 v[36:37], v36, v[34:35]
	v_lshrrev_b32_e32 v40, 3, v18
	v_sub_u32_e32 v37, 29, v41
	v_and_b32_e32 v36, 7, v36
	v_cmp_gt_u32_e64 s[0:1], 8, v18
	v_cndmask_b32_e64 v18, v40, v37, s[0:1]
	v_cndmask_b32_e64 v35, v35, v36, s[0:1]
	v_lshlrev_b32_e32 v35, 20, v35
	v_and_b32_sdwa v36, sext(v34), s7 dst_sel:DWORD dst_unused:UNUSED_PAD src0_sel:BYTE_0 src1_sel:DWORD
	v_lshl_add_u32 v18, v18, 23, v53
	v_or3_b32 v18, v36, v18, v35
	v_pk_mov_b32 v[36:37], v[18:19], v[18:19] op_sel:[0,1]
.LBB226_388:                            ;   in Loop: Header=BB226_332 Depth=1
	s_or_b64 exec, exec, s[20:21]
.LBB226_389:                            ;   in Loop: Header=BB226_332 Depth=1
	s_or_b64 exec, exec, s[18:19]
.LBB226_390:                            ;   in Loop: Header=BB226_332 Depth=1
	s_or_b64 exec, exec, s[16:17]
	v_cmp_ne_u16_sdwa s[0:1], v34, v19 src0_sel:BYTE_1 src1_sel:DWORD
	s_and_saveexec_b64 s[16:17], s[0:1]
	s_cbranch_execz .LBB226_396
; %bb.391:                              ;   in Loop: Header=BB226_332 Depth=1
	v_cmp_ne_u16_sdwa s[0:1], v34, s22 src0_sel:BYTE_1 src1_sel:DWORD
	v_pk_mov_b32 v[38:39], s[6:7], s[6:7] op_sel:[0,1]
	s_and_saveexec_b64 s[18:19], s[0:1]
	s_cbranch_execz .LBB226_395
; %bb.392:                              ;   in Loop: Header=BB226_332 Depth=1
	v_and_b32_sdwa v35, v34, s23 dst_sel:DWORD dst_unused:UNUSED_PAD src0_sel:BYTE_1 src1_sel:DWORD
	s_mov_b32 s14, s6
	v_cmp_ne_u32_e64 s[0:1], s23, v35
	v_pk_mov_b32 v[38:39], s[14:15], s[14:15] op_sel:[0,1]
	s_and_saveexec_b64 s[20:21], s[0:1]
	s_cbranch_execz .LBB226_394
; %bb.393:                              ;   in Loop: Header=BB226_332 Depth=1
	v_and_b32_sdwa v18, v34, v87 dst_sel:DWORD dst_unused:UNUSED_PAD src0_sel:BYTE_1 src1_sel:DWORD
	v_ffbh_u32_e32 v38, v18
	v_min_u32_e32 v41, 32, v38
	v_subrev_u32_e32 v38, 28, v41
	v_lshlrev_b64 v[38:39], v38, v[18:19]
	v_lshrrev_b32_e32 v40, 3, v35
	v_sub_u32_e32 v39, 29, v41
	v_cmp_gt_u32_e64 s[0:1], 8, v35
	v_and_b32_e32 v38, 7, v38
	v_cndmask_b32_e64 v35, v40, v39, s[0:1]
	v_cndmask_b32_e64 v18, v18, v38, s[0:1]
	v_lshlrev_b32_e32 v38, 16, v34
	v_lshl_add_u32 v35, v35, 23, v53
	v_and_or_b32 v35, v38, s7, v35
	v_lshlrev_b32_e32 v18, 20, v18
	v_or_b32_e32 v39, v35, v18
	v_mov_b32_e32 v38, v19
.LBB226_394:                            ;   in Loop: Header=BB226_332 Depth=1
	s_or_b64 exec, exec, s[20:21]
.LBB226_395:                            ;   in Loop: Header=BB226_332 Depth=1
	s_or_b64 exec, exec, s[18:19]
.LBB226_396:                            ;   in Loop: Header=BB226_332 Depth=1
	s_or_b64 exec, exec, s[16:17]
	v_lshrrev_b32_e32 v18, 16, v34
	v_pk_mov_b32 v[42:43], 0, 0
	v_cmp_ne_u16_sdwa s[0:1], v18, v19 src0_sel:BYTE_0 src1_sel:DWORD
	v_pk_mov_b32 v[40:41], v[42:43], v[42:43] op_sel:[0,1]
	s_and_saveexec_b64 s[16:17], s[0:1]
	s_cbranch_execz .LBB226_402
; %bb.397:                              ;   in Loop: Header=BB226_332 Depth=1
	v_bfrev_b32_e32 v40, 1
	v_cmp_ne_u16_sdwa s[0:1], v18, s22 src0_sel:BYTE_0 src1_sel:DWORD
	v_mov_b32_e32 v41, 0
	s_and_saveexec_b64 s[18:19], s[0:1]
	s_cbranch_execz .LBB226_401
; %bb.398:                              ;   in Loop: Header=BB226_332 Depth=1
	v_bfe_u32 v35, v34, 16, 7
	v_mov_b32_e32 v40, 0x7f800001
	v_cmp_ne_u32_e64 s[0:1], s23, v35
	v_mov_b32_e32 v41, 0
	s_and_saveexec_b64 s[20:21], s[0:1]
	s_cbranch_execz .LBB226_400
; %bb.399:                              ;   in Loop: Header=BB226_332 Depth=1
	v_and_b32_e32 v44, 7, v18
	v_ffbh_u32_e32 v40, v44
	v_min_u32_e32 v46, 32, v40
	v_subrev_u32_e32 v40, 28, v46
	v_lshlrev_b64 v[40:41], v40, v[18:19]
	v_lshrrev_b32_e32 v45, 3, v35
	v_sub_u32_e32 v41, 29, v46
	v_and_b32_e32 v40, 7, v40
	v_cmp_gt_u32_e64 s[0:1], 8, v35
	v_cndmask_b32_e64 v35, v45, v41, s[0:1]
	v_cndmask_b32_e64 v40, v44, v40, s[0:1]
	v_lshlrev_b32_e32 v40, 20, v40
	v_and_b32_sdwa v18, sext(v18), s7 dst_sel:DWORD dst_unused:UNUSED_PAD src0_sel:BYTE_0 src1_sel:DWORD
	v_lshl_add_u32 v35, v35, 23, v53
	v_or3_b32 v18, v18, v35, v40
	v_pk_mov_b32 v[40:41], v[18:19], v[18:19] op_sel:[0,1]
.LBB226_400:                            ;   in Loop: Header=BB226_332 Depth=1
	s_or_b64 exec, exec, s[20:21]
.LBB226_401:                            ;   in Loop: Header=BB226_332 Depth=1
	s_or_b64 exec, exec, s[18:19]
.LBB226_402:                            ;   in Loop: Header=BB226_332 Depth=1
	s_or_b64 exec, exec, s[16:17]
	v_cmp_lt_u32_e64 s[0:1], s24, v34
	s_and_saveexec_b64 s[16:17], s[0:1]
	s_cbranch_execz .LBB226_408
; %bb.403:                              ;   in Loop: Header=BB226_332 Depth=1
	v_cmp_ne_u32_sdwa s[0:1], v34, s22 src0_sel:BYTE_3 src1_sel:DWORD
	v_pk_mov_b32 v[42:43], s[6:7], s[6:7] op_sel:[0,1]
	s_and_saveexec_b64 s[18:19], s[0:1]
	s_cbranch_execz .LBB226_407
; %bb.404:                              ;   in Loop: Header=BB226_332 Depth=1
	v_bfe_u32 v35, v34, 24, 7
	s_mov_b32 s14, s6
	v_cmp_ne_u32_e64 s[0:1], s23, v35
	v_pk_mov_b32 v[42:43], s[14:15], s[14:15] op_sel:[0,1]
	s_and_saveexec_b64 s[20:21], s[0:1]
	s_cbranch_execz .LBB226_406
; %bb.405:                              ;   in Loop: Header=BB226_332 Depth=1
	v_and_b32_sdwa v18, v34, v87 dst_sel:DWORD dst_unused:UNUSED_PAD src0_sel:BYTE_3 src1_sel:DWORD
	v_ffbh_u32_e32 v42, v18
	v_min_u32_e32 v45, 32, v42
	v_subrev_u32_e32 v42, 28, v45
	v_lshlrev_b64 v[42:43], v42, v[18:19]
	v_lshrrev_b32_e32 v44, 3, v35
	v_sub_u32_e32 v43, 29, v45
	v_cmp_gt_u32_e64 s[0:1], 8, v35
	v_and_b32_e32 v42, 7, v42
	v_cndmask_b32_e64 v35, v44, v43, s[0:1]
	v_cndmask_b32_e64 v18, v18, v42, s[0:1]
	v_lshlrev_b32_sdwa v34, v88, v34 dst_sel:DWORD dst_unused:UNUSED_PAD src0_sel:DWORD src1_sel:BYTE_3
	v_lshl_add_u32 v35, v35, 23, v53
	v_and_or_b32 v34, v34, s7, v35
	v_lshlrev_b32_e32 v18, 20, v18
	v_or_b32_e32 v43, v34, v18
	v_mov_b32_e32 v42, v19
.LBB226_406:                            ;   in Loop: Header=BB226_332 Depth=1
	s_or_b64 exec, exec, s[20:21]
.LBB226_407:                            ;   in Loop: Header=BB226_332 Depth=1
	s_or_b64 exec, exec, s[18:19]
.LBB226_408:                            ;   in Loop: Header=BB226_332 Depth=1
	s_or_b64 exec, exec, s[16:17]
	v_or_b32_e32 v35, v39, v37
	v_or_b32_e32 v34, v38, v36
	;; [unrolled: 1-line block ×4, first 2 shown]
	v_pk_mul_f32 v[34:35], s[10:11], v[34:35]
	v_pk_mul_f32 v[36:37], s[10:11], v[36:37]
	s_and_saveexec_b64 s[16:17], vcc
; %bb.409:                              ;   in Loop: Header=BB226_332 Depth=1
	v_cmp_gt_i32_e64 s[0:1], s37, v89
	v_cndmask_b32_e64 v34, 0, v34, s[0:1]
	v_cmp_gt_i32_e64 s[0:1], s37, v91
	v_cndmask_b32_e64 v35, 0, v35, s[0:1]
	;; [unrolled: 2-line block ×4, first 2 shown]
; %bb.410:                              ;   in Loop: Header=BB226_332 Depth=1
	s_or_b64 exec, exec, s[16:17]
	global_load_dword v38, v[28:29], off offset:768
	v_pk_mov_b32 v[42:43], 0, 0
	v_pk_mov_b32 v[40:41], v[42:43], v[42:43] op_sel:[0,1]
	s_waitcnt vmcnt(0)
	v_cmp_ne_u16_sdwa s[0:1], v38, v19 src0_sel:BYTE_0 src1_sel:DWORD
	s_and_saveexec_b64 s[16:17], s[0:1]
	s_cbranch_execz .LBB226_416
; %bb.411:                              ;   in Loop: Header=BB226_332 Depth=1
	v_bfrev_b32_e32 v40, 1
	v_cmp_ne_u16_sdwa s[0:1], v38, s22 src0_sel:BYTE_0 src1_sel:DWORD
	v_mov_b32_e32 v41, 0
	s_and_saveexec_b64 s[18:19], s[0:1]
	s_cbranch_execz .LBB226_415
; %bb.412:                              ;   in Loop: Header=BB226_332 Depth=1
	v_and_b32_e32 v18, 0x7f, v38
	v_mov_b32_e32 v40, 0x7f800001
	v_cmp_ne_u32_e64 s[0:1], s23, v18
	v_mov_b32_e32 v41, 0
	s_and_saveexec_b64 s[20:21], s[0:1]
	s_cbranch_execz .LBB226_414
; %bb.413:                              ;   in Loop: Header=BB226_332 Depth=1
	v_and_b32_e32 v39, 7, v38
	v_ffbh_u32_e32 v40, v39
	v_min_u32_e32 v45, 32, v40
	v_subrev_u32_e32 v40, 28, v45
	v_lshlrev_b64 v[40:41], v40, v[38:39]
	v_lshrrev_b32_e32 v44, 3, v18
	v_sub_u32_e32 v41, 29, v45
	v_and_b32_e32 v40, 7, v40
	v_cmp_gt_u32_e64 s[0:1], 8, v18
	v_cndmask_b32_e64 v18, v44, v41, s[0:1]
	v_cndmask_b32_e64 v39, v39, v40, s[0:1]
	v_lshlrev_b32_e32 v39, 20, v39
	v_and_b32_sdwa v40, sext(v38), s7 dst_sel:DWORD dst_unused:UNUSED_PAD src0_sel:BYTE_0 src1_sel:DWORD
	v_lshl_add_u32 v18, v18, 23, v53
	v_or3_b32 v18, v40, v18, v39
	v_pk_mov_b32 v[40:41], v[18:19], v[18:19] op_sel:[0,1]
.LBB226_414:                            ;   in Loop: Header=BB226_332 Depth=1
	s_or_b64 exec, exec, s[20:21]
.LBB226_415:                            ;   in Loop: Header=BB226_332 Depth=1
	s_or_b64 exec, exec, s[18:19]
.LBB226_416:                            ;   in Loop: Header=BB226_332 Depth=1
	s_or_b64 exec, exec, s[16:17]
	v_cmp_ne_u16_sdwa s[0:1], v38, v19 src0_sel:BYTE_1 src1_sel:DWORD
	s_and_saveexec_b64 s[16:17], s[0:1]
	s_cbranch_execz .LBB226_422
; %bb.417:                              ;   in Loop: Header=BB226_332 Depth=1
	v_cmp_ne_u16_sdwa s[0:1], v38, s22 src0_sel:BYTE_1 src1_sel:DWORD
	v_pk_mov_b32 v[42:43], s[6:7], s[6:7] op_sel:[0,1]
	s_and_saveexec_b64 s[18:19], s[0:1]
	s_cbranch_execz .LBB226_421
; %bb.418:                              ;   in Loop: Header=BB226_332 Depth=1
	v_and_b32_sdwa v39, v38, s23 dst_sel:DWORD dst_unused:UNUSED_PAD src0_sel:BYTE_1 src1_sel:DWORD
	s_mov_b32 s14, s6
	v_cmp_ne_u32_e64 s[0:1], s23, v39
	v_pk_mov_b32 v[42:43], s[14:15], s[14:15] op_sel:[0,1]
	s_and_saveexec_b64 s[20:21], s[0:1]
	s_cbranch_execz .LBB226_420
; %bb.419:                              ;   in Loop: Header=BB226_332 Depth=1
	v_and_b32_sdwa v18, v38, v87 dst_sel:DWORD dst_unused:UNUSED_PAD src0_sel:BYTE_1 src1_sel:DWORD
	v_ffbh_u32_e32 v42, v18
	v_min_u32_e32 v45, 32, v42
	v_subrev_u32_e32 v42, 28, v45
	v_lshlrev_b64 v[42:43], v42, v[18:19]
	v_lshrrev_b32_e32 v44, 3, v39
	v_sub_u32_e32 v43, 29, v45
	v_cmp_gt_u32_e64 s[0:1], 8, v39
	v_and_b32_e32 v42, 7, v42
	v_cndmask_b32_e64 v39, v44, v43, s[0:1]
	v_cndmask_b32_e64 v18, v18, v42, s[0:1]
	v_lshlrev_b32_e32 v42, 16, v38
	v_lshl_add_u32 v39, v39, 23, v53
	v_and_or_b32 v39, v42, s7, v39
	v_lshlrev_b32_e32 v18, 20, v18
	v_or_b32_e32 v43, v39, v18
	v_mov_b32_e32 v42, v19
.LBB226_420:                            ;   in Loop: Header=BB226_332 Depth=1
	s_or_b64 exec, exec, s[20:21]
.LBB226_421:                            ;   in Loop: Header=BB226_332 Depth=1
	s_or_b64 exec, exec, s[18:19]
.LBB226_422:                            ;   in Loop: Header=BB226_332 Depth=1
	s_or_b64 exec, exec, s[16:17]
	v_lshrrev_b32_e32 v18, 16, v38
	v_pk_mov_b32 v[46:47], 0, 0
	v_cmp_ne_u16_sdwa s[0:1], v18, v19 src0_sel:BYTE_0 src1_sel:DWORD
	v_pk_mov_b32 v[44:45], v[46:47], v[46:47] op_sel:[0,1]
	s_and_saveexec_b64 s[16:17], s[0:1]
	s_cbranch_execz .LBB226_428
; %bb.423:                              ;   in Loop: Header=BB226_332 Depth=1
	v_bfrev_b32_e32 v44, 1
	v_cmp_ne_u16_sdwa s[0:1], v18, s22 src0_sel:BYTE_0 src1_sel:DWORD
	v_mov_b32_e32 v45, 0
	s_and_saveexec_b64 s[18:19], s[0:1]
	s_cbranch_execz .LBB226_427
; %bb.424:                              ;   in Loop: Header=BB226_332 Depth=1
	v_bfe_u32 v39, v38, 16, 7
	v_mov_b32_e32 v44, 0x7f800001
	v_cmp_ne_u32_e64 s[0:1], s23, v39
	v_mov_b32_e32 v45, 0
	s_and_saveexec_b64 s[20:21], s[0:1]
	s_cbranch_execz .LBB226_426
; %bb.425:                              ;   in Loop: Header=BB226_332 Depth=1
	v_and_b32_e32 v48, 7, v18
	v_ffbh_u32_e32 v44, v48
	v_min_u32_e32 v54, 32, v44
	v_subrev_u32_e32 v44, 28, v54
	v_lshlrev_b64 v[44:45], v44, v[18:19]
	v_lshrrev_b32_e32 v49, 3, v39
	v_sub_u32_e32 v45, 29, v54
	v_and_b32_e32 v44, 7, v44
	v_cmp_gt_u32_e64 s[0:1], 8, v39
	v_cndmask_b32_e64 v39, v49, v45, s[0:1]
	v_cndmask_b32_e64 v44, v48, v44, s[0:1]
	v_lshlrev_b32_e32 v44, 20, v44
	v_and_b32_sdwa v18, sext(v18), s7 dst_sel:DWORD dst_unused:UNUSED_PAD src0_sel:BYTE_0 src1_sel:DWORD
	v_lshl_add_u32 v39, v39, 23, v53
	v_or3_b32 v18, v18, v39, v44
	v_pk_mov_b32 v[44:45], v[18:19], v[18:19] op_sel:[0,1]
.LBB226_426:                            ;   in Loop: Header=BB226_332 Depth=1
	s_or_b64 exec, exec, s[20:21]
.LBB226_427:                            ;   in Loop: Header=BB226_332 Depth=1
	s_or_b64 exec, exec, s[18:19]
.LBB226_428:                            ;   in Loop: Header=BB226_332 Depth=1
	s_or_b64 exec, exec, s[16:17]
	v_cmp_lt_u32_e64 s[0:1], s24, v38
	s_and_saveexec_b64 s[16:17], s[0:1]
	s_cbranch_execz .LBB226_434
; %bb.429:                              ;   in Loop: Header=BB226_332 Depth=1
	v_cmp_ne_u32_sdwa s[0:1], v38, s22 src0_sel:BYTE_3 src1_sel:DWORD
	v_pk_mov_b32 v[46:47], s[6:7], s[6:7] op_sel:[0,1]
	s_and_saveexec_b64 s[18:19], s[0:1]
	s_cbranch_execz .LBB226_433
; %bb.430:                              ;   in Loop: Header=BB226_332 Depth=1
	v_bfe_u32 v39, v38, 24, 7
	s_mov_b32 s14, s6
	v_cmp_ne_u32_e64 s[0:1], s23, v39
	v_pk_mov_b32 v[46:47], s[14:15], s[14:15] op_sel:[0,1]
	s_and_saveexec_b64 s[20:21], s[0:1]
	s_cbranch_execz .LBB226_432
; %bb.431:                              ;   in Loop: Header=BB226_332 Depth=1
	v_and_b32_sdwa v18, v38, v87 dst_sel:DWORD dst_unused:UNUSED_PAD src0_sel:BYTE_3 src1_sel:DWORD
	v_ffbh_u32_e32 v46, v18
	v_min_u32_e32 v49, 32, v46
	v_subrev_u32_e32 v46, 28, v49
	v_lshlrev_b64 v[46:47], v46, v[18:19]
	v_lshrrev_b32_e32 v48, 3, v39
	v_sub_u32_e32 v47, 29, v49
	v_cmp_gt_u32_e64 s[0:1], 8, v39
	v_and_b32_e32 v46, 7, v46
	v_cndmask_b32_e64 v39, v48, v47, s[0:1]
	v_cndmask_b32_e64 v18, v18, v46, s[0:1]
	v_lshlrev_b32_sdwa v38, v88, v38 dst_sel:DWORD dst_unused:UNUSED_PAD src0_sel:DWORD src1_sel:BYTE_3
	v_lshl_add_u32 v39, v39, 23, v53
	v_and_or_b32 v38, v38, s7, v39
	v_lshlrev_b32_e32 v18, 20, v18
	v_or_b32_e32 v47, v38, v18
	v_mov_b32_e32 v46, v19
.LBB226_432:                            ;   in Loop: Header=BB226_332 Depth=1
	s_or_b64 exec, exec, s[20:21]
.LBB226_433:                            ;   in Loop: Header=BB226_332 Depth=1
	s_or_b64 exec, exec, s[18:19]
.LBB226_434:                            ;   in Loop: Header=BB226_332 Depth=1
	s_or_b64 exec, exec, s[16:17]
	v_or_b32_e32 v39, v43, v41
	v_or_b32_e32 v38, v42, v40
	;; [unrolled: 1-line block ×4, first 2 shown]
	v_pk_mul_f32 v[38:39], s[10:11], v[38:39]
	v_pk_mul_f32 v[40:41], s[10:11], v[40:41]
	s_and_saveexec_b64 s[16:17], vcc
; %bb.435:                              ;   in Loop: Header=BB226_332 Depth=1
	v_cmp_gt_i32_e64 s[0:1], s37, v89
	v_cndmask_b32_e64 v38, 0, v38, s[0:1]
	v_cmp_gt_i32_e64 s[0:1], s37, v91
	v_cndmask_b32_e64 v39, 0, v39, s[0:1]
	;; [unrolled: 2-line block ×4, first 2 shown]
; %bb.436:                              ;   in Loop: Header=BB226_332 Depth=1
	s_or_b64 exec, exec, s[16:17]
	global_load_dword v42, v[28:29], off offset:1024
	v_pk_mov_b32 v[46:47], 0, 0
	v_pk_mov_b32 v[44:45], v[46:47], v[46:47] op_sel:[0,1]
	s_waitcnt vmcnt(0)
	v_cmp_ne_u16_sdwa s[0:1], v42, v19 src0_sel:BYTE_0 src1_sel:DWORD
	s_and_saveexec_b64 s[16:17], s[0:1]
	s_cbranch_execz .LBB226_442
; %bb.437:                              ;   in Loop: Header=BB226_332 Depth=1
	v_bfrev_b32_e32 v44, 1
	v_cmp_ne_u16_sdwa s[0:1], v42, s22 src0_sel:BYTE_0 src1_sel:DWORD
	v_mov_b32_e32 v45, 0
	s_and_saveexec_b64 s[18:19], s[0:1]
	s_cbranch_execz .LBB226_441
; %bb.438:                              ;   in Loop: Header=BB226_332 Depth=1
	v_and_b32_e32 v18, 0x7f, v42
	v_mov_b32_e32 v44, 0x7f800001
	v_cmp_ne_u32_e64 s[0:1], s23, v18
	v_mov_b32_e32 v45, 0
	s_and_saveexec_b64 s[20:21], s[0:1]
	s_cbranch_execz .LBB226_440
; %bb.439:                              ;   in Loop: Header=BB226_332 Depth=1
	v_and_b32_e32 v43, 7, v42
	v_ffbh_u32_e32 v44, v43
	v_min_u32_e32 v49, 32, v44
	v_subrev_u32_e32 v44, 28, v49
	v_lshlrev_b64 v[44:45], v44, v[42:43]
	v_lshrrev_b32_e32 v48, 3, v18
	v_sub_u32_e32 v45, 29, v49
	v_and_b32_e32 v44, 7, v44
	v_cmp_gt_u32_e64 s[0:1], 8, v18
	v_cndmask_b32_e64 v18, v48, v45, s[0:1]
	v_cndmask_b32_e64 v43, v43, v44, s[0:1]
	v_lshlrev_b32_e32 v43, 20, v43
	v_and_b32_sdwa v44, sext(v42), s7 dst_sel:DWORD dst_unused:UNUSED_PAD src0_sel:BYTE_0 src1_sel:DWORD
	v_lshl_add_u32 v18, v18, 23, v53
	v_or3_b32 v18, v44, v18, v43
	v_pk_mov_b32 v[44:45], v[18:19], v[18:19] op_sel:[0,1]
.LBB226_440:                            ;   in Loop: Header=BB226_332 Depth=1
	s_or_b64 exec, exec, s[20:21]
.LBB226_441:                            ;   in Loop: Header=BB226_332 Depth=1
	s_or_b64 exec, exec, s[18:19]
.LBB226_442:                            ;   in Loop: Header=BB226_332 Depth=1
	s_or_b64 exec, exec, s[16:17]
	v_cmp_ne_u16_sdwa s[0:1], v42, v19 src0_sel:BYTE_1 src1_sel:DWORD
	s_and_saveexec_b64 s[16:17], s[0:1]
	s_cbranch_execz .LBB226_448
; %bb.443:                              ;   in Loop: Header=BB226_332 Depth=1
	v_cmp_ne_u16_sdwa s[0:1], v42, s22 src0_sel:BYTE_1 src1_sel:DWORD
	v_pk_mov_b32 v[46:47], s[6:7], s[6:7] op_sel:[0,1]
	s_and_saveexec_b64 s[18:19], s[0:1]
	s_cbranch_execz .LBB226_447
; %bb.444:                              ;   in Loop: Header=BB226_332 Depth=1
	v_and_b32_sdwa v43, v42, s23 dst_sel:DWORD dst_unused:UNUSED_PAD src0_sel:BYTE_1 src1_sel:DWORD
	s_mov_b32 s14, s6
	v_cmp_ne_u32_e64 s[0:1], s23, v43
	v_pk_mov_b32 v[46:47], s[14:15], s[14:15] op_sel:[0,1]
	s_and_saveexec_b64 s[20:21], s[0:1]
	s_cbranch_execz .LBB226_446
; %bb.445:                              ;   in Loop: Header=BB226_332 Depth=1
	v_and_b32_sdwa v18, v42, v87 dst_sel:DWORD dst_unused:UNUSED_PAD src0_sel:BYTE_1 src1_sel:DWORD
	v_ffbh_u32_e32 v46, v18
	v_min_u32_e32 v49, 32, v46
	v_subrev_u32_e32 v46, 28, v49
	v_lshlrev_b64 v[46:47], v46, v[18:19]
	v_lshrrev_b32_e32 v48, 3, v43
	v_sub_u32_e32 v47, 29, v49
	v_cmp_gt_u32_e64 s[0:1], 8, v43
	v_and_b32_e32 v46, 7, v46
	v_cndmask_b32_e64 v43, v48, v47, s[0:1]
	v_cndmask_b32_e64 v18, v18, v46, s[0:1]
	v_lshlrev_b32_e32 v46, 16, v42
	v_lshl_add_u32 v43, v43, 23, v53
	v_and_or_b32 v43, v46, s7, v43
	v_lshlrev_b32_e32 v18, 20, v18
	v_or_b32_e32 v47, v43, v18
	v_mov_b32_e32 v46, v19
.LBB226_446:                            ;   in Loop: Header=BB226_332 Depth=1
	s_or_b64 exec, exec, s[20:21]
.LBB226_447:                            ;   in Loop: Header=BB226_332 Depth=1
	s_or_b64 exec, exec, s[18:19]
.LBB226_448:                            ;   in Loop: Header=BB226_332 Depth=1
	s_or_b64 exec, exec, s[16:17]
	v_lshrrev_b32_e32 v18, 16, v42
	v_pk_mov_b32 v[54:55], 0, 0
	v_cmp_ne_u16_sdwa s[0:1], v18, v19 src0_sel:BYTE_0 src1_sel:DWORD
	v_pk_mov_b32 v[48:49], v[54:55], v[54:55] op_sel:[0,1]
	s_and_saveexec_b64 s[16:17], s[0:1]
	s_cbranch_execz .LBB226_454
; %bb.449:                              ;   in Loop: Header=BB226_332 Depth=1
	v_bfrev_b32_e32 v48, 1
	v_cmp_ne_u16_sdwa s[0:1], v18, s22 src0_sel:BYTE_0 src1_sel:DWORD
	v_mov_b32_e32 v49, 0
	s_and_saveexec_b64 s[18:19], s[0:1]
	s_cbranch_execz .LBB226_453
; %bb.450:                              ;   in Loop: Header=BB226_332 Depth=1
	v_bfe_u32 v43, v42, 16, 7
	v_mov_b32_e32 v48, 0x7f800001
	v_cmp_ne_u32_e64 s[0:1], s23, v43
	v_mov_b32_e32 v49, 0
	s_and_saveexec_b64 s[20:21], s[0:1]
	s_cbranch_execz .LBB226_452
; %bb.451:                              ;   in Loop: Header=BB226_332 Depth=1
	v_and_b32_e32 v56, 7, v18
	v_ffbh_u32_e32 v48, v56
	v_min_u32_e32 v58, 32, v48
	v_subrev_u32_e32 v48, 28, v58
	v_lshlrev_b64 v[48:49], v48, v[18:19]
	v_lshrrev_b32_e32 v57, 3, v43
	v_sub_u32_e32 v49, 29, v58
	v_and_b32_e32 v48, 7, v48
	v_cmp_gt_u32_e64 s[0:1], 8, v43
	v_cndmask_b32_e64 v43, v57, v49, s[0:1]
	v_cndmask_b32_e64 v48, v56, v48, s[0:1]
	v_lshlrev_b32_e32 v48, 20, v48
	v_and_b32_sdwa v18, sext(v18), s7 dst_sel:DWORD dst_unused:UNUSED_PAD src0_sel:BYTE_0 src1_sel:DWORD
	v_lshl_add_u32 v43, v43, 23, v53
	v_or3_b32 v18, v18, v43, v48
	v_pk_mov_b32 v[48:49], v[18:19], v[18:19] op_sel:[0,1]
.LBB226_452:                            ;   in Loop: Header=BB226_332 Depth=1
	s_or_b64 exec, exec, s[20:21]
.LBB226_453:                            ;   in Loop: Header=BB226_332 Depth=1
	s_or_b64 exec, exec, s[18:19]
.LBB226_454:                            ;   in Loop: Header=BB226_332 Depth=1
	s_or_b64 exec, exec, s[16:17]
	v_cmp_lt_u32_e64 s[0:1], s24, v42
	s_and_saveexec_b64 s[16:17], s[0:1]
	s_cbranch_execz .LBB226_460
; %bb.455:                              ;   in Loop: Header=BB226_332 Depth=1
	v_cmp_ne_u32_sdwa s[0:1], v42, s22 src0_sel:BYTE_3 src1_sel:DWORD
	v_pk_mov_b32 v[54:55], s[6:7], s[6:7] op_sel:[0,1]
	s_and_saveexec_b64 s[18:19], s[0:1]
	s_cbranch_execz .LBB226_459
; %bb.456:                              ;   in Loop: Header=BB226_332 Depth=1
	v_bfe_u32 v43, v42, 24, 7
	s_mov_b32 s14, s6
	v_cmp_ne_u32_e64 s[0:1], s23, v43
	v_pk_mov_b32 v[54:55], s[14:15], s[14:15] op_sel:[0,1]
	s_and_saveexec_b64 s[20:21], s[0:1]
	s_cbranch_execz .LBB226_458
; %bb.457:                              ;   in Loop: Header=BB226_332 Depth=1
	v_and_b32_sdwa v18, v42, v87 dst_sel:DWORD dst_unused:UNUSED_PAD src0_sel:BYTE_3 src1_sel:DWORD
	v_ffbh_u32_e32 v54, v18
	v_min_u32_e32 v57, 32, v54
	v_subrev_u32_e32 v54, 28, v57
	v_lshlrev_b64 v[54:55], v54, v[18:19]
	v_lshrrev_b32_e32 v56, 3, v43
	v_sub_u32_e32 v55, 29, v57
	v_cmp_gt_u32_e64 s[0:1], 8, v43
	v_and_b32_e32 v54, 7, v54
	v_cndmask_b32_e64 v43, v56, v55, s[0:1]
	v_cndmask_b32_e64 v18, v18, v54, s[0:1]
	v_lshlrev_b32_sdwa v42, v88, v42 dst_sel:DWORD dst_unused:UNUSED_PAD src0_sel:DWORD src1_sel:BYTE_3
	v_lshl_add_u32 v43, v43, 23, v53
	v_and_or_b32 v42, v42, s7, v43
	v_lshlrev_b32_e32 v18, 20, v18
	v_or_b32_e32 v55, v42, v18
	v_mov_b32_e32 v54, v19
.LBB226_458:                            ;   in Loop: Header=BB226_332 Depth=1
	s_or_b64 exec, exec, s[20:21]
.LBB226_459:                            ;   in Loop: Header=BB226_332 Depth=1
	s_or_b64 exec, exec, s[18:19]
.LBB226_460:                            ;   in Loop: Header=BB226_332 Depth=1
	s_or_b64 exec, exec, s[16:17]
	v_or_b32_e32 v43, v47, v45
	v_or_b32_e32 v42, v46, v44
	;; [unrolled: 1-line block ×4, first 2 shown]
	v_pk_mul_f32 v[42:43], s[10:11], v[42:43]
	v_pk_mul_f32 v[44:45], s[10:11], v[44:45]
	s_and_saveexec_b64 s[16:17], vcc
; %bb.461:                              ;   in Loop: Header=BB226_332 Depth=1
	v_cmp_gt_i32_e64 s[0:1], s37, v89
	v_cndmask_b32_e64 v42, 0, v42, s[0:1]
	v_cmp_gt_i32_e64 s[0:1], s37, v91
	v_cndmask_b32_e64 v43, 0, v43, s[0:1]
	;; [unrolled: 2-line block ×4, first 2 shown]
; %bb.462:                              ;   in Loop: Header=BB226_332 Depth=1
	s_or_b64 exec, exec, s[16:17]
	global_load_dword v46, v[28:29], off offset:1280
	v_pk_mov_b32 v[54:55], 0, 0
	v_pk_mov_b32 v[48:49], v[54:55], v[54:55] op_sel:[0,1]
	s_waitcnt vmcnt(0)
	v_cmp_ne_u16_sdwa s[0:1], v46, v19 src0_sel:BYTE_0 src1_sel:DWORD
	s_and_saveexec_b64 s[16:17], s[0:1]
	s_cbranch_execz .LBB226_468
; %bb.463:                              ;   in Loop: Header=BB226_332 Depth=1
	v_bfrev_b32_e32 v48, 1
	v_cmp_ne_u16_sdwa s[0:1], v46, s22 src0_sel:BYTE_0 src1_sel:DWORD
	v_mov_b32_e32 v49, 0
	s_and_saveexec_b64 s[18:19], s[0:1]
	s_cbranch_execz .LBB226_467
; %bb.464:                              ;   in Loop: Header=BB226_332 Depth=1
	v_and_b32_e32 v18, 0x7f, v46
	v_mov_b32_e32 v48, 0x7f800001
	v_cmp_ne_u32_e64 s[0:1], s23, v18
	v_mov_b32_e32 v49, 0
	s_and_saveexec_b64 s[20:21], s[0:1]
	s_cbranch_execz .LBB226_466
; %bb.465:                              ;   in Loop: Header=BB226_332 Depth=1
	v_and_b32_e32 v47, 7, v46
	v_ffbh_u32_e32 v48, v47
	v_min_u32_e32 v57, 32, v48
	v_subrev_u32_e32 v48, 28, v57
	v_lshlrev_b64 v[48:49], v48, v[46:47]
	v_lshrrev_b32_e32 v56, 3, v18
	v_sub_u32_e32 v49, 29, v57
	v_and_b32_e32 v48, 7, v48
	v_cmp_gt_u32_e64 s[0:1], 8, v18
	v_cndmask_b32_e64 v18, v56, v49, s[0:1]
	v_cndmask_b32_e64 v47, v47, v48, s[0:1]
	v_lshlrev_b32_e32 v47, 20, v47
	v_and_b32_sdwa v48, sext(v46), s7 dst_sel:DWORD dst_unused:UNUSED_PAD src0_sel:BYTE_0 src1_sel:DWORD
	v_lshl_add_u32 v18, v18, 23, v53
	v_or3_b32 v18, v48, v18, v47
	v_pk_mov_b32 v[48:49], v[18:19], v[18:19] op_sel:[0,1]
.LBB226_466:                            ;   in Loop: Header=BB226_332 Depth=1
	s_or_b64 exec, exec, s[20:21]
.LBB226_467:                            ;   in Loop: Header=BB226_332 Depth=1
	s_or_b64 exec, exec, s[18:19]
.LBB226_468:                            ;   in Loop: Header=BB226_332 Depth=1
	s_or_b64 exec, exec, s[16:17]
	v_cmp_ne_u16_sdwa s[0:1], v46, v19 src0_sel:BYTE_1 src1_sel:DWORD
	s_and_saveexec_b64 s[16:17], s[0:1]
	s_cbranch_execz .LBB226_474
; %bb.469:                              ;   in Loop: Header=BB226_332 Depth=1
	v_cmp_ne_u16_sdwa s[0:1], v46, s22 src0_sel:BYTE_1 src1_sel:DWORD
	v_pk_mov_b32 v[54:55], s[6:7], s[6:7] op_sel:[0,1]
	s_and_saveexec_b64 s[18:19], s[0:1]
	s_cbranch_execz .LBB226_473
; %bb.470:                              ;   in Loop: Header=BB226_332 Depth=1
	v_and_b32_sdwa v47, v46, s23 dst_sel:DWORD dst_unused:UNUSED_PAD src0_sel:BYTE_1 src1_sel:DWORD
	s_mov_b32 s14, s6
	v_cmp_ne_u32_e64 s[0:1], s23, v47
	v_pk_mov_b32 v[54:55], s[14:15], s[14:15] op_sel:[0,1]
	s_and_saveexec_b64 s[20:21], s[0:1]
	s_cbranch_execz .LBB226_472
; %bb.471:                              ;   in Loop: Header=BB226_332 Depth=1
	v_and_b32_sdwa v18, v46, v87 dst_sel:DWORD dst_unused:UNUSED_PAD src0_sel:BYTE_1 src1_sel:DWORD
	v_ffbh_u32_e32 v54, v18
	v_min_u32_e32 v57, 32, v54
	v_subrev_u32_e32 v54, 28, v57
	v_lshlrev_b64 v[54:55], v54, v[18:19]
	v_lshrrev_b32_e32 v56, 3, v47
	v_sub_u32_e32 v55, 29, v57
	v_cmp_gt_u32_e64 s[0:1], 8, v47
	v_and_b32_e32 v54, 7, v54
	v_cndmask_b32_e64 v47, v56, v55, s[0:1]
	v_cndmask_b32_e64 v18, v18, v54, s[0:1]
	v_lshlrev_b32_e32 v54, 16, v46
	v_lshl_add_u32 v47, v47, 23, v53
	v_and_or_b32 v47, v54, s7, v47
	v_lshlrev_b32_e32 v18, 20, v18
	v_or_b32_e32 v55, v47, v18
	v_mov_b32_e32 v54, v19
.LBB226_472:                            ;   in Loop: Header=BB226_332 Depth=1
	s_or_b64 exec, exec, s[20:21]
.LBB226_473:                            ;   in Loop: Header=BB226_332 Depth=1
	s_or_b64 exec, exec, s[18:19]
.LBB226_474:                            ;   in Loop: Header=BB226_332 Depth=1
	s_or_b64 exec, exec, s[16:17]
	v_lshrrev_b32_e32 v18, 16, v46
	v_pk_mov_b32 v[58:59], 0, 0
	v_cmp_ne_u16_sdwa s[0:1], v18, v19 src0_sel:BYTE_0 src1_sel:DWORD
	v_pk_mov_b32 v[56:57], v[58:59], v[58:59] op_sel:[0,1]
	s_and_saveexec_b64 s[16:17], s[0:1]
	s_cbranch_execz .LBB226_480
; %bb.475:                              ;   in Loop: Header=BB226_332 Depth=1
	v_bfrev_b32_e32 v56, 1
	v_cmp_ne_u16_sdwa s[0:1], v18, s22 src0_sel:BYTE_0 src1_sel:DWORD
	v_mov_b32_e32 v57, 0
	s_and_saveexec_b64 s[18:19], s[0:1]
	s_cbranch_execz .LBB226_479
; %bb.476:                              ;   in Loop: Header=BB226_332 Depth=1
	v_bfe_u32 v47, v46, 16, 7
	v_mov_b32_e32 v56, 0x7f800001
	v_cmp_ne_u32_e64 s[0:1], s23, v47
	v_mov_b32_e32 v57, 0
	s_and_saveexec_b64 s[20:21], s[0:1]
	s_cbranch_execz .LBB226_478
; %bb.477:                              ;   in Loop: Header=BB226_332 Depth=1
	v_and_b32_e32 v60, 7, v18
	v_ffbh_u32_e32 v56, v60
	v_min_u32_e32 v62, 32, v56
	v_subrev_u32_e32 v56, 28, v62
	v_lshlrev_b64 v[56:57], v56, v[18:19]
	v_lshrrev_b32_e32 v61, 3, v47
	v_sub_u32_e32 v57, 29, v62
	v_and_b32_e32 v56, 7, v56
	v_cmp_gt_u32_e64 s[0:1], 8, v47
	v_cndmask_b32_e64 v47, v61, v57, s[0:1]
	v_cndmask_b32_e64 v56, v60, v56, s[0:1]
	v_lshlrev_b32_e32 v56, 20, v56
	v_and_b32_sdwa v18, sext(v18), s7 dst_sel:DWORD dst_unused:UNUSED_PAD src0_sel:BYTE_0 src1_sel:DWORD
	v_lshl_add_u32 v47, v47, 23, v53
	v_or3_b32 v18, v18, v47, v56
	v_pk_mov_b32 v[56:57], v[18:19], v[18:19] op_sel:[0,1]
.LBB226_478:                            ;   in Loop: Header=BB226_332 Depth=1
	s_or_b64 exec, exec, s[20:21]
.LBB226_479:                            ;   in Loop: Header=BB226_332 Depth=1
	s_or_b64 exec, exec, s[18:19]
.LBB226_480:                            ;   in Loop: Header=BB226_332 Depth=1
	s_or_b64 exec, exec, s[16:17]
	v_cmp_lt_u32_e64 s[0:1], s24, v46
	s_and_saveexec_b64 s[16:17], s[0:1]
	s_cbranch_execz .LBB226_486
; %bb.481:                              ;   in Loop: Header=BB226_332 Depth=1
	v_cmp_ne_u32_sdwa s[0:1], v46, s22 src0_sel:BYTE_3 src1_sel:DWORD
	v_pk_mov_b32 v[58:59], s[6:7], s[6:7] op_sel:[0,1]
	s_and_saveexec_b64 s[18:19], s[0:1]
	s_cbranch_execz .LBB226_485
; %bb.482:                              ;   in Loop: Header=BB226_332 Depth=1
	v_bfe_u32 v47, v46, 24, 7
	s_mov_b32 s14, s6
	v_cmp_ne_u32_e64 s[0:1], s23, v47
	v_pk_mov_b32 v[58:59], s[14:15], s[14:15] op_sel:[0,1]
	s_and_saveexec_b64 s[20:21], s[0:1]
	s_cbranch_execz .LBB226_484
; %bb.483:                              ;   in Loop: Header=BB226_332 Depth=1
	v_and_b32_sdwa v18, v46, v87 dst_sel:DWORD dst_unused:UNUSED_PAD src0_sel:BYTE_3 src1_sel:DWORD
	v_ffbh_u32_e32 v58, v18
	v_min_u32_e32 v61, 32, v58
	v_subrev_u32_e32 v58, 28, v61
	v_lshlrev_b64 v[58:59], v58, v[18:19]
	v_lshrrev_b32_e32 v60, 3, v47
	v_sub_u32_e32 v59, 29, v61
	v_cmp_gt_u32_e64 s[0:1], 8, v47
	v_and_b32_e32 v58, 7, v58
	v_cndmask_b32_e64 v47, v60, v59, s[0:1]
	v_cndmask_b32_e64 v18, v18, v58, s[0:1]
	v_lshlrev_b32_sdwa v46, v88, v46 dst_sel:DWORD dst_unused:UNUSED_PAD src0_sel:DWORD src1_sel:BYTE_3
	v_lshl_add_u32 v47, v47, 23, v53
	v_and_or_b32 v46, v46, s7, v47
	v_lshlrev_b32_e32 v18, 20, v18
	v_or_b32_e32 v59, v46, v18
	v_mov_b32_e32 v58, v19
.LBB226_484:                            ;   in Loop: Header=BB226_332 Depth=1
	s_or_b64 exec, exec, s[20:21]
.LBB226_485:                            ;   in Loop: Header=BB226_332 Depth=1
	s_or_b64 exec, exec, s[18:19]
.LBB226_486:                            ;   in Loop: Header=BB226_332 Depth=1
	s_or_b64 exec, exec, s[16:17]
	v_or_b32_e32 v47, v55, v49
	v_or_b32_e32 v46, v54, v48
	;; [unrolled: 1-line block ×4, first 2 shown]
	v_pk_mul_f32 v[46:47], s[10:11], v[46:47]
	v_pk_mul_f32 v[48:49], s[10:11], v[48:49]
	s_and_saveexec_b64 s[16:17], vcc
; %bb.487:                              ;   in Loop: Header=BB226_332 Depth=1
	v_cmp_gt_i32_e64 s[0:1], s37, v89
	v_cndmask_b32_e64 v46, 0, v46, s[0:1]
	v_cmp_gt_i32_e64 s[0:1], s37, v91
	v_cndmask_b32_e64 v47, 0, v47, s[0:1]
	v_cmp_gt_i32_e64 s[0:1], s37, v90
	v_cndmask_b32_e64 v48, 0, v48, s[0:1]
	v_cmp_gt_i32_e64 s[0:1], s37, v85
	v_cndmask_b32_e64 v49, 0, v49, s[0:1]
; %bb.488:                              ;   in Loop: Header=BB226_332 Depth=1
	s_or_b64 exec, exec, s[16:17]
	global_load_dword v54, v[28:29], off offset:1536
	v_pk_mov_b32 v[58:59], 0, 0
	v_pk_mov_b32 v[56:57], v[58:59], v[58:59] op_sel:[0,1]
	s_waitcnt vmcnt(0)
	v_cmp_ne_u16_sdwa s[0:1], v54, v19 src0_sel:BYTE_0 src1_sel:DWORD
	s_and_saveexec_b64 s[16:17], s[0:1]
	s_cbranch_execz .LBB226_494
; %bb.489:                              ;   in Loop: Header=BB226_332 Depth=1
	v_bfrev_b32_e32 v56, 1
	v_cmp_ne_u16_sdwa s[0:1], v54, s22 src0_sel:BYTE_0 src1_sel:DWORD
	v_mov_b32_e32 v57, 0
	s_and_saveexec_b64 s[18:19], s[0:1]
	s_cbranch_execz .LBB226_493
; %bb.490:                              ;   in Loop: Header=BB226_332 Depth=1
	v_and_b32_e32 v18, 0x7f, v54
	v_mov_b32_e32 v56, 0x7f800001
	v_cmp_ne_u32_e64 s[0:1], s23, v18
	v_mov_b32_e32 v57, 0
	s_and_saveexec_b64 s[20:21], s[0:1]
	s_cbranch_execz .LBB226_492
; %bb.491:                              ;   in Loop: Header=BB226_332 Depth=1
	v_and_b32_e32 v55, 7, v54
	v_ffbh_u32_e32 v56, v55
	v_min_u32_e32 v61, 32, v56
	v_subrev_u32_e32 v56, 28, v61
	v_lshlrev_b64 v[56:57], v56, v[54:55]
	v_lshrrev_b32_e32 v60, 3, v18
	v_sub_u32_e32 v57, 29, v61
	v_and_b32_e32 v56, 7, v56
	v_cmp_gt_u32_e64 s[0:1], 8, v18
	v_cndmask_b32_e64 v18, v60, v57, s[0:1]
	v_cndmask_b32_e64 v55, v55, v56, s[0:1]
	v_lshlrev_b32_e32 v55, 20, v55
	v_and_b32_sdwa v56, sext(v54), s7 dst_sel:DWORD dst_unused:UNUSED_PAD src0_sel:BYTE_0 src1_sel:DWORD
	v_lshl_add_u32 v18, v18, 23, v53
	v_or3_b32 v18, v56, v18, v55
	v_pk_mov_b32 v[56:57], v[18:19], v[18:19] op_sel:[0,1]
.LBB226_492:                            ;   in Loop: Header=BB226_332 Depth=1
	s_or_b64 exec, exec, s[20:21]
.LBB226_493:                            ;   in Loop: Header=BB226_332 Depth=1
	s_or_b64 exec, exec, s[18:19]
.LBB226_494:                            ;   in Loop: Header=BB226_332 Depth=1
	s_or_b64 exec, exec, s[16:17]
	v_cmp_ne_u16_sdwa s[0:1], v54, v19 src0_sel:BYTE_1 src1_sel:DWORD
	s_and_saveexec_b64 s[16:17], s[0:1]
	s_cbranch_execz .LBB226_500
; %bb.495:                              ;   in Loop: Header=BB226_332 Depth=1
	v_cmp_ne_u16_sdwa s[0:1], v54, s22 src0_sel:BYTE_1 src1_sel:DWORD
	v_pk_mov_b32 v[58:59], s[6:7], s[6:7] op_sel:[0,1]
	s_and_saveexec_b64 s[18:19], s[0:1]
	s_cbranch_execz .LBB226_499
; %bb.496:                              ;   in Loop: Header=BB226_332 Depth=1
	v_and_b32_sdwa v55, v54, s23 dst_sel:DWORD dst_unused:UNUSED_PAD src0_sel:BYTE_1 src1_sel:DWORD
	s_mov_b32 s14, s6
	v_cmp_ne_u32_e64 s[0:1], s23, v55
	v_pk_mov_b32 v[58:59], s[14:15], s[14:15] op_sel:[0,1]
	s_and_saveexec_b64 s[20:21], s[0:1]
	s_cbranch_execz .LBB226_498
; %bb.497:                              ;   in Loop: Header=BB226_332 Depth=1
	v_and_b32_sdwa v18, v54, v87 dst_sel:DWORD dst_unused:UNUSED_PAD src0_sel:BYTE_1 src1_sel:DWORD
	v_ffbh_u32_e32 v58, v18
	v_min_u32_e32 v61, 32, v58
	v_subrev_u32_e32 v58, 28, v61
	v_lshlrev_b64 v[58:59], v58, v[18:19]
	v_lshrrev_b32_e32 v60, 3, v55
	v_sub_u32_e32 v59, 29, v61
	v_cmp_gt_u32_e64 s[0:1], 8, v55
	v_and_b32_e32 v58, 7, v58
	v_cndmask_b32_e64 v55, v60, v59, s[0:1]
	v_cndmask_b32_e64 v18, v18, v58, s[0:1]
	v_lshlrev_b32_e32 v58, 16, v54
	v_lshl_add_u32 v55, v55, 23, v53
	v_and_or_b32 v55, v58, s7, v55
	v_lshlrev_b32_e32 v18, 20, v18
	v_or_b32_e32 v59, v55, v18
	v_mov_b32_e32 v58, v19
.LBB226_498:                            ;   in Loop: Header=BB226_332 Depth=1
	s_or_b64 exec, exec, s[20:21]
.LBB226_499:                            ;   in Loop: Header=BB226_332 Depth=1
	s_or_b64 exec, exec, s[18:19]
.LBB226_500:                            ;   in Loop: Header=BB226_332 Depth=1
	s_or_b64 exec, exec, s[16:17]
	v_lshrrev_b32_e32 v18, 16, v54
	v_pk_mov_b32 v[62:63], 0, 0
	v_cmp_ne_u16_sdwa s[0:1], v18, v19 src0_sel:BYTE_0 src1_sel:DWORD
	v_pk_mov_b32 v[60:61], v[62:63], v[62:63] op_sel:[0,1]
	s_and_saveexec_b64 s[16:17], s[0:1]
	s_cbranch_execz .LBB226_506
; %bb.501:                              ;   in Loop: Header=BB226_332 Depth=1
	v_bfrev_b32_e32 v60, 1
	v_cmp_ne_u16_sdwa s[0:1], v18, s22 src0_sel:BYTE_0 src1_sel:DWORD
	v_mov_b32_e32 v61, 0
	s_and_saveexec_b64 s[18:19], s[0:1]
	s_cbranch_execz .LBB226_505
; %bb.502:                              ;   in Loop: Header=BB226_332 Depth=1
	v_bfe_u32 v55, v54, 16, 7
	v_mov_b32_e32 v60, 0x7f800001
	v_cmp_ne_u32_e64 s[0:1], s23, v55
	v_mov_b32_e32 v61, 0
	s_and_saveexec_b64 s[20:21], s[0:1]
	s_cbranch_execz .LBB226_504
; %bb.503:                              ;   in Loop: Header=BB226_332 Depth=1
	v_and_b32_e32 v64, 7, v18
	v_ffbh_u32_e32 v60, v64
	v_min_u32_e32 v66, 32, v60
	v_subrev_u32_e32 v60, 28, v66
	v_lshlrev_b64 v[60:61], v60, v[18:19]
	v_lshrrev_b32_e32 v65, 3, v55
	v_sub_u32_e32 v61, 29, v66
	v_and_b32_e32 v60, 7, v60
	v_cmp_gt_u32_e64 s[0:1], 8, v55
	v_cndmask_b32_e64 v55, v65, v61, s[0:1]
	v_cndmask_b32_e64 v60, v64, v60, s[0:1]
	v_lshlrev_b32_e32 v60, 20, v60
	v_and_b32_sdwa v18, sext(v18), s7 dst_sel:DWORD dst_unused:UNUSED_PAD src0_sel:BYTE_0 src1_sel:DWORD
	v_lshl_add_u32 v55, v55, 23, v53
	v_or3_b32 v18, v18, v55, v60
	v_pk_mov_b32 v[60:61], v[18:19], v[18:19] op_sel:[0,1]
.LBB226_504:                            ;   in Loop: Header=BB226_332 Depth=1
	s_or_b64 exec, exec, s[20:21]
.LBB226_505:                            ;   in Loop: Header=BB226_332 Depth=1
	s_or_b64 exec, exec, s[18:19]
.LBB226_506:                            ;   in Loop: Header=BB226_332 Depth=1
	s_or_b64 exec, exec, s[16:17]
	v_cmp_lt_u32_e64 s[0:1], s24, v54
	s_and_saveexec_b64 s[16:17], s[0:1]
	s_cbranch_execz .LBB226_512
; %bb.507:                              ;   in Loop: Header=BB226_332 Depth=1
	v_cmp_ne_u32_sdwa s[0:1], v54, s22 src0_sel:BYTE_3 src1_sel:DWORD
	v_pk_mov_b32 v[62:63], s[6:7], s[6:7] op_sel:[0,1]
	s_and_saveexec_b64 s[18:19], s[0:1]
	s_cbranch_execz .LBB226_511
; %bb.508:                              ;   in Loop: Header=BB226_332 Depth=1
	v_bfe_u32 v55, v54, 24, 7
	s_mov_b32 s14, s6
	v_cmp_ne_u32_e64 s[0:1], s23, v55
	v_pk_mov_b32 v[62:63], s[14:15], s[14:15] op_sel:[0,1]
	s_and_saveexec_b64 s[20:21], s[0:1]
	s_cbranch_execz .LBB226_510
; %bb.509:                              ;   in Loop: Header=BB226_332 Depth=1
	v_and_b32_sdwa v18, v54, v87 dst_sel:DWORD dst_unused:UNUSED_PAD src0_sel:BYTE_3 src1_sel:DWORD
	v_ffbh_u32_e32 v62, v18
	v_min_u32_e32 v65, 32, v62
	v_subrev_u32_e32 v62, 28, v65
	v_lshlrev_b64 v[62:63], v62, v[18:19]
	v_lshrrev_b32_e32 v64, 3, v55
	v_sub_u32_e32 v63, 29, v65
	v_cmp_gt_u32_e64 s[0:1], 8, v55
	v_and_b32_e32 v62, 7, v62
	v_cndmask_b32_e64 v55, v64, v63, s[0:1]
	v_cndmask_b32_e64 v18, v18, v62, s[0:1]
	v_lshlrev_b32_sdwa v54, v88, v54 dst_sel:DWORD dst_unused:UNUSED_PAD src0_sel:DWORD src1_sel:BYTE_3
	v_lshl_add_u32 v55, v55, 23, v53
	v_and_or_b32 v54, v54, s7, v55
	v_lshlrev_b32_e32 v18, 20, v18
	v_or_b32_e32 v63, v54, v18
	v_mov_b32_e32 v62, v19
.LBB226_510:                            ;   in Loop: Header=BB226_332 Depth=1
	s_or_b64 exec, exec, s[20:21]
.LBB226_511:                            ;   in Loop: Header=BB226_332 Depth=1
	s_or_b64 exec, exec, s[18:19]
.LBB226_512:                            ;   in Loop: Header=BB226_332 Depth=1
	s_or_b64 exec, exec, s[16:17]
	v_or_b32_e32 v55, v59, v57
	v_or_b32_e32 v54, v58, v56
	;; [unrolled: 1-line block ×4, first 2 shown]
	v_pk_mul_f32 v[54:55], s[10:11], v[54:55]
	v_pk_mul_f32 v[56:57], s[10:11], v[56:57]
	s_and_saveexec_b64 s[16:17], vcc
; %bb.513:                              ;   in Loop: Header=BB226_332 Depth=1
	v_cmp_gt_i32_e64 s[0:1], s37, v89
	v_cndmask_b32_e64 v54, 0, v54, s[0:1]
	v_cmp_gt_i32_e64 s[0:1], s37, v91
	v_cndmask_b32_e64 v55, 0, v55, s[0:1]
	;; [unrolled: 2-line block ×4, first 2 shown]
; %bb.514:                              ;   in Loop: Header=BB226_332 Depth=1
	s_or_b64 exec, exec, s[16:17]
	global_load_dword v58, v[28:29], off offset:1792
	v_pk_mov_b32 v[62:63], 0, 0
	v_pk_mov_b32 v[60:61], v[62:63], v[62:63] op_sel:[0,1]
	s_waitcnt vmcnt(0)
	v_cmp_ne_u16_sdwa s[0:1], v58, v19 src0_sel:BYTE_0 src1_sel:DWORD
	s_and_saveexec_b64 s[16:17], s[0:1]
	s_cbranch_execz .LBB226_520
; %bb.515:                              ;   in Loop: Header=BB226_332 Depth=1
	v_bfrev_b32_e32 v60, 1
	v_cmp_ne_u16_sdwa s[0:1], v58, s22 src0_sel:BYTE_0 src1_sel:DWORD
	v_mov_b32_e32 v61, 0
	s_and_saveexec_b64 s[18:19], s[0:1]
	s_cbranch_execz .LBB226_519
; %bb.516:                              ;   in Loop: Header=BB226_332 Depth=1
	v_and_b32_e32 v18, 0x7f, v58
	v_mov_b32_e32 v60, 0x7f800001
	v_cmp_ne_u32_e64 s[0:1], s23, v18
	v_mov_b32_e32 v61, 0
	s_and_saveexec_b64 s[20:21], s[0:1]
	s_cbranch_execz .LBB226_518
; %bb.517:                              ;   in Loop: Header=BB226_332 Depth=1
	v_and_b32_e32 v59, 7, v58
	v_ffbh_u32_e32 v60, v59
	v_min_u32_e32 v65, 32, v60
	v_subrev_u32_e32 v60, 28, v65
	v_lshlrev_b64 v[60:61], v60, v[58:59]
	v_lshrrev_b32_e32 v64, 3, v18
	v_sub_u32_e32 v61, 29, v65
	v_and_b32_e32 v60, 7, v60
	v_cmp_gt_u32_e64 s[0:1], 8, v18
	v_cndmask_b32_e64 v18, v64, v61, s[0:1]
	v_cndmask_b32_e64 v59, v59, v60, s[0:1]
	v_lshlrev_b32_e32 v59, 20, v59
	v_and_b32_sdwa v60, sext(v58), s7 dst_sel:DWORD dst_unused:UNUSED_PAD src0_sel:BYTE_0 src1_sel:DWORD
	v_lshl_add_u32 v18, v18, 23, v53
	v_or3_b32 v18, v60, v18, v59
	v_pk_mov_b32 v[60:61], v[18:19], v[18:19] op_sel:[0,1]
.LBB226_518:                            ;   in Loop: Header=BB226_332 Depth=1
	s_or_b64 exec, exec, s[20:21]
.LBB226_519:                            ;   in Loop: Header=BB226_332 Depth=1
	s_or_b64 exec, exec, s[18:19]
.LBB226_520:                            ;   in Loop: Header=BB226_332 Depth=1
	s_or_b64 exec, exec, s[16:17]
	v_cmp_ne_u16_sdwa s[0:1], v58, v19 src0_sel:BYTE_1 src1_sel:DWORD
	s_and_saveexec_b64 s[16:17], s[0:1]
	s_cbranch_execz .LBB226_526
; %bb.521:                              ;   in Loop: Header=BB226_332 Depth=1
	v_cmp_ne_u16_sdwa s[0:1], v58, s22 src0_sel:BYTE_1 src1_sel:DWORD
	v_pk_mov_b32 v[62:63], s[6:7], s[6:7] op_sel:[0,1]
	s_and_saveexec_b64 s[18:19], s[0:1]
	s_cbranch_execz .LBB226_525
; %bb.522:                              ;   in Loop: Header=BB226_332 Depth=1
	v_and_b32_sdwa v59, v58, s23 dst_sel:DWORD dst_unused:UNUSED_PAD src0_sel:BYTE_1 src1_sel:DWORD
	s_mov_b32 s14, s6
	v_cmp_ne_u32_e64 s[0:1], s23, v59
	v_pk_mov_b32 v[62:63], s[14:15], s[14:15] op_sel:[0,1]
	s_and_saveexec_b64 s[20:21], s[0:1]
	s_cbranch_execz .LBB226_524
; %bb.523:                              ;   in Loop: Header=BB226_332 Depth=1
	v_and_b32_sdwa v18, v58, v87 dst_sel:DWORD dst_unused:UNUSED_PAD src0_sel:BYTE_1 src1_sel:DWORD
	v_ffbh_u32_e32 v62, v18
	v_min_u32_e32 v65, 32, v62
	v_subrev_u32_e32 v62, 28, v65
	v_lshlrev_b64 v[62:63], v62, v[18:19]
	v_lshrrev_b32_e32 v64, 3, v59
	v_sub_u32_e32 v63, 29, v65
	v_cmp_gt_u32_e64 s[0:1], 8, v59
	v_and_b32_e32 v62, 7, v62
	v_cndmask_b32_e64 v59, v64, v63, s[0:1]
	v_cndmask_b32_e64 v18, v18, v62, s[0:1]
	v_lshlrev_b32_e32 v62, 16, v58
	v_lshl_add_u32 v59, v59, 23, v53
	v_and_or_b32 v59, v62, s7, v59
	v_lshlrev_b32_e32 v18, 20, v18
	v_or_b32_e32 v63, v59, v18
	v_mov_b32_e32 v62, v19
.LBB226_524:                            ;   in Loop: Header=BB226_332 Depth=1
	s_or_b64 exec, exec, s[20:21]
.LBB226_525:                            ;   in Loop: Header=BB226_332 Depth=1
	s_or_b64 exec, exec, s[18:19]
.LBB226_526:                            ;   in Loop: Header=BB226_332 Depth=1
	s_or_b64 exec, exec, s[16:17]
	v_lshrrev_b32_e32 v18, 16, v58
	v_pk_mov_b32 v[66:67], 0, 0
	v_cmp_ne_u16_sdwa s[0:1], v18, v19 src0_sel:BYTE_0 src1_sel:DWORD
	v_pk_mov_b32 v[64:65], v[66:67], v[66:67] op_sel:[0,1]
	s_and_saveexec_b64 s[16:17], s[0:1]
	s_cbranch_execz .LBB226_532
; %bb.527:                              ;   in Loop: Header=BB226_332 Depth=1
	v_bfrev_b32_e32 v64, 1
	v_cmp_ne_u16_sdwa s[0:1], v18, s22 src0_sel:BYTE_0 src1_sel:DWORD
	v_mov_b32_e32 v65, 0
	s_and_saveexec_b64 s[18:19], s[0:1]
	s_cbranch_execz .LBB226_531
; %bb.528:                              ;   in Loop: Header=BB226_332 Depth=1
	v_bfe_u32 v59, v58, 16, 7
	v_mov_b32_e32 v64, 0x7f800001
	v_cmp_ne_u32_e64 s[0:1], s23, v59
	v_mov_b32_e32 v65, 0
	s_and_saveexec_b64 s[20:21], s[0:1]
	s_cbranch_execz .LBB226_530
; %bb.529:                              ;   in Loop: Header=BB226_332 Depth=1
	v_and_b32_e32 v68, 7, v18
	v_ffbh_u32_e32 v64, v68
	v_min_u32_e32 v70, 32, v64
	v_subrev_u32_e32 v64, 28, v70
	v_lshlrev_b64 v[64:65], v64, v[18:19]
	v_lshrrev_b32_e32 v69, 3, v59
	v_sub_u32_e32 v65, 29, v70
	v_and_b32_e32 v64, 7, v64
	v_cmp_gt_u32_e64 s[0:1], 8, v59
	v_cndmask_b32_e64 v59, v69, v65, s[0:1]
	v_cndmask_b32_e64 v64, v68, v64, s[0:1]
	v_lshlrev_b32_e32 v64, 20, v64
	v_and_b32_sdwa v18, sext(v18), s7 dst_sel:DWORD dst_unused:UNUSED_PAD src0_sel:BYTE_0 src1_sel:DWORD
	v_lshl_add_u32 v59, v59, 23, v53
	v_or3_b32 v18, v18, v59, v64
	v_pk_mov_b32 v[64:65], v[18:19], v[18:19] op_sel:[0,1]
.LBB226_530:                            ;   in Loop: Header=BB226_332 Depth=1
	s_or_b64 exec, exec, s[20:21]
.LBB226_531:                            ;   in Loop: Header=BB226_332 Depth=1
	s_or_b64 exec, exec, s[18:19]
.LBB226_532:                            ;   in Loop: Header=BB226_332 Depth=1
	s_or_b64 exec, exec, s[16:17]
	v_cmp_lt_u32_e64 s[0:1], s24, v58
	s_and_saveexec_b64 s[16:17], s[0:1]
	s_cbranch_execz .LBB226_538
; %bb.533:                              ;   in Loop: Header=BB226_332 Depth=1
	v_cmp_ne_u32_sdwa s[0:1], v58, s22 src0_sel:BYTE_3 src1_sel:DWORD
	v_pk_mov_b32 v[66:67], s[6:7], s[6:7] op_sel:[0,1]
	s_and_saveexec_b64 s[18:19], s[0:1]
	s_cbranch_execz .LBB226_537
; %bb.534:                              ;   in Loop: Header=BB226_332 Depth=1
	v_bfe_u32 v59, v58, 24, 7
	s_mov_b32 s14, s6
	v_cmp_ne_u32_e64 s[0:1], s23, v59
	v_pk_mov_b32 v[66:67], s[14:15], s[14:15] op_sel:[0,1]
	s_and_saveexec_b64 s[20:21], s[0:1]
	s_cbranch_execz .LBB226_536
; %bb.535:                              ;   in Loop: Header=BB226_332 Depth=1
	v_and_b32_sdwa v18, v58, v87 dst_sel:DWORD dst_unused:UNUSED_PAD src0_sel:BYTE_3 src1_sel:DWORD
	v_ffbh_u32_e32 v66, v18
	v_min_u32_e32 v69, 32, v66
	v_subrev_u32_e32 v66, 28, v69
	v_lshlrev_b64 v[66:67], v66, v[18:19]
	v_lshrrev_b32_e32 v68, 3, v59
	v_sub_u32_e32 v67, 29, v69
	v_cmp_gt_u32_e64 s[0:1], 8, v59
	v_and_b32_e32 v66, 7, v66
	v_cndmask_b32_e64 v59, v68, v67, s[0:1]
	v_cndmask_b32_e64 v18, v18, v66, s[0:1]
	v_lshlrev_b32_sdwa v58, v88, v58 dst_sel:DWORD dst_unused:UNUSED_PAD src0_sel:DWORD src1_sel:BYTE_3
	v_lshl_add_u32 v59, v59, 23, v53
	v_and_or_b32 v58, v58, s7, v59
	v_lshlrev_b32_e32 v18, 20, v18
	v_or_b32_e32 v67, v58, v18
	v_mov_b32_e32 v66, v19
.LBB226_536:                            ;   in Loop: Header=BB226_332 Depth=1
	s_or_b64 exec, exec, s[20:21]
.LBB226_537:                            ;   in Loop: Header=BB226_332 Depth=1
	s_or_b64 exec, exec, s[18:19]
.LBB226_538:                            ;   in Loop: Header=BB226_332 Depth=1
	s_or_b64 exec, exec, s[16:17]
	v_or_b32_e32 v59, v63, v61
	v_or_b32_e32 v58, v62, v60
	;; [unrolled: 1-line block ×4, first 2 shown]
	v_pk_mul_f32 v[58:59], s[10:11], v[58:59]
	v_pk_mul_f32 v[60:61], s[10:11], v[60:61]
	s_and_saveexec_b64 s[16:17], vcc
; %bb.539:                              ;   in Loop: Header=BB226_332 Depth=1
	v_cmp_gt_i32_e64 s[0:1], s37, v89
	v_cndmask_b32_e64 v58, 0, v58, s[0:1]
	v_cmp_gt_i32_e64 s[0:1], s37, v91
	v_cndmask_b32_e64 v59, 0, v59, s[0:1]
	;; [unrolled: 2-line block ×4, first 2 shown]
; %bb.540:                              ;   in Loop: Header=BB226_332 Depth=1
	s_or_b64 exec, exec, s[16:17]
	global_load_dword v62, v[28:29], off offset:2048
	v_pk_mov_b32 v[66:67], 0, 0
	v_pk_mov_b32 v[64:65], v[66:67], v[66:67] op_sel:[0,1]
	s_waitcnt vmcnt(0)
	v_cmp_ne_u16_sdwa s[0:1], v62, v19 src0_sel:BYTE_0 src1_sel:DWORD
	s_and_saveexec_b64 s[16:17], s[0:1]
	s_cbranch_execz .LBB226_546
; %bb.541:                              ;   in Loop: Header=BB226_332 Depth=1
	v_bfrev_b32_e32 v64, 1
	v_cmp_ne_u16_sdwa s[0:1], v62, s22 src0_sel:BYTE_0 src1_sel:DWORD
	v_mov_b32_e32 v65, 0
	s_and_saveexec_b64 s[18:19], s[0:1]
	s_cbranch_execz .LBB226_545
; %bb.542:                              ;   in Loop: Header=BB226_332 Depth=1
	v_and_b32_e32 v18, 0x7f, v62
	v_mov_b32_e32 v64, 0x7f800001
	v_cmp_ne_u32_e64 s[0:1], s23, v18
	v_mov_b32_e32 v65, 0
	s_and_saveexec_b64 s[20:21], s[0:1]
	s_cbranch_execz .LBB226_544
; %bb.543:                              ;   in Loop: Header=BB226_332 Depth=1
	v_and_b32_e32 v63, 7, v62
	v_ffbh_u32_e32 v64, v63
	v_min_u32_e32 v69, 32, v64
	v_subrev_u32_e32 v64, 28, v69
	v_lshlrev_b64 v[64:65], v64, v[62:63]
	v_lshrrev_b32_e32 v68, 3, v18
	v_sub_u32_e32 v65, 29, v69
	v_and_b32_e32 v64, 7, v64
	v_cmp_gt_u32_e64 s[0:1], 8, v18
	v_cndmask_b32_e64 v18, v68, v65, s[0:1]
	v_cndmask_b32_e64 v63, v63, v64, s[0:1]
	v_lshlrev_b32_e32 v63, 20, v63
	v_and_b32_sdwa v64, sext(v62), s7 dst_sel:DWORD dst_unused:UNUSED_PAD src0_sel:BYTE_0 src1_sel:DWORD
	v_lshl_add_u32 v18, v18, 23, v53
	v_or3_b32 v18, v64, v18, v63
	v_pk_mov_b32 v[64:65], v[18:19], v[18:19] op_sel:[0,1]
.LBB226_544:                            ;   in Loop: Header=BB226_332 Depth=1
	s_or_b64 exec, exec, s[20:21]
.LBB226_545:                            ;   in Loop: Header=BB226_332 Depth=1
	s_or_b64 exec, exec, s[18:19]
.LBB226_546:                            ;   in Loop: Header=BB226_332 Depth=1
	s_or_b64 exec, exec, s[16:17]
	v_cmp_ne_u16_sdwa s[0:1], v62, v19 src0_sel:BYTE_1 src1_sel:DWORD
	s_and_saveexec_b64 s[16:17], s[0:1]
	s_cbranch_execz .LBB226_552
; %bb.547:                              ;   in Loop: Header=BB226_332 Depth=1
	v_cmp_ne_u16_sdwa s[0:1], v62, s22 src0_sel:BYTE_1 src1_sel:DWORD
	v_pk_mov_b32 v[66:67], s[6:7], s[6:7] op_sel:[0,1]
	s_and_saveexec_b64 s[18:19], s[0:1]
	s_cbranch_execz .LBB226_551
; %bb.548:                              ;   in Loop: Header=BB226_332 Depth=1
	v_and_b32_sdwa v63, v62, s23 dst_sel:DWORD dst_unused:UNUSED_PAD src0_sel:BYTE_1 src1_sel:DWORD
	s_mov_b32 s14, s6
	v_cmp_ne_u32_e64 s[0:1], s23, v63
	v_pk_mov_b32 v[66:67], s[14:15], s[14:15] op_sel:[0,1]
	s_and_saveexec_b64 s[20:21], s[0:1]
	s_cbranch_execz .LBB226_550
; %bb.549:                              ;   in Loop: Header=BB226_332 Depth=1
	v_and_b32_sdwa v18, v62, v87 dst_sel:DWORD dst_unused:UNUSED_PAD src0_sel:BYTE_1 src1_sel:DWORD
	v_ffbh_u32_e32 v66, v18
	v_min_u32_e32 v69, 32, v66
	v_subrev_u32_e32 v66, 28, v69
	v_lshlrev_b64 v[66:67], v66, v[18:19]
	v_lshrrev_b32_e32 v68, 3, v63
	v_sub_u32_e32 v67, 29, v69
	v_cmp_gt_u32_e64 s[0:1], 8, v63
	v_and_b32_e32 v66, 7, v66
	v_cndmask_b32_e64 v63, v68, v67, s[0:1]
	v_cndmask_b32_e64 v18, v18, v66, s[0:1]
	v_lshlrev_b32_e32 v66, 16, v62
	v_lshl_add_u32 v63, v63, 23, v53
	v_and_or_b32 v63, v66, s7, v63
	v_lshlrev_b32_e32 v18, 20, v18
	v_or_b32_e32 v67, v63, v18
	v_mov_b32_e32 v66, v19
.LBB226_550:                            ;   in Loop: Header=BB226_332 Depth=1
	s_or_b64 exec, exec, s[20:21]
.LBB226_551:                            ;   in Loop: Header=BB226_332 Depth=1
	s_or_b64 exec, exec, s[18:19]
.LBB226_552:                            ;   in Loop: Header=BB226_332 Depth=1
	s_or_b64 exec, exec, s[16:17]
	v_lshrrev_b32_e32 v18, 16, v62
	v_pk_mov_b32 v[70:71], 0, 0
	v_cmp_ne_u16_sdwa s[0:1], v18, v19 src0_sel:BYTE_0 src1_sel:DWORD
	v_pk_mov_b32 v[68:69], v[70:71], v[70:71] op_sel:[0,1]
	s_and_saveexec_b64 s[16:17], s[0:1]
	s_cbranch_execz .LBB226_558
; %bb.553:                              ;   in Loop: Header=BB226_332 Depth=1
	v_bfrev_b32_e32 v68, 1
	v_cmp_ne_u16_sdwa s[0:1], v18, s22 src0_sel:BYTE_0 src1_sel:DWORD
	v_mov_b32_e32 v69, 0
	s_and_saveexec_b64 s[18:19], s[0:1]
	s_cbranch_execz .LBB226_557
; %bb.554:                              ;   in Loop: Header=BB226_332 Depth=1
	v_bfe_u32 v63, v62, 16, 7
	v_mov_b32_e32 v68, 0x7f800001
	v_cmp_ne_u32_e64 s[0:1], s23, v63
	v_mov_b32_e32 v69, 0
	s_and_saveexec_b64 s[20:21], s[0:1]
	s_cbranch_execz .LBB226_556
; %bb.555:                              ;   in Loop: Header=BB226_332 Depth=1
	v_and_b32_e32 v72, 7, v18
	v_ffbh_u32_e32 v68, v72
	v_min_u32_e32 v74, 32, v68
	v_subrev_u32_e32 v68, 28, v74
	v_lshlrev_b64 v[68:69], v68, v[18:19]
	v_lshrrev_b32_e32 v73, 3, v63
	v_sub_u32_e32 v69, 29, v74
	v_and_b32_e32 v68, 7, v68
	v_cmp_gt_u32_e64 s[0:1], 8, v63
	v_cndmask_b32_e64 v63, v73, v69, s[0:1]
	v_cndmask_b32_e64 v68, v72, v68, s[0:1]
	v_lshlrev_b32_e32 v68, 20, v68
	v_and_b32_sdwa v18, sext(v18), s7 dst_sel:DWORD dst_unused:UNUSED_PAD src0_sel:BYTE_0 src1_sel:DWORD
	v_lshl_add_u32 v63, v63, 23, v53
	v_or3_b32 v18, v18, v63, v68
	v_pk_mov_b32 v[68:69], v[18:19], v[18:19] op_sel:[0,1]
.LBB226_556:                            ;   in Loop: Header=BB226_332 Depth=1
	s_or_b64 exec, exec, s[20:21]
.LBB226_557:                            ;   in Loop: Header=BB226_332 Depth=1
	s_or_b64 exec, exec, s[18:19]
.LBB226_558:                            ;   in Loop: Header=BB226_332 Depth=1
	s_or_b64 exec, exec, s[16:17]
	v_cmp_lt_u32_e64 s[0:1], s24, v62
	s_and_saveexec_b64 s[16:17], s[0:1]
	s_cbranch_execz .LBB226_564
; %bb.559:                              ;   in Loop: Header=BB226_332 Depth=1
	v_cmp_ne_u32_sdwa s[0:1], v62, s22 src0_sel:BYTE_3 src1_sel:DWORD
	v_pk_mov_b32 v[70:71], s[6:7], s[6:7] op_sel:[0,1]
	s_and_saveexec_b64 s[18:19], s[0:1]
	s_cbranch_execz .LBB226_563
; %bb.560:                              ;   in Loop: Header=BB226_332 Depth=1
	v_bfe_u32 v63, v62, 24, 7
	s_mov_b32 s14, s6
	v_cmp_ne_u32_e64 s[0:1], s23, v63
	v_pk_mov_b32 v[70:71], s[14:15], s[14:15] op_sel:[0,1]
	s_and_saveexec_b64 s[20:21], s[0:1]
	s_cbranch_execz .LBB226_562
; %bb.561:                              ;   in Loop: Header=BB226_332 Depth=1
	v_and_b32_sdwa v18, v62, v87 dst_sel:DWORD dst_unused:UNUSED_PAD src0_sel:BYTE_3 src1_sel:DWORD
	v_ffbh_u32_e32 v70, v18
	v_min_u32_e32 v73, 32, v70
	v_subrev_u32_e32 v70, 28, v73
	v_lshlrev_b64 v[70:71], v70, v[18:19]
	v_lshrrev_b32_e32 v72, 3, v63
	v_sub_u32_e32 v71, 29, v73
	v_cmp_gt_u32_e64 s[0:1], 8, v63
	v_and_b32_e32 v70, 7, v70
	v_cndmask_b32_e64 v63, v72, v71, s[0:1]
	v_cndmask_b32_e64 v18, v18, v70, s[0:1]
	v_lshlrev_b32_sdwa v62, v88, v62 dst_sel:DWORD dst_unused:UNUSED_PAD src0_sel:DWORD src1_sel:BYTE_3
	v_lshl_add_u32 v63, v63, 23, v53
	v_and_or_b32 v62, v62, s7, v63
	v_lshlrev_b32_e32 v18, 20, v18
	v_or_b32_e32 v71, v62, v18
	v_mov_b32_e32 v70, v19
.LBB226_562:                            ;   in Loop: Header=BB226_332 Depth=1
	s_or_b64 exec, exec, s[20:21]
.LBB226_563:                            ;   in Loop: Header=BB226_332 Depth=1
	s_or_b64 exec, exec, s[18:19]
.LBB226_564:                            ;   in Loop: Header=BB226_332 Depth=1
	s_or_b64 exec, exec, s[16:17]
	v_or_b32_e32 v63, v67, v65
	v_or_b32_e32 v62, v66, v64
	;; [unrolled: 1-line block ×4, first 2 shown]
	v_pk_mul_f32 v[62:63], s[10:11], v[62:63]
	v_pk_mul_f32 v[64:65], s[10:11], v[64:65]
	s_and_saveexec_b64 s[16:17], vcc
; %bb.565:                              ;   in Loop: Header=BB226_332 Depth=1
	v_cmp_gt_i32_e64 s[0:1], s37, v89
	v_cndmask_b32_e64 v62, 0, v62, s[0:1]
	v_cmp_gt_i32_e64 s[0:1], s37, v91
	v_cndmask_b32_e64 v63, 0, v63, s[0:1]
	;; [unrolled: 2-line block ×4, first 2 shown]
; %bb.566:                              ;   in Loop: Header=BB226_332 Depth=1
	s_or_b64 exec, exec, s[16:17]
	global_load_dword v66, v[28:29], off offset:2304
	v_pk_mov_b32 v[70:71], 0, 0
	v_pk_mov_b32 v[68:69], v[70:71], v[70:71] op_sel:[0,1]
	s_waitcnt vmcnt(0)
	v_cmp_ne_u16_sdwa s[0:1], v66, v19 src0_sel:BYTE_0 src1_sel:DWORD
	s_and_saveexec_b64 s[16:17], s[0:1]
	s_cbranch_execz .LBB226_572
; %bb.567:                              ;   in Loop: Header=BB226_332 Depth=1
	v_bfrev_b32_e32 v68, 1
	v_cmp_ne_u16_sdwa s[0:1], v66, s22 src0_sel:BYTE_0 src1_sel:DWORD
	v_mov_b32_e32 v69, 0
	s_and_saveexec_b64 s[18:19], s[0:1]
	s_cbranch_execz .LBB226_571
; %bb.568:                              ;   in Loop: Header=BB226_332 Depth=1
	v_and_b32_e32 v18, 0x7f, v66
	v_mov_b32_e32 v68, 0x7f800001
	v_cmp_ne_u32_e64 s[0:1], s23, v18
	v_mov_b32_e32 v69, 0
	s_and_saveexec_b64 s[20:21], s[0:1]
	s_cbranch_execz .LBB226_570
; %bb.569:                              ;   in Loop: Header=BB226_332 Depth=1
	v_and_b32_e32 v67, 7, v66
	v_ffbh_u32_e32 v68, v67
	v_min_u32_e32 v73, 32, v68
	v_subrev_u32_e32 v68, 28, v73
	v_lshlrev_b64 v[68:69], v68, v[66:67]
	v_lshrrev_b32_e32 v72, 3, v18
	v_sub_u32_e32 v69, 29, v73
	v_and_b32_e32 v68, 7, v68
	v_cmp_gt_u32_e64 s[0:1], 8, v18
	v_cndmask_b32_e64 v18, v72, v69, s[0:1]
	v_cndmask_b32_e64 v67, v67, v68, s[0:1]
	v_lshlrev_b32_e32 v67, 20, v67
	v_and_b32_sdwa v68, sext(v66), s7 dst_sel:DWORD dst_unused:UNUSED_PAD src0_sel:BYTE_0 src1_sel:DWORD
	v_lshl_add_u32 v18, v18, 23, v53
	v_or3_b32 v18, v68, v18, v67
	v_pk_mov_b32 v[68:69], v[18:19], v[18:19] op_sel:[0,1]
.LBB226_570:                            ;   in Loop: Header=BB226_332 Depth=1
	s_or_b64 exec, exec, s[20:21]
.LBB226_571:                            ;   in Loop: Header=BB226_332 Depth=1
	s_or_b64 exec, exec, s[18:19]
.LBB226_572:                            ;   in Loop: Header=BB226_332 Depth=1
	s_or_b64 exec, exec, s[16:17]
	v_cmp_ne_u16_sdwa s[0:1], v66, v19 src0_sel:BYTE_1 src1_sel:DWORD
	s_and_saveexec_b64 s[16:17], s[0:1]
	s_cbranch_execz .LBB226_578
; %bb.573:                              ;   in Loop: Header=BB226_332 Depth=1
	v_cmp_ne_u16_sdwa s[0:1], v66, s22 src0_sel:BYTE_1 src1_sel:DWORD
	v_pk_mov_b32 v[70:71], s[6:7], s[6:7] op_sel:[0,1]
	s_and_saveexec_b64 s[18:19], s[0:1]
	s_cbranch_execz .LBB226_577
; %bb.574:                              ;   in Loop: Header=BB226_332 Depth=1
	v_and_b32_sdwa v67, v66, s23 dst_sel:DWORD dst_unused:UNUSED_PAD src0_sel:BYTE_1 src1_sel:DWORD
	s_mov_b32 s14, s6
	v_cmp_ne_u32_e64 s[0:1], s23, v67
	v_pk_mov_b32 v[70:71], s[14:15], s[14:15] op_sel:[0,1]
	s_and_saveexec_b64 s[20:21], s[0:1]
	s_cbranch_execz .LBB226_576
; %bb.575:                              ;   in Loop: Header=BB226_332 Depth=1
	v_and_b32_sdwa v18, v66, v87 dst_sel:DWORD dst_unused:UNUSED_PAD src0_sel:BYTE_1 src1_sel:DWORD
	v_ffbh_u32_e32 v70, v18
	v_min_u32_e32 v73, 32, v70
	v_subrev_u32_e32 v70, 28, v73
	v_lshlrev_b64 v[70:71], v70, v[18:19]
	v_lshrrev_b32_e32 v72, 3, v67
	v_sub_u32_e32 v71, 29, v73
	v_cmp_gt_u32_e64 s[0:1], 8, v67
	v_and_b32_e32 v70, 7, v70
	v_cndmask_b32_e64 v67, v72, v71, s[0:1]
	v_cndmask_b32_e64 v18, v18, v70, s[0:1]
	v_lshlrev_b32_e32 v70, 16, v66
	v_lshl_add_u32 v67, v67, 23, v53
	v_and_or_b32 v67, v70, s7, v67
	v_lshlrev_b32_e32 v18, 20, v18
	v_or_b32_e32 v71, v67, v18
	v_mov_b32_e32 v70, v19
.LBB226_576:                            ;   in Loop: Header=BB226_332 Depth=1
	s_or_b64 exec, exec, s[20:21]
.LBB226_577:                            ;   in Loop: Header=BB226_332 Depth=1
	s_or_b64 exec, exec, s[18:19]
.LBB226_578:                            ;   in Loop: Header=BB226_332 Depth=1
	s_or_b64 exec, exec, s[16:17]
	v_lshrrev_b32_e32 v18, 16, v66
	v_pk_mov_b32 v[74:75], 0, 0
	v_cmp_ne_u16_sdwa s[0:1], v18, v19 src0_sel:BYTE_0 src1_sel:DWORD
	v_pk_mov_b32 v[72:73], v[74:75], v[74:75] op_sel:[0,1]
	s_and_saveexec_b64 s[16:17], s[0:1]
	s_cbranch_execz .LBB226_584
; %bb.579:                              ;   in Loop: Header=BB226_332 Depth=1
	v_bfrev_b32_e32 v72, 1
	v_cmp_ne_u16_sdwa s[0:1], v18, s22 src0_sel:BYTE_0 src1_sel:DWORD
	v_mov_b32_e32 v73, 0
	s_and_saveexec_b64 s[18:19], s[0:1]
	s_cbranch_execz .LBB226_583
; %bb.580:                              ;   in Loop: Header=BB226_332 Depth=1
	v_bfe_u32 v67, v66, 16, 7
	v_mov_b32_e32 v72, 0x7f800001
	v_cmp_ne_u32_e64 s[0:1], s23, v67
	v_mov_b32_e32 v73, 0
	s_and_saveexec_b64 s[20:21], s[0:1]
	s_cbranch_execz .LBB226_582
; %bb.581:                              ;   in Loop: Header=BB226_332 Depth=1
	v_and_b32_e32 v76, 7, v18
	v_ffbh_u32_e32 v72, v76
	v_min_u32_e32 v78, 32, v72
	v_subrev_u32_e32 v72, 28, v78
	v_lshlrev_b64 v[72:73], v72, v[18:19]
	v_lshrrev_b32_e32 v77, 3, v67
	v_sub_u32_e32 v73, 29, v78
	v_and_b32_e32 v72, 7, v72
	v_cmp_gt_u32_e64 s[0:1], 8, v67
	v_cndmask_b32_e64 v67, v77, v73, s[0:1]
	v_cndmask_b32_e64 v72, v76, v72, s[0:1]
	v_lshlrev_b32_e32 v72, 20, v72
	v_and_b32_sdwa v18, sext(v18), s7 dst_sel:DWORD dst_unused:UNUSED_PAD src0_sel:BYTE_0 src1_sel:DWORD
	v_lshl_add_u32 v67, v67, 23, v53
	v_or3_b32 v18, v18, v67, v72
	v_pk_mov_b32 v[72:73], v[18:19], v[18:19] op_sel:[0,1]
.LBB226_582:                            ;   in Loop: Header=BB226_332 Depth=1
	s_or_b64 exec, exec, s[20:21]
.LBB226_583:                            ;   in Loop: Header=BB226_332 Depth=1
	s_or_b64 exec, exec, s[18:19]
.LBB226_584:                            ;   in Loop: Header=BB226_332 Depth=1
	s_or_b64 exec, exec, s[16:17]
	v_cmp_lt_u32_e64 s[0:1], s24, v66
	s_and_saveexec_b64 s[16:17], s[0:1]
	s_cbranch_execz .LBB226_590
; %bb.585:                              ;   in Loop: Header=BB226_332 Depth=1
	v_cmp_ne_u32_sdwa s[0:1], v66, s22 src0_sel:BYTE_3 src1_sel:DWORD
	v_pk_mov_b32 v[74:75], s[6:7], s[6:7] op_sel:[0,1]
	s_and_saveexec_b64 s[18:19], s[0:1]
	s_cbranch_execz .LBB226_589
; %bb.586:                              ;   in Loop: Header=BB226_332 Depth=1
	v_bfe_u32 v67, v66, 24, 7
	s_mov_b32 s14, s6
	v_cmp_ne_u32_e64 s[0:1], s23, v67
	v_pk_mov_b32 v[74:75], s[14:15], s[14:15] op_sel:[0,1]
	s_and_saveexec_b64 s[20:21], s[0:1]
	s_cbranch_execz .LBB226_588
; %bb.587:                              ;   in Loop: Header=BB226_332 Depth=1
	v_and_b32_sdwa v18, v66, v87 dst_sel:DWORD dst_unused:UNUSED_PAD src0_sel:BYTE_3 src1_sel:DWORD
	v_ffbh_u32_e32 v74, v18
	v_min_u32_e32 v77, 32, v74
	v_subrev_u32_e32 v74, 28, v77
	v_lshlrev_b64 v[74:75], v74, v[18:19]
	v_lshrrev_b32_e32 v76, 3, v67
	v_sub_u32_e32 v75, 29, v77
	v_cmp_gt_u32_e64 s[0:1], 8, v67
	v_and_b32_e32 v74, 7, v74
	v_cndmask_b32_e64 v67, v76, v75, s[0:1]
	v_cndmask_b32_e64 v18, v18, v74, s[0:1]
	v_lshlrev_b32_sdwa v66, v88, v66 dst_sel:DWORD dst_unused:UNUSED_PAD src0_sel:DWORD src1_sel:BYTE_3
	v_lshl_add_u32 v67, v67, 23, v53
	v_and_or_b32 v66, v66, s7, v67
	v_lshlrev_b32_e32 v18, 20, v18
	v_or_b32_e32 v75, v66, v18
	v_mov_b32_e32 v74, v19
.LBB226_588:                            ;   in Loop: Header=BB226_332 Depth=1
	s_or_b64 exec, exec, s[20:21]
.LBB226_589:                            ;   in Loop: Header=BB226_332 Depth=1
	s_or_b64 exec, exec, s[18:19]
.LBB226_590:                            ;   in Loop: Header=BB226_332 Depth=1
	s_or_b64 exec, exec, s[16:17]
	v_or_b32_e32 v67, v71, v69
	v_or_b32_e32 v66, v70, v68
	;; [unrolled: 1-line block ×4, first 2 shown]
	v_pk_mul_f32 v[66:67], s[10:11], v[66:67]
	v_pk_mul_f32 v[68:69], s[10:11], v[68:69]
	s_and_saveexec_b64 s[16:17], vcc
; %bb.591:                              ;   in Loop: Header=BB226_332 Depth=1
	v_cmp_gt_i32_e64 s[0:1], s37, v89
	v_cndmask_b32_e64 v66, 0, v66, s[0:1]
	v_cmp_gt_i32_e64 s[0:1], s37, v91
	v_cndmask_b32_e64 v67, 0, v67, s[0:1]
	;; [unrolled: 2-line block ×4, first 2 shown]
; %bb.592:                              ;   in Loop: Header=BB226_332 Depth=1
	s_or_b64 exec, exec, s[16:17]
	global_load_dword v70, v[28:29], off offset:2560
	v_pk_mov_b32 v[74:75], 0, 0
	v_pk_mov_b32 v[72:73], v[74:75], v[74:75] op_sel:[0,1]
	s_waitcnt vmcnt(0)
	v_cmp_ne_u16_sdwa s[0:1], v70, v19 src0_sel:BYTE_0 src1_sel:DWORD
	s_and_saveexec_b64 s[16:17], s[0:1]
	s_cbranch_execz .LBB226_598
; %bb.593:                              ;   in Loop: Header=BB226_332 Depth=1
	v_bfrev_b32_e32 v72, 1
	v_cmp_ne_u16_sdwa s[0:1], v70, s22 src0_sel:BYTE_0 src1_sel:DWORD
	v_mov_b32_e32 v73, 0
	s_and_saveexec_b64 s[18:19], s[0:1]
	s_cbranch_execz .LBB226_597
; %bb.594:                              ;   in Loop: Header=BB226_332 Depth=1
	v_and_b32_e32 v18, 0x7f, v70
	v_mov_b32_e32 v72, 0x7f800001
	v_cmp_ne_u32_e64 s[0:1], s23, v18
	v_mov_b32_e32 v73, 0
	s_and_saveexec_b64 s[20:21], s[0:1]
	s_cbranch_execz .LBB226_596
; %bb.595:                              ;   in Loop: Header=BB226_332 Depth=1
	v_and_b32_e32 v71, 7, v70
	v_ffbh_u32_e32 v72, v71
	v_min_u32_e32 v77, 32, v72
	v_subrev_u32_e32 v72, 28, v77
	v_lshlrev_b64 v[72:73], v72, v[70:71]
	v_lshrrev_b32_e32 v76, 3, v18
	v_sub_u32_e32 v73, 29, v77
	v_and_b32_e32 v72, 7, v72
	v_cmp_gt_u32_e64 s[0:1], 8, v18
	v_cndmask_b32_e64 v18, v76, v73, s[0:1]
	v_cndmask_b32_e64 v71, v71, v72, s[0:1]
	v_lshlrev_b32_e32 v71, 20, v71
	v_and_b32_sdwa v72, sext(v70), s7 dst_sel:DWORD dst_unused:UNUSED_PAD src0_sel:BYTE_0 src1_sel:DWORD
	v_lshl_add_u32 v18, v18, 23, v53
	v_or3_b32 v18, v72, v18, v71
	v_pk_mov_b32 v[72:73], v[18:19], v[18:19] op_sel:[0,1]
.LBB226_596:                            ;   in Loop: Header=BB226_332 Depth=1
	s_or_b64 exec, exec, s[20:21]
.LBB226_597:                            ;   in Loop: Header=BB226_332 Depth=1
	s_or_b64 exec, exec, s[18:19]
.LBB226_598:                            ;   in Loop: Header=BB226_332 Depth=1
	s_or_b64 exec, exec, s[16:17]
	v_cmp_ne_u16_sdwa s[0:1], v70, v19 src0_sel:BYTE_1 src1_sel:DWORD
	s_and_saveexec_b64 s[16:17], s[0:1]
	s_cbranch_execz .LBB226_604
; %bb.599:                              ;   in Loop: Header=BB226_332 Depth=1
	v_cmp_ne_u16_sdwa s[0:1], v70, s22 src0_sel:BYTE_1 src1_sel:DWORD
	v_pk_mov_b32 v[74:75], s[6:7], s[6:7] op_sel:[0,1]
	s_and_saveexec_b64 s[18:19], s[0:1]
	s_cbranch_execz .LBB226_603
; %bb.600:                              ;   in Loop: Header=BB226_332 Depth=1
	v_and_b32_sdwa v71, v70, s23 dst_sel:DWORD dst_unused:UNUSED_PAD src0_sel:BYTE_1 src1_sel:DWORD
	s_mov_b32 s14, s6
	v_cmp_ne_u32_e64 s[0:1], s23, v71
	v_pk_mov_b32 v[74:75], s[14:15], s[14:15] op_sel:[0,1]
	s_and_saveexec_b64 s[20:21], s[0:1]
	s_cbranch_execz .LBB226_602
; %bb.601:                              ;   in Loop: Header=BB226_332 Depth=1
	v_and_b32_sdwa v18, v70, v87 dst_sel:DWORD dst_unused:UNUSED_PAD src0_sel:BYTE_1 src1_sel:DWORD
	v_ffbh_u32_e32 v74, v18
	v_min_u32_e32 v77, 32, v74
	v_subrev_u32_e32 v74, 28, v77
	v_lshlrev_b64 v[74:75], v74, v[18:19]
	v_lshrrev_b32_e32 v76, 3, v71
	v_sub_u32_e32 v75, 29, v77
	v_cmp_gt_u32_e64 s[0:1], 8, v71
	v_and_b32_e32 v74, 7, v74
	v_cndmask_b32_e64 v71, v76, v75, s[0:1]
	v_cndmask_b32_e64 v18, v18, v74, s[0:1]
	v_lshlrev_b32_e32 v74, 16, v70
	v_lshl_add_u32 v71, v71, 23, v53
	v_and_or_b32 v71, v74, s7, v71
	v_lshlrev_b32_e32 v18, 20, v18
	v_or_b32_e32 v75, v71, v18
	v_mov_b32_e32 v74, v19
.LBB226_602:                            ;   in Loop: Header=BB226_332 Depth=1
	s_or_b64 exec, exec, s[20:21]
.LBB226_603:                            ;   in Loop: Header=BB226_332 Depth=1
	s_or_b64 exec, exec, s[18:19]
.LBB226_604:                            ;   in Loop: Header=BB226_332 Depth=1
	s_or_b64 exec, exec, s[16:17]
	v_lshrrev_b32_e32 v18, 16, v70
	v_pk_mov_b32 v[78:79], 0, 0
	v_cmp_ne_u16_sdwa s[0:1], v18, v19 src0_sel:BYTE_0 src1_sel:DWORD
	v_pk_mov_b32 v[76:77], v[78:79], v[78:79] op_sel:[0,1]
	s_and_saveexec_b64 s[16:17], s[0:1]
	s_cbranch_execz .LBB226_610
; %bb.605:                              ;   in Loop: Header=BB226_332 Depth=1
	v_bfrev_b32_e32 v76, 1
	v_cmp_ne_u16_sdwa s[0:1], v18, s22 src0_sel:BYTE_0 src1_sel:DWORD
	v_mov_b32_e32 v77, 0
	s_and_saveexec_b64 s[18:19], s[0:1]
	s_cbranch_execz .LBB226_609
; %bb.606:                              ;   in Loop: Header=BB226_332 Depth=1
	v_bfe_u32 v71, v70, 16, 7
	v_mov_b32_e32 v76, 0x7f800001
	v_cmp_ne_u32_e64 s[0:1], s23, v71
	v_mov_b32_e32 v77, 0
	s_and_saveexec_b64 s[20:21], s[0:1]
	s_cbranch_execz .LBB226_608
; %bb.607:                              ;   in Loop: Header=BB226_332 Depth=1
	v_and_b32_e32 v80, 7, v18
	v_ffbh_u32_e32 v76, v80
	v_min_u32_e32 v92, 32, v76
	v_subrev_u32_e32 v76, 28, v92
	v_lshlrev_b64 v[76:77], v76, v[18:19]
	v_lshrrev_b32_e32 v81, 3, v71
	v_sub_u32_e32 v77, 29, v92
	v_and_b32_e32 v76, 7, v76
	v_cmp_gt_u32_e64 s[0:1], 8, v71
	v_cndmask_b32_e64 v71, v81, v77, s[0:1]
	v_cndmask_b32_e64 v76, v80, v76, s[0:1]
	v_lshlrev_b32_e32 v76, 20, v76
	v_and_b32_sdwa v18, sext(v18), s7 dst_sel:DWORD dst_unused:UNUSED_PAD src0_sel:BYTE_0 src1_sel:DWORD
	v_lshl_add_u32 v71, v71, 23, v53
	v_or3_b32 v18, v18, v71, v76
	v_pk_mov_b32 v[76:77], v[18:19], v[18:19] op_sel:[0,1]
.LBB226_608:                            ;   in Loop: Header=BB226_332 Depth=1
	s_or_b64 exec, exec, s[20:21]
.LBB226_609:                            ;   in Loop: Header=BB226_332 Depth=1
	s_or_b64 exec, exec, s[18:19]
.LBB226_610:                            ;   in Loop: Header=BB226_332 Depth=1
	s_or_b64 exec, exec, s[16:17]
	v_cmp_lt_u32_e64 s[0:1], s24, v70
	s_and_saveexec_b64 s[16:17], s[0:1]
	s_cbranch_execz .LBB226_616
; %bb.611:                              ;   in Loop: Header=BB226_332 Depth=1
	v_cmp_ne_u32_sdwa s[0:1], v70, s22 src0_sel:BYTE_3 src1_sel:DWORD
	v_pk_mov_b32 v[78:79], s[6:7], s[6:7] op_sel:[0,1]
	s_and_saveexec_b64 s[18:19], s[0:1]
	s_cbranch_execz .LBB226_615
; %bb.612:                              ;   in Loop: Header=BB226_332 Depth=1
	v_bfe_u32 v71, v70, 24, 7
	s_mov_b32 s14, s6
	v_cmp_ne_u32_e64 s[0:1], s23, v71
	v_pk_mov_b32 v[78:79], s[14:15], s[14:15] op_sel:[0,1]
	s_and_saveexec_b64 s[20:21], s[0:1]
	s_cbranch_execz .LBB226_614
; %bb.613:                              ;   in Loop: Header=BB226_332 Depth=1
	v_and_b32_sdwa v18, v70, v87 dst_sel:DWORD dst_unused:UNUSED_PAD src0_sel:BYTE_3 src1_sel:DWORD
	v_ffbh_u32_e32 v78, v18
	v_min_u32_e32 v81, 32, v78
	v_subrev_u32_e32 v78, 28, v81
	v_lshlrev_b64 v[78:79], v78, v[18:19]
	v_lshrrev_b32_e32 v80, 3, v71
	v_sub_u32_e32 v79, 29, v81
	v_cmp_gt_u32_e64 s[0:1], 8, v71
	v_and_b32_e32 v78, 7, v78
	v_cndmask_b32_e64 v71, v80, v79, s[0:1]
	v_cndmask_b32_e64 v18, v18, v78, s[0:1]
	v_lshlrev_b32_sdwa v70, v88, v70 dst_sel:DWORD dst_unused:UNUSED_PAD src0_sel:DWORD src1_sel:BYTE_3
	v_lshl_add_u32 v71, v71, 23, v53
	v_and_or_b32 v70, v70, s7, v71
	v_lshlrev_b32_e32 v18, 20, v18
	v_or_b32_e32 v79, v70, v18
	v_mov_b32_e32 v78, v19
.LBB226_614:                            ;   in Loop: Header=BB226_332 Depth=1
	s_or_b64 exec, exec, s[20:21]
.LBB226_615:                            ;   in Loop: Header=BB226_332 Depth=1
	s_or_b64 exec, exec, s[18:19]
.LBB226_616:                            ;   in Loop: Header=BB226_332 Depth=1
	s_or_b64 exec, exec, s[16:17]
	v_or_b32_e32 v71, v75, v73
	v_or_b32_e32 v70, v74, v72
	;; [unrolled: 1-line block ×4, first 2 shown]
	v_pk_mul_f32 v[70:71], s[10:11], v[70:71]
	v_pk_mul_f32 v[72:73], s[10:11], v[72:73]
	s_and_saveexec_b64 s[16:17], vcc
; %bb.617:                              ;   in Loop: Header=BB226_332 Depth=1
	v_cmp_gt_i32_e64 s[0:1], s37, v89
	v_cndmask_b32_e64 v70, 0, v70, s[0:1]
	v_cmp_gt_i32_e64 s[0:1], s37, v91
	v_cndmask_b32_e64 v71, 0, v71, s[0:1]
	;; [unrolled: 2-line block ×4, first 2 shown]
; %bb.618:                              ;   in Loop: Header=BB226_332 Depth=1
	s_or_b64 exec, exec, s[16:17]
	global_load_dword v28, v[28:29], off offset:2816
	v_pk_mov_b32 v[76:77], 0, 0
	v_pk_mov_b32 v[74:75], v[76:77], v[76:77] op_sel:[0,1]
	s_waitcnt vmcnt(0)
	v_cmp_ne_u16_sdwa s[0:1], v28, v19 src0_sel:BYTE_0 src1_sel:DWORD
	s_and_saveexec_b64 s[16:17], s[0:1]
	s_cbranch_execz .LBB226_624
; %bb.619:                              ;   in Loop: Header=BB226_332 Depth=1
	v_bfrev_b32_e32 v74, 1
	v_cmp_ne_u16_sdwa s[0:1], v28, s22 src0_sel:BYTE_0 src1_sel:DWORD
	v_mov_b32_e32 v75, 0
	s_and_saveexec_b64 s[18:19], s[0:1]
	s_cbranch_execz .LBB226_623
; %bb.620:                              ;   in Loop: Header=BB226_332 Depth=1
	v_and_b32_e32 v18, 0x7f, v28
	v_mov_b32_e32 v74, 0x7f800001
	v_cmp_ne_u32_e64 s[0:1], s23, v18
	v_mov_b32_e32 v75, 0
	s_and_saveexec_b64 s[20:21], s[0:1]
	s_cbranch_execz .LBB226_622
; %bb.621:                              ;   in Loop: Header=BB226_332 Depth=1
	v_and_b32_e32 v29, 7, v28
	v_ffbh_u32_e32 v74, v29
	v_min_u32_e32 v79, 32, v74
	v_subrev_u32_e32 v74, 28, v79
	v_lshlrev_b64 v[74:75], v74, v[28:29]
	v_lshrrev_b32_e32 v78, 3, v18
	v_sub_u32_e32 v75, 29, v79
	v_and_b32_e32 v74, 7, v74
	v_cmp_gt_u32_e64 s[0:1], 8, v18
	v_cndmask_b32_e64 v18, v78, v75, s[0:1]
	v_cndmask_b32_e64 v29, v29, v74, s[0:1]
	v_lshlrev_b32_e32 v29, 20, v29
	v_and_b32_sdwa v74, sext(v28), s7 dst_sel:DWORD dst_unused:UNUSED_PAD src0_sel:BYTE_0 src1_sel:DWORD
	v_lshl_add_u32 v18, v18, 23, v53
	v_or3_b32 v18, v74, v18, v29
	v_pk_mov_b32 v[74:75], v[18:19], v[18:19] op_sel:[0,1]
.LBB226_622:                            ;   in Loop: Header=BB226_332 Depth=1
	s_or_b64 exec, exec, s[20:21]
.LBB226_623:                            ;   in Loop: Header=BB226_332 Depth=1
	s_or_b64 exec, exec, s[18:19]
.LBB226_624:                            ;   in Loop: Header=BB226_332 Depth=1
	s_or_b64 exec, exec, s[16:17]
	v_cmp_ne_u16_sdwa s[0:1], v28, v19 src0_sel:BYTE_1 src1_sel:DWORD
	s_and_saveexec_b64 s[16:17], s[0:1]
	s_cbranch_execz .LBB226_630
; %bb.625:                              ;   in Loop: Header=BB226_332 Depth=1
	v_cmp_ne_u16_sdwa s[0:1], v28, s22 src0_sel:BYTE_1 src1_sel:DWORD
	v_pk_mov_b32 v[76:77], s[6:7], s[6:7] op_sel:[0,1]
	s_and_saveexec_b64 s[18:19], s[0:1]
	s_cbranch_execz .LBB226_629
; %bb.626:                              ;   in Loop: Header=BB226_332 Depth=1
	v_and_b32_sdwa v29, v28, s23 dst_sel:DWORD dst_unused:UNUSED_PAD src0_sel:BYTE_1 src1_sel:DWORD
	s_mov_b32 s14, s6
	v_cmp_ne_u32_e64 s[0:1], s23, v29
	v_pk_mov_b32 v[76:77], s[14:15], s[14:15] op_sel:[0,1]
	s_and_saveexec_b64 s[20:21], s[0:1]
	s_cbranch_execz .LBB226_628
; %bb.627:                              ;   in Loop: Header=BB226_332 Depth=1
	v_and_b32_sdwa v18, v28, v87 dst_sel:DWORD dst_unused:UNUSED_PAD src0_sel:BYTE_1 src1_sel:DWORD
	v_ffbh_u32_e32 v76, v18
	v_min_u32_e32 v79, 32, v76
	v_subrev_u32_e32 v76, 28, v79
	v_lshlrev_b64 v[76:77], v76, v[18:19]
	v_lshrrev_b32_e32 v78, 3, v29
	v_sub_u32_e32 v77, 29, v79
	v_cmp_gt_u32_e64 s[0:1], 8, v29
	v_and_b32_e32 v76, 7, v76
	v_cndmask_b32_e64 v29, v78, v77, s[0:1]
	v_cndmask_b32_e64 v18, v18, v76, s[0:1]
	v_lshlrev_b32_e32 v76, 16, v28
	v_lshl_add_u32 v29, v29, 23, v53
	v_and_or_b32 v29, v76, s7, v29
	v_lshlrev_b32_e32 v18, 20, v18
	v_or_b32_e32 v77, v29, v18
	v_mov_b32_e32 v76, v19
.LBB226_628:                            ;   in Loop: Header=BB226_332 Depth=1
	s_or_b64 exec, exec, s[20:21]
.LBB226_629:                            ;   in Loop: Header=BB226_332 Depth=1
	s_or_b64 exec, exec, s[18:19]
.LBB226_630:                            ;   in Loop: Header=BB226_332 Depth=1
	s_or_b64 exec, exec, s[16:17]
	v_lshrrev_b32_e32 v18, 16, v28
	v_pk_mov_b32 v[80:81], 0, 0
	v_cmp_ne_u16_sdwa s[0:1], v18, v19 src0_sel:BYTE_0 src1_sel:DWORD
	v_pk_mov_b32 v[78:79], v[80:81], v[80:81] op_sel:[0,1]
	s_and_saveexec_b64 s[16:17], s[0:1]
	s_cbranch_execz .LBB226_636
; %bb.631:                              ;   in Loop: Header=BB226_332 Depth=1
	v_bfrev_b32_e32 v78, 1
	v_cmp_ne_u16_sdwa s[0:1], v18, s22 src0_sel:BYTE_0 src1_sel:DWORD
	v_mov_b32_e32 v79, 0
	s_and_saveexec_b64 s[18:19], s[0:1]
	s_cbranch_execz .LBB226_635
; %bb.632:                              ;   in Loop: Header=BB226_332 Depth=1
	v_bfe_u32 v29, v28, 16, 7
	v_mov_b32_e32 v78, 0x7f800001
	v_cmp_ne_u32_e64 s[0:1], s23, v29
	v_mov_b32_e32 v79, 0
	s_and_saveexec_b64 s[20:21], s[0:1]
	s_cbranch_execz .LBB226_634
; %bb.633:                              ;   in Loop: Header=BB226_332 Depth=1
	v_and_b32_e32 v92, 7, v18
	v_ffbh_u32_e32 v78, v92
	v_min_u32_e32 v94, 32, v78
	v_subrev_u32_e32 v78, 28, v94
	v_lshlrev_b64 v[78:79], v78, v[18:19]
	v_lshrrev_b32_e32 v93, 3, v29
	v_sub_u32_e32 v79, 29, v94
	v_and_b32_e32 v78, 7, v78
	v_cmp_gt_u32_e64 s[0:1], 8, v29
	v_cndmask_b32_e64 v29, v93, v79, s[0:1]
	v_cndmask_b32_e64 v78, v92, v78, s[0:1]
	v_lshlrev_b32_e32 v78, 20, v78
	v_and_b32_sdwa v18, sext(v18), s7 dst_sel:DWORD dst_unused:UNUSED_PAD src0_sel:BYTE_0 src1_sel:DWORD
	v_lshl_add_u32 v29, v29, 23, v53
	v_or3_b32 v18, v18, v29, v78
	v_pk_mov_b32 v[78:79], v[18:19], v[18:19] op_sel:[0,1]
.LBB226_634:                            ;   in Loop: Header=BB226_332 Depth=1
	s_or_b64 exec, exec, s[20:21]
.LBB226_635:                            ;   in Loop: Header=BB226_332 Depth=1
	s_or_b64 exec, exec, s[18:19]
.LBB226_636:                            ;   in Loop: Header=BB226_332 Depth=1
	s_or_b64 exec, exec, s[16:17]
	v_cmp_lt_u32_e64 s[0:1], s24, v28
	s_and_saveexec_b64 s[16:17], s[0:1]
	s_cbranch_execz .LBB226_642
; %bb.637:                              ;   in Loop: Header=BB226_332 Depth=1
	v_cmp_ne_u32_sdwa s[0:1], v28, s22 src0_sel:BYTE_3 src1_sel:DWORD
	v_pk_mov_b32 v[80:81], s[6:7], s[6:7] op_sel:[0,1]
	s_and_saveexec_b64 s[18:19], s[0:1]
	s_cbranch_execz .LBB226_641
; %bb.638:                              ;   in Loop: Header=BB226_332 Depth=1
	v_bfe_u32 v29, v28, 24, 7
	s_mov_b32 s14, s6
	v_cmp_ne_u32_e64 s[0:1], s23, v29
	v_pk_mov_b32 v[80:81], s[14:15], s[14:15] op_sel:[0,1]
	s_and_saveexec_b64 s[20:21], s[0:1]
	s_cbranch_execz .LBB226_640
; %bb.639:                              ;   in Loop: Header=BB226_332 Depth=1
	v_and_b32_sdwa v18, v28, v87 dst_sel:DWORD dst_unused:UNUSED_PAD src0_sel:BYTE_3 src1_sel:DWORD
	v_ffbh_u32_e32 v80, v18
	v_min_u32_e32 v93, 32, v80
	v_subrev_u32_e32 v80, 28, v93
	v_lshlrev_b64 v[80:81], v80, v[18:19]
	v_lshrrev_b32_e32 v92, 3, v29
	v_sub_u32_e32 v81, 29, v93
	v_cmp_gt_u32_e64 s[0:1], 8, v29
	v_and_b32_e32 v80, 7, v80
	v_cndmask_b32_e64 v29, v92, v81, s[0:1]
	v_cndmask_b32_e64 v18, v18, v80, s[0:1]
	v_lshlrev_b32_sdwa v28, v88, v28 dst_sel:DWORD dst_unused:UNUSED_PAD src0_sel:DWORD src1_sel:BYTE_3
	v_lshl_add_u32 v29, v29, 23, v53
	v_and_or_b32 v28, v28, s7, v29
	v_lshlrev_b32_e32 v18, 20, v18
	v_or_b32_e32 v81, v28, v18
	v_mov_b32_e32 v80, v19
.LBB226_640:                            ;   in Loop: Header=BB226_332 Depth=1
	s_or_b64 exec, exec, s[20:21]
.LBB226_641:                            ;   in Loop: Header=BB226_332 Depth=1
	s_or_b64 exec, exec, s[18:19]
.LBB226_642:                            ;   in Loop: Header=BB226_332 Depth=1
	s_or_b64 exec, exec, s[16:17]
	v_or_b32_e32 v29, v77, v75
	v_or_b32_e32 v28, v76, v74
	;; [unrolled: 1-line block ×4, first 2 shown]
	v_pk_mul_f32 v[28:29], s[10:11], v[28:29]
	v_pk_mul_f32 v[74:75], s[10:11], v[74:75]
	s_and_saveexec_b64 s[0:1], vcc
	s_cbranch_execz .LBB226_331
; %bb.643:                              ;   in Loop: Header=BB226_332 Depth=1
	v_cmp_gt_i32_e32 vcc, s37, v89
	v_cndmask_b32_e32 v28, 0, v28, vcc
	v_cmp_gt_i32_e32 vcc, s37, v91
	v_cndmask_b32_e32 v29, 0, v29, vcc
	;; [unrolled: 2-line block ×4, first 2 shown]
	s_branch .LBB226_331
.LBB226_644:
	s_or_b64 exec, exec, s[12:13]
.LBB226_645:
	s_or_b64 exec, exec, s[4:5]
	ds_bpermute_b32 v2, v84, v16
	ds_bpermute_b32 v3, v84, v17
	;; [unrolled: 1-line block ×6, first 2 shown]
	s_waitcnt lgkmcnt(4)
	v_pk_add_f32 v[2:3], v[16:17], v[2:3]
	ds_bpermute_b32 v16, v83, v2
	ds_bpermute_b32 v17, v83, v3
	;; [unrolled: 1-line block ×4, first 2 shown]
	s_waitcnt lgkmcnt(4)
	v_pk_add_f32 v[4:5], v[14:15], v[4:5]
	ds_bpermute_b32 v28, v84, v6
	s_waitcnt lgkmcnt(3)
	v_pk_add_f32 v[2:3], v[2:3], v[16:17]
	v_pk_add_f32 v[16:17], v[12:13], v[18:19]
	ds_bpermute_b32 v12, v84, v10
	ds_bpermute_b32 v13, v84, v11
	;; [unrolled: 1-line block ×7, first 2 shown]
	s_waitcnt lgkmcnt(5)
	v_pk_add_f32 v[22:23], v[10:11], v[12:13]
	v_pk_add_f32 v[20:21], v[8:9], v[20:21]
	ds_bpermute_b32 v24, v83, v22
	ds_bpermute_b32 v25, v83, v23
	;; [unrolled: 1-line block ×4, first 2 shown]
	s_waitcnt lgkmcnt(8)
	v_pk_add_f32 v[6:7], v[6:7], v[28:29]
	s_waitcnt lgkmcnt(6)
	v_pk_add_f32 v[12:13], v[4:5], v[14:15]
	ds_bpermute_b32 v14, v83, v6
	ds_bpermute_b32 v15, v83, v7
	s_waitcnt lgkmcnt(6)
	v_pk_add_f32 v[10:11], v[16:17], v[18:19]
	v_and_b32_e32 v16, 0x3c3, v0
	s_waitcnt lgkmcnt(4)
	v_pk_add_f32 v[8:9], v[22:23], v[24:25]
	s_waitcnt lgkmcnt(2)
	v_pk_add_f32 v[4:5], v[20:21], v[26:27]
	v_cmp_ne_u32_e32 vcc, 64, v16
	s_waitcnt lgkmcnt(0)
	s_barrier
	s_and_saveexec_b64 s[0:1], vcc
	s_xor_b64 s[0:1], exec, s[0:1]
; %bb.646:
                                        ; implicit-def: $vgpr82
; %bb.647:
	s_or_saveexec_b64 s[0:1], s[0:1]
	v_pk_add_f32 v[6:7], v[6:7], v[14:15]
	s_xor_b64 exec, exec, s[0:1]
	s_cbranch_execz .LBB226_649
; %bb.648:
	v_add_u32_e32 v14, 0x310, v82
	ds_write2_b32 v14, v2, v3 offset1:16
	ds_write2_b32 v14, v12, v13 offset0:32 offset1:48
	ds_write2_b32 v14, v10, v11 offset0:64 offset1:80
	;; [unrolled: 1-line block ×5, first 2 shown]
.LBB226_649:
	s_or_b64 exec, exec, s[0:1]
	v_cmp_gt_u32_e32 vcc, 64, v0
	s_waitcnt lgkmcnt(0)
	s_barrier
	s_and_saveexec_b64 s[0:1], vcc
	s_cbranch_execz .LBB226_664
; %bb.650:
	v_cmp_eq_u32_e32 vcc, 0, v50
	s_and_saveexec_b64 s[4:5], vcc
	s_cbranch_execnz .LBB226_667
; %bb.651:
	s_or_b64 exec, exec, s[4:5]
	s_and_saveexec_b64 s[4:5], vcc
	s_cbranch_execnz .LBB226_668
.LBB226_652:
	s_or_b64 exec, exec, s[4:5]
	s_and_saveexec_b64 s[4:5], vcc
	s_cbranch_execnz .LBB226_669
.LBB226_653:
	s_or_b64 exec, exec, s[4:5]
	s_and_saveexec_b64 s[4:5], vcc
	s_cbranch_execnz .LBB226_670
.LBB226_654:
	s_or_b64 exec, exec, s[4:5]
	s_and_saveexec_b64 s[4:5], vcc
	s_cbranch_execnz .LBB226_671
.LBB226_655:
	s_or_b64 exec, exec, s[4:5]
	s_and_saveexec_b64 s[4:5], vcc
	s_cbranch_execnz .LBB226_672
.LBB226_656:
	s_or_b64 exec, exec, s[4:5]
	s_and_saveexec_b64 s[4:5], vcc
	s_cbranch_execnz .LBB226_673
.LBB226_657:
	s_or_b64 exec, exec, s[4:5]
	s_and_saveexec_b64 s[4:5], vcc
	s_cbranch_execnz .LBB226_674
.LBB226_658:
	s_or_b64 exec, exec, s[4:5]
	s_and_saveexec_b64 s[4:5], vcc
	s_cbranch_execnz .LBB226_675
.LBB226_659:
	s_or_b64 exec, exec, s[4:5]
	s_and_saveexec_b64 s[4:5], vcc
	s_cbranch_execnz .LBB226_676
.LBB226_660:
	s_or_b64 exec, exec, s[4:5]
	s_and_saveexec_b64 s[4:5], vcc
	s_cbranch_execnz .LBB226_677
.LBB226_661:
	s_or_b64 exec, exec, s[4:5]
	s_and_saveexec_b64 s[4:5], vcc
	s_cbranch_execz .LBB226_663
.LBB226_662:
	v_mov_b32_e32 v0, 0x310
	v_lshl_add_u32 v0, v51, 2, v0
	ds_read_b32 v0, v0 offset:704
	s_waitcnt lgkmcnt(0)
	v_add_f32_e32 v7, v7, v0
.LBB226_663:
	s_or_b64 exec, exec, s[4:5]
.LBB226_664:
	s_or_b64 exec, exec, s[0:1]
	v_cmp_eq_u32_e32 vcc, 0, v16
	s_barrier
	s_and_saveexec_b64 s[0:1], vcc
	s_cbranch_execz .LBB226_666
; %bb.665:
	s_mul_i32 s0, s2, 0xc0
	s_ashr_i32 s1, s0, 31
	s_lshl_b64 s[0:1], s[0:1], 2
	s_add_u32 s2, s28, s0
	s_mul_i32 s0, s33, s30
	s_addc_u32 s3, s29, s1
	s_ashr_i32 s1, s0, 31
	s_lshl_b64 s[0:1], s[0:1], 2
	s_add_u32 s2, s2, s0
	s_mul_i32 s0, s8, 0xc0
	s_addc_u32 s3, s3, s1
	s_ashr_i32 s1, s0, 31
	s_lshl_b64 s[0:1], s[0:1], 2
	s_add_u32 s0, s2, s0
	s_addc_u32 s1, s3, s1
	global_store_dword v1, v2, s[0:1]
	global_store_dword v1, v3, s[0:1] offset:64
	global_store_dword v1, v12, s[0:1] offset:128
	global_store_dword v1, v13, s[0:1] offset:192
	global_store_dword v1, v10, s[0:1] offset:256
	global_store_dword v1, v11, s[0:1] offset:320
	global_store_dword v1, v8, s[0:1] offset:384
	global_store_dword v1, v9, s[0:1] offset:448
	global_store_dword v1, v4, s[0:1] offset:512
	global_store_dword v1, v5, s[0:1] offset:576
	global_store_dword v1, v6, s[0:1] offset:640
	global_store_dword v1, v7, s[0:1] offset:704
.LBB226_666:
	s_endpgm
.LBB226_667:
	v_mov_b32_e32 v0, 0x310
	v_lshl_add_u32 v0, v51, 2, v0
	ds_read_b32 v0, v0
	s_waitcnt lgkmcnt(0)
	v_add_f32_e32 v2, v2, v0
	s_or_b64 exec, exec, s[4:5]
	s_and_saveexec_b64 s[4:5], vcc
	s_cbranch_execz .LBB226_652
.LBB226_668:
	v_mov_b32_e32 v0, 0x310
	v_lshl_add_u32 v0, v51, 2, v0
	ds_read_b32 v0, v0 offset:64
	s_waitcnt lgkmcnt(0)
	v_add_f32_e32 v3, v3, v0
	s_or_b64 exec, exec, s[4:5]
	s_and_saveexec_b64 s[4:5], vcc
	s_cbranch_execz .LBB226_653
.LBB226_669:
	v_mov_b32_e32 v0, 0x310
	v_lshl_add_u32 v0, v51, 2, v0
	ds_read_b32 v0, v0 offset:128
	s_waitcnt lgkmcnt(0)
	v_add_f32_e32 v12, v12, v0
	s_or_b64 exec, exec, s[4:5]
	s_and_saveexec_b64 s[4:5], vcc
	s_cbranch_execz .LBB226_654
.LBB226_670:
	v_mov_b32_e32 v0, 0x310
	v_lshl_add_u32 v0, v51, 2, v0
	ds_read_b32 v0, v0 offset:192
	s_waitcnt lgkmcnt(0)
	v_add_f32_e32 v13, v13, v0
	s_or_b64 exec, exec, s[4:5]
	s_and_saveexec_b64 s[4:5], vcc
	s_cbranch_execz .LBB226_655
.LBB226_671:
	v_mov_b32_e32 v0, 0x310
	v_lshl_add_u32 v0, v51, 2, v0
	ds_read_b32 v0, v0 offset:256
	s_waitcnt lgkmcnt(0)
	v_add_f32_e32 v10, v10, v0
	s_or_b64 exec, exec, s[4:5]
	s_and_saveexec_b64 s[4:5], vcc
	s_cbranch_execz .LBB226_656
.LBB226_672:
	v_mov_b32_e32 v0, 0x310
	v_lshl_add_u32 v0, v51, 2, v0
	ds_read_b32 v0, v0 offset:320
	s_waitcnt lgkmcnt(0)
	v_add_f32_e32 v11, v11, v0
	s_or_b64 exec, exec, s[4:5]
	s_and_saveexec_b64 s[4:5], vcc
	s_cbranch_execz .LBB226_657
.LBB226_673:
	v_mov_b32_e32 v0, 0x310
	v_lshl_add_u32 v0, v51, 2, v0
	ds_read_b32 v0, v0 offset:384
	s_waitcnt lgkmcnt(0)
	v_add_f32_e32 v8, v8, v0
	s_or_b64 exec, exec, s[4:5]
	s_and_saveexec_b64 s[4:5], vcc
	s_cbranch_execz .LBB226_658
.LBB226_674:
	v_mov_b32_e32 v0, 0x310
	v_lshl_add_u32 v0, v51, 2, v0
	ds_read_b32 v0, v0 offset:448
	s_waitcnt lgkmcnt(0)
	v_add_f32_e32 v9, v9, v0
	s_or_b64 exec, exec, s[4:5]
	s_and_saveexec_b64 s[4:5], vcc
	s_cbranch_execz .LBB226_659
.LBB226_675:
	v_mov_b32_e32 v0, 0x310
	v_lshl_add_u32 v0, v51, 2, v0
	ds_read_b32 v0, v0 offset:512
	s_waitcnt lgkmcnt(0)
	v_add_f32_e32 v4, v4, v0
	s_or_b64 exec, exec, s[4:5]
	s_and_saveexec_b64 s[4:5], vcc
	s_cbranch_execz .LBB226_660
.LBB226_676:
	v_mov_b32_e32 v0, 0x310
	v_lshl_add_u32 v0, v51, 2, v0
	ds_read_b32 v0, v0 offset:576
	s_waitcnt lgkmcnt(0)
	v_add_f32_e32 v5, v5, v0
	s_or_b64 exec, exec, s[4:5]
	s_and_saveexec_b64 s[4:5], vcc
	s_cbranch_execz .LBB226_661
.LBB226_677:
	v_mov_b32_e32 v0, 0x310
	v_lshl_add_u32 v0, v51, 2, v0
	ds_read_b32 v0, v0 offset:640
	s_waitcnt lgkmcnt(0)
	v_add_f32_e32 v6, v6, v0
	s_or_b64 exec, exec, s[4:5]
	s_and_saveexec_b64 s[4:5], vcc
	s_cbranch_execnz .LBB226_662
	s_branch .LBB226_663
	.section	.rodata,"a",@progbits
	.p2align	6, 0x0
	.amdhsa_kernel _ZN4vllm25paged_attention_v2_kernelIfhLi192ELi16ELi128ELNS_18Fp8KVCacheDataTypeE1ELb0ELi512EEEvPfS2_PT_PKS3_PKT0_S9_ifPKiSB_iPKfiiiSD_SD_iiiii
		.amdhsa_group_segment_fixed_size 784
		.amdhsa_private_segment_fixed_size 0
		.amdhsa_kernarg_size 400
		.amdhsa_user_sgpr_count 6
		.amdhsa_user_sgpr_private_segment_buffer 1
		.amdhsa_user_sgpr_dispatch_ptr 0
		.amdhsa_user_sgpr_queue_ptr 0
		.amdhsa_user_sgpr_kernarg_segment_ptr 1
		.amdhsa_user_sgpr_dispatch_id 0
		.amdhsa_user_sgpr_flat_scratch_init 0
		.amdhsa_user_sgpr_kernarg_preload_length 0
		.amdhsa_user_sgpr_kernarg_preload_offset 0
		.amdhsa_user_sgpr_private_segment_size 0
		.amdhsa_uses_dynamic_stack 0
		.amdhsa_system_sgpr_private_segment_wavefront_offset 0
		.amdhsa_system_sgpr_workgroup_id_x 1
		.amdhsa_system_sgpr_workgroup_id_y 1
		.amdhsa_system_sgpr_workgroup_id_z 1
		.amdhsa_system_sgpr_workgroup_info 0
		.amdhsa_system_vgpr_workitem_id 0
		.amdhsa_next_free_vgpr 125
		.amdhsa_next_free_sgpr 51
		.amdhsa_accum_offset 128
		.amdhsa_reserve_vcc 1
		.amdhsa_reserve_flat_scratch 0
		.amdhsa_float_round_mode_32 0
		.amdhsa_float_round_mode_16_64 0
		.amdhsa_float_denorm_mode_32 3
		.amdhsa_float_denorm_mode_16_64 3
		.amdhsa_dx10_clamp 1
		.amdhsa_ieee_mode 1
		.amdhsa_fp16_overflow 0
		.amdhsa_tg_split 0
		.amdhsa_exception_fp_ieee_invalid_op 0
		.amdhsa_exception_fp_denorm_src 0
		.amdhsa_exception_fp_ieee_div_zero 0
		.amdhsa_exception_fp_ieee_overflow 0
		.amdhsa_exception_fp_ieee_underflow 0
		.amdhsa_exception_fp_ieee_inexact 0
		.amdhsa_exception_int_div_zero 0
	.end_amdhsa_kernel
	.section	.text._ZN4vllm25paged_attention_v2_kernelIfhLi192ELi16ELi128ELNS_18Fp8KVCacheDataTypeE1ELb0ELi512EEEvPfS2_PT_PKS3_PKT0_S9_ifPKiSB_iPKfiiiSD_SD_iiiii,"axG",@progbits,_ZN4vllm25paged_attention_v2_kernelIfhLi192ELi16ELi128ELNS_18Fp8KVCacheDataTypeE1ELb0ELi512EEEvPfS2_PT_PKS3_PKT0_S9_ifPKiSB_iPKfiiiSD_SD_iiiii,comdat
.Lfunc_end226:
	.size	_ZN4vllm25paged_attention_v2_kernelIfhLi192ELi16ELi128ELNS_18Fp8KVCacheDataTypeE1ELb0ELi512EEEvPfS2_PT_PKS3_PKT0_S9_ifPKiSB_iPKfiiiSD_SD_iiiii, .Lfunc_end226-_ZN4vllm25paged_attention_v2_kernelIfhLi192ELi16ELi128ELNS_18Fp8KVCacheDataTypeE1ELb0ELi512EEEvPfS2_PT_PKS3_PKT0_S9_ifPKiSB_iPKfiiiSD_SD_iiiii
                                        ; -- End function
	.section	.AMDGPU.csdata,"",@progbits
; Kernel info:
; codeLenInByte = 24000
; NumSgprs: 55
; NumVgprs: 125
; NumAgprs: 0
; TotalNumVgprs: 125
; ScratchSize: 0
; MemoryBound: 0
; FloatMode: 240
; IeeeMode: 1
; LDSByteSize: 784 bytes/workgroup (compile time only)
; SGPRBlocks: 6
; VGPRBlocks: 15
; NumSGPRsForWavesPerEU: 55
; NumVGPRsForWavesPerEU: 125
; AccumOffset: 128
; Occupancy: 4
; WaveLimiterHint : 1
; COMPUTE_PGM_RSRC2:SCRATCH_EN: 0
; COMPUTE_PGM_RSRC2:USER_SGPR: 6
; COMPUTE_PGM_RSRC2:TRAP_HANDLER: 0
; COMPUTE_PGM_RSRC2:TGID_X_EN: 1
; COMPUTE_PGM_RSRC2:TGID_Y_EN: 1
; COMPUTE_PGM_RSRC2:TGID_Z_EN: 1
; COMPUTE_PGM_RSRC2:TIDIG_COMP_CNT: 0
; COMPUTE_PGM_RSRC3_GFX90A:ACCUM_OFFSET: 31
; COMPUTE_PGM_RSRC3_GFX90A:TG_SPLIT: 0
	.text
	.p2align	2                               ; -- Begin function _ZN4vllm22paged_attention_kernelIfhLi256ELi16ELi128ELNS_18Fp8KVCacheDataTypeE1ELb0ELi512EEEvPfS2_PT_PKS3_PKT0_S9_ifPKiSB_iPKfiiiSD_SD_iiiii
	.type	_ZN4vllm22paged_attention_kernelIfhLi256ELi16ELi128ELNS_18Fp8KVCacheDataTypeE1ELb0ELi512EEEvPfS2_PT_PKS3_PKT0_S9_ifPKiSB_iPKfiiiSD_SD_iiiii,@function
_ZN4vllm22paged_attention_kernelIfhLi256ELi16ELi128ELNS_18Fp8KVCacheDataTypeE1ELb0ELi512EEEvPfS2_PT_PKS3_PKT0_S9_ifPKiSB_iPKfiiiSD_SD_iiiii: ; @_ZN4vllm22paged_attention_kernelIfhLi256ELi16ELi128ELNS_18Fp8KVCacheDataTypeE1ELb0ELi512EEEvPfS2_PT_PKS3_PKT0_S9_ifPKiSB_iPKfiiiSD_SD_iiiii
; %bb.0:
	s_waitcnt vmcnt(0) expcnt(0) lgkmcnt(0)
	s_or_saveexec_b64 s[4:5], -1
	buffer_store_dword v63, off, s[0:3], s32 offset:516 ; 4-byte Folded Spill
	s_mov_b64 exec, s[4:5]
	buffer_store_dword v40, off, s[0:3], s32 offset:184 ; 4-byte Folded Spill
	buffer_store_dword v41, off, s[0:3], s32 offset:180 ; 4-byte Folded Spill
	;; [unrolled: 1-line block ×46, first 2 shown]
	buffer_store_dword a63, off, s[0:3], s32 ; 4-byte Folded Spill
	v_writelane_b32 v63, s34, 0
	v_writelane_b32 v63, s35, 1
	;; [unrolled: 1-line block ×6, first 2 shown]
	s_mov_b32 s22, s13
	s_ashr_i32 s23, s13, 31
	s_lshl_b64 s[4:5], s[22:23], 2
	buffer_store_dword v26, off, s[0:3], s32 offset:460 ; 4-byte Folded Spill
	s_nop 0
	buffer_store_dword v27, off, s[0:3], s32 offset:464 ; 4-byte Folded Spill
	buffer_store_dword v22, off, s[0:3], s32 offset:216 ; 4-byte Folded Spill
	s_nop 0
	buffer_store_dword v23, off, s[0:3], s32 offset:220 ; 4-byte Folded Spill
	buffer_store_dword v15, off, s[0:3], s32 offset:440 ; 4-byte Folded Spill
	;; [unrolled: 1-line block ×6, first 2 shown]
	v_mov_b32_e32 v5, s5
	v_add_co_u32_e32 v4, vcc, s4, v16
	v_addc_co_u32_e32 v5, vcc, v17, v5, vcc
	flat_load_dword v4, v[4:5]
	v_accvgpr_write_b32 a29, v25
	s_lshl_b32 s23, s14, 9
	v_accvgpr_write_b32 a28, v24
	v_mov_b32_e32 v25, v20
	v_mov_b32_e32 v24, v19
	s_waitcnt vmcnt(0) lgkmcnt(0)
	v_accvgpr_write_b32 a13, v4
	v_cmp_lt_i32_e32 vcc, s23, v4
	s_and_saveexec_b64 s[16:17], vcc
	s_cbranch_execz .LBB227_870
; %bb.1:
	v_sub_u32_e32 v4, 0, v12
	v_max_i32_e32 v4, v12, v4
	v_cvt_f32_u32_e32 v5, v4
	s_load_dword s4, s[8:9], 0x10
	s_load_dword s6, s[8:9], 0x0
	v_sub_u32_e32 v13, 0, v4
	s_mov_b32 s18, s15
	v_rcp_iflag_f32_e32 v5, v5
	s_waitcnt lgkmcnt(0)
	s_lshr_b32 s4, s4, 16
	s_cmp_lg_u32 s4, 0
	s_cselect_b64 s[4:5], -1, 0
	v_mul_f32_e32 v5, 0x4f7ffffe, v5
	v_cvt_u32_f32_e32 v5, v5
	s_cmp_lg_u64 s[4:5], 0
	s_addc_u32 s15, s6, 0
	s_abs_i32 s4, s15
	v_mul_lo_u32 v13, v13, v5
	v_mul_hi_u32 v13, v5, v13
	v_add_u32_e32 v5, v5, v13
	v_mul_hi_u32 v5, s4, v5
	v_mul_lo_u32 v13, v5, v4
	v_sub_u32_e32 v13, s4, v13
	v_add_u32_e32 v14, 1, v5
	v_cmp_ge_u32_e32 vcc, v13, v4
	v_cndmask_b32_e32 v5, v5, v14, vcc
	v_sub_u32_e32 v14, v13, v4
	v_cndmask_b32_e32 v13, v13, v14, vcc
	v_xor_b32_e32 v12, s15, v12
	v_add_u32_e32 v14, 1, v5
	v_cmp_ge_u32_e32 vcc, v13, v4
	v_ashrrev_i32_e32 v12, 31, v12
	v_cndmask_b32_e32 v4, v5, v14, vcc
	v_xor_b32_e32 v4, v4, v12
	v_sub_u32_e32 v13, v4, v12
	v_sub_u32_e32 v4, 0, v13
	v_max_i32_e32 v12, v13, v4
	v_cvt_f32_u32_e32 v4, v12
	v_sub_u32_e32 v5, 0, v12
	s_abs_i32 s10, s12
	v_cmp_ne_u64_e32 vcc, 0, v[24:25]
	v_rcp_iflag_f32_e32 v4, v4
	v_mul_f32_e32 v4, 0x4f7ffffe, v4
	v_cvt_u32_f32_e32 v4, v4
	v_mul_lo_u32 v5, v5, v4
	v_mul_hi_u32 v5, v4, v5
	v_add_u32_e32 v4, v4, v5
	v_mad_u64_u32 v[4:5], s[4:5], s10, v4, 0
	v_mov_b32_e32 v4, 0
	buffer_store_dword v4, off, s[0:3], s32 offset:412 ; 4-byte Folded Spill
	s_and_saveexec_b64 s[4:5], vcc
	s_cbranch_execz .LBB227_3
; %bb.2:
	s_ashr_i32 s13, s12, 31
	s_lshl_b64 s[6:7], s[12:13], 2
	v_mov_b32_e32 v4, s7
	v_add_co_u32_e32 v14, vcc, s6, v24
	v_addc_co_u32_e32 v15, vcc, v25, v4, vcc
	flat_load_dword v4, v[14:15]
	s_waitcnt vmcnt(0) lgkmcnt(0)
	buffer_store_dword v4, off, s[0:3], s32 offset:412 ; 4-byte Folded Spill
.LBB227_3:
	s_or_b64 exec, exec, s[4:5]
	v_and_b32_e32 v15, 0x3ff, v31
	v_and_b32_e32 v14, 3, v15
	s_load_dword s11, s[8:9], 0x14
	s_load_dword s13, s[8:9], 0x8
	v_lshrrev_b32_e32 v4, 2, v15
	buffer_store_dword v14, off, s[0:3], s32 offset:224 ; 4-byte Folded Spill
	s_nop 0
	buffer_store_dword v15, off, s[0:3], s32 offset:228 ; 4-byte Folded Spill
	s_lshl_b32 s20, s12, 8
	s_movk_i32 s4, 0x100
	s_ashr_i32 s21, s20, 31
	buffer_store_dword v4, off, s[0:3], s32 offset:448 ; 4-byte Folded Spill
	v_lshlrev_b32_e32 v4, 2, v4
	buffer_store_dword v4, off, s[0:3], s32 offset:468 ; 4-byte Folded Spill
	v_cmp_gt_u32_e32 vcc, s4, v15
	buffer_store_dword v15, off, s[0:3], s32 offset:420 ; 4-byte Folded Spill
	s_and_saveexec_b64 s[6:7], vcc
	s_cbranch_execz .LBB227_6
; %bb.4:
	v_mul_lo_u32 v14, s22, v21
	buffer_load_dword v4, off, s[0:3], s32 offset:448 ; 4-byte Folded Reload
	buffer_load_dword v17, off, s[0:3], s32 offset:468 ; 4-byte Folded Reload
	;; [unrolled: 1-line block ×4, first 2 shown]
	v_ashrrev_i32_e32 v15, 31, v14
	v_lshlrev_b64 v[14:15], 2, v[14:15]
	s_lshl_b64 s[4:5], s[20:21], 2
	v_mov_b32_e32 v16, s5
	v_add_co_u32_e32 v14, vcc, s4, v14
	v_addc_co_u32_e32 v15, vcc, v15, v16, vcc
	s_mov_b64 s[8:9], 0
	s_waitcnt vmcnt(3)
	v_subrev_u32_e32 v4, 32, v4
	s_waitcnt vmcnt(1)
	v_or_b32_e32 v16, v17, v20
	v_lshlrev_b32_e32 v16, 2, v16
	v_add_co_u32_e32 v14, vcc, v14, v16
	v_addc_co_u32_e32 v15, vcc, 0, v15, vcc
	v_add_co_u32_e32 v6, vcc, v6, v14
	v_addc_co_u32_e32 v7, vcc, v7, v15, vcc
	v_lshl_add_u32 v14, v20, 8, v17
.LBB227_5:                              ; =>This Inner Loop Header: Depth=1
	flat_load_dword v15, v[6:7]
	v_add_co_u32_e64 v4, s[4:5], 32, v4
	s_xor_b64 s[4:5], s[4:5], -1
	v_add_co_u32_e32 v6, vcc, 0x200, v6
	s_and_b64 s[4:5], exec, s[4:5]
	v_addc_co_u32_e32 v7, vcc, 0, v7, vcc
	s_or_b64 s[8:9], s[4:5], s[8:9]
	s_waitcnt vmcnt(0) lgkmcnt(0)
	ds_write_b32 v14, v15
	v_add_u32_e32 v14, 0x80, v14
	s_andn2_b64 exec, exec, s[8:9]
	s_cbranch_execnz .LBB227_5
.LBB227_6:
	s_or_b64 exec, exec, s[6:7]
	v_accvgpr_read_b32 v6, a13
	v_add_u32_e32 v6, 15, v6
	v_ashrrev_i32_e32 v7, 31, v6
	v_lshrrev_b32_e32 v7, 28, v7
	v_add_u32_e32 v6, v6, v7
	s_lshl_b32 s36, s14, 5
	v_ashrrev_i32_e32 v6, 4, v6
	s_add_i32 s5, s36, 32
	v_ashrrev_i32_e32 v4, 31, v13
	buffer_store_dword v6, off, s[0:3], s32 offset:488 ; 4-byte Folded Spill
	v_min_i32_e32 v13, s5, v6
	buffer_load_dword v6, off, s[0:3], s32 offset:420 ; 4-byte Folded Reload
	v_add_u32_e32 v7, 1, v5
	s_ashr_i32 s4, s12, 31
	v_xor_b32_e32 v4, s4, v4
	s_waitcnt lgkmcnt(0)
	s_lshr_b32 s21, s11, 16
	s_barrier
	buffer_store_dword v13, off, s[0:3], s32 offset:212 ; 4-byte Folded Spill
                                        ; implicit-def: $sgpr8
	s_waitcnt vmcnt(1)
	v_lshrrev_b32_e32 v14, 6, v6
	v_mul_lo_u32 v6, v5, v12
	v_sub_u32_e32 v6, s10, v6
	v_cmp_ge_u32_e32 vcc, v6, v12
	v_cndmask_b32_e32 v5, v5, v7, vcc
	v_sub_u32_e32 v7, v6, v12
	v_cndmask_b32_e32 v6, v6, v7, vcc
	v_add_u32_e32 v7, 1, v5
	v_cmp_ge_u32_e32 vcc, v6, v12
	v_cndmask_b32_e32 v5, v5, v7, vcc
	v_xor_b32_e32 v5, v5, v4
	v_sub_u32_e32 v7, v5, v4
	v_mul_lo_u32 v4, s22, v18
	v_or_b32_e32 v6, s36, v14
	v_ashrrev_i32_e32 v5, 31, v4
	v_cmp_lt_i32_e64 s[4:5], v6, v13
	v_mov_b32_e32 v12, v6
	v_cmp_ge_i32_e32 vcc, v6, v13
	v_mbcnt_lo_u32_b32 v6, -1, 0
                                        ; implicit-def: $vgpr13
	buffer_store_dword v14, off, s[0:3], s32 offset:436 ; 4-byte Folded Spill
                                        ; kill: killed $vgpr13
                                        ; implicit-def: $vgpr13
                                        ; kill: killed $vgpr13
	s_and_saveexec_b64 s[6:7], vcc
	s_xor_b64 s[6:7], exec, s[6:7]
	s_cbranch_execz .LBB227_8
; %bb.7:
	v_mbcnt_hi_u32_b32 v6, -1, v6
	buffer_store_dword v6, off, s[0:3], s32 offset:428 ; 4-byte Folded Spill
	v_and_b32_e32 v6, 64, v6
	v_add_u32_e32 v6, 64, v6
	buffer_store_dword v6, off, s[0:3], s32 offset:432 ; 4-byte Folded Spill
                                        ; implicit-def: $vgpr6
	s_mov_b32 s8, 0xff7fffff
                                        ; kill: killed $vgpr6
                                        ; implicit-def: $vgpr6
                                        ; kill: killed $vgpr6
                                        ; implicit-def: $agpr28_agpr29
                                        ; implicit-def: $vgpr8
                                        ; implicit-def: $vgpr9
                                        ; implicit-def: $vgpr6
.LBB227_8:
	s_or_saveexec_b64 s[10:11], s[6:7]
	v_mov_b32_e32 v13, s8
	buffer_store_dword v13, off, s[0:3], s32 offset:232 ; 4-byte Folded Spill
	v_ashrrev_i32_e32 v13, 31, v12
	v_mul_lo_u32 v7, v7, v23
	v_accvgpr_write_b32 a17, v13
	v_accvgpr_write_b32 a16, v12
	buffer_store_dword v7, off, s[0:3], s32 offset:484 ; 4-byte Folded Spill
	v_ashrrev_i32_e32 v7, 31, v7
	v_lshlrev_b64 v[4:5], 2, v[4:5]
	buffer_store_dword v7, off, s[0:3], s32 offset:480 ; 4-byte Folded Spill
	buffer_store_dword v4, off, s[0:3], s32 offset:472 ; 4-byte Folded Spill
	s_nop 0
	buffer_store_dword v5, off, s[0:3], s32 offset:476 ; 4-byte Folded Spill
	s_xor_b64 exec, exec, s[10:11]
	s_cbranch_execz .LBB227_398
; %bb.9:
	buffer_store_dword v2, off, s[0:3], s32 offset:492 ; 4-byte Folded Spill
	buffer_store_dword v3, off, s[0:3], s32 offset:496 ; 4-byte Folded Spill
	;; [unrolled: 1-line block ×6, first 2 shown]
	buffer_load_dword v0, off, s[0:3], s32 offset:420 ; 4-byte Folded Reload
	s_ashr_i32 s19, s18, 31
	buffer_load_dword v1, off, s[0:3], s32 offset:480 ; 4-byte Folded Reload
	s_lshl_b64 s[24:25], s[18:19], 2
	s_getpc_b64 s[26:27]
	s_add_u32 s26, s26, llvm.amdgcn.dynlds.offset.table@rel32@lo+4
	s_addc_u32 s27, s27, llvm.amdgcn.dynlds.offset.table@rel32@hi+12
	s_add_u32 s24, s24, s26
	s_addc_u32 s25, s25, s27
	s_mov_b64 s[26:27], 0
	s_movk_i32 s19, 0x80
	s_movk_i32 s37, 0x7f
	s_waitcnt vmcnt(1)
	v_bfe_u32 v2, v0, 2, 4
	buffer_load_dword v0, off, s[0:3], s32 offset:484 ; 4-byte Folded Reload
	v_lshlrev_b32_e32 v3, 4, v2
	s_waitcnt vmcnt(0)
	v_add_co_u32_e32 v0, vcc, v8, v0
	v_addc_co_u32_e32 v1, vcc, v9, v1, vcc
	v_add_co_u32_e32 v0, vcc, v0, v3
	v_addc_co_u32_e32 v1, vcc, 0, v1, vcc
	buffer_store_dword v0, off, s[0:3], s32 offset:308 ; 4-byte Folded Spill
	s_nop 0
	buffer_store_dword v1, off, s[0:3], s32 offset:312 ; 4-byte Folded Spill
	buffer_load_dword v4, off, s[0:3], s32 offset:224 ; 4-byte Folded Reload
	buffer_load_dword v5, off, s[0:3], s32 offset:228 ; 4-byte Folded Reload
	v_mbcnt_hi_u32_b32 v1, -1, v6
	v_and_b32_e32 v0, 64, v1
	s_waitcnt vmcnt(0)
	v_add_u32_e32 v5, 64, v0
	v_xor_b32_e32 v0, 2, v1
	v_cmp_lt_i32_e32 vcc, v0, v5
	v_cndmask_b32_e32 v0, v1, v0, vcc
	v_lshlrev_b32_e32 v0, 2, v0
	v_lshlrev_b32_e32 v3, 8, v4
	ds_read_b128 v[8:11], v3
	s_waitcnt lgkmcnt(0)
	buffer_store_dword v8, off, s[0:3], s32 offset:236 ; 4-byte Folded Spill
	s_nop 0
	buffer_store_dword v9, off, s[0:3], s32 offset:240 ; 4-byte Folded Spill
	buffer_store_dword v10, off, s[0:3], s32 offset:244 ; 4-byte Folded Spill
	buffer_store_dword v11, off, s[0:3], s32 offset:248 ; 4-byte Folded Spill
	ds_read_b128 v[8:11], v3 offset:16
	s_waitcnt lgkmcnt(0)
	buffer_store_dword v8, off, s[0:3], s32 offset:252 ; 4-byte Folded Spill
	s_nop 0
	buffer_store_dword v9, off, s[0:3], s32 offset:256 ; 4-byte Folded Spill
	buffer_store_dword v10, off, s[0:3], s32 offset:260 ; 4-byte Folded Spill
	buffer_store_dword v11, off, s[0:3], s32 offset:264 ; 4-byte Folded Spill
	ds_read_b128 v[8:11], v3 offset:32
	;; [unrolled: 7-line block ×7, first 2 shown]
	s_waitcnt lgkmcnt(0)
	buffer_store_dword v8, off, s[0:3], s32 offset:364 ; 4-byte Folded Spill
	s_nop 0
	buffer_store_dword v9, off, s[0:3], s32 offset:368 ; 4-byte Folded Spill
	buffer_store_dword v10, off, s[0:3], s32 offset:372 ; 4-byte Folded Spill
	;; [unrolled: 1-line block ×4, first 2 shown]
	v_xor_b32_e32 v0, 1, v1
	v_cmp_lt_i32_e32 vcc, v0, v5
	v_cndmask_b32_e32 v0, v1, v0, vcc
	v_lshlrev_b32_e32 v0, 2, v0
	buffer_store_dword v0, off, s[0:3], s32 offset:304 ; 4-byte Folded Spill
	buffer_load_dword v0, off, s[0:3], s32 offset:412 ; 4-byte Folded Reload
	v_cmp_eq_u32_e64 s[6:7], 0, v4
	buffer_store_dword v5, off, s[0:3], s32 offset:432 ; 4-byte Folded Spill
	buffer_store_dword v1, off, s[0:3], s32 offset:428 ; 4-byte Folded Spill
	v_accvgpr_read_b32 v4, a16
	buffer_load_dword v6, off, s[0:3], s32 offset:472 ; 4-byte Folded Reload
	buffer_load_dword v7, off, s[0:3], s32 offset:476 ; 4-byte Folded Reload
	v_accvgpr_read_b32 v5, a17
	ds_read_b128 v[8:11], v3 offset:128
	s_waitcnt vmcnt(4)
	v_cmp_neq_f32_e64 s[8:9], 0, v0
	v_lshlrev_b64 v[0:1], 2, v[4:5]
	buffer_load_dword v5, off, s[0:3], s32 offset:444 ; 4-byte Folded Reload
	s_waitcnt vmcnt(2)
	v_add_co_u32_e32 v0, vcc, v6, v0
	s_waitcnt vmcnt(1)
	v_addc_co_u32_e32 v1, vcc, v7, v1, vcc
	s_waitcnt vmcnt(0)
	v_add_co_u32_e32 v6, vcc, v5, v0
	buffer_load_dword v0, off, s[0:3], s32 offset:440 ; 4-byte Folded Reload
	v_mov_b32_e32 v5, v4
	s_waitcnt vmcnt(0)
	v_addc_co_u32_e32 v7, vcc, v0, v1, vcc
	buffer_load_dword v1, off, s[0:3], s32 offset:436 ; 4-byte Folded Reload
	v_accvgpr_read_b32 v0, a13
	v_sub_u32_e32 v0, 1, v0
	buffer_store_dword v0, off, s[0:3], s32 offset:424 ; 4-byte Folded Spill
	s_waitcnt vmcnt(1)
	v_lshlrev_b32_e32 v0, 4, v1
	v_add3_u32 v0, s23, v0, v2
	v_accvgpr_write_b32 a63, v0
	v_lshlrev_b32_e32 v0, 2, v2
	v_lshl_or_b32 v0, v1, 6, v0
	v_accvgpr_write_b32 a26, v0
	v_mov_b32_e32 v0, 0xff7fffff
	buffer_store_dword v0, off, s[0:3], s32 offset:232 ; 4-byte Folded Spill
	s_waitcnt lgkmcnt(0)
	buffer_store_dword v8, off, s[0:3], s32 offset:380 ; 4-byte Folded Spill
	s_nop 0
	buffer_store_dword v9, off, s[0:3], s32 offset:384 ; 4-byte Folded Spill
	buffer_store_dword v10, off, s[0:3], s32 offset:388 ; 4-byte Folded Spill
	;; [unrolled: 1-line block ×3, first 2 shown]
	ds_read_b128 v[8:11], v3 offset:144
	s_waitcnt lgkmcnt(0)
	buffer_store_dword v8, off, s[0:3], s32 offset:396 ; 4-byte Folded Spill
	s_nop 0
	buffer_store_dword v9, off, s[0:3], s32 offset:400 ; 4-byte Folded Spill
	buffer_store_dword v10, off, s[0:3], s32 offset:404 ; 4-byte Folded Spill
	;; [unrolled: 1-line block ×3, first 2 shown]
	ds_read_b128 a[8:11], v3 offset:160
	ds_read_b128 a[30:33], v3 offset:176
	;; [unrolled: 1-line block ×6, first 2 shown]
	s_branch .LBB227_11
.LBB227_10:                             ;   in Loop: Header=BB227_11 Depth=1
	s_or_b64 exec, exec, s[28:29]
	v_accvgpr_read_b32 v0, a63
	v_add_u32_e32 v0, 32, v0
	v_accvgpr_write_b32 a63, v0
	buffer_load_dword v0, off, s[0:3], s32 offset:212 ; 4-byte Folded Reload
	v_accvgpr_read_b32 v7, a1
	v_accvgpr_read_b32 v6, a0
	v_add_co_u32_e32 v6, vcc, 8, v6
	v_add_u32_e32 v5, 2, v5
	v_addc_co_u32_e32 v7, vcc, 0, v7, vcc
	s_waitcnt vmcnt(0)
	v_cmp_ge_i32_e32 vcc, v5, v0
	v_accvgpr_read_b32 v0, a26
	v_add_u32_e32 v0, 0x80, v0
	s_or_b64 s[26:27], vcc, s[26:27]
	v_accvgpr_write_b32 a26, v0
	s_andn2_b64 exec, exec, s[26:27]
	s_cbranch_execz .LBB227_397
.LBB227_11:                             ; =>This Inner Loop Header: Depth=1
	v_accvgpr_write_b32 a2, v5
	flat_load_dword v0, v[6:7]
	buffer_load_dword v2, off, s[0:3], s32 offset:216 ; 4-byte Folded Reload
	buffer_load_dword v3, off, s[0:3], s32 offset:220 ; 4-byte Folded Reload
	;; [unrolled: 1-line block ×4, first 2 shown]
	v_accvgpr_write_b32 a0, v6
	v_accvgpr_write_b32 a1, v7
	v_mov_b32_e32 v13, 0
	s_waitcnt vmcnt(0) lgkmcnt(0)
	v_mad_i64_i32 v[0:1], s[28:29], v0, v2, v[4:5]
	buffer_load_dword v2, off, s[0:3], s32 offset:224 ; 4-byte Folded Reload
	buffer_load_dword v3, off, s[0:3], s32 offset:228 ; 4-byte Folded Reload
	s_waitcnt vmcnt(1)
	v_add_co_u32_e32 v14, vcc, v0, v2
	v_addc_co_u32_e32 v15, vcc, 0, v1, vcc
	s_waitcnt vmcnt(0)
	v_accvgpr_read_b32 v2, a28
	flat_load_ubyte v0, v[14:15]
	v_accvgpr_read_b32 v3, a29
	flat_load_dword v18, v[2:3]
	s_waitcnt vmcnt(0) lgkmcnt(0)
	v_cmp_ne_u16_e32 vcc, 0, v0
	s_and_saveexec_b64 s[28:29], vcc
	s_cbranch_execz .LBB227_17
; %bb.12:                               ;   in Loop: Header=BB227_11 Depth=1
	v_cmp_ne_u16_e32 vcc, s19, v0
	v_bfrev_b32_e32 v13, 1
	s_and_saveexec_b64 s[30:31], vcc
	s_cbranch_execz .LBB227_16
; %bb.13:                               ;   in Loop: Header=BB227_11 Depth=1
	v_and_b32_e32 v28, 0xffff, v0
	v_and_b32_e32 v1, 0x7f, v28
	v_cmp_ne_u32_e32 vcc, s37, v1
	v_mov_b32_e32 v13, 0x7f800001
	s_and_saveexec_b64 s[34:35], vcc
	s_cbranch_execz .LBB227_15
; %bb.14:                               ;   in Loop: Header=BB227_11 Depth=1
	v_and_b32_e32 v6, 7, v28
	v_ffbh_u32_e32 v2, v6
	v_min_u32_e32 v8, 32, v2
	v_subrev_u32_e32 v2, 28, v8
	v_lshlrev_b64 v[2:3], v2, v[28:29]
	v_lshrrev_b32_e32 v7, 3, v1
	v_sub_u32_e32 v3, 29, v8
	v_and_b32_e32 v2, 7, v2
	v_cmp_gt_u32_e32 vcc, 8, v1
	v_cndmask_b32_e32 v1, v7, v3, vcc
	v_cndmask_b32_e32 v2, v6, v2, vcc
	v_lshlrev_b32_e32 v0, 24, v0
	v_bfrev_b32_e32 v3, 60
	v_lshlrev_b32_e32 v2, 20, v2
	v_and_b32_e32 v0, 0x80000000, v0
	v_lshl_add_u32 v1, v1, 23, v3
	v_or3_b32 v13, v0, v1, v2
.LBB227_15:                             ;   in Loop: Header=BB227_11 Depth=1
	s_or_b64 exec, exec, s[34:35]
.LBB227_16:                             ;   in Loop: Header=BB227_11 Depth=1
	s_or_b64 exec, exec, s[30:31]
.LBB227_17:                             ;   in Loop: Header=BB227_11 Depth=1
	s_or_b64 exec, exec, s[28:29]
	flat_load_ubyte v0, v[14:15] offset:4
	v_mov_b32_e32 v11, 0
	s_waitcnt vmcnt(0) lgkmcnt(0)
	v_cmp_ne_u16_e32 vcc, 0, v0
	s_and_saveexec_b64 s[28:29], vcc
	s_cbranch_execz .LBB227_23
; %bb.18:                               ;   in Loop: Header=BB227_11 Depth=1
	v_cmp_ne_u16_e32 vcc, s19, v0
	v_bfrev_b32_e32 v11, 1
	s_and_saveexec_b64 s[30:31], vcc
	s_cbranch_execz .LBB227_22
; %bb.19:                               ;   in Loop: Header=BB227_11 Depth=1
	v_and_b32_e32 v28, 0xffff, v0
	v_and_b32_e32 v1, 0x7f, v28
	v_cmp_ne_u32_e32 vcc, s37, v1
	v_mov_b32_e32 v11, 0x7f800001
	s_and_saveexec_b64 s[34:35], vcc
	s_cbranch_execz .LBB227_21
; %bb.20:                               ;   in Loop: Header=BB227_11 Depth=1
	v_and_b32_e32 v6, 7, v28
	v_ffbh_u32_e32 v2, v6
	v_min_u32_e32 v8, 32, v2
	v_subrev_u32_e32 v2, 28, v8
	v_lshlrev_b64 v[2:3], v2, v[28:29]
	v_lshrrev_b32_e32 v7, 3, v1
	v_sub_u32_e32 v3, 29, v8
	v_and_b32_e32 v2, 7, v2
	v_cmp_gt_u32_e32 vcc, 8, v1
	v_cndmask_b32_e32 v1, v7, v3, vcc
	v_cndmask_b32_e32 v2, v6, v2, vcc
	v_lshlrev_b32_e32 v0, 24, v0
	v_bfrev_b32_e32 v3, 60
	v_lshlrev_b32_e32 v2, 20, v2
	v_and_b32_e32 v0, 0x80000000, v0
	v_lshl_add_u32 v1, v1, 23, v3
	v_or3_b32 v11, v0, v1, v2
.LBB227_21:                             ;   in Loop: Header=BB227_11 Depth=1
	s_or_b64 exec, exec, s[34:35]
.LBB227_22:                             ;   in Loop: Header=BB227_11 Depth=1
	s_or_b64 exec, exec, s[30:31]
.LBB227_23:                             ;   in Loop: Header=BB227_11 Depth=1
	s_or_b64 exec, exec, s[28:29]
	flat_load_ubyte v0, v[14:15] offset:8
	v_mov_b32_e32 v17, 0
	v_mov_b32_e32 v32, 0
	s_waitcnt vmcnt(0) lgkmcnt(0)
	v_cmp_ne_u16_e32 vcc, 0, v0
	s_and_saveexec_b64 s[28:29], vcc
	s_cbranch_execz .LBB227_29
; %bb.24:                               ;   in Loop: Header=BB227_11 Depth=1
	v_cmp_ne_u16_e32 vcc, s19, v0
	v_bfrev_b32_e32 v32, 1
	s_and_saveexec_b64 s[30:31], vcc
	s_cbranch_execz .LBB227_28
; %bb.25:                               ;   in Loop: Header=BB227_11 Depth=1
	v_and_b32_e32 v28, 0xffff, v0
	v_and_b32_e32 v1, 0x7f, v28
	v_cmp_ne_u32_e32 vcc, s37, v1
	v_mov_b32_e32 v32, 0x7f800001
	s_and_saveexec_b64 s[34:35], vcc
	s_cbranch_execz .LBB227_27
; %bb.26:                               ;   in Loop: Header=BB227_11 Depth=1
	v_and_b32_e32 v6, 7, v28
	v_ffbh_u32_e32 v2, v6
	v_min_u32_e32 v8, 32, v2
	v_subrev_u32_e32 v2, 28, v8
	v_lshlrev_b64 v[2:3], v2, v[28:29]
	v_lshrrev_b32_e32 v7, 3, v1
	v_sub_u32_e32 v3, 29, v8
	v_and_b32_e32 v2, 7, v2
	v_cmp_gt_u32_e32 vcc, 8, v1
	v_cndmask_b32_e32 v1, v7, v3, vcc
	v_cndmask_b32_e32 v2, v6, v2, vcc
	v_lshlrev_b32_e32 v0, 24, v0
	v_bfrev_b32_e32 v3, 60
	v_lshlrev_b32_e32 v2, 20, v2
	v_and_b32_e32 v0, 0x80000000, v0
	v_lshl_add_u32 v1, v1, 23, v3
	v_or3_b32 v32, v0, v1, v2
.LBB227_27:                             ;   in Loop: Header=BB227_11 Depth=1
	s_or_b64 exec, exec, s[34:35]
.LBB227_28:                             ;   in Loop: Header=BB227_11 Depth=1
	s_or_b64 exec, exec, s[30:31]
.LBB227_29:                             ;   in Loop: Header=BB227_11 Depth=1
	s_or_b64 exec, exec, s[28:29]
	flat_load_ubyte v0, v[14:15] offset:12
	s_waitcnt vmcnt(0) lgkmcnt(0)
	v_cmp_ne_u16_e32 vcc, 0, v0
	s_and_saveexec_b64 s[28:29], vcc
	s_cbranch_execz .LBB227_35
; %bb.30:                               ;   in Loop: Header=BB227_11 Depth=1
	v_cmp_ne_u16_e32 vcc, s19, v0
	v_bfrev_b32_e32 v17, 1
	s_and_saveexec_b64 s[30:31], vcc
	s_cbranch_execz .LBB227_34
; %bb.31:                               ;   in Loop: Header=BB227_11 Depth=1
	v_and_b32_e32 v28, 0xffff, v0
	v_and_b32_e32 v1, 0x7f, v28
	v_cmp_ne_u32_e32 vcc, s37, v1
	v_mov_b32_e32 v17, 0x7f800001
	s_and_saveexec_b64 s[34:35], vcc
	s_cbranch_execz .LBB227_33
; %bb.32:                               ;   in Loop: Header=BB227_11 Depth=1
	v_and_b32_e32 v6, 7, v28
	v_ffbh_u32_e32 v2, v6
	v_min_u32_e32 v8, 32, v2
	v_subrev_u32_e32 v2, 28, v8
	v_lshlrev_b64 v[2:3], v2, v[28:29]
	v_lshrrev_b32_e32 v7, 3, v1
	v_sub_u32_e32 v3, 29, v8
	v_and_b32_e32 v2, 7, v2
	v_cmp_gt_u32_e32 vcc, 8, v1
	v_cndmask_b32_e32 v1, v7, v3, vcc
	v_cndmask_b32_e32 v2, v6, v2, vcc
	v_lshlrev_b32_e32 v0, 24, v0
	v_bfrev_b32_e32 v3, 60
	v_lshlrev_b32_e32 v2, 20, v2
	v_and_b32_e32 v0, 0x80000000, v0
	v_lshl_add_u32 v1, v1, 23, v3
	v_or3_b32 v17, v0, v1, v2
.LBB227_33:                             ;   in Loop: Header=BB227_11 Depth=1
	s_or_b64 exec, exec, s[34:35]
.LBB227_34:                             ;   in Loop: Header=BB227_11 Depth=1
	s_or_b64 exec, exec, s[30:31]
.LBB227_35:                             ;   in Loop: Header=BB227_11 Depth=1
	s_or_b64 exec, exec, s[28:29]
	flat_load_ubyte v0, v[14:15] offset:256
	v_mov_b32_e32 v62, 0
	v_mov_b32_e32 v33, 0
	s_waitcnt vmcnt(0) lgkmcnt(0)
	v_cmp_ne_u16_e32 vcc, 0, v0
	s_and_saveexec_b64 s[28:29], vcc
	s_cbranch_execz .LBB227_41
; %bb.36:                               ;   in Loop: Header=BB227_11 Depth=1
	v_cmp_ne_u16_e32 vcc, s19, v0
	v_bfrev_b32_e32 v33, 1
	s_and_saveexec_b64 s[30:31], vcc
	s_cbranch_execz .LBB227_40
; %bb.37:                               ;   in Loop: Header=BB227_11 Depth=1
	v_and_b32_e32 v28, 0xffff, v0
	v_and_b32_e32 v1, 0x7f, v28
	v_cmp_ne_u32_e32 vcc, s37, v1
	v_mov_b32_e32 v33, 0x7f800001
	s_and_saveexec_b64 s[34:35], vcc
	s_cbranch_execz .LBB227_39
; %bb.38:                               ;   in Loop: Header=BB227_11 Depth=1
	v_and_b32_e32 v6, 7, v28
	v_ffbh_u32_e32 v2, v6
	v_min_u32_e32 v8, 32, v2
	v_subrev_u32_e32 v2, 28, v8
	v_lshlrev_b64 v[2:3], v2, v[28:29]
	v_lshrrev_b32_e32 v7, 3, v1
	v_sub_u32_e32 v3, 29, v8
	v_and_b32_e32 v2, 7, v2
	v_cmp_gt_u32_e32 vcc, 8, v1
	v_cndmask_b32_e32 v1, v7, v3, vcc
	v_cndmask_b32_e32 v2, v6, v2, vcc
	v_lshlrev_b32_e32 v0, 24, v0
	v_bfrev_b32_e32 v3, 60
	v_lshlrev_b32_e32 v2, 20, v2
	v_and_b32_e32 v0, 0x80000000, v0
	v_lshl_add_u32 v1, v1, 23, v3
	v_or3_b32 v33, v0, v1, v2
.LBB227_39:                             ;   in Loop: Header=BB227_11 Depth=1
	s_or_b64 exec, exec, s[34:35]
.LBB227_40:                             ;   in Loop: Header=BB227_11 Depth=1
	s_or_b64 exec, exec, s[30:31]
.LBB227_41:                             ;   in Loop: Header=BB227_11 Depth=1
	s_or_b64 exec, exec, s[28:29]
	flat_load_ubyte v0, v[14:15] offset:260
	s_waitcnt vmcnt(0) lgkmcnt(0)
	v_cmp_ne_u16_e32 vcc, 0, v0
	s_and_saveexec_b64 s[28:29], vcc
	s_cbranch_execz .LBB227_47
; %bb.42:                               ;   in Loop: Header=BB227_11 Depth=1
	v_cmp_ne_u16_e32 vcc, s19, v0
	v_bfrev_b32_e32 v62, 1
	s_and_saveexec_b64 s[30:31], vcc
	s_cbranch_execz .LBB227_46
; %bb.43:                               ;   in Loop: Header=BB227_11 Depth=1
	v_and_b32_e32 v28, 0xffff, v0
	v_and_b32_e32 v1, 0x7f, v28
	v_cmp_ne_u32_e32 vcc, s37, v1
	v_mov_b32_e32 v62, 0x7f800001
	s_and_saveexec_b64 s[34:35], vcc
	s_cbranch_execz .LBB227_45
; %bb.44:                               ;   in Loop: Header=BB227_11 Depth=1
	v_and_b32_e32 v6, 7, v28
	v_ffbh_u32_e32 v2, v6
	v_min_u32_e32 v8, 32, v2
	v_subrev_u32_e32 v2, 28, v8
	v_lshlrev_b64 v[2:3], v2, v[28:29]
	v_lshrrev_b32_e32 v7, 3, v1
	v_sub_u32_e32 v3, 29, v8
	v_and_b32_e32 v2, 7, v2
	v_cmp_gt_u32_e32 vcc, 8, v1
	v_cndmask_b32_e32 v1, v7, v3, vcc
	v_cndmask_b32_e32 v2, v6, v2, vcc
	v_lshlrev_b32_e32 v0, 24, v0
	v_bfrev_b32_e32 v3, 60
	v_lshlrev_b32_e32 v2, 20, v2
	v_and_b32_e32 v0, 0x80000000, v0
	v_lshl_add_u32 v1, v1, 23, v3
	v_or3_b32 v62, v0, v1, v2
.LBB227_45:                             ;   in Loop: Header=BB227_11 Depth=1
	s_or_b64 exec, exec, s[34:35]
.LBB227_46:                             ;   in Loop: Header=BB227_11 Depth=1
	s_or_b64 exec, exec, s[30:31]
.LBB227_47:                             ;   in Loop: Header=BB227_11 Depth=1
	s_or_b64 exec, exec, s[28:29]
	v_add_co_u32_e32 v60, vcc, 0x100, v14
	v_addc_co_u32_e32 v61, vcc, 0, v15, vcc
	flat_load_ubyte v0, v[60:61] offset:8
	v_mov_b32_e32 v35, 0
	v_mov_b32_e32 v30, 0
	s_waitcnt vmcnt(0) lgkmcnt(0)
	v_cmp_ne_u16_e32 vcc, 0, v0
	s_and_saveexec_b64 s[28:29], vcc
	s_cbranch_execz .LBB227_53
; %bb.48:                               ;   in Loop: Header=BB227_11 Depth=1
	v_cmp_ne_u16_e32 vcc, s19, v0
	v_bfrev_b32_e32 v30, 1
	s_and_saveexec_b64 s[30:31], vcc
	s_cbranch_execz .LBB227_52
; %bb.49:                               ;   in Loop: Header=BB227_11 Depth=1
	v_and_b32_e32 v28, 0xffff, v0
	v_and_b32_e32 v1, 0x7f, v28
	v_cmp_ne_u32_e32 vcc, s37, v1
	v_mov_b32_e32 v30, 0x7f800001
	s_and_saveexec_b64 s[34:35], vcc
	s_cbranch_execz .LBB227_51
; %bb.50:                               ;   in Loop: Header=BB227_11 Depth=1
	v_and_b32_e32 v6, 7, v28
	v_lshrrev_b32_e32 v7, 3, v1
	v_cmp_gt_u32_e32 vcc, 8, v1
	v_ffbh_u32_e32 v1, v6
	v_min_u32_e32 v1, 32, v1
	v_subrev_u32_e32 v2, 28, v1
	v_lshlrev_b64 v[2:3], v2, v[28:29]
	v_sub_u32_e32 v1, 29, v1
	v_and_b32_e32 v2, 7, v2
	v_cndmask_b32_e32 v1, v7, v1, vcc
	v_cndmask_b32_e32 v2, v6, v2, vcc
	v_lshlrev_b32_e32 v0, 24, v0
	v_bfrev_b32_e32 v3, 60
	v_lshlrev_b32_e32 v2, 20, v2
	v_and_b32_e32 v0, 0x80000000, v0
	v_lshl_add_u32 v1, v1, 23, v3
	v_or3_b32 v30, v0, v1, v2
.LBB227_51:                             ;   in Loop: Header=BB227_11 Depth=1
	s_or_b64 exec, exec, s[34:35]
.LBB227_52:                             ;   in Loop: Header=BB227_11 Depth=1
	s_or_b64 exec, exec, s[30:31]
.LBB227_53:                             ;   in Loop: Header=BB227_11 Depth=1
	s_or_b64 exec, exec, s[28:29]
	flat_load_ubyte v0, v[60:61] offset:12
	s_waitcnt vmcnt(0) lgkmcnt(0)
	v_cmp_ne_u16_e32 vcc, 0, v0
	s_and_saveexec_b64 s[28:29], vcc
	s_cbranch_execz .LBB227_59
; %bb.54:                               ;   in Loop: Header=BB227_11 Depth=1
	v_cmp_ne_u16_e32 vcc, s19, v0
	v_bfrev_b32_e32 v35, 1
	s_and_saveexec_b64 s[30:31], vcc
	s_cbranch_execz .LBB227_58
; %bb.55:                               ;   in Loop: Header=BB227_11 Depth=1
	v_and_b32_e32 v28, 0xffff, v0
	v_and_b32_e32 v1, 0x7f, v28
	v_cmp_ne_u32_e32 vcc, s37, v1
	v_mov_b32_e32 v35, 0x7f800001
	s_and_saveexec_b64 s[34:35], vcc
	s_cbranch_execz .LBB227_57
; %bb.56:                               ;   in Loop: Header=BB227_11 Depth=1
	v_and_b32_e32 v6, 7, v28
	v_ffbh_u32_e32 v2, v6
	v_min_u32_e32 v8, 32, v2
	v_subrev_u32_e32 v2, 28, v8
	v_lshlrev_b64 v[2:3], v2, v[28:29]
	v_lshrrev_b32_e32 v7, 3, v1
	v_sub_u32_e32 v3, 29, v8
	v_and_b32_e32 v2, 7, v2
	v_cmp_gt_u32_e32 vcc, 8, v1
	v_cndmask_b32_e32 v1, v7, v3, vcc
	v_cndmask_b32_e32 v2, v6, v2, vcc
	v_lshlrev_b32_e32 v0, 24, v0
	v_bfrev_b32_e32 v3, 60
	v_lshlrev_b32_e32 v2, 20, v2
	v_and_b32_e32 v0, 0x80000000, v0
	v_lshl_add_u32 v1, v1, 23, v3
	v_or3_b32 v35, v0, v1, v2
.LBB227_57:                             ;   in Loop: Header=BB227_11 Depth=1
	s_or_b64 exec, exec, s[34:35]
.LBB227_58:                             ;   in Loop: Header=BB227_11 Depth=1
	s_or_b64 exec, exec, s[30:31]
.LBB227_59:                             ;   in Loop: Header=BB227_11 Depth=1
	s_or_b64 exec, exec, s[28:29]
	flat_load_ubyte v0, v[14:15] offset:512
	v_mov_b32_e32 v10, 0
	v_mov_b32_e32 v31, 0
	s_waitcnt vmcnt(0) lgkmcnt(0)
	v_cmp_ne_u16_e32 vcc, 0, v0
	s_and_saveexec_b64 s[28:29], vcc
	s_cbranch_execz .LBB227_65
; %bb.60:                               ;   in Loop: Header=BB227_11 Depth=1
	v_cmp_ne_u16_e32 vcc, s19, v0
	v_bfrev_b32_e32 v31, 1
	s_and_saveexec_b64 s[30:31], vcc
	s_cbranch_execz .LBB227_64
; %bb.61:                               ;   in Loop: Header=BB227_11 Depth=1
	v_and_b32_e32 v28, 0xffff, v0
	v_and_b32_e32 v1, 0x7f, v28
	v_cmp_ne_u32_e32 vcc, s37, v1
	v_mov_b32_e32 v31, 0x7f800001
	s_and_saveexec_b64 s[34:35], vcc
	s_cbranch_execz .LBB227_63
; %bb.62:                               ;   in Loop: Header=BB227_11 Depth=1
	v_and_b32_e32 v6, 7, v28
	v_lshrrev_b32_e32 v7, 3, v1
	v_cmp_gt_u32_e32 vcc, 8, v1
	v_ffbh_u32_e32 v1, v6
	v_min_u32_e32 v1, 32, v1
	v_subrev_u32_e32 v2, 28, v1
	v_lshlrev_b64 v[2:3], v2, v[28:29]
	v_sub_u32_e32 v1, 29, v1
	v_and_b32_e32 v2, 7, v2
	v_cndmask_b32_e32 v1, v7, v1, vcc
	v_cndmask_b32_e32 v2, v6, v2, vcc
	v_lshlrev_b32_e32 v0, 24, v0
	v_bfrev_b32_e32 v3, 60
	v_lshlrev_b32_e32 v2, 20, v2
	v_and_b32_e32 v0, 0x80000000, v0
	v_lshl_add_u32 v1, v1, 23, v3
	v_or3_b32 v31, v0, v1, v2
.LBB227_63:                             ;   in Loop: Header=BB227_11 Depth=1
	s_or_b64 exec, exec, s[34:35]
.LBB227_64:                             ;   in Loop: Header=BB227_11 Depth=1
	s_or_b64 exec, exec, s[30:31]
.LBB227_65:                             ;   in Loop: Header=BB227_11 Depth=1
	s_or_b64 exec, exec, s[28:29]
	flat_load_ubyte v0, v[14:15] offset:516
	s_waitcnt vmcnt(0) lgkmcnt(0)
	v_cmp_ne_u16_e32 vcc, 0, v0
	s_and_saveexec_b64 s[28:29], vcc
	s_cbranch_execz .LBB227_71
; %bb.66:                               ;   in Loop: Header=BB227_11 Depth=1
	v_cmp_ne_u16_e32 vcc, s19, v0
	v_bfrev_b32_e32 v10, 1
	s_and_saveexec_b64 s[30:31], vcc
	s_cbranch_execz .LBB227_70
; %bb.67:                               ;   in Loop: Header=BB227_11 Depth=1
	v_and_b32_e32 v28, 0xffff, v0
	v_and_b32_e32 v1, 0x7f, v28
	v_cmp_ne_u32_e32 vcc, s37, v1
	v_mov_b32_e32 v10, 0x7f800001
	s_and_saveexec_b64 s[34:35], vcc
	s_cbranch_execz .LBB227_69
; %bb.68:                               ;   in Loop: Header=BB227_11 Depth=1
	v_and_b32_e32 v6, 7, v28
	v_lshrrev_b32_e32 v7, 3, v1
	v_cmp_gt_u32_e32 vcc, 8, v1
	v_ffbh_u32_e32 v1, v6
	v_min_u32_e32 v1, 32, v1
	v_subrev_u32_e32 v2, 28, v1
	v_lshlrev_b64 v[2:3], v2, v[28:29]
	v_sub_u32_e32 v1, 29, v1
	v_and_b32_e32 v2, 7, v2
	v_cndmask_b32_e32 v1, v7, v1, vcc
	v_cndmask_b32_e32 v2, v6, v2, vcc
	v_lshlrev_b32_e32 v0, 24, v0
	v_bfrev_b32_e32 v3, 60
	v_lshlrev_b32_e32 v2, 20, v2
	v_and_b32_e32 v0, 0x80000000, v0
	v_lshl_add_u32 v1, v1, 23, v3
	v_or3_b32 v10, v0, v1, v2
.LBB227_69:                             ;   in Loop: Header=BB227_11 Depth=1
	s_or_b64 exec, exec, s[34:35]
.LBB227_70:                             ;   in Loop: Header=BB227_11 Depth=1
	s_or_b64 exec, exec, s[30:31]
.LBB227_71:                             ;   in Loop: Header=BB227_11 Depth=1
	s_or_b64 exec, exec, s[28:29]
	v_add_co_u32_e32 v60, vcc, 0x200, v14
	v_addc_co_u32_e32 v61, vcc, 0, v15, vcc
	flat_load_ubyte v0, v[60:61] offset:8
	v_mov_b32_e32 v36, 0
	v_mov_b32_e32 v37, 0
	s_waitcnt vmcnt(0) lgkmcnt(0)
	v_cmp_ne_u16_e32 vcc, 0, v0
	s_and_saveexec_b64 s[28:29], vcc
	s_cbranch_execz .LBB227_77
; %bb.72:                               ;   in Loop: Header=BB227_11 Depth=1
	v_cmp_ne_u16_e32 vcc, s19, v0
	v_bfrev_b32_e32 v37, 1
	s_and_saveexec_b64 s[30:31], vcc
	s_cbranch_execz .LBB227_76
; %bb.73:                               ;   in Loop: Header=BB227_11 Depth=1
	v_and_b32_e32 v28, 0xffff, v0
	v_and_b32_e32 v1, 0x7f, v28
	v_cmp_ne_u32_e32 vcc, s37, v1
	v_mov_b32_e32 v37, 0x7f800001
	s_and_saveexec_b64 s[34:35], vcc
	s_cbranch_execz .LBB227_75
; %bb.74:                               ;   in Loop: Header=BB227_11 Depth=1
	v_and_b32_e32 v6, 7, v28
	v_lshrrev_b32_e32 v7, 3, v1
	v_cmp_gt_u32_e32 vcc, 8, v1
	v_ffbh_u32_e32 v1, v6
	v_min_u32_e32 v1, 32, v1
	v_subrev_u32_e32 v2, 28, v1
	v_lshlrev_b64 v[2:3], v2, v[28:29]
	v_sub_u32_e32 v1, 29, v1
	v_and_b32_e32 v2, 7, v2
	v_cndmask_b32_e32 v1, v7, v1, vcc
	v_cndmask_b32_e32 v2, v6, v2, vcc
	v_lshlrev_b32_e32 v0, 24, v0
	v_bfrev_b32_e32 v3, 60
	v_lshlrev_b32_e32 v2, 20, v2
	v_and_b32_e32 v0, 0x80000000, v0
	v_lshl_add_u32 v1, v1, 23, v3
	v_or3_b32 v37, v0, v1, v2
.LBB227_75:                             ;   in Loop: Header=BB227_11 Depth=1
	s_or_b64 exec, exec, s[34:35]
.LBB227_76:                             ;   in Loop: Header=BB227_11 Depth=1
	s_or_b64 exec, exec, s[30:31]
.LBB227_77:                             ;   in Loop: Header=BB227_11 Depth=1
	s_or_b64 exec, exec, s[28:29]
	flat_load_ubyte v0, v[60:61] offset:12
	s_waitcnt vmcnt(0) lgkmcnt(0)
	v_cmp_ne_u16_e32 vcc, 0, v0
	s_and_saveexec_b64 s[28:29], vcc
	s_cbranch_execz .LBB227_83
; %bb.78:                               ;   in Loop: Header=BB227_11 Depth=1
	v_cmp_ne_u16_e32 vcc, s19, v0
	v_bfrev_b32_e32 v36, 1
	s_and_saveexec_b64 s[30:31], vcc
	s_cbranch_execz .LBB227_82
; %bb.79:                               ;   in Loop: Header=BB227_11 Depth=1
	v_and_b32_e32 v28, 0xffff, v0
	v_and_b32_e32 v1, 0x7f, v28
	v_cmp_ne_u32_e32 vcc, s37, v1
	v_mov_b32_e32 v36, 0x7f800001
	s_and_saveexec_b64 s[34:35], vcc
	s_cbranch_execz .LBB227_81
; %bb.80:                               ;   in Loop: Header=BB227_11 Depth=1
	v_and_b32_e32 v6, 7, v28
	v_lshrrev_b32_e32 v7, 3, v1
	v_cmp_gt_u32_e32 vcc, 8, v1
	v_ffbh_u32_e32 v1, v6
	v_min_u32_e32 v1, 32, v1
	v_subrev_u32_e32 v2, 28, v1
	v_lshlrev_b64 v[2:3], v2, v[28:29]
	v_sub_u32_e32 v1, 29, v1
	v_and_b32_e32 v2, 7, v2
	v_cndmask_b32_e32 v1, v7, v1, vcc
	v_cndmask_b32_e32 v2, v6, v2, vcc
	v_lshlrev_b32_e32 v0, 24, v0
	v_bfrev_b32_e32 v3, 60
	v_lshlrev_b32_e32 v2, 20, v2
	v_and_b32_e32 v0, 0x80000000, v0
	v_lshl_add_u32 v1, v1, 23, v3
	v_or3_b32 v36, v0, v1, v2
.LBB227_81:                             ;   in Loop: Header=BB227_11 Depth=1
	s_or_b64 exec, exec, s[34:35]
.LBB227_82:                             ;   in Loop: Header=BB227_11 Depth=1
	s_or_b64 exec, exec, s[30:31]
.LBB227_83:                             ;   in Loop: Header=BB227_11 Depth=1
	s_or_b64 exec, exec, s[28:29]
	flat_load_ubyte v0, v[14:15] offset:768
	v_mov_b32_e32 v38, 0
	v_mov_b32_e32 v39, 0
	s_waitcnt vmcnt(0) lgkmcnt(0)
	v_cmp_ne_u16_e32 vcc, 0, v0
	s_and_saveexec_b64 s[28:29], vcc
	s_cbranch_execz .LBB227_89
; %bb.84:                               ;   in Loop: Header=BB227_11 Depth=1
	v_cmp_ne_u16_e32 vcc, s19, v0
	v_bfrev_b32_e32 v39, 1
	s_and_saveexec_b64 s[30:31], vcc
	s_cbranch_execz .LBB227_88
; %bb.85:                               ;   in Loop: Header=BB227_11 Depth=1
	v_and_b32_e32 v28, 0xffff, v0
	v_and_b32_e32 v1, 0x7f, v28
	v_cmp_ne_u32_e32 vcc, s37, v1
	v_mov_b32_e32 v39, 0x7f800001
	s_and_saveexec_b64 s[34:35], vcc
	s_cbranch_execz .LBB227_87
; %bb.86:                               ;   in Loop: Header=BB227_11 Depth=1
	v_and_b32_e32 v6, 7, v28
	v_lshrrev_b32_e32 v7, 3, v1
	v_cmp_gt_u32_e32 vcc, 8, v1
	v_ffbh_u32_e32 v1, v6
	v_min_u32_e32 v1, 32, v1
	v_subrev_u32_e32 v2, 28, v1
	v_lshlrev_b64 v[2:3], v2, v[28:29]
	v_sub_u32_e32 v1, 29, v1
	v_and_b32_e32 v2, 7, v2
	v_cndmask_b32_e32 v1, v7, v1, vcc
	v_cndmask_b32_e32 v2, v6, v2, vcc
	v_lshlrev_b32_e32 v0, 24, v0
	v_bfrev_b32_e32 v3, 60
	v_lshlrev_b32_e32 v2, 20, v2
	v_and_b32_e32 v0, 0x80000000, v0
	v_lshl_add_u32 v1, v1, 23, v3
	v_or3_b32 v39, v0, v1, v2
.LBB227_87:                             ;   in Loop: Header=BB227_11 Depth=1
	s_or_b64 exec, exec, s[34:35]
.LBB227_88:                             ;   in Loop: Header=BB227_11 Depth=1
	s_or_b64 exec, exec, s[30:31]
.LBB227_89:                             ;   in Loop: Header=BB227_11 Depth=1
	s_or_b64 exec, exec, s[28:29]
	flat_load_ubyte v0, v[14:15] offset:772
	s_waitcnt vmcnt(0) lgkmcnt(0)
	v_cmp_ne_u16_e32 vcc, 0, v0
	s_and_saveexec_b64 s[28:29], vcc
	s_cbranch_execz .LBB227_95
; %bb.90:                               ;   in Loop: Header=BB227_11 Depth=1
	v_cmp_ne_u16_e32 vcc, s19, v0
	v_bfrev_b32_e32 v38, 1
	s_and_saveexec_b64 s[30:31], vcc
	s_cbranch_execz .LBB227_94
; %bb.91:                               ;   in Loop: Header=BB227_11 Depth=1
	v_and_b32_e32 v28, 0xffff, v0
	v_and_b32_e32 v1, 0x7f, v28
	v_cmp_ne_u32_e32 vcc, s37, v1
	v_mov_b32_e32 v38, 0x7f800001
	s_and_saveexec_b64 s[34:35], vcc
	s_cbranch_execz .LBB227_93
; %bb.92:                               ;   in Loop: Header=BB227_11 Depth=1
	v_and_b32_e32 v6, 7, v28
	v_lshrrev_b32_e32 v7, 3, v1
	v_cmp_gt_u32_e32 vcc, 8, v1
	v_ffbh_u32_e32 v1, v6
	v_min_u32_e32 v1, 32, v1
	v_subrev_u32_e32 v2, 28, v1
	v_lshlrev_b64 v[2:3], v2, v[28:29]
	v_sub_u32_e32 v1, 29, v1
	v_and_b32_e32 v2, 7, v2
	v_cndmask_b32_e32 v1, v7, v1, vcc
	v_cndmask_b32_e32 v2, v6, v2, vcc
	v_lshlrev_b32_e32 v0, 24, v0
	v_bfrev_b32_e32 v3, 60
	v_lshlrev_b32_e32 v2, 20, v2
	v_and_b32_e32 v0, 0x80000000, v0
	v_lshl_add_u32 v1, v1, 23, v3
	v_or3_b32 v38, v0, v1, v2
.LBB227_93:                             ;   in Loop: Header=BB227_11 Depth=1
	s_or_b64 exec, exec, s[34:35]
.LBB227_94:                             ;   in Loop: Header=BB227_11 Depth=1
	s_or_b64 exec, exec, s[30:31]
.LBB227_95:                             ;   in Loop: Header=BB227_11 Depth=1
	s_or_b64 exec, exec, s[28:29]
	v_add_co_u32_e32 v60, vcc, 0x300, v14
	v_addc_co_u32_e32 v61, vcc, 0, v15, vcc
	flat_load_ubyte v0, v[60:61] offset:8
	v_mov_b32_e32 v48, 0
	v_mov_b32_e32 v49, 0
	s_waitcnt vmcnt(0) lgkmcnt(0)
	v_cmp_ne_u16_e32 vcc, 0, v0
	s_and_saveexec_b64 s[28:29], vcc
	s_cbranch_execz .LBB227_101
; %bb.96:                               ;   in Loop: Header=BB227_11 Depth=1
	v_cmp_ne_u16_e32 vcc, s19, v0
	v_bfrev_b32_e32 v49, 1
	s_and_saveexec_b64 s[30:31], vcc
	s_cbranch_execz .LBB227_100
; %bb.97:                               ;   in Loop: Header=BB227_11 Depth=1
	v_and_b32_e32 v28, 0xffff, v0
	v_and_b32_e32 v1, 0x7f, v28
	v_cmp_ne_u32_e32 vcc, s37, v1
	v_mov_b32_e32 v49, 0x7f800001
	s_and_saveexec_b64 s[34:35], vcc
	s_cbranch_execz .LBB227_99
; %bb.98:                               ;   in Loop: Header=BB227_11 Depth=1
	v_and_b32_e32 v6, 7, v28
	v_lshrrev_b32_e32 v7, 3, v1
	v_cmp_gt_u32_e32 vcc, 8, v1
	v_ffbh_u32_e32 v1, v6
	v_min_u32_e32 v1, 32, v1
	v_subrev_u32_e32 v2, 28, v1
	v_lshlrev_b64 v[2:3], v2, v[28:29]
	v_sub_u32_e32 v1, 29, v1
	v_and_b32_e32 v2, 7, v2
	v_cndmask_b32_e32 v1, v7, v1, vcc
	v_cndmask_b32_e32 v2, v6, v2, vcc
	v_lshlrev_b32_e32 v0, 24, v0
	v_bfrev_b32_e32 v3, 60
	v_lshlrev_b32_e32 v2, 20, v2
	v_and_b32_e32 v0, 0x80000000, v0
	v_lshl_add_u32 v1, v1, 23, v3
	v_or3_b32 v49, v0, v1, v2
.LBB227_99:                             ;   in Loop: Header=BB227_11 Depth=1
	s_or_b64 exec, exec, s[34:35]
.LBB227_100:                            ;   in Loop: Header=BB227_11 Depth=1
	s_or_b64 exec, exec, s[30:31]
.LBB227_101:                            ;   in Loop: Header=BB227_11 Depth=1
	s_or_b64 exec, exec, s[28:29]
	flat_load_ubyte v0, v[60:61] offset:12
	s_waitcnt vmcnt(0) lgkmcnt(0)
	v_cmp_ne_u16_e32 vcc, 0, v0
	s_and_saveexec_b64 s[28:29], vcc
	s_cbranch_execz .LBB227_107
; %bb.102:                              ;   in Loop: Header=BB227_11 Depth=1
	v_cmp_ne_u16_e32 vcc, s19, v0
	v_bfrev_b32_e32 v48, 1
	s_and_saveexec_b64 s[30:31], vcc
	s_cbranch_execz .LBB227_106
; %bb.103:                              ;   in Loop: Header=BB227_11 Depth=1
	v_and_b32_e32 v28, 0xffff, v0
	v_and_b32_e32 v1, 0x7f, v28
	v_cmp_ne_u32_e32 vcc, s37, v1
	v_mov_b32_e32 v48, 0x7f800001
	s_and_saveexec_b64 s[34:35], vcc
	s_cbranch_execz .LBB227_105
; %bb.104:                              ;   in Loop: Header=BB227_11 Depth=1
	v_and_b32_e32 v6, 7, v28
	v_lshrrev_b32_e32 v7, 3, v1
	v_cmp_gt_u32_e32 vcc, 8, v1
	v_ffbh_u32_e32 v1, v6
	v_min_u32_e32 v1, 32, v1
	v_subrev_u32_e32 v2, 28, v1
	v_lshlrev_b64 v[2:3], v2, v[28:29]
	v_sub_u32_e32 v1, 29, v1
	v_and_b32_e32 v2, 7, v2
	v_cndmask_b32_e32 v1, v7, v1, vcc
	v_cndmask_b32_e32 v2, v6, v2, vcc
	v_lshlrev_b32_e32 v0, 24, v0
	v_bfrev_b32_e32 v3, 60
	v_lshlrev_b32_e32 v2, 20, v2
	v_and_b32_e32 v0, 0x80000000, v0
	v_lshl_add_u32 v1, v1, 23, v3
	v_or3_b32 v48, v0, v1, v2
.LBB227_105:                            ;   in Loop: Header=BB227_11 Depth=1
	s_or_b64 exec, exec, s[34:35]
.LBB227_106:                            ;   in Loop: Header=BB227_11 Depth=1
	s_or_b64 exec, exec, s[30:31]
.LBB227_107:                            ;   in Loop: Header=BB227_11 Depth=1
	s_or_b64 exec, exec, s[28:29]
	flat_load_ubyte v0, v[14:15] offset:1024
	v_mov_b32_e32 v50, 0
	v_mov_b32_e32 v51, 0
	s_waitcnt vmcnt(0) lgkmcnt(0)
	v_cmp_ne_u16_e32 vcc, 0, v0
	s_and_saveexec_b64 s[28:29], vcc
	s_cbranch_execz .LBB227_113
; %bb.108:                              ;   in Loop: Header=BB227_11 Depth=1
	v_cmp_ne_u16_e32 vcc, s19, v0
	v_bfrev_b32_e32 v51, 1
	s_and_saveexec_b64 s[30:31], vcc
	s_cbranch_execz .LBB227_112
; %bb.109:                              ;   in Loop: Header=BB227_11 Depth=1
	v_and_b32_e32 v28, 0xffff, v0
	v_and_b32_e32 v1, 0x7f, v28
	v_cmp_ne_u32_e32 vcc, s37, v1
	v_mov_b32_e32 v51, 0x7f800001
	s_and_saveexec_b64 s[34:35], vcc
	s_cbranch_execz .LBB227_111
; %bb.110:                              ;   in Loop: Header=BB227_11 Depth=1
	v_and_b32_e32 v6, 7, v28
	v_lshrrev_b32_e32 v7, 3, v1
	v_cmp_gt_u32_e32 vcc, 8, v1
	v_ffbh_u32_e32 v1, v6
	v_min_u32_e32 v1, 32, v1
	v_subrev_u32_e32 v2, 28, v1
	v_lshlrev_b64 v[2:3], v2, v[28:29]
	v_sub_u32_e32 v1, 29, v1
	v_and_b32_e32 v2, 7, v2
	v_cndmask_b32_e32 v1, v7, v1, vcc
	v_cndmask_b32_e32 v2, v6, v2, vcc
	v_lshlrev_b32_e32 v0, 24, v0
	v_bfrev_b32_e32 v3, 60
	v_lshlrev_b32_e32 v2, 20, v2
	v_and_b32_e32 v0, 0x80000000, v0
	v_lshl_add_u32 v1, v1, 23, v3
	v_or3_b32 v51, v0, v1, v2
.LBB227_111:                            ;   in Loop: Header=BB227_11 Depth=1
	s_or_b64 exec, exec, s[34:35]
.LBB227_112:                            ;   in Loop: Header=BB227_11 Depth=1
	s_or_b64 exec, exec, s[30:31]
.LBB227_113:                            ;   in Loop: Header=BB227_11 Depth=1
	s_or_b64 exec, exec, s[28:29]
	flat_load_ubyte v0, v[14:15] offset:1028
	s_waitcnt vmcnt(0) lgkmcnt(0)
	v_cmp_ne_u16_e32 vcc, 0, v0
	s_and_saveexec_b64 s[28:29], vcc
	s_cbranch_execz .LBB227_119
; %bb.114:                              ;   in Loop: Header=BB227_11 Depth=1
	v_cmp_ne_u16_e32 vcc, s19, v0
	v_bfrev_b32_e32 v50, 1
	s_and_saveexec_b64 s[30:31], vcc
	s_cbranch_execz .LBB227_118
; %bb.115:                              ;   in Loop: Header=BB227_11 Depth=1
	v_and_b32_e32 v28, 0xffff, v0
	v_and_b32_e32 v1, 0x7f, v28
	v_cmp_ne_u32_e32 vcc, s37, v1
	v_mov_b32_e32 v50, 0x7f800001
	s_and_saveexec_b64 s[34:35], vcc
	s_cbranch_execz .LBB227_117
; %bb.116:                              ;   in Loop: Header=BB227_11 Depth=1
	v_and_b32_e32 v6, 7, v28
	v_lshrrev_b32_e32 v7, 3, v1
	v_cmp_gt_u32_e32 vcc, 8, v1
	v_ffbh_u32_e32 v1, v6
	v_min_u32_e32 v1, 32, v1
	v_subrev_u32_e32 v2, 28, v1
	v_lshlrev_b64 v[2:3], v2, v[28:29]
	v_sub_u32_e32 v1, 29, v1
	v_and_b32_e32 v2, 7, v2
	v_cndmask_b32_e32 v1, v7, v1, vcc
	v_cndmask_b32_e32 v2, v6, v2, vcc
	v_lshlrev_b32_e32 v0, 24, v0
	v_bfrev_b32_e32 v3, 60
	v_lshlrev_b32_e32 v2, 20, v2
	v_and_b32_e32 v0, 0x80000000, v0
	v_lshl_add_u32 v1, v1, 23, v3
	v_or3_b32 v50, v0, v1, v2
.LBB227_117:                            ;   in Loop: Header=BB227_11 Depth=1
	s_or_b64 exec, exec, s[34:35]
.LBB227_118:                            ;   in Loop: Header=BB227_11 Depth=1
	s_or_b64 exec, exec, s[30:31]
.LBB227_119:                            ;   in Loop: Header=BB227_11 Depth=1
	s_or_b64 exec, exec, s[28:29]
	v_add_co_u32_e32 v60, vcc, 0x400, v14
	v_addc_co_u32_e32 v61, vcc, 0, v15, vcc
	flat_load_ubyte v0, v[60:61] offset:8
	v_mov_b32_e32 v52, 0
	v_mov_b32_e32 v53, 0
	s_waitcnt vmcnt(0) lgkmcnt(0)
	v_cmp_ne_u16_e32 vcc, 0, v0
	s_and_saveexec_b64 s[28:29], vcc
	s_cbranch_execz .LBB227_125
; %bb.120:                              ;   in Loop: Header=BB227_11 Depth=1
	v_cmp_ne_u16_e32 vcc, s19, v0
	v_bfrev_b32_e32 v53, 1
	s_and_saveexec_b64 s[30:31], vcc
	s_cbranch_execz .LBB227_124
; %bb.121:                              ;   in Loop: Header=BB227_11 Depth=1
	v_and_b32_e32 v28, 0xffff, v0
	v_and_b32_e32 v1, 0x7f, v28
	v_cmp_ne_u32_e32 vcc, s37, v1
	v_mov_b32_e32 v53, 0x7f800001
	s_and_saveexec_b64 s[34:35], vcc
	s_cbranch_execz .LBB227_123
; %bb.122:                              ;   in Loop: Header=BB227_11 Depth=1
	v_and_b32_e32 v6, 7, v28
	v_lshrrev_b32_e32 v7, 3, v1
	v_cmp_gt_u32_e32 vcc, 8, v1
	v_ffbh_u32_e32 v1, v6
	v_min_u32_e32 v1, 32, v1
	v_subrev_u32_e32 v2, 28, v1
	v_lshlrev_b64 v[2:3], v2, v[28:29]
	v_sub_u32_e32 v1, 29, v1
	v_and_b32_e32 v2, 7, v2
	v_cndmask_b32_e32 v1, v7, v1, vcc
	v_cndmask_b32_e32 v2, v6, v2, vcc
	v_lshlrev_b32_e32 v0, 24, v0
	v_bfrev_b32_e32 v3, 60
	v_lshlrev_b32_e32 v2, 20, v2
	v_and_b32_e32 v0, 0x80000000, v0
	v_lshl_add_u32 v1, v1, 23, v3
	v_or3_b32 v53, v0, v1, v2
.LBB227_123:                            ;   in Loop: Header=BB227_11 Depth=1
	s_or_b64 exec, exec, s[34:35]
.LBB227_124:                            ;   in Loop: Header=BB227_11 Depth=1
	s_or_b64 exec, exec, s[30:31]
.LBB227_125:                            ;   in Loop: Header=BB227_11 Depth=1
	s_or_b64 exec, exec, s[28:29]
	flat_load_ubyte v0, v[60:61] offset:12
	s_waitcnt vmcnt(0) lgkmcnt(0)
	v_cmp_ne_u16_e32 vcc, 0, v0
	s_and_saveexec_b64 s[28:29], vcc
	s_cbranch_execz .LBB227_131
; %bb.126:                              ;   in Loop: Header=BB227_11 Depth=1
	v_cmp_ne_u16_e32 vcc, s19, v0
	v_bfrev_b32_e32 v52, 1
	s_and_saveexec_b64 s[30:31], vcc
	s_cbranch_execz .LBB227_130
; %bb.127:                              ;   in Loop: Header=BB227_11 Depth=1
	v_and_b32_e32 v28, 0xffff, v0
	v_and_b32_e32 v1, 0x7f, v28
	v_cmp_ne_u32_e32 vcc, s37, v1
	v_mov_b32_e32 v52, 0x7f800001
	s_and_saveexec_b64 s[34:35], vcc
	s_cbranch_execz .LBB227_129
; %bb.128:                              ;   in Loop: Header=BB227_11 Depth=1
	v_and_b32_e32 v6, 7, v28
	v_lshrrev_b32_e32 v7, 3, v1
	v_cmp_gt_u32_e32 vcc, 8, v1
	v_ffbh_u32_e32 v1, v6
	v_min_u32_e32 v1, 32, v1
	v_subrev_u32_e32 v2, 28, v1
	v_lshlrev_b64 v[2:3], v2, v[28:29]
	v_sub_u32_e32 v1, 29, v1
	v_and_b32_e32 v2, 7, v2
	v_cndmask_b32_e32 v1, v7, v1, vcc
	v_cndmask_b32_e32 v2, v6, v2, vcc
	v_lshlrev_b32_e32 v0, 24, v0
	v_bfrev_b32_e32 v3, 60
	v_lshlrev_b32_e32 v2, 20, v2
	v_and_b32_e32 v0, 0x80000000, v0
	v_lshl_add_u32 v1, v1, 23, v3
	v_or3_b32 v52, v0, v1, v2
.LBB227_129:                            ;   in Loop: Header=BB227_11 Depth=1
	s_or_b64 exec, exec, s[34:35]
.LBB227_130:                            ;   in Loop: Header=BB227_11 Depth=1
	s_or_b64 exec, exec, s[30:31]
.LBB227_131:                            ;   in Loop: Header=BB227_11 Depth=1
	s_or_b64 exec, exec, s[28:29]
	flat_load_ubyte v0, v[14:15] offset:1280
	v_mov_b32_e32 v54, 0
	v_mov_b32_e32 v55, 0
	s_waitcnt vmcnt(0) lgkmcnt(0)
	v_cmp_ne_u16_e32 vcc, 0, v0
	s_and_saveexec_b64 s[28:29], vcc
	s_cbranch_execz .LBB227_137
; %bb.132:                              ;   in Loop: Header=BB227_11 Depth=1
	v_cmp_ne_u16_e32 vcc, s19, v0
	v_bfrev_b32_e32 v55, 1
	s_and_saveexec_b64 s[30:31], vcc
	s_cbranch_execz .LBB227_136
; %bb.133:                              ;   in Loop: Header=BB227_11 Depth=1
	v_and_b32_e32 v28, 0xffff, v0
	v_and_b32_e32 v1, 0x7f, v28
	v_cmp_ne_u32_e32 vcc, s37, v1
	v_mov_b32_e32 v55, 0x7f800001
	s_and_saveexec_b64 s[34:35], vcc
	s_cbranch_execz .LBB227_135
; %bb.134:                              ;   in Loop: Header=BB227_11 Depth=1
	v_and_b32_e32 v6, 7, v28
	v_lshrrev_b32_e32 v7, 3, v1
	v_cmp_gt_u32_e32 vcc, 8, v1
	v_ffbh_u32_e32 v1, v6
	v_min_u32_e32 v1, 32, v1
	v_subrev_u32_e32 v2, 28, v1
	v_lshlrev_b64 v[2:3], v2, v[28:29]
	v_sub_u32_e32 v1, 29, v1
	v_and_b32_e32 v2, 7, v2
	v_cndmask_b32_e32 v1, v7, v1, vcc
	v_cndmask_b32_e32 v2, v6, v2, vcc
	v_lshlrev_b32_e32 v0, 24, v0
	v_bfrev_b32_e32 v3, 60
	v_lshlrev_b32_e32 v2, 20, v2
	v_and_b32_e32 v0, 0x80000000, v0
	v_lshl_add_u32 v1, v1, 23, v3
	v_or3_b32 v55, v0, v1, v2
.LBB227_135:                            ;   in Loop: Header=BB227_11 Depth=1
	s_or_b64 exec, exec, s[34:35]
.LBB227_136:                            ;   in Loop: Header=BB227_11 Depth=1
	s_or_b64 exec, exec, s[30:31]
.LBB227_137:                            ;   in Loop: Header=BB227_11 Depth=1
	s_or_b64 exec, exec, s[28:29]
	flat_load_ubyte v0, v[14:15] offset:1284
	s_waitcnt vmcnt(0) lgkmcnt(0)
	v_cmp_ne_u16_e32 vcc, 0, v0
	s_and_saveexec_b64 s[28:29], vcc
	s_cbranch_execz .LBB227_143
; %bb.138:                              ;   in Loop: Header=BB227_11 Depth=1
	v_cmp_ne_u16_e32 vcc, s19, v0
	v_bfrev_b32_e32 v54, 1
	s_and_saveexec_b64 s[30:31], vcc
	s_cbranch_execz .LBB227_142
; %bb.139:                              ;   in Loop: Header=BB227_11 Depth=1
	v_and_b32_e32 v28, 0xffff, v0
	v_and_b32_e32 v1, 0x7f, v28
	v_cmp_ne_u32_e32 vcc, s37, v1
	v_mov_b32_e32 v54, 0x7f800001
	s_and_saveexec_b64 s[34:35], vcc
	s_cbranch_execz .LBB227_141
; %bb.140:                              ;   in Loop: Header=BB227_11 Depth=1
	v_and_b32_e32 v6, 7, v28
	v_lshrrev_b32_e32 v7, 3, v1
	v_cmp_gt_u32_e32 vcc, 8, v1
	v_ffbh_u32_e32 v1, v6
	v_min_u32_e32 v1, 32, v1
	v_subrev_u32_e32 v2, 28, v1
	v_lshlrev_b64 v[2:3], v2, v[28:29]
	v_sub_u32_e32 v1, 29, v1
	v_and_b32_e32 v2, 7, v2
	v_cndmask_b32_e32 v1, v7, v1, vcc
	v_cndmask_b32_e32 v2, v6, v2, vcc
	v_lshlrev_b32_e32 v0, 24, v0
	v_bfrev_b32_e32 v3, 60
	v_lshlrev_b32_e32 v2, 20, v2
	v_and_b32_e32 v0, 0x80000000, v0
	v_lshl_add_u32 v1, v1, 23, v3
	v_or3_b32 v54, v0, v1, v2
.LBB227_141:                            ;   in Loop: Header=BB227_11 Depth=1
	s_or_b64 exec, exec, s[34:35]
.LBB227_142:                            ;   in Loop: Header=BB227_11 Depth=1
	s_or_b64 exec, exec, s[30:31]
.LBB227_143:                            ;   in Loop: Header=BB227_11 Depth=1
	s_or_b64 exec, exec, s[28:29]
	v_add_co_u32_e32 v60, vcc, 0x500, v14
	v_addc_co_u32_e32 v61, vcc, 0, v15, vcc
	flat_load_ubyte v0, v[60:61] offset:8
	v_mov_b32_e32 v40, 0
	v_mov_b32_e32 v41, 0
	s_waitcnt vmcnt(0) lgkmcnt(0)
	v_cmp_ne_u16_e32 vcc, 0, v0
	s_and_saveexec_b64 s[28:29], vcc
	s_cbranch_execz .LBB227_149
; %bb.144:                              ;   in Loop: Header=BB227_11 Depth=1
	v_cmp_ne_u16_e32 vcc, s19, v0
	v_bfrev_b32_e32 v41, 1
	s_and_saveexec_b64 s[30:31], vcc
	s_cbranch_execz .LBB227_148
; %bb.145:                              ;   in Loop: Header=BB227_11 Depth=1
	v_and_b32_e32 v28, 0xffff, v0
	v_and_b32_e32 v1, 0x7f, v28
	v_cmp_ne_u32_e32 vcc, s37, v1
	v_mov_b32_e32 v41, 0x7f800001
	s_and_saveexec_b64 s[34:35], vcc
	s_cbranch_execz .LBB227_147
; %bb.146:                              ;   in Loop: Header=BB227_11 Depth=1
	v_and_b32_e32 v6, 7, v28
	v_lshrrev_b32_e32 v7, 3, v1
	v_cmp_gt_u32_e32 vcc, 8, v1
	v_ffbh_u32_e32 v1, v6
	v_min_u32_e32 v1, 32, v1
	v_subrev_u32_e32 v2, 28, v1
	v_lshlrev_b64 v[2:3], v2, v[28:29]
	v_sub_u32_e32 v1, 29, v1
	v_and_b32_e32 v2, 7, v2
	v_cndmask_b32_e32 v1, v7, v1, vcc
	v_cndmask_b32_e32 v2, v6, v2, vcc
	v_lshlrev_b32_e32 v0, 24, v0
	v_bfrev_b32_e32 v3, 60
	v_lshlrev_b32_e32 v2, 20, v2
	v_and_b32_e32 v0, 0x80000000, v0
	v_lshl_add_u32 v1, v1, 23, v3
	v_or3_b32 v41, v0, v1, v2
.LBB227_147:                            ;   in Loop: Header=BB227_11 Depth=1
	s_or_b64 exec, exec, s[34:35]
.LBB227_148:                            ;   in Loop: Header=BB227_11 Depth=1
	s_or_b64 exec, exec, s[30:31]
.LBB227_149:                            ;   in Loop: Header=BB227_11 Depth=1
	s_or_b64 exec, exec, s[28:29]
	flat_load_ubyte v0, v[60:61] offset:12
	s_waitcnt vmcnt(0) lgkmcnt(0)
	v_cmp_ne_u16_e32 vcc, 0, v0
	s_and_saveexec_b64 s[28:29], vcc
	s_cbranch_execz .LBB227_155
; %bb.150:                              ;   in Loop: Header=BB227_11 Depth=1
	v_cmp_ne_u16_e32 vcc, s19, v0
	v_bfrev_b32_e32 v40, 1
	s_and_saveexec_b64 s[30:31], vcc
	s_cbranch_execz .LBB227_154
; %bb.151:                              ;   in Loop: Header=BB227_11 Depth=1
	v_and_b32_e32 v28, 0xffff, v0
	v_and_b32_e32 v1, 0x7f, v28
	v_cmp_ne_u32_e32 vcc, s37, v1
	v_mov_b32_e32 v40, 0x7f800001
	s_and_saveexec_b64 s[34:35], vcc
	s_cbranch_execz .LBB227_153
; %bb.152:                              ;   in Loop: Header=BB227_11 Depth=1
	v_and_b32_e32 v6, 7, v28
	v_lshrrev_b32_e32 v7, 3, v1
	v_cmp_gt_u32_e32 vcc, 8, v1
	v_ffbh_u32_e32 v1, v6
	v_min_u32_e32 v1, 32, v1
	v_subrev_u32_e32 v2, 28, v1
	v_lshlrev_b64 v[2:3], v2, v[28:29]
	v_sub_u32_e32 v1, 29, v1
	v_and_b32_e32 v2, 7, v2
	v_cndmask_b32_e32 v1, v7, v1, vcc
	v_cndmask_b32_e32 v2, v6, v2, vcc
	v_lshlrev_b32_e32 v0, 24, v0
	v_bfrev_b32_e32 v3, 60
	v_lshlrev_b32_e32 v2, 20, v2
	v_and_b32_e32 v0, 0x80000000, v0
	v_lshl_add_u32 v1, v1, 23, v3
	v_or3_b32 v40, v0, v1, v2
.LBB227_153:                            ;   in Loop: Header=BB227_11 Depth=1
	s_or_b64 exec, exec, s[34:35]
.LBB227_154:                            ;   in Loop: Header=BB227_11 Depth=1
	s_or_b64 exec, exec, s[30:31]
.LBB227_155:                            ;   in Loop: Header=BB227_11 Depth=1
	s_or_b64 exec, exec, s[28:29]
	flat_load_ubyte v0, v[14:15] offset:1536
	v_mov_b32_e32 v42, 0
	v_mov_b32_e32 v43, 0
	s_waitcnt vmcnt(0) lgkmcnt(0)
	v_cmp_ne_u16_e32 vcc, 0, v0
	s_and_saveexec_b64 s[28:29], vcc
	s_cbranch_execz .LBB227_161
; %bb.156:                              ;   in Loop: Header=BB227_11 Depth=1
	v_cmp_ne_u16_e32 vcc, s19, v0
	v_bfrev_b32_e32 v43, 1
	s_and_saveexec_b64 s[30:31], vcc
	s_cbranch_execz .LBB227_160
; %bb.157:                              ;   in Loop: Header=BB227_11 Depth=1
	v_and_b32_e32 v28, 0xffff, v0
	v_and_b32_e32 v1, 0x7f, v28
	v_cmp_ne_u32_e32 vcc, s37, v1
	v_mov_b32_e32 v43, 0x7f800001
	s_and_saveexec_b64 s[34:35], vcc
	s_cbranch_execz .LBB227_159
; %bb.158:                              ;   in Loop: Header=BB227_11 Depth=1
	v_and_b32_e32 v6, 7, v28
	v_lshrrev_b32_e32 v7, 3, v1
	v_cmp_gt_u32_e32 vcc, 8, v1
	v_ffbh_u32_e32 v1, v6
	v_min_u32_e32 v1, 32, v1
	v_subrev_u32_e32 v2, 28, v1
	v_lshlrev_b64 v[2:3], v2, v[28:29]
	v_sub_u32_e32 v1, 29, v1
	v_and_b32_e32 v2, 7, v2
	v_cndmask_b32_e32 v1, v7, v1, vcc
	v_cndmask_b32_e32 v2, v6, v2, vcc
	v_lshlrev_b32_e32 v0, 24, v0
	v_bfrev_b32_e32 v3, 60
	v_lshlrev_b32_e32 v2, 20, v2
	v_and_b32_e32 v0, 0x80000000, v0
	v_lshl_add_u32 v1, v1, 23, v3
	v_or3_b32 v43, v0, v1, v2
.LBB227_159:                            ;   in Loop: Header=BB227_11 Depth=1
	s_or_b64 exec, exec, s[34:35]
.LBB227_160:                            ;   in Loop: Header=BB227_11 Depth=1
	s_or_b64 exec, exec, s[30:31]
.LBB227_161:                            ;   in Loop: Header=BB227_11 Depth=1
	s_or_b64 exec, exec, s[28:29]
	flat_load_ubyte v0, v[14:15] offset:1540
	s_waitcnt vmcnt(0) lgkmcnt(0)
	v_cmp_ne_u16_e32 vcc, 0, v0
	s_and_saveexec_b64 s[28:29], vcc
	s_cbranch_execz .LBB227_167
; %bb.162:                              ;   in Loop: Header=BB227_11 Depth=1
	v_cmp_ne_u16_e32 vcc, s19, v0
	v_bfrev_b32_e32 v42, 1
	s_and_saveexec_b64 s[30:31], vcc
	s_cbranch_execz .LBB227_166
; %bb.163:                              ;   in Loop: Header=BB227_11 Depth=1
	v_and_b32_e32 v28, 0xffff, v0
	v_and_b32_e32 v1, 0x7f, v28
	v_cmp_ne_u32_e32 vcc, s37, v1
	v_mov_b32_e32 v42, 0x7f800001
	s_and_saveexec_b64 s[34:35], vcc
	s_cbranch_execz .LBB227_165
; %bb.164:                              ;   in Loop: Header=BB227_11 Depth=1
	v_and_b32_e32 v6, 7, v28
	v_lshrrev_b32_e32 v7, 3, v1
	v_cmp_gt_u32_e32 vcc, 8, v1
	v_ffbh_u32_e32 v1, v6
	v_min_u32_e32 v1, 32, v1
	v_subrev_u32_e32 v2, 28, v1
	v_lshlrev_b64 v[2:3], v2, v[28:29]
	v_sub_u32_e32 v1, 29, v1
	v_and_b32_e32 v2, 7, v2
	v_cndmask_b32_e32 v1, v7, v1, vcc
	v_cndmask_b32_e32 v2, v6, v2, vcc
	v_lshlrev_b32_e32 v0, 24, v0
	v_bfrev_b32_e32 v3, 60
	v_lshlrev_b32_e32 v2, 20, v2
	v_and_b32_e32 v0, 0x80000000, v0
	v_lshl_add_u32 v1, v1, 23, v3
	v_or3_b32 v42, v0, v1, v2
.LBB227_165:                            ;   in Loop: Header=BB227_11 Depth=1
	s_or_b64 exec, exec, s[34:35]
.LBB227_166:                            ;   in Loop: Header=BB227_11 Depth=1
	s_or_b64 exec, exec, s[30:31]
.LBB227_167:                            ;   in Loop: Header=BB227_11 Depth=1
	s_or_b64 exec, exec, s[28:29]
	v_add_co_u32_e32 v60, vcc, 0x600, v14
	v_addc_co_u32_e32 v61, vcc, 0, v15, vcc
	flat_load_ubyte v0, v[60:61] offset:8
	v_mov_b32_e32 v29, 0
	v_mov_b32_e32 v12, 0
	s_waitcnt vmcnt(0) lgkmcnt(0)
	v_cmp_ne_u16_e32 vcc, 0, v0
	s_and_saveexec_b64 s[28:29], vcc
	s_cbranch_execz .LBB227_173
; %bb.168:                              ;   in Loop: Header=BB227_11 Depth=1
	v_cmp_ne_u16_e32 vcc, s19, v0
	v_bfrev_b32_e32 v12, 1
	s_and_saveexec_b64 s[30:31], vcc
	s_cbranch_execz .LBB227_172
; %bb.169:                              ;   in Loop: Header=BB227_11 Depth=1
	v_and_b32_e32 v28, 0xffff, v0
	v_and_b32_e32 v1, 0x7f, v28
	v_cmp_ne_u32_e32 vcc, s37, v1
	v_mov_b32_e32 v12, 0x7f800001
	s_and_saveexec_b64 s[34:35], vcc
	s_cbranch_execz .LBB227_171
; %bb.170:                              ;   in Loop: Header=BB227_11 Depth=1
	v_and_b32_e32 v6, 7, v28
	v_lshrrev_b32_e32 v7, 3, v1
	v_cmp_gt_u32_e32 vcc, 8, v1
	v_ffbh_u32_e32 v1, v6
	v_min_u32_e32 v1, 32, v1
	v_subrev_u32_e32 v2, 28, v1
	v_lshlrev_b64 v[2:3], v2, v[28:29]
	v_sub_u32_e32 v1, 29, v1
	v_and_b32_e32 v2, 7, v2
	v_cndmask_b32_e32 v1, v7, v1, vcc
	v_cndmask_b32_e32 v2, v6, v2, vcc
	v_lshlrev_b32_e32 v0, 24, v0
	v_bfrev_b32_e32 v3, 60
	v_lshlrev_b32_e32 v2, 20, v2
	v_and_b32_e32 v0, 0x80000000, v0
	v_lshl_add_u32 v1, v1, 23, v3
	v_or3_b32 v12, v0, v1, v2
.LBB227_171:                            ;   in Loop: Header=BB227_11 Depth=1
	s_or_b64 exec, exec, s[34:35]
.LBB227_172:                            ;   in Loop: Header=BB227_11 Depth=1
	s_or_b64 exec, exec, s[30:31]
.LBB227_173:                            ;   in Loop: Header=BB227_11 Depth=1
	s_or_b64 exec, exec, s[28:29]
	flat_load_ubyte v0, v[60:61] offset:12
	s_waitcnt vmcnt(0) lgkmcnt(0)
	v_cmp_ne_u16_e32 vcc, 0, v0
	s_and_saveexec_b64 s[28:29], vcc
	s_cbranch_execz .LBB227_179
; %bb.174:                              ;   in Loop: Header=BB227_11 Depth=1
	v_cmp_ne_u16_e32 vcc, s19, v0
	v_bfrev_b32_e32 v29, 1
	s_and_saveexec_b64 s[30:31], vcc
	s_cbranch_execz .LBB227_178
; %bb.175:                              ;   in Loop: Header=BB227_11 Depth=1
	v_and_b32_e32 v28, 0xffff, v0
	v_and_b32_e32 v1, 0x7f, v28
	v_cmp_ne_u32_e32 vcc, s37, v1
	v_mov_b32_e32 v29, 0x7f800001
	s_and_saveexec_b64 s[34:35], vcc
	s_cbranch_execz .LBB227_177
; %bb.176:                              ;   in Loop: Header=BB227_11 Depth=1
	v_and_b32_e32 v6, 7, v28
	v_lshrrev_b32_e32 v7, 3, v1
	v_cmp_gt_u32_e32 vcc, 8, v1
	v_ffbh_u32_e32 v1, v6
	v_min_u32_e32 v1, 32, v1
	v_subrev_u32_e32 v2, 28, v1
	v_lshlrev_b64 v[2:3], v2, v[28:29]
	v_sub_u32_e32 v1, 29, v1
	v_and_b32_e32 v2, 7, v2
	v_cndmask_b32_e32 v1, v7, v1, vcc
	v_cndmask_b32_e32 v2, v6, v2, vcc
	v_lshlrev_b32_e32 v0, 24, v0
	v_bfrev_b32_e32 v3, 60
	v_lshlrev_b32_e32 v2, 20, v2
	v_and_b32_e32 v0, 0x80000000, v0
	v_lshl_add_u32 v1, v1, 23, v3
	v_or3_b32 v29, v0, v1, v2
.LBB227_177:                            ;   in Loop: Header=BB227_11 Depth=1
	s_or_b64 exec, exec, s[34:35]
.LBB227_178:                            ;   in Loop: Header=BB227_11 Depth=1
	s_or_b64 exec, exec, s[30:31]
.LBB227_179:                            ;   in Loop: Header=BB227_11 Depth=1
	s_or_b64 exec, exec, s[28:29]
	flat_load_ubyte v0, v[14:15] offset:1792
	v_mov_b32_e32 v34, 0
	v_mov_b32_e32 v44, 0
	s_waitcnt vmcnt(0) lgkmcnt(0)
	v_cmp_ne_u16_e32 vcc, 0, v0
	s_and_saveexec_b64 s[28:29], vcc
	s_cbranch_execz .LBB227_185
; %bb.180:                              ;   in Loop: Header=BB227_11 Depth=1
	v_cmp_ne_u16_e32 vcc, s19, v0
	v_bfrev_b32_e32 v44, 1
	s_and_saveexec_b64 s[30:31], vcc
	s_cbranch_execz .LBB227_184
; %bb.181:                              ;   in Loop: Header=BB227_11 Depth=1
	v_and_b32_e32 v28, 0xffff, v0
	v_and_b32_e32 v1, 0x7f, v28
	v_cmp_ne_u32_e32 vcc, s37, v1
	v_mov_b32_e32 v44, 0x7f800001
	s_and_saveexec_b64 s[34:35], vcc
	s_cbranch_execz .LBB227_183
; %bb.182:                              ;   in Loop: Header=BB227_11 Depth=1
	v_and_b32_e32 v6, 7, v28
	v_lshrrev_b32_e32 v7, 3, v1
	v_cmp_gt_u32_e32 vcc, 8, v1
	v_ffbh_u32_e32 v1, v6
	v_min_u32_e32 v1, 32, v1
	v_subrev_u32_e32 v2, 28, v1
	v_lshlrev_b64 v[2:3], v2, v[28:29]
	v_sub_u32_e32 v1, 29, v1
	v_and_b32_e32 v2, 7, v2
	v_cndmask_b32_e32 v1, v7, v1, vcc
	v_cndmask_b32_e32 v2, v6, v2, vcc
	v_lshlrev_b32_e32 v0, 24, v0
	v_bfrev_b32_e32 v3, 60
	v_lshlrev_b32_e32 v2, 20, v2
	v_and_b32_e32 v0, 0x80000000, v0
	v_lshl_add_u32 v1, v1, 23, v3
	v_or3_b32 v44, v0, v1, v2
.LBB227_183:                            ;   in Loop: Header=BB227_11 Depth=1
	s_or_b64 exec, exec, s[34:35]
.LBB227_184:                            ;   in Loop: Header=BB227_11 Depth=1
	s_or_b64 exec, exec, s[30:31]
.LBB227_185:                            ;   in Loop: Header=BB227_11 Depth=1
	s_or_b64 exec, exec, s[28:29]
	flat_load_ubyte v0, v[14:15] offset:1796
	s_waitcnt vmcnt(0) lgkmcnt(0)
	v_cmp_ne_u16_e32 vcc, 0, v0
	s_and_saveexec_b64 s[28:29], vcc
	s_cbranch_execz .LBB227_191
; %bb.186:                              ;   in Loop: Header=BB227_11 Depth=1
	v_cmp_ne_u16_e32 vcc, s19, v0
	v_bfrev_b32_e32 v34, 1
	s_and_saveexec_b64 s[30:31], vcc
	s_cbranch_execz .LBB227_190
; %bb.187:                              ;   in Loop: Header=BB227_11 Depth=1
	v_and_b32_e32 v28, 0xffff, v0
	v_and_b32_e32 v1, 0x7f, v28
	v_cmp_ne_u32_e32 vcc, s37, v1
	v_mov_b32_e32 v34, 0x7f800001
	s_and_saveexec_b64 s[34:35], vcc
	s_cbranch_execz .LBB227_189
; %bb.188:                              ;   in Loop: Header=BB227_11 Depth=1
	v_and_b32_e32 v6, 7, v28
	v_lshrrev_b32_e32 v7, 3, v1
	v_cmp_gt_u32_e32 vcc, 8, v1
	v_ffbh_u32_e32 v1, v6
	v_min_u32_e32 v1, 32, v1
	v_subrev_u32_e32 v2, 28, v1
	v_lshlrev_b64 v[2:3], v2, v[28:29]
	v_sub_u32_e32 v1, 29, v1
	v_and_b32_e32 v2, 7, v2
	v_cndmask_b32_e32 v1, v7, v1, vcc
	v_cndmask_b32_e32 v2, v6, v2, vcc
	v_lshlrev_b32_e32 v0, 24, v0
	v_bfrev_b32_e32 v3, 60
	v_lshlrev_b32_e32 v2, 20, v2
	v_and_b32_e32 v0, 0x80000000, v0
	v_lshl_add_u32 v1, v1, 23, v3
	v_or3_b32 v34, v0, v1, v2
.LBB227_189:                            ;   in Loop: Header=BB227_11 Depth=1
	s_or_b64 exec, exec, s[34:35]
.LBB227_190:                            ;   in Loop: Header=BB227_11 Depth=1
	s_or_b64 exec, exec, s[30:31]
.LBB227_191:                            ;   in Loop: Header=BB227_11 Depth=1
	s_or_b64 exec, exec, s[28:29]
	v_add_co_u32_e32 v60, vcc, 0x700, v14
	v_addc_co_u32_e32 v61, vcc, 0, v15, vcc
	flat_load_ubyte v0, v[60:61] offset:8
	v_mov_b32_e32 v45, 0
	v_mov_b32_e32 v46, 0
	s_waitcnt vmcnt(0) lgkmcnt(0)
	v_cmp_ne_u16_e32 vcc, 0, v0
	s_and_saveexec_b64 s[28:29], vcc
	s_cbranch_execz .LBB227_197
; %bb.192:                              ;   in Loop: Header=BB227_11 Depth=1
	v_cmp_ne_u16_e32 vcc, s19, v0
	v_bfrev_b32_e32 v46, 1
	s_and_saveexec_b64 s[30:31], vcc
	s_cbranch_execz .LBB227_196
; %bb.193:                              ;   in Loop: Header=BB227_11 Depth=1
	v_and_b32_e32 v28, 0xffff, v0
	v_and_b32_e32 v1, 0x7f, v28
	v_cmp_ne_u32_e32 vcc, s37, v1
	v_mov_b32_e32 v46, 0x7f800001
	s_and_saveexec_b64 s[34:35], vcc
	s_cbranch_execz .LBB227_195
; %bb.194:                              ;   in Loop: Header=BB227_11 Depth=1
	v_and_b32_e32 v6, 7, v28
	v_lshrrev_b32_e32 v7, 3, v1
	v_cmp_gt_u32_e32 vcc, 8, v1
	v_ffbh_u32_e32 v1, v6
	v_min_u32_e32 v1, 32, v1
	v_subrev_u32_e32 v2, 28, v1
	v_lshlrev_b64 v[2:3], v2, v[28:29]
	v_sub_u32_e32 v1, 29, v1
	v_and_b32_e32 v2, 7, v2
	v_cndmask_b32_e32 v1, v7, v1, vcc
	v_cndmask_b32_e32 v2, v6, v2, vcc
	v_lshlrev_b32_e32 v0, 24, v0
	v_bfrev_b32_e32 v3, 60
	v_lshlrev_b32_e32 v2, 20, v2
	v_and_b32_e32 v0, 0x80000000, v0
	v_lshl_add_u32 v1, v1, 23, v3
	v_or3_b32 v46, v0, v1, v2
.LBB227_195:                            ;   in Loop: Header=BB227_11 Depth=1
	s_or_b64 exec, exec, s[34:35]
.LBB227_196:                            ;   in Loop: Header=BB227_11 Depth=1
	s_or_b64 exec, exec, s[30:31]
.LBB227_197:                            ;   in Loop: Header=BB227_11 Depth=1
	s_or_b64 exec, exec, s[28:29]
	flat_load_ubyte v0, v[60:61] offset:12
	s_waitcnt vmcnt(0) lgkmcnt(0)
	v_cmp_ne_u16_e32 vcc, 0, v0
	s_and_saveexec_b64 s[28:29], vcc
	s_cbranch_execz .LBB227_203
; %bb.198:                              ;   in Loop: Header=BB227_11 Depth=1
	v_cmp_ne_u16_e32 vcc, s19, v0
	v_bfrev_b32_e32 v45, 1
	s_and_saveexec_b64 s[30:31], vcc
	s_cbranch_execz .LBB227_202
; %bb.199:                              ;   in Loop: Header=BB227_11 Depth=1
	v_and_b32_e32 v28, 0xffff, v0
	v_and_b32_e32 v1, 0x7f, v28
	v_cmp_ne_u32_e32 vcc, s37, v1
	v_mov_b32_e32 v45, 0x7f800001
	s_and_saveexec_b64 s[34:35], vcc
	s_cbranch_execz .LBB227_201
; %bb.200:                              ;   in Loop: Header=BB227_11 Depth=1
	v_and_b32_e32 v6, 7, v28
	v_lshrrev_b32_e32 v7, 3, v1
	v_cmp_gt_u32_e32 vcc, 8, v1
	v_ffbh_u32_e32 v1, v6
	v_min_u32_e32 v1, 32, v1
	v_subrev_u32_e32 v2, 28, v1
	v_lshlrev_b64 v[2:3], v2, v[28:29]
	v_sub_u32_e32 v1, 29, v1
	v_and_b32_e32 v2, 7, v2
	v_cndmask_b32_e32 v1, v7, v1, vcc
	v_cndmask_b32_e32 v2, v6, v2, vcc
	v_lshlrev_b32_e32 v0, 24, v0
	v_bfrev_b32_e32 v3, 60
	v_lshlrev_b32_e32 v2, 20, v2
	v_and_b32_e32 v0, 0x80000000, v0
	v_lshl_add_u32 v1, v1, 23, v3
	v_or3_b32 v45, v0, v1, v2
.LBB227_201:                            ;   in Loop: Header=BB227_11 Depth=1
	s_or_b64 exec, exec, s[34:35]
.LBB227_202:                            ;   in Loop: Header=BB227_11 Depth=1
	s_or_b64 exec, exec, s[30:31]
.LBB227_203:                            ;   in Loop: Header=BB227_11 Depth=1
	s_or_b64 exec, exec, s[28:29]
	flat_load_ubyte v0, v[14:15] offset:2048
	v_mov_b32_e32 v47, 0
	v_mov_b32_e32 v56, 0
	s_waitcnt vmcnt(0) lgkmcnt(0)
	v_cmp_ne_u16_e32 vcc, 0, v0
	s_and_saveexec_b64 s[28:29], vcc
	s_cbranch_execz .LBB227_209
; %bb.204:                              ;   in Loop: Header=BB227_11 Depth=1
	v_cmp_ne_u16_e32 vcc, s19, v0
	v_bfrev_b32_e32 v56, 1
	s_and_saveexec_b64 s[30:31], vcc
	s_cbranch_execz .LBB227_208
; %bb.205:                              ;   in Loop: Header=BB227_11 Depth=1
	v_and_b32_e32 v28, 0xffff, v0
	v_and_b32_e32 v1, 0x7f, v28
	v_cmp_ne_u32_e32 vcc, s37, v1
	v_mov_b32_e32 v56, 0x7f800001
	s_and_saveexec_b64 s[34:35], vcc
	s_cbranch_execz .LBB227_207
; %bb.206:                              ;   in Loop: Header=BB227_11 Depth=1
	v_and_b32_e32 v6, 7, v28
	v_lshrrev_b32_e32 v7, 3, v1
	v_cmp_gt_u32_e32 vcc, 8, v1
	v_ffbh_u32_e32 v1, v6
	v_min_u32_e32 v1, 32, v1
	v_subrev_u32_e32 v2, 28, v1
	v_lshlrev_b64 v[2:3], v2, v[28:29]
	v_sub_u32_e32 v1, 29, v1
	v_and_b32_e32 v2, 7, v2
	v_cndmask_b32_e32 v1, v7, v1, vcc
	v_cndmask_b32_e32 v2, v6, v2, vcc
	v_lshlrev_b32_e32 v0, 24, v0
	v_bfrev_b32_e32 v3, 60
	v_lshlrev_b32_e32 v2, 20, v2
	v_and_b32_e32 v0, 0x80000000, v0
	v_lshl_add_u32 v1, v1, 23, v3
	v_or3_b32 v56, v0, v1, v2
.LBB227_207:                            ;   in Loop: Header=BB227_11 Depth=1
	s_or_b64 exec, exec, s[34:35]
.LBB227_208:                            ;   in Loop: Header=BB227_11 Depth=1
	s_or_b64 exec, exec, s[30:31]
.LBB227_209:                            ;   in Loop: Header=BB227_11 Depth=1
	s_or_b64 exec, exec, s[28:29]
	flat_load_ubyte v0, v[14:15] offset:2052
	s_waitcnt vmcnt(0) lgkmcnt(0)
	v_cmp_ne_u16_e32 vcc, 0, v0
	s_and_saveexec_b64 s[28:29], vcc
	s_cbranch_execz .LBB227_215
; %bb.210:                              ;   in Loop: Header=BB227_11 Depth=1
	v_cmp_ne_u16_e32 vcc, s19, v0
	v_bfrev_b32_e32 v47, 1
	s_and_saveexec_b64 s[30:31], vcc
	s_cbranch_execz .LBB227_214
; %bb.211:                              ;   in Loop: Header=BB227_11 Depth=1
	v_and_b32_e32 v28, 0xffff, v0
	v_and_b32_e32 v1, 0x7f, v28
	v_cmp_ne_u32_e32 vcc, s37, v1
	v_mov_b32_e32 v47, 0x7f800001
	s_and_saveexec_b64 s[34:35], vcc
	s_cbranch_execz .LBB227_213
; %bb.212:                              ;   in Loop: Header=BB227_11 Depth=1
	v_and_b32_e32 v6, 7, v28
	v_lshrrev_b32_e32 v7, 3, v1
	v_cmp_gt_u32_e32 vcc, 8, v1
	v_ffbh_u32_e32 v1, v6
	v_min_u32_e32 v1, 32, v1
	v_subrev_u32_e32 v2, 28, v1
	v_lshlrev_b64 v[2:3], v2, v[28:29]
	v_sub_u32_e32 v1, 29, v1
	v_and_b32_e32 v2, 7, v2
	v_cndmask_b32_e32 v1, v7, v1, vcc
	v_cndmask_b32_e32 v2, v6, v2, vcc
	v_lshlrev_b32_e32 v0, 24, v0
	v_bfrev_b32_e32 v3, 60
	v_lshlrev_b32_e32 v2, 20, v2
	v_and_b32_e32 v0, 0x80000000, v0
	v_lshl_add_u32 v1, v1, 23, v3
	v_or3_b32 v47, v0, v1, v2
.LBB227_213:                            ;   in Loop: Header=BB227_11 Depth=1
	s_or_b64 exec, exec, s[34:35]
.LBB227_214:                            ;   in Loop: Header=BB227_11 Depth=1
	s_or_b64 exec, exec, s[30:31]
.LBB227_215:                            ;   in Loop: Header=BB227_11 Depth=1
	s_or_b64 exec, exec, s[28:29]
	v_add_co_u32_e32 v60, vcc, 0x800, v14
	v_addc_co_u32_e32 v61, vcc, 0, v15, vcc
	flat_load_ubyte v0, v[60:61] offset:8
	v_mov_b32_e32 v57, 0
	v_mov_b32_e32 v27, 0
	s_waitcnt vmcnt(0) lgkmcnt(0)
	v_cmp_ne_u16_e32 vcc, 0, v0
	s_and_saveexec_b64 s[28:29], vcc
	s_cbranch_execz .LBB227_221
; %bb.216:                              ;   in Loop: Header=BB227_11 Depth=1
	v_cmp_ne_u16_e32 vcc, s19, v0
	v_bfrev_b32_e32 v27, 1
	s_and_saveexec_b64 s[30:31], vcc
	s_cbranch_execz .LBB227_220
; %bb.217:                              ;   in Loop: Header=BB227_11 Depth=1
	v_and_b32_e32 v28, 0xffff, v0
	v_and_b32_e32 v1, 0x7f, v28
	v_cmp_ne_u32_e32 vcc, s37, v1
	v_mov_b32_e32 v27, 0x7f800001
	s_and_saveexec_b64 s[34:35], vcc
	s_cbranch_execz .LBB227_219
; %bb.218:                              ;   in Loop: Header=BB227_11 Depth=1
	v_and_b32_e32 v6, 7, v28
	v_lshrrev_b32_e32 v7, 3, v1
	v_cmp_gt_u32_e32 vcc, 8, v1
	v_ffbh_u32_e32 v1, v6
	v_min_u32_e32 v1, 32, v1
	v_subrev_u32_e32 v2, 28, v1
	v_lshlrev_b64 v[2:3], v2, v[28:29]
	v_sub_u32_e32 v1, 29, v1
	v_and_b32_e32 v2, 7, v2
	v_cndmask_b32_e32 v1, v7, v1, vcc
	v_cndmask_b32_e32 v2, v6, v2, vcc
	v_lshlrev_b32_e32 v0, 24, v0
	v_bfrev_b32_e32 v3, 60
	v_lshlrev_b32_e32 v2, 20, v2
	v_and_b32_e32 v0, 0x80000000, v0
	v_lshl_add_u32 v1, v1, 23, v3
	v_or3_b32 v27, v0, v1, v2
.LBB227_219:                            ;   in Loop: Header=BB227_11 Depth=1
	s_or_b64 exec, exec, s[34:35]
.LBB227_220:                            ;   in Loop: Header=BB227_11 Depth=1
	s_or_b64 exec, exec, s[30:31]
.LBB227_221:                            ;   in Loop: Header=BB227_11 Depth=1
	s_or_b64 exec, exec, s[28:29]
	flat_load_ubyte v0, v[60:61] offset:12
	s_waitcnt vmcnt(0) lgkmcnt(0)
	v_cmp_ne_u16_e32 vcc, 0, v0
	s_and_saveexec_b64 s[28:29], vcc
	s_cbranch_execz .LBB227_227
; %bb.222:                              ;   in Loop: Header=BB227_11 Depth=1
	v_cmp_ne_u16_e32 vcc, s19, v0
	v_bfrev_b32_e32 v57, 1
	s_and_saveexec_b64 s[30:31], vcc
	s_cbranch_execz .LBB227_226
; %bb.223:                              ;   in Loop: Header=BB227_11 Depth=1
	v_and_b32_e32 v28, 0xffff, v0
	v_and_b32_e32 v1, 0x7f, v28
	v_cmp_ne_u32_e32 vcc, s37, v1
	v_mov_b32_e32 v57, 0x7f800001
	s_and_saveexec_b64 s[34:35], vcc
	s_cbranch_execz .LBB227_225
; %bb.224:                              ;   in Loop: Header=BB227_11 Depth=1
	v_and_b32_e32 v6, 7, v28
	v_lshrrev_b32_e32 v7, 3, v1
	v_cmp_gt_u32_e32 vcc, 8, v1
	v_ffbh_u32_e32 v1, v6
	v_min_u32_e32 v1, 32, v1
	v_subrev_u32_e32 v2, 28, v1
	v_lshlrev_b64 v[2:3], v2, v[28:29]
	v_sub_u32_e32 v1, 29, v1
	v_and_b32_e32 v2, 7, v2
	v_cndmask_b32_e32 v1, v7, v1, vcc
	v_cndmask_b32_e32 v2, v6, v2, vcc
	v_lshlrev_b32_e32 v0, 24, v0
	v_bfrev_b32_e32 v3, 60
	v_lshlrev_b32_e32 v2, 20, v2
	v_and_b32_e32 v0, 0x80000000, v0
	v_lshl_add_u32 v1, v1, 23, v3
	v_or3_b32 v57, v0, v1, v2
.LBB227_225:                            ;   in Loop: Header=BB227_11 Depth=1
	s_or_b64 exec, exec, s[34:35]
.LBB227_226:                            ;   in Loop: Header=BB227_11 Depth=1
	s_or_b64 exec, exec, s[30:31]
.LBB227_227:                            ;   in Loop: Header=BB227_11 Depth=1
	s_or_b64 exec, exec, s[28:29]
	flat_load_ubyte v0, v[14:15] offset:2304
	v_mov_b32_e32 v58, 0
	v_mov_b32_e32 v59, 0
	s_waitcnt vmcnt(0) lgkmcnt(0)
	v_cmp_ne_u16_e32 vcc, 0, v0
	s_and_saveexec_b64 s[28:29], vcc
	s_cbranch_execz .LBB227_233
; %bb.228:                              ;   in Loop: Header=BB227_11 Depth=1
	v_cmp_ne_u16_e32 vcc, s19, v0
	v_bfrev_b32_e32 v59, 1
	s_and_saveexec_b64 s[30:31], vcc
	s_cbranch_execz .LBB227_232
; %bb.229:                              ;   in Loop: Header=BB227_11 Depth=1
	v_and_b32_e32 v28, 0xffff, v0
	v_and_b32_e32 v1, 0x7f, v28
	v_cmp_ne_u32_e32 vcc, s37, v1
	v_mov_b32_e32 v59, 0x7f800001
	s_and_saveexec_b64 s[34:35], vcc
	s_cbranch_execz .LBB227_231
; %bb.230:                              ;   in Loop: Header=BB227_11 Depth=1
	v_and_b32_e32 v6, 7, v28
	v_lshrrev_b32_e32 v7, 3, v1
	v_cmp_gt_u32_e32 vcc, 8, v1
	v_ffbh_u32_e32 v1, v6
	v_min_u32_e32 v1, 32, v1
	v_subrev_u32_e32 v2, 28, v1
	v_lshlrev_b64 v[2:3], v2, v[28:29]
	v_sub_u32_e32 v1, 29, v1
	v_and_b32_e32 v2, 7, v2
	v_cndmask_b32_e32 v1, v7, v1, vcc
	v_cndmask_b32_e32 v2, v6, v2, vcc
	v_lshlrev_b32_e32 v0, 24, v0
	v_bfrev_b32_e32 v3, 60
	v_lshlrev_b32_e32 v2, 20, v2
	v_and_b32_e32 v0, 0x80000000, v0
	v_lshl_add_u32 v1, v1, 23, v3
	v_or3_b32 v59, v0, v1, v2
.LBB227_231:                            ;   in Loop: Header=BB227_11 Depth=1
	s_or_b64 exec, exec, s[34:35]
.LBB227_232:                            ;   in Loop: Header=BB227_11 Depth=1
	s_or_b64 exec, exec, s[30:31]
.LBB227_233:                            ;   in Loop: Header=BB227_11 Depth=1
	s_or_b64 exec, exec, s[28:29]
	flat_load_ubyte v0, v[14:15] offset:2308
	s_waitcnt vmcnt(0) lgkmcnt(0)
	v_cmp_ne_u16_e32 vcc, 0, v0
	s_and_saveexec_b64 s[28:29], vcc
	s_cbranch_execz .LBB227_239
; %bb.234:                              ;   in Loop: Header=BB227_11 Depth=1
	v_cmp_ne_u16_e32 vcc, s19, v0
	v_bfrev_b32_e32 v58, 1
	s_and_saveexec_b64 s[30:31], vcc
	s_cbranch_execz .LBB227_238
; %bb.235:                              ;   in Loop: Header=BB227_11 Depth=1
	v_and_b32_e32 v28, 0xffff, v0
	v_and_b32_e32 v1, 0x7f, v28
	v_cmp_ne_u32_e32 vcc, s37, v1
	v_mov_b32_e32 v58, 0x7f800001
	s_and_saveexec_b64 s[34:35], vcc
	s_cbranch_execz .LBB227_237
; %bb.236:                              ;   in Loop: Header=BB227_11 Depth=1
	v_and_b32_e32 v6, 7, v28
	v_lshrrev_b32_e32 v7, 3, v1
	v_cmp_gt_u32_e32 vcc, 8, v1
	v_ffbh_u32_e32 v1, v6
	v_min_u32_e32 v1, 32, v1
	v_subrev_u32_e32 v2, 28, v1
	v_lshlrev_b64 v[2:3], v2, v[28:29]
	v_sub_u32_e32 v1, 29, v1
	v_and_b32_e32 v2, 7, v2
	v_cndmask_b32_e32 v1, v7, v1, vcc
	v_cndmask_b32_e32 v2, v6, v2, vcc
	v_lshlrev_b32_e32 v0, 24, v0
	v_bfrev_b32_e32 v3, 60
	v_lshlrev_b32_e32 v2, 20, v2
	v_and_b32_e32 v0, 0x80000000, v0
	v_lshl_add_u32 v1, v1, 23, v3
	v_or3_b32 v58, v0, v1, v2
.LBB227_237:                            ;   in Loop: Header=BB227_11 Depth=1
	s_or_b64 exec, exec, s[34:35]
.LBB227_238:                            ;   in Loop: Header=BB227_11 Depth=1
	s_or_b64 exec, exec, s[30:31]
.LBB227_239:                            ;   in Loop: Header=BB227_11 Depth=1
	s_or_b64 exec, exec, s[28:29]
	v_add_co_u32_e32 v60, vcc, 0x900, v14
	v_addc_co_u32_e32 v61, vcc, 0, v15, vcc
	flat_load_ubyte v0, v[60:61] offset:8
	v_mov_b32_e32 v8, 0
	v_mov_b32_e32 v9, 0
	s_waitcnt vmcnt(0) lgkmcnt(0)
	v_cmp_ne_u16_e32 vcc, 0, v0
	s_and_saveexec_b64 s[28:29], vcc
	s_cbranch_execz .LBB227_245
; %bb.240:                              ;   in Loop: Header=BB227_11 Depth=1
	v_cmp_ne_u16_e32 vcc, s19, v0
	v_bfrev_b32_e32 v9, 1
	s_and_saveexec_b64 s[30:31], vcc
	s_cbranch_execz .LBB227_244
; %bb.241:                              ;   in Loop: Header=BB227_11 Depth=1
	v_and_b32_e32 v28, 0xffff, v0
	v_and_b32_e32 v1, 0x7f, v28
	v_cmp_ne_u32_e32 vcc, s37, v1
	v_mov_b32_e32 v9, 0x7f800001
	s_and_saveexec_b64 s[34:35], vcc
	s_cbranch_execz .LBB227_243
; %bb.242:                              ;   in Loop: Header=BB227_11 Depth=1
	v_and_b32_e32 v6, 7, v28
	v_lshrrev_b32_e32 v7, 3, v1
	v_cmp_gt_u32_e32 vcc, 8, v1
	v_ffbh_u32_e32 v1, v6
	v_min_u32_e32 v1, 32, v1
	v_subrev_u32_e32 v2, 28, v1
	v_lshlrev_b64 v[2:3], v2, v[28:29]
	v_sub_u32_e32 v1, 29, v1
	v_and_b32_e32 v2, 7, v2
	v_cndmask_b32_e32 v1, v7, v1, vcc
	v_cndmask_b32_e32 v2, v6, v2, vcc
	v_lshlrev_b32_e32 v0, 24, v0
	v_bfrev_b32_e32 v3, 60
	v_lshlrev_b32_e32 v2, 20, v2
	v_and_b32_e32 v0, 0x80000000, v0
	v_lshl_add_u32 v1, v1, 23, v3
	v_or3_b32 v9, v0, v1, v2
.LBB227_243:                            ;   in Loop: Header=BB227_11 Depth=1
	s_or_b64 exec, exec, s[34:35]
.LBB227_244:                            ;   in Loop: Header=BB227_11 Depth=1
	s_or_b64 exec, exec, s[30:31]
.LBB227_245:                            ;   in Loop: Header=BB227_11 Depth=1
	s_or_b64 exec, exec, s[28:29]
	flat_load_ubyte v0, v[60:61] offset:12
	s_waitcnt vmcnt(0) lgkmcnt(0)
	v_cmp_ne_u16_e32 vcc, 0, v0
	s_and_saveexec_b64 s[28:29], vcc
	s_cbranch_execz .LBB227_251
; %bb.246:                              ;   in Loop: Header=BB227_11 Depth=1
	v_cmp_ne_u16_e32 vcc, s19, v0
	v_bfrev_b32_e32 v8, 1
	s_and_saveexec_b64 s[30:31], vcc
	s_cbranch_execz .LBB227_250
; %bb.247:                              ;   in Loop: Header=BB227_11 Depth=1
	v_and_b32_e32 v28, 0xffff, v0
	v_and_b32_e32 v1, 0x7f, v28
	v_cmp_ne_u32_e32 vcc, s37, v1
	v_mov_b32_e32 v8, 0x7f800001
	s_and_saveexec_b64 s[34:35], vcc
	s_cbranch_execz .LBB227_249
; %bb.248:                              ;   in Loop: Header=BB227_11 Depth=1
	v_and_b32_e32 v6, 7, v28
	v_lshrrev_b32_e32 v7, 3, v1
	v_cmp_gt_u32_e32 vcc, 8, v1
	v_ffbh_u32_e32 v1, v6
	v_min_u32_e32 v1, 32, v1
	v_subrev_u32_e32 v2, 28, v1
	v_lshlrev_b64 v[2:3], v2, v[28:29]
	v_sub_u32_e32 v1, 29, v1
	v_and_b32_e32 v2, 7, v2
	v_cndmask_b32_e32 v1, v7, v1, vcc
	v_cndmask_b32_e32 v2, v6, v2, vcc
	v_lshlrev_b32_e32 v0, 24, v0
	v_bfrev_b32_e32 v3, 60
	v_lshlrev_b32_e32 v2, 20, v2
	v_and_b32_e32 v0, 0x80000000, v0
	v_lshl_add_u32 v1, v1, 23, v3
	v_or3_b32 v8, v0, v1, v2
.LBB227_249:                            ;   in Loop: Header=BB227_11 Depth=1
	s_or_b64 exec, exec, s[34:35]
.LBB227_250:                            ;   in Loop: Header=BB227_11 Depth=1
	s_or_b64 exec, exec, s[30:31]
.LBB227_251:                            ;   in Loop: Header=BB227_11 Depth=1
	s_or_b64 exec, exec, s[28:29]
	flat_load_ubyte v0, v[14:15] offset:2560
	v_mov_b32_e32 v20, 0
	v_mov_b32_e32 v21, 0
	s_waitcnt vmcnt(0) lgkmcnt(0)
	v_cmp_ne_u16_e32 vcc, 0, v0
	s_and_saveexec_b64 s[28:29], vcc
	s_cbranch_execz .LBB227_257
; %bb.252:                              ;   in Loop: Header=BB227_11 Depth=1
	v_cmp_ne_u16_e32 vcc, s19, v0
	v_bfrev_b32_e32 v21, 1
	s_and_saveexec_b64 s[30:31], vcc
	s_cbranch_execz .LBB227_256
; %bb.253:                              ;   in Loop: Header=BB227_11 Depth=1
	v_and_b32_e32 v28, 0xffff, v0
	v_and_b32_e32 v1, 0x7f, v28
	v_cmp_ne_u32_e32 vcc, s37, v1
	v_mov_b32_e32 v21, 0x7f800001
	s_and_saveexec_b64 s[34:35], vcc
	s_cbranch_execz .LBB227_255
; %bb.254:                              ;   in Loop: Header=BB227_11 Depth=1
	v_and_b32_e32 v6, 7, v28
	v_lshrrev_b32_e32 v7, 3, v1
	v_cmp_gt_u32_e32 vcc, 8, v1
	v_ffbh_u32_e32 v1, v6
	v_min_u32_e32 v1, 32, v1
	v_subrev_u32_e32 v2, 28, v1
	v_lshlrev_b64 v[2:3], v2, v[28:29]
	v_sub_u32_e32 v1, 29, v1
	v_and_b32_e32 v2, 7, v2
	v_cndmask_b32_e32 v1, v7, v1, vcc
	v_cndmask_b32_e32 v2, v6, v2, vcc
	v_lshlrev_b32_e32 v0, 24, v0
	v_bfrev_b32_e32 v3, 60
	v_lshlrev_b32_e32 v2, 20, v2
	v_and_b32_e32 v0, 0x80000000, v0
	v_lshl_add_u32 v1, v1, 23, v3
	v_or3_b32 v21, v0, v1, v2
.LBB227_255:                            ;   in Loop: Header=BB227_11 Depth=1
	s_or_b64 exec, exec, s[34:35]
.LBB227_256:                            ;   in Loop: Header=BB227_11 Depth=1
	s_or_b64 exec, exec, s[30:31]
.LBB227_257:                            ;   in Loop: Header=BB227_11 Depth=1
	s_or_b64 exec, exec, s[28:29]
	flat_load_ubyte v0, v[14:15] offset:2564
	s_waitcnt vmcnt(0) lgkmcnt(0)
	v_cmp_ne_u16_e32 vcc, 0, v0
	s_and_saveexec_b64 s[28:29], vcc
	s_cbranch_execz .LBB227_263
; %bb.258:                              ;   in Loop: Header=BB227_11 Depth=1
	v_cmp_ne_u16_e32 vcc, s19, v0
	v_bfrev_b32_e32 v20, 1
	s_and_saveexec_b64 s[30:31], vcc
	s_cbranch_execz .LBB227_262
; %bb.259:                              ;   in Loop: Header=BB227_11 Depth=1
	v_and_b32_e32 v28, 0xffff, v0
	v_and_b32_e32 v1, 0x7f, v28
	v_cmp_ne_u32_e32 vcc, s37, v1
	v_mov_b32_e32 v20, 0x7f800001
	s_and_saveexec_b64 s[34:35], vcc
	s_cbranch_execz .LBB227_261
; %bb.260:                              ;   in Loop: Header=BB227_11 Depth=1
	v_and_b32_e32 v6, 7, v28
	v_lshrrev_b32_e32 v7, 3, v1
	v_cmp_gt_u32_e32 vcc, 8, v1
	v_ffbh_u32_e32 v1, v6
	v_min_u32_e32 v1, 32, v1
	v_subrev_u32_e32 v2, 28, v1
	v_lshlrev_b64 v[2:3], v2, v[28:29]
	v_sub_u32_e32 v1, 29, v1
	v_and_b32_e32 v2, 7, v2
	v_cndmask_b32_e32 v1, v7, v1, vcc
	v_cndmask_b32_e32 v2, v6, v2, vcc
	v_lshlrev_b32_e32 v0, 24, v0
	v_bfrev_b32_e32 v3, 60
	v_lshlrev_b32_e32 v2, 20, v2
	v_and_b32_e32 v0, 0x80000000, v0
	v_lshl_add_u32 v1, v1, 23, v3
	v_or3_b32 v20, v0, v1, v2
.LBB227_261:                            ;   in Loop: Header=BB227_11 Depth=1
	s_or_b64 exec, exec, s[34:35]
.LBB227_262:                            ;   in Loop: Header=BB227_11 Depth=1
	s_or_b64 exec, exec, s[30:31]
.LBB227_263:                            ;   in Loop: Header=BB227_11 Depth=1
	s_or_b64 exec, exec, s[28:29]
	v_add_co_u32_e32 v60, vcc, 0xa00, v14
	v_addc_co_u32_e32 v61, vcc, 0, v15, vcc
	flat_load_ubyte v0, v[60:61] offset:8
	v_mov_b32_e32 v22, 0
	v_mov_b32_e32 v23, 0
	s_waitcnt vmcnt(0) lgkmcnt(0)
	v_cmp_ne_u16_e32 vcc, 0, v0
	s_and_saveexec_b64 s[28:29], vcc
	s_cbranch_execz .LBB227_269
; %bb.264:                              ;   in Loop: Header=BB227_11 Depth=1
	v_cmp_ne_u16_e32 vcc, s19, v0
	v_bfrev_b32_e32 v23, 1
	s_and_saveexec_b64 s[30:31], vcc
	s_cbranch_execz .LBB227_268
; %bb.265:                              ;   in Loop: Header=BB227_11 Depth=1
	v_and_b32_e32 v28, 0xffff, v0
	v_and_b32_e32 v1, 0x7f, v28
	v_cmp_ne_u32_e32 vcc, s37, v1
	v_mov_b32_e32 v23, 0x7f800001
	s_and_saveexec_b64 s[34:35], vcc
	s_cbranch_execz .LBB227_267
; %bb.266:                              ;   in Loop: Header=BB227_11 Depth=1
	v_and_b32_e32 v6, 7, v28
	v_lshrrev_b32_e32 v7, 3, v1
	v_cmp_gt_u32_e32 vcc, 8, v1
	v_ffbh_u32_e32 v1, v6
	v_min_u32_e32 v1, 32, v1
	v_subrev_u32_e32 v2, 28, v1
	v_lshlrev_b64 v[2:3], v2, v[28:29]
	v_sub_u32_e32 v1, 29, v1
	v_and_b32_e32 v2, 7, v2
	v_cndmask_b32_e32 v1, v7, v1, vcc
	v_cndmask_b32_e32 v2, v6, v2, vcc
	v_lshlrev_b32_e32 v0, 24, v0
	v_bfrev_b32_e32 v3, 60
	v_lshlrev_b32_e32 v2, 20, v2
	v_and_b32_e32 v0, 0x80000000, v0
	v_lshl_add_u32 v1, v1, 23, v3
	v_or3_b32 v23, v0, v1, v2
.LBB227_267:                            ;   in Loop: Header=BB227_11 Depth=1
	s_or_b64 exec, exec, s[34:35]
.LBB227_268:                            ;   in Loop: Header=BB227_11 Depth=1
	s_or_b64 exec, exec, s[30:31]
.LBB227_269:                            ;   in Loop: Header=BB227_11 Depth=1
	s_or_b64 exec, exec, s[28:29]
	flat_load_ubyte v0, v[60:61] offset:12
	s_waitcnt vmcnt(0) lgkmcnt(0)
	v_cmp_ne_u16_e32 vcc, 0, v0
	s_and_saveexec_b64 s[28:29], vcc
	s_cbranch_execz .LBB227_275
; %bb.270:                              ;   in Loop: Header=BB227_11 Depth=1
	v_cmp_ne_u16_e32 vcc, s19, v0
	v_bfrev_b32_e32 v22, 1
	s_and_saveexec_b64 s[30:31], vcc
	s_cbranch_execz .LBB227_274
; %bb.271:                              ;   in Loop: Header=BB227_11 Depth=1
	v_and_b32_e32 v28, 0xffff, v0
	v_and_b32_e32 v1, 0x7f, v28
	v_cmp_ne_u32_e32 vcc, s37, v1
	v_mov_b32_e32 v22, 0x7f800001
	s_and_saveexec_b64 s[34:35], vcc
	s_cbranch_execz .LBB227_273
; %bb.272:                              ;   in Loop: Header=BB227_11 Depth=1
	v_and_b32_e32 v6, 7, v28
	v_lshrrev_b32_e32 v7, 3, v1
	v_cmp_gt_u32_e32 vcc, 8, v1
	v_ffbh_u32_e32 v1, v6
	v_min_u32_e32 v1, 32, v1
	v_subrev_u32_e32 v2, 28, v1
	v_lshlrev_b64 v[2:3], v2, v[28:29]
	v_sub_u32_e32 v1, 29, v1
	v_and_b32_e32 v2, 7, v2
	v_cndmask_b32_e32 v1, v7, v1, vcc
	v_cndmask_b32_e32 v2, v6, v2, vcc
	v_lshlrev_b32_e32 v0, 24, v0
	v_bfrev_b32_e32 v3, 60
	v_lshlrev_b32_e32 v2, 20, v2
	v_and_b32_e32 v0, 0x80000000, v0
	v_lshl_add_u32 v1, v1, 23, v3
	v_or3_b32 v22, v0, v1, v2
.LBB227_273:                            ;   in Loop: Header=BB227_11 Depth=1
	s_or_b64 exec, exec, s[34:35]
.LBB227_274:                            ;   in Loop: Header=BB227_11 Depth=1
	s_or_b64 exec, exec, s[30:31]
.LBB227_275:                            ;   in Loop: Header=BB227_11 Depth=1
	s_or_b64 exec, exec, s[28:29]
	flat_load_ubyte v0, v[14:15] offset:2816
	v_mov_b32_e32 v6, 0
	v_mov_b32_e32 v1, 0
	buffer_store_dword v1, off, s[0:3], s32 offset:188 ; 4-byte Folded Spill
	s_waitcnt vmcnt(0) lgkmcnt(0)
	v_cmp_ne_u16_e32 vcc, 0, v0
	s_and_saveexec_b64 s[28:29], vcc
	s_cbranch_execz .LBB227_281
; %bb.276:                              ;   in Loop: Header=BB227_11 Depth=1
	v_cmp_ne_u16_e32 vcc, s19, v0
	v_bfrev_b32_e32 v1, 1
	buffer_store_dword v1, off, s[0:3], s32 offset:188 ; 4-byte Folded Spill
	s_and_saveexec_b64 s[30:31], vcc
	s_cbranch_execz .LBB227_280
; %bb.277:                              ;   in Loop: Header=BB227_11 Depth=1
	v_and_b32_e32 v28, 0xffff, v0
	v_and_b32_e32 v1, 0x7f, v28
	v_cmp_ne_u32_e32 vcc, s37, v1
	v_mov_b32_e32 v2, 0x7f800001
	buffer_store_dword v2, off, s[0:3], s32 offset:188 ; 4-byte Folded Spill
	s_and_saveexec_b64 s[34:35], vcc
	s_cbranch_execz .LBB227_279
; %bb.278:                              ;   in Loop: Header=BB227_11 Depth=1
	v_and_b32_e32 v6, 7, v28
	v_lshrrev_b32_e32 v7, 3, v1
	v_cmp_gt_u32_e32 vcc, 8, v1
	v_ffbh_u32_e32 v1, v6
	v_min_u32_e32 v1, 32, v1
	v_subrev_u32_e32 v2, 28, v1
	v_lshlrev_b64 v[2:3], v2, v[28:29]
	v_sub_u32_e32 v1, 29, v1
	v_and_b32_e32 v2, 7, v2
	v_cndmask_b32_e32 v1, v7, v1, vcc
	v_cndmask_b32_e32 v2, v6, v2, vcc
	v_lshlrev_b32_e32 v0, 24, v0
	v_bfrev_b32_e32 v3, 60
	v_lshlrev_b32_e32 v2, 20, v2
	v_and_b32_e32 v0, 0x80000000, v0
	v_lshl_add_u32 v1, v1, 23, v3
	v_mov_b32_e32 v6, 0
	v_or3_b32 v0, v0, v1, v2
	buffer_store_dword v0, off, s[0:3], s32 offset:188 ; 4-byte Folded Spill
.LBB227_279:                            ;   in Loop: Header=BB227_11 Depth=1
	s_or_b64 exec, exec, s[34:35]
.LBB227_280:                            ;   in Loop: Header=BB227_11 Depth=1
	s_or_b64 exec, exec, s[30:31]
.LBB227_281:                            ;   in Loop: Header=BB227_11 Depth=1
	s_or_b64 exec, exec, s[28:29]
	flat_load_ubyte v0, v[14:15] offset:2820
	s_waitcnt vmcnt(0) lgkmcnt(0)
	v_cmp_ne_u16_e32 vcc, 0, v0
	s_and_saveexec_b64 s[28:29], vcc
	s_cbranch_execz .LBB227_287
; %bb.282:                              ;   in Loop: Header=BB227_11 Depth=1
	v_cmp_ne_u16_e32 vcc, s19, v0
	v_bfrev_b32_e32 v6, 1
	s_and_saveexec_b64 s[30:31], vcc
	s_cbranch_execz .LBB227_286
; %bb.283:                              ;   in Loop: Header=BB227_11 Depth=1
	v_and_b32_e32 v28, 0xffff, v0
	v_and_b32_e32 v1, 0x7f, v28
	v_cmp_ne_u32_e32 vcc, s37, v1
	v_mov_b32_e32 v6, 0x7f800001
	s_and_saveexec_b64 s[34:35], vcc
	s_cbranch_execz .LBB227_285
; %bb.284:                              ;   in Loop: Header=BB227_11 Depth=1
	v_and_b32_e32 v7, 7, v28
	v_mov_b32_e32 v4, v8
	v_lshrrev_b32_e32 v8, 3, v1
	v_cmp_gt_u32_e32 vcc, 8, v1
	v_ffbh_u32_e32 v1, v7
	v_min_u32_e32 v1, 32, v1
	v_subrev_u32_e32 v2, 28, v1
	v_lshlrev_b64 v[2:3], v2, v[28:29]
	v_sub_u32_e32 v1, 29, v1
	v_and_b32_e32 v2, 7, v2
	v_cndmask_b32_e32 v1, v8, v1, vcc
	v_cndmask_b32_e32 v2, v7, v2, vcc
	v_lshlrev_b32_e32 v0, 24, v0
	v_bfrev_b32_e32 v3, 60
	v_lshlrev_b32_e32 v2, 20, v2
	v_and_b32_e32 v0, 0x80000000, v0
	v_lshl_add_u32 v1, v1, 23, v3
	v_mov_b32_e32 v8, v4
	v_or3_b32 v6, v0, v1, v2
.LBB227_285:                            ;   in Loop: Header=BB227_11 Depth=1
	s_or_b64 exec, exec, s[34:35]
.LBB227_286:                            ;   in Loop: Header=BB227_11 Depth=1
	s_or_b64 exec, exec, s[30:31]
.LBB227_287:                            ;   in Loop: Header=BB227_11 Depth=1
	s_or_b64 exec, exec, s[28:29]
	v_add_co_u32_e32 v60, vcc, 0xb00, v14
	v_addc_co_u32_e32 v61, vcc, 0, v15, vcc
	flat_load_ubyte v0, v[60:61] offset:8
	v_mov_b32_e32 v7, 0
	v_mov_b32_e32 v16, 0
	s_waitcnt vmcnt(0) lgkmcnt(0)
	v_cmp_ne_u16_e32 vcc, 0, v0
	s_and_saveexec_b64 s[28:29], vcc
	s_cbranch_execz .LBB227_293
; %bb.288:                              ;   in Loop: Header=BB227_11 Depth=1
	v_cmp_ne_u16_e32 vcc, s19, v0
	v_bfrev_b32_e32 v16, 1
	s_and_saveexec_b64 s[30:31], vcc
	s_cbranch_execz .LBB227_292
; %bb.289:                              ;   in Loop: Header=BB227_11 Depth=1
	v_and_b32_e32 v28, 0xffff, v0
	v_and_b32_e32 v1, 0x7f, v28
	v_cmp_ne_u32_e32 vcc, s37, v1
	v_mov_b32_e32 v16, 0x7f800001
	s_and_saveexec_b64 s[34:35], vcc
	s_cbranch_execz .LBB227_291
; %bb.290:                              ;   in Loop: Header=BB227_11 Depth=1
	v_mov_b32_e32 v4, v8
	v_and_b32_e32 v8, 7, v28
	v_mov_b32_e32 v5, v9
	v_lshrrev_b32_e32 v9, 3, v1
	v_cmp_gt_u32_e32 vcc, 8, v1
	v_ffbh_u32_e32 v1, v8
	v_min_u32_e32 v1, 32, v1
	v_subrev_u32_e32 v2, 28, v1
	v_lshlrev_b64 v[2:3], v2, v[28:29]
	v_sub_u32_e32 v1, 29, v1
	v_and_b32_e32 v2, 7, v2
	v_cndmask_b32_e32 v1, v9, v1, vcc
	v_cndmask_b32_e32 v2, v8, v2, vcc
	v_lshlrev_b32_e32 v0, 24, v0
	v_bfrev_b32_e32 v3, 60
	v_lshlrev_b32_e32 v2, 20, v2
	v_and_b32_e32 v0, 0x80000000, v0
	v_lshl_add_u32 v1, v1, 23, v3
	v_mov_b32_e32 v9, v5
	v_mov_b32_e32 v7, 0
	;; [unrolled: 1-line block ×3, first 2 shown]
	v_or3_b32 v16, v0, v1, v2
.LBB227_291:                            ;   in Loop: Header=BB227_11 Depth=1
	s_or_b64 exec, exec, s[34:35]
.LBB227_292:                            ;   in Loop: Header=BB227_11 Depth=1
	s_or_b64 exec, exec, s[30:31]
.LBB227_293:                            ;   in Loop: Header=BB227_11 Depth=1
	s_or_b64 exec, exec, s[28:29]
	flat_load_ubyte v0, v[60:61] offset:12
	s_waitcnt vmcnt(0) lgkmcnt(0)
	v_cmp_ne_u16_e32 vcc, 0, v0
	s_and_saveexec_b64 s[28:29], vcc
	s_cbranch_execz .LBB227_299
; %bb.294:                              ;   in Loop: Header=BB227_11 Depth=1
	v_cmp_ne_u16_e32 vcc, s19, v0
	v_bfrev_b32_e32 v7, 1
	s_and_saveexec_b64 s[30:31], vcc
	s_cbranch_execz .LBB227_298
; %bb.295:                              ;   in Loop: Header=BB227_11 Depth=1
	v_and_b32_e32 v28, 0xffff, v0
	v_and_b32_e32 v1, 0x7f, v28
	v_cmp_ne_u32_e32 vcc, s37, v1
	v_mov_b32_e32 v7, 0x7f800001
	s_and_saveexec_b64 s[34:35], vcc
	s_cbranch_execz .LBB227_297
; %bb.296:                              ;   in Loop: Header=BB227_11 Depth=1
	v_and_b32_e32 v7, 7, v28
	v_mov_b32_e32 v4, v9
	v_lshrrev_b32_e32 v9, 3, v1
	v_cmp_gt_u32_e32 vcc, 8, v1
	v_ffbh_u32_e32 v1, v7
	v_min_u32_e32 v1, 32, v1
	v_subrev_u32_e32 v2, 28, v1
	v_lshlrev_b64 v[2:3], v2, v[28:29]
	v_sub_u32_e32 v1, 29, v1
	v_and_b32_e32 v2, 7, v2
	v_cndmask_b32_e32 v1, v9, v1, vcc
	v_cndmask_b32_e32 v2, v7, v2, vcc
	v_lshlrev_b32_e32 v0, 24, v0
	v_bfrev_b32_e32 v3, 60
	v_lshlrev_b32_e32 v2, 20, v2
	v_and_b32_e32 v0, 0x80000000, v0
	v_lshl_add_u32 v1, v1, 23, v3
	v_mov_b32_e32 v9, v4
	v_or3_b32 v7, v0, v1, v2
.LBB227_297:                            ;   in Loop: Header=BB227_11 Depth=1
	s_or_b64 exec, exec, s[34:35]
.LBB227_298:                            ;   in Loop: Header=BB227_11 Depth=1
	s_or_b64 exec, exec, s[30:31]
.LBB227_299:                            ;   in Loop: Header=BB227_11 Depth=1
	s_or_b64 exec, exec, s[28:29]
	flat_load_ubyte v0, v[14:15] offset:3072
	v_mov_b32_e32 v26, 0
	v_mov_b32_e32 v19, 0
	s_waitcnt vmcnt(0) lgkmcnt(0)
	v_cmp_ne_u16_e32 vcc, 0, v0
	s_and_saveexec_b64 s[28:29], vcc
	s_cbranch_execz .LBB227_305
; %bb.300:                              ;   in Loop: Header=BB227_11 Depth=1
	v_cmp_ne_u16_e32 vcc, s19, v0
	v_bfrev_b32_e32 v19, 1
	s_and_saveexec_b64 s[30:31], vcc
	s_cbranch_execz .LBB227_304
; %bb.301:                              ;   in Loop: Header=BB227_11 Depth=1
	v_and_b32_e32 v28, 0xffff, v0
	v_and_b32_e32 v1, 0x7f, v28
	v_cmp_ne_u32_e32 vcc, s37, v1
	v_mov_b32_e32 v19, 0x7f800001
	s_and_saveexec_b64 s[34:35], vcc
	s_cbranch_execz .LBB227_303
; %bb.302:                              ;   in Loop: Header=BB227_11 Depth=1
	v_mov_b32_e32 v19, v16
	v_and_b32_e32 v16, 7, v28
	v_lshrrev_b32_e32 v4, 3, v1
	v_cmp_gt_u32_e32 vcc, 8, v1
	v_ffbh_u32_e32 v1, v16
	v_min_u32_e32 v1, 32, v1
	v_subrev_u32_e32 v2, 28, v1
	v_lshlrev_b64 v[2:3], v2, v[28:29]
	v_sub_u32_e32 v1, 29, v1
	v_and_b32_e32 v2, 7, v2
	v_cndmask_b32_e32 v1, v4, v1, vcc
	v_cndmask_b32_e32 v2, v16, v2, vcc
	v_lshlrev_b32_e32 v0, 24, v0
	v_bfrev_b32_e32 v3, 60
	v_lshlrev_b32_e32 v2, 20, v2
	v_and_b32_e32 v0, 0x80000000, v0
	v_lshl_add_u32 v1, v1, 23, v3
	v_mov_b32_e32 v16, v19
	v_or3_b32 v19, v0, v1, v2
.LBB227_303:                            ;   in Loop: Header=BB227_11 Depth=1
	s_or_b64 exec, exec, s[34:35]
.LBB227_304:                            ;   in Loop: Header=BB227_11 Depth=1
	s_or_b64 exec, exec, s[30:31]
.LBB227_305:                            ;   in Loop: Header=BB227_11 Depth=1
	s_or_b64 exec, exec, s[28:29]
	flat_load_ubyte v0, v[14:15] offset:3076
	s_waitcnt vmcnt(0) lgkmcnt(0)
	v_cmp_ne_u16_e32 vcc, 0, v0
	s_mov_b64 s[28:29], exec
	s_and_b64 vcc, s[28:29], vcc
	v_accvgpr_write_b32 a12, v19
	s_mov_b64 exec, vcc
	s_cbranch_execz .LBB227_311
; %bb.306:                              ;   in Loop: Header=BB227_11 Depth=1
	v_cmp_ne_u16_e32 vcc, s19, v0
	v_bfrev_b32_e32 v26, 1
	s_and_saveexec_b64 s[30:31], vcc
	s_cbranch_execz .LBB227_310
; %bb.307:                              ;   in Loop: Header=BB227_11 Depth=1
	v_and_b32_e32 v28, 0xffff, v0
	v_and_b32_e32 v1, 0x7f, v28
	v_cmp_ne_u32_e32 vcc, s37, v1
	v_mov_b32_e32 v26, 0x7f800001
	s_and_saveexec_b64 s[34:35], vcc
	s_cbranch_execz .LBB227_309
; %bb.308:                              ;   in Loop: Header=BB227_11 Depth=1
	v_mov_b32_e32 v4, v9
	v_and_b32_e32 v9, 7, v28
	v_mov_b32_e32 v19, v16
	v_lshrrev_b32_e32 v16, 3, v1
	v_cmp_gt_u32_e32 vcc, 8, v1
	v_ffbh_u32_e32 v1, v9
	v_min_u32_e32 v1, 32, v1
	v_subrev_u32_e32 v2, 28, v1
	v_lshlrev_b64 v[2:3], v2, v[28:29]
	v_sub_u32_e32 v1, 29, v1
	v_and_b32_e32 v2, 7, v2
	v_cndmask_b32_e32 v1, v16, v1, vcc
	v_cndmask_b32_e32 v2, v9, v2, vcc
	v_lshlrev_b32_e32 v0, 24, v0
	v_bfrev_b32_e32 v3, 60
	v_lshlrev_b32_e32 v2, 20, v2
	v_and_b32_e32 v0, 0x80000000, v0
	v_lshl_add_u32 v1, v1, 23, v3
	v_mov_b32_e32 v16, v19
	v_accvgpr_read_b32 v19, a12
	v_mov_b32_e32 v9, v4
	v_or3_b32 v26, v0, v1, v2
.LBB227_309:                            ;   in Loop: Header=BB227_11 Depth=1
	s_or_b64 exec, exec, s[34:35]
.LBB227_310:                            ;   in Loop: Header=BB227_11 Depth=1
	s_or_b64 exec, exec, s[30:31]
.LBB227_311:                            ;   in Loop: Header=BB227_11 Depth=1
	s_or_b64 exec, exec, s[28:29]
	v_add_co_u32_e32 v60, vcc, 0xc00, v14
	v_addc_co_u32_e32 v61, vcc, 0, v15, vcc
	flat_load_ubyte v0, v[60:61] offset:8
	v_mov_b32_e32 v4, 0
	v_mov_b32_e32 v1, 0
	buffer_store_dword v1, off, s[0:3], s32 offset:192 ; 4-byte Folded Spill
	s_waitcnt vmcnt(0) lgkmcnt(0)
	v_cmp_ne_u16_e32 vcc, 0, v0
	s_and_saveexec_b64 s[28:29], vcc
	s_cbranch_execz .LBB227_317
; %bb.312:                              ;   in Loop: Header=BB227_11 Depth=1
	v_cmp_ne_u16_e32 vcc, s19, v0
	v_bfrev_b32_e32 v1, 1
	buffer_store_dword v1, off, s[0:3], s32 offset:192 ; 4-byte Folded Spill
	s_and_saveexec_b64 s[30:31], vcc
	s_cbranch_execz .LBB227_316
; %bb.313:                              ;   in Loop: Header=BB227_11 Depth=1
	v_and_b32_e32 v28, 0xffff, v0
	v_and_b32_e32 v1, 0x7f, v28
	v_cmp_ne_u32_e32 vcc, s37, v1
	v_mov_b32_e32 v2, 0x7f800001
	buffer_store_dword v2, off, s[0:3], s32 offset:192 ; 4-byte Folded Spill
	s_and_saveexec_b64 s[34:35], vcc
	s_cbranch_execz .LBB227_315
; %bb.314:                              ;   in Loop: Header=BB227_11 Depth=1
	v_mov_b32_e32 v19, v16
	v_and_b32_e32 v16, 7, v28
	v_lshrrev_b32_e32 v4, 3, v1
	v_cmp_gt_u32_e32 vcc, 8, v1
	v_ffbh_u32_e32 v1, v16
	v_min_u32_e32 v1, 32, v1
	v_subrev_u32_e32 v2, 28, v1
	v_lshlrev_b64 v[2:3], v2, v[28:29]
	v_sub_u32_e32 v1, 29, v1
	v_and_b32_e32 v2, 7, v2
	v_cndmask_b32_e32 v1, v4, v1, vcc
	v_cndmask_b32_e32 v2, v16, v2, vcc
	v_lshlrev_b32_e32 v0, 24, v0
	v_bfrev_b32_e32 v3, 60
	v_lshlrev_b32_e32 v2, 20, v2
	v_and_b32_e32 v0, 0x80000000, v0
	v_lshl_add_u32 v1, v1, 23, v3
	v_mov_b32_e32 v4, 0
	v_mov_b32_e32 v16, v19
	v_accvgpr_read_b32 v19, a12
	v_or3_b32 v0, v0, v1, v2
	buffer_store_dword v0, off, s[0:3], s32 offset:192 ; 4-byte Folded Spill
.LBB227_315:                            ;   in Loop: Header=BB227_11 Depth=1
	s_or_b64 exec, exec, s[34:35]
.LBB227_316:                            ;   in Loop: Header=BB227_11 Depth=1
	s_or_b64 exec, exec, s[30:31]
.LBB227_317:                            ;   in Loop: Header=BB227_11 Depth=1
	s_or_b64 exec, exec, s[28:29]
	flat_load_ubyte v0, v[60:61] offset:12
	s_waitcnt vmcnt(0) lgkmcnt(0)
	v_cmp_ne_u16_e32 vcc, 0, v0
	s_and_saveexec_b64 s[28:29], vcc
	s_cbranch_execz .LBB227_323
; %bb.318:                              ;   in Loop: Header=BB227_11 Depth=1
	v_cmp_ne_u16_e32 vcc, s19, v0
	v_bfrev_b32_e32 v4, 1
	s_and_saveexec_b64 s[30:31], vcc
	s_cbranch_execz .LBB227_322
; %bb.319:                              ;   in Loop: Header=BB227_11 Depth=1
	v_and_b32_e32 v28, 0xffff, v0
	v_and_b32_e32 v1, 0x7f, v28
	v_cmp_ne_u32_e32 vcc, s37, v1
	v_mov_b32_e32 v4, 0x7f800001
	s_and_saveexec_b64 s[34:35], vcc
	s_cbranch_execz .LBB227_321
; %bb.320:                              ;   in Loop: Header=BB227_11 Depth=1
	v_mov_b32_e32 v19, v16
	v_and_b32_e32 v16, 7, v28
	v_lshrrev_b32_e32 v4, 3, v1
	v_cmp_gt_u32_e32 vcc, 8, v1
	v_ffbh_u32_e32 v1, v16
	v_min_u32_e32 v1, 32, v1
	v_subrev_u32_e32 v2, 28, v1
	v_lshlrev_b64 v[2:3], v2, v[28:29]
	v_sub_u32_e32 v1, 29, v1
	v_and_b32_e32 v2, 7, v2
	v_cndmask_b32_e32 v1, v4, v1, vcc
	v_cndmask_b32_e32 v2, v16, v2, vcc
	v_lshlrev_b32_e32 v0, 24, v0
	v_bfrev_b32_e32 v3, 60
	v_lshlrev_b32_e32 v2, 20, v2
	v_and_b32_e32 v0, 0x80000000, v0
	v_lshl_add_u32 v1, v1, 23, v3
	v_mov_b32_e32 v16, v19
	v_accvgpr_read_b32 v19, a12
	v_or3_b32 v4, v0, v1, v2
.LBB227_321:                            ;   in Loop: Header=BB227_11 Depth=1
	s_or_b64 exec, exec, s[34:35]
.LBB227_322:                            ;   in Loop: Header=BB227_11 Depth=1
	s_or_b64 exec, exec, s[30:31]
.LBB227_323:                            ;   in Loop: Header=BB227_11 Depth=1
	s_or_b64 exec, exec, s[28:29]
	flat_load_ubyte v0, v[14:15] offset:3328
	v_mov_b32_e32 v1, 0
	buffer_store_dword v1, off, s[0:3], s32 offset:200 ; 4-byte Folded Spill
	v_mov_b32_e32 v1, 0
	buffer_store_dword v1, off, s[0:3], s32 offset:196 ; 4-byte Folded Spill
	s_waitcnt vmcnt(0) lgkmcnt(0)
	v_cmp_ne_u16_e32 vcc, 0, v0
	s_mov_b64 s[28:29], exec
	s_and_b64 vcc, s[28:29], vcc
	v_accvgpr_write_b32 a14, v4
	s_mov_b64 exec, vcc
	s_cbranch_execz .LBB227_329
; %bb.324:                              ;   in Loop: Header=BB227_11 Depth=1
	v_cmp_ne_u16_e32 vcc, s19, v0
	v_bfrev_b32_e32 v1, 1
	buffer_store_dword v1, off, s[0:3], s32 offset:196 ; 4-byte Folded Spill
	s_and_saveexec_b64 s[30:31], vcc
	s_cbranch_execz .LBB227_328
; %bb.325:                              ;   in Loop: Header=BB227_11 Depth=1
	v_and_b32_e32 v28, 0xffff, v0
	v_and_b32_e32 v1, 0x7f, v28
	v_cmp_ne_u32_e32 vcc, s37, v1
	v_mov_b32_e32 v2, 0x7f800001
	buffer_store_dword v2, off, s[0:3], s32 offset:196 ; 4-byte Folded Spill
	s_and_saveexec_b64 s[34:35], vcc
	s_cbranch_execz .LBB227_327
; %bb.326:                              ;   in Loop: Header=BB227_11 Depth=1
	v_mov_b32_e32 v19, v16
	v_and_b32_e32 v16, 7, v28
	v_lshrrev_b32_e32 v4, 3, v1
	v_cmp_gt_u32_e32 vcc, 8, v1
	v_ffbh_u32_e32 v1, v16
	v_min_u32_e32 v1, 32, v1
	v_subrev_u32_e32 v2, 28, v1
	v_lshlrev_b64 v[2:3], v2, v[28:29]
	v_sub_u32_e32 v1, 29, v1
	v_and_b32_e32 v2, 7, v2
	v_cndmask_b32_e32 v1, v4, v1, vcc
	v_cndmask_b32_e32 v2, v16, v2, vcc
	v_lshlrev_b32_e32 v0, 24, v0
	v_bfrev_b32_e32 v3, 60
	v_lshlrev_b32_e32 v2, 20, v2
	v_and_b32_e32 v0, 0x80000000, v0
	v_lshl_add_u32 v1, v1, 23, v3
	v_accvgpr_read_b32 v4, a14
	v_mov_b32_e32 v16, v19
	v_accvgpr_read_b32 v19, a12
	v_or3_b32 v0, v0, v1, v2
	buffer_store_dword v0, off, s[0:3], s32 offset:196 ; 4-byte Folded Spill
.LBB227_327:                            ;   in Loop: Header=BB227_11 Depth=1
	s_or_b64 exec, exec, s[34:35]
.LBB227_328:                            ;   in Loop: Header=BB227_11 Depth=1
	s_or_b64 exec, exec, s[30:31]
.LBB227_329:                            ;   in Loop: Header=BB227_11 Depth=1
	s_or_b64 exec, exec, s[28:29]
	flat_load_ubyte v0, v[14:15] offset:3332
	s_waitcnt vmcnt(0) lgkmcnt(0)
	v_cmp_ne_u16_e32 vcc, 0, v0
	s_and_saveexec_b64 s[28:29], vcc
	s_cbranch_execz .LBB227_335
; %bb.330:                              ;   in Loop: Header=BB227_11 Depth=1
	v_cmp_ne_u16_e32 vcc, s19, v0
	v_bfrev_b32_e32 v1, 1
	buffer_store_dword v1, off, s[0:3], s32 offset:200 ; 4-byte Folded Spill
	s_and_saveexec_b64 s[30:31], vcc
	s_cbranch_execz .LBB227_334
; %bb.331:                              ;   in Loop: Header=BB227_11 Depth=1
	v_and_b32_e32 v28, 0xffff, v0
	v_and_b32_e32 v1, 0x7f, v28
	v_cmp_ne_u32_e32 vcc, s37, v1
	v_mov_b32_e32 v2, 0x7f800001
	buffer_store_dword v2, off, s[0:3], s32 offset:200 ; 4-byte Folded Spill
	s_and_saveexec_b64 s[34:35], vcc
	s_cbranch_execz .LBB227_333
; %bb.332:                              ;   in Loop: Header=BB227_11 Depth=1
	v_and_b32_e32 v4, 7, v28
	v_lshrrev_b32_e32 v5, 3, v1
	v_cmp_gt_u32_e32 vcc, 8, v1
	v_ffbh_u32_e32 v1, v4
	v_min_u32_e32 v1, 32, v1
	v_subrev_u32_e32 v2, 28, v1
	v_lshlrev_b64 v[2:3], v2, v[28:29]
	v_sub_u32_e32 v1, 29, v1
	v_and_b32_e32 v2, 7, v2
	v_cndmask_b32_e32 v1, v5, v1, vcc
	v_cndmask_b32_e32 v2, v4, v2, vcc
	v_lshlrev_b32_e32 v0, 24, v0
	v_bfrev_b32_e32 v3, 60
	v_lshlrev_b32_e32 v2, 20, v2
	v_and_b32_e32 v0, 0x80000000, v0
	v_lshl_add_u32 v1, v1, 23, v3
	v_accvgpr_read_b32 v19, a12
	v_accvgpr_read_b32 v4, a14
	v_or3_b32 v0, v0, v1, v2
	buffer_store_dword v0, off, s[0:3], s32 offset:200 ; 4-byte Folded Spill
.LBB227_333:                            ;   in Loop: Header=BB227_11 Depth=1
	s_or_b64 exec, exec, s[34:35]
.LBB227_334:                            ;   in Loop: Header=BB227_11 Depth=1
	s_or_b64 exec, exec, s[30:31]
.LBB227_335:                            ;   in Loop: Header=BB227_11 Depth=1
	s_or_b64 exec, exec, s[28:29]
	v_add_co_u32_e32 v60, vcc, 0xd00, v14
	v_addc_co_u32_e32 v61, vcc, 0, v15, vcc
	flat_load_ubyte v0, v[60:61] offset:8
	v_mov_b32_e32 v1, 0
	buffer_store_dword v1, off, s[0:3], s32 offset:204 ; 4-byte Folded Spill
	v_mov_b32_e32 v1, 0
	buffer_store_dword v1, off, s[0:3], s32 offset:208 ; 4-byte Folded Spill
	s_waitcnt vmcnt(0) lgkmcnt(0)
	v_cmp_ne_u16_e32 vcc, 0, v0
	s_and_saveexec_b64 s[28:29], vcc
	s_cbranch_execz .LBB227_341
; %bb.336:                              ;   in Loop: Header=BB227_11 Depth=1
	v_cmp_ne_u16_e32 vcc, s19, v0
	v_bfrev_b32_e32 v1, 1
	buffer_store_dword v1, off, s[0:3], s32 offset:208 ; 4-byte Folded Spill
	s_and_saveexec_b64 s[30:31], vcc
	s_cbranch_execz .LBB227_340
; %bb.337:                              ;   in Loop: Header=BB227_11 Depth=1
	v_and_b32_e32 v28, 0xffff, v0
	v_and_b32_e32 v1, 0x7f, v28
	v_cmp_ne_u32_e32 vcc, s37, v1
	v_mov_b32_e32 v2, 0x7f800001
	buffer_store_dword v2, off, s[0:3], s32 offset:208 ; 4-byte Folded Spill
	s_and_saveexec_b64 s[34:35], vcc
	s_cbranch_execz .LBB227_339
; %bb.338:                              ;   in Loop: Header=BB227_11 Depth=1
	v_and_b32_e32 v5, 7, v28
	v_lshrrev_b32_e32 v19, 3, v1
	v_cmp_gt_u32_e32 vcc, 8, v1
	v_ffbh_u32_e32 v1, v5
	v_min_u32_e32 v1, 32, v1
	v_subrev_u32_e32 v2, 28, v1
	v_lshlrev_b64 v[2:3], v2, v[28:29]
	v_sub_u32_e32 v1, 29, v1
	v_and_b32_e32 v2, 7, v2
	v_cndmask_b32_e32 v1, v19, v1, vcc
	v_cndmask_b32_e32 v2, v5, v2, vcc
	v_lshlrev_b32_e32 v0, 24, v0
	v_bfrev_b32_e32 v3, 60
	v_lshlrev_b32_e32 v2, 20, v2
	v_and_b32_e32 v0, 0x80000000, v0
	v_lshl_add_u32 v1, v1, 23, v3
	v_accvgpr_read_b32 v19, a12
	v_or3_b32 v0, v0, v1, v2
	buffer_store_dword v0, off, s[0:3], s32 offset:208 ; 4-byte Folded Spill
.LBB227_339:                            ;   in Loop: Header=BB227_11 Depth=1
	s_or_b64 exec, exec, s[34:35]
.LBB227_340:                            ;   in Loop: Header=BB227_11 Depth=1
	s_or_b64 exec, exec, s[30:31]
.LBB227_341:                            ;   in Loop: Header=BB227_11 Depth=1
	s_or_b64 exec, exec, s[28:29]
	flat_load_ubyte v0, v[60:61] offset:12
	s_waitcnt vmcnt(0) lgkmcnt(0)
	v_cmp_ne_u16_e32 vcc, 0, v0
	s_and_saveexec_b64 s[28:29], vcc
	s_cbranch_execz .LBB227_347
; %bb.342:                              ;   in Loop: Header=BB227_11 Depth=1
	v_cmp_ne_u16_e32 vcc, s19, v0
	v_bfrev_b32_e32 v1, 1
	buffer_store_dword v1, off, s[0:3], s32 offset:204 ; 4-byte Folded Spill
	s_and_saveexec_b64 s[30:31], vcc
	s_cbranch_execz .LBB227_346
; %bb.343:                              ;   in Loop: Header=BB227_11 Depth=1
	v_and_b32_e32 v28, 0xffff, v0
	v_and_b32_e32 v1, 0x7f, v28
	v_cmp_ne_u32_e32 vcc, s37, v1
	v_mov_b32_e32 v2, 0x7f800001
	buffer_store_dword v2, off, s[0:3], s32 offset:204 ; 4-byte Folded Spill
	s_and_saveexec_b64 s[34:35], vcc
	s_cbranch_execz .LBB227_345
; %bb.344:                              ;   in Loop: Header=BB227_11 Depth=1
	v_and_b32_e32 v4, 7, v28
	v_lshrrev_b32_e32 v19, 3, v1
	v_cmp_gt_u32_e32 vcc, 8, v1
	v_ffbh_u32_e32 v1, v4
	v_min_u32_e32 v1, 32, v1
	v_subrev_u32_e32 v2, 28, v1
	v_lshlrev_b64 v[2:3], v2, v[28:29]
	v_sub_u32_e32 v1, 29, v1
	v_and_b32_e32 v2, 7, v2
	v_cndmask_b32_e32 v1, v19, v1, vcc
	v_cndmask_b32_e32 v2, v4, v2, vcc
	v_lshlrev_b32_e32 v0, 24, v0
	v_bfrev_b32_e32 v3, 60
	v_lshlrev_b32_e32 v2, 20, v2
	v_and_b32_e32 v0, 0x80000000, v0
	v_lshl_add_u32 v1, v1, 23, v3
	v_accvgpr_read_b32 v19, a12
	v_accvgpr_read_b32 v4, a14
	v_or3_b32 v0, v0, v1, v2
	buffer_store_dword v0, off, s[0:3], s32 offset:204 ; 4-byte Folded Spill
.LBB227_345:                            ;   in Loop: Header=BB227_11 Depth=1
	s_or_b64 exec, exec, s[34:35]
.LBB227_346:                            ;   in Loop: Header=BB227_11 Depth=1
	s_or_b64 exec, exec, s[30:31]
.LBB227_347:                            ;   in Loop: Header=BB227_11 Depth=1
	s_or_b64 exec, exec, s[28:29]
	flat_load_ubyte v1, v[14:15] offset:3584
	v_mov_b32_e32 v5, 0
	v_mov_b32_e32 v0, 0
	s_waitcnt vmcnt(0) lgkmcnt(0)
	v_cmp_ne_u16_e32 vcc, 0, v1
	s_and_saveexec_b64 s[28:29], vcc
	s_cbranch_execz .LBB227_353
; %bb.348:                              ;   in Loop: Header=BB227_11 Depth=1
	v_cmp_ne_u16_e32 vcc, s19, v1
	v_bfrev_b32_e32 v0, 1
	s_and_saveexec_b64 s[30:31], vcc
	s_cbranch_execz .LBB227_352
; %bb.349:                              ;   in Loop: Header=BB227_11 Depth=1
	v_and_b32_e32 v28, 0xffff, v1
	v_and_b32_e32 v2, 0x7f, v28
	v_cmp_ne_u32_e32 vcc, s37, v2
	v_mov_b32_e32 v0, 0x7f800001
	s_and_saveexec_b64 s[34:35], vcc
	s_cbranch_execz .LBB227_351
; %bb.350:                              ;   in Loop: Header=BB227_11 Depth=1
	v_and_b32_e32 v0, 7, v28
	v_lshrrev_b32_e32 v24, 3, v2
	v_cmp_gt_u32_e32 vcc, 8, v2
	v_ffbh_u32_e32 v2, v0
	v_min_u32_e32 v25, 32, v2
	v_subrev_u32_e32 v2, 28, v25
	v_lshlrev_b64 v[2:3], v2, v[28:29]
	v_sub_u32_e32 v3, 29, v25
	v_and_b32_e32 v2, 7, v2
	v_cndmask_b32_e32 v3, v24, v3, vcc
	v_cndmask_b32_e32 v0, v0, v2, vcc
	v_lshlrev_b32_e32 v1, 24, v1
	v_bfrev_b32_e32 v2, 60
	v_lshlrev_b32_e32 v0, 20, v0
	v_and_b32_e32 v1, 0x80000000, v1
	v_lshl_add_u32 v2, v3, 23, v2
	v_or3_b32 v0, v1, v2, v0
.LBB227_351:                            ;   in Loop: Header=BB227_11 Depth=1
	s_or_b64 exec, exec, s[34:35]
.LBB227_352:                            ;   in Loop: Header=BB227_11 Depth=1
	s_or_b64 exec, exec, s[30:31]
.LBB227_353:                            ;   in Loop: Header=BB227_11 Depth=1
	s_or_b64 exec, exec, s[28:29]
	flat_load_ubyte v1, v[14:15] offset:3588
	s_waitcnt vmcnt(0) lgkmcnt(0)
	v_cmp_ne_u16_e32 vcc, 0, v1
	s_and_saveexec_b64 s[28:29], vcc
	s_cbranch_execz .LBB227_359
; %bb.354:                              ;   in Loop: Header=BB227_11 Depth=1
	v_cmp_ne_u16_e32 vcc, s19, v1
	v_bfrev_b32_e32 v5, 1
	s_and_saveexec_b64 s[30:31], vcc
	s_cbranch_execz .LBB227_358
; %bb.355:                              ;   in Loop: Header=BB227_11 Depth=1
	v_and_b32_e32 v28, 0xffff, v1
	v_and_b32_e32 v2, 0x7f, v28
	v_cmp_ne_u32_e32 vcc, s37, v2
	v_mov_b32_e32 v5, 0x7f800001
	s_and_saveexec_b64 s[34:35], vcc
	s_cbranch_execz .LBB227_357
; %bb.356:                              ;   in Loop: Header=BB227_11 Depth=1
	v_and_b32_e32 v19, 7, v28
	v_lshrrev_b32_e32 v24, 3, v2
	v_cmp_gt_u32_e32 vcc, 8, v2
	v_ffbh_u32_e32 v2, v19
	v_min_u32_e32 v25, 32, v2
	v_subrev_u32_e32 v2, 28, v25
	v_lshlrev_b64 v[2:3], v2, v[28:29]
	v_sub_u32_e32 v3, 29, v25
	v_and_b32_e32 v2, 7, v2
	v_cndmask_b32_e32 v3, v24, v3, vcc
	v_cndmask_b32_e32 v2, v19, v2, vcc
	v_lshlrev_b32_e32 v1, 24, v1
	v_mov_b32_e32 v19, v10
	v_bfrev_b32_e32 v10, 60
	v_lshlrev_b32_e32 v2, 20, v2
	v_and_b32_e32 v1, 0x80000000, v1
	v_lshl_add_u32 v3, v3, 23, v10
	v_mov_b32_e32 v10, v19
	v_accvgpr_read_b32 v19, a12
	v_or3_b32 v5, v1, v3, v2
.LBB227_357:                            ;   in Loop: Header=BB227_11 Depth=1
	s_or_b64 exec, exec, s[34:35]
.LBB227_358:                            ;   in Loop: Header=BB227_11 Depth=1
	s_or_b64 exec, exec, s[30:31]
.LBB227_359:                            ;   in Loop: Header=BB227_11 Depth=1
	s_or_b64 exec, exec, s[28:29]
	v_add_co_u32_e32 v60, vcc, 0xe00, v14
	v_addc_co_u32_e32 v61, vcc, 0, v15, vcc
	flat_load_ubyte v3, v[60:61] offset:8
	v_mov_b32_e32 v1, 0
	v_mov_b32_e32 v2, 0
	s_waitcnt vmcnt(0) lgkmcnt(0)
	v_cmp_ne_u16_e32 vcc, 0, v3
	s_and_saveexec_b64 s[28:29], vcc
	s_cbranch_execz .LBB227_365
; %bb.360:                              ;   in Loop: Header=BB227_11 Depth=1
	v_cmp_ne_u16_e32 vcc, s19, v3
	v_bfrev_b32_e32 v2, 1
	s_and_saveexec_b64 s[30:31], vcc
	s_cbranch_execz .LBB227_364
; %bb.361:                              ;   in Loop: Header=BB227_11 Depth=1
	v_and_b32_e32 v28, 0xffff, v3
	v_and_b32_e32 v24, 0x7f, v28
	v_cmp_ne_u32_e32 vcc, s37, v24
	v_mov_b32_e32 v2, 0x7f800001
	s_and_saveexec_b64 s[34:35], vcc
	s_cbranch_execz .LBB227_363
; %bb.362:                              ;   in Loop: Header=BB227_11 Depth=1
	v_and_b32_e32 v2, 7, v28
	v_mov_b32_e32 v4, v26
	v_lshrrev_b32_e32 v26, 3, v24
	v_cmp_gt_u32_e32 vcc, 8, v24
	v_ffbh_u32_e32 v24, v2
	v_accvgpr_write_b32 a3, v27
	v_min_u32_e32 v27, 32, v24
	v_subrev_u32_e32 v24, 28, v27
	v_lshlrev_b64 v[24:25], v24, v[28:29]
	v_sub_u32_e32 v25, 29, v27
	v_and_b32_e32 v24, 7, v24
	v_cndmask_b32_e32 v25, v26, v25, vcc
	v_cndmask_b32_e32 v2, v2, v24, vcc
	v_lshlrev_b32_e32 v3, 24, v3
	v_mov_b32_e32 v26, v10
	v_bfrev_b32_e32 v10, 60
	v_lshlrev_b32_e32 v2, 20, v2
	v_and_b32_e32 v3, 0x80000000, v3
	v_lshl_add_u32 v24, v25, 23, v10
	v_accvgpr_read_b32 v27, a3
	v_mov_b32_e32 v10, v26
	v_mov_b32_e32 v26, v4
	v_accvgpr_read_b32 v4, a14
	v_or3_b32 v2, v3, v24, v2
.LBB227_363:                            ;   in Loop: Header=BB227_11 Depth=1
	s_or_b64 exec, exec, s[34:35]
.LBB227_364:                            ;   in Loop: Header=BB227_11 Depth=1
	s_or_b64 exec, exec, s[30:31]
.LBB227_365:                            ;   in Loop: Header=BB227_11 Depth=1
	s_or_b64 exec, exec, s[28:29]
	flat_load_ubyte v3, v[60:61] offset:12
	s_waitcnt vmcnt(0) lgkmcnt(0)
	v_cmp_ne_u16_e32 vcc, 0, v3
	s_and_saveexec_b64 s[28:29], vcc
	s_cbranch_execz .LBB227_371
; %bb.366:                              ;   in Loop: Header=BB227_11 Depth=1
	v_cmp_ne_u16_e32 vcc, s19, v3
	v_bfrev_b32_e32 v1, 1
	s_and_saveexec_b64 s[30:31], vcc
	s_cbranch_execz .LBB227_370
; %bb.367:                              ;   in Loop: Header=BB227_11 Depth=1
	v_and_b32_e32 v60, 0xffff, v3
	v_and_b32_e32 v24, 0x7f, v60
	v_cmp_ne_u32_e32 vcc, s37, v24
	v_mov_b32_e32 v1, 0x7f800001
	s_and_saveexec_b64 s[34:35], vcc
	s_cbranch_execz .LBB227_369
; %bb.368:                              ;   in Loop: Header=BB227_11 Depth=1
	v_and_b32_e32 v1, 7, v60
	v_mov_b32_e32 v4, v26
	v_lshrrev_b32_e32 v26, 3, v24
	v_cmp_gt_u32_e32 vcc, 8, v24
	v_ffbh_u32_e32 v24, v1
	v_mov_b32_e32 v28, v27
	v_min_u32_e32 v27, 32, v24
	v_subrev_u32_e32 v24, 28, v27
	v_lshlrev_b64 v[24:25], v24, v[60:61]
	v_sub_u32_e32 v25, 29, v27
	v_and_b32_e32 v24, 7, v24
	v_cndmask_b32_e32 v25, v26, v25, vcc
	v_cndmask_b32_e32 v1, v1, v24, vcc
	v_lshlrev_b32_e32 v3, 24, v3
	v_mov_b32_e32 v26, v10
	v_bfrev_b32_e32 v10, 60
	v_lshlrev_b32_e32 v1, 20, v1
	v_and_b32_e32 v3, 0x80000000, v3
	v_lshl_add_u32 v24, v25, 23, v10
	v_mov_b32_e32 v27, v28
	v_mov_b32_e32 v10, v26
	;; [unrolled: 1-line block ×3, first 2 shown]
	v_accvgpr_read_b32 v4, a14
	v_or3_b32 v1, v3, v24, v1
.LBB227_369:                            ;   in Loop: Header=BB227_11 Depth=1
	s_or_b64 exec, exec, s[34:35]
.LBB227_370:                            ;   in Loop: Header=BB227_11 Depth=1
	s_or_b64 exec, exec, s[30:31]
.LBB227_371:                            ;   in Loop: Header=BB227_11 Depth=1
	s_or_b64 exec, exec, s[28:29]
	flat_load_ubyte v24, v[14:15] offset:3840
	v_mov_b32_e32 v3, 0
	v_mov_b32_e32 v28, 0
	s_waitcnt vmcnt(0) lgkmcnt(0)
	v_cmp_ne_u16_e32 vcc, 0, v24
	s_and_saveexec_b64 s[28:29], vcc
	s_cbranch_execz .LBB227_377
; %bb.372:                              ;   in Loop: Header=BB227_11 Depth=1
	v_cmp_ne_u16_e32 vcc, s19, v24
	v_bfrev_b32_e32 v28, 1
	s_and_saveexec_b64 s[30:31], vcc
	s_cbranch_execz .LBB227_376
; %bb.373:                              ;   in Loop: Header=BB227_11 Depth=1
	v_and_b32_e32 v60, 0xffff, v24
	v_and_b32_e32 v25, 0x7f, v60
	v_cmp_ne_u32_e32 vcc, s37, v25
	v_mov_b32_e32 v28, 0x7f800001
	s_and_saveexec_b64 s[34:35], vcc
	s_cbranch_execz .LBB227_375
; %bb.374:                              ;   in Loop: Header=BB227_11 Depth=1
	v_and_b32_e32 v28, 7, v60
	v_lshrrev_b32_e32 v61, 3, v25
	v_cmp_gt_u32_e32 vcc, 8, v25
	v_ffbh_u32_e32 v25, v28
	v_min_u32_e32 v25, 32, v25
	v_mov_b32_e32 v4, v26
	v_subrev_u32_e32 v26, 28, v25
	v_accvgpr_write_b32 a3, v27
	v_lshlrev_b64 v[26:27], v26, v[60:61]
	v_sub_u32_e32 v25, 29, v25
	v_and_b32_e32 v26, 7, v26
	v_cndmask_b32_e32 v25, v61, v25, vcc
	v_cndmask_b32_e32 v26, v28, v26, vcc
	v_lshlrev_b32_e32 v24, 24, v24
	v_mov_b32_e32 v27, v10
	v_bfrev_b32_e32 v10, 60
	v_lshlrev_b32_e32 v26, 20, v26
	v_and_b32_e32 v24, 0x80000000, v24
	v_lshl_add_u32 v25, v25, 23, v10
	v_mov_b32_e32 v10, v27
	v_accvgpr_read_b32 v27, a3
	v_or3_b32 v28, v24, v25, v26
	v_mov_b32_e32 v26, v4
	v_accvgpr_read_b32 v4, a14
.LBB227_375:                            ;   in Loop: Header=BB227_11 Depth=1
	s_or_b64 exec, exec, s[34:35]
.LBB227_376:                            ;   in Loop: Header=BB227_11 Depth=1
	s_or_b64 exec, exec, s[30:31]
.LBB227_377:                            ;   in Loop: Header=BB227_11 Depth=1
	s_or_b64 exec, exec, s[28:29]
	flat_load_ubyte v24, v[14:15] offset:3844
	s_waitcnt vmcnt(0) lgkmcnt(0)
	v_cmp_ne_u16_e32 vcc, 0, v24
	s_and_saveexec_b64 s[28:29], vcc
	s_cbranch_execz .LBB227_383
; %bb.378:                              ;   in Loop: Header=BB227_11 Depth=1
	v_cmp_ne_u16_e32 vcc, s19, v24
	v_bfrev_b32_e32 v3, 1
	s_and_saveexec_b64 s[30:31], vcc
	s_cbranch_execz .LBB227_382
; %bb.379:                              ;   in Loop: Header=BB227_11 Depth=1
	v_and_b32_e32 v60, 0xffff, v24
	v_and_b32_e32 v25, 0x7f, v60
	v_cmp_ne_u32_e32 vcc, s37, v25
	v_mov_b32_e32 v3, 0x7f800001
	s_and_saveexec_b64 s[34:35], vcc
	s_cbranch_execz .LBB227_381
; %bb.380:                              ;   in Loop: Header=BB227_11 Depth=1
	v_and_b32_e32 v3, 7, v60
	v_lshrrev_b32_e32 v61, 3, v25
	v_cmp_gt_u32_e32 vcc, 8, v25
	v_ffbh_u32_e32 v25, v3
	v_min_u32_e32 v25, 32, v25
	v_mov_b32_e32 v4, v26
	v_subrev_u32_e32 v26, 28, v25
	v_accvgpr_write_b32 a3, v27
	v_lshlrev_b64 v[26:27], v26, v[60:61]
	v_sub_u32_e32 v25, 29, v25
	v_and_b32_e32 v26, 7, v26
	v_cndmask_b32_e32 v25, v61, v25, vcc
	v_cndmask_b32_e32 v3, v3, v26, vcc
	v_lshlrev_b32_e32 v24, 24, v24
	v_mov_b32_e32 v26, v10
	v_bfrev_b32_e32 v10, 60
	v_lshlrev_b32_e32 v3, 20, v3
	v_and_b32_e32 v24, 0x80000000, v24
	v_lshl_add_u32 v25, v25, 23, v10
	v_accvgpr_read_b32 v27, a3
	v_mov_b32_e32 v10, v26
	v_mov_b32_e32 v26, v4
	v_accvgpr_read_b32 v4, a14
	v_or3_b32 v3, v24, v25, v3
.LBB227_381:                            ;   in Loop: Header=BB227_11 Depth=1
	s_or_b64 exec, exec, s[34:35]
.LBB227_382:                            ;   in Loop: Header=BB227_11 Depth=1
	s_or_b64 exec, exec, s[30:31]
.LBB227_383:                            ;   in Loop: Header=BB227_11 Depth=1
	s_or_b64 exec, exec, s[28:29]
	v_add_co_u32_e32 v14, vcc, 0xf00, v14
	v_addc_co_u32_e32 v15, vcc, 0, v15, vcc
	flat_load_ubyte v25, v[14:15] offset:8
	v_mov_b32_e32 v61, 0
	v_mov_b32_e32 v24, 0
	s_waitcnt vmcnt(0) lgkmcnt(0)
	v_cmp_ne_u16_e32 vcc, 0, v25
	s_and_saveexec_b64 s[28:29], vcc
	s_cbranch_execz .LBB227_389
; %bb.384:                              ;   in Loop: Header=BB227_11 Depth=1
	v_cmp_ne_u16_e32 vcc, s19, v25
	v_bfrev_b32_e32 v24, 1
	s_and_saveexec_b64 s[30:31], vcc
	s_cbranch_execz .LBB227_388
; %bb.385:                              ;   in Loop: Header=BB227_11 Depth=1
	v_and_b32_e32 v60, 0xffff, v25
	v_accvgpr_write_b32 a27, v26
	v_and_b32_e32 v26, 0x7f, v60
	v_cmp_ne_u32_e32 vcc, s37, v26
	v_mov_b32_e32 v24, 0x7f800001
	s_and_saveexec_b64 s[34:35], vcc
	s_cbranch_execz .LBB227_387
; %bb.386:                              ;   in Loop: Header=BB227_11 Depth=1
	v_and_b32_e32 v24, 7, v60
	v_accvgpr_write_b32 a3, v10
	v_mov_b32_e32 v10, v30
	v_lshrrev_b32_e32 v30, 3, v26
	v_cmp_gt_u32_e32 vcc, 8, v26
	v_ffbh_u32_e32 v26, v24
	v_min_u32_e32 v19, 32, v26
	v_subrev_u32_e32 v26, 28, v19
	v_accvgpr_write_b32 a62, v7
	v_mov_b32_e32 v4, v32
	v_mov_b32_e32 v7, v33
	v_lshlrev_b64 v[32:33], v26, v[60:61]
	v_mov_b32_e32 v33, v7
	v_sub_u32_e32 v7, 29, v19
	v_and_b32_e32 v26, 7, v32
	v_mov_b32_e32 v32, v4
	v_cndmask_b32_e32 v4, v30, v7, vcc
	v_mov_b32_e32 v30, v10
	v_cndmask_b32_e32 v24, v24, v26, vcc
	v_lshlrev_b32_e32 v25, 24, v25
	v_bfrev_b32_e32 v10, 60
	v_lshlrev_b32_e32 v24, 20, v24
	v_and_b32_e32 v25, 0x80000000, v25
	v_lshl_add_u32 v26, v4, 23, v10
	v_accvgpr_read_b32 v19, a12
	v_accvgpr_read_b32 v7, a62
	;; [unrolled: 1-line block ×4, first 2 shown]
	v_or3_b32 v24, v25, v26, v24
.LBB227_387:                            ;   in Loop: Header=BB227_11 Depth=1
	s_or_b64 exec, exec, s[34:35]
	v_accvgpr_read_b32 v26, a27
.LBB227_388:                            ;   in Loop: Header=BB227_11 Depth=1
	s_or_b64 exec, exec, s[30:31]
.LBB227_389:                            ;   in Loop: Header=BB227_11 Depth=1
	s_or_b64 exec, exec, s[28:29]
	flat_load_ubyte v15, v[14:15] offset:12
	v_accvgpr_write_b32 a3, v11
	s_waitcnt vmcnt(0) lgkmcnt(0)
	v_cmp_ne_u16_e32 vcc, 0, v15
	s_and_saveexec_b64 s[28:29], vcc
	s_cbranch_execz .LBB227_395
; %bb.390:                              ;   in Loop: Header=BB227_11 Depth=1
	v_cmp_ne_u16_e32 vcc, s19, v15
	v_bfrev_b32_e32 v61, 1
	s_and_saveexec_b64 s[30:31], vcc
	s_cbranch_execz .LBB227_394
; %bb.391:                              ;   in Loop: Header=BB227_11 Depth=1
	v_and_b32_e32 v14, 0xffff, v15
	v_and_b32_e32 v25, 0x7f, v14
	v_cmp_ne_u32_e32 vcc, s37, v25
	v_mov_b32_e32 v61, 0x7f800001
	s_and_saveexec_b64 s[34:35], vcc
	s_cbranch_execz .LBB227_393
; %bb.392:                              ;   in Loop: Header=BB227_11 Depth=1
	v_mov_b32_e32 v11, v10
	v_and_b32_e32 v10, 7, v14
	v_mov_b32_e32 v60, v13
	v_lshrrev_b32_e32 v13, 3, v25
	v_cmp_gt_u32_e32 vcc, 8, v25
	v_ffbh_u32_e32 v25, v10
	v_min_u32_e32 v25, 32, v25
	v_mov_b32_e32 v19, v26
	v_subrev_u32_e32 v26, 28, v25
	v_mov_b32_e32 v4, v7
	v_mov_b32_e32 v7, v6
	;; [unrolled: 1-line block ×4, first 2 shown]
	v_lshlrev_b64 v[26:27], v26, v[14:15]
	v_sub_u32_e32 v14, 29, v25
	v_and_b32_e32 v25, 7, v26
	v_cndmask_b32_e32 v14, v13, v14, vcc
	v_cndmask_b32_e32 v25, v10, v25, vcc
	v_lshlrev_b32_e32 v15, 24, v15
	v_bfrev_b32_e32 v10, 60
	v_lshlrev_b32_e32 v25, 20, v25
	v_and_b32_e32 v15, 0x80000000, v15
	v_lshl_add_u32 v14, v14, 23, v10
	v_mov_b32_e32 v27, v58
	v_mov_b32_e32 v58, v6
	;; [unrolled: 1-line block ×4, first 2 shown]
	v_accvgpr_read_b32 v4, a14
	v_mov_b32_e32 v26, v19
	v_accvgpr_read_b32 v19, a12
	v_mov_b32_e32 v13, v60
	v_mov_b32_e32 v10, v11
	v_or3_b32 v61, v15, v14, v25
.LBB227_393:                            ;   in Loop: Header=BB227_11 Depth=1
	s_or_b64 exec, exec, s[34:35]
.LBB227_394:                            ;   in Loop: Header=BB227_11 Depth=1
	s_or_b64 exec, exec, s[30:31]
.LBB227_395:                            ;   in Loop: Header=BB227_11 Depth=1
	s_or_b64 exec, exec, s[28:29]
	v_mul_f32_e32 v0, v18, v0
	v_accvgpr_write_b32 a51, v0
	buffer_load_dword v0, off, s[0:3], s32 offset:204 ; 4-byte Folded Reload
	v_mul_f32_e32 v1, v18, v1
	v_mul_f32_e32 v3, v18, v3
	v_accvgpr_write_b32 a27, v1
	v_mul_f32_e32 v1, v18, v2
	v_accvgpr_write_b32 a14, v3
	;; [unrolled: 2-line block ×4, first 2 shown]
	v_accvgpr_write_b32 a50, v1
	v_mul_f32_e32 v13, v18, v13
	v_mul_f32_e32 v5, v18, v33
	;; [unrolled: 1-line block ×3, first 2 shown]
	v_accvgpr_write_b32 a12, v11
	v_mul_f32_e32 v11, v18, v35
	v_mul_f32_e32 v35, v18, v30
	;; [unrolled: 1-line block ×14, first 2 shown]
	s_waitcnt vmcnt(0)
	v_mul_f32_e32 v0, v18, v0
	v_accvgpr_write_b32 a52, v0
	buffer_load_dword v0, off, s[0:3], s32 offset:208 ; 4-byte Folded Reload
	s_waitcnt vmcnt(0)
	v_mul_f32_e32 v0, v18, v0
	v_accvgpr_write_b32 a53, v0
	buffer_load_dword v0, off, s[0:3], s32 offset:200 ; 4-byte Folded Reload
	;; [unrolled: 4-line block ×3, first 2 shown]
	s_waitcnt vmcnt(0)
	v_mul_f32_e32 v0, v18, v0
	v_accvgpr_write_b32 a55, v0
	v_mul_f32_e32 v0, v18, v4
	v_accvgpr_write_b32 a56, v0
	buffer_load_dword v0, off, s[0:3], s32 offset:192 ; 4-byte Folded Reload
	v_mul_f32_e32 v4, v18, v62
	v_mul_f32_e32 v62, v18, v17
	;; [unrolled: 1-line block ×3, first 2 shown]
	s_waitcnt vmcnt(0)
	v_mul_f32_e32 v0, v18, v0
	v_accvgpr_write_b32 a57, v0
	v_mul_f32_e32 v0, v18, v26
	v_accvgpr_write_b32 a58, v0
	;; [unrolled: 2-line block ×6, first 2 shown]
	buffer_load_dword v0, off, s[0:3], s32 offset:188 ; 4-byte Folded Reload
	v_mul_f32_e32 v26, v18, v56
	v_mul_f32_e32 v56, v18, v36
	;; [unrolled: 1-line block ×8, first 2 shown]
	s_waitcnt vmcnt(0)
	v_mul_f32_e32 v0, v18, v0
	v_accvgpr_write_b32 a23, v0
	v_mul_f32_e32 v0, v18, v22
	v_accvgpr_write_b32 a24, v0
	;; [unrolled: 2-line block ×8, first 2 shown]
	v_accvgpr_read_b32 v0, a3
	v_mul_f32_e32 v20, v18, v12
	v_mul_f32_e32 v12, v18, v0
	buffer_load_dword v0, off, s[0:3], s32 offset:236 ; 4-byte Folded Reload
	buffer_load_dword v1, off, s[0:3], s32 offset:240 ; 4-byte Folded Reload
	;; [unrolled: 1-line block ×4, first 2 shown]
	v_mul_f32_e32 v58, v18, v59
	v_mul_f32_e32 v59, v18, v37
	;; [unrolled: 1-line block ×9, first 2 shown]
	s_waitcnt vmcnt(2)
	v_mul_f32_e32 v12, v1, v12
	v_fmac_f32_e32 v12, v0, v13
	s_waitcnt vmcnt(1)
	v_fmac_f32_e32 v12, v2, v17
	s_waitcnt vmcnt(0)
	v_fmac_f32_e32 v12, v3, v62
	buffer_load_dword v0, off, s[0:3], s32 offset:252 ; 4-byte Folded Reload
	buffer_load_dword v1, off, s[0:3], s32 offset:256 ; 4-byte Folded Reload
	;; [unrolled: 1-line block ×4, first 2 shown]
	s_waitcnt vmcnt(3)
	v_fmac_f32_e32 v12, v0, v5
	s_waitcnt vmcnt(2)
	v_fmac_f32_e32 v12, v1, v4
	;; [unrolled: 2-line block ×4, first 2 shown]
	buffer_load_dword v0, off, s[0:3], s32 offset:268 ; 4-byte Folded Reload
	buffer_load_dword v1, off, s[0:3], s32 offset:272 ; 4-byte Folded Reload
	;; [unrolled: 1-line block ×4, first 2 shown]
	v_accvgpr_read_b32 v4, a5
	s_waitcnt vmcnt(3)
	v_fmac_f32_e32 v12, v0, v10
	s_waitcnt vmcnt(2)
	v_fmac_f32_e32 v12, v1, v60
	s_waitcnt vmcnt(1)
	v_fmac_f32_e32 v12, v2, v59
	s_waitcnt vmcnt(0)
	v_fmac_f32_e32 v12, v3, v56
	buffer_load_dword v0, off, s[0:3], s32 offset:284 ; 4-byte Folded Reload
	buffer_load_dword v1, off, s[0:3], s32 offset:288 ; 4-byte Folded Reload
	buffer_load_dword v2, off, s[0:3], s32 offset:292 ; 4-byte Folded Reload
	buffer_load_dword v3, off, s[0:3], s32 offset:296 ; 4-byte Folded Reload
	s_waitcnt vmcnt(3)
	v_fmac_f32_e32 v12, v0, v47
	s_waitcnt vmcnt(2)
	v_fmac_f32_e32 v12, v1, v46
	s_waitcnt vmcnt(1)
	v_fmac_f32_e32 v12, v2, v45
	s_waitcnt vmcnt(0)
	v_fmac_f32_e32 v12, v3, v44
	buffer_load_dword v0, off, s[0:3], s32 offset:316 ; 4-byte Folded Reload
	buffer_load_dword v1, off, s[0:3], s32 offset:320 ; 4-byte Folded Reload
	buffer_load_dword v2, off, s[0:3], s32 offset:324 ; 4-byte Folded Reload
	buffer_load_dword v3, off, s[0:3], s32 offset:328 ; 4-byte Folded Reload
	;; [unrolled: 12-line block ×7, first 2 shown]
	s_waitcnt vmcnt(3)
	v_fmac_f32_e32 v12, v0, v58
	v_accvgpr_read_b32 v0, a18
	s_waitcnt vmcnt(2)
	v_fmac_f32_e32 v12, v1, v0
	v_accvgpr_read_b32 v0, a7
	;; [unrolled: 3-line block ×4, first 2 shown]
	v_accvgpr_read_b32 v1, a9
	v_fmac_f32_e32 v12, v0, v4
	v_accvgpr_read_b32 v0, a4
	v_accvgpr_read_b32 v2, a10
	v_fmac_f32_e32 v12, v1, v0
	v_accvgpr_read_b32 v0, a25
	v_accvgpr_read_b32 v3, a11
	v_fmac_f32_e32 v12, v2, v0
	v_accvgpr_read_b32 v0, a24
	v_fmac_f32_e32 v12, v3, v0
	v_accvgpr_read_b32 v0, a30
	v_accvgpr_read_b32 v4, a23
	v_accvgpr_read_b32 v1, a31
	v_fmac_f32_e32 v12, v0, v4
	v_accvgpr_read_b32 v0, a22
	v_accvgpr_read_b32 v2, a32
	v_fmac_f32_e32 v12, v1, v0
	v_accvgpr_read_b32 v0, a61
	v_accvgpr_read_b32 v3, a33
	v_fmac_f32_e32 v12, v2, v0
	v_accvgpr_read_b32 v0, a60
	v_fmac_f32_e32 v12, v3, v0
	v_accvgpr_read_b32 v0, a34
	v_accvgpr_read_b32 v4, a59
	;; [unrolled: 12-line block ×5, first 2 shown]
	v_accvgpr_read_b32 v1, a47
	v_fmac_f32_e32 v12, v0, v4
	v_accvgpr_read_b32 v0, a14
	v_accvgpr_read_b32 v2, a48
	v_fmac_f32_e32 v12, v1, v0
	v_accvgpr_read_b32 v0, a12
	v_fmac_f32_e32 v12, v2, v0
	buffer_load_dword v0, off, s[0:3], s32 offset:300 ; 4-byte Folded Reload
	buffer_load_dword v1, off, s[0:3], s32 offset:304 ; 4-byte Folded Reload
	v_accvgpr_read_b32 v3, a49
	v_fmac_f32_e32 v12, v3, v18
	s_waitcnt vmcnt(1)
	ds_bpermute_b32 v0, v0, v12
	s_waitcnt lgkmcnt(0)
	v_add_f32_e32 v0, v12, v0
	s_waitcnt vmcnt(0)
	ds_bpermute_b32 v1, v1, v0
	s_mov_b64 s[28:29], exec
	s_and_b64 vcc, s[28:29], s[6:7]
	v_accvgpr_read_b32 v5, a2
	s_mov_b64 exec, vcc
	s_cbranch_execz .LBB227_10
; %bb.396:                              ;   in Loop: Header=BB227_11 Depth=1
	buffer_load_dword v2, off, s[0:3], s32 offset:424 ; 4-byte Folded Reload
	buffer_load_dword v3, off, s[0:3], s32 offset:416 ; 4-byte Folded Reload
	s_waitcnt lgkmcnt(0)
	v_add_f32_e32 v0, v0, v1
	buffer_load_dword v1, off, s[0:3], s32 offset:412 ; 4-byte Folded Reload
	v_accvgpr_read_b32 v4, a63
	s_load_dword vcc_lo, s[24:25], 0x0
	s_waitcnt vmcnt(2)
	v_add_u32_e32 v2, v2, v4
	v_cvt_f32_i32_e32 v2, v2
	s_waitcnt vmcnt(0)
	v_mul_f32_e32 v1, v1, v2
	v_cndmask_b32_e64 v1, 0, v1, s[8:9]
	v_accvgpr_read_b32 v2, a26
	v_fmac_f32_e32 v1, v0, v3
	v_accvgpr_read_b32 v0, a13
	s_waitcnt lgkmcnt(0)
	v_add_u32_e32 v2, vcc_lo, v2
	v_cmp_lt_i32_e32 vcc, v4, v0
	v_cndmask_b32_e32 v0, 0, v1, vcc
	ds_write_b32 v2, v0
	buffer_load_dword v2, off, s[0:3], s32 offset:232 ; 4-byte Folded Reload
	s_waitcnt vmcnt(0)
	v_max_f32_e32 v0, v2, v2
	v_max_f32_e32 v0, v0, v1
	v_cndmask_b32_e32 v2, v2, v0, vcc
	buffer_store_dword v2, off, s[0:3], s32 offset:232 ; 4-byte Folded Spill
	s_branch .LBB227_10
.LBB227_397:
	s_or_b64 exec, exec, s[26:27]
	buffer_load_dword v11, off, s[0:3], s32 offset:508 ; 4-byte Folded Reload
	buffer_load_dword v10, off, s[0:3], s32 offset:512 ; 4-byte Folded Reload
	s_waitcnt lgkmcnt(0)
	buffer_load_dword v1, off, s[0:3], s32 offset:504 ; 4-byte Folded Reload
	buffer_load_dword v0, off, s[0:3], s32 offset:500 ; 4-byte Folded Reload
	;; [unrolled: 1-line block ×4, first 2 shown]
.LBB227_398:
	s_or_b64 exec, exec, s[10:11]
	buffer_load_dword v9, off, s[0:3], s32 offset:428 ; 4-byte Folded Reload
	buffer_load_dword v13, off, s[0:3], s32 offset:432 ; 4-byte Folded Reload
	;; [unrolled: 1-line block ×3, first 2 shown]
	s_waitcnt vmcnt(2)
	v_xor_b32_e32 v4, 32, v9
	s_waitcnt vmcnt(1)
	v_cmp_lt_i32_e32 vcc, v4, v13
	v_cndmask_b32_e32 v4, v9, v4, vcc
	v_lshlrev_b32_e32 v4, 2, v4
	s_waitcnt vmcnt(0)
	ds_bpermute_b32 v5, v4, v6
	v_xor_b32_e32 v7, 16, v9
	v_max_f32_e32 v6, v6, v6
	v_cmp_lt_i32_e32 vcc, v7, v13
	v_xor_b32_e32 v8, 8, v9
	s_waitcnt lgkmcnt(0)
	v_max_f32_e32 v5, v5, v5
	v_max_f32_e32 v6, v6, v5
	v_cndmask_b32_e32 v5, v9, v7, vcc
	v_lshlrev_b32_e32 v5, 2, v5
	ds_bpermute_b32 v7, v5, v6
	v_cmp_lt_i32_e32 vcc, v8, v13
	s_waitcnt lgkmcnt(0)
	v_max_f32_e32 v7, v7, v7
	v_max_f32_e32 v6, v6, v7
	v_cndmask_b32_e32 v7, v9, v8, vcc
	v_lshlrev_b32_e32 v12, 2, v7
	ds_bpermute_b32 v7, v12, v6
	v_xor_b32_e32 v8, 4, v9
	v_cmp_lt_i32_e32 vcc, v8, v13
	s_waitcnt lgkmcnt(0)
	v_max_f32_e32 v7, v7, v7
	v_max_f32_e32 v6, v6, v7
	v_cndmask_b32_e32 v7, v9, v8, vcc
	buffer_load_dword v8, off, s[0:3], s32 offset:420 ; 4-byte Folded Reload
	v_lshlrev_b32_e32 v14, 2, v7
	ds_bpermute_b32 v7, v14, v6
	s_waitcnt vmcnt(0)
	v_and_b32_e32 v30, 63, v8
	buffer_load_dword v8, off, s[0:3], s32 offset:436 ; 4-byte Folded Reload
	v_cmp_eq_u32_e32 vcc, 0, v30
	s_waitcnt vmcnt(0)
	v_lshlrev_b32_e32 v8, 2, v8
	s_and_saveexec_b64 s[6:7], vcc
	s_cbranch_execz .LBB227_400
; %bb.399:
	s_waitcnt lgkmcnt(0)
	v_max_f32_e32 v7, v7, v7
	v_max_f32_e32 v6, v6, v6
	;; [unrolled: 1-line block ×3, first 2 shown]
	ds_write_b32 v8, v6 offset:1024
.LBB227_400:
	s_or_b64 exec, exec, s[6:7]
	v_cmp_gt_u32_e64 s[6:7], 2, v30
	v_mov_b32_e32 v6, 0xff7fffff
	v_lshlrev_b32_e32 v9, 2, v30
	s_waitcnt lgkmcnt(0)
	s_barrier
	s_and_saveexec_b64 s[8:9], s[6:7]
	s_cbranch_execz .LBB227_402
; %bb.401:
	ds_read_b32 v6, v9 offset:1024
.LBB227_402:
	s_or_b64 exec, exec, s[8:9]
	buffer_load_dword v15, off, s[0:3], s32 offset:428 ; 4-byte Folded Reload
	buffer_load_dword v13, off, s[0:3], s32 offset:432 ; 4-byte Folded Reload
	;; [unrolled: 1-line block ×3, first 2 shown]
	s_waitcnt vmcnt(2)
	v_xor_b32_e32 v7, 1, v15
	s_waitcnt vmcnt(1)
	v_cmp_lt_i32_e64 s[8:9], v7, v13
	buffer_load_dword v13, off, s[0:3], s32 offset:212 ; 4-byte Folded Reload
	v_cndmask_b32_e64 v7, v15, v7, s[8:9]
	v_lshlrev_b32_e32 v31, 2, v7
	s_waitcnt lgkmcnt(0)
	ds_bpermute_b32 v7, v31, v6
	v_max_f32_e32 v6, v6, v6
	s_waitcnt lgkmcnt(0)
	v_max_f32_e32 v7, v7, v7
	v_max_f32_e32 v6, v6, v7
	v_lshlrev_b32_e32 v7, 2, v15
	v_and_b32_e32 v15, 0xffffff00, v7
	ds_bpermute_b32 v6, v15, v6
	v_accvgpr_read_b32 v7, a13
	s_waitcnt vmcnt(0)
	v_subrev_u32_e32 v13, s36, v13
	v_lshl_add_u32 v13, v13, 4, s23
	v_min_i32_e32 v13, v13, v7
	v_subrev_u32_e32 v7, s23, v13
	v_cmp_lt_i32_e64 s[8:9], v16, v7
	v_mov_b32_e32 v16, 0
	s_and_saveexec_b64 s[24:25], s[8:9]
	s_cbranch_execz .LBB227_406
; %bb.403:
	buffer_load_dword v18, off, s[0:3], s32 offset:420 ; 4-byte Folded Reload
	s_ashr_i32 s19, s18, 31
	s_lshl_b64 s[10:11], s[18:19], 2
	s_getpc_b64 s[26:27]
	s_add_u32 s26, s26, llvm.amdgcn.dynlds.offset.table@rel32@lo+4
	s_addc_u32 s27, s27, llvm.amdgcn.dynlds.offset.table@rel32@hi+12
	s_add_u32 s10, s10, s26
	s_addc_u32 s11, s11, s27
	s_load_dword s10, s[10:11], 0x0
	s_mov_b64 s[26:27], 0
	v_mov_b32_e32 v16, 0
	s_waitcnt vmcnt(0) lgkmcnt(0)
	v_lshl_add_u32 v17, v18, 2, s10
.LBB227_404:                            ; =>This Inner Loop Header: Depth=1
	ds_read_b32 v19, v17
	v_add_u32_e32 v18, 0x80, v18
	v_cmp_ge_i32_e64 s[10:11], v18, v7
	s_or_b64 s[26:27], s[10:11], s[26:27]
	s_waitcnt lgkmcnt(0)
	v_sub_f32_e32 v19, v19, v6
	v_mul_f32_e32 v19, 0x3fb8aa3b, v19
	v_exp_f32_e32 v19, v19
	ds_write_b32 v17, v19
	v_add_f32_e32 v16, v16, v19
	v_add_u32_e32 v17, 0x200, v17
	s_andn2_b64 exec, exec, s[26:27]
	s_cbranch_execnz .LBB227_404
; %bb.405:
	s_or_b64 exec, exec, s[26:27]
.LBB227_406:
	s_or_b64 exec, exec, s[24:25]
	ds_bpermute_b32 v4, v4, v16
	s_waitcnt lgkmcnt(0)
	v_add_f32_e32 v4, v16, v4
	ds_bpermute_b32 v5, v5, v4
	buffer_load_dword v16, off, s[0:3], s32 offset:432 ; 4-byte Folded Reload
	s_waitcnt lgkmcnt(0)
	v_add_f32_e32 v4, v4, v5
	ds_bpermute_b32 v5, v12, v4
	s_waitcnt lgkmcnt(0)
	v_add_f32_e32 v4, v4, v5
	ds_bpermute_b32 v5, v14, v4
	buffer_load_dword v14, off, s[0:3], s32 offset:428 ; 4-byte Folded Reload
	s_waitcnt lgkmcnt(0)
	v_add_f32_e32 v4, v4, v5
	s_waitcnt vmcnt(0)
	v_xor_b32_e32 v12, 2, v14
	v_cmp_lt_i32_e64 s[10:11], v12, v16
	v_cndmask_b32_e64 v12, v14, v12, s[10:11]
	v_lshlrev_b32_e32 v29, 2, v12
	ds_bpermute_b32 v5, v29, v4
	s_waitcnt lgkmcnt(0)
	v_add_f32_e32 v4, v4, v5
	ds_bpermute_b32 v5, v31, v4
	s_waitcnt lgkmcnt(0)
	v_add_f32_e32 v4, v4, v5
	s_and_saveexec_b64 s[10:11], vcc
	s_cbranch_execz .LBB227_408
; %bb.407:
	ds_write_b32 v8, v4 offset:1032
.LBB227_408:
	s_or_b64 exec, exec, s[10:11]
	s_waitcnt lgkmcnt(0)
	s_barrier
	s_and_saveexec_b64 s[10:11], s[6:7]
	s_cbranch_execz .LBB227_410
; %bb.409:
	ds_read_b32 v4, v9 offset:1032
.LBB227_410:
	s_or_b64 exec, exec, s[10:11]
	s_waitcnt lgkmcnt(0)
	ds_bpermute_b32 v5, v31, v4
	s_waitcnt lgkmcnt(0)
	v_add_f32_e32 v4, v4, v5
	ds_bpermute_b32 v8, v15, v4
	s_and_saveexec_b64 s[6:7], s[8:9]
	s_cbranch_execz .LBB227_423
; %bb.411:
	s_waitcnt lgkmcnt(0)
	v_add_f32_e32 v4, 0x358637bd, v8
	v_div_scale_f32 v5, s[8:9], v4, v4, 1.0
	v_rcp_f32_e32 v9, v5
	v_div_scale_f32 v12, vcc, 1.0, v4, 1.0
	s_movk_i32 s8, 0x7f
	v_fma_f32 v14, -v5, v9, 1.0
	v_fmac_f32_e32 v9, v14, v9
	v_mul_f32_e32 v14, v12, v9
	v_fma_f32 v15, -v5, v14, v12
	v_fmac_f32_e32 v14, v15, v9
	v_fma_f32 v5, -v5, v14, v12
	buffer_load_dword v12, off, s[0:3], s32 offset:420 ; 4-byte Folded Reload
	v_div_fmas_f32 v5, v5, v9, v14
	v_div_fixup_f32 v4, v5, v4, 1.0
	s_mov_b64 s[10:11], -1
	s_waitcnt vmcnt(0)
	v_xad_u32 v5, v12, -1, v13
	v_subrev_u32_e32 v9, s23, v5
	v_cmp_lt_u32_e32 vcc, s8, v9
	v_mov_b32_e32 v5, v12
	s_and_saveexec_b64 s[8:9], vcc
	s_cbranch_execz .LBB227_420
; %bb.412:
	v_lshrrev_b32_e32 v9, 7, v9
	v_add_u32_e32 v13, -1, v9
	v_lshrrev_b32_e32 v12, 1, v13
	v_mov_b32_e32 v5, v4
	v_add_u32_e32 v12, 1, v12
	v_cmp_lt_u32_e32 vcc, 13, v13
	v_mov_b32_e32 v15, 0
	s_and_saveexec_b64 s[10:11], vcc
	s_cbranch_execz .LBB227_416
; %bb.413:
	buffer_load_dword v14, off, s[0:3], s32 offset:420 ; 4-byte Folded Reload
	s_ashr_i32 s19, s18, 31
	s_lshl_b64 s[24:25], s[18:19], 2
	s_getpc_b64 s[26:27]
	s_add_u32 s26, s26, llvm.amdgcn.dynlds.offset.table@rel32@lo+4
	s_addc_u32 s27, s27, llvm.amdgcn.dynlds.offset.table@rel32@hi+12
	s_add_u32 s24, s24, s26
	s_addc_u32 s25, s25, s27
	s_load_dword s24, s[24:25], 0x0
	v_and_b32_e32 v13, -8, v12
	s_mov_b32 s19, 0
	s_waitcnt vmcnt(0) lgkmcnt(0)
	v_lshl_add_u32 v14, v14, 2, s24
	s_mov_b64 s[24:25], 0
.LBB227_414:                            ; =>This Inner Loop Header: Depth=1
	ds_read2st64_b32 v[16:17], v14 offset1:2
	ds_read2st64_b32 v[18:19], v14 offset0:4 offset1:6
	ds_read2st64_b32 v[20:21], v14 offset0:8 offset1:10
	;; [unrolled: 1-line block ×3, first 2 shown]
	v_add_u32_e32 v13, -8, v13
	s_waitcnt lgkmcnt(3)
	v_pk_mul_f32 v[16:17], v[4:5], v[16:17]
	s_waitcnt lgkmcnt(2)
	v_pk_mul_f32 v[18:19], v[4:5], v[18:19]
	ds_write2st64_b32 v14, v16, v17 offset1:2
	ds_write2st64_b32 v14, v18, v19 offset0:4 offset1:6
	ds_read2st64_b32 v[18:19], v14 offset0:16 offset1:18
	s_waitcnt lgkmcnt(4)
	v_pk_mul_f32 v[16:17], v[4:5], v[20:21]
	ds_write2st64_b32 v14, v16, v17 offset0:8 offset1:10
	s_waitcnt lgkmcnt(4)
	v_pk_mul_f32 v[16:17], v[4:5], v[22:23]
	ds_write2st64_b32 v14, v16, v17 offset0:12 offset1:14
	ds_read2st64_b32 v[16:17], v14 offset0:20 offset1:22
	s_waitcnt lgkmcnt(3)
	v_pk_mul_f32 v[18:19], v[4:5], v[18:19]
	ds_read2st64_b32 v[20:21], v14 offset0:24 offset1:26
	ds_write2st64_b32 v14, v18, v19 offset0:16 offset1:18
	ds_read2st64_b32 v[18:19], v14 offset0:28 offset1:30
	s_waitcnt lgkmcnt(3)
	v_pk_mul_f32 v[16:17], v[4:5], v[16:17]
	ds_write2st64_b32 v14, v16, v17 offset0:20 offset1:22
	s_waitcnt lgkmcnt(3)
	v_pk_mul_f32 v[16:17], v[4:5], v[20:21]
	ds_write2st64_b32 v14, v16, v17 offset0:24 offset1:26
	s_waitcnt lgkmcnt(2)
	v_pk_mul_f32 v[16:17], v[4:5], v[18:19]
	s_add_i32 s19, s19, 16
	v_cmp_eq_u32_e32 vcc, 0, v13
	ds_write2st64_b32 v14, v16, v17 offset0:28 offset1:30
	v_add_u32_e32 v14, 0x2000, v14
	s_or_b64 s[24:25], vcc, s[24:25]
	v_mov_b32_e32 v15, s19
	s_andn2_b64 exec, exec, s[24:25]
	s_cbranch_execnz .LBB227_414
; %bb.415:
	s_or_b64 exec, exec, s[24:25]
.LBB227_416:
	s_or_b64 exec, exec, s[10:11]
	v_and_b32_e32 v12, 7, v12
	v_cmp_ne_u32_e32 vcc, 0, v12
	s_and_saveexec_b64 s[10:11], vcc
	s_cbranch_execz .LBB227_419
; %bb.417:
	buffer_load_dword v14, off, s[0:3], s32 offset:420 ; 4-byte Folded Reload
	s_ashr_i32 s19, s18, 31
	s_lshl_b64 s[24:25], s[18:19], 2
	s_getpc_b64 s[26:27]
	s_add_u32 s26, s26, llvm.amdgcn.dynlds.offset.table@rel32@lo+4
	s_addc_u32 s27, s27, llvm.amdgcn.dynlds.offset.table@rel32@hi+12
	s_add_u32 s24, s24, s26
	s_addc_u32 s25, s25, s27
	s_load_dword s19, s[24:25], 0x0
	v_lshlrev_b32_e32 v13, 9, v15
	s_mov_b64 s[24:25], 0
	s_waitcnt vmcnt(0)
	v_lshlrev_b32_e32 v14, 2, v14
	s_waitcnt lgkmcnt(0)
	v_add3_u32 v13, v13, v14, s19
.LBB227_418:                            ; =>This Inner Loop Header: Depth=1
	ds_read2st64_b32 v[14:15], v13 offset1:2
	v_add_u32_e32 v12, -1, v12
	v_cmp_eq_u32_e32 vcc, 0, v12
	s_or_b64 s[24:25], vcc, s[24:25]
	s_waitcnt lgkmcnt(0)
	v_pk_mul_f32 v[14:15], v[4:5], v[14:15]
	ds_write2st64_b32 v13, v14, v15 offset1:2
	v_add_u32_e32 v13, 0x400, v13
	s_andn2_b64 exec, exec, s[24:25]
	s_cbranch_execnz .LBB227_418
.LBB227_419:
	s_or_b64 exec, exec, s[10:11]
	buffer_load_dword v5, off, s[0:3], s32 offset:420 ; 4-byte Folded Reload
	v_add_u32_e32 v9, 1, v9
	v_and_b32_e32 v12, 0x3fffffe, v9
	v_cmp_ne_u32_e32 vcc, v9, v12
	s_orn2_b64 s[10:11], vcc, exec
	s_waitcnt vmcnt(0)
	v_lshl_add_u32 v5, v12, 7, v5
.LBB227_420:
	s_or_b64 exec, exec, s[8:9]
	s_and_b64 exec, exec, s[10:11]
	s_cbranch_execz .LBB227_423
; %bb.421:
	s_ashr_i32 s19, s18, 31
	s_lshl_b64 s[8:9], s[18:19], 2
	s_getpc_b64 s[10:11]
	s_add_u32 s10, s10, llvm.amdgcn.dynlds.offset.table@rel32@lo+4
	s_addc_u32 s11, s11, llvm.amdgcn.dynlds.offset.table@rel32@hi+12
	s_add_u32 s8, s8, s10
	s_addc_u32 s9, s9, s11
	s_load_dword s8, s[8:9], 0x0
	s_waitcnt lgkmcnt(0)
	v_lshl_add_u32 v9, v5, 2, s8
	s_mov_b64 s[8:9], 0
.LBB227_422:                            ; =>This Inner Loop Header: Depth=1
	ds_read_b32 v12, v9
	v_add_u32_e32 v5, 0x80, v5
	v_cmp_ge_i32_e32 vcc, v5, v7
	s_or_b64 s[8:9], vcc, s[8:9]
	s_waitcnt lgkmcnt(0)
	v_mul_f32_e32 v12, v4, v12
	ds_write_b32 v9, v12
	v_add_u32_e32 v9, 0x200, v9
	s_andn2_b64 exec, exec, s[8:9]
	s_cbranch_execnz .LBB227_422
.LBB227_423:
	s_or_b64 exec, exec, s[6:7]
	s_waitcnt lgkmcnt(0)
	s_barrier
	buffer_load_dword v4, off, s[0:3], s32 offset:420 ; 4-byte Folded Reload
	v_cmp_ne_u16_e64 s[6:7], s21, 0
	s_cmp_lg_u64 s[6:7], 0
	s_addc_u32 s21, s13, 0
	s_mul_i32 s6, s21, s22
	s_mul_i32 s6, s6, s15
	s_waitcnt vmcnt(0)
	v_cmp_eq_u32_e32 vcc, 0, v4
	s_and_saveexec_b64 s[8:9], vcc
	s_cbranch_execz .LBB227_425
; %bb.424:
	s_mul_i32 s12, s21, s12
	s_ashr_i32 s7, s6, 31
	s_ashr_i32 s13, s12, 31
	;; [unrolled: 1-line block ×3, first 2 shown]
	s_lshl_b64 s[10:11], s[6:7], 2
	s_lshl_b64 s[12:13], s[12:13], 2
	;; [unrolled: 1-line block ×3, first 2 shown]
	s_add_u32 s7, s24, s12
	s_addc_u32 s12, s25, s13
	s_add_u32 s7, s7, s10
	s_addc_u32 s10, s12, s11
	v_mov_b32_e32 v4, s10
	v_add_co_u32_e32 v2, vcc, s7, v2
	v_addc_co_u32_e32 v3, vcc, v4, v3, vcc
	flat_store_dword v[2:3], v6
	v_mov_b32_e32 v2, s10
	v_add_co_u32_e32 v0, vcc, s7, v0
	v_addc_co_u32_e32 v1, vcc, v2, v1, vcc
	flat_store_dword v[0:1], v8
.LBB227_425:
	s_or_b64 exec, exec, s[8:9]
	s_mov_b32 s10, 0
	v_mov_b32_e32 v24, 0
	v_mov_b32_e32 v25, 0
	;; [unrolled: 1-line block ×16, first 2 shown]
	s_and_saveexec_b64 s[8:9], s[4:5]
	s_cbranch_execz .LBB227_845
; %bb.426:
	buffer_load_dword v0, off, s[0:3], s32 offset:460 ; 4-byte Folded Reload
	buffer_load_dword v1, off, s[0:3], s32 offset:464 ; 4-byte Folded Reload
	s_ashr_i32 s19, s18, 31
	s_getpc_b64 s[4:5]
	s_add_u32 s4, s4, llvm.amdgcn.dynlds.offset.table@rel32@lo+4
	s_addc_u32 s5, s5, llvm.amdgcn.dynlds.offset.table@rel32@hi+12
	s_lshl_b64 s[24:25], s[18:19], 2
	s_add_u32 s4, s24, s4
	s_addc_u32 s5, s25, s5
	v_accvgpr_write_b32 a2, v29
	v_accvgpr_write_b32 a1, v31
	;; [unrolled: 1-line block ×3, first 2 shown]
	v_mov_b32_e32 v55, 0
	s_mov_b64 s[12:13], 0
	s_movk_i32 s7, 0x80
	s_movk_i32 s15, 0x7f
	s_brev_b32 s11, 1
	s_mov_b32 s30, 0xffffff
	v_bfrev_b32_e32 v62, 60
	v_mov_b32_e32 v35, 0
	v_mov_b32_e32 v34, 0
	;; [unrolled: 1-line block ×16, first 2 shown]
	buffer_load_dword v6, off, s[0:3], s32 offset:436 ; 4-byte Folded Reload
	s_waitcnt vmcnt(0)
	flat_load_dword v26, v[0:1]
	s_nop 0
	buffer_load_dword v0, off, s[0:3], s32 offset:420 ; 4-byte Folded Reload
	v_lshl_add_u32 v3, v6, 4, s23
	s_mov_b32 s23, 0x7f800001
	s_waitcnt vmcnt(0) lgkmcnt(0)
	v_mov_b32_e32 v27, v26
	v_lshlrev_b32_e32 v2, 2, v0
	buffer_load_dword v0, off, s[0:3], s32 offset:484 ; 4-byte Folded Reload
	s_waitcnt vmcnt(0)
	v_add_co_u32_e32 v4, vcc, v10, v0
	buffer_load_dword v0, off, s[0:3], s32 offset:480 ; 4-byte Folded Reload
	v_and_b32_e32 v10, 0xfc, v2
	v_accvgpr_write_b32 a22, v10
	s_waitcnt vmcnt(0)
	v_addc_co_u32_e32 v5, vcc, v11, v0, vcc
	v_accvgpr_write_b32 a21, v5
	v_accvgpr_write_b32 a20, v4
	buffer_load_dword v0, off, s[0:3], s32 offset:488 ; 4-byte Folded Reload
	buffer_load_dword v4, off, s[0:3], s32 offset:224 ; 4-byte Folded Reload
	;; [unrolled: 1-line block ×5, first 2 shown]
	s_waitcnt vmcnt(2)
	v_and_b32_e32 v5, 12, v2
	v_or_b32_e32 v2, 0xf00, v2
	v_accvgpr_write_b32 a26, v2
	s_load_dword s4, s[4:5], 0x0
	v_add3_u32 v36, v3, v5, 3
	v_add_u32_e32 v37, -1, v0
	v_lshlrev_b32_e32 v4, 4, v4
	v_lshl_or_b32 v2, v6, 6, v4
	buffer_load_dword v4, off, s[0:3], s32 offset:444 ; 4-byte Folded Reload
	v_accvgpr_read_b32 v0, a16
	v_accvgpr_read_b32 v1, a17
	v_lshlrev_b64 v[0:1], 2, v[0:1]
	s_waitcnt vmcnt(2)
	v_add_co_u32_e32 v0, vcc, v10, v0
	s_waitcnt vmcnt(1)
	v_addc_co_u32_e32 v1, vcc, v11, v1, vcc
	s_waitcnt vmcnt(0)
	v_add_co_u32_e32 v14, vcc, v4, v0
	buffer_load_dword v0, off, s[0:3], s32 offset:440 ; 4-byte Folded Reload
	s_waitcnt vmcnt(0)
	v_addc_co_u32_e32 v15, vcc, v0, v1, vcc
	s_waitcnt lgkmcnt(0)
	v_add_u32_e32 v1, s4, v2
	s_branch .LBB227_428
.LBB227_427:                            ;   in Loop: Header=BB227_428 Depth=1
	s_or_b64 exec, exec, s[4:5]
	v_mul_f32_e32 v29, v1, v35
	v_fmac_f32_e32 v29, v0, v34
	v_accvgpr_read_b32 v34, a54
	v_mul_f32_e32 v5, v1, v5
	v_accvgpr_read_b32 v35, a55
	v_fmac_f32_e32 v5, v0, v4
	v_mul_f32_e32 v4, v1, v35
	v_fmac_f32_e32 v4, v0, v34
	v_accvgpr_read_b32 v34, a56
	v_accvgpr_read_b32 v35, a57
	v_fmac_f32_e32 v4, v2, v34
	v_fmac_f32_e32 v4, v3, v35
	v_accvgpr_read_b32 v34, a50
	v_accvgpr_read_b32 v35, a51
	v_mul_f32_e32 v33, v1, v35
	v_mul_f32_e32 v6, v1, v51
	;; [unrolled: 1-line block ×3, first 2 shown]
	v_fmac_f32_e32 v33, v0, v34
	v_accvgpr_read_b32 v34, a52
	v_fmac_f32_e32 v6, v0, v50
	v_fmac_f32_e32 v7, v0, v46
	v_accvgpr_read_b32 v35, a53
	v_fmac_f32_e32 v33, v2, v34
	v_fmac_f32_e32 v6, v2, v58
	;; [unrolled: 1-line block ×4, first 2 shown]
	v_accvgpr_read_b32 v35, a5
	v_fmac_f32_e32 v6, v3, v59
	v_fmac_f32_e32 v7, v3, v57
	v_accvgpr_read_b32 v34, a4
	v_add_f32_e32 v34, v34, v6
	v_add_f32_e32 v9, v9, v7
	v_accvgpr_read_b32 v6, a46
	v_accvgpr_read_b32 v7, a47
	v_add_f32_e32 v16, v16, v4
	v_mul_f32_e32 v4, v1, v7
	v_fmac_f32_e32 v4, v0, v6
	v_accvgpr_read_b32 v6, a48
	v_accvgpr_read_b32 v7, a49
	v_fmac_f32_e32 v4, v2, v6
	v_fmac_f32_e32 v4, v3, v7
	v_accvgpr_read_b32 v6, a42
	v_accvgpr_read_b32 v7, a43
	v_add_f32_e32 v18, v18, v4
	v_mul_f32_e32 v4, v1, v7
	v_fmac_f32_e32 v4, v0, v6
	v_accvgpr_read_b32 v6, a44
	v_accvgpr_read_b32 v7, a45
	v_fmac_f32_e32 v4, v2, v6
	v_fmac_f32_e32 v4, v3, v7
	;; [unrolled: 9-line block ×6, first 2 shown]
	v_accvgpr_read_b32 v6, a18
	v_accvgpr_read_b32 v7, a19
	v_mul_f32_e32 v28, v1, v43
	v_mul_f32_e32 v32, v1, v61
	v_add_f32_e32 v25, v25, v4
	v_mul_f32_e32 v4, v1, v7
	v_mul_f32_e32 v1, v1, v11
	v_fmac_f32_e32 v28, v0, v42
	v_fmac_f32_e32 v32, v0, v60
	v_fmac_f32_e32 v4, v0, v6
	v_fmac_f32_e32 v1, v0, v10
	buffer_load_dword v0, off, s[0:3], s32 offset:212 ; 4-byte Folded Reload
	v_accvgpr_read_b32 v6, a24
	v_fmac_f32_e32 v28, v2, v44
	v_fmac_f32_e32 v29, v2, v40
	;; [unrolled: 1-line block ×6, first 2 shown]
	v_accvgpr_read_b32 v2, a16
	v_add_co_u32_e32 v14, vcc, 8, v14
	v_accvgpr_read_b32 v7, a25
	v_fmac_f32_e32 v1, v3, v31
	v_add_u32_e32 v2, 2, v2
	v_addc_co_u32_e32 v15, vcc, 0, v15, vcc
	v_fmac_f32_e32 v28, v3, v45
	v_fmac_f32_e32 v29, v3, v41
	;; [unrolled: 1-line block ×5, first 2 shown]
	v_add_f32_e32 v35, v35, v1
	v_accvgpr_read_b32 v1, a15
	v_add_f32_e32 v8, v8, v28
	v_add_f32_e32 v13, v13, v29
	;; [unrolled: 1-line block ×6, first 2 shown]
	v_add_u32_e32 v36, 32, v36
	v_accvgpr_write_b32 a16, v2
	v_add_u32_e32 v1, 0x80, v1
	s_waitcnt vmcnt(0)
	v_cmp_ge_i32_e32 vcc, v2, v0
	s_or_b64 s[12:13], vcc, s[12:13]
	s_andn2_b64 exec, exec, s[12:13]
	s_cbranch_execz .LBB227_844
.LBB227_428:                            ; =>This Inner Loop Header: Depth=1
	flat_load_dword v0, v[14:15]
	buffer_load_dword v2, off, s[0:3], s32 offset:216 ; 4-byte Folded Reload
	buffer_load_dword v3, off, s[0:3], s32 offset:220 ; 4-byte Folded Reload
	v_accvgpr_read_b32 v4, a20
	v_accvgpr_read_b32 v5, a21
	v_accvgpr_write_b32 a15, v1
	v_accvgpr_write_b32 a4, v34
	v_pk_mov_b32 v[30:31], 0, 0
	v_accvgpr_write_b32 a5, v35
	v_pk_mov_b32 v[10:11], v[30:31], v[30:31] op_sel:[0,1]
	s_waitcnt vmcnt(0) lgkmcnt(0)
	v_mad_i64_i32 v[48:49], s[4:5], v0, v2, v[4:5]
	v_accvgpr_read_b32 v0, a22
	v_add_co_u32_e32 v50, vcc, v48, v0
	v_addc_co_u32_e32 v51, vcc, 0, v49, vcc
	flat_load_dword v4, v[50:51]
	ds_read_b128 v[0:3], v1
	s_waitcnt vmcnt(0) lgkmcnt(0)
	v_cmp_ne_u16_sdwa s[24:25], v4, v55 src0_sel:BYTE_0 src1_sel:DWORD
	s_and_saveexec_b64 s[4:5], s[24:25]
	s_cbranch_execz .LBB227_434
; %bb.429:                              ;   in Loop: Header=BB227_428 Depth=1
	v_bfrev_b32_e32 v10, 1
	v_cmp_ne_u16_sdwa s[26:27], v4, s7 src0_sel:BYTE_0 src1_sel:DWORD
	v_mov_b32_e32 v11, 0
	s_and_saveexec_b64 s[24:25], s[26:27]
	s_cbranch_execz .LBB227_433
; %bb.430:                              ;   in Loop: Header=BB227_428 Depth=1
	v_and_b32_e32 v5, 0x7f, v4
	v_mov_b32_e32 v10, 0x7f800001
	v_cmp_ne_u32_e32 vcc, s15, v5
	v_mov_b32_e32 v11, 0
	s_and_saveexec_b64 s[26:27], vcc
	s_cbranch_execz .LBB227_432
; %bb.431:                              ;   in Loop: Header=BB227_428 Depth=1
	v_and_b32_e32 v28, 7, v4
	v_ffbh_u32_e32 v10, v28
	v_min_u32_e32 v32, 32, v10
	v_subrev_u32_e32 v10, 28, v32
	v_lshlrev_b64 v[10:11], v10, v[4:5]
	v_lshrrev_b32_e32 v29, 3, v5
	v_sub_u32_e32 v11, 29, v32
	v_and_b32_e32 v10, 7, v10
	v_cmp_gt_u32_e32 vcc, 8, v5
	v_cndmask_b32_e32 v5, v29, v11, vcc
	v_cndmask_b32_e32 v10, v28, v10, vcc
	v_lshlrev_b32_e32 v10, 20, v10
	v_and_b32_sdwa v11, sext(v4), s11 dst_sel:DWORD dst_unused:UNUSED_PAD src0_sel:BYTE_0 src1_sel:DWORD
	v_lshl_add_u32 v5, v5, 23, v62
	v_or3_b32 v54, v11, v5, v10
	v_pk_mov_b32 v[10:11], v[54:55], v[54:55] op_sel:[0,1]
.LBB227_432:                            ;   in Loop: Header=BB227_428 Depth=1
	s_or_b64 exec, exec, s[26:27]
.LBB227_433:                            ;   in Loop: Header=BB227_428 Depth=1
	s_or_b64 exec, exec, s[24:25]
.LBB227_434:                            ;   in Loop: Header=BB227_428 Depth=1
	s_or_b64 exec, exec, s[4:5]
	v_cmp_ne_u16_sdwa s[24:25], v4, v55 src0_sel:BYTE_1 src1_sel:DWORD
	s_and_saveexec_b64 s[4:5], s[24:25]
	s_cbranch_execz .LBB227_440
; %bb.435:                              ;   in Loop: Header=BB227_428 Depth=1
	v_cmp_ne_u16_sdwa s[26:27], v4, s7 src0_sel:BYTE_1 src1_sel:DWORD
	v_pk_mov_b32 v[30:31], s[10:11], s[10:11] op_sel:[0,1]
	s_and_saveexec_b64 s[24:25], s[26:27]
	s_cbranch_execz .LBB227_439
; %bb.436:                              ;   in Loop: Header=BB227_428 Depth=1
	v_and_b32_sdwa v5, v4, s15 dst_sel:DWORD dst_unused:UNUSED_PAD src0_sel:BYTE_1 src1_sel:DWORD
	s_mov_b32 s22, s10
	v_cmp_ne_u32_e32 vcc, s15, v5
	v_pk_mov_b32 v[30:31], s[22:23], s[22:23] op_sel:[0,1]
	s_and_saveexec_b64 s[26:27], vcc
	s_cbranch_execz .LBB227_438
; %bb.437:                              ;   in Loop: Header=BB227_428 Depth=1
	v_mov_b32_e32 v6, 7
	v_and_b32_sdwa v54, v4, v6 dst_sel:DWORD dst_unused:UNUSED_PAD src0_sel:BYTE_1 src1_sel:DWORD
	v_ffbh_u32_e32 v28, v54
	v_min_u32_e32 v31, 32, v28
	v_subrev_u32_e32 v28, 28, v31
	v_lshlrev_b64 v[28:29], v28, v[54:55]
	v_lshrrev_b32_e32 v30, 3, v5
	v_sub_u32_e32 v29, 29, v31
	v_cmp_gt_u32_e32 vcc, 8, v5
	v_and_b32_e32 v28, 7, v28
	v_cndmask_b32_e32 v5, v30, v29, vcc
	v_cndmask_b32_e32 v28, v54, v28, vcc
	v_lshlrev_b32_e32 v29, 16, v4
	v_lshl_add_u32 v5, v5, 23, v62
	v_and_or_b32 v5, v29, s11, v5
	v_lshlrev_b32_e32 v28, 20, v28
	v_or_b32_e32 v31, v5, v28
	v_mov_b32_e32 v30, v55
.LBB227_438:                            ;   in Loop: Header=BB227_428 Depth=1
	s_or_b64 exec, exec, s[26:27]
.LBB227_439:                            ;   in Loop: Header=BB227_428 Depth=1
	s_or_b64 exec, exec, s[24:25]
.LBB227_440:                            ;   in Loop: Header=BB227_428 Depth=1
	s_or_b64 exec, exec, s[4:5]
	v_lshrrev_b32_e32 v28, 16, v4
	v_pk_mov_b32 v[34:35], 0, 0
	v_cmp_ne_u16_sdwa s[24:25], v28, v55 src0_sel:BYTE_0 src1_sel:DWORD
	v_pk_mov_b32 v[32:33], v[34:35], v[34:35] op_sel:[0,1]
	s_and_saveexec_b64 s[4:5], s[24:25]
	s_cbranch_execz .LBB227_446
; %bb.441:                              ;   in Loop: Header=BB227_428 Depth=1
	v_bfrev_b32_e32 v32, 1
	v_cmp_ne_u16_sdwa s[26:27], v28, s7 src0_sel:BYTE_0 src1_sel:DWORD
	v_mov_b32_e32 v33, 0
	s_and_saveexec_b64 s[24:25], s[26:27]
	s_cbranch_execz .LBB227_445
; %bb.442:                              ;   in Loop: Header=BB227_428 Depth=1
	v_bfe_u32 v5, v4, 16, 7
	v_mov_b32_e32 v32, 0x7f800001
	v_cmp_ne_u32_e32 vcc, s15, v5
	v_mov_b32_e32 v33, 0
	s_and_saveexec_b64 s[26:27], vcc
	s_cbranch_execz .LBB227_444
; %bb.443:                              ;   in Loop: Header=BB227_428 Depth=1
	v_and_b32_e32 v29, 7, v28
	v_ffbh_u32_e32 v32, v29
	v_min_u32_e32 v39, 32, v32
	v_subrev_u32_e32 v32, 28, v39
	v_lshlrev_b64 v[32:33], v32, v[28:29]
	v_lshrrev_b32_e32 v38, 3, v5
	v_sub_u32_e32 v33, 29, v39
	v_and_b32_e32 v32, 7, v32
	v_cmp_gt_u32_e32 vcc, 8, v5
	v_cndmask_b32_e32 v5, v38, v33, vcc
	v_cndmask_b32_e32 v29, v29, v32, vcc
	v_lshlrev_b32_e32 v29, 20, v29
	v_and_b32_sdwa v28, sext(v28), s11 dst_sel:DWORD dst_unused:UNUSED_PAD src0_sel:BYTE_0 src1_sel:DWORD
	v_lshl_add_u32 v5, v5, 23, v62
	v_or3_b32 v54, v28, v5, v29
	v_pk_mov_b32 v[32:33], v[54:55], v[54:55] op_sel:[0,1]
.LBB227_444:                            ;   in Loop: Header=BB227_428 Depth=1
	s_or_b64 exec, exec, s[26:27]
.LBB227_445:                            ;   in Loop: Header=BB227_428 Depth=1
	s_or_b64 exec, exec, s[24:25]
.LBB227_446:                            ;   in Loop: Header=BB227_428 Depth=1
	s_or_b64 exec, exec, s[4:5]
	v_cmp_lt_u32_e32 vcc, s30, v4
	s_and_saveexec_b64 s[4:5], vcc
	s_cbranch_execz .LBB227_452
; %bb.447:                              ;   in Loop: Header=BB227_428 Depth=1
	v_cmp_ne_u32_sdwa s[26:27], v4, s7 src0_sel:BYTE_3 src1_sel:DWORD
	v_pk_mov_b32 v[34:35], s[10:11], s[10:11] op_sel:[0,1]
	s_and_saveexec_b64 s[24:25], s[26:27]
	s_cbranch_execz .LBB227_451
; %bb.448:                              ;   in Loop: Header=BB227_428 Depth=1
	v_bfe_u32 v5, v4, 24, 7
	s_mov_b32 s22, s10
	v_cmp_ne_u32_e32 vcc, s15, v5
	v_pk_mov_b32 v[34:35], s[22:23], s[22:23] op_sel:[0,1]
	s_and_saveexec_b64 s[26:27], vcc
	s_cbranch_execz .LBB227_450
; %bb.449:                              ;   in Loop: Header=BB227_428 Depth=1
	v_mov_b32_e32 v6, 7
	v_and_b32_sdwa v54, v4, v6 dst_sel:DWORD dst_unused:UNUSED_PAD src0_sel:BYTE_3 src1_sel:DWORD
	v_ffbh_u32_e32 v28, v54
	v_min_u32_e32 v35, 32, v28
	v_subrev_u32_e32 v28, 28, v35
	v_lshlrev_b64 v[28:29], v28, v[54:55]
	v_lshrrev_b32_e32 v34, 3, v5
	v_sub_u32_e32 v29, 29, v35
	v_cmp_gt_u32_e32 vcc, 8, v5
	v_and_b32_e32 v28, 7, v28
	v_cndmask_b32_e32 v5, v34, v29, vcc
	v_mov_b32_e32 v6, 24
	v_cndmask_b32_e32 v28, v54, v28, vcc
	v_lshlrev_b32_sdwa v4, v6, v4 dst_sel:DWORD dst_unused:UNUSED_PAD src0_sel:DWORD src1_sel:BYTE_3
	v_lshl_add_u32 v5, v5, 23, v62
	v_and_or_b32 v4, v4, s11, v5
	v_lshlrev_b32_e32 v5, 20, v28
	v_or_b32_e32 v35, v4, v5
	v_mov_b32_e32 v34, v55
.LBB227_450:                            ;   in Loop: Header=BB227_428 Depth=1
	s_or_b64 exec, exec, s[26:27]
.LBB227_451:                            ;   in Loop: Header=BB227_428 Depth=1
	s_or_b64 exec, exec, s[24:25]
.LBB227_452:                            ;   in Loop: Header=BB227_428 Depth=1
	s_or_b64 exec, exec, s[4:5]
	v_accvgpr_read_b32 v4, a16
	v_cmp_eq_u32_e32 vcc, v37, v4
	v_or_b32_e32 v5, v31, v11
	v_or_b32_e32 v4, v30, v10
	v_pk_mul_f32 v[4:5], v[26:27], v[4:5]
	v_accvgpr_write_b32 a19, v5
	v_accvgpr_write_b32 a18, v4
	v_or_b32_e32 v5, v35, v33
	v_or_b32_e32 v4, v34, v32
	v_pk_mul_f32 v[4:5], v[26:27], v[4:5]
	v_accvgpr_write_b32 a25, v5
	v_accvgpr_write_b32 a24, v4
	v_add_u32_e32 v4, -2, v36
	v_accvgpr_write_b32 a17, v4
	v_add_u32_e32 v4, -1, v36
	v_add_u32_e32 v7, -3, v36
	v_accvgpr_write_b32 a9, v4
	s_and_saveexec_b64 s[24:25], vcc
	s_cbranch_execz .LBB227_454
; %bb.453:                              ;   in Loop: Header=BB227_428 Depth=1
	v_accvgpr_read_b32 v4, a13
	v_cmp_lt_i32_e64 s[4:5], v7, v4
	v_mov_b32_e32 v5, v7
	v_accvgpr_read_b32 v6, a18
	v_accvgpr_read_b32 v10, a17
	;; [unrolled: 1-line block ×3, first 2 shown]
	v_cndmask_b32_e64 v6, 0, v6, s[4:5]
	v_cmp_lt_i32_e64 s[4:5], v10, v4
	v_cndmask_b32_e64 v7, 0, v7, s[4:5]
	v_accvgpr_write_b32 a19, v7
	v_accvgpr_write_b32 a18, v6
	v_accvgpr_read_b32 v6, a9
	v_cmp_lt_i32_e64 s[4:5], v6, v4
	v_accvgpr_read_b32 v6, a24
	v_accvgpr_read_b32 v7, a25
	v_cndmask_b32_e64 v6, 0, v6, s[4:5]
	v_cmp_lt_i32_e64 s[4:5], v36, v4
	v_cndmask_b32_e64 v7, 0, v7, s[4:5]
	v_accvgpr_write_b32 a25, v7
	v_accvgpr_write_b32 a24, v6
	v_mov_b32_e32 v7, v5
.LBB227_454:                            ;   in Loop: Header=BB227_428 Depth=1
	s_or_b64 exec, exec, s[24:25]
	flat_load_dword v4, v[50:51] offset:256
	v_pk_mov_b32 v[30:31], 0, 0
	v_pk_mov_b32 v[10:11], v[30:31], v[30:31] op_sel:[0,1]
	s_waitcnt vmcnt(0) lgkmcnt(0)
	v_cmp_ne_u16_sdwa s[4:5], v4, v55 src0_sel:BYTE_0 src1_sel:DWORD
	s_and_saveexec_b64 s[24:25], s[4:5]
	s_cbranch_execz .LBB227_460
; %bb.455:                              ;   in Loop: Header=BB227_428 Depth=1
	v_bfrev_b32_e32 v10, 1
	v_cmp_ne_u16_sdwa s[4:5], v4, s7 src0_sel:BYTE_0 src1_sel:DWORD
	v_mov_b32_e32 v11, 0
	s_and_saveexec_b64 s[26:27], s[4:5]
	s_cbranch_execz .LBB227_459
; %bb.456:                              ;   in Loop: Header=BB227_428 Depth=1
	v_and_b32_e32 v5, 0x7f, v4
	v_mov_b32_e32 v10, 0x7f800001
	v_cmp_ne_u32_e64 s[4:5], s15, v5
	v_mov_b32_e32 v11, 0
	s_and_saveexec_b64 s[28:29], s[4:5]
	s_cbranch_execz .LBB227_458
; %bb.457:                              ;   in Loop: Header=BB227_428 Depth=1
	v_and_b32_e32 v28, 7, v4
	v_ffbh_u32_e32 v10, v28
	v_min_u32_e32 v32, 32, v10
	v_subrev_u32_e32 v10, 28, v32
	v_lshlrev_b64 v[10:11], v10, v[4:5]
	v_lshrrev_b32_e32 v29, 3, v5
	v_sub_u32_e32 v11, 29, v32
	v_and_b32_e32 v10, 7, v10
	v_cmp_gt_u32_e64 s[4:5], 8, v5
	v_cndmask_b32_e64 v5, v29, v11, s[4:5]
	v_cndmask_b32_e64 v10, v28, v10, s[4:5]
	v_lshlrev_b32_e32 v10, 20, v10
	v_and_b32_sdwa v11, sext(v4), s11 dst_sel:DWORD dst_unused:UNUSED_PAD src0_sel:BYTE_0 src1_sel:DWORD
	v_lshl_add_u32 v5, v5, 23, v62
	v_or3_b32 v54, v11, v5, v10
	v_pk_mov_b32 v[10:11], v[54:55], v[54:55] op_sel:[0,1]
.LBB227_458:                            ;   in Loop: Header=BB227_428 Depth=1
	s_or_b64 exec, exec, s[28:29]
.LBB227_459:                            ;   in Loop: Header=BB227_428 Depth=1
	s_or_b64 exec, exec, s[26:27]
.LBB227_460:                            ;   in Loop: Header=BB227_428 Depth=1
	s_or_b64 exec, exec, s[24:25]
	v_cmp_ne_u16_sdwa s[4:5], v4, v55 src0_sel:BYTE_1 src1_sel:DWORD
	s_and_saveexec_b64 s[24:25], s[4:5]
	s_cbranch_execz .LBB227_466
; %bb.461:                              ;   in Loop: Header=BB227_428 Depth=1
	v_cmp_ne_u16_sdwa s[4:5], v4, s7 src0_sel:BYTE_1 src1_sel:DWORD
	v_pk_mov_b32 v[30:31], s[10:11], s[10:11] op_sel:[0,1]
	s_and_saveexec_b64 s[26:27], s[4:5]
	s_cbranch_execz .LBB227_465
; %bb.462:                              ;   in Loop: Header=BB227_428 Depth=1
	v_and_b32_sdwa v5, v4, s15 dst_sel:DWORD dst_unused:UNUSED_PAD src0_sel:BYTE_1 src1_sel:DWORD
	s_mov_b32 s22, s10
	v_cmp_ne_u32_e64 s[4:5], s15, v5
	v_pk_mov_b32 v[30:31], s[22:23], s[22:23] op_sel:[0,1]
	s_and_saveexec_b64 s[28:29], s[4:5]
	s_cbranch_execz .LBB227_464
; %bb.463:                              ;   in Loop: Header=BB227_428 Depth=1
	v_mov_b32_e32 v6, 7
	v_and_b32_sdwa v54, v4, v6 dst_sel:DWORD dst_unused:UNUSED_PAD src0_sel:BYTE_1 src1_sel:DWORD
	v_ffbh_u32_e32 v28, v54
	v_min_u32_e32 v31, 32, v28
	v_subrev_u32_e32 v28, 28, v31
	v_lshlrev_b64 v[28:29], v28, v[54:55]
	v_lshrrev_b32_e32 v30, 3, v5
	v_sub_u32_e32 v29, 29, v31
	v_cmp_gt_u32_e64 s[4:5], 8, v5
	v_and_b32_e32 v28, 7, v28
	v_cndmask_b32_e64 v5, v30, v29, s[4:5]
	v_cndmask_b32_e64 v28, v54, v28, s[4:5]
	v_lshlrev_b32_e32 v29, 16, v4
	v_lshl_add_u32 v5, v5, 23, v62
	v_and_or_b32 v5, v29, s11, v5
	v_lshlrev_b32_e32 v28, 20, v28
	v_or_b32_e32 v31, v5, v28
	v_mov_b32_e32 v30, v55
.LBB227_464:                            ;   in Loop: Header=BB227_428 Depth=1
	s_or_b64 exec, exec, s[28:29]
.LBB227_465:                            ;   in Loop: Header=BB227_428 Depth=1
	s_or_b64 exec, exec, s[26:27]
.LBB227_466:                            ;   in Loop: Header=BB227_428 Depth=1
	s_or_b64 exec, exec, s[24:25]
	v_lshrrev_b32_e32 v34, 16, v4
	v_pk_mov_b32 v[28:29], 0, 0
	v_cmp_ne_u16_sdwa s[4:5], v34, v55 src0_sel:BYTE_0 src1_sel:DWORD
	v_pk_mov_b32 v[32:33], v[28:29], v[28:29] op_sel:[0,1]
	s_and_saveexec_b64 s[24:25], s[4:5]
	s_cbranch_execz .LBB227_472
; %bb.467:                              ;   in Loop: Header=BB227_428 Depth=1
	v_bfrev_b32_e32 v32, 1
	v_cmp_ne_u16_sdwa s[4:5], v34, s7 src0_sel:BYTE_0 src1_sel:DWORD
	v_mov_b32_e32 v33, 0
	s_and_saveexec_b64 s[26:27], s[4:5]
	s_cbranch_execz .LBB227_471
; %bb.468:                              ;   in Loop: Header=BB227_428 Depth=1
	v_bfe_u32 v5, v4, 16, 7
	v_mov_b32_e32 v32, 0x7f800001
	v_cmp_ne_u32_e64 s[4:5], s15, v5
	v_mov_b32_e32 v33, 0
	s_and_saveexec_b64 s[28:29], s[4:5]
	s_cbranch_execz .LBB227_470
; %bb.469:                              ;   in Loop: Header=BB227_428 Depth=1
	v_and_b32_e32 v35, 7, v34
	v_ffbh_u32_e32 v32, v35
	v_min_u32_e32 v39, 32, v32
	v_subrev_u32_e32 v32, 28, v39
	v_lshlrev_b64 v[32:33], v32, v[34:35]
	v_lshrrev_b32_e32 v38, 3, v5
	v_sub_u32_e32 v33, 29, v39
	v_and_b32_e32 v32, 7, v32
	v_cmp_gt_u32_e64 s[4:5], 8, v5
	v_cndmask_b32_e64 v5, v38, v33, s[4:5]
	v_cndmask_b32_e64 v32, v35, v32, s[4:5]
	v_lshlrev_b32_e32 v32, 20, v32
	v_and_b32_sdwa v33, sext(v34), s11 dst_sel:DWORD dst_unused:UNUSED_PAD src0_sel:BYTE_0 src1_sel:DWORD
	v_lshl_add_u32 v5, v5, 23, v62
	v_or3_b32 v54, v33, v5, v32
	v_pk_mov_b32 v[32:33], v[54:55], v[54:55] op_sel:[0,1]
.LBB227_470:                            ;   in Loop: Header=BB227_428 Depth=1
	s_or_b64 exec, exec, s[28:29]
.LBB227_471:                            ;   in Loop: Header=BB227_428 Depth=1
	s_or_b64 exec, exec, s[26:27]
.LBB227_472:                            ;   in Loop: Header=BB227_428 Depth=1
	s_or_b64 exec, exec, s[24:25]
	v_cmp_lt_u32_e64 s[4:5], s30, v4
	s_and_saveexec_b64 s[24:25], s[4:5]
	s_cbranch_execz .LBB227_478
; %bb.473:                              ;   in Loop: Header=BB227_428 Depth=1
	v_cmp_ne_u32_sdwa s[4:5], v4, s7 src0_sel:BYTE_3 src1_sel:DWORD
	v_pk_mov_b32 v[28:29], s[10:11], s[10:11] op_sel:[0,1]
	s_and_saveexec_b64 s[26:27], s[4:5]
	s_cbranch_execz .LBB227_477
; %bb.474:                              ;   in Loop: Header=BB227_428 Depth=1
	v_bfe_u32 v5, v4, 24, 7
	s_mov_b32 s22, s10
	v_cmp_ne_u32_e64 s[4:5], s15, v5
	v_pk_mov_b32 v[28:29], s[22:23], s[22:23] op_sel:[0,1]
	s_and_saveexec_b64 s[28:29], s[4:5]
	s_cbranch_execz .LBB227_476
; %bb.475:                              ;   in Loop: Header=BB227_428 Depth=1
	v_mov_b32_e32 v6, 7
	v_and_b32_sdwa v54, v4, v6 dst_sel:DWORD dst_unused:UNUSED_PAD src0_sel:BYTE_3 src1_sel:DWORD
	v_ffbh_u32_e32 v28, v54
	v_min_u32_e32 v35, 32, v28
	v_subrev_u32_e32 v28, 28, v35
	v_lshlrev_b64 v[28:29], v28, v[54:55]
	v_lshrrev_b32_e32 v34, 3, v5
	v_sub_u32_e32 v29, 29, v35
	v_cmp_gt_u32_e64 s[4:5], 8, v5
	v_and_b32_e32 v28, 7, v28
	v_cndmask_b32_e64 v5, v34, v29, s[4:5]
	v_mov_b32_e32 v6, 24
	v_cndmask_b32_e64 v28, v54, v28, s[4:5]
	v_lshlrev_b32_sdwa v4, v6, v4 dst_sel:DWORD dst_unused:UNUSED_PAD src0_sel:DWORD src1_sel:BYTE_3
	v_lshl_add_u32 v5, v5, 23, v62
	v_and_or_b32 v4, v4, s11, v5
	v_lshlrev_b32_e32 v5, 20, v28
	v_or_b32_e32 v29, v4, v5
	v_mov_b32_e32 v28, v55
.LBB227_476:                            ;   in Loop: Header=BB227_428 Depth=1
	s_or_b64 exec, exec, s[28:29]
.LBB227_477:                            ;   in Loop: Header=BB227_428 Depth=1
	s_or_b64 exec, exec, s[26:27]
.LBB227_478:                            ;   in Loop: Header=BB227_428 Depth=1
	s_or_b64 exec, exec, s[24:25]
	v_or_b32_e32 v5, v31, v11
	v_or_b32_e32 v4, v30, v10
	v_pk_mul_f32 v[4:5], v[26:27], v[4:5]
	v_accvgpr_write_b32 a7, v5
	v_accvgpr_write_b32 a6, v4
	v_or_b32_e32 v5, v29, v33
	v_or_b32_e32 v4, v28, v32
	v_pk_mul_f32 v[4:5], v[26:27], v[4:5]
	v_accvgpr_write_b32 a11, v5
	v_accvgpr_write_b32 a10, v4
	s_and_saveexec_b64 s[24:25], vcc
	s_cbranch_execz .LBB227_480
; %bb.479:                              ;   in Loop: Header=BB227_428 Depth=1
	v_accvgpr_read_b32 v4, a13
	v_accvgpr_read_b32 v11, a7
	v_cmp_lt_i32_e64 s[4:5], v7, v4
	v_accvgpr_read_b32 v10, a6
	v_accvgpr_read_b32 v5, a17
	v_cndmask_b32_e64 v10, 0, v10, s[4:5]
	v_cmp_lt_i32_e64 s[4:5], v5, v4
	v_cndmask_b32_e64 v11, 0, v11, s[4:5]
	v_accvgpr_write_b32 a6, v10
	v_accvgpr_read_b32 v5, a9
	v_accvgpr_write_b32 a7, v11
	v_cmp_lt_i32_e64 s[4:5], v5, v4
	v_accvgpr_read_b32 v10, a10
	v_accvgpr_read_b32 v11, a11
	v_cndmask_b32_e64 v10, 0, v10, s[4:5]
	v_cmp_lt_i32_e64 s[4:5], v36, v4
	v_cndmask_b32_e64 v11, 0, v11, s[4:5]
	v_accvgpr_write_b32 a10, v10
	v_accvgpr_write_b32 a11, v11
.LBB227_480:                            ;   in Loop: Header=BB227_428 Depth=1
	s_or_b64 exec, exec, s[24:25]
	flat_load_dword v4, v[50:51] offset:512
	v_pk_mov_b32 v[30:31], 0, 0
	v_pk_mov_b32 v[10:11], v[30:31], v[30:31] op_sel:[0,1]
	s_waitcnt vmcnt(0) lgkmcnt(0)
	v_cmp_ne_u16_sdwa s[4:5], v4, v55 src0_sel:BYTE_0 src1_sel:DWORD
	s_and_saveexec_b64 s[24:25], s[4:5]
	s_cbranch_execz .LBB227_486
; %bb.481:                              ;   in Loop: Header=BB227_428 Depth=1
	v_bfrev_b32_e32 v10, 1
	v_cmp_ne_u16_sdwa s[4:5], v4, s7 src0_sel:BYTE_0 src1_sel:DWORD
	v_mov_b32_e32 v11, 0
	s_and_saveexec_b64 s[26:27], s[4:5]
	s_cbranch_execz .LBB227_485
; %bb.482:                              ;   in Loop: Header=BB227_428 Depth=1
	v_and_b32_e32 v5, 0x7f, v4
	v_mov_b32_e32 v10, 0x7f800001
	v_cmp_ne_u32_e64 s[4:5], s15, v5
	v_mov_b32_e32 v11, 0
	s_and_saveexec_b64 s[28:29], s[4:5]
	s_cbranch_execz .LBB227_484
; %bb.483:                              ;   in Loop: Header=BB227_428 Depth=1
	v_and_b32_e32 v28, 7, v4
	v_ffbh_u32_e32 v10, v28
	v_min_u32_e32 v32, 32, v10
	v_subrev_u32_e32 v10, 28, v32
	v_lshlrev_b64 v[10:11], v10, v[4:5]
	v_lshrrev_b32_e32 v29, 3, v5
	v_sub_u32_e32 v11, 29, v32
	v_and_b32_e32 v10, 7, v10
	v_cmp_gt_u32_e64 s[4:5], 8, v5
	v_cndmask_b32_e64 v5, v29, v11, s[4:5]
	v_cndmask_b32_e64 v10, v28, v10, s[4:5]
	v_lshlrev_b32_e32 v10, 20, v10
	v_and_b32_sdwa v11, sext(v4), s11 dst_sel:DWORD dst_unused:UNUSED_PAD src0_sel:BYTE_0 src1_sel:DWORD
	v_lshl_add_u32 v5, v5, 23, v62
	v_or3_b32 v54, v11, v5, v10
	v_pk_mov_b32 v[10:11], v[54:55], v[54:55] op_sel:[0,1]
.LBB227_484:                            ;   in Loop: Header=BB227_428 Depth=1
	s_or_b64 exec, exec, s[28:29]
.LBB227_485:                            ;   in Loop: Header=BB227_428 Depth=1
	s_or_b64 exec, exec, s[26:27]
.LBB227_486:                            ;   in Loop: Header=BB227_428 Depth=1
	s_or_b64 exec, exec, s[24:25]
	v_cmp_ne_u16_sdwa s[4:5], v4, v55 src0_sel:BYTE_1 src1_sel:DWORD
	s_and_saveexec_b64 s[24:25], s[4:5]
	s_cbranch_execz .LBB227_492
; %bb.487:                              ;   in Loop: Header=BB227_428 Depth=1
	v_cmp_ne_u16_sdwa s[4:5], v4, s7 src0_sel:BYTE_1 src1_sel:DWORD
	v_pk_mov_b32 v[30:31], s[10:11], s[10:11] op_sel:[0,1]
	s_and_saveexec_b64 s[26:27], s[4:5]
	s_cbranch_execz .LBB227_491
; %bb.488:                              ;   in Loop: Header=BB227_428 Depth=1
	v_and_b32_sdwa v5, v4, s15 dst_sel:DWORD dst_unused:UNUSED_PAD src0_sel:BYTE_1 src1_sel:DWORD
	s_mov_b32 s22, s10
	v_cmp_ne_u32_e64 s[4:5], s15, v5
	v_pk_mov_b32 v[30:31], s[22:23], s[22:23] op_sel:[0,1]
	s_and_saveexec_b64 s[28:29], s[4:5]
	s_cbranch_execz .LBB227_490
; %bb.489:                              ;   in Loop: Header=BB227_428 Depth=1
	v_mov_b32_e32 v6, 7
	v_and_b32_sdwa v54, v4, v6 dst_sel:DWORD dst_unused:UNUSED_PAD src0_sel:BYTE_1 src1_sel:DWORD
	v_ffbh_u32_e32 v28, v54
	v_min_u32_e32 v31, 32, v28
	v_subrev_u32_e32 v28, 28, v31
	v_lshlrev_b64 v[28:29], v28, v[54:55]
	v_lshrrev_b32_e32 v30, 3, v5
	v_sub_u32_e32 v29, 29, v31
	v_cmp_gt_u32_e64 s[4:5], 8, v5
	v_and_b32_e32 v28, 7, v28
	v_cndmask_b32_e64 v5, v30, v29, s[4:5]
	v_cndmask_b32_e64 v28, v54, v28, s[4:5]
	v_lshlrev_b32_e32 v29, 16, v4
	v_lshl_add_u32 v5, v5, 23, v62
	v_and_or_b32 v5, v29, s11, v5
	v_lshlrev_b32_e32 v28, 20, v28
	v_or_b32_e32 v31, v5, v28
	v_mov_b32_e32 v30, v55
.LBB227_490:                            ;   in Loop: Header=BB227_428 Depth=1
	s_or_b64 exec, exec, s[28:29]
.LBB227_491:                            ;   in Loop: Header=BB227_428 Depth=1
	s_or_b64 exec, exec, s[26:27]
.LBB227_492:                            ;   in Loop: Header=BB227_428 Depth=1
	s_or_b64 exec, exec, s[24:25]
	v_lshrrev_b32_e32 v34, 16, v4
	v_pk_mov_b32 v[28:29], 0, 0
	v_cmp_ne_u16_sdwa s[4:5], v34, v55 src0_sel:BYTE_0 src1_sel:DWORD
	v_pk_mov_b32 v[32:33], v[28:29], v[28:29] op_sel:[0,1]
	s_and_saveexec_b64 s[24:25], s[4:5]
	s_cbranch_execz .LBB227_498
; %bb.493:                              ;   in Loop: Header=BB227_428 Depth=1
	v_bfrev_b32_e32 v32, 1
	v_cmp_ne_u16_sdwa s[4:5], v34, s7 src0_sel:BYTE_0 src1_sel:DWORD
	v_mov_b32_e32 v33, 0
	s_and_saveexec_b64 s[26:27], s[4:5]
	s_cbranch_execz .LBB227_497
; %bb.494:                              ;   in Loop: Header=BB227_428 Depth=1
	v_bfe_u32 v5, v4, 16, 7
	v_mov_b32_e32 v32, 0x7f800001
	v_cmp_ne_u32_e64 s[4:5], s15, v5
	v_mov_b32_e32 v33, 0
	s_and_saveexec_b64 s[28:29], s[4:5]
	s_cbranch_execz .LBB227_496
; %bb.495:                              ;   in Loop: Header=BB227_428 Depth=1
	v_and_b32_e32 v35, 7, v34
	v_ffbh_u32_e32 v32, v35
	v_min_u32_e32 v39, 32, v32
	v_subrev_u32_e32 v32, 28, v39
	v_lshlrev_b64 v[32:33], v32, v[34:35]
	v_lshrrev_b32_e32 v38, 3, v5
	v_sub_u32_e32 v33, 29, v39
	v_and_b32_e32 v32, 7, v32
	v_cmp_gt_u32_e64 s[4:5], 8, v5
	v_cndmask_b32_e64 v5, v38, v33, s[4:5]
	v_cndmask_b32_e64 v32, v35, v32, s[4:5]
	v_lshlrev_b32_e32 v32, 20, v32
	v_and_b32_sdwa v33, sext(v34), s11 dst_sel:DWORD dst_unused:UNUSED_PAD src0_sel:BYTE_0 src1_sel:DWORD
	v_lshl_add_u32 v5, v5, 23, v62
	v_or3_b32 v54, v33, v5, v32
	v_pk_mov_b32 v[32:33], v[54:55], v[54:55] op_sel:[0,1]
.LBB227_496:                            ;   in Loop: Header=BB227_428 Depth=1
	s_or_b64 exec, exec, s[28:29]
.LBB227_497:                            ;   in Loop: Header=BB227_428 Depth=1
	s_or_b64 exec, exec, s[26:27]
.LBB227_498:                            ;   in Loop: Header=BB227_428 Depth=1
	s_or_b64 exec, exec, s[24:25]
	v_cmp_lt_u32_e64 s[4:5], s30, v4
	s_and_saveexec_b64 s[24:25], s[4:5]
	s_cbranch_execz .LBB227_504
; %bb.499:                              ;   in Loop: Header=BB227_428 Depth=1
	v_cmp_ne_u32_sdwa s[4:5], v4, s7 src0_sel:BYTE_3 src1_sel:DWORD
	v_pk_mov_b32 v[28:29], s[10:11], s[10:11] op_sel:[0,1]
	s_and_saveexec_b64 s[26:27], s[4:5]
	s_cbranch_execz .LBB227_503
; %bb.500:                              ;   in Loop: Header=BB227_428 Depth=1
	v_bfe_u32 v5, v4, 24, 7
	s_mov_b32 s22, s10
	v_cmp_ne_u32_e64 s[4:5], s15, v5
	v_pk_mov_b32 v[28:29], s[22:23], s[22:23] op_sel:[0,1]
	s_and_saveexec_b64 s[28:29], s[4:5]
	s_cbranch_execz .LBB227_502
; %bb.501:                              ;   in Loop: Header=BB227_428 Depth=1
	v_mov_b32_e32 v6, 7
	v_and_b32_sdwa v54, v4, v6 dst_sel:DWORD dst_unused:UNUSED_PAD src0_sel:BYTE_3 src1_sel:DWORD
	v_ffbh_u32_e32 v28, v54
	v_min_u32_e32 v35, 32, v28
	v_subrev_u32_e32 v28, 28, v35
	v_lshlrev_b64 v[28:29], v28, v[54:55]
	v_lshrrev_b32_e32 v34, 3, v5
	v_sub_u32_e32 v29, 29, v35
	v_cmp_gt_u32_e64 s[4:5], 8, v5
	v_and_b32_e32 v28, 7, v28
	v_cndmask_b32_e64 v5, v34, v29, s[4:5]
	v_mov_b32_e32 v6, 24
	v_cndmask_b32_e64 v28, v54, v28, s[4:5]
	v_lshlrev_b32_sdwa v4, v6, v4 dst_sel:DWORD dst_unused:UNUSED_PAD src0_sel:DWORD src1_sel:BYTE_3
	v_lshl_add_u32 v5, v5, 23, v62
	v_and_or_b32 v4, v4, s11, v5
	v_lshlrev_b32_e32 v5, 20, v28
	v_or_b32_e32 v29, v4, v5
	v_mov_b32_e32 v28, v55
.LBB227_502:                            ;   in Loop: Header=BB227_428 Depth=1
	s_or_b64 exec, exec, s[28:29]
.LBB227_503:                            ;   in Loop: Header=BB227_428 Depth=1
	s_or_b64 exec, exec, s[26:27]
.LBB227_504:                            ;   in Loop: Header=BB227_428 Depth=1
	s_or_b64 exec, exec, s[24:25]
	v_or_b32_e32 v5, v31, v11
	v_or_b32_e32 v4, v30, v10
	v_pk_mul_f32 v[4:5], v[26:27], v[4:5]
	v_accvgpr_write_b32 a31, v5
	v_accvgpr_write_b32 a30, v4
	v_or_b32_e32 v5, v29, v33
	v_or_b32_e32 v4, v28, v32
	v_pk_mul_f32 v[4:5], v[26:27], v[4:5]
	v_accvgpr_write_b32 a33, v5
	v_accvgpr_write_b32 a32, v4
	s_and_saveexec_b64 s[24:25], vcc
	s_cbranch_execz .LBB227_506
; %bb.505:                              ;   in Loop: Header=BB227_428 Depth=1
	v_accvgpr_read_b32 v4, a13
	v_cmp_lt_i32_e64 s[4:5], v7, v4
	v_accvgpr_read_b32 v10, a30
	v_accvgpr_read_b32 v5, a17
	;; [unrolled: 1-line block ×3, first 2 shown]
	v_cndmask_b32_e64 v10, 0, v10, s[4:5]
	v_cmp_lt_i32_e64 s[4:5], v5, v4
	v_cndmask_b32_e64 v11, 0, v11, s[4:5]
	v_accvgpr_write_b32 a31, v11
	v_accvgpr_read_b32 v5, a9
	v_accvgpr_write_b32 a30, v10
	v_cmp_lt_i32_e64 s[4:5], v5, v4
	v_accvgpr_read_b32 v10, a32
	v_accvgpr_read_b32 v11, a33
	v_cndmask_b32_e64 v10, 0, v10, s[4:5]
	v_cmp_lt_i32_e64 s[4:5], v36, v4
	v_cndmask_b32_e64 v11, 0, v11, s[4:5]
	v_accvgpr_write_b32 a33, v11
	v_accvgpr_write_b32 a32, v10
.LBB227_506:                            ;   in Loop: Header=BB227_428 Depth=1
	s_or_b64 exec, exec, s[24:25]
	flat_load_dword v4, v[50:51] offset:768
	v_pk_mov_b32 v[30:31], 0, 0
	v_pk_mov_b32 v[10:11], v[30:31], v[30:31] op_sel:[0,1]
	s_waitcnt vmcnt(0) lgkmcnt(0)
	v_cmp_ne_u16_sdwa s[4:5], v4, v55 src0_sel:BYTE_0 src1_sel:DWORD
	s_and_saveexec_b64 s[24:25], s[4:5]
	s_cbranch_execz .LBB227_512
; %bb.507:                              ;   in Loop: Header=BB227_428 Depth=1
	v_bfrev_b32_e32 v10, 1
	v_cmp_ne_u16_sdwa s[4:5], v4, s7 src0_sel:BYTE_0 src1_sel:DWORD
	v_mov_b32_e32 v11, 0
	s_and_saveexec_b64 s[26:27], s[4:5]
	s_cbranch_execz .LBB227_511
; %bb.508:                              ;   in Loop: Header=BB227_428 Depth=1
	v_and_b32_e32 v5, 0x7f, v4
	v_mov_b32_e32 v10, 0x7f800001
	v_cmp_ne_u32_e64 s[4:5], s15, v5
	v_mov_b32_e32 v11, 0
	s_and_saveexec_b64 s[28:29], s[4:5]
	s_cbranch_execz .LBB227_510
; %bb.509:                              ;   in Loop: Header=BB227_428 Depth=1
	v_and_b32_e32 v28, 7, v4
	v_ffbh_u32_e32 v10, v28
	v_min_u32_e32 v32, 32, v10
	v_subrev_u32_e32 v10, 28, v32
	v_lshlrev_b64 v[10:11], v10, v[4:5]
	v_lshrrev_b32_e32 v29, 3, v5
	v_sub_u32_e32 v11, 29, v32
	v_and_b32_e32 v10, 7, v10
	v_cmp_gt_u32_e64 s[4:5], 8, v5
	v_cndmask_b32_e64 v5, v29, v11, s[4:5]
	v_cndmask_b32_e64 v10, v28, v10, s[4:5]
	v_lshlrev_b32_e32 v10, 20, v10
	v_and_b32_sdwa v11, sext(v4), s11 dst_sel:DWORD dst_unused:UNUSED_PAD src0_sel:BYTE_0 src1_sel:DWORD
	v_lshl_add_u32 v5, v5, 23, v62
	v_or3_b32 v54, v11, v5, v10
	v_pk_mov_b32 v[10:11], v[54:55], v[54:55] op_sel:[0,1]
.LBB227_510:                            ;   in Loop: Header=BB227_428 Depth=1
	s_or_b64 exec, exec, s[28:29]
.LBB227_511:                            ;   in Loop: Header=BB227_428 Depth=1
	s_or_b64 exec, exec, s[26:27]
.LBB227_512:                            ;   in Loop: Header=BB227_428 Depth=1
	s_or_b64 exec, exec, s[24:25]
	v_cmp_ne_u16_sdwa s[4:5], v4, v55 src0_sel:BYTE_1 src1_sel:DWORD
	s_and_saveexec_b64 s[24:25], s[4:5]
	s_cbranch_execz .LBB227_518
; %bb.513:                              ;   in Loop: Header=BB227_428 Depth=1
	v_cmp_ne_u16_sdwa s[4:5], v4, s7 src0_sel:BYTE_1 src1_sel:DWORD
	v_pk_mov_b32 v[30:31], s[10:11], s[10:11] op_sel:[0,1]
	s_and_saveexec_b64 s[26:27], s[4:5]
	s_cbranch_execz .LBB227_517
; %bb.514:                              ;   in Loop: Header=BB227_428 Depth=1
	v_and_b32_sdwa v5, v4, s15 dst_sel:DWORD dst_unused:UNUSED_PAD src0_sel:BYTE_1 src1_sel:DWORD
	s_mov_b32 s22, s10
	v_cmp_ne_u32_e64 s[4:5], s15, v5
	v_pk_mov_b32 v[30:31], s[22:23], s[22:23] op_sel:[0,1]
	s_and_saveexec_b64 s[28:29], s[4:5]
	s_cbranch_execz .LBB227_516
; %bb.515:                              ;   in Loop: Header=BB227_428 Depth=1
	v_mov_b32_e32 v6, 7
	v_and_b32_sdwa v54, v4, v6 dst_sel:DWORD dst_unused:UNUSED_PAD src0_sel:BYTE_1 src1_sel:DWORD
	v_ffbh_u32_e32 v28, v54
	v_min_u32_e32 v31, 32, v28
	v_subrev_u32_e32 v28, 28, v31
	v_lshlrev_b64 v[28:29], v28, v[54:55]
	v_lshrrev_b32_e32 v30, 3, v5
	v_sub_u32_e32 v29, 29, v31
	v_cmp_gt_u32_e64 s[4:5], 8, v5
	v_and_b32_e32 v28, 7, v28
	v_cndmask_b32_e64 v5, v30, v29, s[4:5]
	v_cndmask_b32_e64 v28, v54, v28, s[4:5]
	v_lshlrev_b32_e32 v29, 16, v4
	v_lshl_add_u32 v5, v5, 23, v62
	v_and_or_b32 v5, v29, s11, v5
	v_lshlrev_b32_e32 v28, 20, v28
	v_or_b32_e32 v31, v5, v28
	v_mov_b32_e32 v30, v55
.LBB227_516:                            ;   in Loop: Header=BB227_428 Depth=1
	s_or_b64 exec, exec, s[28:29]
.LBB227_517:                            ;   in Loop: Header=BB227_428 Depth=1
	s_or_b64 exec, exec, s[26:27]
.LBB227_518:                            ;   in Loop: Header=BB227_428 Depth=1
	s_or_b64 exec, exec, s[24:25]
	v_lshrrev_b32_e32 v34, 16, v4
	v_pk_mov_b32 v[28:29], 0, 0
	v_cmp_ne_u16_sdwa s[4:5], v34, v55 src0_sel:BYTE_0 src1_sel:DWORD
	v_pk_mov_b32 v[32:33], v[28:29], v[28:29] op_sel:[0,1]
	s_and_saveexec_b64 s[24:25], s[4:5]
	s_cbranch_execz .LBB227_524
; %bb.519:                              ;   in Loop: Header=BB227_428 Depth=1
	v_bfrev_b32_e32 v32, 1
	v_cmp_ne_u16_sdwa s[4:5], v34, s7 src0_sel:BYTE_0 src1_sel:DWORD
	v_mov_b32_e32 v33, 0
	s_and_saveexec_b64 s[26:27], s[4:5]
	s_cbranch_execz .LBB227_523
; %bb.520:                              ;   in Loop: Header=BB227_428 Depth=1
	v_bfe_u32 v5, v4, 16, 7
	v_mov_b32_e32 v32, 0x7f800001
	v_cmp_ne_u32_e64 s[4:5], s15, v5
	v_mov_b32_e32 v33, 0
	s_and_saveexec_b64 s[28:29], s[4:5]
	s_cbranch_execz .LBB227_522
; %bb.521:                              ;   in Loop: Header=BB227_428 Depth=1
	v_and_b32_e32 v35, 7, v34
	v_ffbh_u32_e32 v32, v35
	v_min_u32_e32 v39, 32, v32
	v_subrev_u32_e32 v32, 28, v39
	v_lshlrev_b64 v[32:33], v32, v[34:35]
	v_lshrrev_b32_e32 v38, 3, v5
	v_sub_u32_e32 v33, 29, v39
	v_and_b32_e32 v32, 7, v32
	v_cmp_gt_u32_e64 s[4:5], 8, v5
	v_cndmask_b32_e64 v5, v38, v33, s[4:5]
	v_cndmask_b32_e64 v32, v35, v32, s[4:5]
	v_lshlrev_b32_e32 v32, 20, v32
	v_and_b32_sdwa v33, sext(v34), s11 dst_sel:DWORD dst_unused:UNUSED_PAD src0_sel:BYTE_0 src1_sel:DWORD
	v_lshl_add_u32 v5, v5, 23, v62
	v_or3_b32 v54, v33, v5, v32
	v_pk_mov_b32 v[32:33], v[54:55], v[54:55] op_sel:[0,1]
.LBB227_522:                            ;   in Loop: Header=BB227_428 Depth=1
	s_or_b64 exec, exec, s[28:29]
.LBB227_523:                            ;   in Loop: Header=BB227_428 Depth=1
	s_or_b64 exec, exec, s[26:27]
.LBB227_524:                            ;   in Loop: Header=BB227_428 Depth=1
	s_or_b64 exec, exec, s[24:25]
	v_cmp_lt_u32_e64 s[4:5], s30, v4
	s_and_saveexec_b64 s[24:25], s[4:5]
	s_cbranch_execz .LBB227_530
; %bb.525:                              ;   in Loop: Header=BB227_428 Depth=1
	v_cmp_ne_u32_sdwa s[4:5], v4, s7 src0_sel:BYTE_3 src1_sel:DWORD
	v_pk_mov_b32 v[28:29], s[10:11], s[10:11] op_sel:[0,1]
	s_and_saveexec_b64 s[26:27], s[4:5]
	s_cbranch_execz .LBB227_529
; %bb.526:                              ;   in Loop: Header=BB227_428 Depth=1
	v_bfe_u32 v5, v4, 24, 7
	s_mov_b32 s22, s10
	v_cmp_ne_u32_e64 s[4:5], s15, v5
	v_pk_mov_b32 v[28:29], s[22:23], s[22:23] op_sel:[0,1]
	s_and_saveexec_b64 s[28:29], s[4:5]
	s_cbranch_execz .LBB227_528
; %bb.527:                              ;   in Loop: Header=BB227_428 Depth=1
	v_mov_b32_e32 v6, 7
	v_and_b32_sdwa v54, v4, v6 dst_sel:DWORD dst_unused:UNUSED_PAD src0_sel:BYTE_3 src1_sel:DWORD
	v_ffbh_u32_e32 v28, v54
	v_min_u32_e32 v35, 32, v28
	v_subrev_u32_e32 v28, 28, v35
	v_lshlrev_b64 v[28:29], v28, v[54:55]
	v_lshrrev_b32_e32 v34, 3, v5
	v_sub_u32_e32 v29, 29, v35
	v_cmp_gt_u32_e64 s[4:5], 8, v5
	v_and_b32_e32 v28, 7, v28
	v_cndmask_b32_e64 v5, v34, v29, s[4:5]
	v_mov_b32_e32 v6, 24
	v_cndmask_b32_e64 v28, v54, v28, s[4:5]
	v_lshlrev_b32_sdwa v4, v6, v4 dst_sel:DWORD dst_unused:UNUSED_PAD src0_sel:DWORD src1_sel:BYTE_3
	v_lshl_add_u32 v5, v5, 23, v62
	v_and_or_b32 v4, v4, s11, v5
	v_lshlrev_b32_e32 v5, 20, v28
	v_or_b32_e32 v29, v4, v5
	v_mov_b32_e32 v28, v55
.LBB227_528:                            ;   in Loop: Header=BB227_428 Depth=1
	s_or_b64 exec, exec, s[28:29]
.LBB227_529:                            ;   in Loop: Header=BB227_428 Depth=1
	s_or_b64 exec, exec, s[26:27]
.LBB227_530:                            ;   in Loop: Header=BB227_428 Depth=1
	s_or_b64 exec, exec, s[24:25]
	v_or_b32_e32 v5, v31, v11
	v_or_b32_e32 v4, v30, v10
	v_pk_mul_f32 v[4:5], v[26:27], v[4:5]
	v_accvgpr_write_b32 a35, v5
	v_accvgpr_write_b32 a34, v4
	v_or_b32_e32 v5, v29, v33
	v_or_b32_e32 v4, v28, v32
	v_pk_mul_f32 v[4:5], v[26:27], v[4:5]
	v_accvgpr_write_b32 a37, v5
	v_accvgpr_write_b32 a36, v4
	s_and_saveexec_b64 s[24:25], vcc
	s_cbranch_execz .LBB227_532
; %bb.531:                              ;   in Loop: Header=BB227_428 Depth=1
	v_accvgpr_read_b32 v4, a13
	v_cmp_lt_i32_e64 s[4:5], v7, v4
	v_accvgpr_read_b32 v10, a34
	v_accvgpr_read_b32 v5, a17
	;; [unrolled: 1-line block ×3, first 2 shown]
	v_cndmask_b32_e64 v10, 0, v10, s[4:5]
	v_cmp_lt_i32_e64 s[4:5], v5, v4
	v_cndmask_b32_e64 v11, 0, v11, s[4:5]
	v_accvgpr_write_b32 a35, v11
	v_accvgpr_read_b32 v5, a9
	v_accvgpr_write_b32 a34, v10
	v_cmp_lt_i32_e64 s[4:5], v5, v4
	v_accvgpr_read_b32 v10, a36
	v_accvgpr_read_b32 v11, a37
	v_cndmask_b32_e64 v10, 0, v10, s[4:5]
	v_cmp_lt_i32_e64 s[4:5], v36, v4
	v_cndmask_b32_e64 v11, 0, v11, s[4:5]
	v_accvgpr_write_b32 a37, v11
	v_accvgpr_write_b32 a36, v10
.LBB227_532:                            ;   in Loop: Header=BB227_428 Depth=1
	s_or_b64 exec, exec, s[24:25]
	flat_load_dword v4, v[50:51] offset:1024
	v_pk_mov_b32 v[30:31], 0, 0
	v_pk_mov_b32 v[10:11], v[30:31], v[30:31] op_sel:[0,1]
	s_waitcnt vmcnt(0) lgkmcnt(0)
	v_cmp_ne_u16_sdwa s[4:5], v4, v55 src0_sel:BYTE_0 src1_sel:DWORD
	s_and_saveexec_b64 s[24:25], s[4:5]
	s_cbranch_execz .LBB227_538
; %bb.533:                              ;   in Loop: Header=BB227_428 Depth=1
	v_bfrev_b32_e32 v10, 1
	v_cmp_ne_u16_sdwa s[4:5], v4, s7 src0_sel:BYTE_0 src1_sel:DWORD
	v_mov_b32_e32 v11, 0
	s_and_saveexec_b64 s[26:27], s[4:5]
	s_cbranch_execz .LBB227_537
; %bb.534:                              ;   in Loop: Header=BB227_428 Depth=1
	v_and_b32_e32 v5, 0x7f, v4
	v_mov_b32_e32 v10, 0x7f800001
	v_cmp_ne_u32_e64 s[4:5], s15, v5
	v_mov_b32_e32 v11, 0
	s_and_saveexec_b64 s[28:29], s[4:5]
	s_cbranch_execz .LBB227_536
; %bb.535:                              ;   in Loop: Header=BB227_428 Depth=1
	v_and_b32_e32 v28, 7, v4
	v_ffbh_u32_e32 v10, v28
	v_min_u32_e32 v32, 32, v10
	v_subrev_u32_e32 v10, 28, v32
	v_lshlrev_b64 v[10:11], v10, v[4:5]
	v_lshrrev_b32_e32 v29, 3, v5
	v_sub_u32_e32 v11, 29, v32
	v_and_b32_e32 v10, 7, v10
	v_cmp_gt_u32_e64 s[4:5], 8, v5
	v_cndmask_b32_e64 v5, v29, v11, s[4:5]
	v_cndmask_b32_e64 v10, v28, v10, s[4:5]
	v_lshlrev_b32_e32 v10, 20, v10
	v_and_b32_sdwa v11, sext(v4), s11 dst_sel:DWORD dst_unused:UNUSED_PAD src0_sel:BYTE_0 src1_sel:DWORD
	v_lshl_add_u32 v5, v5, 23, v62
	v_or3_b32 v54, v11, v5, v10
	v_pk_mov_b32 v[10:11], v[54:55], v[54:55] op_sel:[0,1]
.LBB227_536:                            ;   in Loop: Header=BB227_428 Depth=1
	s_or_b64 exec, exec, s[28:29]
.LBB227_537:                            ;   in Loop: Header=BB227_428 Depth=1
	s_or_b64 exec, exec, s[26:27]
.LBB227_538:                            ;   in Loop: Header=BB227_428 Depth=1
	s_or_b64 exec, exec, s[24:25]
	v_cmp_ne_u16_sdwa s[4:5], v4, v55 src0_sel:BYTE_1 src1_sel:DWORD
	s_and_saveexec_b64 s[24:25], s[4:5]
	s_cbranch_execz .LBB227_544
; %bb.539:                              ;   in Loop: Header=BB227_428 Depth=1
	v_cmp_ne_u16_sdwa s[4:5], v4, s7 src0_sel:BYTE_1 src1_sel:DWORD
	v_pk_mov_b32 v[30:31], s[10:11], s[10:11] op_sel:[0,1]
	s_and_saveexec_b64 s[26:27], s[4:5]
	s_cbranch_execz .LBB227_543
; %bb.540:                              ;   in Loop: Header=BB227_428 Depth=1
	v_and_b32_sdwa v5, v4, s15 dst_sel:DWORD dst_unused:UNUSED_PAD src0_sel:BYTE_1 src1_sel:DWORD
	s_mov_b32 s22, s10
	v_cmp_ne_u32_e64 s[4:5], s15, v5
	v_pk_mov_b32 v[30:31], s[22:23], s[22:23] op_sel:[0,1]
	s_and_saveexec_b64 s[28:29], s[4:5]
	s_cbranch_execz .LBB227_542
; %bb.541:                              ;   in Loop: Header=BB227_428 Depth=1
	v_mov_b32_e32 v6, 7
	v_and_b32_sdwa v54, v4, v6 dst_sel:DWORD dst_unused:UNUSED_PAD src0_sel:BYTE_1 src1_sel:DWORD
	v_ffbh_u32_e32 v28, v54
	v_min_u32_e32 v31, 32, v28
	v_subrev_u32_e32 v28, 28, v31
	v_lshlrev_b64 v[28:29], v28, v[54:55]
	v_lshrrev_b32_e32 v30, 3, v5
	v_sub_u32_e32 v29, 29, v31
	v_cmp_gt_u32_e64 s[4:5], 8, v5
	v_and_b32_e32 v28, 7, v28
	v_cndmask_b32_e64 v5, v30, v29, s[4:5]
	v_cndmask_b32_e64 v28, v54, v28, s[4:5]
	v_lshlrev_b32_e32 v29, 16, v4
	v_lshl_add_u32 v5, v5, 23, v62
	v_and_or_b32 v5, v29, s11, v5
	v_lshlrev_b32_e32 v28, 20, v28
	v_or_b32_e32 v31, v5, v28
	v_mov_b32_e32 v30, v55
.LBB227_542:                            ;   in Loop: Header=BB227_428 Depth=1
	s_or_b64 exec, exec, s[28:29]
.LBB227_543:                            ;   in Loop: Header=BB227_428 Depth=1
	s_or_b64 exec, exec, s[26:27]
.LBB227_544:                            ;   in Loop: Header=BB227_428 Depth=1
	s_or_b64 exec, exec, s[24:25]
	v_lshrrev_b32_e32 v34, 16, v4
	v_pk_mov_b32 v[28:29], 0, 0
	v_cmp_ne_u16_sdwa s[4:5], v34, v55 src0_sel:BYTE_0 src1_sel:DWORD
	v_pk_mov_b32 v[32:33], v[28:29], v[28:29] op_sel:[0,1]
	s_and_saveexec_b64 s[24:25], s[4:5]
	s_cbranch_execz .LBB227_550
; %bb.545:                              ;   in Loop: Header=BB227_428 Depth=1
	v_bfrev_b32_e32 v32, 1
	v_cmp_ne_u16_sdwa s[4:5], v34, s7 src0_sel:BYTE_0 src1_sel:DWORD
	v_mov_b32_e32 v33, 0
	s_and_saveexec_b64 s[26:27], s[4:5]
	s_cbranch_execz .LBB227_549
; %bb.546:                              ;   in Loop: Header=BB227_428 Depth=1
	v_bfe_u32 v5, v4, 16, 7
	v_mov_b32_e32 v32, 0x7f800001
	v_cmp_ne_u32_e64 s[4:5], s15, v5
	v_mov_b32_e32 v33, 0
	s_and_saveexec_b64 s[28:29], s[4:5]
	s_cbranch_execz .LBB227_548
; %bb.547:                              ;   in Loop: Header=BB227_428 Depth=1
	v_and_b32_e32 v35, 7, v34
	v_ffbh_u32_e32 v32, v35
	v_min_u32_e32 v39, 32, v32
	v_subrev_u32_e32 v32, 28, v39
	v_lshlrev_b64 v[32:33], v32, v[34:35]
	v_lshrrev_b32_e32 v38, 3, v5
	v_sub_u32_e32 v33, 29, v39
	v_and_b32_e32 v32, 7, v32
	v_cmp_gt_u32_e64 s[4:5], 8, v5
	v_cndmask_b32_e64 v5, v38, v33, s[4:5]
	v_cndmask_b32_e64 v32, v35, v32, s[4:5]
	v_lshlrev_b32_e32 v32, 20, v32
	v_and_b32_sdwa v33, sext(v34), s11 dst_sel:DWORD dst_unused:UNUSED_PAD src0_sel:BYTE_0 src1_sel:DWORD
	v_lshl_add_u32 v5, v5, 23, v62
	v_or3_b32 v54, v33, v5, v32
	v_pk_mov_b32 v[32:33], v[54:55], v[54:55] op_sel:[0,1]
.LBB227_548:                            ;   in Loop: Header=BB227_428 Depth=1
	s_or_b64 exec, exec, s[28:29]
.LBB227_549:                            ;   in Loop: Header=BB227_428 Depth=1
	s_or_b64 exec, exec, s[26:27]
.LBB227_550:                            ;   in Loop: Header=BB227_428 Depth=1
	s_or_b64 exec, exec, s[24:25]
	v_cmp_lt_u32_e64 s[4:5], s30, v4
	s_and_saveexec_b64 s[24:25], s[4:5]
	s_cbranch_execz .LBB227_556
; %bb.551:                              ;   in Loop: Header=BB227_428 Depth=1
	v_cmp_ne_u32_sdwa s[4:5], v4, s7 src0_sel:BYTE_3 src1_sel:DWORD
	v_pk_mov_b32 v[28:29], s[10:11], s[10:11] op_sel:[0,1]
	s_and_saveexec_b64 s[26:27], s[4:5]
	s_cbranch_execz .LBB227_555
; %bb.552:                              ;   in Loop: Header=BB227_428 Depth=1
	v_bfe_u32 v5, v4, 24, 7
	s_mov_b32 s22, s10
	v_cmp_ne_u32_e64 s[4:5], s15, v5
	v_pk_mov_b32 v[28:29], s[22:23], s[22:23] op_sel:[0,1]
	s_and_saveexec_b64 s[28:29], s[4:5]
	s_cbranch_execz .LBB227_554
; %bb.553:                              ;   in Loop: Header=BB227_428 Depth=1
	v_mov_b32_e32 v6, 7
	v_and_b32_sdwa v54, v4, v6 dst_sel:DWORD dst_unused:UNUSED_PAD src0_sel:BYTE_3 src1_sel:DWORD
	v_ffbh_u32_e32 v28, v54
	v_min_u32_e32 v35, 32, v28
	v_subrev_u32_e32 v28, 28, v35
	v_lshlrev_b64 v[28:29], v28, v[54:55]
	v_lshrrev_b32_e32 v34, 3, v5
	v_sub_u32_e32 v29, 29, v35
	v_cmp_gt_u32_e64 s[4:5], 8, v5
	v_and_b32_e32 v28, 7, v28
	v_cndmask_b32_e64 v5, v34, v29, s[4:5]
	v_mov_b32_e32 v6, 24
	v_cndmask_b32_e64 v28, v54, v28, s[4:5]
	v_lshlrev_b32_sdwa v4, v6, v4 dst_sel:DWORD dst_unused:UNUSED_PAD src0_sel:DWORD src1_sel:BYTE_3
	v_lshl_add_u32 v5, v5, 23, v62
	v_and_or_b32 v4, v4, s11, v5
	v_lshlrev_b32_e32 v5, 20, v28
	v_or_b32_e32 v29, v4, v5
	v_mov_b32_e32 v28, v55
.LBB227_554:                            ;   in Loop: Header=BB227_428 Depth=1
	s_or_b64 exec, exec, s[28:29]
.LBB227_555:                            ;   in Loop: Header=BB227_428 Depth=1
	s_or_b64 exec, exec, s[26:27]
.LBB227_556:                            ;   in Loop: Header=BB227_428 Depth=1
	s_or_b64 exec, exec, s[24:25]
	v_or_b32_e32 v5, v31, v11
	v_or_b32_e32 v4, v30, v10
	v_pk_mul_f32 v[4:5], v[26:27], v[4:5]
	v_accvgpr_write_b32 a39, v5
	v_accvgpr_write_b32 a38, v4
	v_or_b32_e32 v5, v29, v33
	v_or_b32_e32 v4, v28, v32
	v_pk_mul_f32 v[4:5], v[26:27], v[4:5]
	v_accvgpr_write_b32 a41, v5
	v_accvgpr_write_b32 a40, v4
	s_and_saveexec_b64 s[24:25], vcc
	s_cbranch_execz .LBB227_558
; %bb.557:                              ;   in Loop: Header=BB227_428 Depth=1
	v_accvgpr_read_b32 v4, a13
	v_cmp_lt_i32_e64 s[4:5], v7, v4
	v_accvgpr_read_b32 v10, a38
	v_accvgpr_read_b32 v5, a17
	;; [unrolled: 1-line block ×3, first 2 shown]
	v_cndmask_b32_e64 v10, 0, v10, s[4:5]
	v_cmp_lt_i32_e64 s[4:5], v5, v4
	v_cndmask_b32_e64 v11, 0, v11, s[4:5]
	v_accvgpr_write_b32 a39, v11
	v_accvgpr_read_b32 v5, a9
	v_accvgpr_write_b32 a38, v10
	v_cmp_lt_i32_e64 s[4:5], v5, v4
	v_accvgpr_read_b32 v10, a40
	v_accvgpr_read_b32 v11, a41
	v_cndmask_b32_e64 v10, 0, v10, s[4:5]
	v_cmp_lt_i32_e64 s[4:5], v36, v4
	v_cndmask_b32_e64 v11, 0, v11, s[4:5]
	v_accvgpr_write_b32 a41, v11
	v_accvgpr_write_b32 a40, v10
.LBB227_558:                            ;   in Loop: Header=BB227_428 Depth=1
	s_or_b64 exec, exec, s[24:25]
	flat_load_dword v4, v[50:51] offset:1280
	v_pk_mov_b32 v[30:31], 0, 0
	v_pk_mov_b32 v[10:11], v[30:31], v[30:31] op_sel:[0,1]
	s_waitcnt vmcnt(0) lgkmcnt(0)
	v_cmp_ne_u16_sdwa s[4:5], v4, v55 src0_sel:BYTE_0 src1_sel:DWORD
	s_and_saveexec_b64 s[24:25], s[4:5]
	s_cbranch_execz .LBB227_564
; %bb.559:                              ;   in Loop: Header=BB227_428 Depth=1
	v_bfrev_b32_e32 v10, 1
	v_cmp_ne_u16_sdwa s[4:5], v4, s7 src0_sel:BYTE_0 src1_sel:DWORD
	v_mov_b32_e32 v11, 0
	s_and_saveexec_b64 s[26:27], s[4:5]
	s_cbranch_execz .LBB227_563
; %bb.560:                              ;   in Loop: Header=BB227_428 Depth=1
	v_and_b32_e32 v5, 0x7f, v4
	v_mov_b32_e32 v10, 0x7f800001
	v_cmp_ne_u32_e64 s[4:5], s15, v5
	v_mov_b32_e32 v11, 0
	s_and_saveexec_b64 s[28:29], s[4:5]
	s_cbranch_execz .LBB227_562
; %bb.561:                              ;   in Loop: Header=BB227_428 Depth=1
	v_and_b32_e32 v28, 7, v4
	v_ffbh_u32_e32 v10, v28
	v_min_u32_e32 v32, 32, v10
	v_subrev_u32_e32 v10, 28, v32
	v_lshlrev_b64 v[10:11], v10, v[4:5]
	v_lshrrev_b32_e32 v29, 3, v5
	v_sub_u32_e32 v11, 29, v32
	v_and_b32_e32 v10, 7, v10
	v_cmp_gt_u32_e64 s[4:5], 8, v5
	v_cndmask_b32_e64 v5, v29, v11, s[4:5]
	v_cndmask_b32_e64 v10, v28, v10, s[4:5]
	v_lshlrev_b32_e32 v10, 20, v10
	v_and_b32_sdwa v11, sext(v4), s11 dst_sel:DWORD dst_unused:UNUSED_PAD src0_sel:BYTE_0 src1_sel:DWORD
	v_lshl_add_u32 v5, v5, 23, v62
	v_or3_b32 v54, v11, v5, v10
	v_pk_mov_b32 v[10:11], v[54:55], v[54:55] op_sel:[0,1]
.LBB227_562:                            ;   in Loop: Header=BB227_428 Depth=1
	s_or_b64 exec, exec, s[28:29]
.LBB227_563:                            ;   in Loop: Header=BB227_428 Depth=1
	s_or_b64 exec, exec, s[26:27]
.LBB227_564:                            ;   in Loop: Header=BB227_428 Depth=1
	s_or_b64 exec, exec, s[24:25]
	v_cmp_ne_u16_sdwa s[4:5], v4, v55 src0_sel:BYTE_1 src1_sel:DWORD
	s_and_saveexec_b64 s[24:25], s[4:5]
	s_cbranch_execz .LBB227_570
; %bb.565:                              ;   in Loop: Header=BB227_428 Depth=1
	v_cmp_ne_u16_sdwa s[4:5], v4, s7 src0_sel:BYTE_1 src1_sel:DWORD
	v_pk_mov_b32 v[30:31], s[10:11], s[10:11] op_sel:[0,1]
	s_and_saveexec_b64 s[26:27], s[4:5]
	s_cbranch_execz .LBB227_569
; %bb.566:                              ;   in Loop: Header=BB227_428 Depth=1
	v_and_b32_sdwa v5, v4, s15 dst_sel:DWORD dst_unused:UNUSED_PAD src0_sel:BYTE_1 src1_sel:DWORD
	s_mov_b32 s22, s10
	v_cmp_ne_u32_e64 s[4:5], s15, v5
	v_pk_mov_b32 v[30:31], s[22:23], s[22:23] op_sel:[0,1]
	s_and_saveexec_b64 s[28:29], s[4:5]
	s_cbranch_execz .LBB227_568
; %bb.567:                              ;   in Loop: Header=BB227_428 Depth=1
	v_mov_b32_e32 v6, 7
	v_and_b32_sdwa v54, v4, v6 dst_sel:DWORD dst_unused:UNUSED_PAD src0_sel:BYTE_1 src1_sel:DWORD
	v_ffbh_u32_e32 v28, v54
	v_min_u32_e32 v31, 32, v28
	v_subrev_u32_e32 v28, 28, v31
	v_lshlrev_b64 v[28:29], v28, v[54:55]
	v_lshrrev_b32_e32 v30, 3, v5
	v_sub_u32_e32 v29, 29, v31
	v_cmp_gt_u32_e64 s[4:5], 8, v5
	v_and_b32_e32 v28, 7, v28
	v_cndmask_b32_e64 v5, v30, v29, s[4:5]
	v_cndmask_b32_e64 v28, v54, v28, s[4:5]
	v_lshlrev_b32_e32 v29, 16, v4
	v_lshl_add_u32 v5, v5, 23, v62
	v_and_or_b32 v5, v29, s11, v5
	v_lshlrev_b32_e32 v28, 20, v28
	v_or_b32_e32 v31, v5, v28
	v_mov_b32_e32 v30, v55
.LBB227_568:                            ;   in Loop: Header=BB227_428 Depth=1
	s_or_b64 exec, exec, s[28:29]
.LBB227_569:                            ;   in Loop: Header=BB227_428 Depth=1
	s_or_b64 exec, exec, s[26:27]
.LBB227_570:                            ;   in Loop: Header=BB227_428 Depth=1
	s_or_b64 exec, exec, s[24:25]
	v_lshrrev_b32_e32 v34, 16, v4
	v_pk_mov_b32 v[28:29], 0, 0
	v_cmp_ne_u16_sdwa s[4:5], v34, v55 src0_sel:BYTE_0 src1_sel:DWORD
	v_pk_mov_b32 v[32:33], v[28:29], v[28:29] op_sel:[0,1]
	s_and_saveexec_b64 s[24:25], s[4:5]
	s_cbranch_execz .LBB227_576
; %bb.571:                              ;   in Loop: Header=BB227_428 Depth=1
	v_bfrev_b32_e32 v32, 1
	v_cmp_ne_u16_sdwa s[4:5], v34, s7 src0_sel:BYTE_0 src1_sel:DWORD
	v_mov_b32_e32 v33, 0
	s_and_saveexec_b64 s[26:27], s[4:5]
	s_cbranch_execz .LBB227_575
; %bb.572:                              ;   in Loop: Header=BB227_428 Depth=1
	v_bfe_u32 v5, v4, 16, 7
	v_mov_b32_e32 v32, 0x7f800001
	v_cmp_ne_u32_e64 s[4:5], s15, v5
	v_mov_b32_e32 v33, 0
	s_and_saveexec_b64 s[28:29], s[4:5]
	s_cbranch_execz .LBB227_574
; %bb.573:                              ;   in Loop: Header=BB227_428 Depth=1
	v_and_b32_e32 v35, 7, v34
	v_ffbh_u32_e32 v32, v35
	v_min_u32_e32 v39, 32, v32
	v_subrev_u32_e32 v32, 28, v39
	v_lshlrev_b64 v[32:33], v32, v[34:35]
	v_lshrrev_b32_e32 v38, 3, v5
	v_sub_u32_e32 v33, 29, v39
	v_and_b32_e32 v32, 7, v32
	v_cmp_gt_u32_e64 s[4:5], 8, v5
	v_cndmask_b32_e64 v5, v38, v33, s[4:5]
	v_cndmask_b32_e64 v32, v35, v32, s[4:5]
	v_lshlrev_b32_e32 v32, 20, v32
	v_and_b32_sdwa v33, sext(v34), s11 dst_sel:DWORD dst_unused:UNUSED_PAD src0_sel:BYTE_0 src1_sel:DWORD
	v_lshl_add_u32 v5, v5, 23, v62
	v_or3_b32 v54, v33, v5, v32
	v_pk_mov_b32 v[32:33], v[54:55], v[54:55] op_sel:[0,1]
.LBB227_574:                            ;   in Loop: Header=BB227_428 Depth=1
	s_or_b64 exec, exec, s[28:29]
.LBB227_575:                            ;   in Loop: Header=BB227_428 Depth=1
	s_or_b64 exec, exec, s[26:27]
.LBB227_576:                            ;   in Loop: Header=BB227_428 Depth=1
	s_or_b64 exec, exec, s[24:25]
	v_cmp_lt_u32_e64 s[4:5], s30, v4
	s_and_saveexec_b64 s[24:25], s[4:5]
	s_cbranch_execz .LBB227_582
; %bb.577:                              ;   in Loop: Header=BB227_428 Depth=1
	v_cmp_ne_u32_sdwa s[4:5], v4, s7 src0_sel:BYTE_3 src1_sel:DWORD
	v_pk_mov_b32 v[28:29], s[10:11], s[10:11] op_sel:[0,1]
	s_and_saveexec_b64 s[26:27], s[4:5]
	s_cbranch_execz .LBB227_581
; %bb.578:                              ;   in Loop: Header=BB227_428 Depth=1
	v_bfe_u32 v5, v4, 24, 7
	s_mov_b32 s22, s10
	v_cmp_ne_u32_e64 s[4:5], s15, v5
	v_pk_mov_b32 v[28:29], s[22:23], s[22:23] op_sel:[0,1]
	s_and_saveexec_b64 s[28:29], s[4:5]
	s_cbranch_execz .LBB227_580
; %bb.579:                              ;   in Loop: Header=BB227_428 Depth=1
	v_mov_b32_e32 v6, 7
	v_and_b32_sdwa v54, v4, v6 dst_sel:DWORD dst_unused:UNUSED_PAD src0_sel:BYTE_3 src1_sel:DWORD
	v_ffbh_u32_e32 v28, v54
	v_min_u32_e32 v35, 32, v28
	v_subrev_u32_e32 v28, 28, v35
	v_lshlrev_b64 v[28:29], v28, v[54:55]
	v_lshrrev_b32_e32 v34, 3, v5
	v_sub_u32_e32 v29, 29, v35
	v_cmp_gt_u32_e64 s[4:5], 8, v5
	v_and_b32_e32 v28, 7, v28
	v_cndmask_b32_e64 v5, v34, v29, s[4:5]
	v_mov_b32_e32 v6, 24
	v_cndmask_b32_e64 v28, v54, v28, s[4:5]
	v_lshlrev_b32_sdwa v4, v6, v4 dst_sel:DWORD dst_unused:UNUSED_PAD src0_sel:DWORD src1_sel:BYTE_3
	v_lshl_add_u32 v5, v5, 23, v62
	v_and_or_b32 v4, v4, s11, v5
	v_lshlrev_b32_e32 v5, 20, v28
	v_or_b32_e32 v29, v4, v5
	v_mov_b32_e32 v28, v55
.LBB227_580:                            ;   in Loop: Header=BB227_428 Depth=1
	s_or_b64 exec, exec, s[28:29]
.LBB227_581:                            ;   in Loop: Header=BB227_428 Depth=1
	s_or_b64 exec, exec, s[26:27]
.LBB227_582:                            ;   in Loop: Header=BB227_428 Depth=1
	s_or_b64 exec, exec, s[24:25]
	v_or_b32_e32 v5, v31, v11
	v_or_b32_e32 v4, v30, v10
	v_pk_mul_f32 v[4:5], v[26:27], v[4:5]
	v_accvgpr_write_b32 a43, v5
	v_accvgpr_write_b32 a42, v4
	v_or_b32_e32 v5, v29, v33
	v_or_b32_e32 v4, v28, v32
	v_pk_mul_f32 v[4:5], v[26:27], v[4:5]
	v_accvgpr_write_b32 a45, v5
	v_accvgpr_write_b32 a44, v4
	s_and_saveexec_b64 s[24:25], vcc
	s_cbranch_execz .LBB227_584
; %bb.583:                              ;   in Loop: Header=BB227_428 Depth=1
	v_accvgpr_read_b32 v4, a13
	v_cmp_lt_i32_e64 s[4:5], v7, v4
	v_accvgpr_read_b32 v10, a42
	v_accvgpr_read_b32 v5, a17
	v_accvgpr_read_b32 v11, a43
	v_cndmask_b32_e64 v10, 0, v10, s[4:5]
	v_cmp_lt_i32_e64 s[4:5], v5, v4
	v_cndmask_b32_e64 v11, 0, v11, s[4:5]
	v_accvgpr_write_b32 a43, v11
	v_accvgpr_read_b32 v5, a9
	v_accvgpr_write_b32 a42, v10
	v_cmp_lt_i32_e64 s[4:5], v5, v4
	v_accvgpr_read_b32 v10, a44
	v_accvgpr_read_b32 v11, a45
	v_cndmask_b32_e64 v10, 0, v10, s[4:5]
	v_cmp_lt_i32_e64 s[4:5], v36, v4
	v_cndmask_b32_e64 v11, 0, v11, s[4:5]
	v_accvgpr_write_b32 a45, v11
	v_accvgpr_write_b32 a44, v10
.LBB227_584:                            ;   in Loop: Header=BB227_428 Depth=1
	s_or_b64 exec, exec, s[24:25]
	flat_load_dword v4, v[50:51] offset:1536
	v_pk_mov_b32 v[30:31], 0, 0
	v_pk_mov_b32 v[10:11], v[30:31], v[30:31] op_sel:[0,1]
	s_waitcnt vmcnt(0) lgkmcnt(0)
	v_cmp_ne_u16_sdwa s[4:5], v4, v55 src0_sel:BYTE_0 src1_sel:DWORD
	s_and_saveexec_b64 s[24:25], s[4:5]
	s_cbranch_execz .LBB227_590
; %bb.585:                              ;   in Loop: Header=BB227_428 Depth=1
	v_bfrev_b32_e32 v10, 1
	v_cmp_ne_u16_sdwa s[4:5], v4, s7 src0_sel:BYTE_0 src1_sel:DWORD
	v_mov_b32_e32 v11, 0
	s_and_saveexec_b64 s[26:27], s[4:5]
	s_cbranch_execz .LBB227_589
; %bb.586:                              ;   in Loop: Header=BB227_428 Depth=1
	v_and_b32_e32 v5, 0x7f, v4
	v_mov_b32_e32 v10, 0x7f800001
	v_cmp_ne_u32_e64 s[4:5], s15, v5
	v_mov_b32_e32 v11, 0
	s_and_saveexec_b64 s[28:29], s[4:5]
	s_cbranch_execz .LBB227_588
; %bb.587:                              ;   in Loop: Header=BB227_428 Depth=1
	v_and_b32_e32 v28, 7, v4
	v_ffbh_u32_e32 v10, v28
	v_min_u32_e32 v32, 32, v10
	v_subrev_u32_e32 v10, 28, v32
	v_lshlrev_b64 v[10:11], v10, v[4:5]
	v_lshrrev_b32_e32 v29, 3, v5
	v_sub_u32_e32 v11, 29, v32
	v_and_b32_e32 v10, 7, v10
	v_cmp_gt_u32_e64 s[4:5], 8, v5
	v_cndmask_b32_e64 v5, v29, v11, s[4:5]
	v_cndmask_b32_e64 v10, v28, v10, s[4:5]
	v_lshlrev_b32_e32 v10, 20, v10
	v_and_b32_sdwa v11, sext(v4), s11 dst_sel:DWORD dst_unused:UNUSED_PAD src0_sel:BYTE_0 src1_sel:DWORD
	v_lshl_add_u32 v5, v5, 23, v62
	v_or3_b32 v54, v11, v5, v10
	v_pk_mov_b32 v[10:11], v[54:55], v[54:55] op_sel:[0,1]
.LBB227_588:                            ;   in Loop: Header=BB227_428 Depth=1
	s_or_b64 exec, exec, s[28:29]
.LBB227_589:                            ;   in Loop: Header=BB227_428 Depth=1
	s_or_b64 exec, exec, s[26:27]
.LBB227_590:                            ;   in Loop: Header=BB227_428 Depth=1
	s_or_b64 exec, exec, s[24:25]
	v_cmp_ne_u16_sdwa s[4:5], v4, v55 src0_sel:BYTE_1 src1_sel:DWORD
	s_and_saveexec_b64 s[24:25], s[4:5]
	s_cbranch_execz .LBB227_596
; %bb.591:                              ;   in Loop: Header=BB227_428 Depth=1
	v_cmp_ne_u16_sdwa s[4:5], v4, s7 src0_sel:BYTE_1 src1_sel:DWORD
	v_pk_mov_b32 v[30:31], s[10:11], s[10:11] op_sel:[0,1]
	s_and_saveexec_b64 s[26:27], s[4:5]
	s_cbranch_execz .LBB227_595
; %bb.592:                              ;   in Loop: Header=BB227_428 Depth=1
	v_and_b32_sdwa v5, v4, s15 dst_sel:DWORD dst_unused:UNUSED_PAD src0_sel:BYTE_1 src1_sel:DWORD
	s_mov_b32 s22, s10
	v_cmp_ne_u32_e64 s[4:5], s15, v5
	v_pk_mov_b32 v[30:31], s[22:23], s[22:23] op_sel:[0,1]
	s_and_saveexec_b64 s[28:29], s[4:5]
	s_cbranch_execz .LBB227_594
; %bb.593:                              ;   in Loop: Header=BB227_428 Depth=1
	v_mov_b32_e32 v6, 7
	v_and_b32_sdwa v54, v4, v6 dst_sel:DWORD dst_unused:UNUSED_PAD src0_sel:BYTE_1 src1_sel:DWORD
	v_ffbh_u32_e32 v28, v54
	v_min_u32_e32 v31, 32, v28
	v_subrev_u32_e32 v28, 28, v31
	v_lshlrev_b64 v[28:29], v28, v[54:55]
	v_lshrrev_b32_e32 v30, 3, v5
	v_sub_u32_e32 v29, 29, v31
	v_cmp_gt_u32_e64 s[4:5], 8, v5
	v_and_b32_e32 v28, 7, v28
	v_cndmask_b32_e64 v5, v30, v29, s[4:5]
	v_cndmask_b32_e64 v28, v54, v28, s[4:5]
	v_lshlrev_b32_e32 v29, 16, v4
	v_lshl_add_u32 v5, v5, 23, v62
	v_and_or_b32 v5, v29, s11, v5
	v_lshlrev_b32_e32 v28, 20, v28
	v_or_b32_e32 v31, v5, v28
	v_mov_b32_e32 v30, v55
.LBB227_594:                            ;   in Loop: Header=BB227_428 Depth=1
	s_or_b64 exec, exec, s[28:29]
.LBB227_595:                            ;   in Loop: Header=BB227_428 Depth=1
	s_or_b64 exec, exec, s[26:27]
.LBB227_596:                            ;   in Loop: Header=BB227_428 Depth=1
	s_or_b64 exec, exec, s[24:25]
	v_lshrrev_b32_e32 v34, 16, v4
	v_pk_mov_b32 v[28:29], 0, 0
	v_cmp_ne_u16_sdwa s[4:5], v34, v55 src0_sel:BYTE_0 src1_sel:DWORD
	v_pk_mov_b32 v[32:33], v[28:29], v[28:29] op_sel:[0,1]
	s_and_saveexec_b64 s[24:25], s[4:5]
	s_cbranch_execz .LBB227_602
; %bb.597:                              ;   in Loop: Header=BB227_428 Depth=1
	v_bfrev_b32_e32 v32, 1
	v_cmp_ne_u16_sdwa s[4:5], v34, s7 src0_sel:BYTE_0 src1_sel:DWORD
	v_mov_b32_e32 v33, 0
	s_and_saveexec_b64 s[26:27], s[4:5]
	s_cbranch_execz .LBB227_601
; %bb.598:                              ;   in Loop: Header=BB227_428 Depth=1
	v_bfe_u32 v5, v4, 16, 7
	v_mov_b32_e32 v32, 0x7f800001
	v_cmp_ne_u32_e64 s[4:5], s15, v5
	v_mov_b32_e32 v33, 0
	s_and_saveexec_b64 s[28:29], s[4:5]
	s_cbranch_execz .LBB227_600
; %bb.599:                              ;   in Loop: Header=BB227_428 Depth=1
	v_and_b32_e32 v35, 7, v34
	v_ffbh_u32_e32 v32, v35
	v_min_u32_e32 v39, 32, v32
	v_subrev_u32_e32 v32, 28, v39
	v_lshlrev_b64 v[32:33], v32, v[34:35]
	v_lshrrev_b32_e32 v38, 3, v5
	v_sub_u32_e32 v33, 29, v39
	v_and_b32_e32 v32, 7, v32
	v_cmp_gt_u32_e64 s[4:5], 8, v5
	v_cndmask_b32_e64 v5, v38, v33, s[4:5]
	v_cndmask_b32_e64 v32, v35, v32, s[4:5]
	v_lshlrev_b32_e32 v32, 20, v32
	v_and_b32_sdwa v33, sext(v34), s11 dst_sel:DWORD dst_unused:UNUSED_PAD src0_sel:BYTE_0 src1_sel:DWORD
	v_lshl_add_u32 v5, v5, 23, v62
	v_or3_b32 v54, v33, v5, v32
	v_pk_mov_b32 v[32:33], v[54:55], v[54:55] op_sel:[0,1]
.LBB227_600:                            ;   in Loop: Header=BB227_428 Depth=1
	s_or_b64 exec, exec, s[28:29]
.LBB227_601:                            ;   in Loop: Header=BB227_428 Depth=1
	s_or_b64 exec, exec, s[26:27]
.LBB227_602:                            ;   in Loop: Header=BB227_428 Depth=1
	s_or_b64 exec, exec, s[24:25]
	v_cmp_lt_u32_e64 s[4:5], s30, v4
	s_and_saveexec_b64 s[24:25], s[4:5]
	s_cbranch_execz .LBB227_608
; %bb.603:                              ;   in Loop: Header=BB227_428 Depth=1
	v_cmp_ne_u32_sdwa s[4:5], v4, s7 src0_sel:BYTE_3 src1_sel:DWORD
	v_pk_mov_b32 v[28:29], s[10:11], s[10:11] op_sel:[0,1]
	s_and_saveexec_b64 s[26:27], s[4:5]
	s_cbranch_execz .LBB227_607
; %bb.604:                              ;   in Loop: Header=BB227_428 Depth=1
	v_bfe_u32 v5, v4, 24, 7
	s_mov_b32 s22, s10
	v_cmp_ne_u32_e64 s[4:5], s15, v5
	v_pk_mov_b32 v[28:29], s[22:23], s[22:23] op_sel:[0,1]
	s_and_saveexec_b64 s[28:29], s[4:5]
	s_cbranch_execz .LBB227_606
; %bb.605:                              ;   in Loop: Header=BB227_428 Depth=1
	v_mov_b32_e32 v6, 7
	v_and_b32_sdwa v54, v4, v6 dst_sel:DWORD dst_unused:UNUSED_PAD src0_sel:BYTE_3 src1_sel:DWORD
	v_ffbh_u32_e32 v28, v54
	v_min_u32_e32 v35, 32, v28
	v_subrev_u32_e32 v28, 28, v35
	v_lshlrev_b64 v[28:29], v28, v[54:55]
	v_lshrrev_b32_e32 v34, 3, v5
	v_sub_u32_e32 v29, 29, v35
	v_cmp_gt_u32_e64 s[4:5], 8, v5
	v_and_b32_e32 v28, 7, v28
	v_cndmask_b32_e64 v5, v34, v29, s[4:5]
	v_mov_b32_e32 v6, 24
	v_cndmask_b32_e64 v28, v54, v28, s[4:5]
	v_lshlrev_b32_sdwa v4, v6, v4 dst_sel:DWORD dst_unused:UNUSED_PAD src0_sel:DWORD src1_sel:BYTE_3
	v_lshl_add_u32 v5, v5, 23, v62
	v_and_or_b32 v4, v4, s11, v5
	v_lshlrev_b32_e32 v5, 20, v28
	v_or_b32_e32 v29, v4, v5
	v_mov_b32_e32 v28, v55
.LBB227_606:                            ;   in Loop: Header=BB227_428 Depth=1
	s_or_b64 exec, exec, s[28:29]
.LBB227_607:                            ;   in Loop: Header=BB227_428 Depth=1
	s_or_b64 exec, exec, s[26:27]
.LBB227_608:                            ;   in Loop: Header=BB227_428 Depth=1
	s_or_b64 exec, exec, s[24:25]
	v_or_b32_e32 v5, v31, v11
	v_or_b32_e32 v4, v30, v10
	v_pk_mul_f32 v[4:5], v[26:27], v[4:5]
	v_accvgpr_write_b32 a47, v5
	v_accvgpr_write_b32 a46, v4
	v_or_b32_e32 v5, v29, v33
	v_or_b32_e32 v4, v28, v32
	v_pk_mul_f32 v[4:5], v[26:27], v[4:5]
	v_accvgpr_write_b32 a49, v5
	v_accvgpr_write_b32 a48, v4
	s_and_saveexec_b64 s[24:25], vcc
	s_cbranch_execz .LBB227_610
; %bb.609:                              ;   in Loop: Header=BB227_428 Depth=1
	v_accvgpr_read_b32 v4, a13
	v_cmp_lt_i32_e64 s[4:5], v7, v4
	v_accvgpr_read_b32 v10, a46
	v_accvgpr_read_b32 v5, a17
	;; [unrolled: 1-line block ×3, first 2 shown]
	v_cndmask_b32_e64 v10, 0, v10, s[4:5]
	v_cmp_lt_i32_e64 s[4:5], v5, v4
	v_cndmask_b32_e64 v11, 0, v11, s[4:5]
	v_accvgpr_write_b32 a47, v11
	v_accvgpr_read_b32 v5, a9
	v_accvgpr_write_b32 a46, v10
	v_cmp_lt_i32_e64 s[4:5], v5, v4
	v_accvgpr_read_b32 v10, a48
	v_accvgpr_read_b32 v11, a49
	v_cndmask_b32_e64 v10, 0, v10, s[4:5]
	v_cmp_lt_i32_e64 s[4:5], v36, v4
	v_cndmask_b32_e64 v11, 0, v11, s[4:5]
	v_accvgpr_write_b32 a49, v11
	v_accvgpr_write_b32 a48, v10
.LBB227_610:                            ;   in Loop: Header=BB227_428 Depth=1
	s_or_b64 exec, exec, s[24:25]
	flat_load_dword v4, v[50:51] offset:1792
	v_pk_mov_b32 v[30:31], 0, 0
	v_pk_mov_b32 v[10:11], v[30:31], v[30:31] op_sel:[0,1]
	s_waitcnt vmcnt(0) lgkmcnt(0)
	v_cmp_ne_u16_sdwa s[4:5], v4, v55 src0_sel:BYTE_0 src1_sel:DWORD
	s_and_saveexec_b64 s[24:25], s[4:5]
	s_cbranch_execz .LBB227_616
; %bb.611:                              ;   in Loop: Header=BB227_428 Depth=1
	v_bfrev_b32_e32 v10, 1
	v_cmp_ne_u16_sdwa s[4:5], v4, s7 src0_sel:BYTE_0 src1_sel:DWORD
	v_mov_b32_e32 v11, 0
	s_and_saveexec_b64 s[26:27], s[4:5]
	s_cbranch_execz .LBB227_615
; %bb.612:                              ;   in Loop: Header=BB227_428 Depth=1
	v_and_b32_e32 v5, 0x7f, v4
	v_mov_b32_e32 v10, 0x7f800001
	v_cmp_ne_u32_e64 s[4:5], s15, v5
	v_mov_b32_e32 v11, 0
	s_and_saveexec_b64 s[28:29], s[4:5]
	s_cbranch_execz .LBB227_614
; %bb.613:                              ;   in Loop: Header=BB227_428 Depth=1
	v_and_b32_e32 v28, 7, v4
	v_ffbh_u32_e32 v10, v28
	v_min_u32_e32 v32, 32, v10
	v_subrev_u32_e32 v10, 28, v32
	v_lshlrev_b64 v[10:11], v10, v[4:5]
	v_lshrrev_b32_e32 v29, 3, v5
	v_sub_u32_e32 v11, 29, v32
	v_and_b32_e32 v10, 7, v10
	v_cmp_gt_u32_e64 s[4:5], 8, v5
	v_cndmask_b32_e64 v5, v29, v11, s[4:5]
	v_cndmask_b32_e64 v10, v28, v10, s[4:5]
	v_lshlrev_b32_e32 v10, 20, v10
	v_and_b32_sdwa v11, sext(v4), s11 dst_sel:DWORD dst_unused:UNUSED_PAD src0_sel:BYTE_0 src1_sel:DWORD
	v_lshl_add_u32 v5, v5, 23, v62
	v_or3_b32 v54, v11, v5, v10
	v_pk_mov_b32 v[10:11], v[54:55], v[54:55] op_sel:[0,1]
.LBB227_614:                            ;   in Loop: Header=BB227_428 Depth=1
	s_or_b64 exec, exec, s[28:29]
.LBB227_615:                            ;   in Loop: Header=BB227_428 Depth=1
	s_or_b64 exec, exec, s[26:27]
.LBB227_616:                            ;   in Loop: Header=BB227_428 Depth=1
	s_or_b64 exec, exec, s[24:25]
	v_cmp_ne_u16_sdwa s[4:5], v4, v55 src0_sel:BYTE_1 src1_sel:DWORD
	s_and_saveexec_b64 s[24:25], s[4:5]
	s_cbranch_execz .LBB227_622
; %bb.617:                              ;   in Loop: Header=BB227_428 Depth=1
	v_cmp_ne_u16_sdwa s[4:5], v4, s7 src0_sel:BYTE_1 src1_sel:DWORD
	v_pk_mov_b32 v[30:31], s[10:11], s[10:11] op_sel:[0,1]
	s_and_saveexec_b64 s[26:27], s[4:5]
	s_cbranch_execz .LBB227_621
; %bb.618:                              ;   in Loop: Header=BB227_428 Depth=1
	v_and_b32_sdwa v5, v4, s15 dst_sel:DWORD dst_unused:UNUSED_PAD src0_sel:BYTE_1 src1_sel:DWORD
	s_mov_b32 s22, s10
	v_cmp_ne_u32_e64 s[4:5], s15, v5
	v_pk_mov_b32 v[30:31], s[22:23], s[22:23] op_sel:[0,1]
	s_and_saveexec_b64 s[28:29], s[4:5]
	s_cbranch_execz .LBB227_620
; %bb.619:                              ;   in Loop: Header=BB227_428 Depth=1
	v_mov_b32_e32 v6, 7
	v_and_b32_sdwa v54, v4, v6 dst_sel:DWORD dst_unused:UNUSED_PAD src0_sel:BYTE_1 src1_sel:DWORD
	v_ffbh_u32_e32 v28, v54
	v_min_u32_e32 v31, 32, v28
	v_subrev_u32_e32 v28, 28, v31
	v_lshlrev_b64 v[28:29], v28, v[54:55]
	v_lshrrev_b32_e32 v30, 3, v5
	v_sub_u32_e32 v29, 29, v31
	v_cmp_gt_u32_e64 s[4:5], 8, v5
	v_and_b32_e32 v28, 7, v28
	v_cndmask_b32_e64 v5, v30, v29, s[4:5]
	v_cndmask_b32_e64 v28, v54, v28, s[4:5]
	v_lshlrev_b32_e32 v29, 16, v4
	v_lshl_add_u32 v5, v5, 23, v62
	v_and_or_b32 v5, v29, s11, v5
	v_lshlrev_b32_e32 v28, 20, v28
	v_or_b32_e32 v31, v5, v28
	v_mov_b32_e32 v30, v55
.LBB227_620:                            ;   in Loop: Header=BB227_428 Depth=1
	s_or_b64 exec, exec, s[28:29]
.LBB227_621:                            ;   in Loop: Header=BB227_428 Depth=1
	s_or_b64 exec, exec, s[26:27]
.LBB227_622:                            ;   in Loop: Header=BB227_428 Depth=1
	s_or_b64 exec, exec, s[24:25]
	v_lshrrev_b32_e32 v34, 16, v4
	v_pk_mov_b32 v[28:29], 0, 0
	v_cmp_ne_u16_sdwa s[4:5], v34, v55 src0_sel:BYTE_0 src1_sel:DWORD
	v_pk_mov_b32 v[32:33], v[28:29], v[28:29] op_sel:[0,1]
	s_and_saveexec_b64 s[24:25], s[4:5]
	s_cbranch_execz .LBB227_628
; %bb.623:                              ;   in Loop: Header=BB227_428 Depth=1
	v_bfrev_b32_e32 v32, 1
	v_cmp_ne_u16_sdwa s[4:5], v34, s7 src0_sel:BYTE_0 src1_sel:DWORD
	v_mov_b32_e32 v33, 0
	s_and_saveexec_b64 s[26:27], s[4:5]
	s_cbranch_execz .LBB227_627
; %bb.624:                              ;   in Loop: Header=BB227_428 Depth=1
	v_bfe_u32 v5, v4, 16, 7
	v_mov_b32_e32 v32, 0x7f800001
	v_cmp_ne_u32_e64 s[4:5], s15, v5
	v_mov_b32_e32 v33, 0
	s_and_saveexec_b64 s[28:29], s[4:5]
	s_cbranch_execz .LBB227_626
; %bb.625:                              ;   in Loop: Header=BB227_428 Depth=1
	v_and_b32_e32 v35, 7, v34
	v_ffbh_u32_e32 v32, v35
	v_min_u32_e32 v39, 32, v32
	v_subrev_u32_e32 v32, 28, v39
	v_lshlrev_b64 v[32:33], v32, v[34:35]
	v_lshrrev_b32_e32 v38, 3, v5
	v_sub_u32_e32 v33, 29, v39
	v_and_b32_e32 v32, 7, v32
	v_cmp_gt_u32_e64 s[4:5], 8, v5
	v_cndmask_b32_e64 v5, v38, v33, s[4:5]
	v_cndmask_b32_e64 v32, v35, v32, s[4:5]
	v_lshlrev_b32_e32 v32, 20, v32
	v_and_b32_sdwa v33, sext(v34), s11 dst_sel:DWORD dst_unused:UNUSED_PAD src0_sel:BYTE_0 src1_sel:DWORD
	v_lshl_add_u32 v5, v5, 23, v62
	v_or3_b32 v54, v33, v5, v32
	v_pk_mov_b32 v[32:33], v[54:55], v[54:55] op_sel:[0,1]
.LBB227_626:                            ;   in Loop: Header=BB227_428 Depth=1
	s_or_b64 exec, exec, s[28:29]
.LBB227_627:                            ;   in Loop: Header=BB227_428 Depth=1
	s_or_b64 exec, exec, s[26:27]
.LBB227_628:                            ;   in Loop: Header=BB227_428 Depth=1
	s_or_b64 exec, exec, s[24:25]
	v_cmp_lt_u32_e64 s[4:5], s30, v4
	s_and_saveexec_b64 s[24:25], s[4:5]
	s_cbranch_execz .LBB227_634
; %bb.629:                              ;   in Loop: Header=BB227_428 Depth=1
	v_cmp_ne_u32_sdwa s[4:5], v4, s7 src0_sel:BYTE_3 src1_sel:DWORD
	v_pk_mov_b32 v[28:29], s[10:11], s[10:11] op_sel:[0,1]
	s_and_saveexec_b64 s[26:27], s[4:5]
	s_cbranch_execz .LBB227_633
; %bb.630:                              ;   in Loop: Header=BB227_428 Depth=1
	v_bfe_u32 v5, v4, 24, 7
	s_mov_b32 s22, s10
	v_cmp_ne_u32_e64 s[4:5], s15, v5
	v_pk_mov_b32 v[28:29], s[22:23], s[22:23] op_sel:[0,1]
	s_and_saveexec_b64 s[28:29], s[4:5]
	s_cbranch_execz .LBB227_632
; %bb.631:                              ;   in Loop: Header=BB227_428 Depth=1
	v_mov_b32_e32 v6, 7
	v_and_b32_sdwa v54, v4, v6 dst_sel:DWORD dst_unused:UNUSED_PAD src0_sel:BYTE_3 src1_sel:DWORD
	v_ffbh_u32_e32 v28, v54
	v_min_u32_e32 v35, 32, v28
	v_subrev_u32_e32 v28, 28, v35
	v_lshlrev_b64 v[28:29], v28, v[54:55]
	v_lshrrev_b32_e32 v34, 3, v5
	v_sub_u32_e32 v29, 29, v35
	v_cmp_gt_u32_e64 s[4:5], 8, v5
	v_and_b32_e32 v28, 7, v28
	v_cndmask_b32_e64 v5, v34, v29, s[4:5]
	v_mov_b32_e32 v6, 24
	v_cndmask_b32_e64 v28, v54, v28, s[4:5]
	v_lshlrev_b32_sdwa v4, v6, v4 dst_sel:DWORD dst_unused:UNUSED_PAD src0_sel:DWORD src1_sel:BYTE_3
	v_lshl_add_u32 v5, v5, 23, v62
	v_and_or_b32 v4, v4, s11, v5
	v_lshlrev_b32_e32 v5, 20, v28
	v_or_b32_e32 v29, v4, v5
	v_mov_b32_e32 v28, v55
.LBB227_632:                            ;   in Loop: Header=BB227_428 Depth=1
	s_or_b64 exec, exec, s[28:29]
.LBB227_633:                            ;   in Loop: Header=BB227_428 Depth=1
	s_or_b64 exec, exec, s[26:27]
.LBB227_634:                            ;   in Loop: Header=BB227_428 Depth=1
	s_or_b64 exec, exec, s[24:25]
	v_or_b32_e32 v5, v31, v11
	v_or_b32_e32 v4, v30, v10
	v_pk_mul_f32 v[4:5], v[26:27], v[4:5]
	v_accvgpr_write_b32 a51, v5
	v_accvgpr_write_b32 a50, v4
	v_or_b32_e32 v5, v29, v33
	v_or_b32_e32 v4, v28, v32
	v_pk_mul_f32 v[4:5], v[26:27], v[4:5]
	v_accvgpr_write_b32 a53, v5
	v_accvgpr_write_b32 a52, v4
	s_and_saveexec_b64 s[24:25], vcc
	s_cbranch_execz .LBB227_636
; %bb.635:                              ;   in Loop: Header=BB227_428 Depth=1
	v_accvgpr_read_b32 v4, a13
	v_cmp_lt_i32_e64 s[4:5], v7, v4
	v_accvgpr_read_b32 v10, a50
	v_accvgpr_read_b32 v5, a17
	;; [unrolled: 1-line block ×3, first 2 shown]
	v_cndmask_b32_e64 v10, 0, v10, s[4:5]
	v_cmp_lt_i32_e64 s[4:5], v5, v4
	v_cndmask_b32_e64 v11, 0, v11, s[4:5]
	v_accvgpr_write_b32 a51, v11
	v_accvgpr_read_b32 v5, a9
	v_accvgpr_write_b32 a50, v10
	v_cmp_lt_i32_e64 s[4:5], v5, v4
	v_accvgpr_read_b32 v10, a52
	v_accvgpr_read_b32 v11, a53
	v_cndmask_b32_e64 v10, 0, v10, s[4:5]
	v_cmp_lt_i32_e64 s[4:5], v36, v4
	v_cndmask_b32_e64 v11, 0, v11, s[4:5]
	v_accvgpr_write_b32 a53, v11
	v_accvgpr_write_b32 a52, v10
.LBB227_636:                            ;   in Loop: Header=BB227_428 Depth=1
	s_or_b64 exec, exec, s[24:25]
	flat_load_dword v4, v[50:51] offset:2048
	v_pk_mov_b32 v[34:35], 0, 0
	v_pk_mov_b32 v[30:31], v[34:35], v[34:35] op_sel:[0,1]
	s_waitcnt vmcnt(0) lgkmcnt(0)
	v_cmp_ne_u16_sdwa s[4:5], v4, v55 src0_sel:BYTE_0 src1_sel:DWORD
	s_and_saveexec_b64 s[24:25], s[4:5]
	s_cbranch_execz .LBB227_642
; %bb.637:                              ;   in Loop: Header=BB227_428 Depth=1
	v_bfrev_b32_e32 v30, 1
	v_cmp_ne_u16_sdwa s[4:5], v4, s7 src0_sel:BYTE_0 src1_sel:DWORD
	v_mov_b32_e32 v31, 0
	s_and_saveexec_b64 s[26:27], s[4:5]
	s_cbranch_execz .LBB227_641
; %bb.638:                              ;   in Loop: Header=BB227_428 Depth=1
	v_and_b32_e32 v5, 0x7f, v4
	v_mov_b32_e32 v30, 0x7f800001
	v_cmp_ne_u32_e64 s[4:5], s15, v5
	v_mov_b32_e32 v31, 0
	s_and_saveexec_b64 s[28:29], s[4:5]
	s_cbranch_execz .LBB227_640
; %bb.639:                              ;   in Loop: Header=BB227_428 Depth=1
	v_and_b32_e32 v28, 7, v4
	v_ffbh_u32_e32 v10, v28
	v_min_u32_e32 v30, 32, v10
	v_subrev_u32_e32 v10, 28, v30
	v_lshlrev_b64 v[10:11], v10, v[4:5]
	v_lshrrev_b32_e32 v29, 3, v5
	v_sub_u32_e32 v11, 29, v30
	v_and_b32_e32 v10, 7, v10
	v_cmp_gt_u32_e64 s[4:5], 8, v5
	v_cndmask_b32_e64 v5, v29, v11, s[4:5]
	v_cndmask_b32_e64 v10, v28, v10, s[4:5]
	v_lshlrev_b32_e32 v10, 20, v10
	v_and_b32_sdwa v11, sext(v4), s11 dst_sel:DWORD dst_unused:UNUSED_PAD src0_sel:BYTE_0 src1_sel:DWORD
	v_lshl_add_u32 v5, v5, 23, v62
	v_or3_b32 v54, v11, v5, v10
	v_pk_mov_b32 v[30:31], v[54:55], v[54:55] op_sel:[0,1]
.LBB227_640:                            ;   in Loop: Header=BB227_428 Depth=1
	s_or_b64 exec, exec, s[28:29]
.LBB227_641:                            ;   in Loop: Header=BB227_428 Depth=1
	s_or_b64 exec, exec, s[26:27]
.LBB227_642:                            ;   in Loop: Header=BB227_428 Depth=1
	s_or_b64 exec, exec, s[24:25]
	v_cmp_ne_u16_sdwa s[4:5], v4, v55 src0_sel:BYTE_1 src1_sel:DWORD
	s_and_saveexec_b64 s[24:25], s[4:5]
	s_cbranch_execz .LBB227_648
; %bb.643:                              ;   in Loop: Header=BB227_428 Depth=1
	v_cmp_ne_u16_sdwa s[4:5], v4, s7 src0_sel:BYTE_1 src1_sel:DWORD
	v_pk_mov_b32 v[34:35], s[10:11], s[10:11] op_sel:[0,1]
	s_and_saveexec_b64 s[26:27], s[4:5]
	s_cbranch_execz .LBB227_647
; %bb.644:                              ;   in Loop: Header=BB227_428 Depth=1
	v_and_b32_sdwa v5, v4, s15 dst_sel:DWORD dst_unused:UNUSED_PAD src0_sel:BYTE_1 src1_sel:DWORD
	s_mov_b32 s22, s10
	v_cmp_ne_u32_e64 s[4:5], s15, v5
	v_pk_mov_b32 v[34:35], s[22:23], s[22:23] op_sel:[0,1]
	s_and_saveexec_b64 s[28:29], s[4:5]
	s_cbranch_execz .LBB227_646
; %bb.645:                              ;   in Loop: Header=BB227_428 Depth=1
	v_mov_b32_e32 v6, 7
	v_and_b32_sdwa v54, v4, v6 dst_sel:DWORD dst_unused:UNUSED_PAD src0_sel:BYTE_1 src1_sel:DWORD
	v_ffbh_u32_e32 v10, v54
	v_min_u32_e32 v29, 32, v10
	v_subrev_u32_e32 v10, 28, v29
	v_lshlrev_b64 v[10:11], v10, v[54:55]
	v_lshrrev_b32_e32 v28, 3, v5
	v_sub_u32_e32 v11, 29, v29
	v_cmp_gt_u32_e64 s[4:5], 8, v5
	v_and_b32_e32 v10, 7, v10
	v_cndmask_b32_e64 v5, v28, v11, s[4:5]
	v_cndmask_b32_e64 v10, v54, v10, s[4:5]
	v_lshlrev_b32_e32 v11, 16, v4
	v_lshl_add_u32 v5, v5, 23, v62
	v_and_or_b32 v5, v11, s11, v5
	v_lshlrev_b32_e32 v10, 20, v10
	v_or_b32_e32 v35, v5, v10
	v_mov_b32_e32 v34, v55
.LBB227_646:                            ;   in Loop: Header=BB227_428 Depth=1
	s_or_b64 exec, exec, s[28:29]
.LBB227_647:                            ;   in Loop: Header=BB227_428 Depth=1
	s_or_b64 exec, exec, s[26:27]
.LBB227_648:                            ;   in Loop: Header=BB227_428 Depth=1
	s_or_b64 exec, exec, s[24:25]
	v_lshrrev_b32_e32 v32, 16, v4
	v_pk_mov_b32 v[28:29], 0, 0
	v_cmp_ne_u16_sdwa s[4:5], v32, v55 src0_sel:BYTE_0 src1_sel:DWORD
	v_pk_mov_b32 v[10:11], v[28:29], v[28:29] op_sel:[0,1]
	s_and_saveexec_b64 s[24:25], s[4:5]
	s_cbranch_execz .LBB227_654
; %bb.649:                              ;   in Loop: Header=BB227_428 Depth=1
	v_bfrev_b32_e32 v10, 1
	v_cmp_ne_u16_sdwa s[4:5], v32, s7 src0_sel:BYTE_0 src1_sel:DWORD
	v_mov_b32_e32 v11, 0
	s_and_saveexec_b64 s[26:27], s[4:5]
	s_cbranch_execz .LBB227_653
; %bb.650:                              ;   in Loop: Header=BB227_428 Depth=1
	v_bfe_u32 v5, v4, 16, 7
	v_mov_b32_e32 v10, 0x7f800001
	v_cmp_ne_u32_e64 s[4:5], s15, v5
	v_mov_b32_e32 v11, 0
	s_and_saveexec_b64 s[28:29], s[4:5]
	s_cbranch_execz .LBB227_652
; %bb.651:                              ;   in Loop: Header=BB227_428 Depth=1
	v_and_b32_e32 v33, 7, v32
	v_ffbh_u32_e32 v10, v33
	v_min_u32_e32 v39, 32, v10
	v_subrev_u32_e32 v10, 28, v39
	v_lshlrev_b64 v[10:11], v10, v[32:33]
	v_lshrrev_b32_e32 v38, 3, v5
	v_sub_u32_e32 v11, 29, v39
	v_and_b32_e32 v10, 7, v10
	v_cmp_gt_u32_e64 s[4:5], 8, v5
	v_cndmask_b32_e64 v5, v38, v11, s[4:5]
	v_cndmask_b32_e64 v10, v33, v10, s[4:5]
	v_lshlrev_b32_e32 v10, 20, v10
	v_and_b32_sdwa v11, sext(v32), s11 dst_sel:DWORD dst_unused:UNUSED_PAD src0_sel:BYTE_0 src1_sel:DWORD
	v_lshl_add_u32 v5, v5, 23, v62
	v_or3_b32 v54, v11, v5, v10
	v_pk_mov_b32 v[10:11], v[54:55], v[54:55] op_sel:[0,1]
.LBB227_652:                            ;   in Loop: Header=BB227_428 Depth=1
	s_or_b64 exec, exec, s[28:29]
.LBB227_653:                            ;   in Loop: Header=BB227_428 Depth=1
	s_or_b64 exec, exec, s[26:27]
.LBB227_654:                            ;   in Loop: Header=BB227_428 Depth=1
	s_or_b64 exec, exec, s[24:25]
	v_cmp_lt_u32_e64 s[4:5], s30, v4
	s_and_saveexec_b64 s[24:25], s[4:5]
	s_cbranch_execz .LBB227_660
; %bb.655:                              ;   in Loop: Header=BB227_428 Depth=1
	v_cmp_ne_u32_sdwa s[4:5], v4, s7 src0_sel:BYTE_3 src1_sel:DWORD
	v_pk_mov_b32 v[28:29], s[10:11], s[10:11] op_sel:[0,1]
	s_and_saveexec_b64 s[26:27], s[4:5]
	s_cbranch_execz .LBB227_659
; %bb.656:                              ;   in Loop: Header=BB227_428 Depth=1
	v_bfe_u32 v5, v4, 24, 7
	s_mov_b32 s22, s10
	v_cmp_ne_u32_e64 s[4:5], s15, v5
	v_pk_mov_b32 v[28:29], s[22:23], s[22:23] op_sel:[0,1]
	s_and_saveexec_b64 s[28:29], s[4:5]
	s_cbranch_execz .LBB227_658
; %bb.657:                              ;   in Loop: Header=BB227_428 Depth=1
	v_mov_b32_e32 v6, 7
	v_and_b32_sdwa v54, v4, v6 dst_sel:DWORD dst_unused:UNUSED_PAD src0_sel:BYTE_3 src1_sel:DWORD
	v_ffbh_u32_e32 v28, v54
	v_min_u32_e32 v33, 32, v28
	v_subrev_u32_e32 v28, 28, v33
	v_lshlrev_b64 v[28:29], v28, v[54:55]
	v_lshrrev_b32_e32 v32, 3, v5
	v_sub_u32_e32 v29, 29, v33
	v_cmp_gt_u32_e64 s[4:5], 8, v5
	v_and_b32_e32 v28, 7, v28
	v_cndmask_b32_e64 v5, v32, v29, s[4:5]
	v_mov_b32_e32 v6, 24
	v_cndmask_b32_e64 v28, v54, v28, s[4:5]
	v_lshlrev_b32_sdwa v4, v6, v4 dst_sel:DWORD dst_unused:UNUSED_PAD src0_sel:DWORD src1_sel:BYTE_3
	v_lshl_add_u32 v5, v5, 23, v62
	v_and_or_b32 v4, v4, s11, v5
	v_lshlrev_b32_e32 v5, 20, v28
	v_or_b32_e32 v29, v4, v5
	v_mov_b32_e32 v28, v55
.LBB227_658:                            ;   in Loop: Header=BB227_428 Depth=1
	s_or_b64 exec, exec, s[28:29]
.LBB227_659:                            ;   in Loop: Header=BB227_428 Depth=1
	s_or_b64 exec, exec, s[26:27]
.LBB227_660:                            ;   in Loop: Header=BB227_428 Depth=1
	s_or_b64 exec, exec, s[24:25]
	v_or_b32_e32 v5, v35, v31
	v_or_b32_e32 v4, v34, v30
	v_pk_mul_f32 v[4:5], v[26:27], v[4:5]
	v_accvgpr_write_b32 a55, v5
	v_accvgpr_write_b32 a54, v4
	v_or_b32_e32 v5, v29, v11
	v_or_b32_e32 v4, v28, v10
	v_pk_mul_f32 v[4:5], v[26:27], v[4:5]
	v_accvgpr_write_b32 a57, v5
	v_accvgpr_write_b32 a56, v4
	s_and_saveexec_b64 s[24:25], vcc
	s_cbranch_execz .LBB227_662
; %bb.661:                              ;   in Loop: Header=BB227_428 Depth=1
	v_accvgpr_read_b32 v4, a13
	v_cmp_lt_i32_e64 s[4:5], v7, v4
	v_accvgpr_read_b32 v10, a54
	v_accvgpr_read_b32 v5, a17
	;; [unrolled: 1-line block ×3, first 2 shown]
	v_cndmask_b32_e64 v10, 0, v10, s[4:5]
	v_cmp_lt_i32_e64 s[4:5], v5, v4
	v_cndmask_b32_e64 v11, 0, v11, s[4:5]
	v_accvgpr_write_b32 a55, v11
	v_accvgpr_read_b32 v5, a9
	v_accvgpr_write_b32 a54, v10
	v_cmp_lt_i32_e64 s[4:5], v5, v4
	v_accvgpr_read_b32 v10, a56
	v_accvgpr_read_b32 v11, a57
	v_cndmask_b32_e64 v10, 0, v10, s[4:5]
	v_cmp_lt_i32_e64 s[4:5], v36, v4
	v_cndmask_b32_e64 v11, 0, v11, s[4:5]
	v_accvgpr_write_b32 a57, v11
	v_accvgpr_write_b32 a56, v10
.LBB227_662:                            ;   in Loop: Header=BB227_428 Depth=1
	s_or_b64 exec, exec, s[24:25]
	flat_load_dword v4, v[50:51] offset:2304
	v_pk_mov_b32 v[38:39], 0, 0
	v_pk_mov_b32 v[30:31], v[38:39], v[38:39] op_sel:[0,1]
	s_waitcnt vmcnt(0) lgkmcnt(0)
	v_cmp_ne_u16_sdwa s[4:5], v4, v55 src0_sel:BYTE_0 src1_sel:DWORD
	s_and_saveexec_b64 s[24:25], s[4:5]
	s_cbranch_execz .LBB227_668
; %bb.663:                              ;   in Loop: Header=BB227_428 Depth=1
	v_bfrev_b32_e32 v30, 1
	v_cmp_ne_u16_sdwa s[4:5], v4, s7 src0_sel:BYTE_0 src1_sel:DWORD
	v_mov_b32_e32 v31, 0
	s_and_saveexec_b64 s[26:27], s[4:5]
	s_cbranch_execz .LBB227_667
; %bb.664:                              ;   in Loop: Header=BB227_428 Depth=1
	v_and_b32_e32 v5, 0x7f, v4
	v_mov_b32_e32 v30, 0x7f800001
	v_cmp_ne_u32_e64 s[4:5], s15, v5
	v_mov_b32_e32 v31, 0
	s_and_saveexec_b64 s[28:29], s[4:5]
	s_cbranch_execz .LBB227_666
; %bb.665:                              ;   in Loop: Header=BB227_428 Depth=1
	v_and_b32_e32 v28, 7, v4
	v_ffbh_u32_e32 v10, v28
	v_min_u32_e32 v30, 32, v10
	v_subrev_u32_e32 v10, 28, v30
	v_lshlrev_b64 v[10:11], v10, v[4:5]
	v_lshrrev_b32_e32 v29, 3, v5
	v_sub_u32_e32 v11, 29, v30
	v_and_b32_e32 v10, 7, v10
	v_cmp_gt_u32_e64 s[4:5], 8, v5
	v_cndmask_b32_e64 v5, v29, v11, s[4:5]
	v_cndmask_b32_e64 v10, v28, v10, s[4:5]
	v_lshlrev_b32_e32 v10, 20, v10
	v_and_b32_sdwa v11, sext(v4), s11 dst_sel:DWORD dst_unused:UNUSED_PAD src0_sel:BYTE_0 src1_sel:DWORD
	v_lshl_add_u32 v5, v5, 23, v62
	v_or3_b32 v54, v11, v5, v10
	v_pk_mov_b32 v[30:31], v[54:55], v[54:55] op_sel:[0,1]
.LBB227_666:                            ;   in Loop: Header=BB227_428 Depth=1
	s_or_b64 exec, exec, s[28:29]
.LBB227_667:                            ;   in Loop: Header=BB227_428 Depth=1
	s_or_b64 exec, exec, s[26:27]
.LBB227_668:                            ;   in Loop: Header=BB227_428 Depth=1
	s_or_b64 exec, exec, s[24:25]
	v_cmp_ne_u16_sdwa s[4:5], v4, v55 src0_sel:BYTE_1 src1_sel:DWORD
	s_and_saveexec_b64 s[24:25], s[4:5]
	s_cbranch_execz .LBB227_674
; %bb.669:                              ;   in Loop: Header=BB227_428 Depth=1
	v_cmp_ne_u16_sdwa s[4:5], v4, s7 src0_sel:BYTE_1 src1_sel:DWORD
	v_pk_mov_b32 v[38:39], s[10:11], s[10:11] op_sel:[0,1]
	s_and_saveexec_b64 s[26:27], s[4:5]
	s_cbranch_execz .LBB227_673
; %bb.670:                              ;   in Loop: Header=BB227_428 Depth=1
	v_and_b32_sdwa v5, v4, s15 dst_sel:DWORD dst_unused:UNUSED_PAD src0_sel:BYTE_1 src1_sel:DWORD
	s_mov_b32 s22, s10
	v_cmp_ne_u32_e64 s[4:5], s15, v5
	v_pk_mov_b32 v[38:39], s[22:23], s[22:23] op_sel:[0,1]
	s_and_saveexec_b64 s[28:29], s[4:5]
	s_cbranch_execz .LBB227_672
; %bb.671:                              ;   in Loop: Header=BB227_428 Depth=1
	v_mov_b32_e32 v6, 7
	v_and_b32_sdwa v54, v4, v6 dst_sel:DWORD dst_unused:UNUSED_PAD src0_sel:BYTE_1 src1_sel:DWORD
	v_ffbh_u32_e32 v10, v54
	v_min_u32_e32 v29, 32, v10
	v_subrev_u32_e32 v10, 28, v29
	v_lshlrev_b64 v[10:11], v10, v[54:55]
	v_lshrrev_b32_e32 v28, 3, v5
	v_sub_u32_e32 v11, 29, v29
	v_cmp_gt_u32_e64 s[4:5], 8, v5
	v_and_b32_e32 v10, 7, v10
	v_cndmask_b32_e64 v5, v28, v11, s[4:5]
	v_cndmask_b32_e64 v10, v54, v10, s[4:5]
	v_lshlrev_b32_e32 v11, 16, v4
	v_lshl_add_u32 v5, v5, 23, v62
	v_and_or_b32 v5, v11, s11, v5
	v_lshlrev_b32_e32 v10, 20, v10
	v_or_b32_e32 v39, v5, v10
	v_mov_b32_e32 v38, v55
.LBB227_672:                            ;   in Loop: Header=BB227_428 Depth=1
	s_or_b64 exec, exec, s[28:29]
.LBB227_673:                            ;   in Loop: Header=BB227_428 Depth=1
	s_or_b64 exec, exec, s[26:27]
.LBB227_674:                            ;   in Loop: Header=BB227_428 Depth=1
	s_or_b64 exec, exec, s[24:25]
	v_lshrrev_b32_e32 v32, 16, v4
	v_pk_mov_b32 v[28:29], 0, 0
	v_cmp_ne_u16_sdwa s[4:5], v32, v55 src0_sel:BYTE_0 src1_sel:DWORD
	v_pk_mov_b32 v[10:11], v[28:29], v[28:29] op_sel:[0,1]
	s_and_saveexec_b64 s[24:25], s[4:5]
	s_cbranch_execz .LBB227_680
; %bb.675:                              ;   in Loop: Header=BB227_428 Depth=1
	v_bfrev_b32_e32 v10, 1
	v_cmp_ne_u16_sdwa s[4:5], v32, s7 src0_sel:BYTE_0 src1_sel:DWORD
	v_mov_b32_e32 v11, 0
	s_and_saveexec_b64 s[26:27], s[4:5]
	s_cbranch_execz .LBB227_679
; %bb.676:                              ;   in Loop: Header=BB227_428 Depth=1
	v_bfe_u32 v5, v4, 16, 7
	v_mov_b32_e32 v10, 0x7f800001
	v_cmp_ne_u32_e64 s[4:5], s15, v5
	v_mov_b32_e32 v11, 0
	s_and_saveexec_b64 s[28:29], s[4:5]
	s_cbranch_execz .LBB227_678
; %bb.677:                              ;   in Loop: Header=BB227_428 Depth=1
	v_and_b32_e32 v33, 7, v32
	v_ffbh_u32_e32 v10, v33
	v_min_u32_e32 v35, 32, v10
	v_subrev_u32_e32 v10, 28, v35
	v_lshlrev_b64 v[10:11], v10, v[32:33]
	v_lshrrev_b32_e32 v34, 3, v5
	v_sub_u32_e32 v11, 29, v35
	v_and_b32_e32 v10, 7, v10
	v_cmp_gt_u32_e64 s[4:5], 8, v5
	v_cndmask_b32_e64 v5, v34, v11, s[4:5]
	v_cndmask_b32_e64 v10, v33, v10, s[4:5]
	v_lshlrev_b32_e32 v10, 20, v10
	v_and_b32_sdwa v11, sext(v32), s11 dst_sel:DWORD dst_unused:UNUSED_PAD src0_sel:BYTE_0 src1_sel:DWORD
	v_lshl_add_u32 v5, v5, 23, v62
	v_or3_b32 v54, v11, v5, v10
	v_pk_mov_b32 v[10:11], v[54:55], v[54:55] op_sel:[0,1]
.LBB227_678:                            ;   in Loop: Header=BB227_428 Depth=1
	s_or_b64 exec, exec, s[28:29]
.LBB227_679:                            ;   in Loop: Header=BB227_428 Depth=1
	s_or_b64 exec, exec, s[26:27]
.LBB227_680:                            ;   in Loop: Header=BB227_428 Depth=1
	s_or_b64 exec, exec, s[24:25]
	v_cmp_lt_u32_e64 s[4:5], s30, v4
	s_and_saveexec_b64 s[24:25], s[4:5]
	s_cbranch_execz .LBB227_686
; %bb.681:                              ;   in Loop: Header=BB227_428 Depth=1
	v_cmp_ne_u32_sdwa s[4:5], v4, s7 src0_sel:BYTE_3 src1_sel:DWORD
	v_pk_mov_b32 v[28:29], s[10:11], s[10:11] op_sel:[0,1]
	s_and_saveexec_b64 s[26:27], s[4:5]
	s_cbranch_execz .LBB227_685
; %bb.682:                              ;   in Loop: Header=BB227_428 Depth=1
	v_bfe_u32 v5, v4, 24, 7
	s_mov_b32 s22, s10
	v_cmp_ne_u32_e64 s[4:5], s15, v5
	v_pk_mov_b32 v[28:29], s[22:23], s[22:23] op_sel:[0,1]
	s_and_saveexec_b64 s[28:29], s[4:5]
	s_cbranch_execz .LBB227_684
; %bb.683:                              ;   in Loop: Header=BB227_428 Depth=1
	v_mov_b32_e32 v6, 7
	v_and_b32_sdwa v54, v4, v6 dst_sel:DWORD dst_unused:UNUSED_PAD src0_sel:BYTE_3 src1_sel:DWORD
	v_ffbh_u32_e32 v28, v54
	v_min_u32_e32 v33, 32, v28
	v_subrev_u32_e32 v28, 28, v33
	v_lshlrev_b64 v[28:29], v28, v[54:55]
	v_lshrrev_b32_e32 v32, 3, v5
	v_sub_u32_e32 v29, 29, v33
	v_cmp_gt_u32_e64 s[4:5], 8, v5
	v_and_b32_e32 v28, 7, v28
	v_cndmask_b32_e64 v5, v32, v29, s[4:5]
	v_mov_b32_e32 v6, 24
	v_cndmask_b32_e64 v28, v54, v28, s[4:5]
	v_lshlrev_b32_sdwa v4, v6, v4 dst_sel:DWORD dst_unused:UNUSED_PAD src0_sel:DWORD src1_sel:BYTE_3
	v_lshl_add_u32 v5, v5, 23, v62
	v_and_or_b32 v4, v4, s11, v5
	v_lshlrev_b32_e32 v5, 20, v28
	v_or_b32_e32 v29, v4, v5
	v_mov_b32_e32 v28, v55
.LBB227_684:                            ;   in Loop: Header=BB227_428 Depth=1
	s_or_b64 exec, exec, s[28:29]
.LBB227_685:                            ;   in Loop: Header=BB227_428 Depth=1
	s_or_b64 exec, exec, s[26:27]
.LBB227_686:                            ;   in Loop: Header=BB227_428 Depth=1
	s_or_b64 exec, exec, s[24:25]
	v_or_b32_e32 v5, v39, v31
	v_or_b32_e32 v4, v38, v30
	;; [unrolled: 1-line block ×4, first 2 shown]
	v_pk_mul_f32 v[4:5], v[26:27], v[4:5]
	v_pk_mul_f32 v[38:39], v[26:27], v[10:11]
	s_and_saveexec_b64 s[24:25], vcc
; %bb.687:                              ;   in Loop: Header=BB227_428 Depth=1
	v_accvgpr_read_b32 v6, a13
	v_cmp_lt_i32_e64 s[4:5], v7, v6
	v_accvgpr_read_b32 v10, a17
	v_cndmask_b32_e64 v4, 0, v4, s[4:5]
	v_cmp_lt_i32_e64 s[4:5], v10, v6
	v_accvgpr_read_b32 v10, a9
	v_cndmask_b32_e64 v5, 0, v5, s[4:5]
	v_cmp_lt_i32_e64 s[4:5], v10, v6
	v_cndmask_b32_e64 v38, 0, v38, s[4:5]
	v_cmp_lt_i32_e64 s[4:5], v36, v6
	v_cndmask_b32_e64 v39, 0, v39, s[4:5]
; %bb.688:                              ;   in Loop: Header=BB227_428 Depth=1
	s_or_b64 exec, exec, s[24:25]
	flat_load_dword v30, v[50:51] offset:2560
	v_pk_mov_b32 v[52:53], 0, 0
	v_pk_mov_b32 v[28:29], v[52:53], v[52:53] op_sel:[0,1]
	s_waitcnt vmcnt(0) lgkmcnt(0)
	v_cmp_ne_u16_sdwa s[4:5], v30, v55 src0_sel:BYTE_0 src1_sel:DWORD
	s_and_saveexec_b64 s[24:25], s[4:5]
	s_cbranch_execz .LBB227_694
; %bb.689:                              ;   in Loop: Header=BB227_428 Depth=1
	v_bfrev_b32_e32 v28, 1
	v_cmp_ne_u16_sdwa s[4:5], v30, s7 src0_sel:BYTE_0 src1_sel:DWORD
	v_mov_b32_e32 v29, 0
	s_and_saveexec_b64 s[26:27], s[4:5]
	s_cbranch_execz .LBB227_693
; %bb.690:                              ;   in Loop: Header=BB227_428 Depth=1
	v_and_b32_e32 v10, 0x7f, v30
	v_mov_b32_e32 v28, 0x7f800001
	v_cmp_ne_u32_e64 s[4:5], s15, v10
	v_mov_b32_e32 v29, 0
	s_and_saveexec_b64 s[28:29], s[4:5]
	s_cbranch_execz .LBB227_692
; %bb.691:                              ;   in Loop: Header=BB227_428 Depth=1
	v_and_b32_e32 v11, 7, v30
	v_ffbh_u32_e32 v28, v11
	v_min_u32_e32 v32, 32, v28
	v_lshrrev_b32_e32 v31, 3, v10
	v_subrev_u32_e32 v28, 28, v32
	v_lshlrev_b64 v[28:29], v28, v[30:31]
	v_sub_u32_e32 v29, 29, v32
	v_and_b32_e32 v28, 7, v28
	v_cmp_gt_u32_e64 s[4:5], 8, v10
	v_cndmask_b32_e64 v10, v31, v29, s[4:5]
	v_cndmask_b32_e64 v11, v11, v28, s[4:5]
	v_lshlrev_b32_e32 v11, 20, v11
	v_and_b32_sdwa v28, sext(v30), s11 dst_sel:DWORD dst_unused:UNUSED_PAD src0_sel:BYTE_0 src1_sel:DWORD
	v_lshl_add_u32 v10, v10, 23, v62
	v_or3_b32 v54, v28, v10, v11
	v_pk_mov_b32 v[28:29], v[54:55], v[54:55] op_sel:[0,1]
.LBB227_692:                            ;   in Loop: Header=BB227_428 Depth=1
	s_or_b64 exec, exec, s[28:29]
.LBB227_693:                            ;   in Loop: Header=BB227_428 Depth=1
	s_or_b64 exec, exec, s[26:27]
.LBB227_694:                            ;   in Loop: Header=BB227_428 Depth=1
	s_or_b64 exec, exec, s[24:25]
	v_cmp_ne_u16_sdwa s[4:5], v30, v55 src0_sel:BYTE_1 src1_sel:DWORD
	s_and_saveexec_b64 s[24:25], s[4:5]
	s_cbranch_execz .LBB227_700
; %bb.695:                              ;   in Loop: Header=BB227_428 Depth=1
	v_cmp_ne_u16_sdwa s[4:5], v30, s7 src0_sel:BYTE_1 src1_sel:DWORD
	v_pk_mov_b32 v[52:53], s[10:11], s[10:11] op_sel:[0,1]
	s_and_saveexec_b64 s[26:27], s[4:5]
	s_cbranch_execz .LBB227_699
; %bb.696:                              ;   in Loop: Header=BB227_428 Depth=1
	v_and_b32_sdwa v10, v30, s15 dst_sel:DWORD dst_unused:UNUSED_PAD src0_sel:BYTE_1 src1_sel:DWORD
	s_mov_b32 s22, s10
	v_cmp_ne_u32_e64 s[4:5], s15, v10
	v_pk_mov_b32 v[52:53], s[22:23], s[22:23] op_sel:[0,1]
	s_and_saveexec_b64 s[28:29], s[4:5]
	s_cbranch_execz .LBB227_698
; %bb.697:                              ;   in Loop: Header=BB227_428 Depth=1
	v_mov_b32_e32 v6, 7
	v_and_b32_sdwa v54, v30, v6 dst_sel:DWORD dst_unused:UNUSED_PAD src0_sel:BYTE_1 src1_sel:DWORD
	v_ffbh_u32_e32 v31, v54
	v_min_u32_e32 v31, 32, v31
	v_subrev_u32_e32 v32, 28, v31
	v_lshrrev_b32_e32 v11, 3, v10
	v_lshlrev_b64 v[32:33], v32, v[54:55]
	v_sub_u32_e32 v31, 29, v31
	v_cmp_gt_u32_e64 s[4:5], 8, v10
	v_and_b32_e32 v32, 7, v32
	v_cndmask_b32_e64 v10, v11, v31, s[4:5]
	v_cndmask_b32_e64 v11, v54, v32, s[4:5]
	v_lshlrev_b32_e32 v31, 16, v30
	v_lshl_add_u32 v10, v10, 23, v62
	v_and_or_b32 v10, v31, s11, v10
	v_lshlrev_b32_e32 v11, 20, v11
	v_or_b32_e32 v53, v10, v11
	v_mov_b32_e32 v52, v55
.LBB227_698:                            ;   in Loop: Header=BB227_428 Depth=1
	s_or_b64 exec, exec, s[28:29]
.LBB227_699:                            ;   in Loop: Header=BB227_428 Depth=1
	s_or_b64 exec, exec, s[26:27]
.LBB227_700:                            ;   in Loop: Header=BB227_428 Depth=1
	s_or_b64 exec, exec, s[24:25]
	v_lshrrev_b32_e32 v34, 16, v30
	v_pk_mov_b32 v[32:33], 0, 0
	v_cmp_ne_u16_sdwa s[4:5], v34, v55 src0_sel:BYTE_0 src1_sel:DWORD
	v_pk_mov_b32 v[10:11], v[32:33], v[32:33] op_sel:[0,1]
	s_and_saveexec_b64 s[24:25], s[4:5]
	s_cbranch_execz .LBB227_706
; %bb.701:                              ;   in Loop: Header=BB227_428 Depth=1
	v_bfrev_b32_e32 v10, 1
	v_cmp_ne_u16_sdwa s[4:5], v34, s7 src0_sel:BYTE_0 src1_sel:DWORD
	v_mov_b32_e32 v11, 0
	s_and_saveexec_b64 s[26:27], s[4:5]
	s_cbranch_execz .LBB227_705
; %bb.702:                              ;   in Loop: Header=BB227_428 Depth=1
	v_bfe_u32 v31, v30, 16, 7
	v_mov_b32_e32 v10, 0x7f800001
	v_cmp_ne_u32_e64 s[4:5], s15, v31
	v_mov_b32_e32 v11, 0
	s_and_saveexec_b64 s[28:29], s[4:5]
	s_cbranch_execz .LBB227_704
; %bb.703:                              ;   in Loop: Header=BB227_428 Depth=1
	v_and_b32_e32 v35, 7, v34
	v_accvgpr_write_b32 a28, v48
	v_ffbh_u32_e32 v10, v35
	v_accvgpr_write_b32 a29, v49
	v_min_u32_e32 v49, 32, v10
	v_subrev_u32_e32 v10, 28, v49
	v_lshlrev_b64 v[10:11], v10, v[34:35]
	v_lshrrev_b32_e32 v48, 3, v31
	v_sub_u32_e32 v11, 29, v49
	v_and_b32_e32 v10, 7, v10
	v_cmp_gt_u32_e64 s[4:5], 8, v31
	v_cndmask_b32_e64 v11, v48, v11, s[4:5]
	v_cndmask_b32_e64 v10, v35, v10, s[4:5]
	v_lshlrev_b32_e32 v10, 20, v10
	v_and_b32_sdwa v31, sext(v34), s11 dst_sel:DWORD dst_unused:UNUSED_PAD src0_sel:BYTE_0 src1_sel:DWORD
	v_lshl_add_u32 v11, v11, 23, v62
	v_accvgpr_read_b32 v49, a29
	v_or3_b32 v54, v31, v11, v10
	v_accvgpr_read_b32 v48, a28
	v_pk_mov_b32 v[10:11], v[54:55], v[54:55] op_sel:[0,1]
.LBB227_704:                            ;   in Loop: Header=BB227_428 Depth=1
	s_or_b64 exec, exec, s[28:29]
.LBB227_705:                            ;   in Loop: Header=BB227_428 Depth=1
	s_or_b64 exec, exec, s[26:27]
.LBB227_706:                            ;   in Loop: Header=BB227_428 Depth=1
	s_or_b64 exec, exec, s[24:25]
	v_cmp_lt_u32_e64 s[4:5], s30, v30
	s_and_saveexec_b64 s[24:25], s[4:5]
	s_cbranch_execz .LBB227_712
; %bb.707:                              ;   in Loop: Header=BB227_428 Depth=1
	v_cmp_ne_u32_sdwa s[4:5], v30, s7 src0_sel:BYTE_3 src1_sel:DWORD
	v_pk_mov_b32 v[32:33], s[10:11], s[10:11] op_sel:[0,1]
	s_and_saveexec_b64 s[26:27], s[4:5]
	s_cbranch_execz .LBB227_711
; %bb.708:                              ;   in Loop: Header=BB227_428 Depth=1
	v_bfe_u32 v31, v30, 24, 7
	s_mov_b32 s22, s10
	v_cmp_ne_u32_e64 s[4:5], s15, v31
	v_pk_mov_b32 v[32:33], s[22:23], s[22:23] op_sel:[0,1]
	s_and_saveexec_b64 s[28:29], s[4:5]
	s_cbranch_execz .LBB227_710
; %bb.709:                              ;   in Loop: Header=BB227_428 Depth=1
	v_mov_b32_e32 v6, 7
	v_and_b32_sdwa v54, v30, v6 dst_sel:DWORD dst_unused:UNUSED_PAD src0_sel:BYTE_3 src1_sel:DWORD
	v_ffbh_u32_e32 v32, v54
	v_min_u32_e32 v35, 32, v32
	v_subrev_u32_e32 v32, 28, v35
	v_lshlrev_b64 v[32:33], v32, v[54:55]
	v_lshrrev_b32_e32 v34, 3, v31
	v_sub_u32_e32 v33, 29, v35
	v_cmp_gt_u32_e64 s[4:5], 8, v31
	v_and_b32_e32 v32, 7, v32
	v_cndmask_b32_e64 v31, v34, v33, s[4:5]
	v_mov_b32_e32 v6, 24
	v_cndmask_b32_e64 v32, v54, v32, s[4:5]
	v_lshlrev_b32_sdwa v30, v6, v30 dst_sel:DWORD dst_unused:UNUSED_PAD src0_sel:DWORD src1_sel:BYTE_3
	v_lshl_add_u32 v31, v31, 23, v62
	v_and_or_b32 v30, v30, s11, v31
	v_lshlrev_b32_e32 v31, 20, v32
	v_or_b32_e32 v33, v30, v31
	v_mov_b32_e32 v32, v55
.LBB227_710:                            ;   in Loop: Header=BB227_428 Depth=1
	s_or_b64 exec, exec, s[28:29]
.LBB227_711:                            ;   in Loop: Header=BB227_428 Depth=1
	s_or_b64 exec, exec, s[26:27]
.LBB227_712:                            ;   in Loop: Header=BB227_428 Depth=1
	s_or_b64 exec, exec, s[24:25]
	v_or_b32_e32 v29, v53, v29
	v_or_b32_e32 v28, v52, v28
	v_or_b32_e32 v11, v33, v11
	v_or_b32_e32 v10, v32, v10
	v_pk_mul_f32 v[60:61], v[26:27], v[28:29]
	v_pk_mul_f32 v[52:53], v[26:27], v[10:11]
	s_and_saveexec_b64 s[24:25], vcc
; %bb.713:                              ;   in Loop: Header=BB227_428 Depth=1
	v_accvgpr_read_b32 v6, a13
	v_cmp_lt_i32_e64 s[4:5], v7, v6
	v_accvgpr_read_b32 v10, a17
	v_cndmask_b32_e64 v60, 0, v60, s[4:5]
	v_cmp_lt_i32_e64 s[4:5], v10, v6
	v_accvgpr_read_b32 v10, a9
	v_cndmask_b32_e64 v61, 0, v61, s[4:5]
	v_cmp_lt_i32_e64 s[4:5], v10, v6
	v_cndmask_b32_e64 v52, 0, v52, s[4:5]
	v_cmp_lt_i32_e64 s[4:5], v36, v6
	v_cndmask_b32_e64 v53, 0, v53, s[4:5]
; %bb.714:                              ;   in Loop: Header=BB227_428 Depth=1
	s_or_b64 exec, exec, s[24:25]
	flat_load_dword v30, v[50:51] offset:2816
	v_pk_mov_b32 v[40:41], 0, 0
	v_pk_mov_b32 v[32:33], v[40:41], v[40:41] op_sel:[0,1]
	s_waitcnt vmcnt(0) lgkmcnt(0)
	v_cmp_ne_u16_sdwa s[4:5], v30, v55 src0_sel:BYTE_0 src1_sel:DWORD
	s_and_saveexec_b64 s[24:25], s[4:5]
	s_cbranch_execz .LBB227_720
; %bb.715:                              ;   in Loop: Header=BB227_428 Depth=1
	v_bfrev_b32_e32 v32, 1
	v_cmp_ne_u16_sdwa s[4:5], v30, s7 src0_sel:BYTE_0 src1_sel:DWORD
	v_mov_b32_e32 v33, 0
	s_and_saveexec_b64 s[26:27], s[4:5]
	s_cbranch_execz .LBB227_719
; %bb.716:                              ;   in Loop: Header=BB227_428 Depth=1
	v_and_b32_e32 v10, 0x7f, v30
	v_mov_b32_e32 v32, 0x7f800001
	v_cmp_ne_u32_e64 s[4:5], s15, v10
	v_mov_b32_e32 v33, 0
	s_and_saveexec_b64 s[28:29], s[4:5]
	s_cbranch_execz .LBB227_718
; %bb.717:                              ;   in Loop: Header=BB227_428 Depth=1
	v_and_b32_e32 v11, 7, v30
	v_ffbh_u32_e32 v28, v11
	v_min_u32_e32 v32, 32, v28
	v_lshrrev_b32_e32 v31, 3, v10
	v_subrev_u32_e32 v28, 28, v32
	v_lshlrev_b64 v[28:29], v28, v[30:31]
	v_sub_u32_e32 v29, 29, v32
	v_and_b32_e32 v28, 7, v28
	v_cmp_gt_u32_e64 s[4:5], 8, v10
	v_cndmask_b32_e64 v10, v31, v29, s[4:5]
	v_cndmask_b32_e64 v11, v11, v28, s[4:5]
	v_lshlrev_b32_e32 v11, 20, v11
	v_and_b32_sdwa v28, sext(v30), s11 dst_sel:DWORD dst_unused:UNUSED_PAD src0_sel:BYTE_0 src1_sel:DWORD
	v_lshl_add_u32 v10, v10, 23, v62
	v_or3_b32 v54, v28, v10, v11
	v_pk_mov_b32 v[32:33], v[54:55], v[54:55] op_sel:[0,1]
.LBB227_718:                            ;   in Loop: Header=BB227_428 Depth=1
	s_or_b64 exec, exec, s[28:29]
.LBB227_719:                            ;   in Loop: Header=BB227_428 Depth=1
	s_or_b64 exec, exec, s[26:27]
.LBB227_720:                            ;   in Loop: Header=BB227_428 Depth=1
	s_or_b64 exec, exec, s[24:25]
	v_cmp_ne_u16_sdwa s[4:5], v30, v55 src0_sel:BYTE_1 src1_sel:DWORD
	s_and_saveexec_b64 s[24:25], s[4:5]
	s_cbranch_execz .LBB227_726
; %bb.721:                              ;   in Loop: Header=BB227_428 Depth=1
	v_cmp_ne_u16_sdwa s[4:5], v30, s7 src0_sel:BYTE_1 src1_sel:DWORD
	v_pk_mov_b32 v[40:41], s[10:11], s[10:11] op_sel:[0,1]
	s_and_saveexec_b64 s[26:27], s[4:5]
	s_cbranch_execz .LBB227_725
; %bb.722:                              ;   in Loop: Header=BB227_428 Depth=1
	v_and_b32_sdwa v10, v30, s15 dst_sel:DWORD dst_unused:UNUSED_PAD src0_sel:BYTE_1 src1_sel:DWORD
	s_mov_b32 s22, s10
	v_cmp_ne_u32_e64 s[4:5], s15, v10
	v_pk_mov_b32 v[40:41], s[22:23], s[22:23] op_sel:[0,1]
	s_and_saveexec_b64 s[28:29], s[4:5]
	s_cbranch_execz .LBB227_724
; %bb.723:                              ;   in Loop: Header=BB227_428 Depth=1
	v_mov_b32_e32 v6, 7
	v_and_b32_sdwa v54, v30, v6 dst_sel:DWORD dst_unused:UNUSED_PAD src0_sel:BYTE_1 src1_sel:DWORD
	v_ffbh_u32_e32 v28, v54
	v_min_u32_e32 v31, 32, v28
	v_subrev_u32_e32 v28, 28, v31
	v_lshlrev_b64 v[28:29], v28, v[54:55]
	v_lshrrev_b32_e32 v11, 3, v10
	v_sub_u32_e32 v29, 29, v31
	v_cmp_gt_u32_e64 s[4:5], 8, v10
	v_and_b32_e32 v28, 7, v28
	v_cndmask_b32_e64 v10, v11, v29, s[4:5]
	v_cndmask_b32_e64 v11, v54, v28, s[4:5]
	v_lshlrev_b32_e32 v28, 16, v30
	v_lshl_add_u32 v10, v10, 23, v62
	v_and_or_b32 v10, v28, s11, v10
	v_lshlrev_b32_e32 v11, 20, v11
	v_or_b32_e32 v41, v10, v11
	v_mov_b32_e32 v40, v55
.LBB227_724:                            ;   in Loop: Header=BB227_428 Depth=1
	s_or_b64 exec, exec, s[28:29]
.LBB227_725:                            ;   in Loop: Header=BB227_428 Depth=1
	s_or_b64 exec, exec, s[26:27]
.LBB227_726:                            ;   in Loop: Header=BB227_428 Depth=1
	s_or_b64 exec, exec, s[24:25]
	v_lshrrev_b32_e32 v34, 16, v30
	v_pk_mov_b32 v[28:29], 0, 0
	v_cmp_ne_u16_sdwa s[4:5], v34, v55 src0_sel:BYTE_0 src1_sel:DWORD
	v_pk_mov_b32 v[10:11], v[28:29], v[28:29] op_sel:[0,1]
	s_and_saveexec_b64 s[24:25], s[4:5]
	s_cbranch_execz .LBB227_732
; %bb.727:                              ;   in Loop: Header=BB227_428 Depth=1
	v_bfrev_b32_e32 v10, 1
	v_cmp_ne_u16_sdwa s[4:5], v34, s7 src0_sel:BYTE_0 src1_sel:DWORD
	v_mov_b32_e32 v11, 0
	s_and_saveexec_b64 s[26:27], s[4:5]
	s_cbranch_execz .LBB227_731
; %bb.728:                              ;   in Loop: Header=BB227_428 Depth=1
	v_bfe_u32 v31, v30, 16, 7
	v_mov_b32_e32 v10, 0x7f800001
	v_cmp_ne_u32_e64 s[4:5], s15, v31
	v_mov_b32_e32 v11, 0
	s_and_saveexec_b64 s[28:29], s[4:5]
	s_cbranch_execz .LBB227_730
; %bb.729:                              ;   in Loop: Header=BB227_428 Depth=1
	v_and_b32_e32 v35, 7, v34
	v_accvgpr_write_b32 a28, v48
	v_ffbh_u32_e32 v10, v35
	v_accvgpr_write_b32 a29, v49
	v_min_u32_e32 v49, 32, v10
	v_subrev_u32_e32 v10, 28, v49
	v_lshlrev_b64 v[10:11], v10, v[34:35]
	v_lshrrev_b32_e32 v48, 3, v31
	v_sub_u32_e32 v11, 29, v49
	v_and_b32_e32 v10, 7, v10
	v_cmp_gt_u32_e64 s[4:5], 8, v31
	v_cndmask_b32_e64 v11, v48, v11, s[4:5]
	v_cndmask_b32_e64 v10, v35, v10, s[4:5]
	v_lshlrev_b32_e32 v10, 20, v10
	v_and_b32_sdwa v31, sext(v34), s11 dst_sel:DWORD dst_unused:UNUSED_PAD src0_sel:BYTE_0 src1_sel:DWORD
	v_lshl_add_u32 v11, v11, 23, v62
	v_accvgpr_read_b32 v49, a29
	v_or3_b32 v54, v31, v11, v10
	v_accvgpr_read_b32 v48, a28
	v_pk_mov_b32 v[10:11], v[54:55], v[54:55] op_sel:[0,1]
.LBB227_730:                            ;   in Loop: Header=BB227_428 Depth=1
	s_or_b64 exec, exec, s[28:29]
.LBB227_731:                            ;   in Loop: Header=BB227_428 Depth=1
	s_or_b64 exec, exec, s[26:27]
.LBB227_732:                            ;   in Loop: Header=BB227_428 Depth=1
	s_or_b64 exec, exec, s[24:25]
	v_cmp_lt_u32_e64 s[4:5], s30, v30
	s_and_saveexec_b64 s[24:25], s[4:5]
	s_cbranch_execz .LBB227_738
; %bb.733:                              ;   in Loop: Header=BB227_428 Depth=1
	v_cmp_ne_u32_sdwa s[4:5], v30, s7 src0_sel:BYTE_3 src1_sel:DWORD
	v_pk_mov_b32 v[28:29], s[10:11], s[10:11] op_sel:[0,1]
	s_and_saveexec_b64 s[26:27], s[4:5]
	s_cbranch_execz .LBB227_737
; %bb.734:                              ;   in Loop: Header=BB227_428 Depth=1
	v_bfe_u32 v31, v30, 24, 7
	s_mov_b32 s22, s10
	v_cmp_ne_u32_e64 s[4:5], s15, v31
	v_pk_mov_b32 v[28:29], s[22:23], s[22:23] op_sel:[0,1]
	s_and_saveexec_b64 s[28:29], s[4:5]
	s_cbranch_execz .LBB227_736
; %bb.735:                              ;   in Loop: Header=BB227_428 Depth=1
	v_mov_b32_e32 v6, 7
	v_and_b32_sdwa v54, v30, v6 dst_sel:DWORD dst_unused:UNUSED_PAD src0_sel:BYTE_3 src1_sel:DWORD
	v_ffbh_u32_e32 v28, v54
	v_min_u32_e32 v35, 32, v28
	v_subrev_u32_e32 v28, 28, v35
	v_lshlrev_b64 v[28:29], v28, v[54:55]
	v_lshrrev_b32_e32 v34, 3, v31
	v_sub_u32_e32 v29, 29, v35
	v_cmp_gt_u32_e64 s[4:5], 8, v31
	v_and_b32_e32 v28, 7, v28
	v_cndmask_b32_e64 v29, v34, v29, s[4:5]
	v_mov_b32_e32 v6, 24
	v_cndmask_b32_e64 v28, v54, v28, s[4:5]
	v_lshlrev_b32_sdwa v30, v6, v30 dst_sel:DWORD dst_unused:UNUSED_PAD src0_sel:DWORD src1_sel:BYTE_3
	v_lshl_add_u32 v29, v29, 23, v62
	v_and_or_b32 v29, v30, s11, v29
	v_lshlrev_b32_e32 v28, 20, v28
	v_or_b32_e32 v29, v29, v28
	v_mov_b32_e32 v28, v55
.LBB227_736:                            ;   in Loop: Header=BB227_428 Depth=1
	s_or_b64 exec, exec, s[28:29]
.LBB227_737:                            ;   in Loop: Header=BB227_428 Depth=1
	s_or_b64 exec, exec, s[26:27]
.LBB227_738:                            ;   in Loop: Header=BB227_428 Depth=1
	s_or_b64 exec, exec, s[24:25]
	v_or_b32_e32 v31, v41, v33
	v_or_b32_e32 v30, v40, v32
	;; [unrolled: 1-line block ×4, first 2 shown]
	v_pk_mul_f32 v[34:35], v[26:27], v[30:31]
	v_pk_mul_f32 v[40:41], v[26:27], v[10:11]
	s_and_saveexec_b64 s[24:25], vcc
; %bb.739:                              ;   in Loop: Header=BB227_428 Depth=1
	v_accvgpr_read_b32 v6, a13
	v_cmp_lt_i32_e64 s[4:5], v7, v6
	v_accvgpr_read_b32 v10, a17
	v_cndmask_b32_e64 v34, 0, v34, s[4:5]
	v_cmp_lt_i32_e64 s[4:5], v10, v6
	v_accvgpr_read_b32 v10, a9
	v_cndmask_b32_e64 v35, 0, v35, s[4:5]
	v_cmp_lt_i32_e64 s[4:5], v10, v6
	v_cndmask_b32_e64 v40, 0, v40, s[4:5]
	v_cmp_lt_i32_e64 s[4:5], v36, v6
	v_cndmask_b32_e64 v41, 0, v41, s[4:5]
; %bb.740:                              ;   in Loop: Header=BB227_428 Depth=1
	s_or_b64 exec, exec, s[24:25]
	flat_load_dword v30, v[50:51] offset:3072
	v_pk_mov_b32 v[44:45], 0, 0
	v_pk_mov_b32 v[42:43], v[44:45], v[44:45] op_sel:[0,1]
	s_waitcnt vmcnt(0) lgkmcnt(0)
	v_cmp_ne_u16_sdwa s[4:5], v30, v55 src0_sel:BYTE_0 src1_sel:DWORD
	s_and_saveexec_b64 s[24:25], s[4:5]
	s_cbranch_execz .LBB227_746
; %bb.741:                              ;   in Loop: Header=BB227_428 Depth=1
	v_bfrev_b32_e32 v42, 1
	v_cmp_ne_u16_sdwa s[4:5], v30, s7 src0_sel:BYTE_0 src1_sel:DWORD
	v_mov_b32_e32 v43, 0
	s_and_saveexec_b64 s[26:27], s[4:5]
	s_cbranch_execz .LBB227_745
; %bb.742:                              ;   in Loop: Header=BB227_428 Depth=1
	v_and_b32_e32 v10, 0x7f, v30
	v_mov_b32_e32 v42, 0x7f800001
	v_cmp_ne_u32_e64 s[4:5], s15, v10
	v_mov_b32_e32 v43, 0
	s_and_saveexec_b64 s[28:29], s[4:5]
	s_cbranch_execz .LBB227_744
; %bb.743:                              ;   in Loop: Header=BB227_428 Depth=1
	v_and_b32_e32 v11, 7, v30
	v_ffbh_u32_e32 v28, v11
	v_min_u32_e32 v32, 32, v28
	v_lshrrev_b32_e32 v31, 3, v10
	v_subrev_u32_e32 v28, 28, v32
	v_lshlrev_b64 v[28:29], v28, v[30:31]
	v_sub_u32_e32 v29, 29, v32
	v_and_b32_e32 v28, 7, v28
	v_cmp_gt_u32_e64 s[4:5], 8, v10
	v_cndmask_b32_e64 v10, v31, v29, s[4:5]
	v_cndmask_b32_e64 v11, v11, v28, s[4:5]
	v_lshlrev_b32_e32 v11, 20, v11
	v_and_b32_sdwa v28, sext(v30), s11 dst_sel:DWORD dst_unused:UNUSED_PAD src0_sel:BYTE_0 src1_sel:DWORD
	v_lshl_add_u32 v10, v10, 23, v62
	v_or3_b32 v54, v28, v10, v11
	v_pk_mov_b32 v[42:43], v[54:55], v[54:55] op_sel:[0,1]
.LBB227_744:                            ;   in Loop: Header=BB227_428 Depth=1
	s_or_b64 exec, exec, s[28:29]
.LBB227_745:                            ;   in Loop: Header=BB227_428 Depth=1
	s_or_b64 exec, exec, s[26:27]
.LBB227_746:                            ;   in Loop: Header=BB227_428 Depth=1
	s_or_b64 exec, exec, s[24:25]
	v_cmp_ne_u16_sdwa s[4:5], v30, v55 src0_sel:BYTE_1 src1_sel:DWORD
	s_and_saveexec_b64 s[24:25], s[4:5]
	s_cbranch_execz .LBB227_752
; %bb.747:                              ;   in Loop: Header=BB227_428 Depth=1
	v_cmp_ne_u16_sdwa s[4:5], v30, s7 src0_sel:BYTE_1 src1_sel:DWORD
	v_pk_mov_b32 v[44:45], s[10:11], s[10:11] op_sel:[0,1]
	s_and_saveexec_b64 s[26:27], s[4:5]
	s_cbranch_execz .LBB227_751
; %bb.748:                              ;   in Loop: Header=BB227_428 Depth=1
	v_and_b32_sdwa v10, v30, s15 dst_sel:DWORD dst_unused:UNUSED_PAD src0_sel:BYTE_1 src1_sel:DWORD
	s_mov_b32 s22, s10
	v_cmp_ne_u32_e64 s[4:5], s15, v10
	v_pk_mov_b32 v[44:45], s[22:23], s[22:23] op_sel:[0,1]
	s_and_saveexec_b64 s[28:29], s[4:5]
	s_cbranch_execz .LBB227_750
; %bb.749:                              ;   in Loop: Header=BB227_428 Depth=1
	v_mov_b32_e32 v6, 7
	v_and_b32_sdwa v54, v30, v6 dst_sel:DWORD dst_unused:UNUSED_PAD src0_sel:BYTE_1 src1_sel:DWORD
	v_ffbh_u32_e32 v28, v54
	v_min_u32_e32 v31, 32, v28
	v_subrev_u32_e32 v28, 28, v31
	v_lshlrev_b64 v[28:29], v28, v[54:55]
	v_lshrrev_b32_e32 v11, 3, v10
	v_sub_u32_e32 v29, 29, v31
	v_cmp_gt_u32_e64 s[4:5], 8, v10
	v_and_b32_e32 v28, 7, v28
	v_cndmask_b32_e64 v10, v11, v29, s[4:5]
	v_cndmask_b32_e64 v11, v54, v28, s[4:5]
	v_lshlrev_b32_e32 v28, 16, v30
	v_lshl_add_u32 v10, v10, 23, v62
	v_and_or_b32 v10, v28, s11, v10
	v_lshlrev_b32_e32 v11, 20, v11
	v_or_b32_e32 v45, v10, v11
	v_mov_b32_e32 v44, v55
.LBB227_750:                            ;   in Loop: Header=BB227_428 Depth=1
	s_or_b64 exec, exec, s[28:29]
.LBB227_751:                            ;   in Loop: Header=BB227_428 Depth=1
	s_or_b64 exec, exec, s[26:27]
.LBB227_752:                            ;   in Loop: Header=BB227_428 Depth=1
	s_or_b64 exec, exec, s[24:25]
	v_lshrrev_b32_e32 v32, 16, v30
	v_pk_mov_b32 v[28:29], 0, 0
	v_cmp_ne_u16_sdwa s[4:5], v32, v55 src0_sel:BYTE_0 src1_sel:DWORD
	v_pk_mov_b32 v[10:11], v[28:29], v[28:29] op_sel:[0,1]
	s_and_saveexec_b64 s[24:25], s[4:5]
	s_cbranch_execz .LBB227_758
; %bb.753:                              ;   in Loop: Header=BB227_428 Depth=1
	v_bfrev_b32_e32 v10, 1
	v_cmp_ne_u16_sdwa s[4:5], v32, s7 src0_sel:BYTE_0 src1_sel:DWORD
	v_mov_b32_e32 v11, 0
	s_and_saveexec_b64 s[26:27], s[4:5]
	s_cbranch_execz .LBB227_757
; %bb.754:                              ;   in Loop: Header=BB227_428 Depth=1
	v_bfe_u32 v31, v30, 16, 7
	v_mov_b32_e32 v10, 0x7f800001
	v_cmp_ne_u32_e64 s[4:5], s15, v31
	v_mov_b32_e32 v11, 0
	s_and_saveexec_b64 s[28:29], s[4:5]
	s_cbranch_execz .LBB227_756
; %bb.755:                              ;   in Loop: Header=BB227_428 Depth=1
	v_and_b32_e32 v33, 7, v32
	v_accvgpr_write_b32 a28, v48
	v_ffbh_u32_e32 v10, v33
	v_accvgpr_write_b32 a29, v49
	v_min_u32_e32 v49, 32, v10
	v_subrev_u32_e32 v10, 28, v49
	v_lshlrev_b64 v[10:11], v10, v[32:33]
	v_lshrrev_b32_e32 v48, 3, v31
	v_sub_u32_e32 v11, 29, v49
	v_and_b32_e32 v10, 7, v10
	v_cmp_gt_u32_e64 s[4:5], 8, v31
	v_cndmask_b32_e64 v11, v48, v11, s[4:5]
	v_cndmask_b32_e64 v10, v33, v10, s[4:5]
	v_lshlrev_b32_e32 v10, 20, v10
	v_and_b32_sdwa v31, sext(v32), s11 dst_sel:DWORD dst_unused:UNUSED_PAD src0_sel:BYTE_0 src1_sel:DWORD
	v_lshl_add_u32 v11, v11, 23, v62
	v_accvgpr_read_b32 v49, a29
	v_or3_b32 v54, v31, v11, v10
	v_accvgpr_read_b32 v48, a28
	v_pk_mov_b32 v[10:11], v[54:55], v[54:55] op_sel:[0,1]
.LBB227_756:                            ;   in Loop: Header=BB227_428 Depth=1
	s_or_b64 exec, exec, s[28:29]
.LBB227_757:                            ;   in Loop: Header=BB227_428 Depth=1
	s_or_b64 exec, exec, s[26:27]
.LBB227_758:                            ;   in Loop: Header=BB227_428 Depth=1
	s_or_b64 exec, exec, s[24:25]
	v_cmp_lt_u32_e64 s[4:5], s30, v30
	s_and_saveexec_b64 s[24:25], s[4:5]
	s_cbranch_execz .LBB227_764
; %bb.759:                              ;   in Loop: Header=BB227_428 Depth=1
	v_cmp_ne_u32_sdwa s[4:5], v30, s7 src0_sel:BYTE_3 src1_sel:DWORD
	v_pk_mov_b32 v[28:29], s[10:11], s[10:11] op_sel:[0,1]
	s_and_saveexec_b64 s[26:27], s[4:5]
	s_cbranch_execz .LBB227_763
; %bb.760:                              ;   in Loop: Header=BB227_428 Depth=1
	v_bfe_u32 v31, v30, 24, 7
	s_mov_b32 s22, s10
	v_cmp_ne_u32_e64 s[4:5], s15, v31
	v_pk_mov_b32 v[28:29], s[22:23], s[22:23] op_sel:[0,1]
	s_and_saveexec_b64 s[28:29], s[4:5]
	s_cbranch_execz .LBB227_762
; %bb.761:                              ;   in Loop: Header=BB227_428 Depth=1
	v_mov_b32_e32 v6, 7
	v_and_b32_sdwa v54, v30, v6 dst_sel:DWORD dst_unused:UNUSED_PAD src0_sel:BYTE_3 src1_sel:DWORD
	v_ffbh_u32_e32 v28, v54
	v_min_u32_e32 v33, 32, v28
	v_subrev_u32_e32 v28, 28, v33
	v_lshlrev_b64 v[28:29], v28, v[54:55]
	v_lshrrev_b32_e32 v32, 3, v31
	v_sub_u32_e32 v29, 29, v33
	v_cmp_gt_u32_e64 s[4:5], 8, v31
	v_and_b32_e32 v28, 7, v28
	v_cndmask_b32_e64 v29, v32, v29, s[4:5]
	v_mov_b32_e32 v6, 24
	v_cndmask_b32_e64 v28, v54, v28, s[4:5]
	v_lshlrev_b32_sdwa v30, v6, v30 dst_sel:DWORD dst_unused:UNUSED_PAD src0_sel:DWORD src1_sel:BYTE_3
	v_lshl_add_u32 v29, v29, 23, v62
	v_and_or_b32 v29, v30, s11, v29
	v_lshlrev_b32_e32 v28, 20, v28
	v_or_b32_e32 v29, v29, v28
	v_mov_b32_e32 v28, v55
.LBB227_762:                            ;   in Loop: Header=BB227_428 Depth=1
	s_or_b64 exec, exec, s[28:29]
.LBB227_763:                            ;   in Loop: Header=BB227_428 Depth=1
	s_or_b64 exec, exec, s[26:27]
.LBB227_764:                            ;   in Loop: Header=BB227_428 Depth=1
	s_or_b64 exec, exec, s[24:25]
	v_or_b32_e32 v31, v45, v43
	v_or_b32_e32 v30, v44, v42
	;; [unrolled: 1-line block ×4, first 2 shown]
	v_pk_mul_f32 v[42:43], v[26:27], v[30:31]
	v_pk_mul_f32 v[44:45], v[26:27], v[10:11]
	s_and_saveexec_b64 s[24:25], vcc
; %bb.765:                              ;   in Loop: Header=BB227_428 Depth=1
	v_accvgpr_read_b32 v6, a13
	v_cmp_lt_i32_e64 s[4:5], v7, v6
	v_accvgpr_read_b32 v10, a17
	v_cndmask_b32_e64 v42, 0, v42, s[4:5]
	v_cmp_lt_i32_e64 s[4:5], v10, v6
	v_accvgpr_read_b32 v10, a9
	v_cndmask_b32_e64 v43, 0, v43, s[4:5]
	v_cmp_lt_i32_e64 s[4:5], v10, v6
	v_cndmask_b32_e64 v44, 0, v44, s[4:5]
	v_cmp_lt_i32_e64 s[4:5], v36, v6
	v_cndmask_b32_e64 v45, 0, v45, s[4:5]
; %bb.766:                              ;   in Loop: Header=BB227_428 Depth=1
	s_or_b64 exec, exec, s[24:25]
	flat_load_dword v30, v[50:51] offset:3328
	v_pk_mov_b32 v[56:57], 0, 0
	v_pk_mov_b32 v[46:47], v[56:57], v[56:57] op_sel:[0,1]
	s_waitcnt vmcnt(0) lgkmcnt(0)
	v_cmp_ne_u16_sdwa s[4:5], v30, v55 src0_sel:BYTE_0 src1_sel:DWORD
	s_and_saveexec_b64 s[24:25], s[4:5]
	s_cbranch_execz .LBB227_772
; %bb.767:                              ;   in Loop: Header=BB227_428 Depth=1
	v_bfrev_b32_e32 v46, 1
	v_cmp_ne_u16_sdwa s[4:5], v30, s7 src0_sel:BYTE_0 src1_sel:DWORD
	v_mov_b32_e32 v47, 0
	s_and_saveexec_b64 s[26:27], s[4:5]
	s_cbranch_execz .LBB227_771
; %bb.768:                              ;   in Loop: Header=BB227_428 Depth=1
	v_and_b32_e32 v10, 0x7f, v30
	v_mov_b32_e32 v46, 0x7f800001
	v_cmp_ne_u32_e64 s[4:5], s15, v10
	v_mov_b32_e32 v47, 0
	s_and_saveexec_b64 s[28:29], s[4:5]
	s_cbranch_execz .LBB227_770
; %bb.769:                              ;   in Loop: Header=BB227_428 Depth=1
	v_and_b32_e32 v11, 7, v30
	v_ffbh_u32_e32 v28, v11
	v_min_u32_e32 v32, 32, v28
	v_lshrrev_b32_e32 v31, 3, v10
	v_subrev_u32_e32 v28, 28, v32
	v_lshlrev_b64 v[28:29], v28, v[30:31]
	v_sub_u32_e32 v29, 29, v32
	v_and_b32_e32 v28, 7, v28
	v_cmp_gt_u32_e64 s[4:5], 8, v10
	v_cndmask_b32_e64 v10, v31, v29, s[4:5]
	v_cndmask_b32_e64 v11, v11, v28, s[4:5]
	v_lshlrev_b32_e32 v11, 20, v11
	v_and_b32_sdwa v28, sext(v30), s11 dst_sel:DWORD dst_unused:UNUSED_PAD src0_sel:BYTE_0 src1_sel:DWORD
	v_lshl_add_u32 v10, v10, 23, v62
	v_or3_b32 v54, v28, v10, v11
	v_pk_mov_b32 v[46:47], v[54:55], v[54:55] op_sel:[0,1]
.LBB227_770:                            ;   in Loop: Header=BB227_428 Depth=1
	s_or_b64 exec, exec, s[28:29]
.LBB227_771:                            ;   in Loop: Header=BB227_428 Depth=1
	s_or_b64 exec, exec, s[26:27]
.LBB227_772:                            ;   in Loop: Header=BB227_428 Depth=1
	s_or_b64 exec, exec, s[24:25]
	v_cmp_ne_u16_sdwa s[4:5], v30, v55 src0_sel:BYTE_1 src1_sel:DWORD
	s_and_saveexec_b64 s[24:25], s[4:5]
	s_cbranch_execz .LBB227_778
; %bb.773:                              ;   in Loop: Header=BB227_428 Depth=1
	v_cmp_ne_u16_sdwa s[4:5], v30, s7 src0_sel:BYTE_1 src1_sel:DWORD
	v_pk_mov_b32 v[56:57], s[10:11], s[10:11] op_sel:[0,1]
	s_and_saveexec_b64 s[26:27], s[4:5]
	s_cbranch_execz .LBB227_777
; %bb.774:                              ;   in Loop: Header=BB227_428 Depth=1
	v_and_b32_sdwa v10, v30, s15 dst_sel:DWORD dst_unused:UNUSED_PAD src0_sel:BYTE_1 src1_sel:DWORD
	s_mov_b32 s22, s10
	v_cmp_ne_u32_e64 s[4:5], s15, v10
	v_pk_mov_b32 v[56:57], s[22:23], s[22:23] op_sel:[0,1]
	s_and_saveexec_b64 s[28:29], s[4:5]
	s_cbranch_execz .LBB227_776
; %bb.775:                              ;   in Loop: Header=BB227_428 Depth=1
	v_mov_b32_e32 v6, 7
	v_and_b32_sdwa v54, v30, v6 dst_sel:DWORD dst_unused:UNUSED_PAD src0_sel:BYTE_1 src1_sel:DWORD
	v_ffbh_u32_e32 v28, v54
	v_min_u32_e32 v31, 32, v28
	v_subrev_u32_e32 v28, 28, v31
	v_lshlrev_b64 v[28:29], v28, v[54:55]
	v_lshrrev_b32_e32 v11, 3, v10
	v_sub_u32_e32 v29, 29, v31
	v_cmp_gt_u32_e64 s[4:5], 8, v10
	v_and_b32_e32 v28, 7, v28
	v_cndmask_b32_e64 v10, v11, v29, s[4:5]
	v_cndmask_b32_e64 v11, v54, v28, s[4:5]
	v_lshlrev_b32_e32 v28, 16, v30
	v_lshl_add_u32 v10, v10, 23, v62
	v_and_or_b32 v10, v28, s11, v10
	v_lshlrev_b32_e32 v11, 20, v11
	v_or_b32_e32 v57, v10, v11
	v_mov_b32_e32 v56, v55
.LBB227_776:                            ;   in Loop: Header=BB227_428 Depth=1
	s_or_b64 exec, exec, s[28:29]
.LBB227_777:                            ;   in Loop: Header=BB227_428 Depth=1
	s_or_b64 exec, exec, s[26:27]
.LBB227_778:                            ;   in Loop: Header=BB227_428 Depth=1
	s_or_b64 exec, exec, s[24:25]
	v_lshrrev_b32_e32 v32, 16, v30
	v_pk_mov_b32 v[28:29], 0, 0
	v_cmp_ne_u16_sdwa s[4:5], v32, v55 src0_sel:BYTE_0 src1_sel:DWORD
	v_pk_mov_b32 v[10:11], v[28:29], v[28:29] op_sel:[0,1]
	s_and_saveexec_b64 s[24:25], s[4:5]
	s_cbranch_execz .LBB227_784
; %bb.779:                              ;   in Loop: Header=BB227_428 Depth=1
	v_bfrev_b32_e32 v10, 1
	v_cmp_ne_u16_sdwa s[4:5], v32, s7 src0_sel:BYTE_0 src1_sel:DWORD
	v_mov_b32_e32 v11, 0
	s_and_saveexec_b64 s[26:27], s[4:5]
	s_cbranch_execz .LBB227_783
; %bb.780:                              ;   in Loop: Header=BB227_428 Depth=1
	v_bfe_u32 v31, v30, 16, 7
	v_mov_b32_e32 v10, 0x7f800001
	v_cmp_ne_u32_e64 s[4:5], s15, v31
	v_mov_b32_e32 v11, 0
	s_and_saveexec_b64 s[28:29], s[4:5]
	s_cbranch_execz .LBB227_782
; %bb.781:                              ;   in Loop: Header=BB227_428 Depth=1
	v_and_b32_e32 v33, 7, v32
	v_accvgpr_write_b32 a28, v48
	v_ffbh_u32_e32 v10, v33
	v_accvgpr_write_b32 a29, v49
	v_min_u32_e32 v49, 32, v10
	v_subrev_u32_e32 v10, 28, v49
	v_lshlrev_b64 v[10:11], v10, v[32:33]
	v_lshrrev_b32_e32 v48, 3, v31
	v_sub_u32_e32 v11, 29, v49
	v_and_b32_e32 v10, 7, v10
	v_cmp_gt_u32_e64 s[4:5], 8, v31
	v_cndmask_b32_e64 v11, v48, v11, s[4:5]
	v_cndmask_b32_e64 v10, v33, v10, s[4:5]
	v_lshlrev_b32_e32 v10, 20, v10
	v_and_b32_sdwa v31, sext(v32), s11 dst_sel:DWORD dst_unused:UNUSED_PAD src0_sel:BYTE_0 src1_sel:DWORD
	v_lshl_add_u32 v11, v11, 23, v62
	v_accvgpr_read_b32 v49, a29
	v_or3_b32 v54, v31, v11, v10
	v_accvgpr_read_b32 v48, a28
	v_pk_mov_b32 v[10:11], v[54:55], v[54:55] op_sel:[0,1]
.LBB227_782:                            ;   in Loop: Header=BB227_428 Depth=1
	s_or_b64 exec, exec, s[28:29]
.LBB227_783:                            ;   in Loop: Header=BB227_428 Depth=1
	s_or_b64 exec, exec, s[26:27]
.LBB227_784:                            ;   in Loop: Header=BB227_428 Depth=1
	s_or_b64 exec, exec, s[24:25]
	v_cmp_lt_u32_e64 s[4:5], s30, v30
	s_and_saveexec_b64 s[24:25], s[4:5]
	s_cbranch_execz .LBB227_790
; %bb.785:                              ;   in Loop: Header=BB227_428 Depth=1
	v_cmp_ne_u32_sdwa s[4:5], v30, s7 src0_sel:BYTE_3 src1_sel:DWORD
	v_pk_mov_b32 v[28:29], s[10:11], s[10:11] op_sel:[0,1]
	s_and_saveexec_b64 s[26:27], s[4:5]
	s_cbranch_execz .LBB227_789
; %bb.786:                              ;   in Loop: Header=BB227_428 Depth=1
	v_bfe_u32 v31, v30, 24, 7
	s_mov_b32 s22, s10
	v_cmp_ne_u32_e64 s[4:5], s15, v31
	v_pk_mov_b32 v[28:29], s[22:23], s[22:23] op_sel:[0,1]
	s_and_saveexec_b64 s[28:29], s[4:5]
	s_cbranch_execz .LBB227_788
; %bb.787:                              ;   in Loop: Header=BB227_428 Depth=1
	v_mov_b32_e32 v6, 7
	v_and_b32_sdwa v54, v30, v6 dst_sel:DWORD dst_unused:UNUSED_PAD src0_sel:BYTE_3 src1_sel:DWORD
	v_ffbh_u32_e32 v28, v54
	v_min_u32_e32 v33, 32, v28
	v_subrev_u32_e32 v28, 28, v33
	v_lshlrev_b64 v[28:29], v28, v[54:55]
	v_lshrrev_b32_e32 v32, 3, v31
	v_sub_u32_e32 v29, 29, v33
	v_cmp_gt_u32_e64 s[4:5], 8, v31
	v_and_b32_e32 v28, 7, v28
	v_cndmask_b32_e64 v29, v32, v29, s[4:5]
	v_mov_b32_e32 v6, 24
	v_cndmask_b32_e64 v28, v54, v28, s[4:5]
	v_lshlrev_b32_sdwa v30, v6, v30 dst_sel:DWORD dst_unused:UNUSED_PAD src0_sel:DWORD src1_sel:BYTE_3
	v_lshl_add_u32 v29, v29, 23, v62
	v_and_or_b32 v29, v30, s11, v29
	v_lshlrev_b32_e32 v28, 20, v28
	v_or_b32_e32 v29, v29, v28
	v_mov_b32_e32 v28, v55
.LBB227_788:                            ;   in Loop: Header=BB227_428 Depth=1
	s_or_b64 exec, exec, s[28:29]
.LBB227_789:                            ;   in Loop: Header=BB227_428 Depth=1
	s_or_b64 exec, exec, s[26:27]
.LBB227_790:                            ;   in Loop: Header=BB227_428 Depth=1
	s_or_b64 exec, exec, s[24:25]
	v_or_b32_e32 v31, v57, v47
	v_or_b32_e32 v30, v56, v46
	;; [unrolled: 1-line block ×4, first 2 shown]
	v_pk_mul_f32 v[46:47], v[26:27], v[30:31]
	v_pk_mul_f32 v[56:57], v[26:27], v[10:11]
	s_and_saveexec_b64 s[24:25], vcc
; %bb.791:                              ;   in Loop: Header=BB227_428 Depth=1
	v_accvgpr_read_b32 v6, a13
	v_cmp_lt_i32_e64 s[4:5], v7, v6
	v_accvgpr_read_b32 v10, a17
	v_cndmask_b32_e64 v46, 0, v46, s[4:5]
	v_cmp_lt_i32_e64 s[4:5], v10, v6
	v_accvgpr_read_b32 v10, a9
	v_cndmask_b32_e64 v47, 0, v47, s[4:5]
	v_cmp_lt_i32_e64 s[4:5], v10, v6
	v_cndmask_b32_e64 v56, 0, v56, s[4:5]
	v_cmp_lt_i32_e64 s[4:5], v36, v6
	v_cndmask_b32_e64 v57, 0, v57, s[4:5]
; %bb.792:                              ;   in Loop: Header=BB227_428 Depth=1
	s_or_b64 exec, exec, s[24:25]
	flat_load_dword v30, v[50:51] offset:3584
	v_pk_mov_b32 v[58:59], 0, 0
	v_pk_mov_b32 v[50:51], v[58:59], v[58:59] op_sel:[0,1]
	s_waitcnt vmcnt(0) lgkmcnt(0)
	v_cmp_ne_u16_sdwa s[4:5], v30, v55 src0_sel:BYTE_0 src1_sel:DWORD
	s_and_saveexec_b64 s[24:25], s[4:5]
	s_cbranch_execz .LBB227_798
; %bb.793:                              ;   in Loop: Header=BB227_428 Depth=1
	v_bfrev_b32_e32 v50, 1
	v_cmp_ne_u16_sdwa s[4:5], v30, s7 src0_sel:BYTE_0 src1_sel:DWORD
	v_mov_b32_e32 v51, 0
	s_and_saveexec_b64 s[26:27], s[4:5]
	s_cbranch_execz .LBB227_797
; %bb.794:                              ;   in Loop: Header=BB227_428 Depth=1
	v_and_b32_e32 v10, 0x7f, v30
	v_mov_b32_e32 v50, 0x7f800001
	v_cmp_ne_u32_e64 s[4:5], s15, v10
	v_mov_b32_e32 v51, 0
	s_and_saveexec_b64 s[28:29], s[4:5]
	s_cbranch_execz .LBB227_796
; %bb.795:                              ;   in Loop: Header=BB227_428 Depth=1
	v_and_b32_e32 v11, 7, v30
	v_ffbh_u32_e32 v28, v11
	v_min_u32_e32 v32, 32, v28
	v_lshrrev_b32_e32 v31, 3, v10
	v_subrev_u32_e32 v28, 28, v32
	v_lshlrev_b64 v[28:29], v28, v[30:31]
	v_sub_u32_e32 v29, 29, v32
	v_and_b32_e32 v28, 7, v28
	v_cmp_gt_u32_e64 s[4:5], 8, v10
	v_cndmask_b32_e64 v10, v31, v29, s[4:5]
	v_cndmask_b32_e64 v11, v11, v28, s[4:5]
	v_lshlrev_b32_e32 v11, 20, v11
	v_and_b32_sdwa v28, sext(v30), s11 dst_sel:DWORD dst_unused:UNUSED_PAD src0_sel:BYTE_0 src1_sel:DWORD
	v_lshl_add_u32 v10, v10, 23, v62
	v_or3_b32 v54, v28, v10, v11
	v_pk_mov_b32 v[50:51], v[54:55], v[54:55] op_sel:[0,1]
.LBB227_796:                            ;   in Loop: Header=BB227_428 Depth=1
	s_or_b64 exec, exec, s[28:29]
.LBB227_797:                            ;   in Loop: Header=BB227_428 Depth=1
	s_or_b64 exec, exec, s[26:27]
.LBB227_798:                            ;   in Loop: Header=BB227_428 Depth=1
	s_or_b64 exec, exec, s[24:25]
	v_cmp_ne_u16_sdwa s[4:5], v30, v55 src0_sel:BYTE_1 src1_sel:DWORD
	s_and_saveexec_b64 s[24:25], s[4:5]
	s_cbranch_execz .LBB227_804
; %bb.799:                              ;   in Loop: Header=BB227_428 Depth=1
	v_cmp_ne_u16_sdwa s[4:5], v30, s7 src0_sel:BYTE_1 src1_sel:DWORD
	v_pk_mov_b32 v[58:59], s[10:11], s[10:11] op_sel:[0,1]
	s_and_saveexec_b64 s[26:27], s[4:5]
	s_cbranch_execz .LBB227_803
; %bb.800:                              ;   in Loop: Header=BB227_428 Depth=1
	v_and_b32_sdwa v10, v30, s15 dst_sel:DWORD dst_unused:UNUSED_PAD src0_sel:BYTE_1 src1_sel:DWORD
	s_mov_b32 s22, s10
	v_cmp_ne_u32_e64 s[4:5], s15, v10
	v_pk_mov_b32 v[58:59], s[22:23], s[22:23] op_sel:[0,1]
	s_and_saveexec_b64 s[28:29], s[4:5]
	s_cbranch_execz .LBB227_802
; %bb.801:                              ;   in Loop: Header=BB227_428 Depth=1
	v_mov_b32_e32 v6, 7
	v_and_b32_sdwa v54, v30, v6 dst_sel:DWORD dst_unused:UNUSED_PAD src0_sel:BYTE_1 src1_sel:DWORD
	v_ffbh_u32_e32 v28, v54
	v_min_u32_e32 v31, 32, v28
	v_subrev_u32_e32 v28, 28, v31
	v_lshlrev_b64 v[28:29], v28, v[54:55]
	v_lshrrev_b32_e32 v11, 3, v10
	v_sub_u32_e32 v29, 29, v31
	v_cmp_gt_u32_e64 s[4:5], 8, v10
	v_and_b32_e32 v28, 7, v28
	v_cndmask_b32_e64 v10, v11, v29, s[4:5]
	v_cndmask_b32_e64 v11, v54, v28, s[4:5]
	v_lshlrev_b32_e32 v28, 16, v30
	v_lshl_add_u32 v10, v10, 23, v62
	v_and_or_b32 v10, v28, s11, v10
	v_lshlrev_b32_e32 v11, 20, v11
	v_or_b32_e32 v59, v10, v11
	v_mov_b32_e32 v58, v55
.LBB227_802:                            ;   in Loop: Header=BB227_428 Depth=1
	s_or_b64 exec, exec, s[28:29]
.LBB227_803:                            ;   in Loop: Header=BB227_428 Depth=1
	s_or_b64 exec, exec, s[26:27]
.LBB227_804:                            ;   in Loop: Header=BB227_428 Depth=1
	s_or_b64 exec, exec, s[24:25]
	v_lshrrev_b32_e32 v32, 16, v30
	v_pk_mov_b32 v[28:29], 0, 0
	v_cmp_ne_u16_sdwa s[4:5], v32, v55 src0_sel:BYTE_0 src1_sel:DWORD
	v_pk_mov_b32 v[10:11], v[28:29], v[28:29] op_sel:[0,1]
	s_and_saveexec_b64 s[24:25], s[4:5]
	s_cbranch_execz .LBB227_810
; %bb.805:                              ;   in Loop: Header=BB227_428 Depth=1
	v_bfrev_b32_e32 v10, 1
	v_cmp_ne_u16_sdwa s[4:5], v32, s7 src0_sel:BYTE_0 src1_sel:DWORD
	v_mov_b32_e32 v11, 0
	s_and_saveexec_b64 s[26:27], s[4:5]
	s_cbranch_execz .LBB227_809
; %bb.806:                              ;   in Loop: Header=BB227_428 Depth=1
	v_bfe_u32 v31, v30, 16, 7
	v_mov_b32_e32 v10, 0x7f800001
	v_cmp_ne_u32_e64 s[4:5], s15, v31
	v_mov_b32_e32 v11, 0
	s_and_saveexec_b64 s[28:29], s[4:5]
	s_cbranch_execz .LBB227_808
; %bb.807:                              ;   in Loop: Header=BB227_428 Depth=1
	v_and_b32_e32 v33, 7, v32
	v_accvgpr_write_b32 a28, v48
	v_ffbh_u32_e32 v10, v33
	v_accvgpr_write_b32 a29, v49
	v_min_u32_e32 v49, 32, v10
	v_subrev_u32_e32 v10, 28, v49
	v_lshlrev_b64 v[10:11], v10, v[32:33]
	v_lshrrev_b32_e32 v48, 3, v31
	v_sub_u32_e32 v11, 29, v49
	v_and_b32_e32 v10, 7, v10
	v_cmp_gt_u32_e64 s[4:5], 8, v31
	v_cndmask_b32_e64 v11, v48, v11, s[4:5]
	v_cndmask_b32_e64 v10, v33, v10, s[4:5]
	v_lshlrev_b32_e32 v10, 20, v10
	v_and_b32_sdwa v31, sext(v32), s11 dst_sel:DWORD dst_unused:UNUSED_PAD src0_sel:BYTE_0 src1_sel:DWORD
	v_lshl_add_u32 v11, v11, 23, v62
	v_accvgpr_read_b32 v49, a29
	v_or3_b32 v54, v31, v11, v10
	v_accvgpr_read_b32 v48, a28
	v_pk_mov_b32 v[10:11], v[54:55], v[54:55] op_sel:[0,1]
.LBB227_808:                            ;   in Loop: Header=BB227_428 Depth=1
	s_or_b64 exec, exec, s[28:29]
.LBB227_809:                            ;   in Loop: Header=BB227_428 Depth=1
	s_or_b64 exec, exec, s[26:27]
.LBB227_810:                            ;   in Loop: Header=BB227_428 Depth=1
	s_or_b64 exec, exec, s[24:25]
	v_cmp_lt_u32_e64 s[4:5], s30, v30
	s_and_saveexec_b64 s[24:25], s[4:5]
	s_cbranch_execz .LBB227_816
; %bb.811:                              ;   in Loop: Header=BB227_428 Depth=1
	v_cmp_ne_u32_sdwa s[4:5], v30, s7 src0_sel:BYTE_3 src1_sel:DWORD
	v_pk_mov_b32 v[28:29], s[10:11], s[10:11] op_sel:[0,1]
	s_and_saveexec_b64 s[26:27], s[4:5]
	s_cbranch_execz .LBB227_815
; %bb.812:                              ;   in Loop: Header=BB227_428 Depth=1
	v_bfe_u32 v31, v30, 24, 7
	s_mov_b32 s22, s10
	v_cmp_ne_u32_e64 s[4:5], s15, v31
	v_pk_mov_b32 v[28:29], s[22:23], s[22:23] op_sel:[0,1]
	s_and_saveexec_b64 s[28:29], s[4:5]
	s_cbranch_execz .LBB227_814
; %bb.813:                              ;   in Loop: Header=BB227_428 Depth=1
	v_mov_b32_e32 v6, 7
	v_and_b32_sdwa v54, v30, v6 dst_sel:DWORD dst_unused:UNUSED_PAD src0_sel:BYTE_3 src1_sel:DWORD
	v_ffbh_u32_e32 v28, v54
	v_min_u32_e32 v33, 32, v28
	v_subrev_u32_e32 v28, 28, v33
	v_lshlrev_b64 v[28:29], v28, v[54:55]
	v_lshrrev_b32_e32 v32, 3, v31
	v_sub_u32_e32 v29, 29, v33
	v_cmp_gt_u32_e64 s[4:5], 8, v31
	v_and_b32_e32 v28, 7, v28
	v_cndmask_b32_e64 v29, v32, v29, s[4:5]
	v_mov_b32_e32 v6, 24
	v_cndmask_b32_e64 v28, v54, v28, s[4:5]
	v_lshlrev_b32_sdwa v30, v6, v30 dst_sel:DWORD dst_unused:UNUSED_PAD src0_sel:DWORD src1_sel:BYTE_3
	v_lshl_add_u32 v29, v29, 23, v62
	v_and_or_b32 v29, v30, s11, v29
	v_lshlrev_b32_e32 v28, 20, v28
	v_or_b32_e32 v29, v29, v28
	v_mov_b32_e32 v28, v55
.LBB227_814:                            ;   in Loop: Header=BB227_428 Depth=1
	s_or_b64 exec, exec, s[28:29]
.LBB227_815:                            ;   in Loop: Header=BB227_428 Depth=1
	s_or_b64 exec, exec, s[26:27]
.LBB227_816:                            ;   in Loop: Header=BB227_428 Depth=1
	s_or_b64 exec, exec, s[24:25]
	v_or_b32_e32 v31, v59, v51
	v_or_b32_e32 v30, v58, v50
	;; [unrolled: 1-line block ×4, first 2 shown]
	v_pk_mul_f32 v[50:51], v[26:27], v[30:31]
	v_pk_mul_f32 v[58:59], v[26:27], v[10:11]
	s_and_saveexec_b64 s[24:25], vcc
; %bb.817:                              ;   in Loop: Header=BB227_428 Depth=1
	v_accvgpr_read_b32 v6, a13
	v_cmp_lt_i32_e64 s[4:5], v7, v6
	v_accvgpr_read_b32 v10, a17
	v_cndmask_b32_e64 v50, 0, v50, s[4:5]
	v_cmp_lt_i32_e64 s[4:5], v10, v6
	v_accvgpr_read_b32 v10, a9
	v_cndmask_b32_e64 v51, 0, v51, s[4:5]
	v_cmp_lt_i32_e64 s[4:5], v10, v6
	v_cndmask_b32_e64 v58, 0, v58, s[4:5]
	v_cmp_lt_i32_e64 s[4:5], v36, v6
	v_cndmask_b32_e64 v59, 0, v59, s[4:5]
; %bb.818:                              ;   in Loop: Header=BB227_428 Depth=1
	s_or_b64 exec, exec, s[24:25]
	v_accvgpr_read_b32 v6, a26
	v_add_co_u32_e64 v10, s[4:5], v48, v6
	v_addc_co_u32_e64 v11, s[4:5], 0, v49, s[4:5]
	flat_load_dword v30, v[10:11]
	v_pk_mov_b32 v[32:33], 0, 0
	v_pk_mov_b32 v[10:11], v[32:33], v[32:33] op_sel:[0,1]
	s_waitcnt vmcnt(0) lgkmcnt(0)
	v_cmp_ne_u16_sdwa s[4:5], v30, v55 src0_sel:BYTE_0 src1_sel:DWORD
	s_and_saveexec_b64 s[24:25], s[4:5]
	s_cbranch_execz .LBB227_824
; %bb.819:                              ;   in Loop: Header=BB227_428 Depth=1
	v_bfrev_b32_e32 v10, 1
	v_cmp_ne_u16_sdwa s[4:5], v30, s7 src0_sel:BYTE_0 src1_sel:DWORD
	v_mov_b32_e32 v11, 0
	s_and_saveexec_b64 s[26:27], s[4:5]
	s_cbranch_execz .LBB227_823
; %bb.820:                              ;   in Loop: Header=BB227_428 Depth=1
	v_and_b32_e32 v28, 0x7f, v30
	v_mov_b32_e32 v10, 0x7f800001
	v_cmp_ne_u32_e64 s[4:5], s15, v28
	v_mov_b32_e32 v11, 0
	s_and_saveexec_b64 s[28:29], s[4:5]
	s_cbranch_execz .LBB227_822
; %bb.821:                              ;   in Loop: Header=BB227_428 Depth=1
	v_and_b32_e32 v29, 7, v30
	v_ffbh_u32_e32 v10, v29
	v_min_u32_e32 v48, 32, v10
	v_lshrrev_b32_e32 v31, 3, v28
	v_subrev_u32_e32 v10, 28, v48
	v_lshlrev_b64 v[10:11], v10, v[30:31]
	v_sub_u32_e32 v11, 29, v48
	v_and_b32_e32 v10, 7, v10
	v_cmp_gt_u32_e64 s[4:5], 8, v28
	v_cndmask_b32_e64 v11, v31, v11, s[4:5]
	v_cndmask_b32_e64 v10, v29, v10, s[4:5]
	v_lshlrev_b32_e32 v10, 20, v10
	v_and_b32_sdwa v28, sext(v30), s11 dst_sel:DWORD dst_unused:UNUSED_PAD src0_sel:BYTE_0 src1_sel:DWORD
	v_lshl_add_u32 v11, v11, 23, v62
	v_or3_b32 v54, v28, v11, v10
	v_pk_mov_b32 v[10:11], v[54:55], v[54:55] op_sel:[0,1]
.LBB227_822:                            ;   in Loop: Header=BB227_428 Depth=1
	s_or_b64 exec, exec, s[28:29]
.LBB227_823:                            ;   in Loop: Header=BB227_428 Depth=1
	s_or_b64 exec, exec, s[26:27]
.LBB227_824:                            ;   in Loop: Header=BB227_428 Depth=1
	s_or_b64 exec, exec, s[24:25]
	v_cmp_ne_u16_sdwa s[4:5], v30, v55 src0_sel:BYTE_1 src1_sel:DWORD
	s_and_saveexec_b64 s[24:25], s[4:5]
	s_cbranch_execz .LBB227_830
; %bb.825:                              ;   in Loop: Header=BB227_428 Depth=1
	v_cmp_ne_u16_sdwa s[4:5], v30, s7 src0_sel:BYTE_1 src1_sel:DWORD
	v_pk_mov_b32 v[32:33], s[10:11], s[10:11] op_sel:[0,1]
	s_and_saveexec_b64 s[26:27], s[4:5]
	s_cbranch_execz .LBB227_829
; %bb.826:                              ;   in Loop: Header=BB227_428 Depth=1
	v_and_b32_sdwa v28, v30, s15 dst_sel:DWORD dst_unused:UNUSED_PAD src0_sel:BYTE_1 src1_sel:DWORD
	s_mov_b32 s22, s10
	v_cmp_ne_u32_e64 s[4:5], s15, v28
	v_pk_mov_b32 v[32:33], s[22:23], s[22:23] op_sel:[0,1]
	s_and_saveexec_b64 s[28:29], s[4:5]
	s_cbranch_execz .LBB227_828
; %bb.827:                              ;   in Loop: Header=BB227_428 Depth=1
	v_mov_b32_e32 v6, 7
	v_and_b32_sdwa v54, v30, v6 dst_sel:DWORD dst_unused:UNUSED_PAD src0_sel:BYTE_1 src1_sel:DWORD
	v_ffbh_u32_e32 v31, v54
	v_min_u32_e32 v31, 32, v31
	v_subrev_u32_e32 v32, 28, v31
	v_lshrrev_b32_e32 v29, 3, v28
	v_lshlrev_b64 v[32:33], v32, v[54:55]
	v_sub_u32_e32 v31, 29, v31
	v_cmp_gt_u32_e64 s[4:5], 8, v28
	v_and_b32_e32 v32, 7, v32
	v_cndmask_b32_e64 v28, v29, v31, s[4:5]
	v_cndmask_b32_e64 v29, v54, v32, s[4:5]
	v_lshlrev_b32_e32 v31, 16, v30
	v_lshl_add_u32 v28, v28, 23, v62
	v_and_or_b32 v28, v31, s11, v28
	v_lshlrev_b32_e32 v29, 20, v29
	v_or_b32_e32 v33, v28, v29
	v_mov_b32_e32 v32, v55
.LBB227_828:                            ;   in Loop: Header=BB227_428 Depth=1
	s_or_b64 exec, exec, s[28:29]
.LBB227_829:                            ;   in Loop: Header=BB227_428 Depth=1
	s_or_b64 exec, exec, s[26:27]
.LBB227_830:                            ;   in Loop: Header=BB227_428 Depth=1
	s_or_b64 exec, exec, s[24:25]
	v_lshrrev_b32_e32 v54, 16, v30
	v_pk_mov_b32 v[28:29], 0, 0
	v_cmp_ne_u16_sdwa s[4:5], v54, v55 src0_sel:BYTE_0 src1_sel:DWORD
	v_pk_mov_b32 v[48:49], v[28:29], v[28:29] op_sel:[0,1]
	s_and_saveexec_b64 s[24:25], s[4:5]
	s_cbranch_execz .LBB227_836
; %bb.831:                              ;   in Loop: Header=BB227_428 Depth=1
	v_bfrev_b32_e32 v48, 1
	v_cmp_ne_u16_sdwa s[4:5], v54, s7 src0_sel:BYTE_0 src1_sel:DWORD
	v_mov_b32_e32 v49, 0
	s_and_saveexec_b64 s[26:27], s[4:5]
	s_cbranch_execz .LBB227_835
; %bb.832:                              ;   in Loop: Header=BB227_428 Depth=1
	v_bfe_u32 v31, v30, 16, 7
	v_mov_b32_e32 v48, 0x7f800001
	v_cmp_ne_u32_e64 s[4:5], s15, v31
	v_mov_b32_e32 v49, 0
	s_and_saveexec_b64 s[28:29], s[4:5]
	s_cbranch_execz .LBB227_834
; %bb.833:                              ;   in Loop: Header=BB227_428 Depth=1
	v_and_b32_e32 v62, 7, v54
	v_ffbh_u32_e32 v48, v62
	v_min_u32_e32 v6, 32, v48
	v_accvgpr_write_b32 a8, v7
	v_subrev_u32_e32 v7, 28, v6
	v_lshlrev_b64 v[48:49], v7, v[54:55]
	v_accvgpr_write_b32 a3, v37
	v_lshrrev_b32_e32 v37, 3, v31
	v_sub_u32_e32 v6, 29, v6
	v_and_b32_e32 v7, 7, v48
	v_cmp_gt_u32_e64 s[4:5], 8, v31
	v_cndmask_b32_e64 v6, v37, v6, s[4:5]
	v_cndmask_b32_e64 v7, v62, v7, s[4:5]
	v_bfrev_b32_e32 v62, 60
	v_lshlrev_b32_e32 v7, 20, v7
	v_and_b32_sdwa v31, sext(v54), s11 dst_sel:DWORD dst_unused:UNUSED_PAD src0_sel:BYTE_0 src1_sel:DWORD
	v_lshl_add_u32 v6, v6, 23, v62
	v_or3_b32 v54, v31, v6, v7
	v_accvgpr_read_b32 v37, a3
	v_accvgpr_read_b32 v7, a8
	v_pk_mov_b32 v[48:49], v[54:55], v[54:55] op_sel:[0,1]
.LBB227_834:                            ;   in Loop: Header=BB227_428 Depth=1
	s_or_b64 exec, exec, s[28:29]
.LBB227_835:                            ;   in Loop: Header=BB227_428 Depth=1
	s_or_b64 exec, exec, s[26:27]
.LBB227_836:                            ;   in Loop: Header=BB227_428 Depth=1
	s_or_b64 exec, exec, s[24:25]
	v_cmp_lt_u32_e64 s[4:5], s30, v30
	s_and_saveexec_b64 s[24:25], s[4:5]
	s_cbranch_execz .LBB227_842
; %bb.837:                              ;   in Loop: Header=BB227_428 Depth=1
	v_cmp_ne_u32_sdwa s[4:5], v30, s7 src0_sel:BYTE_3 src1_sel:DWORD
	v_pk_mov_b32 v[28:29], s[10:11], s[10:11] op_sel:[0,1]
	s_and_saveexec_b64 s[26:27], s[4:5]
	s_cbranch_execz .LBB227_841
; %bb.838:                              ;   in Loop: Header=BB227_428 Depth=1
	v_bfe_u32 v31, v30, 24, 7
	s_mov_b32 s22, s10
	v_cmp_ne_u32_e64 s[4:5], s15, v31
	v_pk_mov_b32 v[28:29], s[22:23], s[22:23] op_sel:[0,1]
	s_and_saveexec_b64 s[28:29], s[4:5]
	s_cbranch_execz .LBB227_840
; %bb.839:                              ;   in Loop: Header=BB227_428 Depth=1
	v_mov_b32_e32 v6, 7
	v_and_b32_sdwa v54, v30, v6 dst_sel:DWORD dst_unused:UNUSED_PAD src0_sel:BYTE_3 src1_sel:DWORD
	v_accvgpr_write_b32 a3, v7
	v_ffbh_u32_e32 v7, v54
	v_min_u32_e32 v7, 32, v7
	v_subrev_u32_e32 v28, 28, v7
	v_lshlrev_b64 v[28:29], v28, v[54:55]
	v_lshrrev_b32_e32 v6, 3, v31
	v_sub_u32_e32 v7, 29, v7
	v_and_b32_e32 v28, 7, v28
	v_cmp_gt_u32_e64 s[4:5], 8, v31
	v_cndmask_b32_e64 v6, v6, v7, s[4:5]
	v_cndmask_b32_e64 v7, v54, v28, s[4:5]
	v_mov_b32_e32 v28, 24
	v_lshlrev_b32_sdwa v28, v28, v30 dst_sel:DWORD dst_unused:UNUSED_PAD src0_sel:DWORD src1_sel:BYTE_3
	v_lshl_add_u32 v6, v6, 23, v62
	v_and_or_b32 v6, v28, s11, v6
	v_lshlrev_b32_e32 v7, 20, v7
	v_or_b32_e32 v29, v6, v7
	v_accvgpr_read_b32 v7, a3
	v_mov_b32_e32 v28, v55
.LBB227_840:                            ;   in Loop: Header=BB227_428 Depth=1
	s_or_b64 exec, exec, s[28:29]
.LBB227_841:                            ;   in Loop: Header=BB227_428 Depth=1
	s_or_b64 exec, exec, s[26:27]
.LBB227_842:                            ;   in Loop: Header=BB227_428 Depth=1
	s_or_b64 exec, exec, s[24:25]
	v_or_b32_e32 v11, v33, v11
	v_or_b32_e32 v10, v32, v10
	;; [unrolled: 1-line block ×4, first 2 shown]
	v_pk_mul_f32 v[10:11], v[26:27], v[10:11]
	v_pk_mul_f32 v[30:31], v[26:27], v[28:29]
	s_and_saveexec_b64 s[4:5], vcc
	s_cbranch_execz .LBB227_427
; %bb.843:                              ;   in Loop: Header=BB227_428 Depth=1
	v_accvgpr_read_b32 v6, a13
	v_cmp_lt_i32_e32 vcc, v7, v6
	v_accvgpr_read_b32 v7, a17
	v_cndmask_b32_e32 v10, 0, v10, vcc
	v_cmp_lt_i32_e32 vcc, v7, v6
	v_accvgpr_read_b32 v7, a9
	v_cndmask_b32_e32 v11, 0, v11, vcc
	v_cmp_lt_i32_e32 vcc, v7, v6
	v_cndmask_b32_e32 v30, 0, v30, vcc
	v_cmp_lt_i32_e32 vcc, v36, v6
	v_cndmask_b32_e32 v31, 0, v31, vcc
	s_branch .LBB227_427
.LBB227_844:
	s_or_b64 exec, exec, s[12:13]
	v_accvgpr_read_b32 v30, a0
	v_accvgpr_read_b32 v31, a1
	;; [unrolled: 1-line block ×3, first 2 shown]
.LBB227_845:
	s_or_b64 exec, exec, s[8:9]
	ds_bpermute_b32 v0, v29, v24
	ds_bpermute_b32 v1, v29, v25
	;; [unrolled: 1-line block ×6, first 2 shown]
	s_waitcnt lgkmcnt(0)
	v_pk_add_f32 v[0:1], v[24:25], v[0:1]
	ds_bpermute_b32 v4, v31, v0
	ds_bpermute_b32 v5, v31, v1
	v_pk_add_f32 v[2:3], v[22:23], v[2:3]
	ds_bpermute_b32 v14, v31, v2
	ds_bpermute_b32 v15, v31, v3
	s_waitcnt lgkmcnt(0)
	v_pk_add_f32 v[0:1], v[0:1], v[4:5]
	v_pk_add_f32 v[4:5], v[20:21], v[10:11]
	ds_bpermute_b32 v10, v31, v4
	ds_bpermute_b32 v11, v31, v5
	;; [unrolled: 1-line block ×4, first 2 shown]
	v_pk_add_f32 v[2:3], v[2:3], v[14:15]
	ds_bpermute_b32 v14, v29, v16
	ds_bpermute_b32 v15, v29, v17
	s_waitcnt lgkmcnt(0)
	v_pk_add_f32 v[4:5], v[4:5], v[10:11]
	v_pk_add_f32 v[10:11], v[18:19], v[20:21]
	ds_bpermute_b32 v18, v31, v10
	ds_bpermute_b32 v19, v31, v11
	v_pk_add_f32 v[16:17], v[16:17], v[14:15]
	ds_bpermute_b32 v14, v29, v12
	ds_bpermute_b32 v15, v29, v13
	s_barrier
	s_waitcnt lgkmcnt(0)
	ds_bpermute_b32 v22, v29, v8
	ds_bpermute_b32 v23, v29, v9
	v_pk_add_f32 v[24:25], v[12:13], v[14:15]
	v_pk_add_f32 v[14:15], v[10:11], v[18:19]
	buffer_load_dword v18, off, s[0:3], s32 offset:420 ; 4-byte Folded Reload
	ds_bpermute_b32 v28, v29, v34
	ds_bpermute_b32 v29, v29, v35
	;; [unrolled: 1-line block ×4, first 2 shown]
	s_waitcnt lgkmcnt(0)
	v_pk_add_f32 v[8:9], v[8:9], v[22:23]
	ds_bpermute_b32 v26, v31, v24
	ds_bpermute_b32 v27, v31, v25
	;; [unrolled: 1-line block ×4, first 2 shown]
	v_pk_add_f32 v[6:7], v[34:35], v[28:29]
	v_pk_add_f32 v[12:13], v[16:17], v[20:21]
	ds_bpermute_b32 v16, v31, v6
	ds_bpermute_b32 v17, v31, v7
	s_waitcnt lgkmcnt(0)
	v_pk_add_f32 v[10:11], v[24:25], v[26:27]
	v_pk_add_f32 v[8:9], v[8:9], v[22:23]
	s_waitcnt vmcnt(0)
	v_and_b32_e32 v18, 0x3c3, v18
	v_cmp_ne_u32_e32 vcc, 64, v18
	s_and_saveexec_b64 s[4:5], vcc
	s_xor_b64 s[4:5], exec, s[4:5]
; %bb.846:
                                        ; implicit-def: $vgpr30
; %bb.847:
	s_or_saveexec_b64 s[4:5], s[4:5]
	v_pk_add_f32 v[6:7], v[6:7], v[16:17]
	buffer_load_dword v17, off, s[0:3], s32 offset:448 ; 4-byte Folded Reload
	s_xor_b64 exec, exec, s[4:5]
	s_cbranch_execz .LBB227_849
; %bb.848:
	s_ashr_i32 s19, s18, 31
	s_lshl_b64 s[8:9], s[18:19], 2
	s_getpc_b64 s[10:11]
	s_add_u32 s10, s10, llvm.amdgcn.dynlds.offset.table@rel32@lo+4
	s_addc_u32 s11, s11, llvm.amdgcn.dynlds.offset.table@rel32@hi+12
	s_add_u32 s8, s8, s10
	s_addc_u32 s9, s9, s11
	s_load_dword s7, s[8:9], 0x0
	s_waitcnt lgkmcnt(0)
	v_add_u32_e32 v16, s7, v30
	ds_write2_b32 v16, v0, v1 offset1:16
	ds_write2_b32 v16, v2, v3 offset0:32 offset1:48
	ds_write2_b32 v16, v4, v5 offset0:64 offset1:80
	ds_write2_b32 v16, v14, v15 offset0:96 offset1:112
	ds_write2_b32 v16, v12, v13 offset0:128 offset1:144
	ds_write2_b32 v16, v10, v11 offset0:160 offset1:176
	ds_write2_b32 v16, v8, v9 offset0:192 offset1:208
	ds_write2_b32 v16, v6, v7 offset0:224 offset1:240
.LBB227_849:
	s_or_b64 exec, exec, s[4:5]
	s_waitcnt lgkmcnt(0)
	s_barrier
	buffer_load_dword v16, off, s[0:3], s32 offset:420 ; 4-byte Folded Reload
	s_waitcnt vmcnt(0)
	v_cmp_gt_u32_e32 vcc, 64, v16
	s_and_saveexec_b64 s[4:5], vcc
	s_cbranch_execz .LBB227_868
; %bb.850:
	buffer_load_dword v20, off, s[0:3], s32 offset:224 ; 4-byte Folded Reload
	buffer_load_dword v21, off, s[0:3], s32 offset:228 ; 4-byte Folded Reload
	s_waitcnt vmcnt(1)
	v_cmp_eq_u32_e32 vcc, 0, v20
	s_and_saveexec_b64 s[8:9], vcc
	s_cbranch_execnz .LBB227_871
; %bb.851:
	s_or_b64 exec, exec, s[8:9]
	s_and_saveexec_b64 s[8:9], vcc
	s_cbranch_execnz .LBB227_872
.LBB227_852:
	s_or_b64 exec, exec, s[8:9]
	s_and_saveexec_b64 s[8:9], vcc
	s_cbranch_execnz .LBB227_873
.LBB227_853:
	s_or_b64 exec, exec, s[8:9]
	s_and_saveexec_b64 s[8:9], vcc
	s_cbranch_execnz .LBB227_874
.LBB227_854:
	s_or_b64 exec, exec, s[8:9]
	s_and_saveexec_b64 s[8:9], vcc
	s_cbranch_execnz .LBB227_875
.LBB227_855:
	s_or_b64 exec, exec, s[8:9]
	s_and_saveexec_b64 s[8:9], vcc
	s_cbranch_execnz .LBB227_876
.LBB227_856:
	s_or_b64 exec, exec, s[8:9]
	s_and_saveexec_b64 s[8:9], vcc
	s_cbranch_execnz .LBB227_877
.LBB227_857:
	s_or_b64 exec, exec, s[8:9]
	s_and_saveexec_b64 s[8:9], vcc
	s_cbranch_execnz .LBB227_878
.LBB227_858:
	s_or_b64 exec, exec, s[8:9]
	s_and_saveexec_b64 s[8:9], vcc
	s_cbranch_execnz .LBB227_879
.LBB227_859:
	s_or_b64 exec, exec, s[8:9]
	s_and_saveexec_b64 s[8:9], vcc
	s_cbranch_execnz .LBB227_880
.LBB227_860:
	s_or_b64 exec, exec, s[8:9]
	s_and_saveexec_b64 s[8:9], vcc
	s_cbranch_execnz .LBB227_881
.LBB227_861:
	s_or_b64 exec, exec, s[8:9]
	s_and_saveexec_b64 s[8:9], vcc
	s_cbranch_execnz .LBB227_882
.LBB227_862:
	s_or_b64 exec, exec, s[8:9]
	s_and_saveexec_b64 s[8:9], vcc
	s_cbranch_execnz .LBB227_883
.LBB227_863:
	s_or_b64 exec, exec, s[8:9]
	s_and_saveexec_b64 s[8:9], vcc
	s_cbranch_execnz .LBB227_884
.LBB227_864:
	s_or_b64 exec, exec, s[8:9]
	s_and_saveexec_b64 s[8:9], vcc
	s_cbranch_execnz .LBB227_885
.LBB227_865:
	s_or_b64 exec, exec, s[8:9]
	s_and_saveexec_b64 s[8:9], vcc
	s_cbranch_execz .LBB227_867
.LBB227_866:
	s_ashr_i32 s19, s18, 31
	s_lshl_b64 s[10:11], s[18:19], 2
	s_getpc_b64 s[12:13]
	s_add_u32 s12, s12, llvm.amdgcn.dynlds.offset.table@rel32@lo+4
	s_addc_u32 s13, s13, llvm.amdgcn.dynlds.offset.table@rel32@hi+12
	s_add_u32 s10, s10, s12
	s_addc_u32 s11, s11, s13
	s_load_dword s7, s[10:11], 0x0
	s_waitcnt lgkmcnt(0)
	v_lshl_add_u32 v16, v17, 2, s7
	ds_read_b32 v16, v16 offset:960
	s_waitcnt lgkmcnt(0)
	v_add_f32_e32 v7, v16, v7
.LBB227_867:
	s_or_b64 exec, exec, s[8:9]
.LBB227_868:
	s_or_b64 exec, exec, s[4:5]
	v_cmp_eq_u32_e32 vcc, 0, v18
	s_barrier
	s_and_b64 exec, exec, vcc
	s_cbranch_execz .LBB227_870
; %bb.869:
	buffer_load_dword v17, off, s[0:3], s32 offset:456 ; 4-byte Folded Reload
	buffer_load_dword v18, off, s[0:3], s32 offset:452 ; 4-byte Folded Reload
	s_lshl_b32 s4, s6, 8
	s_mul_i32 s6, s20, s21
	s_lshl_b32 s8, s14, 8
	s_ashr_i32 s5, s4, 31
	s_ashr_i32 s7, s6, 31
	;; [unrolled: 1-line block ×3, first 2 shown]
	s_lshl_b64 s[4:5], s[4:5], 2
	s_lshl_b64 s[6:7], s[6:7], 2
	;; [unrolled: 1-line block ×3, first 2 shown]
	s_add_u32 s6, s8, s6
	s_addc_u32 s7, s9, s7
	s_add_u32 s4, s6, s4
	s_addc_u32 s5, s7, s5
	v_mov_b32_e32 v16, s5
	s_waitcnt vmcnt(1)
	v_add_co_u32_e32 v17, vcc, s4, v17
	s_waitcnt vmcnt(0)
	v_addc_co_u32_e32 v18, vcc, v16, v18, vcc
	buffer_load_dword v16, off, s[0:3], s32 offset:468 ; 4-byte Folded Reload
	s_waitcnt vmcnt(0)
	v_add_co_u32_e32 v16, vcc, v17, v16
	v_addc_co_u32_e32 v17, vcc, 0, v18, vcc
	flat_store_dword v[16:17], v0
	flat_store_dword v[16:17], v1 offset:64
	flat_store_dword v[16:17], v2 offset:128
	;; [unrolled: 1-line block ×15, first 2 shown]
.LBB227_870:
	s_or_b64 exec, exec, s[16:17]
	buffer_load_dword a63, off, s[0:3], s32 ; 4-byte Folded Reload
	buffer_load_dword a62, off, s[0:3], s32 offset:4 ; 4-byte Folded Reload
	buffer_load_dword a61, off, s[0:3], s32 offset:8 ; 4-byte Folded Reload
	;; [unrolled: 1-line block ×46, first 2 shown]
	v_readlane_b32 s30, v63, 4
	v_readlane_b32 s31, v63, 5
	;; [unrolled: 1-line block ×6, first 2 shown]
	s_or_saveexec_b64 s[4:5], -1
	buffer_load_dword v63, off, s[0:3], s32 offset:516 ; 4-byte Folded Reload
	s_mov_b64 exec, s[4:5]
	s_waitcnt vmcnt(0) lgkmcnt(0)
	s_setpc_b64 s[30:31]
.LBB227_871:
	s_ashr_i32 s19, s18, 31
	s_lshl_b64 s[10:11], s[18:19], 2
	s_getpc_b64 s[12:13]
	s_add_u32 s12, s12, llvm.amdgcn.dynlds.offset.table@rel32@lo+4
	s_addc_u32 s13, s13, llvm.amdgcn.dynlds.offset.table@rel32@hi+12
	s_add_u32 s10, s10, s12
	s_addc_u32 s11, s11, s13
	s_load_dword s7, s[10:11], 0x0
	s_waitcnt lgkmcnt(0)
	v_lshl_add_u32 v16, v17, 2, s7
	ds_read_b32 v16, v16
	s_waitcnt lgkmcnt(0)
	v_add_f32_e32 v0, v16, v0
	s_or_b64 exec, exec, s[8:9]
	s_and_saveexec_b64 s[8:9], vcc
	s_cbranch_execz .LBB227_852
.LBB227_872:
	s_ashr_i32 s19, s18, 31
	s_lshl_b64 s[10:11], s[18:19], 2
	s_getpc_b64 s[12:13]
	s_add_u32 s12, s12, llvm.amdgcn.dynlds.offset.table@rel32@lo+4
	s_addc_u32 s13, s13, llvm.amdgcn.dynlds.offset.table@rel32@hi+12
	s_add_u32 s10, s10, s12
	s_addc_u32 s11, s11, s13
	s_load_dword s7, s[10:11], 0x0
	s_waitcnt lgkmcnt(0)
	v_lshl_add_u32 v16, v17, 2, s7
	ds_read_b32 v16, v16 offset:64
	s_waitcnt lgkmcnt(0)
	v_add_f32_e32 v1, v16, v1
	s_or_b64 exec, exec, s[8:9]
	s_and_saveexec_b64 s[8:9], vcc
	s_cbranch_execz .LBB227_853
.LBB227_873:
	s_ashr_i32 s19, s18, 31
	s_lshl_b64 s[10:11], s[18:19], 2
	s_getpc_b64 s[12:13]
	s_add_u32 s12, s12, llvm.amdgcn.dynlds.offset.table@rel32@lo+4
	s_addc_u32 s13, s13, llvm.amdgcn.dynlds.offset.table@rel32@hi+12
	s_add_u32 s10, s10, s12
	s_addc_u32 s11, s11, s13
	s_load_dword s7, s[10:11], 0x0
	s_waitcnt lgkmcnt(0)
	v_lshl_add_u32 v16, v17, 2, s7
	ds_read_b32 v16, v16 offset:128
	s_waitcnt lgkmcnt(0)
	v_add_f32_e32 v2, v16, v2
	s_or_b64 exec, exec, s[8:9]
	s_and_saveexec_b64 s[8:9], vcc
	s_cbranch_execz .LBB227_854
.LBB227_874:
	s_ashr_i32 s19, s18, 31
	s_lshl_b64 s[10:11], s[18:19], 2
	s_getpc_b64 s[12:13]
	s_add_u32 s12, s12, llvm.amdgcn.dynlds.offset.table@rel32@lo+4
	s_addc_u32 s13, s13, llvm.amdgcn.dynlds.offset.table@rel32@hi+12
	s_add_u32 s10, s10, s12
	s_addc_u32 s11, s11, s13
	s_load_dword s7, s[10:11], 0x0
	s_waitcnt lgkmcnt(0)
	v_lshl_add_u32 v16, v17, 2, s7
	ds_read_b32 v16, v16 offset:192
	s_waitcnt lgkmcnt(0)
	v_add_f32_e32 v3, v16, v3
	s_or_b64 exec, exec, s[8:9]
	s_and_saveexec_b64 s[8:9], vcc
	s_cbranch_execz .LBB227_855
.LBB227_875:
	s_ashr_i32 s19, s18, 31
	s_lshl_b64 s[10:11], s[18:19], 2
	s_getpc_b64 s[12:13]
	s_add_u32 s12, s12, llvm.amdgcn.dynlds.offset.table@rel32@lo+4
	s_addc_u32 s13, s13, llvm.amdgcn.dynlds.offset.table@rel32@hi+12
	s_add_u32 s10, s10, s12
	s_addc_u32 s11, s11, s13
	s_load_dword s7, s[10:11], 0x0
	s_waitcnt lgkmcnt(0)
	v_lshl_add_u32 v16, v17, 2, s7
	ds_read_b32 v16, v16 offset:256
	s_waitcnt lgkmcnt(0)
	v_add_f32_e32 v4, v16, v4
	s_or_b64 exec, exec, s[8:9]
	s_and_saveexec_b64 s[8:9], vcc
	s_cbranch_execz .LBB227_856
.LBB227_876:
	s_ashr_i32 s19, s18, 31
	s_lshl_b64 s[10:11], s[18:19], 2
	s_getpc_b64 s[12:13]
	s_add_u32 s12, s12, llvm.amdgcn.dynlds.offset.table@rel32@lo+4
	s_addc_u32 s13, s13, llvm.amdgcn.dynlds.offset.table@rel32@hi+12
	s_add_u32 s10, s10, s12
	s_addc_u32 s11, s11, s13
	s_load_dword s7, s[10:11], 0x0
	s_waitcnt lgkmcnt(0)
	v_lshl_add_u32 v16, v17, 2, s7
	ds_read_b32 v16, v16 offset:320
	s_waitcnt lgkmcnt(0)
	v_add_f32_e32 v5, v16, v5
	s_or_b64 exec, exec, s[8:9]
	s_and_saveexec_b64 s[8:9], vcc
	s_cbranch_execz .LBB227_857
.LBB227_877:
	s_ashr_i32 s19, s18, 31
	s_lshl_b64 s[10:11], s[18:19], 2
	s_getpc_b64 s[12:13]
	s_add_u32 s12, s12, llvm.amdgcn.dynlds.offset.table@rel32@lo+4
	s_addc_u32 s13, s13, llvm.amdgcn.dynlds.offset.table@rel32@hi+12
	s_add_u32 s10, s10, s12
	s_addc_u32 s11, s11, s13
	s_load_dword s7, s[10:11], 0x0
	s_waitcnt lgkmcnt(0)
	v_lshl_add_u32 v16, v17, 2, s7
	ds_read_b32 v16, v16 offset:384
	s_waitcnt lgkmcnt(0)
	v_add_f32_e32 v14, v16, v14
	s_or_b64 exec, exec, s[8:9]
	s_and_saveexec_b64 s[8:9], vcc
	s_cbranch_execz .LBB227_858
.LBB227_878:
	s_ashr_i32 s19, s18, 31
	s_lshl_b64 s[10:11], s[18:19], 2
	s_getpc_b64 s[12:13]
	s_add_u32 s12, s12, llvm.amdgcn.dynlds.offset.table@rel32@lo+4
	s_addc_u32 s13, s13, llvm.amdgcn.dynlds.offset.table@rel32@hi+12
	s_add_u32 s10, s10, s12
	s_addc_u32 s11, s11, s13
	s_load_dword s7, s[10:11], 0x0
	s_waitcnt lgkmcnt(0)
	v_lshl_add_u32 v16, v17, 2, s7
	ds_read_b32 v16, v16 offset:448
	s_waitcnt lgkmcnt(0)
	v_add_f32_e32 v15, v16, v15
	s_or_b64 exec, exec, s[8:9]
	s_and_saveexec_b64 s[8:9], vcc
	s_cbranch_execz .LBB227_859
.LBB227_879:
	s_ashr_i32 s19, s18, 31
	s_lshl_b64 s[10:11], s[18:19], 2
	s_getpc_b64 s[12:13]
	s_add_u32 s12, s12, llvm.amdgcn.dynlds.offset.table@rel32@lo+4
	s_addc_u32 s13, s13, llvm.amdgcn.dynlds.offset.table@rel32@hi+12
	s_add_u32 s10, s10, s12
	s_addc_u32 s11, s11, s13
	s_load_dword s7, s[10:11], 0x0
	s_waitcnt lgkmcnt(0)
	v_lshl_add_u32 v16, v17, 2, s7
	ds_read_b32 v16, v16 offset:512
	s_waitcnt lgkmcnt(0)
	v_add_f32_e32 v12, v16, v12
	s_or_b64 exec, exec, s[8:9]
	s_and_saveexec_b64 s[8:9], vcc
	s_cbranch_execz .LBB227_860
.LBB227_880:
	s_ashr_i32 s19, s18, 31
	s_lshl_b64 s[10:11], s[18:19], 2
	s_getpc_b64 s[12:13]
	s_add_u32 s12, s12, llvm.amdgcn.dynlds.offset.table@rel32@lo+4
	s_addc_u32 s13, s13, llvm.amdgcn.dynlds.offset.table@rel32@hi+12
	s_add_u32 s10, s10, s12
	s_addc_u32 s11, s11, s13
	s_load_dword s7, s[10:11], 0x0
	s_waitcnt lgkmcnt(0)
	v_lshl_add_u32 v16, v17, 2, s7
	ds_read_b32 v16, v16 offset:576
	s_waitcnt lgkmcnt(0)
	v_add_f32_e32 v13, v16, v13
	s_or_b64 exec, exec, s[8:9]
	s_and_saveexec_b64 s[8:9], vcc
	s_cbranch_execz .LBB227_861
.LBB227_881:
	s_ashr_i32 s19, s18, 31
	s_lshl_b64 s[10:11], s[18:19], 2
	s_getpc_b64 s[12:13]
	s_add_u32 s12, s12, llvm.amdgcn.dynlds.offset.table@rel32@lo+4
	s_addc_u32 s13, s13, llvm.amdgcn.dynlds.offset.table@rel32@hi+12
	s_add_u32 s10, s10, s12
	s_addc_u32 s11, s11, s13
	s_load_dword s7, s[10:11], 0x0
	s_waitcnt lgkmcnt(0)
	v_lshl_add_u32 v16, v17, 2, s7
	ds_read_b32 v16, v16 offset:640
	s_waitcnt lgkmcnt(0)
	v_add_f32_e32 v10, v16, v10
	s_or_b64 exec, exec, s[8:9]
	s_and_saveexec_b64 s[8:9], vcc
	s_cbranch_execz .LBB227_862
.LBB227_882:
	s_ashr_i32 s19, s18, 31
	s_lshl_b64 s[10:11], s[18:19], 2
	s_getpc_b64 s[12:13]
	s_add_u32 s12, s12, llvm.amdgcn.dynlds.offset.table@rel32@lo+4
	s_addc_u32 s13, s13, llvm.amdgcn.dynlds.offset.table@rel32@hi+12
	s_add_u32 s10, s10, s12
	s_addc_u32 s11, s11, s13
	s_load_dword s7, s[10:11], 0x0
	s_waitcnt lgkmcnt(0)
	v_lshl_add_u32 v16, v17, 2, s7
	ds_read_b32 v16, v16 offset:704
	s_waitcnt lgkmcnt(0)
	v_add_f32_e32 v11, v16, v11
	s_or_b64 exec, exec, s[8:9]
	s_and_saveexec_b64 s[8:9], vcc
	s_cbranch_execz .LBB227_863
.LBB227_883:
	s_ashr_i32 s19, s18, 31
	s_lshl_b64 s[10:11], s[18:19], 2
	s_getpc_b64 s[12:13]
	s_add_u32 s12, s12, llvm.amdgcn.dynlds.offset.table@rel32@lo+4
	s_addc_u32 s13, s13, llvm.amdgcn.dynlds.offset.table@rel32@hi+12
	s_add_u32 s10, s10, s12
	s_addc_u32 s11, s11, s13
	s_load_dword s7, s[10:11], 0x0
	s_waitcnt lgkmcnt(0)
	v_lshl_add_u32 v16, v17, 2, s7
	ds_read_b32 v16, v16 offset:768
	s_waitcnt lgkmcnt(0)
	v_add_f32_e32 v8, v16, v8
	s_or_b64 exec, exec, s[8:9]
	s_and_saveexec_b64 s[8:9], vcc
	s_cbranch_execz .LBB227_864
.LBB227_884:
	s_ashr_i32 s19, s18, 31
	s_lshl_b64 s[10:11], s[18:19], 2
	s_getpc_b64 s[12:13]
	s_add_u32 s12, s12, llvm.amdgcn.dynlds.offset.table@rel32@lo+4
	s_addc_u32 s13, s13, llvm.amdgcn.dynlds.offset.table@rel32@hi+12
	s_add_u32 s10, s10, s12
	s_addc_u32 s11, s11, s13
	s_load_dword s7, s[10:11], 0x0
	s_waitcnt lgkmcnt(0)
	v_lshl_add_u32 v16, v17, 2, s7
	ds_read_b32 v16, v16 offset:832
	s_waitcnt lgkmcnt(0)
	v_add_f32_e32 v9, v16, v9
	s_or_b64 exec, exec, s[8:9]
	s_and_saveexec_b64 s[8:9], vcc
	s_cbranch_execz .LBB227_865
.LBB227_885:
	s_ashr_i32 s19, s18, 31
	s_lshl_b64 s[10:11], s[18:19], 2
	s_getpc_b64 s[12:13]
	s_add_u32 s12, s12, llvm.amdgcn.dynlds.offset.table@rel32@lo+4
	s_addc_u32 s13, s13, llvm.amdgcn.dynlds.offset.table@rel32@hi+12
	s_add_u32 s10, s10, s12
	s_addc_u32 s11, s11, s13
	s_load_dword s7, s[10:11], 0x0
	s_waitcnt lgkmcnt(0)
	v_lshl_add_u32 v16, v17, 2, s7
	ds_read_b32 v16, v16 offset:896
	s_waitcnt lgkmcnt(0)
	v_add_f32_e32 v6, v16, v6
	s_or_b64 exec, exec, s[8:9]
	s_and_saveexec_b64 s[8:9], vcc
	s_cbranch_execnz .LBB227_866
	s_branch .LBB227_867
.Lfunc_end227:
	.size	_ZN4vllm22paged_attention_kernelIfhLi256ELi16ELi128ELNS_18Fp8KVCacheDataTypeE1ELb0ELi512EEEvPfS2_PT_PKS3_PKT0_S9_ifPKiSB_iPKfiiiSD_SD_iiiii, .Lfunc_end227-_ZN4vllm22paged_attention_kernelIfhLi256ELi16ELi128ELNS_18Fp8KVCacheDataTypeE1ELb0ELi512EEEvPfS2_PT_PKS3_PKT0_S9_ifPKiSB_iPKfiiiSD_SD_iiiii
                                        ; -- End function
	.section	.AMDGPU.csdata,"",@progbits
; Function info:
; codeLenInByte = 38964
; NumSgprs: 42
; NumVgprs: 64
; NumAgprs: 64
; TotalNumVgprs: 128
; ScratchSize: 524
; MemoryBound: 0
	.section	.text._ZN4vllm25paged_attention_v2_kernelIfhLi256ELi16ELi128ELNS_18Fp8KVCacheDataTypeE1ELb0ELi512EEEvPfS2_PT_PKS3_PKT0_S9_ifPKiSB_iPKfiiiSD_SD_iiiii,"axG",@progbits,_ZN4vllm25paged_attention_v2_kernelIfhLi256ELi16ELi128ELNS_18Fp8KVCacheDataTypeE1ELb0ELi512EEEvPfS2_PT_PKS3_PKT0_S9_ifPKiSB_iPKfiiiSD_SD_iiiii,comdat
	.protected	_ZN4vllm25paged_attention_v2_kernelIfhLi256ELi16ELi128ELNS_18Fp8KVCacheDataTypeE1ELb0ELi512EEEvPfS2_PT_PKS3_PKT0_S9_ifPKiSB_iPKfiiiSD_SD_iiiii ; -- Begin function _ZN4vllm25paged_attention_v2_kernelIfhLi256ELi16ELi128ELNS_18Fp8KVCacheDataTypeE1ELb0ELi512EEEvPfS2_PT_PKS3_PKT0_S9_ifPKiSB_iPKfiiiSD_SD_iiiii
	.globl	_ZN4vllm25paged_attention_v2_kernelIfhLi256ELi16ELi128ELNS_18Fp8KVCacheDataTypeE1ELb0ELi512EEEvPfS2_PT_PKS3_PKT0_S9_ifPKiSB_iPKfiiiSD_SD_iiiii
	.p2align	8
	.type	_ZN4vllm25paged_attention_v2_kernelIfhLi256ELi16ELi128ELNS_18Fp8KVCacheDataTypeE1ELb0ELi512EEEvPfS2_PT_PKS3_PKT0_S9_ifPKiSB_iPKfiiiSD_SD_iiiii,@function
_ZN4vllm25paged_attention_v2_kernelIfhLi256ELi16ELi128ELNS_18Fp8KVCacheDataTypeE1ELb0ELi512EEEvPfS2_PT_PKS3_PKT0_S9_ifPKiSB_iPKfiiiSD_SD_iiiii: ; @_ZN4vllm25paged_attention_v2_kernelIfhLi256ELi16ELi128ELNS_18Fp8KVCacheDataTypeE1ELb0ELi512EEEvPfS2_PT_PKS3_PKT0_S9_ifPKiSB_iPKfiiiSD_SD_iiiii
; %bb.0:
	s_add_u32 flat_scratch_lo, s6, s11
	s_addc_u32 flat_scratch_hi, s7, 0
	s_add_u32 s0, s0, s11
	s_load_dwordx8 s[24:31], s[4:5], 0x0
	s_load_dwordx8 s[16:23], s[4:5], 0x20
	s_load_dwordx2 s[6:7], s[4:5], 0x40
	s_load_dwordx2 s[34:35], s[4:5], 0x50
	s_load_dword s11, s[4:5], 0x48
	s_load_dwordx8 s[36:43], s[4:5], 0x58
	s_addc_u32 s1, s1, 0
	s_mov_b32 s12, s8
	s_add_u32 s8, s4, 0x90
	s_mov_b32 s13, s9
	s_addc_u32 s9, s5, 0
	s_mov_b32 s14, s10
	s_mov_b32 s15, 36
	v_mov_b32_e32 v31, v0
	s_waitcnt lgkmcnt(0)
	v_mov_b32_e32 v0, s24
	v_mov_b32_e32 v1, s25
	;; [unrolled: 1-line block ×28, first 2 shown]
	s_mov_b32 s32, 0
	s_getpc_b64 s[4:5]
	s_add_u32 s4, s4, _ZN4vllm22paged_attention_kernelIfhLi256ELi16ELi128ELNS_18Fp8KVCacheDataTypeE1ELb0ELi512EEEvPfS2_PT_PKS3_PKT0_S9_ifPKiSB_iPKfiiiSD_SD_iiiii@rel32@lo+4
	s_addc_u32 s5, s5, _ZN4vllm22paged_attention_kernelIfhLi256ELi16ELi128ELNS_18Fp8KVCacheDataTypeE1ELb0ELi512EEEvPfS2_PT_PKS3_PKT0_S9_ifPKiSB_iPKfiiiSD_SD_iiiii@rel32@hi+12
	s_swappc_b64 s[30:31], s[4:5]
	s_endpgm
	.section	.rodata,"a",@progbits
	.p2align	6, 0x0
	.amdhsa_kernel _ZN4vllm25paged_attention_v2_kernelIfhLi256ELi16ELi128ELNS_18Fp8KVCacheDataTypeE1ELb0ELi512EEEvPfS2_PT_PKS3_PKT0_S9_ifPKiSB_iPKfiiiSD_SD_iiiii
		.amdhsa_group_segment_fixed_size 1040
		.amdhsa_private_segment_fixed_size 524
		.amdhsa_kernarg_size 400
		.amdhsa_user_sgpr_count 8
		.amdhsa_user_sgpr_private_segment_buffer 1
		.amdhsa_user_sgpr_dispatch_ptr 0
		.amdhsa_user_sgpr_queue_ptr 0
		.amdhsa_user_sgpr_kernarg_segment_ptr 1
		.amdhsa_user_sgpr_dispatch_id 0
		.amdhsa_user_sgpr_flat_scratch_init 1
		.amdhsa_user_sgpr_kernarg_preload_length 0
		.amdhsa_user_sgpr_kernarg_preload_offset 0
		.amdhsa_user_sgpr_private_segment_size 0
		.amdhsa_uses_dynamic_stack 0
		.amdhsa_system_sgpr_private_segment_wavefront_offset 1
		.amdhsa_system_sgpr_workgroup_id_x 1
		.amdhsa_system_sgpr_workgroup_id_y 1
		.amdhsa_system_sgpr_workgroup_id_z 1
		.amdhsa_system_sgpr_workgroup_info 0
		.amdhsa_system_vgpr_workitem_id 0
		.amdhsa_next_free_vgpr 128
		.amdhsa_next_free_sgpr 44
		.amdhsa_accum_offset 64
		.amdhsa_reserve_vcc 1
		.amdhsa_reserve_flat_scratch 1
		.amdhsa_float_round_mode_32 0
		.amdhsa_float_round_mode_16_64 0
		.amdhsa_float_denorm_mode_32 3
		.amdhsa_float_denorm_mode_16_64 3
		.amdhsa_dx10_clamp 1
		.amdhsa_ieee_mode 1
		.amdhsa_fp16_overflow 0
		.amdhsa_tg_split 0
		.amdhsa_exception_fp_ieee_invalid_op 0
		.amdhsa_exception_fp_denorm_src 0
		.amdhsa_exception_fp_ieee_div_zero 0
		.amdhsa_exception_fp_ieee_overflow 0
		.amdhsa_exception_fp_ieee_underflow 0
		.amdhsa_exception_fp_ieee_inexact 0
		.amdhsa_exception_int_div_zero 0
	.end_amdhsa_kernel
	.section	.text._ZN4vllm25paged_attention_v2_kernelIfhLi256ELi16ELi128ELNS_18Fp8KVCacheDataTypeE1ELb0ELi512EEEvPfS2_PT_PKS3_PKT0_S9_ifPKiSB_iPKfiiiSD_SD_iiiii,"axG",@progbits,_ZN4vllm25paged_attention_v2_kernelIfhLi256ELi16ELi128ELNS_18Fp8KVCacheDataTypeE1ELb0ELi512EEEvPfS2_PT_PKS3_PKT0_S9_ifPKiSB_iPKfiiiSD_SD_iiiii,comdat
.Lfunc_end228:
	.size	_ZN4vllm25paged_attention_v2_kernelIfhLi256ELi16ELi128ELNS_18Fp8KVCacheDataTypeE1ELb0ELi512EEEvPfS2_PT_PKS3_PKT0_S9_ifPKiSB_iPKfiiiSD_SD_iiiii, .Lfunc_end228-_ZN4vllm25paged_attention_v2_kernelIfhLi256ELi16ELi128ELNS_18Fp8KVCacheDataTypeE1ELb0ELi512EEEvPfS2_PT_PKS3_PKT0_S9_ifPKiSB_iPKfiiiSD_SD_iiiii
                                        ; -- End function
	.section	.AMDGPU.csdata,"",@progbits
; Kernel info:
; codeLenInByte = 244
; NumSgprs: 50
; NumVgprs: 64
; NumAgprs: 64
; TotalNumVgprs: 128
; ScratchSize: 524
; MemoryBound: 0
; FloatMode: 240
; IeeeMode: 1
; LDSByteSize: 1040 bytes/workgroup (compile time only)
; SGPRBlocks: 6
; VGPRBlocks: 15
; NumSGPRsForWavesPerEU: 50
; NumVGPRsForWavesPerEU: 128
; AccumOffset: 64
; Occupancy: 4
; WaveLimiterHint : 1
; COMPUTE_PGM_RSRC2:SCRATCH_EN: 1
; COMPUTE_PGM_RSRC2:USER_SGPR: 8
; COMPUTE_PGM_RSRC2:TRAP_HANDLER: 0
; COMPUTE_PGM_RSRC2:TGID_X_EN: 1
; COMPUTE_PGM_RSRC2:TGID_Y_EN: 1
; COMPUTE_PGM_RSRC2:TGID_Z_EN: 1
; COMPUTE_PGM_RSRC2:TIDIG_COMP_CNT: 0
; COMPUTE_PGM_RSRC3_GFX90A:ACCUM_OFFSET: 15
; COMPUTE_PGM_RSRC3_GFX90A:TG_SPLIT: 0
	.section	.text._ZN4vllm25paged_attention_v2_kernelIfhLi32ELi32ELi128ELNS_18Fp8KVCacheDataTypeE1ELb1ELi512EEEvPfS2_PT_PKS3_PKT0_S9_ifPKiSB_iPKfiiiSD_SD_iiiii,"axG",@progbits,_ZN4vllm25paged_attention_v2_kernelIfhLi32ELi32ELi128ELNS_18Fp8KVCacheDataTypeE1ELb1ELi512EEEvPfS2_PT_PKS3_PKT0_S9_ifPKiSB_iPKfiiiSD_SD_iiiii,comdat
	.protected	_ZN4vllm25paged_attention_v2_kernelIfhLi32ELi32ELi128ELNS_18Fp8KVCacheDataTypeE1ELb1ELi512EEEvPfS2_PT_PKS3_PKT0_S9_ifPKiSB_iPKfiiiSD_SD_iiiii ; -- Begin function _ZN4vllm25paged_attention_v2_kernelIfhLi32ELi32ELi128ELNS_18Fp8KVCacheDataTypeE1ELb1ELi512EEEvPfS2_PT_PKS3_PKT0_S9_ifPKiSB_iPKfiiiSD_SD_iiiii
	.globl	_ZN4vllm25paged_attention_v2_kernelIfhLi32ELi32ELi128ELNS_18Fp8KVCacheDataTypeE1ELb1ELi512EEEvPfS2_PT_PKS3_PKT0_S9_ifPKiSB_iPKfiiiSD_SD_iiiii
	.p2align	8
	.type	_ZN4vllm25paged_attention_v2_kernelIfhLi32ELi32ELi128ELNS_18Fp8KVCacheDataTypeE1ELb1ELi512EEEvPfS2_PT_PKS3_PKT0_S9_ifPKiSB_iPKfiiiSD_SD_iiiii,@function
_ZN4vllm25paged_attention_v2_kernelIfhLi32ELi32ELi128ELNS_18Fp8KVCacheDataTypeE1ELb1ELi512EEEvPfS2_PT_PKS3_PKT0_S9_ifPKiSB_iPKfiiiSD_SD_iiiii: ; @_ZN4vllm25paged_attention_v2_kernelIfhLi32ELi32ELi128ELNS_18Fp8KVCacheDataTypeE1ELb1ELi512EEEvPfS2_PT_PKS3_PKT0_S9_ifPKiSB_iPKfiiiSD_SD_iiiii
; %bb.0:
	s_load_dwordx2 s[0:1], s[4:5], 0x40
	s_mov_b32 s34, s7
	s_ashr_i32 s35, s7, 31
	s_lshl_b64 s[2:3], s[34:35], 2
	s_waitcnt lgkmcnt(0)
	s_add_u32 s0, s0, s2
	s_addc_u32 s1, s1, s3
	s_load_dword s33, s[0:1], 0x0
	s_lshl_b32 s59, s8, 9
	s_waitcnt lgkmcnt(0)
	s_cmp_ge_i32 s59, s33
	s_cbranch_scc1 .LBB229_264
; %bb.1:
	s_load_dword s9, s[4:5], 0x90
	s_load_dwordx2 s[42:43], s[4:5], 0x30
	s_mov_b32 s60, 0
	s_waitcnt lgkmcnt(0)
	s_abs_i32 s2, s9
	s_abs_i32 s0, s42
	v_cvt_f32_u32_e32 v1, s0
	s_sub_i32 s3, 0, s0
	s_xor_b32 s1, s9, s42
	s_ashr_i32 s1, s1, 31
	v_rcp_iflag_f32_e32 v1, v1
	v_mul_f32_e32 v1, 0x4f7ffffe, v1
	v_cvt_u32_f32_e32 v1, v1
	v_readfirstlane_b32 s7, v1
	s_mul_i32 s3, s3, s7
	s_mul_hi_u32 s3, s7, s3
	s_add_i32 s7, s7, s3
	s_mul_hi_u32 s3, s2, s7
	s_mul_i32 s7, s3, s0
	s_sub_i32 s2, s2, s7
	s_add_i32 s10, s3, 1
	s_sub_i32 s7, s2, s0
	s_cmp_ge_u32 s2, s0
	s_cselect_b32 s3, s10, s3
	s_cselect_b32 s2, s7, s2
	s_add_i32 s7, s3, 1
	s_cmp_ge_u32 s2, s0
	s_cselect_b32 s0, s7, s3
	s_xor_b32 s0, s0, s1
	s_sub_i32 s11, s0, s1
	s_abs_i32 s2, s11
	v_cvt_f32_u32_e32 v1, s2
	s_load_dwordx2 s[0:1], s[4:5], 0x50
	s_sub_i32 s7, 0, s2
	s_abs_i32 s3, s6
	v_rcp_iflag_f32_e32 v1, v1
	v_mul_f32_e32 v1, 0x4f7ffffe, v1
	v_cvt_u32_f32_e32 v1, v1
	v_readfirstlane_b32 s10, v1
	s_mul_i32 s7, s7, s10
	s_mul_hi_u32 s7, s10, s7
	s_add_i32 s10, s10, s7
	s_waitcnt lgkmcnt(0)
	s_cmp_eq_u64 s[0:1], 0
	s_mul_hi_u32 s10, s3, s10
	s_cbranch_scc1 .LBB229_3
; %bb.2:
	s_ashr_i32 s7, s6, 31
	s_lshl_b64 s[12:13], s[6:7], 2
	s_add_u32 s0, s0, s12
	s_addc_u32 s1, s1, s13
	s_load_dword s60, s[0:1], 0x0
.LBB229_3:
	s_load_dwordx4 s[16:19], s[4:5], 0x58
	s_ashr_i32 s7, s6, 31
	s_ashr_i32 s11, s11, 31
	v_and_b32_e32 v2, 1, v0
	s_lshl_b32 s28, s6, 5
	v_cmp_gt_u32_e32 vcc, 16, v0
	v_lshlrev_b32_e32 v25, 2, v0
	s_and_saveexec_b64 s[0:1], vcc
	s_cbranch_execz .LBB229_5
; %bb.4:
	s_load_dwordx2 s[12:13], s[4:5], 0x18
	s_waitcnt lgkmcnt(0)
	s_mul_i32 s14, s34, s16
	s_ashr_i32 s15, s14, 31
	s_lshl_b64 s[14:15], s[14:15], 2
	v_lshlrev_b32_e32 v1, 3, v0
	s_add_u32 s14, s12, s14
	s_addc_u32 s15, s13, s15
	s_ashr_i32 s29, s28, 31
	s_lshl_b64 s[12:13], s[28:29], 2
	s_add_u32 s12, s14, s12
	s_addc_u32 s13, s15, s13
	global_load_dwordx2 v[4:5], v1, s[12:13]
	v_and_b32_e32 v1, 0xff8, v25
	v_lshl_add_u32 v1, v2, 6, v1
	s_waitcnt vmcnt(0)
	ds_write_b64 v1, v[4:5]
.LBB229_5:
	s_or_b64 exec, exec, s[0:1]
	s_mul_i32 s1, s10, s2
	s_sub_i32 s1, s3, s1
	s_xor_b32 s0, s7, s11
	s_add_i32 s3, s10, 1
	s_sub_i32 s7, s1, s2
	s_load_dwordx4 s[20:23], s[4:5], 0x78
	s_cmp_ge_u32 s1, s2
	s_cselect_b32 s3, s3, s10
	s_load_dword s10, s[4:5], 0x88
	s_cselect_b32 s1, s7, s1
	s_add_i32 s7, s3, 1
	s_cmp_ge_u32 s1, s2
	s_cselect_b32 s1, s7, s3
	s_waitcnt lgkmcnt(0)
	s_abs_i32 s35, s23
	v_cvt_f32_u32_e32 v1, s35
	s_xor_b32 s1, s1, s0
	s_sub_i32 s2, s1, s0
	s_sub_i32 s0, 0, s35
	v_rcp_iflag_f32_e32 v1, v1
	s_add_i32 s11, s33, -1
	s_abs_i32 s3, s11
	v_mul_f32_e32 v1, 0x4f7ffffe, v1
	v_cvt_u32_f32_e32 v1, v1
	s_barrier
	v_readfirstlane_b32 s56, v1
	s_mul_i32 s0, s0, s56
	s_mul_hi_u32 s0, s56, s0
	s_add_i32 s56, s56, s0
	s_cmp_lt_i32 s10, 0
	s_mul_hi_u32 s7, s3, s56
	s_cbranch_scc0 .LBB229_7
; %bb.6:
	s_mul_i32 s0, s20, s42
	s_add_i32 s0, s2, s0
	s_mul_i32 s0, s0, s10
	s_sub_i32 s42, 1, s0
	s_mov_b64 s[0:1], 0
	s_branch .LBB229_8
.LBB229_7:
	s_mov_b64 s[0:1], -1
                                        ; implicit-def: $sgpr42
.LBB229_8:
	s_load_dwordx2 s[36:37], s[4:5], 0x38
	s_ashr_i32 s11, s11, 31
	s_andn2_b64 vcc, exec, s[0:1]
	s_ashr_i32 s57, s23, 31
	s_cbranch_vccnz .LBB229_10
; %bb.9:
	s_mul_i32 s0, s9, s20
	s_add_i32 s0, s0, s6
	s_mul_i32 s0, s0, s10
	s_add_i32 s42, s0, 1
.LBB229_10:
	s_load_dwordx2 s[40:41], s[4:5], 0x28
	s_load_dword s0, s[4:5], 0x48
	s_load_dwordx4 s[24:27], s[4:5], 0x0
	s_load_dwordx2 s[30:31], s[4:5], 0x10
	s_load_dword s29, s[4:5], 0x98
	s_load_dwordx4 s[12:15], s[4:5], 0x68
	s_mul_i32 s1, s7, s35
	s_waitcnt lgkmcnt(0)
	s_mul_i32 s38, s34, s0
	s_sub_i32 s1, s3, s1
	s_ashr_i32 s39, s38, 31
	s_xor_b32 s0, s11, s57
	s_add_i32 s3, s7, 1
	s_sub_i32 s10, s1, s35
	s_cmp_ge_u32 s1, s35
	s_cselect_b32 s3, s3, s7
	s_cselect_b32 s1, s10, s1
	s_add_i32 s7, s3, 1
	s_cmp_ge_u32 s1, s35
	s_cselect_b32 s1, s7, s3
	s_xor_b32 s1, s1, s0
	s_sub_i32 s20, s1, s0
	s_add_i32 s0, s33, 31
	s_ashr_i32 s1, s0, 31
	s_lshr_b32 s1, s1, 27
	s_add_i32 s0, s0, s1
	s_lshl_b32 s61, s8, 4
	s_ashr_i32 s7, s0, 5
	s_add_i32 s0, s61, 16
	v_lshrrev_b32_e32 v61, 6, v0
	s_min_i32 s58, s0, s7
	v_or_b32_e32 v18, s61, v61
	v_cmp_gt_i32_e64 s[0:1], s58, v18
	v_mov_b32_e32 v66, 0xff7fffff
	s_mul_i32 s23, s2, s18
	v_ashrrev_i32_e32 v19, 31, v18
	v_lshl_add_u32 v1, v61, 5, s59
	v_mbcnt_lo_u32_b32 v62, -1, 0
	s_and_saveexec_b64 s[18:19], s[0:1]
	s_cbranch_execz .LBB229_116
; %bb.11:
	s_load_dwordx2 s[4:5], s[4:5], 0x20
	s_sub_i32 s62, s20, s21
	s_ashr_i32 s10, s23, 31
	v_bfe_u32 v63, v0, 1, 5
	v_cmp_eq_u32_e64 s[2:3], 0, v2
	s_waitcnt lgkmcnt(0)
	s_add_u32 s4, s4, s23
	s_addc_u32 s5, s5, s10
	s_abs_i32 s64, s22
	v_cvt_f32_u32_e32 v3, s64
	s_sub_i32 s10, 0, s64
	v_lshlrev_b32_e32 v4, 4, v63
	v_lshlrev_b32_e32 v24, 1, v2
	v_rcp_iflag_f32_e32 v3, v3
	v_lshlrev_b32_e32 v64, 6, v2
	v_mov_b32_e32 v5, s5
	v_add_co_u32_e32 v22, vcc, s4, v4
	v_mul_f32_e32 v3, 0x4f7ffffe, v3
	v_cvt_u32_f32_e32 v3, v3
	v_addc_co_u32_e32 v23, vcc, 0, v5, vcc
	s_mov_b32 s44, 0
	v_mul_lo_u32 v2, s10, v3
	v_mul_hi_u32 v2, v3, v2
	s_lshl_b64 s[10:11], s[38:39], 2
	v_add_u32_e32 v65, v3, v2
	v_lshlrev_b64 v[2:3], 2, v[18:19]
	s_add_u32 s10, s36, s10
	v_add_co_u32_e32 v26, vcc, s10, v2
	v_lshlrev_b32_e32 v2, 2, v63
	s_addc_u32 s11, s37, s11
	v_lshl_or_b32 v2, v61, 7, v2
	v_mov_b32_e32 v4, s11
	v_add_u32_e32 v68, 0x90, v2
	v_subrev_u32_e32 v2, s33, v63
	s_brev_b32 s45, 1
	s_mov_b32 s63, s17
	v_mov_b32_e32 v21, 0
	v_cmp_neq_f32_e64 s[4:5], s60, 0
	v_addc_co_u32_e32 v27, vcc, v4, v3, vcc
	v_lshl_add_u32 v67, v61, 5, s59
	v_add_u32_e32 v69, 1, v2
	s_mov_b64 s[46:47], 0
	v_mov_b32_e32 v70, 0xff7fffff
	s_movk_i32 s65, 0x80
	s_movk_i32 s66, 0x7f
	s_mov_b32 s49, 0x7f800001
	v_bfrev_b32_e32 v71, 60
	v_mov_b32_e32 v72, 7
	v_mbcnt_hi_u32_b32 v73, -1, v62
	v_mov_b32_e32 v66, 0xff7fffff
	v_mov_b32_e32 v74, v18
	s_branch .LBB229_14
.LBB229_12:                             ;   in Loop: Header=BB229_14 Depth=1
	s_or_b64 exec, exec, s[50:51]
.LBB229_13:                             ;   in Loop: Header=BB229_14 Depth=1
	s_or_b64 exec, exec, s[10:11]
	v_add_co_u32_e32 v26, vcc, 8, v26
	v_add_u32_e32 v74, 2, v74
	v_addc_co_u32_e32 v27, vcc, 0, v27, vcc
	v_cmp_le_i32_e32 vcc, s58, v74
	v_add_u32_e32 v67, 64, v67
	s_or_b64 s[46:47], vcc, s[46:47]
	v_add_u32_e32 v68, 0x100, v68
	s_andn2_b64 exec, exec, s[46:47]
	s_cbranch_execz .LBB229_115
.LBB229_14:                             ; =>This Inner Loop Header: Depth=1
	s_waitcnt lgkmcnt(0)
	v_sub_u32_e32 v3, 0, v67
	v_max_i32_e32 v3, v67, v3
	v_mul_hi_u32 v4, v3, s56
	v_mul_lo_u32 v5, v4, s35
	v_sub_u32_e32 v3, v3, v5
	v_add_u32_e32 v5, 1, v4
	v_cmp_le_u32_e32 vcc, s35, v3
	v_cndmask_b32_e32 v4, v4, v5, vcc
	v_subrev_u32_e32 v5, s35, v3
	v_cndmask_b32_e32 v3, v3, v5, vcc
	v_ashrrev_i32_e32 v2, 31, v67
	v_add_u32_e32 v5, 1, v4
	v_cmp_le_u32_e32 vcc, s35, v3
	v_xor_b32_e32 v2, s57, v2
	v_cndmask_b32_e32 v3, v4, v5, vcc
	v_xor_b32_e32 v3, v3, v2
	v_sub_u32_e32 v2, v3, v2
	v_add_u32_e32 v3, s42, v2
	v_sub_u32_e32 v5, 0, v3
	v_ashrrev_i32_e32 v4, 31, v3
	v_max_i32_e32 v3, v3, v5
	v_mul_hi_u32 v5, v3, v65
	v_mul_lo_u32 v5, v5, s64
	v_sub_u32_e32 v3, v3, v5
	v_subrev_u32_e32 v5, s64, v3
	v_cmp_le_u32_e32 vcc, s64, v3
	v_cndmask_b32_e32 v3, v3, v5, vcc
	v_subrev_u32_e32 v5, s64, v3
	v_cmp_le_u32_e32 vcc, s64, v3
	v_cndmask_b32_e32 v3, v3, v5, vcc
	v_xor_b32_e32 v3, v3, v4
	v_sub_u32_e32 v3, v3, v4
	v_cmp_ne_u32_e32 vcc, 0, v3
	v_cmp_ge_i32_e64 s[10:11], s62, v2
	s_and_b64 s[10:11], vcc, s[10:11]
	s_and_b64 s[52:53], s[2:3], s[10:11]
	s_and_saveexec_b64 s[50:51], s[52:53]
	s_cbranch_execz .LBB229_16
; %bb.15:                               ;   in Loop: Header=BB229_14 Depth=1
	ds_write_b32 v68, v70
.LBB229_16:                             ;   in Loop: Header=BB229_14 Depth=1
	s_or_b64 exec, exec, s[50:51]
	s_xor_b64 s[50:51], s[10:11], -1
	s_and_saveexec_b64 s[10:11], s[50:51]
	s_cbranch_execz .LBB229_13
; %bb.17:                               ;   in Loop: Header=BB229_14 Depth=1
	global_load_dword v2, v[26:27], off
	v_pk_mov_b32 v[28:29], 0, 0
	v_pk_mov_b32 v[30:31], v[28:29], v[28:29] op_sel:[0,1]
	s_waitcnt vmcnt(0)
	v_mad_i64_i32 v[2:3], s[50:51], v2, s63, v[22:23]
	v_add_co_u32_e32 v36, vcc, v2, v24
	v_addc_co_u32_e32 v37, vcc, 0, v3, vcc
	global_load_ushort v20, v[36:37], off
	ds_read_b128 v[14:17], v64
	ds_read_b128 v[10:13], v64 offset:16
	ds_read_b128 v[6:9], v64 offset:32
	;; [unrolled: 1-line block ×3, first 2 shown]
	s_load_dword s16, s[12:13], 0x0
	s_waitcnt vmcnt(0)
	v_and_b32_e32 v32, 0xffff, v20
	v_cmp_ne_u16_sdwa s[52:53], v20, v21 src0_sel:BYTE_0 src1_sel:DWORD
	s_and_saveexec_b64 s[50:51], s[52:53]
	s_cbranch_execz .LBB229_23
; %bb.18:                               ;   in Loop: Header=BB229_14 Depth=1
	v_bfrev_b32_e32 v30, 1
	v_cmp_ne_u16_sdwa s[54:55], v32, s65 src0_sel:BYTE_0 src1_sel:DWORD
	v_mov_b32_e32 v31, 0
	s_and_saveexec_b64 s[52:53], s[54:55]
	s_cbranch_execz .LBB229_22
; %bb.19:                               ;   in Loop: Header=BB229_14 Depth=1
	v_and_b32_e32 v20, 0x7f, v32
	v_mov_b32_e32 v30, 0x7f800001
	v_cmp_ne_u32_e32 vcc, s66, v20
	v_mov_b32_e32 v31, 0
	s_and_saveexec_b64 s[54:55], vcc
	s_cbranch_execz .LBB229_21
; %bb.20:                               ;   in Loop: Header=BB229_14 Depth=1
	v_and_b32_e32 v33, 7, v32
	v_ffbh_u32_e32 v30, v33
	v_min_u32_e32 v35, 32, v30
	v_subrev_u32_e32 v30, 28, v35
	v_lshlrev_b64 v[30:31], v30, v[32:33]
	v_lshrrev_b32_e32 v34, 3, v20
	v_sub_u32_e32 v31, 29, v35
	v_and_b32_e32 v30, 7, v30
	v_cmp_gt_u32_e32 vcc, 8, v20
	v_cndmask_b32_e32 v20, v34, v31, vcc
	v_cndmask_b32_e32 v30, v33, v30, vcc
	v_lshlrev_b32_e32 v30, 20, v30
	v_and_b32_sdwa v31, sext(v32), s45 dst_sel:DWORD dst_unused:UNUSED_PAD src0_sel:BYTE_0 src1_sel:DWORD
	v_lshl_add_u32 v20, v20, 23, v71
	v_or3_b32 v20, v31, v20, v30
	v_pk_mov_b32 v[30:31], v[20:21], v[20:21] op_sel:[0,1]
.LBB229_21:                             ;   in Loop: Header=BB229_14 Depth=1
	s_or_b64 exec, exec, s[54:55]
.LBB229_22:                             ;   in Loop: Header=BB229_14 Depth=1
	s_or_b64 exec, exec, s[52:53]
.LBB229_23:                             ;   in Loop: Header=BB229_14 Depth=1
	s_or_b64 exec, exec, s[50:51]
	v_cmp_ne_u16_sdwa s[52:53], v32, v21 src0_sel:BYTE_1 src1_sel:DWORD
	s_and_saveexec_b64 s[50:51], s[52:53]
	s_cbranch_execz .LBB229_29
; %bb.24:                               ;   in Loop: Header=BB229_14 Depth=1
	v_cmp_ne_u16_sdwa s[54:55], v32, s65 src0_sel:BYTE_1 src1_sel:DWORD
	v_pk_mov_b32 v[28:29], s[44:45], s[44:45] op_sel:[0,1]
	s_and_saveexec_b64 s[52:53], s[54:55]
	s_cbranch_execz .LBB229_28
; %bb.25:                               ;   in Loop: Header=BB229_14 Depth=1
	v_and_b32_sdwa v33, v32, s66 dst_sel:DWORD dst_unused:UNUSED_PAD src0_sel:BYTE_1 src1_sel:DWORD
	s_mov_b32 s48, s44
	v_cmp_ne_u32_e32 vcc, s66, v33
	v_pk_mov_b32 v[28:29], s[48:49], s[48:49] op_sel:[0,1]
	s_and_saveexec_b64 s[54:55], vcc
	s_cbranch_execz .LBB229_27
; %bb.26:                               ;   in Loop: Header=BB229_14 Depth=1
	v_and_b32_sdwa v20, v32, v72 dst_sel:DWORD dst_unused:UNUSED_PAD src0_sel:BYTE_1 src1_sel:DWORD
	v_ffbh_u32_e32 v28, v20
	v_min_u32_e32 v35, 32, v28
	v_subrev_u32_e32 v28, 28, v35
	v_lshlrev_b64 v[28:29], v28, v[20:21]
	v_lshrrev_b32_e32 v34, 3, v33
	v_sub_u32_e32 v29, 29, v35
	v_cmp_gt_u32_e32 vcc, 8, v33
	v_and_b32_e32 v28, 7, v28
	v_cndmask_b32_e32 v29, v34, v29, vcc
	v_cndmask_b32_e32 v20, v20, v28, vcc
	v_lshlrev_b32_e32 v28, 16, v32
	v_lshl_add_u32 v29, v29, 23, v71
	v_and_or_b32 v28, v28, s45, v29
	v_lshlrev_b32_e32 v20, 20, v20
	v_or_b32_e32 v29, v28, v20
	v_mov_b32_e32 v28, v21
.LBB229_27:                             ;   in Loop: Header=BB229_14 Depth=1
	s_or_b64 exec, exec, s[54:55]
.LBB229_28:                             ;   in Loop: Header=BB229_14 Depth=1
	s_or_b64 exec, exec, s[52:53]
.LBB229_29:                             ;   in Loop: Header=BB229_14 Depth=1
	s_or_b64 exec, exec, s[50:51]
	global_load_ushort v20, v[36:37], off offset:4
	v_pk_mov_b32 v[32:33], 0, 0
	v_pk_mov_b32 v[34:35], v[32:33], v[32:33] op_sel:[0,1]
	s_waitcnt vmcnt(0)
	v_and_b32_e32 v38, 0xffff, v20
	v_cmp_ne_u16_sdwa s[52:53], v20, v21 src0_sel:BYTE_0 src1_sel:DWORD
	s_and_saveexec_b64 s[50:51], s[52:53]
	s_cbranch_execz .LBB229_35
; %bb.30:                               ;   in Loop: Header=BB229_14 Depth=1
	v_bfrev_b32_e32 v34, 1
	v_cmp_ne_u16_sdwa s[54:55], v38, s65 src0_sel:BYTE_0 src1_sel:DWORD
	v_mov_b32_e32 v35, 0
	s_and_saveexec_b64 s[52:53], s[54:55]
	s_cbranch_execz .LBB229_34
; %bb.31:                               ;   in Loop: Header=BB229_14 Depth=1
	v_and_b32_e32 v20, 0x7f, v38
	v_mov_b32_e32 v34, 0x7f800001
	v_cmp_ne_u32_e32 vcc, s66, v20
	v_mov_b32_e32 v35, 0
	s_and_saveexec_b64 s[54:55], vcc
	s_cbranch_execz .LBB229_33
; %bb.32:                               ;   in Loop: Header=BB229_14 Depth=1
	v_and_b32_e32 v39, 7, v38
	v_ffbh_u32_e32 v34, v39
	v_min_u32_e32 v41, 32, v34
	v_subrev_u32_e32 v34, 28, v41
	v_lshlrev_b64 v[34:35], v34, v[38:39]
	v_lshrrev_b32_e32 v40, 3, v20
	v_sub_u32_e32 v35, 29, v41
	v_and_b32_e32 v34, 7, v34
	v_cmp_gt_u32_e32 vcc, 8, v20
	v_cndmask_b32_e32 v20, v40, v35, vcc
	v_cndmask_b32_e32 v34, v39, v34, vcc
	v_lshlrev_b32_e32 v34, 20, v34
	v_and_b32_sdwa v35, sext(v38), s45 dst_sel:DWORD dst_unused:UNUSED_PAD src0_sel:BYTE_0 src1_sel:DWORD
	v_lshl_add_u32 v20, v20, 23, v71
	v_or3_b32 v20, v35, v20, v34
	v_pk_mov_b32 v[34:35], v[20:21], v[20:21] op_sel:[0,1]
.LBB229_33:                             ;   in Loop: Header=BB229_14 Depth=1
	s_or_b64 exec, exec, s[54:55]
.LBB229_34:                             ;   in Loop: Header=BB229_14 Depth=1
	s_or_b64 exec, exec, s[52:53]
.LBB229_35:                             ;   in Loop: Header=BB229_14 Depth=1
	s_or_b64 exec, exec, s[50:51]
	v_cmp_ne_u16_sdwa s[52:53], v38, v21 src0_sel:BYTE_1 src1_sel:DWORD
	s_and_saveexec_b64 s[50:51], s[52:53]
	s_cbranch_execz .LBB229_41
; %bb.36:                               ;   in Loop: Header=BB229_14 Depth=1
	v_cmp_ne_u16_sdwa s[54:55], v38, s65 src0_sel:BYTE_1 src1_sel:DWORD
	v_pk_mov_b32 v[32:33], s[44:45], s[44:45] op_sel:[0,1]
	s_and_saveexec_b64 s[52:53], s[54:55]
	s_cbranch_execz .LBB229_40
; %bb.37:                               ;   in Loop: Header=BB229_14 Depth=1
	v_and_b32_sdwa v39, v38, s66 dst_sel:DWORD dst_unused:UNUSED_PAD src0_sel:BYTE_1 src1_sel:DWORD
	s_mov_b32 s48, s44
	v_cmp_ne_u32_e32 vcc, s66, v39
	v_pk_mov_b32 v[32:33], s[48:49], s[48:49] op_sel:[0,1]
	s_and_saveexec_b64 s[54:55], vcc
	s_cbranch_execz .LBB229_39
; %bb.38:                               ;   in Loop: Header=BB229_14 Depth=1
	v_and_b32_sdwa v20, v38, v72 dst_sel:DWORD dst_unused:UNUSED_PAD src0_sel:BYTE_1 src1_sel:DWORD
	v_ffbh_u32_e32 v32, v20
	v_min_u32_e32 v41, 32, v32
	v_subrev_u32_e32 v32, 28, v41
	v_lshlrev_b64 v[32:33], v32, v[20:21]
	v_lshrrev_b32_e32 v40, 3, v39
	v_sub_u32_e32 v33, 29, v41
	v_cmp_gt_u32_e32 vcc, 8, v39
	v_and_b32_e32 v32, 7, v32
	v_cndmask_b32_e32 v33, v40, v33, vcc
	v_cndmask_b32_e32 v20, v20, v32, vcc
	v_lshlrev_b32_e32 v32, 16, v38
	v_lshl_add_u32 v33, v33, 23, v71
	v_and_or_b32 v32, v32, s45, v33
	v_lshlrev_b32_e32 v20, 20, v20
	v_or_b32_e32 v33, v32, v20
	v_mov_b32_e32 v32, v21
.LBB229_39:                             ;   in Loop: Header=BB229_14 Depth=1
	s_or_b64 exec, exec, s[54:55]
.LBB229_40:                             ;   in Loop: Header=BB229_14 Depth=1
	s_or_b64 exec, exec, s[52:53]
.LBB229_41:                             ;   in Loop: Header=BB229_14 Depth=1
	s_or_b64 exec, exec, s[50:51]
	global_load_ushort v20, v[36:37], off offset:8
	v_pk_mov_b32 v[38:39], 0, 0
	v_pk_mov_b32 v[40:41], v[38:39], v[38:39] op_sel:[0,1]
	s_waitcnt vmcnt(0)
	v_and_b32_e32 v42, 0xffff, v20
	v_cmp_ne_u16_sdwa s[52:53], v20, v21 src0_sel:BYTE_0 src1_sel:DWORD
	s_and_saveexec_b64 s[50:51], s[52:53]
	s_cbranch_execz .LBB229_47
; %bb.42:                               ;   in Loop: Header=BB229_14 Depth=1
	v_bfrev_b32_e32 v40, 1
	v_cmp_ne_u16_sdwa s[54:55], v42, s65 src0_sel:BYTE_0 src1_sel:DWORD
	v_mov_b32_e32 v41, 0
	s_and_saveexec_b64 s[52:53], s[54:55]
	s_cbranch_execz .LBB229_46
; %bb.43:                               ;   in Loop: Header=BB229_14 Depth=1
	v_and_b32_e32 v20, 0x7f, v42
	v_mov_b32_e32 v40, 0x7f800001
	v_cmp_ne_u32_e32 vcc, s66, v20
	v_mov_b32_e32 v41, 0
	s_and_saveexec_b64 s[54:55], vcc
	s_cbranch_execz .LBB229_45
; %bb.44:                               ;   in Loop: Header=BB229_14 Depth=1
	v_and_b32_e32 v43, 7, v42
	v_ffbh_u32_e32 v40, v43
	v_min_u32_e32 v45, 32, v40
	v_subrev_u32_e32 v40, 28, v45
	v_lshlrev_b64 v[40:41], v40, v[42:43]
	v_lshrrev_b32_e32 v44, 3, v20
	v_sub_u32_e32 v41, 29, v45
	v_and_b32_e32 v40, 7, v40
	v_cmp_gt_u32_e32 vcc, 8, v20
	v_cndmask_b32_e32 v20, v44, v41, vcc
	v_cndmask_b32_e32 v40, v43, v40, vcc
	v_lshlrev_b32_e32 v40, 20, v40
	v_and_b32_sdwa v41, sext(v42), s45 dst_sel:DWORD dst_unused:UNUSED_PAD src0_sel:BYTE_0 src1_sel:DWORD
	v_lshl_add_u32 v20, v20, 23, v71
	v_or3_b32 v20, v41, v20, v40
	v_pk_mov_b32 v[40:41], v[20:21], v[20:21] op_sel:[0,1]
.LBB229_45:                             ;   in Loop: Header=BB229_14 Depth=1
	s_or_b64 exec, exec, s[54:55]
.LBB229_46:                             ;   in Loop: Header=BB229_14 Depth=1
	s_or_b64 exec, exec, s[52:53]
.LBB229_47:                             ;   in Loop: Header=BB229_14 Depth=1
	s_or_b64 exec, exec, s[50:51]
	v_cmp_ne_u16_sdwa s[52:53], v42, v21 src0_sel:BYTE_1 src1_sel:DWORD
	s_and_saveexec_b64 s[50:51], s[52:53]
	s_cbranch_execz .LBB229_53
; %bb.48:                               ;   in Loop: Header=BB229_14 Depth=1
	v_cmp_ne_u16_sdwa s[54:55], v42, s65 src0_sel:BYTE_1 src1_sel:DWORD
	v_pk_mov_b32 v[38:39], s[44:45], s[44:45] op_sel:[0,1]
	s_and_saveexec_b64 s[52:53], s[54:55]
	s_cbranch_execz .LBB229_52
; %bb.49:                               ;   in Loop: Header=BB229_14 Depth=1
	v_and_b32_sdwa v43, v42, s66 dst_sel:DWORD dst_unused:UNUSED_PAD src0_sel:BYTE_1 src1_sel:DWORD
	s_mov_b32 s48, s44
	v_cmp_ne_u32_e32 vcc, s66, v43
	v_pk_mov_b32 v[38:39], s[48:49], s[48:49] op_sel:[0,1]
	s_and_saveexec_b64 s[54:55], vcc
	s_cbranch_execz .LBB229_51
; %bb.50:                               ;   in Loop: Header=BB229_14 Depth=1
	v_and_b32_sdwa v20, v42, v72 dst_sel:DWORD dst_unused:UNUSED_PAD src0_sel:BYTE_1 src1_sel:DWORD
	v_ffbh_u32_e32 v38, v20
	v_min_u32_e32 v45, 32, v38
	v_subrev_u32_e32 v38, 28, v45
	v_lshlrev_b64 v[38:39], v38, v[20:21]
	v_lshrrev_b32_e32 v44, 3, v43
	v_sub_u32_e32 v39, 29, v45
	v_cmp_gt_u32_e32 vcc, 8, v43
	v_and_b32_e32 v38, 7, v38
	v_cndmask_b32_e32 v39, v44, v39, vcc
	v_cndmask_b32_e32 v20, v20, v38, vcc
	v_lshlrev_b32_e32 v38, 16, v42
	v_lshl_add_u32 v39, v39, 23, v71
	v_and_or_b32 v38, v38, s45, v39
	v_lshlrev_b32_e32 v20, 20, v20
	v_or_b32_e32 v39, v38, v20
	v_mov_b32_e32 v38, v21
.LBB229_51:                             ;   in Loop: Header=BB229_14 Depth=1
	s_or_b64 exec, exec, s[54:55]
.LBB229_52:                             ;   in Loop: Header=BB229_14 Depth=1
	s_or_b64 exec, exec, s[52:53]
.LBB229_53:                             ;   in Loop: Header=BB229_14 Depth=1
	s_or_b64 exec, exec, s[50:51]
	global_load_ushort v20, v[36:37], off offset:12
	v_pk_mov_b32 v[42:43], 0, 0
	v_pk_mov_b32 v[44:45], v[42:43], v[42:43] op_sel:[0,1]
	s_waitcnt vmcnt(0)
	v_and_b32_e32 v46, 0xffff, v20
	v_cmp_ne_u16_sdwa s[52:53], v20, v21 src0_sel:BYTE_0 src1_sel:DWORD
	s_and_saveexec_b64 s[50:51], s[52:53]
	s_cbranch_execz .LBB229_59
; %bb.54:                               ;   in Loop: Header=BB229_14 Depth=1
	v_bfrev_b32_e32 v44, 1
	v_cmp_ne_u16_sdwa s[54:55], v46, s65 src0_sel:BYTE_0 src1_sel:DWORD
	v_mov_b32_e32 v45, 0
	s_and_saveexec_b64 s[52:53], s[54:55]
	s_cbranch_execz .LBB229_58
; %bb.55:                               ;   in Loop: Header=BB229_14 Depth=1
	v_and_b32_e32 v20, 0x7f, v46
	v_mov_b32_e32 v44, 0x7f800001
	v_cmp_ne_u32_e32 vcc, s66, v20
	v_mov_b32_e32 v45, 0
	s_and_saveexec_b64 s[54:55], vcc
	s_cbranch_execz .LBB229_57
; %bb.56:                               ;   in Loop: Header=BB229_14 Depth=1
	v_and_b32_e32 v47, 7, v46
	v_ffbh_u32_e32 v44, v47
	v_min_u32_e32 v49, 32, v44
	v_subrev_u32_e32 v44, 28, v49
	v_lshlrev_b64 v[44:45], v44, v[46:47]
	v_lshrrev_b32_e32 v48, 3, v20
	v_sub_u32_e32 v45, 29, v49
	v_and_b32_e32 v44, 7, v44
	v_cmp_gt_u32_e32 vcc, 8, v20
	v_cndmask_b32_e32 v20, v48, v45, vcc
	v_cndmask_b32_e32 v44, v47, v44, vcc
	v_lshlrev_b32_e32 v44, 20, v44
	v_and_b32_sdwa v45, sext(v46), s45 dst_sel:DWORD dst_unused:UNUSED_PAD src0_sel:BYTE_0 src1_sel:DWORD
	v_lshl_add_u32 v20, v20, 23, v71
	v_or3_b32 v20, v45, v20, v44
	v_pk_mov_b32 v[44:45], v[20:21], v[20:21] op_sel:[0,1]
.LBB229_57:                             ;   in Loop: Header=BB229_14 Depth=1
	s_or_b64 exec, exec, s[54:55]
.LBB229_58:                             ;   in Loop: Header=BB229_14 Depth=1
	s_or_b64 exec, exec, s[52:53]
.LBB229_59:                             ;   in Loop: Header=BB229_14 Depth=1
	s_or_b64 exec, exec, s[50:51]
	v_cmp_ne_u16_sdwa s[52:53], v46, v21 src0_sel:BYTE_1 src1_sel:DWORD
	s_and_saveexec_b64 s[50:51], s[52:53]
	s_cbranch_execz .LBB229_65
; %bb.60:                               ;   in Loop: Header=BB229_14 Depth=1
	v_cmp_ne_u16_sdwa s[54:55], v46, s65 src0_sel:BYTE_1 src1_sel:DWORD
	v_pk_mov_b32 v[42:43], s[44:45], s[44:45] op_sel:[0,1]
	s_and_saveexec_b64 s[52:53], s[54:55]
	s_cbranch_execz .LBB229_64
; %bb.61:                               ;   in Loop: Header=BB229_14 Depth=1
	v_and_b32_sdwa v47, v46, s66 dst_sel:DWORD dst_unused:UNUSED_PAD src0_sel:BYTE_1 src1_sel:DWORD
	s_mov_b32 s48, s44
	v_cmp_ne_u32_e32 vcc, s66, v47
	v_pk_mov_b32 v[42:43], s[48:49], s[48:49] op_sel:[0,1]
	s_and_saveexec_b64 s[54:55], vcc
	s_cbranch_execz .LBB229_63
; %bb.62:                               ;   in Loop: Header=BB229_14 Depth=1
	v_and_b32_sdwa v20, v46, v72 dst_sel:DWORD dst_unused:UNUSED_PAD src0_sel:BYTE_1 src1_sel:DWORD
	v_ffbh_u32_e32 v42, v20
	v_min_u32_e32 v49, 32, v42
	v_subrev_u32_e32 v42, 28, v49
	v_lshlrev_b64 v[42:43], v42, v[20:21]
	v_lshrrev_b32_e32 v48, 3, v47
	v_sub_u32_e32 v43, 29, v49
	v_cmp_gt_u32_e32 vcc, 8, v47
	v_and_b32_e32 v42, 7, v42
	v_cndmask_b32_e32 v43, v48, v43, vcc
	v_cndmask_b32_e32 v20, v20, v42, vcc
	v_lshlrev_b32_e32 v42, 16, v46
	v_lshl_add_u32 v43, v43, 23, v71
	v_and_or_b32 v42, v42, s45, v43
	v_lshlrev_b32_e32 v20, 20, v20
	v_or_b32_e32 v43, v42, v20
	v_mov_b32_e32 v42, v21
.LBB229_63:                             ;   in Loop: Header=BB229_14 Depth=1
	s_or_b64 exec, exec, s[54:55]
.LBB229_64:                             ;   in Loop: Header=BB229_14 Depth=1
	s_or_b64 exec, exec, s[52:53]
.LBB229_65:                             ;   in Loop: Header=BB229_14 Depth=1
	s_or_b64 exec, exec, s[50:51]
	global_load_ushort v20, v[36:37], off offset:512
	v_pk_mov_b32 v[46:47], 0, 0
	v_pk_mov_b32 v[48:49], v[46:47], v[46:47] op_sel:[0,1]
	s_waitcnt vmcnt(0)
	v_and_b32_e32 v50, 0xffff, v20
	v_cmp_ne_u16_sdwa s[52:53], v20, v21 src0_sel:BYTE_0 src1_sel:DWORD
	s_and_saveexec_b64 s[50:51], s[52:53]
	s_cbranch_execz .LBB229_71
; %bb.66:                               ;   in Loop: Header=BB229_14 Depth=1
	v_bfrev_b32_e32 v48, 1
	v_cmp_ne_u16_sdwa s[54:55], v50, s65 src0_sel:BYTE_0 src1_sel:DWORD
	v_mov_b32_e32 v49, 0
	s_and_saveexec_b64 s[52:53], s[54:55]
	s_cbranch_execz .LBB229_70
; %bb.67:                               ;   in Loop: Header=BB229_14 Depth=1
	v_and_b32_e32 v20, 0x7f, v50
	v_mov_b32_e32 v48, 0x7f800001
	v_cmp_ne_u32_e32 vcc, s66, v20
	v_mov_b32_e32 v49, 0
	s_and_saveexec_b64 s[54:55], vcc
	s_cbranch_execz .LBB229_69
; %bb.68:                               ;   in Loop: Header=BB229_14 Depth=1
	v_and_b32_e32 v51, 7, v50
	v_ffbh_u32_e32 v48, v51
	v_min_u32_e32 v53, 32, v48
	v_subrev_u32_e32 v48, 28, v53
	v_lshlrev_b64 v[48:49], v48, v[50:51]
	v_lshrrev_b32_e32 v52, 3, v20
	v_sub_u32_e32 v49, 29, v53
	v_and_b32_e32 v48, 7, v48
	v_cmp_gt_u32_e32 vcc, 8, v20
	v_cndmask_b32_e32 v20, v52, v49, vcc
	v_cndmask_b32_e32 v48, v51, v48, vcc
	v_lshlrev_b32_e32 v48, 20, v48
	v_and_b32_sdwa v49, sext(v50), s45 dst_sel:DWORD dst_unused:UNUSED_PAD src0_sel:BYTE_0 src1_sel:DWORD
	v_lshl_add_u32 v20, v20, 23, v71
	v_or3_b32 v20, v49, v20, v48
	v_pk_mov_b32 v[48:49], v[20:21], v[20:21] op_sel:[0,1]
.LBB229_69:                             ;   in Loop: Header=BB229_14 Depth=1
	s_or_b64 exec, exec, s[54:55]
.LBB229_70:                             ;   in Loop: Header=BB229_14 Depth=1
	s_or_b64 exec, exec, s[52:53]
.LBB229_71:                             ;   in Loop: Header=BB229_14 Depth=1
	s_or_b64 exec, exec, s[50:51]
	v_cmp_ne_u16_sdwa s[52:53], v50, v21 src0_sel:BYTE_1 src1_sel:DWORD
	s_and_saveexec_b64 s[50:51], s[52:53]
	s_cbranch_execz .LBB229_77
; %bb.72:                               ;   in Loop: Header=BB229_14 Depth=1
	v_cmp_ne_u16_sdwa s[54:55], v50, s65 src0_sel:BYTE_1 src1_sel:DWORD
	v_pk_mov_b32 v[46:47], s[44:45], s[44:45] op_sel:[0,1]
	s_and_saveexec_b64 s[52:53], s[54:55]
	s_cbranch_execz .LBB229_76
; %bb.73:                               ;   in Loop: Header=BB229_14 Depth=1
	v_and_b32_sdwa v51, v50, s66 dst_sel:DWORD dst_unused:UNUSED_PAD src0_sel:BYTE_1 src1_sel:DWORD
	s_mov_b32 s48, s44
	v_cmp_ne_u32_e32 vcc, s66, v51
	v_pk_mov_b32 v[46:47], s[48:49], s[48:49] op_sel:[0,1]
	s_and_saveexec_b64 s[54:55], vcc
	s_cbranch_execz .LBB229_75
; %bb.74:                               ;   in Loop: Header=BB229_14 Depth=1
	v_and_b32_sdwa v20, v50, v72 dst_sel:DWORD dst_unused:UNUSED_PAD src0_sel:BYTE_1 src1_sel:DWORD
	v_ffbh_u32_e32 v46, v20
	v_min_u32_e32 v53, 32, v46
	v_subrev_u32_e32 v46, 28, v53
	v_lshlrev_b64 v[46:47], v46, v[20:21]
	v_lshrrev_b32_e32 v52, 3, v51
	v_sub_u32_e32 v47, 29, v53
	v_cmp_gt_u32_e32 vcc, 8, v51
	v_and_b32_e32 v46, 7, v46
	v_cndmask_b32_e32 v47, v52, v47, vcc
	v_cndmask_b32_e32 v20, v20, v46, vcc
	v_lshlrev_b32_e32 v46, 16, v50
	v_lshl_add_u32 v47, v47, 23, v71
	v_and_or_b32 v46, v46, s45, v47
	v_lshlrev_b32_e32 v20, 20, v20
	v_or_b32_e32 v47, v46, v20
	v_mov_b32_e32 v46, v21
.LBB229_75:                             ;   in Loop: Header=BB229_14 Depth=1
	s_or_b64 exec, exec, s[54:55]
.LBB229_76:                             ;   in Loop: Header=BB229_14 Depth=1
	s_or_b64 exec, exec, s[52:53]
.LBB229_77:                             ;   in Loop: Header=BB229_14 Depth=1
	s_or_b64 exec, exec, s[50:51]
	global_load_ushort v20, v[36:37], off offset:516
	v_pk_mov_b32 v[50:51], 0, 0
	v_pk_mov_b32 v[52:53], v[50:51], v[50:51] op_sel:[0,1]
	s_waitcnt vmcnt(0)
	v_and_b32_e32 v54, 0xffff, v20
	v_cmp_ne_u16_sdwa s[52:53], v20, v21 src0_sel:BYTE_0 src1_sel:DWORD
	s_and_saveexec_b64 s[50:51], s[52:53]
	s_cbranch_execz .LBB229_83
; %bb.78:                               ;   in Loop: Header=BB229_14 Depth=1
	v_bfrev_b32_e32 v52, 1
	v_cmp_ne_u16_sdwa s[54:55], v54, s65 src0_sel:BYTE_0 src1_sel:DWORD
	v_mov_b32_e32 v53, 0
	s_and_saveexec_b64 s[52:53], s[54:55]
	s_cbranch_execz .LBB229_82
; %bb.79:                               ;   in Loop: Header=BB229_14 Depth=1
	v_and_b32_e32 v20, 0x7f, v54
	v_mov_b32_e32 v52, 0x7f800001
	v_cmp_ne_u32_e32 vcc, s66, v20
	v_mov_b32_e32 v53, 0
	s_and_saveexec_b64 s[54:55], vcc
	s_cbranch_execz .LBB229_81
; %bb.80:                               ;   in Loop: Header=BB229_14 Depth=1
	v_and_b32_e32 v55, 7, v54
	v_ffbh_u32_e32 v52, v55
	v_min_u32_e32 v57, 32, v52
	v_subrev_u32_e32 v52, 28, v57
	v_lshlrev_b64 v[52:53], v52, v[54:55]
	v_lshrrev_b32_e32 v56, 3, v20
	v_sub_u32_e32 v53, 29, v57
	v_and_b32_e32 v52, 7, v52
	v_cmp_gt_u32_e32 vcc, 8, v20
	v_cndmask_b32_e32 v20, v56, v53, vcc
	v_cndmask_b32_e32 v52, v55, v52, vcc
	v_lshlrev_b32_e32 v52, 20, v52
	v_and_b32_sdwa v53, sext(v54), s45 dst_sel:DWORD dst_unused:UNUSED_PAD src0_sel:BYTE_0 src1_sel:DWORD
	v_lshl_add_u32 v20, v20, 23, v71
	v_or3_b32 v20, v53, v20, v52
	v_pk_mov_b32 v[52:53], v[20:21], v[20:21] op_sel:[0,1]
.LBB229_81:                             ;   in Loop: Header=BB229_14 Depth=1
	s_or_b64 exec, exec, s[54:55]
.LBB229_82:                             ;   in Loop: Header=BB229_14 Depth=1
	s_or_b64 exec, exec, s[52:53]
.LBB229_83:                             ;   in Loop: Header=BB229_14 Depth=1
	s_or_b64 exec, exec, s[50:51]
	v_cmp_ne_u16_sdwa s[52:53], v54, v21 src0_sel:BYTE_1 src1_sel:DWORD
	s_and_saveexec_b64 s[50:51], s[52:53]
	s_cbranch_execz .LBB229_89
; %bb.84:                               ;   in Loop: Header=BB229_14 Depth=1
	v_cmp_ne_u16_sdwa s[54:55], v54, s65 src0_sel:BYTE_1 src1_sel:DWORD
	v_pk_mov_b32 v[50:51], s[44:45], s[44:45] op_sel:[0,1]
	s_and_saveexec_b64 s[52:53], s[54:55]
	s_cbranch_execz .LBB229_88
; %bb.85:                               ;   in Loop: Header=BB229_14 Depth=1
	v_and_b32_sdwa v55, v54, s66 dst_sel:DWORD dst_unused:UNUSED_PAD src0_sel:BYTE_1 src1_sel:DWORD
	s_mov_b32 s48, s44
	v_cmp_ne_u32_e32 vcc, s66, v55
	v_pk_mov_b32 v[50:51], s[48:49], s[48:49] op_sel:[0,1]
	s_and_saveexec_b64 s[54:55], vcc
	s_cbranch_execz .LBB229_87
; %bb.86:                               ;   in Loop: Header=BB229_14 Depth=1
	v_and_b32_sdwa v20, v54, v72 dst_sel:DWORD dst_unused:UNUSED_PAD src0_sel:BYTE_1 src1_sel:DWORD
	v_ffbh_u32_e32 v50, v20
	v_min_u32_e32 v57, 32, v50
	v_subrev_u32_e32 v50, 28, v57
	v_lshlrev_b64 v[50:51], v50, v[20:21]
	v_lshrrev_b32_e32 v56, 3, v55
	v_sub_u32_e32 v51, 29, v57
	v_cmp_gt_u32_e32 vcc, 8, v55
	v_and_b32_e32 v50, 7, v50
	v_cndmask_b32_e32 v51, v56, v51, vcc
	v_cndmask_b32_e32 v20, v20, v50, vcc
	v_lshlrev_b32_e32 v50, 16, v54
	v_lshl_add_u32 v51, v51, 23, v71
	v_and_or_b32 v50, v50, s45, v51
	v_lshlrev_b32_e32 v20, 20, v20
	v_or_b32_e32 v51, v50, v20
	v_mov_b32_e32 v50, v21
.LBB229_87:                             ;   in Loop: Header=BB229_14 Depth=1
	s_or_b64 exec, exec, s[54:55]
.LBB229_88:                             ;   in Loop: Header=BB229_14 Depth=1
	s_or_b64 exec, exec, s[52:53]
.LBB229_89:                             ;   in Loop: Header=BB229_14 Depth=1
	s_or_b64 exec, exec, s[50:51]
	v_add_co_u32_e32 v56, vcc, 0x200, v36
	v_addc_co_u32_e32 v57, vcc, 0, v37, vcc
	global_load_ushort v20, v[56:57], off offset:8
	v_pk_mov_b32 v[36:37], 0, 0
	v_pk_mov_b32 v[54:55], v[36:37], v[36:37] op_sel:[0,1]
	s_waitcnt vmcnt(0)
	v_and_b32_e32 v58, 0xffff, v20
	v_cmp_ne_u16_sdwa s[52:53], v20, v21 src0_sel:BYTE_0 src1_sel:DWORD
	s_and_saveexec_b64 s[50:51], s[52:53]
	s_cbranch_execz .LBB229_95
; %bb.90:                               ;   in Loop: Header=BB229_14 Depth=1
	v_bfrev_b32_e32 v54, 1
	v_cmp_ne_u16_sdwa s[54:55], v58, s65 src0_sel:BYTE_0 src1_sel:DWORD
	v_mov_b32_e32 v55, 0
	s_and_saveexec_b64 s[52:53], s[54:55]
	s_cbranch_execz .LBB229_94
; %bb.91:                               ;   in Loop: Header=BB229_14 Depth=1
	v_and_b32_e32 v20, 0x7f, v58
	v_mov_b32_e32 v54, 0x7f800001
	v_cmp_ne_u32_e32 vcc, s66, v20
	v_mov_b32_e32 v55, 0
	s_and_saveexec_b64 s[54:55], vcc
	s_cbranch_execz .LBB229_93
; %bb.92:                               ;   in Loop: Header=BB229_14 Depth=1
	v_and_b32_e32 v59, 7, v58
	v_ffbh_u32_e32 v54, v59
	v_min_u32_e32 v75, 32, v54
	v_subrev_u32_e32 v54, 28, v75
	v_lshlrev_b64 v[54:55], v54, v[58:59]
	v_lshrrev_b32_e32 v60, 3, v20
	v_sub_u32_e32 v55, 29, v75
	v_and_b32_e32 v54, 7, v54
	v_cmp_gt_u32_e32 vcc, 8, v20
	v_cndmask_b32_e32 v20, v60, v55, vcc
	v_cndmask_b32_e32 v54, v59, v54, vcc
	v_lshlrev_b32_e32 v54, 20, v54
	v_and_b32_sdwa v55, sext(v58), s45 dst_sel:DWORD dst_unused:UNUSED_PAD src0_sel:BYTE_0 src1_sel:DWORD
	v_lshl_add_u32 v20, v20, 23, v71
	v_or3_b32 v20, v55, v20, v54
	v_pk_mov_b32 v[54:55], v[20:21], v[20:21] op_sel:[0,1]
.LBB229_93:                             ;   in Loop: Header=BB229_14 Depth=1
	s_or_b64 exec, exec, s[54:55]
.LBB229_94:                             ;   in Loop: Header=BB229_14 Depth=1
	s_or_b64 exec, exec, s[52:53]
.LBB229_95:                             ;   in Loop: Header=BB229_14 Depth=1
	s_or_b64 exec, exec, s[50:51]
	v_cmp_ne_u16_sdwa s[52:53], v58, v21 src0_sel:BYTE_1 src1_sel:DWORD
	s_and_saveexec_b64 s[50:51], s[52:53]
	s_cbranch_execz .LBB229_101
; %bb.96:                               ;   in Loop: Header=BB229_14 Depth=1
	v_cmp_ne_u16_sdwa s[54:55], v58, s65 src0_sel:BYTE_1 src1_sel:DWORD
	v_pk_mov_b32 v[36:37], s[44:45], s[44:45] op_sel:[0,1]
	s_and_saveexec_b64 s[52:53], s[54:55]
	s_cbranch_execz .LBB229_100
; %bb.97:                               ;   in Loop: Header=BB229_14 Depth=1
	v_and_b32_sdwa v59, v58, s66 dst_sel:DWORD dst_unused:UNUSED_PAD src0_sel:BYTE_1 src1_sel:DWORD
	s_mov_b32 s48, s44
	v_cmp_ne_u32_e32 vcc, s66, v59
	v_pk_mov_b32 v[36:37], s[48:49], s[48:49] op_sel:[0,1]
	s_and_saveexec_b64 s[54:55], vcc
	s_cbranch_execz .LBB229_99
; %bb.98:                               ;   in Loop: Header=BB229_14 Depth=1
	v_and_b32_sdwa v20, v58, v72 dst_sel:DWORD dst_unused:UNUSED_PAD src0_sel:BYTE_1 src1_sel:DWORD
	v_ffbh_u32_e32 v36, v20
	v_min_u32_e32 v75, 32, v36
	v_subrev_u32_e32 v36, 28, v75
	v_lshlrev_b64 v[36:37], v36, v[20:21]
	v_lshrrev_b32_e32 v60, 3, v59
	v_sub_u32_e32 v37, 29, v75
	v_cmp_gt_u32_e32 vcc, 8, v59
	v_and_b32_e32 v36, 7, v36
	v_cndmask_b32_e32 v37, v60, v37, vcc
	v_cndmask_b32_e32 v20, v20, v36, vcc
	v_lshlrev_b32_e32 v36, 16, v58
	v_lshl_add_u32 v37, v37, 23, v71
	v_and_or_b32 v36, v36, s45, v37
	v_lshlrev_b32_e32 v20, 20, v20
	v_or_b32_e32 v37, v36, v20
	v_mov_b32_e32 v36, v21
.LBB229_99:                             ;   in Loop: Header=BB229_14 Depth=1
	s_or_b64 exec, exec, s[54:55]
.LBB229_100:                            ;   in Loop: Header=BB229_14 Depth=1
	s_or_b64 exec, exec, s[52:53]
.LBB229_101:                            ;   in Loop: Header=BB229_14 Depth=1
	s_or_b64 exec, exec, s[50:51]
	global_load_ushort v20, v[56:57], off offset:12
	v_pk_mov_b32 v[56:57], 0, 0
	v_pk_mov_b32 v[58:59], v[56:57], v[56:57] op_sel:[0,1]
	s_waitcnt vmcnt(0)
	v_and_b32_e32 v60, 0xffff, v20
	v_cmp_ne_u16_sdwa s[52:53], v20, v21 src0_sel:BYTE_0 src1_sel:DWORD
	s_and_saveexec_b64 s[50:51], s[52:53]
	s_cbranch_execz .LBB229_107
; %bb.102:                              ;   in Loop: Header=BB229_14 Depth=1
	v_bfrev_b32_e32 v58, 1
	v_cmp_ne_u16_sdwa s[54:55], v60, s65 src0_sel:BYTE_0 src1_sel:DWORD
	v_mov_b32_e32 v59, 0
	s_and_saveexec_b64 s[52:53], s[54:55]
	s_cbranch_execz .LBB229_106
; %bb.103:                              ;   in Loop: Header=BB229_14 Depth=1
	v_and_b32_e32 v20, 0x7f, v60
	v_mov_b32_e32 v58, 0x7f800001
	v_cmp_ne_u32_e32 vcc, s66, v20
	v_mov_b32_e32 v59, 0
	s_and_saveexec_b64 s[54:55], vcc
	s_cbranch_execz .LBB229_105
; %bb.104:                              ;   in Loop: Header=BB229_14 Depth=1
	v_and_b32_e32 v75, 7, v60
	v_ffbh_u32_e32 v58, v75
	v_min_u32_e32 v77, 32, v58
	v_subrev_u32_e32 v58, 28, v77
	v_lshlrev_b64 v[58:59], v58, v[60:61]
	v_lshrrev_b32_e32 v76, 3, v20
	v_sub_u32_e32 v59, 29, v77
	v_and_b32_e32 v58, 7, v58
	v_cmp_gt_u32_e32 vcc, 8, v20
	v_cndmask_b32_e32 v20, v76, v59, vcc
	v_cndmask_b32_e32 v58, v75, v58, vcc
	v_lshlrev_b32_e32 v58, 20, v58
	v_and_b32_sdwa v59, sext(v60), s45 dst_sel:DWORD dst_unused:UNUSED_PAD src0_sel:BYTE_0 src1_sel:DWORD
	v_lshl_add_u32 v20, v20, 23, v71
	v_or3_b32 v20, v59, v20, v58
	v_pk_mov_b32 v[58:59], v[20:21], v[20:21] op_sel:[0,1]
.LBB229_105:                            ;   in Loop: Header=BB229_14 Depth=1
	s_or_b64 exec, exec, s[54:55]
.LBB229_106:                            ;   in Loop: Header=BB229_14 Depth=1
	s_or_b64 exec, exec, s[52:53]
.LBB229_107:                            ;   in Loop: Header=BB229_14 Depth=1
	s_or_b64 exec, exec, s[50:51]
	v_cmp_ne_u16_sdwa s[52:53], v60, v21 src0_sel:BYTE_1 src1_sel:DWORD
	s_and_saveexec_b64 s[50:51], s[52:53]
	s_cbranch_execz .LBB229_113
; %bb.108:                              ;   in Loop: Header=BB229_14 Depth=1
	v_cmp_ne_u16_sdwa s[54:55], v60, s65 src0_sel:BYTE_1 src1_sel:DWORD
	v_pk_mov_b32 v[56:57], s[44:45], s[44:45] op_sel:[0,1]
	s_and_saveexec_b64 s[52:53], s[54:55]
	s_cbranch_execz .LBB229_112
; %bb.109:                              ;   in Loop: Header=BB229_14 Depth=1
	v_and_b32_sdwa v75, v60, s66 dst_sel:DWORD dst_unused:UNUSED_PAD src0_sel:BYTE_1 src1_sel:DWORD
	s_mov_b32 s48, s44
	v_cmp_ne_u32_e32 vcc, s66, v75
	v_pk_mov_b32 v[56:57], s[48:49], s[48:49] op_sel:[0,1]
	s_and_saveexec_b64 s[54:55], vcc
	s_cbranch_execz .LBB229_111
; %bb.110:                              ;   in Loop: Header=BB229_14 Depth=1
	v_and_b32_sdwa v20, v60, v72 dst_sel:DWORD dst_unused:UNUSED_PAD src0_sel:BYTE_1 src1_sel:DWORD
	v_ffbh_u32_e32 v56, v20
	v_min_u32_e32 v77, 32, v56
	v_subrev_u32_e32 v56, 28, v77
	v_lshlrev_b64 v[56:57], v56, v[20:21]
	v_lshrrev_b32_e32 v76, 3, v75
	v_sub_u32_e32 v57, 29, v77
	v_cmp_gt_u32_e32 vcc, 8, v75
	v_and_b32_e32 v56, 7, v56
	v_cndmask_b32_e32 v57, v76, v57, vcc
	v_cndmask_b32_e32 v20, v20, v56, vcc
	v_lshlrev_b32_e32 v56, 16, v60
	v_lshl_add_u32 v57, v57, 23, v71
	v_and_or_b32 v56, v56, s45, v57
	v_lshlrev_b32_e32 v20, 20, v20
	v_or_b32_e32 v57, v56, v20
	v_mov_b32_e32 v56, v21
.LBB229_111:                            ;   in Loop: Header=BB229_14 Depth=1
	s_or_b64 exec, exec, s[54:55]
.LBB229_112:                            ;   in Loop: Header=BB229_14 Depth=1
	s_or_b64 exec, exec, s[52:53]
.LBB229_113:                            ;   in Loop: Header=BB229_14 Depth=1
	s_or_b64 exec, exec, s[50:51]
	v_or_b32_e32 v33, v33, v35
	v_or_b32_e32 v32, v32, v34
	s_waitcnt lgkmcnt(0)
	v_pk_mul_f32 v[32:33], s[16:17], v[32:33] op_sel_hi:[0,1]
	v_or_b32_e32 v29, v29, v31
	v_or_b32_e32 v28, v28, v30
	v_pk_mul_f32 v[28:29], s[16:17], v[28:29] op_sel_hi:[0,1]
	v_mul_f32_e32 v16, v16, v32
	v_or_b32_e32 v39, v39, v41
	v_or_b32_e32 v38, v38, v40
	v_fmac_f32_e32 v16, v14, v28
	v_mul_f32_e32 v14, v17, v33
	v_or_b32_e32 v43, v43, v45
	v_or_b32_e32 v42, v42, v44
	v_pk_mul_f32 v[38:39], s[16:17], v[38:39] op_sel_hi:[0,1]
	v_fmac_f32_e32 v14, v15, v29
	v_or_b32_e32 v47, v47, v49
	v_or_b32_e32 v46, v46, v48
	v_pk_mul_f32 v[42:43], s[16:17], v[42:43] op_sel_hi:[0,1]
	v_fmac_f32_e32 v16, v10, v38
	v_fmac_f32_e32 v14, v11, v39
	v_or_b32_e32 v51, v51, v53
	v_or_b32_e32 v50, v50, v52
	v_pk_mul_f32 v[46:47], s[16:17], v[46:47] op_sel_hi:[0,1]
	v_and_b32_e32 v30, 64, v73
	v_fmac_f32_e32 v16, v12, v42
	v_fmac_f32_e32 v14, v13, v43
	v_or_b32_e32 v37, v37, v55
	v_or_b32_e32 v36, v36, v54
	v_pk_mul_f32 v[50:51], s[16:17], v[50:51] op_sel_hi:[0,1]
	v_xor_b32_e32 v20, 1, v73
	v_add_u32_e32 v30, 64, v30
	v_fmac_f32_e32 v16, v6, v46
	v_fmac_f32_e32 v14, v7, v47
	v_pk_mul_f32 v[36:37], s[16:17], v[36:37] op_sel_hi:[0,1]
	v_cmp_lt_i32_e32 vcc, v20, v30
	v_or_b32_e32 v31, v57, v59
	v_or_b32_e32 v30, v56, v58
	v_fmac_f32_e32 v16, v8, v50
	v_fmac_f32_e32 v14, v9, v51
	v_pk_mul_f32 v[30:31], s[16:17], v[30:31] op_sel_hi:[0,1]
	v_fmac_f32_e32 v16, v2, v36
	v_fmac_f32_e32 v14, v3, v37
	v_cndmask_b32_e32 v20, v73, v20, vcc
	v_fmac_f32_e32 v16, v4, v30
	v_fmac_f32_e32 v14, v5, v31
	v_lshlrev_b32_e32 v20, 2, v20
	v_add_f32_e32 v2, v16, v14
	ds_bpermute_b32 v3, v20, v2
	s_and_saveexec_b64 s[50:51], s[2:3]
	s_cbranch_execz .LBB229_12
; %bb.114:                              ;   in Loop: Header=BB229_14 Depth=1
	v_add_u32_e32 v4, v69, v67
	v_cvt_f32_i32_e32 v4, v4
	s_waitcnt lgkmcnt(0)
	v_add_f32_e32 v2, v2, v3
	v_add_u32_e32 v5, v63, v67
	v_cmp_gt_i32_e32 vcc, s33, v5
	v_mul_f32_e32 v3, s60, v4
	v_cndmask_b32_e64 v3, 0, v3, s[4:5]
	v_fmac_f32_e32 v3, s43, v2
	v_cndmask_b32_e32 v2, 0, v3, vcc
	ds_write_b32 v68, v2
	v_max_f32_e32 v2, v66, v66
	v_max_f32_e32 v2, v2, v3
	v_cndmask_b32_e32 v66, v66, v2, vcc
	s_branch .LBB229_12
.LBB229_115:
	s_or_b64 exec, exec, s[46:47]
.LBB229_116:
	s_or_b64 exec, exec, s[18:19]
	v_mbcnt_hi_u32_b32 v4, -1, v62
	v_and_b32_e32 v2, 64, v4
	v_add_u32_e32 v8, 64, v2
	v_xor_b32_e32 v2, 32, v4
	v_cmp_lt_i32_e32 vcc, v2, v8
	v_cndmask_b32_e32 v2, v4, v2, vcc
	v_lshlrev_b32_e32 v2, 2, v2
	s_waitcnt lgkmcnt(0)
	ds_bpermute_b32 v3, v2, v66
	v_xor_b32_e32 v6, 16, v4
	v_max_f32_e32 v5, v66, v66
	v_cmp_lt_i32_e32 vcc, v6, v8
	v_xor_b32_e32 v7, 8, v4
	s_waitcnt lgkmcnt(0)
	v_max_f32_e32 v3, v3, v3
	v_max_f32_e32 v5, v5, v3
	v_cndmask_b32_e32 v3, v4, v6, vcc
	v_lshlrev_b32_e32 v3, 2, v3
	ds_bpermute_b32 v6, v3, v5
	v_cmp_lt_i32_e32 vcc, v7, v8
	v_xor_b32_e32 v9, 4, v4
	v_and_b32_e32 v40, 63, v0
	s_waitcnt lgkmcnt(0)
	v_max_f32_e32 v6, v6, v6
	v_max_f32_e32 v6, v5, v6
	v_cndmask_b32_e32 v5, v4, v7, vcc
	v_lshlrev_b32_e32 v5, 2, v5
	ds_bpermute_b32 v7, v5, v6
	v_cmp_lt_i32_e32 vcc, v9, v8
	s_waitcnt lgkmcnt(0)
	v_max_f32_e32 v7, v7, v7
	v_max_f32_e32 v6, v6, v7
	v_cndmask_b32_e32 v7, v4, v9, vcc
	v_lshlrev_b32_e32 v42, 2, v7
	ds_bpermute_b32 v7, v42, v6
	v_xor_b32_e32 v9, 2, v4
	v_cmp_lt_i32_e32 vcc, v9, v8
	s_waitcnt lgkmcnt(0)
	v_max_f32_e32 v7, v7, v7
	v_max_f32_e32 v7, v6, v7
	v_cndmask_b32_e32 v6, v4, v9, vcc
	v_lshlrev_b32_e32 v41, 2, v6
	ds_bpermute_b32 v9, v41, v7
	v_cmp_eq_u32_e32 vcc, 0, v40
	v_lshlrev_b32_e32 v6, 2, v61
	s_and_saveexec_b64 s[2:3], vcc
	s_cbranch_execz .LBB229_118
; %bb.117:
	s_waitcnt lgkmcnt(0)
	v_max_f32_e32 v9, v9, v9
	v_max_f32_e32 v7, v7, v7
	;; [unrolled: 1-line block ×3, first 2 shown]
	ds_write_b32 v6, v7 offset:128
.LBB229_118:
	s_or_b64 exec, exec, s[2:3]
	v_cmp_gt_u32_e64 s[2:3], 2, v40
	s_waitcnt lgkmcnt(0)
	v_mov_b32_e32 v9, 0xff7fffff
	v_lshlrev_b32_e32 v7, 2, v40
	s_barrier
	s_and_saveexec_b64 s[4:5], s[2:3]
	s_cbranch_execz .LBB229_120
; %bb.119:
	ds_read_b32 v9, v7 offset:128
.LBB229_120:
	s_or_b64 exec, exec, s[4:5]
	v_xor_b32_e32 v10, 1, v4
	v_cmp_lt_i32_e64 s[4:5], v10, v8
	v_cndmask_b32_e64 v8, v4, v10, s[4:5]
	v_lshlrev_b32_e32 v43, 2, v8
	s_waitcnt lgkmcnt(0)
	ds_bpermute_b32 v8, v43, v9
	v_max_f32_e32 v9, v9, v9
	v_lshlrev_b32_e32 v4, 2, v4
	s_sub_i32 s4, s58, s61
	s_lshl_b32 s4, s4, 5
	s_waitcnt lgkmcnt(0)
	v_max_f32_e32 v8, v8, v8
	v_max_f32_e32 v9, v9, v8
	v_and_b32_e32 v8, 0x100, v4
	ds_bpermute_b32 v4, v8, v9
	s_add_i32 s4, s4, s59
	s_min_i32 s43, s4, s33
	s_sub_i32 s16, s43, s59
	v_cmp_gt_i32_e64 s[4:5], s16, v0
	v_mov_b32_e32 v9, 0
	s_and_saveexec_b64 s[12:13], s[4:5]
	s_cbranch_execz .LBB229_124
; %bb.121:
	v_mov_b32_e32 v9, 0x90
	v_lshl_add_u32 v10, v0, 2, v9
	s_mov_b64 s[18:19], 0
	v_mov_b32_e32 v9, 0
	v_mov_b32_e32 v11, v0
.LBB229_122:                            ; =>This Inner Loop Header: Depth=1
	ds_read_b32 v12, v10
	v_add_u32_e32 v11, 0x80, v11
	v_cmp_le_i32_e64 s[10:11], s16, v11
	s_or_b64 s[18:19], s[10:11], s[18:19]
	s_waitcnt lgkmcnt(0)
	v_sub_f32_e32 v12, v12, v4
	v_mul_f32_e32 v12, 0x3fb8aa3b, v12
	v_exp_f32_e32 v12, v12
	ds_write_b32 v10, v12
	v_add_f32_e32 v9, v9, v12
	v_add_u32_e32 v10, 0x200, v10
	s_andn2_b64 exec, exec, s[18:19]
	s_cbranch_execnz .LBB229_122
; %bb.123:
	s_or_b64 exec, exec, s[18:19]
.LBB229_124:
	s_or_b64 exec, exec, s[12:13]
	ds_bpermute_b32 v2, v2, v9
	s_waitcnt lgkmcnt(0)
	v_add_f32_e32 v2, v9, v2
	ds_bpermute_b32 v3, v3, v2
	s_waitcnt lgkmcnt(0)
	v_add_f32_e32 v2, v2, v3
	;; [unrolled: 3-line block ×6, first 2 shown]
	s_and_saveexec_b64 s[10:11], vcc
	s_cbranch_execz .LBB229_126
; %bb.125:
	ds_write_b32 v6, v2 offset:136
.LBB229_126:
	s_or_b64 exec, exec, s[10:11]
	s_waitcnt lgkmcnt(0)
	s_barrier
	s_and_saveexec_b64 s[10:11], s[2:3]
	s_cbranch_execz .LBB229_128
; %bb.127:
	ds_read_b32 v2, v7 offset:136
.LBB229_128:
	s_or_b64 exec, exec, s[10:11]
	s_waitcnt lgkmcnt(0)
	ds_bpermute_b32 v3, v43, v2
	s_waitcnt lgkmcnt(0)
	v_add_f32_e32 v2, v2, v3
	ds_bpermute_b32 v5, v8, v2
	s_and_saveexec_b64 s[2:3], s[4:5]
	s_cbranch_execz .LBB229_141
; %bb.129:
	s_waitcnt lgkmcnt(0)
	v_add_f32_e32 v2, 0x358637bd, v5
	v_div_scale_f32 v3, s[4:5], v2, v2, 1.0
	v_rcp_f32_e32 v6, v3
	v_div_scale_f32 v7, vcc, 1.0, v2, 1.0
	s_movk_i32 s4, 0x7f
	v_fma_f32 v8, -v3, v6, 1.0
	v_fmac_f32_e32 v6, v8, v6
	v_mul_f32_e32 v8, v7, v6
	v_fma_f32 v9, -v3, v8, v7
	v_fmac_f32_e32 v8, v9, v6
	v_fma_f32 v3, -v3, v8, v7
	v_div_fmas_f32 v3, v3, v6, v8
	v_div_fixup_f32 v2, v3, v2, 1.0
	v_xad_u32 v3, v0, -1, s43
	v_subrev_u32_e32 v6, s59, v3
	v_cmp_lt_u32_e32 vcc, s4, v6
	s_mov_b64 s[10:11], -1
	v_mov_b32_e32 v3, v0
	s_and_saveexec_b64 s[4:5], vcc
	s_cbranch_execz .LBB229_138
; %bb.130:
	v_lshrrev_b32_e32 v6, 7, v6
	v_add_u32_e32 v8, -1, v6
	v_lshrrev_b32_e32 v7, 1, v8
	v_mov_b32_e32 v3, v2
	v_add_u32_e32 v7, 1, v7
	v_cmp_lt_u32_e32 vcc, 13, v8
	v_mov_b32_e32 v10, 0
	s_and_saveexec_b64 s[10:11], vcc
	s_cbranch_execz .LBB229_134
; %bb.131:
	v_mov_b32_e32 v9, 0x90
	v_and_b32_e32 v8, -8, v7
	v_lshl_add_u32 v9, v0, 2, v9
	s_mov_b32 s18, 0
	s_mov_b64 s[12:13], 0
.LBB229_132:                            ; =>This Inner Loop Header: Depth=1
	ds_read2st64_b32 v[10:11], v9 offset1:2
	ds_read2st64_b32 v[12:13], v9 offset0:4 offset1:6
	ds_read2st64_b32 v[14:15], v9 offset0:8 offset1:10
	;; [unrolled: 1-line block ×3, first 2 shown]
	v_add_u32_e32 v8, -8, v8
	s_waitcnt lgkmcnt(3)
	v_pk_mul_f32 v[10:11], v[2:3], v[10:11]
	s_waitcnt lgkmcnt(2)
	v_pk_mul_f32 v[12:13], v[2:3], v[12:13]
	ds_write2st64_b32 v9, v10, v11 offset1:2
	ds_write2st64_b32 v9, v12, v13 offset0:4 offset1:6
	ds_read2st64_b32 v[12:13], v9 offset0:16 offset1:18
	s_waitcnt lgkmcnt(4)
	v_pk_mul_f32 v[10:11], v[2:3], v[14:15]
	ds_write2st64_b32 v9, v10, v11 offset0:8 offset1:10
	s_waitcnt lgkmcnt(4)
	v_pk_mul_f32 v[10:11], v[2:3], v[16:17]
	ds_write2st64_b32 v9, v10, v11 offset0:12 offset1:14
	ds_read2st64_b32 v[10:11], v9 offset0:20 offset1:22
	s_waitcnt lgkmcnt(3)
	v_pk_mul_f32 v[12:13], v[2:3], v[12:13]
	ds_read2st64_b32 v[14:15], v9 offset0:24 offset1:26
	ds_write2st64_b32 v9, v12, v13 offset0:16 offset1:18
	ds_read2st64_b32 v[12:13], v9 offset0:28 offset1:30
	s_waitcnt lgkmcnt(3)
	v_pk_mul_f32 v[10:11], v[2:3], v[10:11]
	ds_write2st64_b32 v9, v10, v11 offset0:20 offset1:22
	s_waitcnt lgkmcnt(3)
	v_pk_mul_f32 v[10:11], v[2:3], v[14:15]
	ds_write2st64_b32 v9, v10, v11 offset0:24 offset1:26
	s_waitcnt lgkmcnt(2)
	v_pk_mul_f32 v[10:11], v[2:3], v[12:13]
	s_add_i32 s18, s18, 16
	v_cmp_eq_u32_e32 vcc, 0, v8
	ds_write2st64_b32 v9, v10, v11 offset0:28 offset1:30
	v_add_u32_e32 v9, 0x2000, v9
	s_or_b64 s[12:13], vcc, s[12:13]
	v_mov_b32_e32 v10, s18
	s_andn2_b64 exec, exec, s[12:13]
	s_cbranch_execnz .LBB229_132
; %bb.133:
	s_or_b64 exec, exec, s[12:13]
.LBB229_134:
	s_or_b64 exec, exec, s[10:11]
	v_and_b32_e32 v7, 7, v7
	v_cmp_ne_u32_e32 vcc, 0, v7
	s_and_saveexec_b64 s[10:11], vcc
	s_cbranch_execz .LBB229_137
; %bb.135:
	v_lshlrev_b32_e32 v8, 9, v10
	s_movk_i32 s12, 0x90
	v_add3_u32 v8, v8, v25, s12
	s_mov_b64 s[12:13], 0
.LBB229_136:                            ; =>This Inner Loop Header: Depth=1
	ds_read2st64_b32 v[10:11], v8 offset1:2
	v_add_u32_e32 v7, -1, v7
	v_cmp_eq_u32_e32 vcc, 0, v7
	s_or_b64 s[12:13], vcc, s[12:13]
	s_waitcnt lgkmcnt(0)
	v_pk_mul_f32 v[10:11], v[2:3], v[10:11]
	ds_write2st64_b32 v8, v10, v11 offset1:2
	v_add_u32_e32 v8, 0x400, v8
	s_andn2_b64 exec, exec, s[12:13]
	s_cbranch_execnz .LBB229_136
.LBB229_137:
	s_or_b64 exec, exec, s[10:11]
	v_add_u32_e32 v6, 1, v6
	v_and_b32_e32 v7, 0x3fffffe, v6
	v_cmp_ne_u32_e32 vcc, v6, v7
	v_lshl_add_u32 v3, v7, 7, v0
	s_orn2_b64 s[10:11], vcc, exec
.LBB229_138:
	s_or_b64 exec, exec, s[4:5]
	s_and_b64 exec, exec, s[10:11]
	s_cbranch_execz .LBB229_141
; %bb.139:
	v_mov_b32_e32 v6, 0x90
	v_lshl_add_u32 v6, v3, 2, v6
	s_mov_b64 s[4:5], 0
.LBB229_140:                            ; =>This Inner Loop Header: Depth=1
	ds_read_b32 v7, v6
	v_add_u32_e32 v3, 0x80, v3
	v_cmp_le_i32_e32 vcc, s16, v3
	s_or_b64 s[4:5], vcc, s[4:5]
	s_waitcnt lgkmcnt(0)
	v_mul_f32_e32 v7, v2, v7
	ds_write_b32 v6, v7
	v_add_u32_e32 v6, 0x200, v6
	s_andn2_b64 exec, exec, s[4:5]
	s_cbranch_execnz .LBB229_140
.LBB229_141:
	s_or_b64 exec, exec, s[2:3]
	s_mul_i32 s2, s29, s34
	v_cmp_eq_u32_e32 vcc, 0, v0
	s_mul_i32 s2, s2, s9
	s_waitcnt lgkmcnt(0)
	s_barrier
	s_and_saveexec_b64 s[4:5], vcc
	s_cbranch_execz .LBB229_143
; %bb.142:
	s_ashr_i32 s3, s2, 31
	s_lshl_b64 s[10:11], s[2:3], 2
	s_add_u32 s3, s26, s10
	s_mul_i32 s12, s29, s6
	s_addc_u32 s9, s27, s11
	s_ashr_i32 s13, s12, 31
	s_lshl_b64 s[12:13], s[12:13], 2
	s_add_u32 s3, s3, s12
	s_addc_u32 s6, s9, s13
	s_ashr_i32 s9, s8, 31
	s_lshl_b64 s[18:19], s[8:9], 2
	s_add_u32 s26, s3, s18
	s_addc_u32 s27, s6, s19
	s_add_u32 s3, s24, s10
	s_addc_u32 s6, s25, s11
	;; [unrolled: 2-line block ×3, first 2 shown]
	s_add_u32 s10, s3, s18
	v_mov_b32_e32 v2, 0
	s_addc_u32 s11, s6, s19
	global_store_dword v2, v4, s[26:27]
	global_store_dword v2, v5, s[10:11]
.LBB229_143:
	s_or_b64 exec, exec, s[4:5]
	s_mov_b32 s4, 0
	v_mov_b32_e32 v5, 0
	v_and_b32_e32 v44, 7, v0
	v_mov_b32_e32 v4, 0
	v_mov_b32_e32 v3, 0
	;; [unrolled: 1-line block ×3, first 2 shown]
	s_and_saveexec_b64 s[10:11], s[0:1]
	s_cbranch_execz .LBB229_253
; %bb.144:
	s_sub_i32 s3, s20, s21
	s_ashr_i32 s0, s23, 31
	s_add_u32 s1, s40, s23
	s_addc_u32 s0, s41, s0
	s_abs_i32 s9, s22
	v_cvt_f32_u32_e32 v2, s9
	s_sub_i32 s5, 0, s9
	v_and_b32_e32 v3, 0xfc, v25
	s_add_i32 s27, s7, -1
	v_rcp_iflag_f32_e32 v2, v2
	v_mov_b32_e32 v4, s0
	v_add_co_u32_e32 v10, vcc, s1, v3
	v_mul_f32_e32 v2, 0x4f7ffffe, v2
	v_cvt_u32_f32_e32 v2, v2
	s_lshl_b64 s[0:1], s[38:39], 2
	v_addc_co_u32_e32 v11, vcc, 0, v4, vcc
	v_mul_lo_u32 v5, s5, v2
	v_mul_hi_u32 v5, v2, v5
	v_add_u32_e32 v46, v2, v5
	v_lshlrev_b64 v[2:3], 2, v[18:19]
	s_add_u32 s0, s36, s0
	s_addc_u32 s1, s37, s1
	v_add_co_u32_e32 v12, vcc, s0, v2
	v_lshlrev_b32_e32 v2, 4, v44
	v_mov_b32_e32 v4, s1
	v_lshl_or_b32 v2, v61, 7, v2
	s_mov_b32 s5, s4
	v_addc_co_u32_e32 v13, vcc, v4, v3, vcc
	v_add_u32_e32 v19, 0x90, v2
	s_mov_b32 s6, s4
	s_mov_b32 s7, s4
	v_pk_mov_b32 v[2:3], s[4:5], s[4:5] op_sel:[0,1]
	v_and_b32_e32 v45, 28, v25
	s_mov_b32 s26, s17
	s_mov_b64 s[12:13], 0
	v_pk_mov_b32 v[4:5], s[6:7], s[6:7] op_sel:[0,1]
	s_movk_i32 s34, 0x80
	s_movk_i32 s36, 0x7f
	v_mov_b32_e32 v15, 0
	s_brev_b32 s5, 1
	s_mov_b32 s7, 0x7f800001
	s_mov_b32 s37, 0xffffff
	v_bfrev_b32_e32 v47, 60
	v_mov_b32_e32 v48, 7
	v_mov_b32_e32 v49, 24
	s_branch .LBB229_147
.LBB229_145:                            ;   in Loop: Header=BB229_147 Depth=1
	s_or_b64 exec, exec, s[0:1]
	v_mul_f32_e32 v14, v7, v17
	v_fmac_f32_e32 v14, v6, v16
	v_fmac_f32_e32 v14, v8, v20
	v_fmac_f32_e32 v14, v9, v21
	v_add_f32_e32 v2, v2, v14
	v_mul_f32_e32 v14, v7, v25
	v_fmac_f32_e32 v14, v6, v24
	v_fmac_f32_e32 v14, v8, v26
	;; [unrolled: 1-line block ×3, first 2 shown]
	v_add_f32_e32 v3, v3, v14
	v_mul_f32_e32 v14, v7, v29
	v_mul_f32_e32 v7, v7, v23
	v_fmac_f32_e32 v14, v6, v28
	v_fmac_f32_e32 v7, v6, v22
	;; [unrolled: 1-line block ×6, first 2 shown]
	v_add_f32_e32 v4, v4, v14
	v_add_f32_e32 v5, v5, v7
.LBB229_146:                            ;   in Loop: Header=BB229_147 Depth=1
	s_or_b64 exec, exec, s[16:17]
	v_add_co_u32_e32 v12, vcc, 8, v12
	v_add_u32_e32 v18, 2, v18
	v_addc_co_u32_e32 v13, vcc, 0, v13, vcc
	v_cmp_le_i32_e32 vcc, s58, v18
	v_add_u32_e32 v1, 64, v1
	s_or_b64 s[12:13], vcc, s[12:13]
	v_add_u32_e32 v19, 0x100, v19
	s_andn2_b64 exec, exec, s[12:13]
	s_cbranch_execz .LBB229_252
.LBB229_147:                            ; =>This Inner Loop Header: Depth=1
	v_sub_u32_e32 v7, 0, v1
	v_max_i32_e32 v7, v1, v7
	v_mul_hi_u32 v8, v7, s56
	v_mul_lo_u32 v9, v8, s35
	v_sub_u32_e32 v7, v7, v9
	v_add_u32_e32 v9, 1, v8
	v_cmp_le_u32_e32 vcc, s35, v7
	v_cndmask_b32_e32 v8, v8, v9, vcc
	v_subrev_u32_e32 v9, s35, v7
	v_cndmask_b32_e32 v7, v7, v9, vcc
	v_ashrrev_i32_e32 v6, 31, v1
	v_add_u32_e32 v9, 1, v8
	v_cmp_le_u32_e32 vcc, s35, v7
	v_xor_b32_e32 v6, s57, v6
	v_cndmask_b32_e32 v7, v8, v9, vcc
	v_xor_b32_e32 v7, v7, v6
	v_sub_u32_e32 v6, v7, v6
	v_add_u32_e32 v7, s42, v6
	v_sub_u32_e32 v9, 0, v7
	v_ashrrev_i32_e32 v8, 31, v7
	v_max_i32_e32 v7, v7, v9
	v_mul_hi_u32 v9, v7, v46
	v_mul_lo_u32 v9, v9, s9
	v_sub_u32_e32 v7, v7, v9
	v_subrev_u32_e32 v9, s9, v7
	v_cmp_le_u32_e32 vcc, s9, v7
	v_cndmask_b32_e32 v7, v7, v9, vcc
	v_subrev_u32_e32 v9, s9, v7
	v_cmp_le_u32_e32 vcc, s9, v7
	v_cndmask_b32_e32 v7, v7, v9, vcc
	v_xor_b32_e32 v7, v7, v8
	v_sub_u32_e32 v7, v7, v8
	v_cmp_eq_u32_e32 vcc, 0, v7
	v_cmp_lt_i32_e64 s[0:1], s3, v6
	s_or_b64 s[0:1], vcc, s[0:1]
	s_and_saveexec_b64 s[16:17], s[0:1]
	s_cbranch_execz .LBB229_146
; %bb.148:                              ;   in Loop: Header=BB229_147 Depth=1
	global_load_dword v6, v[12:13], off
	s_load_dword s18, s[14:15], 0x0
	v_pk_mov_b32 v[24:25], 0, 0
	v_pk_mov_b32 v[20:21], v[24:25], v[24:25] op_sel:[0,1]
	s_waitcnt vmcnt(0)
	v_mad_i64_i32 v[22:23], s[0:1], v6, s26, v[10:11]
	global_load_dword v16, v[22:23], off
	ds_read_b128 v[6:9], v19
	s_waitcnt vmcnt(0)
	v_cmp_ne_u16_sdwa s[20:21], v16, v15 src0_sel:BYTE_0 src1_sel:DWORD
	s_and_saveexec_b64 s[0:1], s[20:21]
	s_cbranch_execz .LBB229_154
; %bb.149:                              ;   in Loop: Header=BB229_147 Depth=1
	v_bfrev_b32_e32 v20, 1
	v_cmp_ne_u16_sdwa s[22:23], v16, s34 src0_sel:BYTE_0 src1_sel:DWORD
	v_mov_b32_e32 v21, 0
	s_and_saveexec_b64 s[20:21], s[22:23]
	s_cbranch_execz .LBB229_153
; %bb.150:                              ;   in Loop: Header=BB229_147 Depth=1
	v_and_b32_e32 v14, 0x7f, v16
	v_mov_b32_e32 v20, 0x7f800001
	v_cmp_ne_u32_e32 vcc, s36, v14
	v_mov_b32_e32 v21, 0
	s_and_saveexec_b64 s[22:23], vcc
	s_cbranch_execz .LBB229_152
; %bb.151:                              ;   in Loop: Header=BB229_147 Depth=1
	v_and_b32_e32 v17, 7, v16
	v_ffbh_u32_e32 v20, v17
	v_min_u32_e32 v27, 32, v20
	v_subrev_u32_e32 v20, 28, v27
	v_lshlrev_b64 v[20:21], v20, v[16:17]
	v_lshrrev_b32_e32 v26, 3, v14
	v_sub_u32_e32 v21, 29, v27
	v_and_b32_e32 v20, 7, v20
	v_cmp_gt_u32_e32 vcc, 8, v14
	v_cndmask_b32_e32 v14, v26, v21, vcc
	v_cndmask_b32_e32 v17, v17, v20, vcc
	v_lshlrev_b32_e32 v17, 20, v17
	v_and_b32_sdwa v20, sext(v16), s5 dst_sel:DWORD dst_unused:UNUSED_PAD src0_sel:BYTE_0 src1_sel:DWORD
	v_lshl_add_u32 v14, v14, 23, v47
	v_or3_b32 v14, v20, v14, v17
	v_pk_mov_b32 v[20:21], v[14:15], v[14:15] op_sel:[0,1]
.LBB229_152:                            ;   in Loop: Header=BB229_147 Depth=1
	s_or_b64 exec, exec, s[22:23]
.LBB229_153:                            ;   in Loop: Header=BB229_147 Depth=1
	s_or_b64 exec, exec, s[20:21]
.LBB229_154:                            ;   in Loop: Header=BB229_147 Depth=1
	s_or_b64 exec, exec, s[0:1]
	v_cmp_ne_u16_sdwa s[20:21], v16, v15 src0_sel:BYTE_1 src1_sel:DWORD
	s_and_saveexec_b64 s[0:1], s[20:21]
	s_cbranch_execz .LBB229_160
; %bb.155:                              ;   in Loop: Header=BB229_147 Depth=1
	v_cmp_ne_u16_sdwa s[22:23], v16, s34 src0_sel:BYTE_1 src1_sel:DWORD
	v_pk_mov_b32 v[24:25], s[4:5], s[4:5] op_sel:[0,1]
	s_and_saveexec_b64 s[20:21], s[22:23]
	s_cbranch_execz .LBB229_159
; %bb.156:                              ;   in Loop: Header=BB229_147 Depth=1
	v_and_b32_sdwa v17, v16, s36 dst_sel:DWORD dst_unused:UNUSED_PAD src0_sel:BYTE_1 src1_sel:DWORD
	s_mov_b32 s6, s4
	v_cmp_ne_u32_e32 vcc, s36, v17
	v_pk_mov_b32 v[24:25], s[6:7], s[6:7] op_sel:[0,1]
	s_and_saveexec_b64 s[22:23], vcc
	s_cbranch_execz .LBB229_158
; %bb.157:                              ;   in Loop: Header=BB229_147 Depth=1
	v_and_b32_sdwa v14, v16, v48 dst_sel:DWORD dst_unused:UNUSED_PAD src0_sel:BYTE_1 src1_sel:DWORD
	v_ffbh_u32_e32 v24, v14
	v_min_u32_e32 v27, 32, v24
	v_subrev_u32_e32 v24, 28, v27
	v_lshlrev_b64 v[24:25], v24, v[14:15]
	v_lshrrev_b32_e32 v26, 3, v17
	v_sub_u32_e32 v25, 29, v27
	v_cmp_gt_u32_e32 vcc, 8, v17
	v_and_b32_e32 v24, 7, v24
	v_cndmask_b32_e32 v17, v26, v25, vcc
	v_cndmask_b32_e32 v14, v14, v24, vcc
	v_lshlrev_b32_e32 v24, 16, v16
	v_lshl_add_u32 v17, v17, 23, v47
	v_and_or_b32 v17, v24, s5, v17
	v_lshlrev_b32_e32 v14, 20, v14
	v_or_b32_e32 v25, v17, v14
	v_mov_b32_e32 v24, v15
.LBB229_158:                            ;   in Loop: Header=BB229_147 Depth=1
	s_or_b64 exec, exec, s[22:23]
.LBB229_159:                            ;   in Loop: Header=BB229_147 Depth=1
	s_or_b64 exec, exec, s[20:21]
.LBB229_160:                            ;   in Loop: Header=BB229_147 Depth=1
	s_or_b64 exec, exec, s[0:1]
	v_lshrrev_b32_e32 v14, 16, v16
	v_pk_mov_b32 v[28:29], 0, 0
	v_cmp_ne_u16_sdwa s[20:21], v14, v15 src0_sel:BYTE_0 src1_sel:DWORD
	v_pk_mov_b32 v[26:27], v[28:29], v[28:29] op_sel:[0,1]
	s_and_saveexec_b64 s[0:1], s[20:21]
	s_cbranch_execz .LBB229_166
; %bb.161:                              ;   in Loop: Header=BB229_147 Depth=1
	v_bfrev_b32_e32 v26, 1
	v_cmp_ne_u16_sdwa s[22:23], v14, s34 src0_sel:BYTE_0 src1_sel:DWORD
	v_mov_b32_e32 v27, 0
	s_and_saveexec_b64 s[20:21], s[22:23]
	s_cbranch_execz .LBB229_165
; %bb.162:                              ;   in Loop: Header=BB229_147 Depth=1
	v_bfe_u32 v17, v16, 16, 7
	v_mov_b32_e32 v26, 0x7f800001
	v_cmp_ne_u32_e32 vcc, s36, v17
	v_mov_b32_e32 v27, 0
	s_and_saveexec_b64 s[22:23], vcc
	s_cbranch_execz .LBB229_164
; %bb.163:                              ;   in Loop: Header=BB229_147 Depth=1
	v_and_b32_e32 v30, 7, v14
	v_ffbh_u32_e32 v26, v30
	v_min_u32_e32 v32, 32, v26
	v_subrev_u32_e32 v26, 28, v32
	v_lshlrev_b64 v[26:27], v26, v[14:15]
	v_lshrrev_b32_e32 v31, 3, v17
	v_sub_u32_e32 v27, 29, v32
	v_and_b32_e32 v26, 7, v26
	v_cmp_gt_u32_e32 vcc, 8, v17
	v_cndmask_b32_e32 v17, v31, v27, vcc
	v_cndmask_b32_e32 v26, v30, v26, vcc
	v_lshlrev_b32_e32 v26, 20, v26
	v_and_b32_sdwa v14, sext(v14), s5 dst_sel:DWORD dst_unused:UNUSED_PAD src0_sel:BYTE_0 src1_sel:DWORD
	v_lshl_add_u32 v17, v17, 23, v47
	v_or3_b32 v14, v14, v17, v26
	v_pk_mov_b32 v[26:27], v[14:15], v[14:15] op_sel:[0,1]
.LBB229_164:                            ;   in Loop: Header=BB229_147 Depth=1
	s_or_b64 exec, exec, s[22:23]
.LBB229_165:                            ;   in Loop: Header=BB229_147 Depth=1
	s_or_b64 exec, exec, s[20:21]
.LBB229_166:                            ;   in Loop: Header=BB229_147 Depth=1
	s_or_b64 exec, exec, s[0:1]
	v_cmp_lt_u32_e32 vcc, s37, v16
	s_and_saveexec_b64 s[0:1], vcc
	s_cbranch_execz .LBB229_172
; %bb.167:                              ;   in Loop: Header=BB229_147 Depth=1
	v_cmp_ne_u32_sdwa s[22:23], v16, s34 src0_sel:BYTE_3 src1_sel:DWORD
	v_pk_mov_b32 v[28:29], s[4:5], s[4:5] op_sel:[0,1]
	s_and_saveexec_b64 s[20:21], s[22:23]
	s_cbranch_execz .LBB229_171
; %bb.168:                              ;   in Loop: Header=BB229_147 Depth=1
	v_bfe_u32 v17, v16, 24, 7
	s_mov_b32 s6, s4
	v_cmp_ne_u32_e32 vcc, s36, v17
	v_pk_mov_b32 v[28:29], s[6:7], s[6:7] op_sel:[0,1]
	s_and_saveexec_b64 s[22:23], vcc
	s_cbranch_execz .LBB229_170
; %bb.169:                              ;   in Loop: Header=BB229_147 Depth=1
	v_and_b32_sdwa v14, v16, v48 dst_sel:DWORD dst_unused:UNUSED_PAD src0_sel:BYTE_3 src1_sel:DWORD
	v_ffbh_u32_e32 v28, v14
	v_min_u32_e32 v31, 32, v28
	v_subrev_u32_e32 v28, 28, v31
	v_lshlrev_b64 v[28:29], v28, v[14:15]
	v_lshrrev_b32_e32 v30, 3, v17
	v_sub_u32_e32 v29, 29, v31
	v_cmp_gt_u32_e32 vcc, 8, v17
	v_and_b32_e32 v28, 7, v28
	v_cndmask_b32_e32 v17, v30, v29, vcc
	v_cndmask_b32_e32 v14, v14, v28, vcc
	v_lshlrev_b32_sdwa v16, v49, v16 dst_sel:DWORD dst_unused:UNUSED_PAD src0_sel:DWORD src1_sel:BYTE_3
	v_lshl_add_u32 v17, v17, 23, v47
	v_and_or_b32 v16, v16, s5, v17
	v_lshlrev_b32_e32 v14, 20, v14
	v_or_b32_e32 v29, v16, v14
	v_mov_b32_e32 v28, v15
.LBB229_170:                            ;   in Loop: Header=BB229_147 Depth=1
	s_or_b64 exec, exec, s[22:23]
.LBB229_171:                            ;   in Loop: Header=BB229_147 Depth=1
	s_or_b64 exec, exec, s[20:21]
.LBB229_172:                            ;   in Loop: Header=BB229_147 Depth=1
	s_or_b64 exec, exec, s[0:1]
	v_add_u32_e32 v50, v45, v1
	v_or_b32_e32 v17, v25, v21
	v_or_b32_e32 v16, v24, v20
	v_or_b32_e32 v21, v29, v27
	v_or_b32_e32 v20, v28, v26
	v_cmp_eq_u32_e32 vcc, s27, v18
	s_waitcnt lgkmcnt(0)
	v_pk_mul_f32 v[16:17], s[18:19], v[16:17] op_sel_hi:[0,1]
	v_pk_mul_f32 v[20:21], s[18:19], v[20:21] op_sel_hi:[0,1]
	v_add_u32_e32 v53, 1, v50
	v_add_u32_e32 v52, 2, v50
	;; [unrolled: 1-line block ×3, first 2 shown]
	s_and_saveexec_b64 s[20:21], vcc
; %bb.173:                              ;   in Loop: Header=BB229_147 Depth=1
	v_cmp_gt_i32_e64 s[0:1], s33, v50
	v_cndmask_b32_e64 v16, 0, v16, s[0:1]
	v_cmp_gt_i32_e64 s[0:1], s33, v53
	v_cndmask_b32_e64 v17, 0, v17, s[0:1]
	;; [unrolled: 2-line block ×4, first 2 shown]
; %bb.174:                              ;   in Loop: Header=BB229_147 Depth=1
	s_or_b64 exec, exec, s[20:21]
	global_load_dword v24, v[22:23], off offset:256
	v_pk_mov_b32 v[28:29], 0, 0
	v_pk_mov_b32 v[26:27], v[28:29], v[28:29] op_sel:[0,1]
	s_waitcnt vmcnt(0)
	v_cmp_ne_u16_sdwa s[0:1], v24, v15 src0_sel:BYTE_0 src1_sel:DWORD
	s_and_saveexec_b64 s[20:21], s[0:1]
	s_cbranch_execz .LBB229_180
; %bb.175:                              ;   in Loop: Header=BB229_147 Depth=1
	v_bfrev_b32_e32 v26, 1
	v_cmp_ne_u16_sdwa s[0:1], v24, s34 src0_sel:BYTE_0 src1_sel:DWORD
	v_mov_b32_e32 v27, 0
	s_and_saveexec_b64 s[22:23], s[0:1]
	s_cbranch_execz .LBB229_179
; %bb.176:                              ;   in Loop: Header=BB229_147 Depth=1
	v_and_b32_e32 v14, 0x7f, v24
	v_mov_b32_e32 v26, 0x7f800001
	v_cmp_ne_u32_e64 s[0:1], s36, v14
	v_mov_b32_e32 v27, 0
	s_and_saveexec_b64 s[24:25], s[0:1]
	s_cbranch_execz .LBB229_178
; %bb.177:                              ;   in Loop: Header=BB229_147 Depth=1
	v_and_b32_e32 v25, 7, v24
	v_ffbh_u32_e32 v26, v25
	v_min_u32_e32 v31, 32, v26
	v_subrev_u32_e32 v26, 28, v31
	v_lshlrev_b64 v[26:27], v26, v[24:25]
	v_lshrrev_b32_e32 v30, 3, v14
	v_sub_u32_e32 v27, 29, v31
	v_and_b32_e32 v26, 7, v26
	v_cmp_gt_u32_e64 s[0:1], 8, v14
	v_cndmask_b32_e64 v14, v30, v27, s[0:1]
	v_cndmask_b32_e64 v25, v25, v26, s[0:1]
	v_lshlrev_b32_e32 v25, 20, v25
	v_and_b32_sdwa v26, sext(v24), s5 dst_sel:DWORD dst_unused:UNUSED_PAD src0_sel:BYTE_0 src1_sel:DWORD
	v_lshl_add_u32 v14, v14, 23, v47
	v_or3_b32 v14, v26, v14, v25
	v_pk_mov_b32 v[26:27], v[14:15], v[14:15] op_sel:[0,1]
.LBB229_178:                            ;   in Loop: Header=BB229_147 Depth=1
	s_or_b64 exec, exec, s[24:25]
.LBB229_179:                            ;   in Loop: Header=BB229_147 Depth=1
	s_or_b64 exec, exec, s[22:23]
.LBB229_180:                            ;   in Loop: Header=BB229_147 Depth=1
	s_or_b64 exec, exec, s[20:21]
	v_cmp_ne_u16_sdwa s[0:1], v24, v15 src0_sel:BYTE_1 src1_sel:DWORD
	s_and_saveexec_b64 s[20:21], s[0:1]
	s_cbranch_execz .LBB229_186
; %bb.181:                              ;   in Loop: Header=BB229_147 Depth=1
	v_cmp_ne_u16_sdwa s[0:1], v24, s34 src0_sel:BYTE_1 src1_sel:DWORD
	v_pk_mov_b32 v[28:29], s[4:5], s[4:5] op_sel:[0,1]
	s_and_saveexec_b64 s[22:23], s[0:1]
	s_cbranch_execz .LBB229_185
; %bb.182:                              ;   in Loop: Header=BB229_147 Depth=1
	v_and_b32_sdwa v25, v24, s36 dst_sel:DWORD dst_unused:UNUSED_PAD src0_sel:BYTE_1 src1_sel:DWORD
	s_mov_b32 s6, s4
	v_cmp_ne_u32_e64 s[0:1], s36, v25
	v_pk_mov_b32 v[28:29], s[6:7], s[6:7] op_sel:[0,1]
	s_and_saveexec_b64 s[24:25], s[0:1]
	s_cbranch_execz .LBB229_184
; %bb.183:                              ;   in Loop: Header=BB229_147 Depth=1
	v_and_b32_sdwa v14, v24, v48 dst_sel:DWORD dst_unused:UNUSED_PAD src0_sel:BYTE_1 src1_sel:DWORD
	v_ffbh_u32_e32 v28, v14
	v_min_u32_e32 v31, 32, v28
	v_subrev_u32_e32 v28, 28, v31
	v_lshlrev_b64 v[28:29], v28, v[14:15]
	v_lshrrev_b32_e32 v30, 3, v25
	v_sub_u32_e32 v29, 29, v31
	v_cmp_gt_u32_e64 s[0:1], 8, v25
	v_and_b32_e32 v28, 7, v28
	v_cndmask_b32_e64 v25, v30, v29, s[0:1]
	v_cndmask_b32_e64 v14, v14, v28, s[0:1]
	v_lshlrev_b32_e32 v28, 16, v24
	v_lshl_add_u32 v25, v25, 23, v47
	v_and_or_b32 v25, v28, s5, v25
	v_lshlrev_b32_e32 v14, 20, v14
	v_or_b32_e32 v29, v25, v14
	v_mov_b32_e32 v28, v15
.LBB229_184:                            ;   in Loop: Header=BB229_147 Depth=1
	s_or_b64 exec, exec, s[24:25]
.LBB229_185:                            ;   in Loop: Header=BB229_147 Depth=1
	s_or_b64 exec, exec, s[22:23]
.LBB229_186:                            ;   in Loop: Header=BB229_147 Depth=1
	s_or_b64 exec, exec, s[20:21]
	v_lshrrev_b32_e32 v14, 16, v24
	v_pk_mov_b32 v[32:33], 0, 0
	v_cmp_ne_u16_sdwa s[0:1], v14, v15 src0_sel:BYTE_0 src1_sel:DWORD
	v_pk_mov_b32 v[30:31], v[32:33], v[32:33] op_sel:[0,1]
	s_and_saveexec_b64 s[20:21], s[0:1]
	s_cbranch_execz .LBB229_192
; %bb.187:                              ;   in Loop: Header=BB229_147 Depth=1
	v_bfrev_b32_e32 v30, 1
	v_cmp_ne_u16_sdwa s[0:1], v14, s34 src0_sel:BYTE_0 src1_sel:DWORD
	v_mov_b32_e32 v31, 0
	s_and_saveexec_b64 s[22:23], s[0:1]
	s_cbranch_execz .LBB229_191
; %bb.188:                              ;   in Loop: Header=BB229_147 Depth=1
	v_bfe_u32 v25, v24, 16, 7
	v_mov_b32_e32 v30, 0x7f800001
	v_cmp_ne_u32_e64 s[0:1], s36, v25
	v_mov_b32_e32 v31, 0
	s_and_saveexec_b64 s[24:25], s[0:1]
	s_cbranch_execz .LBB229_190
; %bb.189:                              ;   in Loop: Header=BB229_147 Depth=1
	v_and_b32_e32 v34, 7, v14
	v_ffbh_u32_e32 v30, v34
	v_min_u32_e32 v36, 32, v30
	v_subrev_u32_e32 v30, 28, v36
	v_lshlrev_b64 v[30:31], v30, v[14:15]
	v_lshrrev_b32_e32 v35, 3, v25
	v_sub_u32_e32 v31, 29, v36
	v_and_b32_e32 v30, 7, v30
	v_cmp_gt_u32_e64 s[0:1], 8, v25
	v_cndmask_b32_e64 v25, v35, v31, s[0:1]
	v_cndmask_b32_e64 v30, v34, v30, s[0:1]
	v_lshlrev_b32_e32 v30, 20, v30
	v_and_b32_sdwa v14, sext(v14), s5 dst_sel:DWORD dst_unused:UNUSED_PAD src0_sel:BYTE_0 src1_sel:DWORD
	v_lshl_add_u32 v25, v25, 23, v47
	v_or3_b32 v14, v14, v25, v30
	v_pk_mov_b32 v[30:31], v[14:15], v[14:15] op_sel:[0,1]
.LBB229_190:                            ;   in Loop: Header=BB229_147 Depth=1
	s_or_b64 exec, exec, s[24:25]
.LBB229_191:                            ;   in Loop: Header=BB229_147 Depth=1
	s_or_b64 exec, exec, s[22:23]
.LBB229_192:                            ;   in Loop: Header=BB229_147 Depth=1
	s_or_b64 exec, exec, s[20:21]
	v_cmp_lt_u32_e64 s[0:1], s37, v24
	s_and_saveexec_b64 s[20:21], s[0:1]
	s_cbranch_execz .LBB229_198
; %bb.193:                              ;   in Loop: Header=BB229_147 Depth=1
	v_cmp_ne_u32_sdwa s[0:1], v24, s34 src0_sel:BYTE_3 src1_sel:DWORD
	v_pk_mov_b32 v[32:33], s[4:5], s[4:5] op_sel:[0,1]
	s_and_saveexec_b64 s[22:23], s[0:1]
	s_cbranch_execz .LBB229_197
; %bb.194:                              ;   in Loop: Header=BB229_147 Depth=1
	v_bfe_u32 v25, v24, 24, 7
	s_mov_b32 s6, s4
	v_cmp_ne_u32_e64 s[0:1], s36, v25
	v_pk_mov_b32 v[32:33], s[6:7], s[6:7] op_sel:[0,1]
	s_and_saveexec_b64 s[24:25], s[0:1]
	s_cbranch_execz .LBB229_196
; %bb.195:                              ;   in Loop: Header=BB229_147 Depth=1
	v_and_b32_sdwa v14, v24, v48 dst_sel:DWORD dst_unused:UNUSED_PAD src0_sel:BYTE_3 src1_sel:DWORD
	v_ffbh_u32_e32 v32, v14
	v_min_u32_e32 v35, 32, v32
	v_subrev_u32_e32 v32, 28, v35
	v_lshlrev_b64 v[32:33], v32, v[14:15]
	v_lshrrev_b32_e32 v34, 3, v25
	v_sub_u32_e32 v33, 29, v35
	v_cmp_gt_u32_e64 s[0:1], 8, v25
	v_and_b32_e32 v32, 7, v32
	v_cndmask_b32_e64 v25, v34, v33, s[0:1]
	v_cndmask_b32_e64 v14, v14, v32, s[0:1]
	v_lshlrev_b32_sdwa v24, v49, v24 dst_sel:DWORD dst_unused:UNUSED_PAD src0_sel:DWORD src1_sel:BYTE_3
	v_lshl_add_u32 v25, v25, 23, v47
	v_and_or_b32 v24, v24, s5, v25
	v_lshlrev_b32_e32 v14, 20, v14
	v_or_b32_e32 v33, v24, v14
	v_mov_b32_e32 v32, v15
.LBB229_196:                            ;   in Loop: Header=BB229_147 Depth=1
	s_or_b64 exec, exec, s[24:25]
.LBB229_197:                            ;   in Loop: Header=BB229_147 Depth=1
	s_or_b64 exec, exec, s[22:23]
.LBB229_198:                            ;   in Loop: Header=BB229_147 Depth=1
	s_or_b64 exec, exec, s[20:21]
	s_mov_b32 s19, s18
	v_or_b32_e32 v25, v29, v27
	v_or_b32_e32 v24, v28, v26
	;; [unrolled: 1-line block ×4, first 2 shown]
	v_pk_mul_f32 v[24:25], s[18:19], v[24:25]
	v_pk_mul_f32 v[26:27], s[18:19], v[26:27]
	s_and_saveexec_b64 s[20:21], vcc
; %bb.199:                              ;   in Loop: Header=BB229_147 Depth=1
	v_cmp_gt_i32_e64 s[0:1], s33, v50
	v_cndmask_b32_e64 v24, 0, v24, s[0:1]
	v_cmp_gt_i32_e64 s[0:1], s33, v53
	v_cndmask_b32_e64 v25, 0, v25, s[0:1]
	;; [unrolled: 2-line block ×4, first 2 shown]
; %bb.200:                              ;   in Loop: Header=BB229_147 Depth=1
	s_or_b64 exec, exec, s[20:21]
	global_load_dword v28, v[22:23], off offset:512
	v_pk_mov_b32 v[32:33], 0, 0
	v_pk_mov_b32 v[30:31], v[32:33], v[32:33] op_sel:[0,1]
	s_waitcnt vmcnt(0)
	v_cmp_ne_u16_sdwa s[0:1], v28, v15 src0_sel:BYTE_0 src1_sel:DWORD
	s_and_saveexec_b64 s[20:21], s[0:1]
	s_cbranch_execz .LBB229_206
; %bb.201:                              ;   in Loop: Header=BB229_147 Depth=1
	v_bfrev_b32_e32 v30, 1
	v_cmp_ne_u16_sdwa s[0:1], v28, s34 src0_sel:BYTE_0 src1_sel:DWORD
	v_mov_b32_e32 v31, 0
	s_and_saveexec_b64 s[22:23], s[0:1]
	s_cbranch_execz .LBB229_205
; %bb.202:                              ;   in Loop: Header=BB229_147 Depth=1
	v_and_b32_e32 v14, 0x7f, v28
	v_mov_b32_e32 v30, 0x7f800001
	v_cmp_ne_u32_e64 s[0:1], s36, v14
	v_mov_b32_e32 v31, 0
	s_and_saveexec_b64 s[24:25], s[0:1]
	s_cbranch_execz .LBB229_204
; %bb.203:                              ;   in Loop: Header=BB229_147 Depth=1
	v_and_b32_e32 v29, 7, v28
	v_ffbh_u32_e32 v30, v29
	v_min_u32_e32 v35, 32, v30
	v_subrev_u32_e32 v30, 28, v35
	v_lshlrev_b64 v[30:31], v30, v[28:29]
	v_lshrrev_b32_e32 v34, 3, v14
	v_sub_u32_e32 v31, 29, v35
	v_and_b32_e32 v30, 7, v30
	v_cmp_gt_u32_e64 s[0:1], 8, v14
	v_cndmask_b32_e64 v14, v34, v31, s[0:1]
	v_cndmask_b32_e64 v29, v29, v30, s[0:1]
	v_lshlrev_b32_e32 v29, 20, v29
	v_and_b32_sdwa v30, sext(v28), s5 dst_sel:DWORD dst_unused:UNUSED_PAD src0_sel:BYTE_0 src1_sel:DWORD
	v_lshl_add_u32 v14, v14, 23, v47
	v_or3_b32 v14, v30, v14, v29
	v_pk_mov_b32 v[30:31], v[14:15], v[14:15] op_sel:[0,1]
.LBB229_204:                            ;   in Loop: Header=BB229_147 Depth=1
	s_or_b64 exec, exec, s[24:25]
.LBB229_205:                            ;   in Loop: Header=BB229_147 Depth=1
	s_or_b64 exec, exec, s[22:23]
.LBB229_206:                            ;   in Loop: Header=BB229_147 Depth=1
	s_or_b64 exec, exec, s[20:21]
	v_cmp_ne_u16_sdwa s[0:1], v28, v15 src0_sel:BYTE_1 src1_sel:DWORD
	s_and_saveexec_b64 s[20:21], s[0:1]
	s_cbranch_execz .LBB229_212
; %bb.207:                              ;   in Loop: Header=BB229_147 Depth=1
	v_cmp_ne_u16_sdwa s[0:1], v28, s34 src0_sel:BYTE_1 src1_sel:DWORD
	v_pk_mov_b32 v[32:33], s[4:5], s[4:5] op_sel:[0,1]
	s_and_saveexec_b64 s[22:23], s[0:1]
	s_cbranch_execz .LBB229_211
; %bb.208:                              ;   in Loop: Header=BB229_147 Depth=1
	v_and_b32_sdwa v29, v28, s36 dst_sel:DWORD dst_unused:UNUSED_PAD src0_sel:BYTE_1 src1_sel:DWORD
	s_mov_b32 s6, s4
	v_cmp_ne_u32_e64 s[0:1], s36, v29
	v_pk_mov_b32 v[32:33], s[6:7], s[6:7] op_sel:[0,1]
	s_and_saveexec_b64 s[24:25], s[0:1]
	s_cbranch_execz .LBB229_210
; %bb.209:                              ;   in Loop: Header=BB229_147 Depth=1
	v_and_b32_sdwa v14, v28, v48 dst_sel:DWORD dst_unused:UNUSED_PAD src0_sel:BYTE_1 src1_sel:DWORD
	v_ffbh_u32_e32 v32, v14
	v_min_u32_e32 v35, 32, v32
	v_subrev_u32_e32 v32, 28, v35
	v_lshlrev_b64 v[32:33], v32, v[14:15]
	v_lshrrev_b32_e32 v34, 3, v29
	v_sub_u32_e32 v33, 29, v35
	v_cmp_gt_u32_e64 s[0:1], 8, v29
	v_and_b32_e32 v32, 7, v32
	v_cndmask_b32_e64 v29, v34, v33, s[0:1]
	v_cndmask_b32_e64 v14, v14, v32, s[0:1]
	v_lshlrev_b32_e32 v32, 16, v28
	v_lshl_add_u32 v29, v29, 23, v47
	v_and_or_b32 v29, v32, s5, v29
	v_lshlrev_b32_e32 v14, 20, v14
	v_or_b32_e32 v33, v29, v14
	v_mov_b32_e32 v32, v15
.LBB229_210:                            ;   in Loop: Header=BB229_147 Depth=1
	s_or_b64 exec, exec, s[24:25]
.LBB229_211:                            ;   in Loop: Header=BB229_147 Depth=1
	s_or_b64 exec, exec, s[22:23]
.LBB229_212:                            ;   in Loop: Header=BB229_147 Depth=1
	s_or_b64 exec, exec, s[20:21]
	v_lshrrev_b32_e32 v14, 16, v28
	v_pk_mov_b32 v[36:37], 0, 0
	v_cmp_ne_u16_sdwa s[0:1], v14, v15 src0_sel:BYTE_0 src1_sel:DWORD
	v_pk_mov_b32 v[34:35], v[36:37], v[36:37] op_sel:[0,1]
	s_and_saveexec_b64 s[20:21], s[0:1]
	s_cbranch_execz .LBB229_218
; %bb.213:                              ;   in Loop: Header=BB229_147 Depth=1
	v_bfrev_b32_e32 v34, 1
	v_cmp_ne_u16_sdwa s[0:1], v14, s34 src0_sel:BYTE_0 src1_sel:DWORD
	v_mov_b32_e32 v35, 0
	s_and_saveexec_b64 s[22:23], s[0:1]
	s_cbranch_execz .LBB229_217
; %bb.214:                              ;   in Loop: Header=BB229_147 Depth=1
	v_bfe_u32 v29, v28, 16, 7
	v_mov_b32_e32 v34, 0x7f800001
	v_cmp_ne_u32_e64 s[0:1], s36, v29
	v_mov_b32_e32 v35, 0
	s_and_saveexec_b64 s[24:25], s[0:1]
	s_cbranch_execz .LBB229_216
; %bb.215:                              ;   in Loop: Header=BB229_147 Depth=1
	v_and_b32_e32 v38, 7, v14
	v_ffbh_u32_e32 v34, v38
	v_min_u32_e32 v54, 32, v34
	v_subrev_u32_e32 v34, 28, v54
	v_lshlrev_b64 v[34:35], v34, v[14:15]
	v_lshrrev_b32_e32 v39, 3, v29
	v_sub_u32_e32 v35, 29, v54
	v_and_b32_e32 v34, 7, v34
	v_cmp_gt_u32_e64 s[0:1], 8, v29
	v_cndmask_b32_e64 v29, v39, v35, s[0:1]
	v_cndmask_b32_e64 v34, v38, v34, s[0:1]
	v_lshlrev_b32_e32 v34, 20, v34
	v_and_b32_sdwa v14, sext(v14), s5 dst_sel:DWORD dst_unused:UNUSED_PAD src0_sel:BYTE_0 src1_sel:DWORD
	v_lshl_add_u32 v29, v29, 23, v47
	v_or3_b32 v14, v14, v29, v34
	v_pk_mov_b32 v[34:35], v[14:15], v[14:15] op_sel:[0,1]
.LBB229_216:                            ;   in Loop: Header=BB229_147 Depth=1
	s_or_b64 exec, exec, s[24:25]
.LBB229_217:                            ;   in Loop: Header=BB229_147 Depth=1
	s_or_b64 exec, exec, s[22:23]
.LBB229_218:                            ;   in Loop: Header=BB229_147 Depth=1
	s_or_b64 exec, exec, s[20:21]
	v_cmp_lt_u32_e64 s[0:1], s37, v28
	s_and_saveexec_b64 s[20:21], s[0:1]
	s_cbranch_execz .LBB229_224
; %bb.219:                              ;   in Loop: Header=BB229_147 Depth=1
	v_cmp_ne_u32_sdwa s[0:1], v28, s34 src0_sel:BYTE_3 src1_sel:DWORD
	v_pk_mov_b32 v[36:37], s[4:5], s[4:5] op_sel:[0,1]
	s_and_saveexec_b64 s[22:23], s[0:1]
	s_cbranch_execz .LBB229_223
; %bb.220:                              ;   in Loop: Header=BB229_147 Depth=1
	v_bfe_u32 v29, v28, 24, 7
	s_mov_b32 s6, s4
	v_cmp_ne_u32_e64 s[0:1], s36, v29
	v_pk_mov_b32 v[36:37], s[6:7], s[6:7] op_sel:[0,1]
	s_and_saveexec_b64 s[24:25], s[0:1]
	s_cbranch_execz .LBB229_222
; %bb.221:                              ;   in Loop: Header=BB229_147 Depth=1
	v_and_b32_sdwa v14, v28, v48 dst_sel:DWORD dst_unused:UNUSED_PAD src0_sel:BYTE_3 src1_sel:DWORD
	v_ffbh_u32_e32 v36, v14
	v_min_u32_e32 v39, 32, v36
	v_subrev_u32_e32 v36, 28, v39
	v_lshlrev_b64 v[36:37], v36, v[14:15]
	v_lshrrev_b32_e32 v38, 3, v29
	v_sub_u32_e32 v37, 29, v39
	v_cmp_gt_u32_e64 s[0:1], 8, v29
	v_and_b32_e32 v36, 7, v36
	v_cndmask_b32_e64 v29, v38, v37, s[0:1]
	v_cndmask_b32_e64 v14, v14, v36, s[0:1]
	v_lshlrev_b32_sdwa v28, v49, v28 dst_sel:DWORD dst_unused:UNUSED_PAD src0_sel:DWORD src1_sel:BYTE_3
	v_lshl_add_u32 v29, v29, 23, v47
	v_and_or_b32 v28, v28, s5, v29
	v_lshlrev_b32_e32 v14, 20, v14
	v_or_b32_e32 v37, v28, v14
	v_mov_b32_e32 v36, v15
.LBB229_222:                            ;   in Loop: Header=BB229_147 Depth=1
	s_or_b64 exec, exec, s[24:25]
.LBB229_223:                            ;   in Loop: Header=BB229_147 Depth=1
	s_or_b64 exec, exec, s[22:23]
.LBB229_224:                            ;   in Loop: Header=BB229_147 Depth=1
	s_or_b64 exec, exec, s[20:21]
	v_or_b32_e32 v29, v33, v31
	v_or_b32_e32 v28, v32, v30
	;; [unrolled: 1-line block ×4, first 2 shown]
	v_pk_mul_f32 v[28:29], s[18:19], v[28:29]
	v_pk_mul_f32 v[30:31], s[18:19], v[30:31]
	s_and_saveexec_b64 s[20:21], vcc
; %bb.225:                              ;   in Loop: Header=BB229_147 Depth=1
	v_cmp_gt_i32_e64 s[0:1], s33, v50
	v_cndmask_b32_e64 v28, 0, v28, s[0:1]
	v_cmp_gt_i32_e64 s[0:1], s33, v53
	v_cndmask_b32_e64 v29, 0, v29, s[0:1]
	;; [unrolled: 2-line block ×4, first 2 shown]
; %bb.226:                              ;   in Loop: Header=BB229_147 Depth=1
	s_or_b64 exec, exec, s[20:21]
	global_load_dword v22, v[22:23], off offset:768
	v_pk_mov_b32 v[34:35], 0, 0
	v_pk_mov_b32 v[32:33], v[34:35], v[34:35] op_sel:[0,1]
	s_waitcnt vmcnt(0)
	v_cmp_ne_u16_sdwa s[0:1], v22, v15 src0_sel:BYTE_0 src1_sel:DWORD
	s_and_saveexec_b64 s[20:21], s[0:1]
	s_cbranch_execz .LBB229_232
; %bb.227:                              ;   in Loop: Header=BB229_147 Depth=1
	v_bfrev_b32_e32 v32, 1
	v_cmp_ne_u16_sdwa s[0:1], v22, s34 src0_sel:BYTE_0 src1_sel:DWORD
	v_mov_b32_e32 v33, 0
	s_and_saveexec_b64 s[22:23], s[0:1]
	s_cbranch_execz .LBB229_231
; %bb.228:                              ;   in Loop: Header=BB229_147 Depth=1
	v_and_b32_e32 v14, 0x7f, v22
	v_mov_b32_e32 v32, 0x7f800001
	v_cmp_ne_u32_e64 s[0:1], s36, v14
	v_mov_b32_e32 v33, 0
	s_and_saveexec_b64 s[24:25], s[0:1]
	s_cbranch_execz .LBB229_230
; %bb.229:                              ;   in Loop: Header=BB229_147 Depth=1
	v_and_b32_e32 v23, 7, v22
	v_ffbh_u32_e32 v32, v23
	v_min_u32_e32 v37, 32, v32
	v_subrev_u32_e32 v32, 28, v37
	v_lshlrev_b64 v[32:33], v32, v[22:23]
	v_lshrrev_b32_e32 v36, 3, v14
	v_sub_u32_e32 v33, 29, v37
	v_and_b32_e32 v32, 7, v32
	v_cmp_gt_u32_e64 s[0:1], 8, v14
	v_cndmask_b32_e64 v14, v36, v33, s[0:1]
	v_cndmask_b32_e64 v23, v23, v32, s[0:1]
	v_lshlrev_b32_e32 v23, 20, v23
	v_and_b32_sdwa v32, sext(v22), s5 dst_sel:DWORD dst_unused:UNUSED_PAD src0_sel:BYTE_0 src1_sel:DWORD
	v_lshl_add_u32 v14, v14, 23, v47
	v_or3_b32 v14, v32, v14, v23
	v_pk_mov_b32 v[32:33], v[14:15], v[14:15] op_sel:[0,1]
.LBB229_230:                            ;   in Loop: Header=BB229_147 Depth=1
	s_or_b64 exec, exec, s[24:25]
.LBB229_231:                            ;   in Loop: Header=BB229_147 Depth=1
	s_or_b64 exec, exec, s[22:23]
.LBB229_232:                            ;   in Loop: Header=BB229_147 Depth=1
	s_or_b64 exec, exec, s[20:21]
	v_cmp_ne_u16_sdwa s[0:1], v22, v15 src0_sel:BYTE_1 src1_sel:DWORD
	s_and_saveexec_b64 s[20:21], s[0:1]
	s_cbranch_execz .LBB229_238
; %bb.233:                              ;   in Loop: Header=BB229_147 Depth=1
	v_cmp_ne_u16_sdwa s[0:1], v22, s34 src0_sel:BYTE_1 src1_sel:DWORD
	v_pk_mov_b32 v[34:35], s[4:5], s[4:5] op_sel:[0,1]
	s_and_saveexec_b64 s[22:23], s[0:1]
	s_cbranch_execz .LBB229_237
; %bb.234:                              ;   in Loop: Header=BB229_147 Depth=1
	v_and_b32_sdwa v23, v22, s36 dst_sel:DWORD dst_unused:UNUSED_PAD src0_sel:BYTE_1 src1_sel:DWORD
	s_mov_b32 s6, s4
	v_cmp_ne_u32_e64 s[0:1], s36, v23
	v_pk_mov_b32 v[34:35], s[6:7], s[6:7] op_sel:[0,1]
	s_and_saveexec_b64 s[24:25], s[0:1]
	s_cbranch_execz .LBB229_236
; %bb.235:                              ;   in Loop: Header=BB229_147 Depth=1
	v_and_b32_sdwa v14, v22, v48 dst_sel:DWORD dst_unused:UNUSED_PAD src0_sel:BYTE_1 src1_sel:DWORD
	v_ffbh_u32_e32 v34, v14
	v_min_u32_e32 v37, 32, v34
	v_subrev_u32_e32 v34, 28, v37
	v_lshlrev_b64 v[34:35], v34, v[14:15]
	v_lshrrev_b32_e32 v36, 3, v23
	v_sub_u32_e32 v35, 29, v37
	v_cmp_gt_u32_e64 s[0:1], 8, v23
	v_and_b32_e32 v34, 7, v34
	v_cndmask_b32_e64 v23, v36, v35, s[0:1]
	v_cndmask_b32_e64 v14, v14, v34, s[0:1]
	v_lshlrev_b32_e32 v34, 16, v22
	v_lshl_add_u32 v23, v23, 23, v47
	v_and_or_b32 v23, v34, s5, v23
	v_lshlrev_b32_e32 v14, 20, v14
	v_or_b32_e32 v35, v23, v14
	v_mov_b32_e32 v34, v15
.LBB229_236:                            ;   in Loop: Header=BB229_147 Depth=1
	s_or_b64 exec, exec, s[24:25]
.LBB229_237:                            ;   in Loop: Header=BB229_147 Depth=1
	s_or_b64 exec, exec, s[22:23]
.LBB229_238:                            ;   in Loop: Header=BB229_147 Depth=1
	s_or_b64 exec, exec, s[20:21]
	v_lshrrev_b32_e32 v14, 16, v22
	v_pk_mov_b32 v[38:39], 0, 0
	v_cmp_ne_u16_sdwa s[0:1], v14, v15 src0_sel:BYTE_0 src1_sel:DWORD
	v_pk_mov_b32 v[36:37], v[38:39], v[38:39] op_sel:[0,1]
	s_and_saveexec_b64 s[20:21], s[0:1]
	s_cbranch_execz .LBB229_244
; %bb.239:                              ;   in Loop: Header=BB229_147 Depth=1
	v_bfrev_b32_e32 v36, 1
	v_cmp_ne_u16_sdwa s[0:1], v14, s34 src0_sel:BYTE_0 src1_sel:DWORD
	v_mov_b32_e32 v37, 0
	s_and_saveexec_b64 s[22:23], s[0:1]
	s_cbranch_execz .LBB229_243
; %bb.240:                              ;   in Loop: Header=BB229_147 Depth=1
	v_bfe_u32 v23, v22, 16, 7
	v_mov_b32_e32 v36, 0x7f800001
	v_cmp_ne_u32_e64 s[0:1], s36, v23
	v_mov_b32_e32 v37, 0
	s_and_saveexec_b64 s[24:25], s[0:1]
	s_cbranch_execz .LBB229_242
; %bb.241:                              ;   in Loop: Header=BB229_147 Depth=1
	v_and_b32_e32 v54, 7, v14
	v_ffbh_u32_e32 v36, v54
	v_min_u32_e32 v56, 32, v36
	v_subrev_u32_e32 v36, 28, v56
	v_lshlrev_b64 v[36:37], v36, v[14:15]
	v_lshrrev_b32_e32 v55, 3, v23
	v_sub_u32_e32 v37, 29, v56
	v_and_b32_e32 v36, 7, v36
	v_cmp_gt_u32_e64 s[0:1], 8, v23
	v_cndmask_b32_e64 v23, v55, v37, s[0:1]
	v_cndmask_b32_e64 v36, v54, v36, s[0:1]
	v_lshlrev_b32_e32 v36, 20, v36
	v_and_b32_sdwa v14, sext(v14), s5 dst_sel:DWORD dst_unused:UNUSED_PAD src0_sel:BYTE_0 src1_sel:DWORD
	v_lshl_add_u32 v23, v23, 23, v47
	v_or3_b32 v14, v14, v23, v36
	v_pk_mov_b32 v[36:37], v[14:15], v[14:15] op_sel:[0,1]
.LBB229_242:                            ;   in Loop: Header=BB229_147 Depth=1
	s_or_b64 exec, exec, s[24:25]
.LBB229_243:                            ;   in Loop: Header=BB229_147 Depth=1
	s_or_b64 exec, exec, s[22:23]
.LBB229_244:                            ;   in Loop: Header=BB229_147 Depth=1
	s_or_b64 exec, exec, s[20:21]
	v_cmp_lt_u32_e64 s[0:1], s37, v22
	s_and_saveexec_b64 s[20:21], s[0:1]
	s_cbranch_execz .LBB229_250
; %bb.245:                              ;   in Loop: Header=BB229_147 Depth=1
	v_cmp_ne_u32_sdwa s[0:1], v22, s34 src0_sel:BYTE_3 src1_sel:DWORD
	v_pk_mov_b32 v[38:39], s[4:5], s[4:5] op_sel:[0,1]
	s_and_saveexec_b64 s[22:23], s[0:1]
	s_cbranch_execz .LBB229_249
; %bb.246:                              ;   in Loop: Header=BB229_147 Depth=1
	v_bfe_u32 v23, v22, 24, 7
	s_mov_b32 s6, s4
	v_cmp_ne_u32_e64 s[0:1], s36, v23
	v_pk_mov_b32 v[38:39], s[6:7], s[6:7] op_sel:[0,1]
	s_and_saveexec_b64 s[24:25], s[0:1]
	s_cbranch_execz .LBB229_248
; %bb.247:                              ;   in Loop: Header=BB229_147 Depth=1
	v_and_b32_sdwa v14, v22, v48 dst_sel:DWORD dst_unused:UNUSED_PAD src0_sel:BYTE_3 src1_sel:DWORD
	v_ffbh_u32_e32 v38, v14
	v_min_u32_e32 v55, 32, v38
	v_subrev_u32_e32 v38, 28, v55
	v_lshlrev_b64 v[38:39], v38, v[14:15]
	v_lshrrev_b32_e32 v54, 3, v23
	v_sub_u32_e32 v39, 29, v55
	v_cmp_gt_u32_e64 s[0:1], 8, v23
	v_and_b32_e32 v38, 7, v38
	v_cndmask_b32_e64 v23, v54, v39, s[0:1]
	v_cndmask_b32_e64 v14, v14, v38, s[0:1]
	v_lshlrev_b32_sdwa v22, v49, v22 dst_sel:DWORD dst_unused:UNUSED_PAD src0_sel:DWORD src1_sel:BYTE_3
	v_lshl_add_u32 v23, v23, 23, v47
	v_and_or_b32 v22, v22, s5, v23
	v_lshlrev_b32_e32 v14, 20, v14
	v_or_b32_e32 v39, v22, v14
	v_mov_b32_e32 v38, v15
.LBB229_248:                            ;   in Loop: Header=BB229_147 Depth=1
	s_or_b64 exec, exec, s[24:25]
.LBB229_249:                            ;   in Loop: Header=BB229_147 Depth=1
	s_or_b64 exec, exec, s[22:23]
.LBB229_250:                            ;   in Loop: Header=BB229_147 Depth=1
	s_or_b64 exec, exec, s[20:21]
	v_or_b32_e32 v23, v35, v33
	v_or_b32_e32 v22, v34, v32
	;; [unrolled: 1-line block ×4, first 2 shown]
	v_pk_mul_f32 v[22:23], s[18:19], v[22:23]
	v_pk_mul_f32 v[32:33], s[18:19], v[32:33]
	s_and_saveexec_b64 s[0:1], vcc
	s_cbranch_execz .LBB229_145
; %bb.251:                              ;   in Loop: Header=BB229_147 Depth=1
	v_cmp_gt_i32_e32 vcc, s33, v50
	v_cndmask_b32_e32 v22, 0, v22, vcc
	v_cmp_gt_i32_e32 vcc, s33, v53
	v_cndmask_b32_e32 v23, 0, v23, vcc
	;; [unrolled: 2-line block ×4, first 2 shown]
	s_branch .LBB229_145
.LBB229_252:
	s_or_b64 exec, exec, s[12:13]
.LBB229_253:
	s_or_b64 exec, exec, s[10:11]
	ds_bpermute_b32 v6, v42, v2
	ds_bpermute_b32 v7, v42, v3
	;; [unrolled: 1-line block ×4, first 2 shown]
	v_and_b32_e32 v1, 0x3c7, v0
	v_cmp_eq_u32_e32 vcc, 64, v1
	s_waitcnt lgkmcnt(2)
	v_pk_add_f32 v[2:3], v[2:3], v[6:7]
	ds_bpermute_b32 v6, v41, v2
	s_waitcnt lgkmcnt(1)
	v_pk_add_f32 v[4:5], v[4:5], v[8:9]
	ds_bpermute_b32 v7, v41, v3
	ds_bpermute_b32 v8, v41, v4
	;; [unrolled: 1-line block ×3, first 2 shown]
	s_waitcnt lgkmcnt(0)
	s_barrier
	v_pk_add_f32 v[2:3], v[2:3], v[6:7]
	ds_bpermute_b32 v6, v43, v2
	v_pk_add_f32 v[4:5], v[4:5], v[8:9]
	ds_bpermute_b32 v7, v43, v3
	ds_bpermute_b32 v8, v43, v4
	;; [unrolled: 1-line block ×3, first 2 shown]
	s_waitcnt lgkmcnt(0)
	v_pk_add_f32 v[2:3], v[2:3], v[6:7]
	v_pk_add_f32 v[4:5], v[4:5], v[8:9]
	s_and_saveexec_b64 s[0:1], vcc
	s_cbranch_execz .LBB229_255
; %bb.254:
	v_lshrrev_b32_e32 v6, 1, v40
	v_add_u32_e32 v6, 0x90, v6
	ds_write2_b32 v6, v2, v3 offset1:8
	ds_write2_b32 v6, v4, v5 offset0:16 offset1:24
.LBB229_255:
	s_or_b64 exec, exec, s[0:1]
	v_cmp_gt_u32_e32 vcc, 64, v0
	s_waitcnt lgkmcnt(0)
	s_barrier
	s_and_saveexec_b64 s[0:1], vcc
	s_cbranch_execz .LBB229_262
; %bb.256:
	v_cmp_eq_u32_e32 vcc, 0, v44
	v_lshrrev_b32_e32 v6, 3, v0
	s_and_saveexec_b64 s[4:5], vcc
	s_cbranch_execnz .LBB229_265
; %bb.257:
	s_or_b64 exec, exec, s[4:5]
	s_and_saveexec_b64 s[4:5], vcc
	s_cbranch_execnz .LBB229_266
.LBB229_258:
	s_or_b64 exec, exec, s[4:5]
	s_and_saveexec_b64 s[4:5], vcc
	s_cbranch_execnz .LBB229_267
.LBB229_259:
	s_or_b64 exec, exec, s[4:5]
	s_and_saveexec_b64 s[4:5], vcc
	s_cbranch_execz .LBB229_261
.LBB229_260:
	v_mov_b32_e32 v7, 0x90
	v_lshl_add_u32 v6, v6, 2, v7
	ds_read_b32 v6, v6 offset:96
	s_waitcnt lgkmcnt(0)
	v_add_f32_e32 v5, v5, v6
.LBB229_261:
	s_or_b64 exec, exec, s[4:5]
.LBB229_262:
	s_or_b64 exec, exec, s[0:1]
	v_cmp_eq_u32_e32 vcc, 0, v1
	s_barrier
	s_and_saveexec_b64 s[0:1], vcc
	s_cbranch_execz .LBB229_264
; %bb.263:
	s_lshl_b32 s0, s2, 5
	s_ashr_i32 s1, s0, 31
	s_lshl_b64 s[0:1], s[0:1], 2
	s_add_u32 s2, s30, s0
	s_mul_i32 s0, s29, s28
	s_addc_u32 s3, s31, s1
	s_ashr_i32 s1, s0, 31
	s_lshl_b64 s[0:1], s[0:1], 2
	s_add_u32 s2, s2, s0
	s_addc_u32 s3, s3, s1
	s_lshl_b32 s0, s8, 5
	s_ashr_i32 s1, s0, 31
	s_lshl_b64 s[0:1], s[0:1], 2
	s_add_u32 s0, s2, s0
	s_addc_u32 s1, s3, s1
	v_lshrrev_b32_e32 v0, 1, v0
	global_store_dword v0, v2, s[0:1]
	global_store_dword v0, v3, s[0:1] offset:32
	global_store_dword v0, v4, s[0:1] offset:64
	;; [unrolled: 1-line block ×3, first 2 shown]
.LBB229_264:
	s_endpgm
.LBB229_265:
	v_mov_b32_e32 v7, 0x90
	v_lshl_add_u32 v7, v6, 2, v7
	ds_read_b32 v7, v7
	s_waitcnt lgkmcnt(0)
	v_add_f32_e32 v2, v2, v7
	s_or_b64 exec, exec, s[4:5]
	s_and_saveexec_b64 s[4:5], vcc
	s_cbranch_execz .LBB229_258
.LBB229_266:
	v_mov_b32_e32 v7, 0x90
	v_lshl_add_u32 v7, v6, 2, v7
	ds_read_b32 v7, v7 offset:32
	s_waitcnt lgkmcnt(0)
	v_add_f32_e32 v3, v3, v7
	s_or_b64 exec, exec, s[4:5]
	s_and_saveexec_b64 s[4:5], vcc
	s_cbranch_execz .LBB229_259
.LBB229_267:
	v_mov_b32_e32 v7, 0x90
	v_lshl_add_u32 v7, v6, 2, v7
	ds_read_b32 v7, v7 offset:64
	s_waitcnt lgkmcnt(0)
	v_add_f32_e32 v4, v4, v7
	s_or_b64 exec, exec, s[4:5]
	s_and_saveexec_b64 s[4:5], vcc
	s_cbranch_execnz .LBB229_260
	s_branch .LBB229_261
	.section	.rodata,"a",@progbits
	.p2align	6, 0x0
	.amdhsa_kernel _ZN4vllm25paged_attention_v2_kernelIfhLi32ELi32ELi128ELNS_18Fp8KVCacheDataTypeE1ELb1ELi512EEEvPfS2_PT_PKS3_PKT0_S9_ifPKiSB_iPKfiiiSD_SD_iiiii
		.amdhsa_group_segment_fixed_size 144
		.amdhsa_private_segment_fixed_size 0
		.amdhsa_kernarg_size 400
		.amdhsa_user_sgpr_count 6
		.amdhsa_user_sgpr_private_segment_buffer 1
		.amdhsa_user_sgpr_dispatch_ptr 0
		.amdhsa_user_sgpr_queue_ptr 0
		.amdhsa_user_sgpr_kernarg_segment_ptr 1
		.amdhsa_user_sgpr_dispatch_id 0
		.amdhsa_user_sgpr_flat_scratch_init 0
		.amdhsa_user_sgpr_kernarg_preload_length 0
		.amdhsa_user_sgpr_kernarg_preload_offset 0
		.amdhsa_user_sgpr_private_segment_size 0
		.amdhsa_uses_dynamic_stack 0
		.amdhsa_system_sgpr_private_segment_wavefront_offset 0
		.amdhsa_system_sgpr_workgroup_id_x 1
		.amdhsa_system_sgpr_workgroup_id_y 1
		.amdhsa_system_sgpr_workgroup_id_z 1
		.amdhsa_system_sgpr_workgroup_info 0
		.amdhsa_system_vgpr_workitem_id 0
		.amdhsa_next_free_vgpr 78
		.amdhsa_next_free_sgpr 67
		.amdhsa_accum_offset 80
		.amdhsa_reserve_vcc 1
		.amdhsa_reserve_flat_scratch 0
		.amdhsa_float_round_mode_32 0
		.amdhsa_float_round_mode_16_64 0
		.amdhsa_float_denorm_mode_32 3
		.amdhsa_float_denorm_mode_16_64 3
		.amdhsa_dx10_clamp 1
		.amdhsa_ieee_mode 1
		.amdhsa_fp16_overflow 0
		.amdhsa_tg_split 0
		.amdhsa_exception_fp_ieee_invalid_op 0
		.amdhsa_exception_fp_denorm_src 0
		.amdhsa_exception_fp_ieee_div_zero 0
		.amdhsa_exception_fp_ieee_overflow 0
		.amdhsa_exception_fp_ieee_underflow 0
		.amdhsa_exception_fp_ieee_inexact 0
		.amdhsa_exception_int_div_zero 0
	.end_amdhsa_kernel
	.section	.text._ZN4vllm25paged_attention_v2_kernelIfhLi32ELi32ELi128ELNS_18Fp8KVCacheDataTypeE1ELb1ELi512EEEvPfS2_PT_PKS3_PKT0_S9_ifPKiSB_iPKfiiiSD_SD_iiiii,"axG",@progbits,_ZN4vllm25paged_attention_v2_kernelIfhLi32ELi32ELi128ELNS_18Fp8KVCacheDataTypeE1ELb1ELi512EEEvPfS2_PT_PKS3_PKT0_S9_ifPKiSB_iPKfiiiSD_SD_iiiii,comdat
.Lfunc_end229:
	.size	_ZN4vllm25paged_attention_v2_kernelIfhLi32ELi32ELi128ELNS_18Fp8KVCacheDataTypeE1ELb1ELi512EEEvPfS2_PT_PKS3_PKT0_S9_ifPKiSB_iPKfiiiSD_SD_iiiii, .Lfunc_end229-_ZN4vllm25paged_attention_v2_kernelIfhLi32ELi32ELi128ELNS_18Fp8KVCacheDataTypeE1ELb1ELi512EEEvPfS2_PT_PKS3_PKT0_S9_ifPKiSB_iPKfiiiSD_SD_iiiii
                                        ; -- End function
	.section	.AMDGPU.csdata,"",@progbits
; Kernel info:
; codeLenInByte = 10880
; NumSgprs: 71
; NumVgprs: 78
; NumAgprs: 0
; TotalNumVgprs: 78
; ScratchSize: 0
; MemoryBound: 0
; FloatMode: 240
; IeeeMode: 1
; LDSByteSize: 144 bytes/workgroup (compile time only)
; SGPRBlocks: 8
; VGPRBlocks: 9
; NumSGPRsForWavesPerEU: 71
; NumVGPRsForWavesPerEU: 78
; AccumOffset: 80
; Occupancy: 6
; WaveLimiterHint : 1
; COMPUTE_PGM_RSRC2:SCRATCH_EN: 0
; COMPUTE_PGM_RSRC2:USER_SGPR: 6
; COMPUTE_PGM_RSRC2:TRAP_HANDLER: 0
; COMPUTE_PGM_RSRC2:TGID_X_EN: 1
; COMPUTE_PGM_RSRC2:TGID_Y_EN: 1
; COMPUTE_PGM_RSRC2:TGID_Z_EN: 1
; COMPUTE_PGM_RSRC2:TIDIG_COMP_CNT: 0
; COMPUTE_PGM_RSRC3_GFX90A:ACCUM_OFFSET: 19
; COMPUTE_PGM_RSRC3_GFX90A:TG_SPLIT: 0
	.section	.text._ZN4vllm25paged_attention_v2_kernelIfhLi64ELi32ELi128ELNS_18Fp8KVCacheDataTypeE1ELb1ELi512EEEvPfS2_PT_PKS3_PKT0_S9_ifPKiSB_iPKfiiiSD_SD_iiiii,"axG",@progbits,_ZN4vllm25paged_attention_v2_kernelIfhLi64ELi32ELi128ELNS_18Fp8KVCacheDataTypeE1ELb1ELi512EEEvPfS2_PT_PKS3_PKT0_S9_ifPKiSB_iPKfiiiSD_SD_iiiii,comdat
	.protected	_ZN4vllm25paged_attention_v2_kernelIfhLi64ELi32ELi128ELNS_18Fp8KVCacheDataTypeE1ELb1ELi512EEEvPfS2_PT_PKS3_PKT0_S9_ifPKiSB_iPKfiiiSD_SD_iiiii ; -- Begin function _ZN4vllm25paged_attention_v2_kernelIfhLi64ELi32ELi128ELNS_18Fp8KVCacheDataTypeE1ELb1ELi512EEEvPfS2_PT_PKS3_PKT0_S9_ifPKiSB_iPKfiiiSD_SD_iiiii
	.globl	_ZN4vllm25paged_attention_v2_kernelIfhLi64ELi32ELi128ELNS_18Fp8KVCacheDataTypeE1ELb1ELi512EEEvPfS2_PT_PKS3_PKT0_S9_ifPKiSB_iPKfiiiSD_SD_iiiii
	.p2align	8
	.type	_ZN4vllm25paged_attention_v2_kernelIfhLi64ELi32ELi128ELNS_18Fp8KVCacheDataTypeE1ELb1ELi512EEEvPfS2_PT_PKS3_PKT0_S9_ifPKiSB_iPKfiiiSD_SD_iiiii,@function
_ZN4vllm25paged_attention_v2_kernelIfhLi64ELi32ELi128ELNS_18Fp8KVCacheDataTypeE1ELb1ELi512EEEvPfS2_PT_PKS3_PKT0_S9_ifPKiSB_iPKfiiiSD_SD_iiiii: ; @_ZN4vllm25paged_attention_v2_kernelIfhLi64ELi32ELi128ELNS_18Fp8KVCacheDataTypeE1ELb1ELi512EEEvPfS2_PT_PKS3_PKT0_S9_ifPKiSB_iPKfiiiSD_SD_iiiii
; %bb.0:
	s_load_dwordx2 s[0:1], s[4:5], 0x40
	s_mov_b32 s34, s7
	s_ashr_i32 s35, s7, 31
	s_lshl_b64 s[2:3], s[34:35], 2
	s_waitcnt lgkmcnt(0)
	s_add_u32 s0, s0, s2
	s_addc_u32 s1, s1, s3
	s_load_dword s33, s[0:1], 0x0
	s_lshl_b32 s59, s8, 9
	s_waitcnt lgkmcnt(0)
	s_cmp_ge_i32 s59, s33
	s_cbranch_scc1 .LBB230_468
; %bb.1:
	s_load_dword s9, s[4:5], 0x90
	s_load_dwordx2 s[42:43], s[4:5], 0x30
	s_mov_b32 s60, 0
	s_waitcnt lgkmcnt(0)
	s_abs_i32 s2, s9
	s_abs_i32 s0, s42
	v_cvt_f32_u32_e32 v1, s0
	s_sub_i32 s3, 0, s0
	s_xor_b32 s1, s9, s42
	s_ashr_i32 s1, s1, 31
	v_rcp_iflag_f32_e32 v1, v1
	v_mul_f32_e32 v1, 0x4f7ffffe, v1
	v_cvt_u32_f32_e32 v1, v1
	v_readfirstlane_b32 s7, v1
	s_mul_i32 s3, s3, s7
	s_mul_hi_u32 s3, s7, s3
	s_add_i32 s7, s7, s3
	s_mul_hi_u32 s3, s2, s7
	s_mul_i32 s7, s3, s0
	s_sub_i32 s2, s2, s7
	s_add_i32 s10, s3, 1
	s_sub_i32 s7, s2, s0
	s_cmp_ge_u32 s2, s0
	s_cselect_b32 s3, s10, s3
	s_cselect_b32 s2, s7, s2
	s_add_i32 s7, s3, 1
	s_cmp_ge_u32 s2, s0
	s_cselect_b32 s0, s7, s3
	s_xor_b32 s0, s0, s1
	s_sub_i32 s11, s0, s1
	s_abs_i32 s2, s11
	v_cvt_f32_u32_e32 v1, s2
	s_load_dwordx2 s[0:1], s[4:5], 0x50
	s_sub_i32 s7, 0, s2
	s_abs_i32 s3, s6
	v_rcp_iflag_f32_e32 v1, v1
	v_mul_f32_e32 v1, 0x4f7ffffe, v1
	v_cvt_u32_f32_e32 v1, v1
	v_readfirstlane_b32 s10, v1
	s_mul_i32 s7, s7, s10
	s_mul_hi_u32 s7, s10, s7
	s_add_i32 s10, s10, s7
	s_waitcnt lgkmcnt(0)
	s_cmp_eq_u64 s[0:1], 0
	s_mul_hi_u32 s10, s3, s10
	s_cbranch_scc1 .LBB230_3
; %bb.2:
	s_ashr_i32 s7, s6, 31
	s_lshl_b64 s[12:13], s[6:7], 2
	s_add_u32 s0, s0, s12
	s_addc_u32 s1, s1, s13
	s_load_dword s60, s[0:1], 0x0
.LBB230_3:
	s_load_dwordx4 s[12:15], s[4:5], 0x58
	s_ashr_i32 s7, s6, 31
	s_ashr_i32 s11, s11, 31
	v_and_b32_e32 v2, 1, v0
	s_lshl_b32 s28, s6, 6
	v_cmp_gt_u32_e32 vcc, 32, v0
	v_lshlrev_b32_e32 v41, 2, v0
	s_and_saveexec_b64 s[0:1], vcc
	s_cbranch_execz .LBB230_5
; %bb.4:
	s_load_dwordx2 s[16:17], s[4:5], 0x18
	s_waitcnt lgkmcnt(0)
	s_mul_i32 s18, s34, s12
	s_ashr_i32 s19, s18, 31
	s_lshl_b64 s[18:19], s[18:19], 2
	v_lshlrev_b32_e32 v1, 3, v0
	s_add_u32 s12, s16, s18
	s_addc_u32 s15, s17, s19
	s_ashr_i32 s29, s28, 31
	s_lshl_b64 s[16:17], s[28:29], 2
	s_add_u32 s16, s12, s16
	s_addc_u32 s17, s15, s17
	global_load_dwordx2 v[4:5], v1, s[16:17]
	v_and_b32_e32 v1, 0xff8, v41
	v_lshl_add_u32 v1, v2, 7, v1
	s_waitcnt vmcnt(0)
	ds_write_b64 v1, v[4:5]
.LBB230_5:
	s_or_b64 exec, exec, s[0:1]
	s_mul_i32 s1, s10, s2
	s_sub_i32 s1, s3, s1
	s_xor_b32 s0, s7, s11
	s_add_i32 s3, s10, 1
	s_sub_i32 s7, s1, s2
	s_load_dwordx4 s[16:19], s[4:5], 0x78
	s_cmp_ge_u32 s1, s2
	s_cselect_b32 s3, s3, s10
	s_load_dword s10, s[4:5], 0x88
	s_cselect_b32 s1, s7, s1
	s_add_i32 s7, s3, 1
	s_cmp_ge_u32 s1, s2
	s_cselect_b32 s1, s7, s3
	s_waitcnt lgkmcnt(0)
	s_abs_i32 s35, s19
	v_cvt_f32_u32_e32 v1, s35
	s_xor_b32 s1, s1, s0
	s_sub_i32 s2, s1, s0
	s_sub_i32 s0, 0, s35
	v_rcp_iflag_f32_e32 v1, v1
	s_add_i32 s11, s33, -1
	s_abs_i32 s3, s11
	v_mul_f32_e32 v1, 0x4f7ffffe, v1
	v_cvt_u32_f32_e32 v1, v1
	s_barrier
	v_readfirstlane_b32 s56, v1
	s_mul_i32 s0, s0, s56
	s_mul_hi_u32 s0, s56, s0
	s_add_i32 s56, s56, s0
	s_cmp_lt_i32 s10, 0
	s_mul_hi_u32 s7, s3, s56
	s_cbranch_scc0 .LBB230_7
; %bb.6:
	s_mul_i32 s0, s16, s42
	s_add_i32 s0, s2, s0
	s_mul_i32 s0, s0, s10
	s_sub_i32 s42, 1, s0
	s_mov_b64 s[0:1], 0
	s_branch .LBB230_8
.LBB230_7:
	s_mov_b64 s[0:1], -1
                                        ; implicit-def: $sgpr42
.LBB230_8:
	s_load_dwordx2 s[36:37], s[4:5], 0x38
	s_ashr_i32 s11, s11, 31
	s_andn2_b64 vcc, exec, s[0:1]
	s_ashr_i32 s57, s19, 31
	s_cbranch_vccnz .LBB230_10
; %bb.9:
	s_mul_i32 s0, s9, s16
	s_add_i32 s0, s0, s6
	s_mul_i32 s0, s0, s10
	s_add_i32 s42, s0, 1
.LBB230_10:
	s_load_dwordx2 s[40:41], s[4:5], 0x28
	s_load_dword s0, s[4:5], 0x48
	s_load_dwordx4 s[24:27], s[4:5], 0x0
	s_load_dwordx2 s[30:31], s[4:5], 0x10
	s_load_dword s29, s[4:5], 0x98
	s_load_dwordx4 s[20:23], s[4:5], 0x68
	s_mul_i32 s1, s7, s35
	s_waitcnt lgkmcnt(0)
	s_mul_i32 s38, s34, s0
	s_sub_i32 s1, s3, s1
	s_ashr_i32 s39, s38, 31
	s_xor_b32 s0, s11, s57
	s_add_i32 s3, s7, 1
	s_sub_i32 s10, s1, s35
	s_cmp_ge_u32 s1, s35
	s_cselect_b32 s3, s3, s7
	s_cselect_b32 s1, s10, s1
	s_add_i32 s7, s3, 1
	s_cmp_ge_u32 s1, s35
	s_cselect_b32 s1, s7, s3
	s_xor_b32 s1, s1, s0
	s_sub_i32 s16, s1, s0
	s_add_i32 s0, s33, 31
	s_ashr_i32 s1, s0, 31
	s_lshr_b32 s1, s1, 27
	s_add_i32 s0, s0, s1
	s_lshl_b32 s61, s8, 4
	s_ashr_i32 s7, s0, 5
	s_add_i32 s0, s61, 16
	v_lshrrev_b32_e32 v109, 6, v0
	s_min_i32 s58, s0, s7
	v_or_b32_e32 v34, s61, v109
	v_cmp_gt_i32_e64 s[0:1], s58, v34
	v_mov_b32_e32 v114, 0xff7fffff
	s_mul_i32 s19, s2, s14
	v_ashrrev_i32_e32 v35, 31, v34
	v_lshl_add_u32 v1, v109, 5, s59
	v_mbcnt_lo_u32_b32 v110, -1, 0
	s_and_saveexec_b64 s[14:15], s[0:1]
	s_cbranch_execz .LBB230_212
; %bb.11:
	s_load_dwordx2 s[4:5], s[4:5], 0x20
	s_sub_i32 s62, s16, s17
	s_ashr_i32 s10, s19, 31
	v_bfe_u32 v111, v0, 1, 5
	v_cmp_eq_u32_e64 s[2:3], 0, v2
	s_waitcnt lgkmcnt(0)
	s_add_u32 s4, s4, s19
	s_addc_u32 s5, s5, s10
	s_abs_i32 s64, s18
	v_cvt_f32_u32_e32 v3, s64
	s_sub_i32 s10, 0, s64
	v_lshlrev_b32_e32 v4, 4, v111
	v_lshlrev_b32_e32 v40, 1, v2
	v_rcp_iflag_f32_e32 v3, v3
	v_lshlrev_b32_e32 v112, 7, v2
	v_mov_b32_e32 v5, s5
	v_add_co_u32_e32 v38, vcc, s4, v4
	v_mul_f32_e32 v3, 0x4f7ffffe, v3
	v_cvt_u32_f32_e32 v3, v3
	v_addc_co_u32_e32 v39, vcc, 0, v5, vcc
	s_mov_b32 s44, 0
	v_mul_lo_u32 v2, s10, v3
	v_mul_hi_u32 v2, v3, v2
	s_lshl_b64 s[10:11], s[38:39], 2
	v_add_u32_e32 v113, v3, v2
	v_lshlrev_b64 v[2:3], 2, v[34:35]
	s_add_u32 s10, s36, s10
	v_add_co_u32_e32 v42, vcc, s10, v2
	v_lshlrev_b32_e32 v2, 2, v111
	s_addc_u32 s11, s37, s11
	v_lshl_or_b32 v2, v109, 7, v2
	v_mov_b32_e32 v4, s11
	v_add_u32_e32 v116, 0x110, v2
	v_subrev_u32_e32 v2, s33, v111
	s_brev_b32 s45, 1
	s_mov_b32 s63, s13
	v_mov_b32_e32 v37, 0
	v_cmp_neq_f32_e64 s[4:5], s60, 0
	v_addc_co_u32_e32 v43, vcc, v4, v3, vcc
	v_lshl_add_u32 v115, v109, 5, s59
	v_add_u32_e32 v117, 1, v2
	s_mov_b64 s[46:47], 0
	v_mov_b32_e32 v118, 0xff7fffff
	s_movk_i32 s65, 0x80
	s_movk_i32 s66, 0x7f
	s_mov_b32 s49, 0x7f800001
	v_bfrev_b32_e32 v119, 60
	v_mov_b32_e32 v120, 7
	v_mbcnt_hi_u32_b32 v121, -1, v110
	v_mov_b32_e32 v114, 0xff7fffff
	v_mov_b32_e32 v122, v34
	s_branch .LBB230_14
.LBB230_12:                             ;   in Loop: Header=BB230_14 Depth=1
	s_or_b64 exec, exec, s[50:51]
.LBB230_13:                             ;   in Loop: Header=BB230_14 Depth=1
	s_or_b64 exec, exec, s[10:11]
	v_add_co_u32_e32 v42, vcc, 8, v42
	v_add_u32_e32 v122, 2, v122
	v_addc_co_u32_e32 v43, vcc, 0, v43, vcc
	v_cmp_le_i32_e32 vcc, s58, v122
	v_add_u32_e32 v115, 64, v115
	s_or_b64 s[46:47], vcc, s[46:47]
	v_add_u32_e32 v116, 0x100, v116
	s_andn2_b64 exec, exec, s[46:47]
	s_cbranch_execz .LBB230_211
.LBB230_14:                             ; =>This Inner Loop Header: Depth=1
	s_waitcnt lgkmcnt(0)
	v_sub_u32_e32 v3, 0, v115
	v_max_i32_e32 v3, v115, v3
	v_mul_hi_u32 v4, v3, s56
	v_mul_lo_u32 v5, v4, s35
	v_sub_u32_e32 v3, v3, v5
	v_add_u32_e32 v5, 1, v4
	v_cmp_le_u32_e32 vcc, s35, v3
	v_cndmask_b32_e32 v4, v4, v5, vcc
	v_subrev_u32_e32 v5, s35, v3
	v_cndmask_b32_e32 v3, v3, v5, vcc
	v_ashrrev_i32_e32 v2, 31, v115
	v_add_u32_e32 v5, 1, v4
	v_cmp_le_u32_e32 vcc, s35, v3
	v_xor_b32_e32 v2, s57, v2
	v_cndmask_b32_e32 v3, v4, v5, vcc
	v_xor_b32_e32 v3, v3, v2
	v_sub_u32_e32 v2, v3, v2
	v_add_u32_e32 v3, s42, v2
	v_sub_u32_e32 v5, 0, v3
	v_ashrrev_i32_e32 v4, 31, v3
	v_max_i32_e32 v3, v3, v5
	v_mul_hi_u32 v5, v3, v113
	v_mul_lo_u32 v5, v5, s64
	v_sub_u32_e32 v3, v3, v5
	v_subrev_u32_e32 v5, s64, v3
	v_cmp_le_u32_e32 vcc, s64, v3
	v_cndmask_b32_e32 v3, v3, v5, vcc
	v_subrev_u32_e32 v5, s64, v3
	v_cmp_le_u32_e32 vcc, s64, v3
	v_cndmask_b32_e32 v3, v3, v5, vcc
	v_xor_b32_e32 v3, v3, v4
	v_sub_u32_e32 v3, v3, v4
	v_cmp_ne_u32_e32 vcc, 0, v3
	v_cmp_ge_i32_e64 s[10:11], s62, v2
	s_and_b64 s[10:11], vcc, s[10:11]
	s_and_b64 s[52:53], s[2:3], s[10:11]
	s_and_saveexec_b64 s[50:51], s[52:53]
	s_cbranch_execz .LBB230_16
; %bb.15:                               ;   in Loop: Header=BB230_14 Depth=1
	ds_write_b32 v116, v118
.LBB230_16:                             ;   in Loop: Header=BB230_14 Depth=1
	s_or_b64 exec, exec, s[50:51]
	s_xor_b64 s[50:51], s[10:11], -1
	s_and_saveexec_b64 s[10:11], s[50:51]
	s_cbranch_execz .LBB230_13
; %bb.17:                               ;   in Loop: Header=BB230_14 Depth=1
	global_load_dword v2, v[42:43], off
	v_pk_mov_b32 v[44:45], 0, 0
	v_pk_mov_b32 v[46:47], v[44:45], v[44:45] op_sel:[0,1]
	s_waitcnt vmcnt(0)
	v_mad_i64_i32 v[2:3], s[50:51], v2, s63, v[38:39]
	v_add_co_u32_e32 v56, vcc, v2, v40
	v_addc_co_u32_e32 v57, vcc, 0, v3, vcc
	global_load_ushort v36, v[56:57], off
	ds_read_b128 v[30:33], v112
	ds_read_b128 v[26:29], v112 offset:16
	ds_read_b128 v[22:25], v112 offset:32
	;; [unrolled: 1-line block ×7, first 2 shown]
	s_load_dword s12, s[20:21], 0x0
	s_waitcnt vmcnt(0)
	v_and_b32_e32 v48, 0xffff, v36
	v_cmp_ne_u16_sdwa s[52:53], v36, v37 src0_sel:BYTE_0 src1_sel:DWORD
	s_and_saveexec_b64 s[50:51], s[52:53]
	s_cbranch_execz .LBB230_23
; %bb.18:                               ;   in Loop: Header=BB230_14 Depth=1
	v_bfrev_b32_e32 v46, 1
	v_cmp_ne_u16_sdwa s[54:55], v48, s65 src0_sel:BYTE_0 src1_sel:DWORD
	v_mov_b32_e32 v47, 0
	s_and_saveexec_b64 s[52:53], s[54:55]
	s_cbranch_execz .LBB230_22
; %bb.19:                               ;   in Loop: Header=BB230_14 Depth=1
	v_and_b32_e32 v36, 0x7f, v48
	v_mov_b32_e32 v46, 0x7f800001
	v_cmp_ne_u32_e32 vcc, s66, v36
	v_mov_b32_e32 v47, 0
	s_and_saveexec_b64 s[54:55], vcc
	s_cbranch_execz .LBB230_21
; %bb.20:                               ;   in Loop: Header=BB230_14 Depth=1
	v_and_b32_e32 v49, 7, v48
	v_ffbh_u32_e32 v46, v49
	v_min_u32_e32 v51, 32, v46
	v_subrev_u32_e32 v46, 28, v51
	v_lshlrev_b64 v[46:47], v46, v[48:49]
	v_lshrrev_b32_e32 v50, 3, v36
	v_sub_u32_e32 v47, 29, v51
	v_and_b32_e32 v46, 7, v46
	v_cmp_gt_u32_e32 vcc, 8, v36
	v_cndmask_b32_e32 v36, v50, v47, vcc
	v_cndmask_b32_e32 v46, v49, v46, vcc
	v_lshlrev_b32_e32 v46, 20, v46
	v_and_b32_sdwa v47, sext(v48), s45 dst_sel:DWORD dst_unused:UNUSED_PAD src0_sel:BYTE_0 src1_sel:DWORD
	v_lshl_add_u32 v36, v36, 23, v119
	v_or3_b32 v36, v47, v36, v46
	v_pk_mov_b32 v[46:47], v[36:37], v[36:37] op_sel:[0,1]
.LBB230_21:                             ;   in Loop: Header=BB230_14 Depth=1
	s_or_b64 exec, exec, s[54:55]
.LBB230_22:                             ;   in Loop: Header=BB230_14 Depth=1
	s_or_b64 exec, exec, s[52:53]
.LBB230_23:                             ;   in Loop: Header=BB230_14 Depth=1
	s_or_b64 exec, exec, s[50:51]
	v_cmp_ne_u16_sdwa s[52:53], v48, v37 src0_sel:BYTE_1 src1_sel:DWORD
	s_and_saveexec_b64 s[50:51], s[52:53]
	s_cbranch_execz .LBB230_29
; %bb.24:                               ;   in Loop: Header=BB230_14 Depth=1
	v_cmp_ne_u16_sdwa s[54:55], v48, s65 src0_sel:BYTE_1 src1_sel:DWORD
	v_pk_mov_b32 v[44:45], s[44:45], s[44:45] op_sel:[0,1]
	s_and_saveexec_b64 s[52:53], s[54:55]
	s_cbranch_execz .LBB230_28
; %bb.25:                               ;   in Loop: Header=BB230_14 Depth=1
	v_and_b32_sdwa v49, v48, s66 dst_sel:DWORD dst_unused:UNUSED_PAD src0_sel:BYTE_1 src1_sel:DWORD
	s_mov_b32 s48, s44
	v_cmp_ne_u32_e32 vcc, s66, v49
	v_pk_mov_b32 v[44:45], s[48:49], s[48:49] op_sel:[0,1]
	s_and_saveexec_b64 s[54:55], vcc
	s_cbranch_execz .LBB230_27
; %bb.26:                               ;   in Loop: Header=BB230_14 Depth=1
	v_and_b32_sdwa v36, v48, v120 dst_sel:DWORD dst_unused:UNUSED_PAD src0_sel:BYTE_1 src1_sel:DWORD
	v_ffbh_u32_e32 v44, v36
	v_min_u32_e32 v51, 32, v44
	v_subrev_u32_e32 v44, 28, v51
	v_lshlrev_b64 v[44:45], v44, v[36:37]
	v_lshrrev_b32_e32 v50, 3, v49
	v_sub_u32_e32 v45, 29, v51
	v_cmp_gt_u32_e32 vcc, 8, v49
	v_and_b32_e32 v44, 7, v44
	v_cndmask_b32_e32 v45, v50, v45, vcc
	v_cndmask_b32_e32 v36, v36, v44, vcc
	v_lshlrev_b32_e32 v44, 16, v48
	v_lshl_add_u32 v45, v45, 23, v119
	v_and_or_b32 v44, v44, s45, v45
	v_lshlrev_b32_e32 v36, 20, v36
	v_or_b32_e32 v45, v44, v36
	v_mov_b32_e32 v44, v37
.LBB230_27:                             ;   in Loop: Header=BB230_14 Depth=1
	s_or_b64 exec, exec, s[54:55]
.LBB230_28:                             ;   in Loop: Header=BB230_14 Depth=1
	s_or_b64 exec, exec, s[52:53]
.LBB230_29:                             ;   in Loop: Header=BB230_14 Depth=1
	s_or_b64 exec, exec, s[50:51]
	global_load_ushort v36, v[56:57], off offset:4
	v_pk_mov_b32 v[48:49], 0, 0
	v_pk_mov_b32 v[50:51], v[48:49], v[48:49] op_sel:[0,1]
	s_waitcnt vmcnt(0)
	v_and_b32_e32 v52, 0xffff, v36
	v_cmp_ne_u16_sdwa s[52:53], v36, v37 src0_sel:BYTE_0 src1_sel:DWORD
	s_and_saveexec_b64 s[50:51], s[52:53]
	s_cbranch_execz .LBB230_35
; %bb.30:                               ;   in Loop: Header=BB230_14 Depth=1
	v_bfrev_b32_e32 v50, 1
	v_cmp_ne_u16_sdwa s[54:55], v52, s65 src0_sel:BYTE_0 src1_sel:DWORD
	v_mov_b32_e32 v51, 0
	s_and_saveexec_b64 s[52:53], s[54:55]
	s_cbranch_execz .LBB230_34
; %bb.31:                               ;   in Loop: Header=BB230_14 Depth=1
	v_and_b32_e32 v36, 0x7f, v52
	v_mov_b32_e32 v50, 0x7f800001
	v_cmp_ne_u32_e32 vcc, s66, v36
	v_mov_b32_e32 v51, 0
	s_and_saveexec_b64 s[54:55], vcc
	s_cbranch_execz .LBB230_33
; %bb.32:                               ;   in Loop: Header=BB230_14 Depth=1
	v_and_b32_e32 v53, 7, v52
	v_ffbh_u32_e32 v50, v53
	v_min_u32_e32 v55, 32, v50
	v_subrev_u32_e32 v50, 28, v55
	v_lshlrev_b64 v[50:51], v50, v[52:53]
	v_lshrrev_b32_e32 v54, 3, v36
	v_sub_u32_e32 v51, 29, v55
	v_and_b32_e32 v50, 7, v50
	v_cmp_gt_u32_e32 vcc, 8, v36
	v_cndmask_b32_e32 v36, v54, v51, vcc
	v_cndmask_b32_e32 v50, v53, v50, vcc
	v_lshlrev_b32_e32 v50, 20, v50
	v_and_b32_sdwa v51, sext(v52), s45 dst_sel:DWORD dst_unused:UNUSED_PAD src0_sel:BYTE_0 src1_sel:DWORD
	v_lshl_add_u32 v36, v36, 23, v119
	v_or3_b32 v36, v51, v36, v50
	v_pk_mov_b32 v[50:51], v[36:37], v[36:37] op_sel:[0,1]
.LBB230_33:                             ;   in Loop: Header=BB230_14 Depth=1
	s_or_b64 exec, exec, s[54:55]
.LBB230_34:                             ;   in Loop: Header=BB230_14 Depth=1
	s_or_b64 exec, exec, s[52:53]
.LBB230_35:                             ;   in Loop: Header=BB230_14 Depth=1
	s_or_b64 exec, exec, s[50:51]
	v_cmp_ne_u16_sdwa s[52:53], v52, v37 src0_sel:BYTE_1 src1_sel:DWORD
	s_and_saveexec_b64 s[50:51], s[52:53]
	s_cbranch_execz .LBB230_41
; %bb.36:                               ;   in Loop: Header=BB230_14 Depth=1
	v_cmp_ne_u16_sdwa s[54:55], v52, s65 src0_sel:BYTE_1 src1_sel:DWORD
	v_pk_mov_b32 v[48:49], s[44:45], s[44:45] op_sel:[0,1]
	s_and_saveexec_b64 s[52:53], s[54:55]
	s_cbranch_execz .LBB230_40
; %bb.37:                               ;   in Loop: Header=BB230_14 Depth=1
	v_and_b32_sdwa v53, v52, s66 dst_sel:DWORD dst_unused:UNUSED_PAD src0_sel:BYTE_1 src1_sel:DWORD
	s_mov_b32 s48, s44
	v_cmp_ne_u32_e32 vcc, s66, v53
	v_pk_mov_b32 v[48:49], s[48:49], s[48:49] op_sel:[0,1]
	s_and_saveexec_b64 s[54:55], vcc
	s_cbranch_execz .LBB230_39
; %bb.38:                               ;   in Loop: Header=BB230_14 Depth=1
	v_and_b32_sdwa v36, v52, v120 dst_sel:DWORD dst_unused:UNUSED_PAD src0_sel:BYTE_1 src1_sel:DWORD
	v_ffbh_u32_e32 v48, v36
	v_min_u32_e32 v55, 32, v48
	v_subrev_u32_e32 v48, 28, v55
	v_lshlrev_b64 v[48:49], v48, v[36:37]
	v_lshrrev_b32_e32 v54, 3, v53
	v_sub_u32_e32 v49, 29, v55
	v_cmp_gt_u32_e32 vcc, 8, v53
	v_and_b32_e32 v48, 7, v48
	v_cndmask_b32_e32 v49, v54, v49, vcc
	v_cndmask_b32_e32 v36, v36, v48, vcc
	v_lshlrev_b32_e32 v48, 16, v52
	v_lshl_add_u32 v49, v49, 23, v119
	v_and_or_b32 v48, v48, s45, v49
	v_lshlrev_b32_e32 v36, 20, v36
	v_or_b32_e32 v49, v48, v36
	v_mov_b32_e32 v48, v37
.LBB230_39:                             ;   in Loop: Header=BB230_14 Depth=1
	s_or_b64 exec, exec, s[54:55]
.LBB230_40:                             ;   in Loop: Header=BB230_14 Depth=1
	s_or_b64 exec, exec, s[52:53]
.LBB230_41:                             ;   in Loop: Header=BB230_14 Depth=1
	s_or_b64 exec, exec, s[50:51]
	global_load_ushort v36, v[56:57], off offset:8
	v_pk_mov_b32 v[52:53], 0, 0
	v_pk_mov_b32 v[54:55], v[52:53], v[52:53] op_sel:[0,1]
	s_waitcnt vmcnt(0)
	v_and_b32_e32 v58, 0xffff, v36
	v_cmp_ne_u16_sdwa s[52:53], v36, v37 src0_sel:BYTE_0 src1_sel:DWORD
	s_and_saveexec_b64 s[50:51], s[52:53]
	s_cbranch_execz .LBB230_47
; %bb.42:                               ;   in Loop: Header=BB230_14 Depth=1
	v_bfrev_b32_e32 v54, 1
	v_cmp_ne_u16_sdwa s[54:55], v58, s65 src0_sel:BYTE_0 src1_sel:DWORD
	v_mov_b32_e32 v55, 0
	s_and_saveexec_b64 s[52:53], s[54:55]
	s_cbranch_execz .LBB230_46
; %bb.43:                               ;   in Loop: Header=BB230_14 Depth=1
	v_and_b32_e32 v36, 0x7f, v58
	v_mov_b32_e32 v54, 0x7f800001
	v_cmp_ne_u32_e32 vcc, s66, v36
	v_mov_b32_e32 v55, 0
	s_and_saveexec_b64 s[54:55], vcc
	s_cbranch_execz .LBB230_45
; %bb.44:                               ;   in Loop: Header=BB230_14 Depth=1
	v_and_b32_e32 v59, 7, v58
	v_ffbh_u32_e32 v54, v59
	v_min_u32_e32 v61, 32, v54
	v_subrev_u32_e32 v54, 28, v61
	v_lshlrev_b64 v[54:55], v54, v[58:59]
	v_lshrrev_b32_e32 v60, 3, v36
	v_sub_u32_e32 v55, 29, v61
	v_and_b32_e32 v54, 7, v54
	v_cmp_gt_u32_e32 vcc, 8, v36
	v_cndmask_b32_e32 v36, v60, v55, vcc
	v_cndmask_b32_e32 v54, v59, v54, vcc
	v_lshlrev_b32_e32 v54, 20, v54
	v_and_b32_sdwa v55, sext(v58), s45 dst_sel:DWORD dst_unused:UNUSED_PAD src0_sel:BYTE_0 src1_sel:DWORD
	v_lshl_add_u32 v36, v36, 23, v119
	v_or3_b32 v36, v55, v36, v54
	v_pk_mov_b32 v[54:55], v[36:37], v[36:37] op_sel:[0,1]
.LBB230_45:                             ;   in Loop: Header=BB230_14 Depth=1
	s_or_b64 exec, exec, s[54:55]
.LBB230_46:                             ;   in Loop: Header=BB230_14 Depth=1
	s_or_b64 exec, exec, s[52:53]
.LBB230_47:                             ;   in Loop: Header=BB230_14 Depth=1
	s_or_b64 exec, exec, s[50:51]
	v_cmp_ne_u16_sdwa s[52:53], v58, v37 src0_sel:BYTE_1 src1_sel:DWORD
	s_and_saveexec_b64 s[50:51], s[52:53]
	s_cbranch_execz .LBB230_53
; %bb.48:                               ;   in Loop: Header=BB230_14 Depth=1
	v_cmp_ne_u16_sdwa s[54:55], v58, s65 src0_sel:BYTE_1 src1_sel:DWORD
	v_pk_mov_b32 v[52:53], s[44:45], s[44:45] op_sel:[0,1]
	s_and_saveexec_b64 s[52:53], s[54:55]
	s_cbranch_execz .LBB230_52
; %bb.49:                               ;   in Loop: Header=BB230_14 Depth=1
	v_and_b32_sdwa v59, v58, s66 dst_sel:DWORD dst_unused:UNUSED_PAD src0_sel:BYTE_1 src1_sel:DWORD
	s_mov_b32 s48, s44
	v_cmp_ne_u32_e32 vcc, s66, v59
	v_pk_mov_b32 v[52:53], s[48:49], s[48:49] op_sel:[0,1]
	s_and_saveexec_b64 s[54:55], vcc
	s_cbranch_execz .LBB230_51
; %bb.50:                               ;   in Loop: Header=BB230_14 Depth=1
	v_and_b32_sdwa v36, v58, v120 dst_sel:DWORD dst_unused:UNUSED_PAD src0_sel:BYTE_1 src1_sel:DWORD
	v_ffbh_u32_e32 v52, v36
	v_min_u32_e32 v61, 32, v52
	v_subrev_u32_e32 v52, 28, v61
	v_lshlrev_b64 v[52:53], v52, v[36:37]
	v_lshrrev_b32_e32 v60, 3, v59
	v_sub_u32_e32 v53, 29, v61
	v_cmp_gt_u32_e32 vcc, 8, v59
	v_and_b32_e32 v52, 7, v52
	v_cndmask_b32_e32 v53, v60, v53, vcc
	v_cndmask_b32_e32 v36, v36, v52, vcc
	v_lshlrev_b32_e32 v52, 16, v58
	v_lshl_add_u32 v53, v53, 23, v119
	v_and_or_b32 v52, v52, s45, v53
	v_lshlrev_b32_e32 v36, 20, v36
	v_or_b32_e32 v53, v52, v36
	v_mov_b32_e32 v52, v37
.LBB230_51:                             ;   in Loop: Header=BB230_14 Depth=1
	s_or_b64 exec, exec, s[54:55]
.LBB230_52:                             ;   in Loop: Header=BB230_14 Depth=1
	s_or_b64 exec, exec, s[52:53]
.LBB230_53:                             ;   in Loop: Header=BB230_14 Depth=1
	s_or_b64 exec, exec, s[50:51]
	global_load_ushort v36, v[56:57], off offset:12
	v_pk_mov_b32 v[58:59], 0, 0
	v_pk_mov_b32 v[60:61], v[58:59], v[58:59] op_sel:[0,1]
	s_waitcnt vmcnt(0)
	v_and_b32_e32 v62, 0xffff, v36
	v_cmp_ne_u16_sdwa s[52:53], v36, v37 src0_sel:BYTE_0 src1_sel:DWORD
	s_and_saveexec_b64 s[50:51], s[52:53]
	s_cbranch_execz .LBB230_59
; %bb.54:                               ;   in Loop: Header=BB230_14 Depth=1
	v_bfrev_b32_e32 v60, 1
	v_cmp_ne_u16_sdwa s[54:55], v62, s65 src0_sel:BYTE_0 src1_sel:DWORD
	v_mov_b32_e32 v61, 0
	s_and_saveexec_b64 s[52:53], s[54:55]
	s_cbranch_execz .LBB230_58
; %bb.55:                               ;   in Loop: Header=BB230_14 Depth=1
	v_and_b32_e32 v36, 0x7f, v62
	v_mov_b32_e32 v60, 0x7f800001
	v_cmp_ne_u32_e32 vcc, s66, v36
	v_mov_b32_e32 v61, 0
	s_and_saveexec_b64 s[54:55], vcc
	s_cbranch_execz .LBB230_57
; %bb.56:                               ;   in Loop: Header=BB230_14 Depth=1
	v_and_b32_e32 v63, 7, v62
	v_ffbh_u32_e32 v60, v63
	v_min_u32_e32 v65, 32, v60
	v_subrev_u32_e32 v60, 28, v65
	v_lshlrev_b64 v[60:61], v60, v[62:63]
	v_lshrrev_b32_e32 v64, 3, v36
	v_sub_u32_e32 v61, 29, v65
	v_and_b32_e32 v60, 7, v60
	v_cmp_gt_u32_e32 vcc, 8, v36
	v_cndmask_b32_e32 v36, v64, v61, vcc
	v_cndmask_b32_e32 v60, v63, v60, vcc
	v_lshlrev_b32_e32 v60, 20, v60
	v_and_b32_sdwa v61, sext(v62), s45 dst_sel:DWORD dst_unused:UNUSED_PAD src0_sel:BYTE_0 src1_sel:DWORD
	v_lshl_add_u32 v36, v36, 23, v119
	v_or3_b32 v36, v61, v36, v60
	v_pk_mov_b32 v[60:61], v[36:37], v[36:37] op_sel:[0,1]
.LBB230_57:                             ;   in Loop: Header=BB230_14 Depth=1
	s_or_b64 exec, exec, s[54:55]
.LBB230_58:                             ;   in Loop: Header=BB230_14 Depth=1
	s_or_b64 exec, exec, s[52:53]
.LBB230_59:                             ;   in Loop: Header=BB230_14 Depth=1
	s_or_b64 exec, exec, s[50:51]
	v_cmp_ne_u16_sdwa s[52:53], v62, v37 src0_sel:BYTE_1 src1_sel:DWORD
	s_and_saveexec_b64 s[50:51], s[52:53]
	s_cbranch_execz .LBB230_65
; %bb.60:                               ;   in Loop: Header=BB230_14 Depth=1
	v_cmp_ne_u16_sdwa s[54:55], v62, s65 src0_sel:BYTE_1 src1_sel:DWORD
	v_pk_mov_b32 v[58:59], s[44:45], s[44:45] op_sel:[0,1]
	s_and_saveexec_b64 s[52:53], s[54:55]
	s_cbranch_execz .LBB230_64
; %bb.61:                               ;   in Loop: Header=BB230_14 Depth=1
	v_and_b32_sdwa v63, v62, s66 dst_sel:DWORD dst_unused:UNUSED_PAD src0_sel:BYTE_1 src1_sel:DWORD
	s_mov_b32 s48, s44
	v_cmp_ne_u32_e32 vcc, s66, v63
	v_pk_mov_b32 v[58:59], s[48:49], s[48:49] op_sel:[0,1]
	s_and_saveexec_b64 s[54:55], vcc
	s_cbranch_execz .LBB230_63
; %bb.62:                               ;   in Loop: Header=BB230_14 Depth=1
	v_and_b32_sdwa v36, v62, v120 dst_sel:DWORD dst_unused:UNUSED_PAD src0_sel:BYTE_1 src1_sel:DWORD
	v_ffbh_u32_e32 v58, v36
	v_min_u32_e32 v65, 32, v58
	v_subrev_u32_e32 v58, 28, v65
	v_lshlrev_b64 v[58:59], v58, v[36:37]
	v_lshrrev_b32_e32 v64, 3, v63
	v_sub_u32_e32 v59, 29, v65
	v_cmp_gt_u32_e32 vcc, 8, v63
	v_and_b32_e32 v58, 7, v58
	v_cndmask_b32_e32 v59, v64, v59, vcc
	v_cndmask_b32_e32 v36, v36, v58, vcc
	v_lshlrev_b32_e32 v58, 16, v62
	v_lshl_add_u32 v59, v59, 23, v119
	v_and_or_b32 v58, v58, s45, v59
	v_lshlrev_b32_e32 v36, 20, v36
	v_or_b32_e32 v59, v58, v36
	v_mov_b32_e32 v58, v37
.LBB230_63:                             ;   in Loop: Header=BB230_14 Depth=1
	s_or_b64 exec, exec, s[54:55]
.LBB230_64:                             ;   in Loop: Header=BB230_14 Depth=1
	s_or_b64 exec, exec, s[52:53]
.LBB230_65:                             ;   in Loop: Header=BB230_14 Depth=1
	s_or_b64 exec, exec, s[50:51]
	global_load_ushort v36, v[56:57], off offset:512
	v_pk_mov_b32 v[62:63], 0, 0
	v_pk_mov_b32 v[64:65], v[62:63], v[62:63] op_sel:[0,1]
	s_waitcnt vmcnt(0)
	v_and_b32_e32 v66, 0xffff, v36
	v_cmp_ne_u16_sdwa s[52:53], v36, v37 src0_sel:BYTE_0 src1_sel:DWORD
	s_and_saveexec_b64 s[50:51], s[52:53]
	s_cbranch_execz .LBB230_71
; %bb.66:                               ;   in Loop: Header=BB230_14 Depth=1
	v_bfrev_b32_e32 v64, 1
	v_cmp_ne_u16_sdwa s[54:55], v66, s65 src0_sel:BYTE_0 src1_sel:DWORD
	v_mov_b32_e32 v65, 0
	s_and_saveexec_b64 s[52:53], s[54:55]
	s_cbranch_execz .LBB230_70
; %bb.67:                               ;   in Loop: Header=BB230_14 Depth=1
	v_and_b32_e32 v36, 0x7f, v66
	v_mov_b32_e32 v64, 0x7f800001
	v_cmp_ne_u32_e32 vcc, s66, v36
	v_mov_b32_e32 v65, 0
	s_and_saveexec_b64 s[54:55], vcc
	s_cbranch_execz .LBB230_69
; %bb.68:                               ;   in Loop: Header=BB230_14 Depth=1
	v_and_b32_e32 v67, 7, v66
	v_ffbh_u32_e32 v64, v67
	v_min_u32_e32 v69, 32, v64
	v_subrev_u32_e32 v64, 28, v69
	v_lshlrev_b64 v[64:65], v64, v[66:67]
	v_lshrrev_b32_e32 v68, 3, v36
	v_sub_u32_e32 v65, 29, v69
	v_and_b32_e32 v64, 7, v64
	v_cmp_gt_u32_e32 vcc, 8, v36
	v_cndmask_b32_e32 v36, v68, v65, vcc
	v_cndmask_b32_e32 v64, v67, v64, vcc
	v_lshlrev_b32_e32 v64, 20, v64
	v_and_b32_sdwa v65, sext(v66), s45 dst_sel:DWORD dst_unused:UNUSED_PAD src0_sel:BYTE_0 src1_sel:DWORD
	v_lshl_add_u32 v36, v36, 23, v119
	v_or3_b32 v36, v65, v36, v64
	v_pk_mov_b32 v[64:65], v[36:37], v[36:37] op_sel:[0,1]
.LBB230_69:                             ;   in Loop: Header=BB230_14 Depth=1
	s_or_b64 exec, exec, s[54:55]
.LBB230_70:                             ;   in Loop: Header=BB230_14 Depth=1
	s_or_b64 exec, exec, s[52:53]
.LBB230_71:                             ;   in Loop: Header=BB230_14 Depth=1
	s_or_b64 exec, exec, s[50:51]
	v_cmp_ne_u16_sdwa s[52:53], v66, v37 src0_sel:BYTE_1 src1_sel:DWORD
	s_and_saveexec_b64 s[50:51], s[52:53]
	s_cbranch_execz .LBB230_77
; %bb.72:                               ;   in Loop: Header=BB230_14 Depth=1
	v_cmp_ne_u16_sdwa s[54:55], v66, s65 src0_sel:BYTE_1 src1_sel:DWORD
	v_pk_mov_b32 v[62:63], s[44:45], s[44:45] op_sel:[0,1]
	s_and_saveexec_b64 s[52:53], s[54:55]
	s_cbranch_execz .LBB230_76
; %bb.73:                               ;   in Loop: Header=BB230_14 Depth=1
	v_and_b32_sdwa v67, v66, s66 dst_sel:DWORD dst_unused:UNUSED_PAD src0_sel:BYTE_1 src1_sel:DWORD
	s_mov_b32 s48, s44
	v_cmp_ne_u32_e32 vcc, s66, v67
	v_pk_mov_b32 v[62:63], s[48:49], s[48:49] op_sel:[0,1]
	s_and_saveexec_b64 s[54:55], vcc
	s_cbranch_execz .LBB230_75
; %bb.74:                               ;   in Loop: Header=BB230_14 Depth=1
	v_and_b32_sdwa v36, v66, v120 dst_sel:DWORD dst_unused:UNUSED_PAD src0_sel:BYTE_1 src1_sel:DWORD
	v_ffbh_u32_e32 v62, v36
	v_min_u32_e32 v69, 32, v62
	v_subrev_u32_e32 v62, 28, v69
	v_lshlrev_b64 v[62:63], v62, v[36:37]
	v_lshrrev_b32_e32 v68, 3, v67
	v_sub_u32_e32 v63, 29, v69
	v_cmp_gt_u32_e32 vcc, 8, v67
	v_and_b32_e32 v62, 7, v62
	v_cndmask_b32_e32 v63, v68, v63, vcc
	v_cndmask_b32_e32 v36, v36, v62, vcc
	v_lshlrev_b32_e32 v62, 16, v66
	v_lshl_add_u32 v63, v63, 23, v119
	v_and_or_b32 v62, v62, s45, v63
	v_lshlrev_b32_e32 v36, 20, v36
	v_or_b32_e32 v63, v62, v36
	v_mov_b32_e32 v62, v37
.LBB230_75:                             ;   in Loop: Header=BB230_14 Depth=1
	s_or_b64 exec, exec, s[54:55]
.LBB230_76:                             ;   in Loop: Header=BB230_14 Depth=1
	s_or_b64 exec, exec, s[52:53]
.LBB230_77:                             ;   in Loop: Header=BB230_14 Depth=1
	s_or_b64 exec, exec, s[50:51]
	global_load_ushort v36, v[56:57], off offset:516
	v_pk_mov_b32 v[66:67], 0, 0
	v_pk_mov_b32 v[68:69], v[66:67], v[66:67] op_sel:[0,1]
	s_waitcnt vmcnt(0)
	v_and_b32_e32 v70, 0xffff, v36
	v_cmp_ne_u16_sdwa s[52:53], v36, v37 src0_sel:BYTE_0 src1_sel:DWORD
	s_and_saveexec_b64 s[50:51], s[52:53]
	s_cbranch_execz .LBB230_83
; %bb.78:                               ;   in Loop: Header=BB230_14 Depth=1
	v_bfrev_b32_e32 v68, 1
	v_cmp_ne_u16_sdwa s[54:55], v70, s65 src0_sel:BYTE_0 src1_sel:DWORD
	v_mov_b32_e32 v69, 0
	s_and_saveexec_b64 s[52:53], s[54:55]
	s_cbranch_execz .LBB230_82
; %bb.79:                               ;   in Loop: Header=BB230_14 Depth=1
	v_and_b32_e32 v36, 0x7f, v70
	v_mov_b32_e32 v68, 0x7f800001
	v_cmp_ne_u32_e32 vcc, s66, v36
	v_mov_b32_e32 v69, 0
	s_and_saveexec_b64 s[54:55], vcc
	s_cbranch_execz .LBB230_81
; %bb.80:                               ;   in Loop: Header=BB230_14 Depth=1
	v_and_b32_e32 v71, 7, v70
	v_ffbh_u32_e32 v68, v71
	v_min_u32_e32 v73, 32, v68
	v_subrev_u32_e32 v68, 28, v73
	v_lshlrev_b64 v[68:69], v68, v[70:71]
	v_lshrrev_b32_e32 v72, 3, v36
	v_sub_u32_e32 v69, 29, v73
	v_and_b32_e32 v68, 7, v68
	v_cmp_gt_u32_e32 vcc, 8, v36
	v_cndmask_b32_e32 v36, v72, v69, vcc
	v_cndmask_b32_e32 v68, v71, v68, vcc
	v_lshlrev_b32_e32 v68, 20, v68
	v_and_b32_sdwa v69, sext(v70), s45 dst_sel:DWORD dst_unused:UNUSED_PAD src0_sel:BYTE_0 src1_sel:DWORD
	v_lshl_add_u32 v36, v36, 23, v119
	v_or3_b32 v36, v69, v36, v68
	v_pk_mov_b32 v[68:69], v[36:37], v[36:37] op_sel:[0,1]
.LBB230_81:                             ;   in Loop: Header=BB230_14 Depth=1
	s_or_b64 exec, exec, s[54:55]
.LBB230_82:                             ;   in Loop: Header=BB230_14 Depth=1
	s_or_b64 exec, exec, s[52:53]
.LBB230_83:                             ;   in Loop: Header=BB230_14 Depth=1
	s_or_b64 exec, exec, s[50:51]
	v_cmp_ne_u16_sdwa s[52:53], v70, v37 src0_sel:BYTE_1 src1_sel:DWORD
	s_and_saveexec_b64 s[50:51], s[52:53]
	s_cbranch_execz .LBB230_89
; %bb.84:                               ;   in Loop: Header=BB230_14 Depth=1
	v_cmp_ne_u16_sdwa s[54:55], v70, s65 src0_sel:BYTE_1 src1_sel:DWORD
	v_pk_mov_b32 v[66:67], s[44:45], s[44:45] op_sel:[0,1]
	s_and_saveexec_b64 s[52:53], s[54:55]
	s_cbranch_execz .LBB230_88
; %bb.85:                               ;   in Loop: Header=BB230_14 Depth=1
	v_and_b32_sdwa v71, v70, s66 dst_sel:DWORD dst_unused:UNUSED_PAD src0_sel:BYTE_1 src1_sel:DWORD
	s_mov_b32 s48, s44
	v_cmp_ne_u32_e32 vcc, s66, v71
	v_pk_mov_b32 v[66:67], s[48:49], s[48:49] op_sel:[0,1]
	s_and_saveexec_b64 s[54:55], vcc
	s_cbranch_execz .LBB230_87
; %bb.86:                               ;   in Loop: Header=BB230_14 Depth=1
	v_and_b32_sdwa v36, v70, v120 dst_sel:DWORD dst_unused:UNUSED_PAD src0_sel:BYTE_1 src1_sel:DWORD
	v_ffbh_u32_e32 v66, v36
	v_min_u32_e32 v73, 32, v66
	v_subrev_u32_e32 v66, 28, v73
	v_lshlrev_b64 v[66:67], v66, v[36:37]
	v_lshrrev_b32_e32 v72, 3, v71
	v_sub_u32_e32 v67, 29, v73
	v_cmp_gt_u32_e32 vcc, 8, v71
	v_and_b32_e32 v66, 7, v66
	v_cndmask_b32_e32 v67, v72, v67, vcc
	v_cndmask_b32_e32 v36, v36, v66, vcc
	v_lshlrev_b32_e32 v66, 16, v70
	v_lshl_add_u32 v67, v67, 23, v119
	v_and_or_b32 v66, v66, s45, v67
	v_lshlrev_b32_e32 v36, 20, v36
	v_or_b32_e32 v67, v66, v36
	v_mov_b32_e32 v66, v37
.LBB230_87:                             ;   in Loop: Header=BB230_14 Depth=1
	s_or_b64 exec, exec, s[54:55]
.LBB230_88:                             ;   in Loop: Header=BB230_14 Depth=1
	s_or_b64 exec, exec, s[52:53]
.LBB230_89:                             ;   in Loop: Header=BB230_14 Depth=1
	s_or_b64 exec, exec, s[50:51]
	v_add_co_u32_e32 v74, vcc, 0x200, v56
	v_addc_co_u32_e32 v75, vcc, 0, v57, vcc
	global_load_ushort v36, v[74:75], off offset:8
	v_pk_mov_b32 v[70:71], 0, 0
	v_pk_mov_b32 v[72:73], v[70:71], v[70:71] op_sel:[0,1]
	s_waitcnt vmcnt(0)
	v_and_b32_e32 v76, 0xffff, v36
	v_cmp_ne_u16_sdwa s[52:53], v36, v37 src0_sel:BYTE_0 src1_sel:DWORD
	s_and_saveexec_b64 s[50:51], s[52:53]
	s_cbranch_execz .LBB230_95
; %bb.90:                               ;   in Loop: Header=BB230_14 Depth=1
	v_bfrev_b32_e32 v72, 1
	v_cmp_ne_u16_sdwa s[54:55], v76, s65 src0_sel:BYTE_0 src1_sel:DWORD
	v_mov_b32_e32 v73, 0
	s_and_saveexec_b64 s[52:53], s[54:55]
	s_cbranch_execz .LBB230_94
; %bb.91:                               ;   in Loop: Header=BB230_14 Depth=1
	v_and_b32_e32 v36, 0x7f, v76
	v_mov_b32_e32 v72, 0x7f800001
	v_cmp_ne_u32_e32 vcc, s66, v36
	v_mov_b32_e32 v73, 0
	s_and_saveexec_b64 s[54:55], vcc
	s_cbranch_execz .LBB230_93
; %bb.92:                               ;   in Loop: Header=BB230_14 Depth=1
	v_and_b32_e32 v77, 7, v76
	v_ffbh_u32_e32 v72, v77
	v_min_u32_e32 v79, 32, v72
	v_subrev_u32_e32 v72, 28, v79
	v_lshlrev_b64 v[72:73], v72, v[76:77]
	v_lshrrev_b32_e32 v78, 3, v36
	v_sub_u32_e32 v73, 29, v79
	v_and_b32_e32 v72, 7, v72
	v_cmp_gt_u32_e32 vcc, 8, v36
	v_cndmask_b32_e32 v36, v78, v73, vcc
	v_cndmask_b32_e32 v72, v77, v72, vcc
	v_lshlrev_b32_e32 v72, 20, v72
	v_and_b32_sdwa v73, sext(v76), s45 dst_sel:DWORD dst_unused:UNUSED_PAD src0_sel:BYTE_0 src1_sel:DWORD
	v_lshl_add_u32 v36, v36, 23, v119
	v_or3_b32 v36, v73, v36, v72
	v_pk_mov_b32 v[72:73], v[36:37], v[36:37] op_sel:[0,1]
.LBB230_93:                             ;   in Loop: Header=BB230_14 Depth=1
	s_or_b64 exec, exec, s[54:55]
.LBB230_94:                             ;   in Loop: Header=BB230_14 Depth=1
	s_or_b64 exec, exec, s[52:53]
.LBB230_95:                             ;   in Loop: Header=BB230_14 Depth=1
	s_or_b64 exec, exec, s[50:51]
	v_cmp_ne_u16_sdwa s[52:53], v76, v37 src0_sel:BYTE_1 src1_sel:DWORD
	s_and_saveexec_b64 s[50:51], s[52:53]
	s_cbranch_execz .LBB230_101
; %bb.96:                               ;   in Loop: Header=BB230_14 Depth=1
	v_cmp_ne_u16_sdwa s[54:55], v76, s65 src0_sel:BYTE_1 src1_sel:DWORD
	v_pk_mov_b32 v[70:71], s[44:45], s[44:45] op_sel:[0,1]
	s_and_saveexec_b64 s[52:53], s[54:55]
	s_cbranch_execz .LBB230_100
; %bb.97:                               ;   in Loop: Header=BB230_14 Depth=1
	v_and_b32_sdwa v77, v76, s66 dst_sel:DWORD dst_unused:UNUSED_PAD src0_sel:BYTE_1 src1_sel:DWORD
	s_mov_b32 s48, s44
	v_cmp_ne_u32_e32 vcc, s66, v77
	v_pk_mov_b32 v[70:71], s[48:49], s[48:49] op_sel:[0,1]
	s_and_saveexec_b64 s[54:55], vcc
	s_cbranch_execz .LBB230_99
; %bb.98:                               ;   in Loop: Header=BB230_14 Depth=1
	v_and_b32_sdwa v36, v76, v120 dst_sel:DWORD dst_unused:UNUSED_PAD src0_sel:BYTE_1 src1_sel:DWORD
	v_ffbh_u32_e32 v70, v36
	v_min_u32_e32 v79, 32, v70
	v_subrev_u32_e32 v70, 28, v79
	v_lshlrev_b64 v[70:71], v70, v[36:37]
	v_lshrrev_b32_e32 v78, 3, v77
	v_sub_u32_e32 v71, 29, v79
	v_cmp_gt_u32_e32 vcc, 8, v77
	v_and_b32_e32 v70, 7, v70
	v_cndmask_b32_e32 v71, v78, v71, vcc
	v_cndmask_b32_e32 v36, v36, v70, vcc
	v_lshlrev_b32_e32 v70, 16, v76
	v_lshl_add_u32 v71, v71, 23, v119
	v_and_or_b32 v70, v70, s45, v71
	v_lshlrev_b32_e32 v36, 20, v36
	v_or_b32_e32 v71, v70, v36
	v_mov_b32_e32 v70, v37
.LBB230_99:                             ;   in Loop: Header=BB230_14 Depth=1
	s_or_b64 exec, exec, s[54:55]
.LBB230_100:                            ;   in Loop: Header=BB230_14 Depth=1
	s_or_b64 exec, exec, s[52:53]
.LBB230_101:                            ;   in Loop: Header=BB230_14 Depth=1
	s_or_b64 exec, exec, s[50:51]
	global_load_ushort v36, v[74:75], off offset:12
	v_pk_mov_b32 v[74:75], 0, 0
	v_pk_mov_b32 v[76:77], v[74:75], v[74:75] op_sel:[0,1]
	s_waitcnt vmcnt(0)
	v_and_b32_e32 v78, 0xffff, v36
	v_cmp_ne_u16_sdwa s[52:53], v36, v37 src0_sel:BYTE_0 src1_sel:DWORD
	s_and_saveexec_b64 s[50:51], s[52:53]
	s_cbranch_execz .LBB230_107
; %bb.102:                              ;   in Loop: Header=BB230_14 Depth=1
	v_bfrev_b32_e32 v76, 1
	v_cmp_ne_u16_sdwa s[54:55], v78, s65 src0_sel:BYTE_0 src1_sel:DWORD
	v_mov_b32_e32 v77, 0
	s_and_saveexec_b64 s[52:53], s[54:55]
	s_cbranch_execz .LBB230_106
; %bb.103:                              ;   in Loop: Header=BB230_14 Depth=1
	v_and_b32_e32 v36, 0x7f, v78
	v_mov_b32_e32 v76, 0x7f800001
	v_cmp_ne_u32_e32 vcc, s66, v36
	v_mov_b32_e32 v77, 0
	s_and_saveexec_b64 s[54:55], vcc
	s_cbranch_execz .LBB230_105
; %bb.104:                              ;   in Loop: Header=BB230_14 Depth=1
	v_and_b32_e32 v79, 7, v78
	v_ffbh_u32_e32 v76, v79
	v_min_u32_e32 v81, 32, v76
	v_subrev_u32_e32 v76, 28, v81
	v_lshlrev_b64 v[76:77], v76, v[78:79]
	v_lshrrev_b32_e32 v80, 3, v36
	v_sub_u32_e32 v77, 29, v81
	v_and_b32_e32 v76, 7, v76
	v_cmp_gt_u32_e32 vcc, 8, v36
	v_cndmask_b32_e32 v36, v80, v77, vcc
	v_cndmask_b32_e32 v76, v79, v76, vcc
	v_lshlrev_b32_e32 v76, 20, v76
	v_and_b32_sdwa v77, sext(v78), s45 dst_sel:DWORD dst_unused:UNUSED_PAD src0_sel:BYTE_0 src1_sel:DWORD
	v_lshl_add_u32 v36, v36, 23, v119
	v_or3_b32 v36, v77, v36, v76
	v_pk_mov_b32 v[76:77], v[36:37], v[36:37] op_sel:[0,1]
.LBB230_105:                            ;   in Loop: Header=BB230_14 Depth=1
	s_or_b64 exec, exec, s[54:55]
.LBB230_106:                            ;   in Loop: Header=BB230_14 Depth=1
	s_or_b64 exec, exec, s[52:53]
.LBB230_107:                            ;   in Loop: Header=BB230_14 Depth=1
	s_or_b64 exec, exec, s[50:51]
	v_cmp_ne_u16_sdwa s[52:53], v78, v37 src0_sel:BYTE_1 src1_sel:DWORD
	s_and_saveexec_b64 s[50:51], s[52:53]
	s_cbranch_execz .LBB230_113
; %bb.108:                              ;   in Loop: Header=BB230_14 Depth=1
	v_cmp_ne_u16_sdwa s[54:55], v78, s65 src0_sel:BYTE_1 src1_sel:DWORD
	v_pk_mov_b32 v[74:75], s[44:45], s[44:45] op_sel:[0,1]
	s_and_saveexec_b64 s[52:53], s[54:55]
	s_cbranch_execz .LBB230_112
; %bb.109:                              ;   in Loop: Header=BB230_14 Depth=1
	v_and_b32_sdwa v79, v78, s66 dst_sel:DWORD dst_unused:UNUSED_PAD src0_sel:BYTE_1 src1_sel:DWORD
	s_mov_b32 s48, s44
	v_cmp_ne_u32_e32 vcc, s66, v79
	v_pk_mov_b32 v[74:75], s[48:49], s[48:49] op_sel:[0,1]
	s_and_saveexec_b64 s[54:55], vcc
	s_cbranch_execz .LBB230_111
; %bb.110:                              ;   in Loop: Header=BB230_14 Depth=1
	v_and_b32_sdwa v36, v78, v120 dst_sel:DWORD dst_unused:UNUSED_PAD src0_sel:BYTE_1 src1_sel:DWORD
	v_ffbh_u32_e32 v74, v36
	v_min_u32_e32 v81, 32, v74
	v_subrev_u32_e32 v74, 28, v81
	v_lshlrev_b64 v[74:75], v74, v[36:37]
	v_lshrrev_b32_e32 v80, 3, v79
	v_sub_u32_e32 v75, 29, v81
	v_cmp_gt_u32_e32 vcc, 8, v79
	v_and_b32_e32 v74, 7, v74
	v_cndmask_b32_e32 v75, v80, v75, vcc
	v_cndmask_b32_e32 v36, v36, v74, vcc
	v_lshlrev_b32_e32 v74, 16, v78
	v_lshl_add_u32 v75, v75, 23, v119
	v_and_or_b32 v74, v74, s45, v75
	v_lshlrev_b32_e32 v36, 20, v36
	v_or_b32_e32 v75, v74, v36
	v_mov_b32_e32 v74, v37
.LBB230_111:                            ;   in Loop: Header=BB230_14 Depth=1
	s_or_b64 exec, exec, s[54:55]
.LBB230_112:                            ;   in Loop: Header=BB230_14 Depth=1
	s_or_b64 exec, exec, s[52:53]
.LBB230_113:                            ;   in Loop: Header=BB230_14 Depth=1
	s_or_b64 exec, exec, s[50:51]
	global_load_ushort v36, v[56:57], off offset:1024
	v_pk_mov_b32 v[78:79], 0, 0
	v_pk_mov_b32 v[80:81], v[78:79], v[78:79] op_sel:[0,1]
	s_waitcnt vmcnt(0)
	v_and_b32_e32 v82, 0xffff, v36
	v_cmp_ne_u16_sdwa s[52:53], v36, v37 src0_sel:BYTE_0 src1_sel:DWORD
	s_and_saveexec_b64 s[50:51], s[52:53]
	s_cbranch_execz .LBB230_119
; %bb.114:                              ;   in Loop: Header=BB230_14 Depth=1
	v_bfrev_b32_e32 v80, 1
	v_cmp_ne_u16_sdwa s[54:55], v82, s65 src0_sel:BYTE_0 src1_sel:DWORD
	v_mov_b32_e32 v81, 0
	s_and_saveexec_b64 s[52:53], s[54:55]
	s_cbranch_execz .LBB230_118
; %bb.115:                              ;   in Loop: Header=BB230_14 Depth=1
	v_and_b32_e32 v36, 0x7f, v82
	v_mov_b32_e32 v80, 0x7f800001
	v_cmp_ne_u32_e32 vcc, s66, v36
	v_mov_b32_e32 v81, 0
	s_and_saveexec_b64 s[54:55], vcc
	s_cbranch_execz .LBB230_117
; %bb.116:                              ;   in Loop: Header=BB230_14 Depth=1
	v_and_b32_e32 v83, 7, v82
	v_ffbh_u32_e32 v80, v83
	v_min_u32_e32 v85, 32, v80
	v_subrev_u32_e32 v80, 28, v85
	v_lshlrev_b64 v[80:81], v80, v[82:83]
	v_lshrrev_b32_e32 v84, 3, v36
	v_sub_u32_e32 v81, 29, v85
	v_and_b32_e32 v80, 7, v80
	v_cmp_gt_u32_e32 vcc, 8, v36
	v_cndmask_b32_e32 v36, v84, v81, vcc
	v_cndmask_b32_e32 v80, v83, v80, vcc
	v_lshlrev_b32_e32 v80, 20, v80
	v_and_b32_sdwa v81, sext(v82), s45 dst_sel:DWORD dst_unused:UNUSED_PAD src0_sel:BYTE_0 src1_sel:DWORD
	v_lshl_add_u32 v36, v36, 23, v119
	v_or3_b32 v36, v81, v36, v80
	v_pk_mov_b32 v[80:81], v[36:37], v[36:37] op_sel:[0,1]
.LBB230_117:                            ;   in Loop: Header=BB230_14 Depth=1
	s_or_b64 exec, exec, s[54:55]
.LBB230_118:                            ;   in Loop: Header=BB230_14 Depth=1
	s_or_b64 exec, exec, s[52:53]
.LBB230_119:                            ;   in Loop: Header=BB230_14 Depth=1
	s_or_b64 exec, exec, s[50:51]
	v_cmp_ne_u16_sdwa s[52:53], v82, v37 src0_sel:BYTE_1 src1_sel:DWORD
	s_and_saveexec_b64 s[50:51], s[52:53]
	s_cbranch_execz .LBB230_125
; %bb.120:                              ;   in Loop: Header=BB230_14 Depth=1
	v_cmp_ne_u16_sdwa s[54:55], v82, s65 src0_sel:BYTE_1 src1_sel:DWORD
	v_pk_mov_b32 v[78:79], s[44:45], s[44:45] op_sel:[0,1]
	s_and_saveexec_b64 s[52:53], s[54:55]
	s_cbranch_execz .LBB230_124
; %bb.121:                              ;   in Loop: Header=BB230_14 Depth=1
	v_and_b32_sdwa v83, v82, s66 dst_sel:DWORD dst_unused:UNUSED_PAD src0_sel:BYTE_1 src1_sel:DWORD
	s_mov_b32 s48, s44
	v_cmp_ne_u32_e32 vcc, s66, v83
	v_pk_mov_b32 v[78:79], s[48:49], s[48:49] op_sel:[0,1]
	s_and_saveexec_b64 s[54:55], vcc
	s_cbranch_execz .LBB230_123
; %bb.122:                              ;   in Loop: Header=BB230_14 Depth=1
	v_and_b32_sdwa v36, v82, v120 dst_sel:DWORD dst_unused:UNUSED_PAD src0_sel:BYTE_1 src1_sel:DWORD
	v_ffbh_u32_e32 v78, v36
	v_min_u32_e32 v85, 32, v78
	v_subrev_u32_e32 v78, 28, v85
	v_lshlrev_b64 v[78:79], v78, v[36:37]
	v_lshrrev_b32_e32 v84, 3, v83
	v_sub_u32_e32 v79, 29, v85
	v_cmp_gt_u32_e32 vcc, 8, v83
	v_and_b32_e32 v78, 7, v78
	v_cndmask_b32_e32 v79, v84, v79, vcc
	v_cndmask_b32_e32 v36, v36, v78, vcc
	v_lshlrev_b32_e32 v78, 16, v82
	v_lshl_add_u32 v79, v79, 23, v119
	v_and_or_b32 v78, v78, s45, v79
	v_lshlrev_b32_e32 v36, 20, v36
	v_or_b32_e32 v79, v78, v36
	v_mov_b32_e32 v78, v37
.LBB230_123:                            ;   in Loop: Header=BB230_14 Depth=1
	s_or_b64 exec, exec, s[54:55]
.LBB230_124:                            ;   in Loop: Header=BB230_14 Depth=1
	s_or_b64 exec, exec, s[52:53]
.LBB230_125:                            ;   in Loop: Header=BB230_14 Depth=1
	s_or_b64 exec, exec, s[50:51]
	global_load_ushort v36, v[56:57], off offset:1028
	v_pk_mov_b32 v[82:83], 0, 0
	v_pk_mov_b32 v[84:85], v[82:83], v[82:83] op_sel:[0,1]
	s_waitcnt vmcnt(0)
	v_and_b32_e32 v86, 0xffff, v36
	v_cmp_ne_u16_sdwa s[52:53], v36, v37 src0_sel:BYTE_0 src1_sel:DWORD
	s_and_saveexec_b64 s[50:51], s[52:53]
	s_cbranch_execz .LBB230_131
; %bb.126:                              ;   in Loop: Header=BB230_14 Depth=1
	v_bfrev_b32_e32 v84, 1
	v_cmp_ne_u16_sdwa s[54:55], v86, s65 src0_sel:BYTE_0 src1_sel:DWORD
	v_mov_b32_e32 v85, 0
	s_and_saveexec_b64 s[52:53], s[54:55]
	s_cbranch_execz .LBB230_130
; %bb.127:                              ;   in Loop: Header=BB230_14 Depth=1
	v_and_b32_e32 v36, 0x7f, v86
	v_mov_b32_e32 v84, 0x7f800001
	v_cmp_ne_u32_e32 vcc, s66, v36
	v_mov_b32_e32 v85, 0
	s_and_saveexec_b64 s[54:55], vcc
	s_cbranch_execz .LBB230_129
; %bb.128:                              ;   in Loop: Header=BB230_14 Depth=1
	v_and_b32_e32 v87, 7, v86
	v_ffbh_u32_e32 v84, v87
	v_min_u32_e32 v89, 32, v84
	v_subrev_u32_e32 v84, 28, v89
	v_lshlrev_b64 v[84:85], v84, v[86:87]
	v_lshrrev_b32_e32 v88, 3, v36
	v_sub_u32_e32 v85, 29, v89
	v_and_b32_e32 v84, 7, v84
	v_cmp_gt_u32_e32 vcc, 8, v36
	v_cndmask_b32_e32 v36, v88, v85, vcc
	v_cndmask_b32_e32 v84, v87, v84, vcc
	v_lshlrev_b32_e32 v84, 20, v84
	v_and_b32_sdwa v85, sext(v86), s45 dst_sel:DWORD dst_unused:UNUSED_PAD src0_sel:BYTE_0 src1_sel:DWORD
	v_lshl_add_u32 v36, v36, 23, v119
	v_or3_b32 v36, v85, v36, v84
	v_pk_mov_b32 v[84:85], v[36:37], v[36:37] op_sel:[0,1]
.LBB230_129:                            ;   in Loop: Header=BB230_14 Depth=1
	s_or_b64 exec, exec, s[54:55]
.LBB230_130:                            ;   in Loop: Header=BB230_14 Depth=1
	s_or_b64 exec, exec, s[52:53]
.LBB230_131:                            ;   in Loop: Header=BB230_14 Depth=1
	s_or_b64 exec, exec, s[50:51]
	v_cmp_ne_u16_sdwa s[52:53], v86, v37 src0_sel:BYTE_1 src1_sel:DWORD
	s_and_saveexec_b64 s[50:51], s[52:53]
	s_cbranch_execz .LBB230_137
; %bb.132:                              ;   in Loop: Header=BB230_14 Depth=1
	v_cmp_ne_u16_sdwa s[54:55], v86, s65 src0_sel:BYTE_1 src1_sel:DWORD
	v_pk_mov_b32 v[82:83], s[44:45], s[44:45] op_sel:[0,1]
	s_and_saveexec_b64 s[52:53], s[54:55]
	s_cbranch_execz .LBB230_136
; %bb.133:                              ;   in Loop: Header=BB230_14 Depth=1
	v_and_b32_sdwa v87, v86, s66 dst_sel:DWORD dst_unused:UNUSED_PAD src0_sel:BYTE_1 src1_sel:DWORD
	s_mov_b32 s48, s44
	v_cmp_ne_u32_e32 vcc, s66, v87
	v_pk_mov_b32 v[82:83], s[48:49], s[48:49] op_sel:[0,1]
	s_and_saveexec_b64 s[54:55], vcc
	s_cbranch_execz .LBB230_135
; %bb.134:                              ;   in Loop: Header=BB230_14 Depth=1
	v_and_b32_sdwa v36, v86, v120 dst_sel:DWORD dst_unused:UNUSED_PAD src0_sel:BYTE_1 src1_sel:DWORD
	v_ffbh_u32_e32 v82, v36
	v_min_u32_e32 v89, 32, v82
	v_subrev_u32_e32 v82, 28, v89
	v_lshlrev_b64 v[82:83], v82, v[36:37]
	v_lshrrev_b32_e32 v88, 3, v87
	v_sub_u32_e32 v83, 29, v89
	v_cmp_gt_u32_e32 vcc, 8, v87
	v_and_b32_e32 v82, 7, v82
	v_cndmask_b32_e32 v83, v88, v83, vcc
	v_cndmask_b32_e32 v36, v36, v82, vcc
	v_lshlrev_b32_e32 v82, 16, v86
	v_lshl_add_u32 v83, v83, 23, v119
	v_and_or_b32 v82, v82, s45, v83
	v_lshlrev_b32_e32 v36, 20, v36
	v_or_b32_e32 v83, v82, v36
	v_mov_b32_e32 v82, v37
.LBB230_135:                            ;   in Loop: Header=BB230_14 Depth=1
	s_or_b64 exec, exec, s[54:55]
.LBB230_136:                            ;   in Loop: Header=BB230_14 Depth=1
	s_or_b64 exec, exec, s[52:53]
.LBB230_137:                            ;   in Loop: Header=BB230_14 Depth=1
	s_or_b64 exec, exec, s[50:51]
	v_add_co_u32_e32 v90, vcc, 0x400, v56
	v_addc_co_u32_e32 v91, vcc, 0, v57, vcc
	global_load_ushort v36, v[90:91], off offset:8
	v_pk_mov_b32 v[86:87], 0, 0
	v_pk_mov_b32 v[88:89], v[86:87], v[86:87] op_sel:[0,1]
	s_waitcnt vmcnt(0)
	v_and_b32_e32 v92, 0xffff, v36
	v_cmp_ne_u16_sdwa s[52:53], v36, v37 src0_sel:BYTE_0 src1_sel:DWORD
	s_and_saveexec_b64 s[50:51], s[52:53]
	s_cbranch_execz .LBB230_143
; %bb.138:                              ;   in Loop: Header=BB230_14 Depth=1
	v_bfrev_b32_e32 v88, 1
	v_cmp_ne_u16_sdwa s[54:55], v92, s65 src0_sel:BYTE_0 src1_sel:DWORD
	v_mov_b32_e32 v89, 0
	s_and_saveexec_b64 s[52:53], s[54:55]
	s_cbranch_execz .LBB230_142
; %bb.139:                              ;   in Loop: Header=BB230_14 Depth=1
	v_and_b32_e32 v36, 0x7f, v92
	v_mov_b32_e32 v88, 0x7f800001
	v_cmp_ne_u32_e32 vcc, s66, v36
	v_mov_b32_e32 v89, 0
	s_and_saveexec_b64 s[54:55], vcc
	s_cbranch_execz .LBB230_141
; %bb.140:                              ;   in Loop: Header=BB230_14 Depth=1
	v_and_b32_e32 v93, 7, v92
	v_ffbh_u32_e32 v88, v93
	v_min_u32_e32 v95, 32, v88
	v_subrev_u32_e32 v88, 28, v95
	v_lshlrev_b64 v[88:89], v88, v[92:93]
	v_lshrrev_b32_e32 v94, 3, v36
	v_sub_u32_e32 v89, 29, v95
	v_and_b32_e32 v88, 7, v88
	v_cmp_gt_u32_e32 vcc, 8, v36
	v_cndmask_b32_e32 v36, v94, v89, vcc
	v_cndmask_b32_e32 v88, v93, v88, vcc
	v_lshlrev_b32_e32 v88, 20, v88
	v_and_b32_sdwa v89, sext(v92), s45 dst_sel:DWORD dst_unused:UNUSED_PAD src0_sel:BYTE_0 src1_sel:DWORD
	v_lshl_add_u32 v36, v36, 23, v119
	v_or3_b32 v36, v89, v36, v88
	v_pk_mov_b32 v[88:89], v[36:37], v[36:37] op_sel:[0,1]
.LBB230_141:                            ;   in Loop: Header=BB230_14 Depth=1
	s_or_b64 exec, exec, s[54:55]
.LBB230_142:                            ;   in Loop: Header=BB230_14 Depth=1
	s_or_b64 exec, exec, s[52:53]
.LBB230_143:                            ;   in Loop: Header=BB230_14 Depth=1
	s_or_b64 exec, exec, s[50:51]
	v_cmp_ne_u16_sdwa s[52:53], v92, v37 src0_sel:BYTE_1 src1_sel:DWORD
	s_and_saveexec_b64 s[50:51], s[52:53]
	s_cbranch_execz .LBB230_149
; %bb.144:                              ;   in Loop: Header=BB230_14 Depth=1
	v_cmp_ne_u16_sdwa s[54:55], v92, s65 src0_sel:BYTE_1 src1_sel:DWORD
	v_pk_mov_b32 v[86:87], s[44:45], s[44:45] op_sel:[0,1]
	s_and_saveexec_b64 s[52:53], s[54:55]
	s_cbranch_execz .LBB230_148
; %bb.145:                              ;   in Loop: Header=BB230_14 Depth=1
	v_and_b32_sdwa v93, v92, s66 dst_sel:DWORD dst_unused:UNUSED_PAD src0_sel:BYTE_1 src1_sel:DWORD
	s_mov_b32 s48, s44
	v_cmp_ne_u32_e32 vcc, s66, v93
	v_pk_mov_b32 v[86:87], s[48:49], s[48:49] op_sel:[0,1]
	s_and_saveexec_b64 s[54:55], vcc
	s_cbranch_execz .LBB230_147
; %bb.146:                              ;   in Loop: Header=BB230_14 Depth=1
	v_and_b32_sdwa v36, v92, v120 dst_sel:DWORD dst_unused:UNUSED_PAD src0_sel:BYTE_1 src1_sel:DWORD
	v_ffbh_u32_e32 v86, v36
	v_min_u32_e32 v95, 32, v86
	v_subrev_u32_e32 v86, 28, v95
	v_lshlrev_b64 v[86:87], v86, v[36:37]
	v_lshrrev_b32_e32 v94, 3, v93
	v_sub_u32_e32 v87, 29, v95
	v_cmp_gt_u32_e32 vcc, 8, v93
	v_and_b32_e32 v86, 7, v86
	v_cndmask_b32_e32 v87, v94, v87, vcc
	v_cndmask_b32_e32 v36, v36, v86, vcc
	v_lshlrev_b32_e32 v86, 16, v92
	v_lshl_add_u32 v87, v87, 23, v119
	v_and_or_b32 v86, v86, s45, v87
	v_lshlrev_b32_e32 v36, 20, v36
	v_or_b32_e32 v87, v86, v36
	v_mov_b32_e32 v86, v37
.LBB230_147:                            ;   in Loop: Header=BB230_14 Depth=1
	s_or_b64 exec, exec, s[54:55]
.LBB230_148:                            ;   in Loop: Header=BB230_14 Depth=1
	s_or_b64 exec, exec, s[52:53]
.LBB230_149:                            ;   in Loop: Header=BB230_14 Depth=1
	s_or_b64 exec, exec, s[50:51]
	global_load_ushort v36, v[90:91], off offset:12
	v_pk_mov_b32 v[90:91], 0, 0
	v_pk_mov_b32 v[92:93], v[90:91], v[90:91] op_sel:[0,1]
	s_waitcnt vmcnt(0)
	v_and_b32_e32 v94, 0xffff, v36
	v_cmp_ne_u16_sdwa s[52:53], v36, v37 src0_sel:BYTE_0 src1_sel:DWORD
	s_and_saveexec_b64 s[50:51], s[52:53]
	s_cbranch_execz .LBB230_155
; %bb.150:                              ;   in Loop: Header=BB230_14 Depth=1
	v_bfrev_b32_e32 v92, 1
	v_cmp_ne_u16_sdwa s[54:55], v94, s65 src0_sel:BYTE_0 src1_sel:DWORD
	v_mov_b32_e32 v93, 0
	s_and_saveexec_b64 s[52:53], s[54:55]
	s_cbranch_execz .LBB230_154
; %bb.151:                              ;   in Loop: Header=BB230_14 Depth=1
	v_and_b32_e32 v36, 0x7f, v94
	v_mov_b32_e32 v92, 0x7f800001
	v_cmp_ne_u32_e32 vcc, s66, v36
	v_mov_b32_e32 v93, 0
	s_and_saveexec_b64 s[54:55], vcc
	s_cbranch_execz .LBB230_153
; %bb.152:                              ;   in Loop: Header=BB230_14 Depth=1
	v_and_b32_e32 v95, 7, v94
	v_ffbh_u32_e32 v92, v95
	v_min_u32_e32 v97, 32, v92
	v_subrev_u32_e32 v92, 28, v97
	v_lshlrev_b64 v[92:93], v92, v[94:95]
	v_lshrrev_b32_e32 v96, 3, v36
	v_sub_u32_e32 v93, 29, v97
	v_and_b32_e32 v92, 7, v92
	v_cmp_gt_u32_e32 vcc, 8, v36
	v_cndmask_b32_e32 v36, v96, v93, vcc
	v_cndmask_b32_e32 v92, v95, v92, vcc
	v_lshlrev_b32_e32 v92, 20, v92
	v_and_b32_sdwa v93, sext(v94), s45 dst_sel:DWORD dst_unused:UNUSED_PAD src0_sel:BYTE_0 src1_sel:DWORD
	v_lshl_add_u32 v36, v36, 23, v119
	v_or3_b32 v36, v93, v36, v92
	v_pk_mov_b32 v[92:93], v[36:37], v[36:37] op_sel:[0,1]
.LBB230_153:                            ;   in Loop: Header=BB230_14 Depth=1
	s_or_b64 exec, exec, s[54:55]
.LBB230_154:                            ;   in Loop: Header=BB230_14 Depth=1
	s_or_b64 exec, exec, s[52:53]
.LBB230_155:                            ;   in Loop: Header=BB230_14 Depth=1
	s_or_b64 exec, exec, s[50:51]
	v_cmp_ne_u16_sdwa s[52:53], v94, v37 src0_sel:BYTE_1 src1_sel:DWORD
	s_and_saveexec_b64 s[50:51], s[52:53]
	s_cbranch_execz .LBB230_161
; %bb.156:                              ;   in Loop: Header=BB230_14 Depth=1
	v_cmp_ne_u16_sdwa s[54:55], v94, s65 src0_sel:BYTE_1 src1_sel:DWORD
	v_pk_mov_b32 v[90:91], s[44:45], s[44:45] op_sel:[0,1]
	s_and_saveexec_b64 s[52:53], s[54:55]
	s_cbranch_execz .LBB230_160
; %bb.157:                              ;   in Loop: Header=BB230_14 Depth=1
	v_and_b32_sdwa v95, v94, s66 dst_sel:DWORD dst_unused:UNUSED_PAD src0_sel:BYTE_1 src1_sel:DWORD
	s_mov_b32 s48, s44
	v_cmp_ne_u32_e32 vcc, s66, v95
	v_pk_mov_b32 v[90:91], s[48:49], s[48:49] op_sel:[0,1]
	s_and_saveexec_b64 s[54:55], vcc
	s_cbranch_execz .LBB230_159
; %bb.158:                              ;   in Loop: Header=BB230_14 Depth=1
	v_and_b32_sdwa v36, v94, v120 dst_sel:DWORD dst_unused:UNUSED_PAD src0_sel:BYTE_1 src1_sel:DWORD
	v_ffbh_u32_e32 v90, v36
	v_min_u32_e32 v97, 32, v90
	v_subrev_u32_e32 v90, 28, v97
	v_lshlrev_b64 v[90:91], v90, v[36:37]
	v_lshrrev_b32_e32 v96, 3, v95
	v_sub_u32_e32 v91, 29, v97
	v_cmp_gt_u32_e32 vcc, 8, v95
	v_and_b32_e32 v90, 7, v90
	v_cndmask_b32_e32 v91, v96, v91, vcc
	v_cndmask_b32_e32 v36, v36, v90, vcc
	v_lshlrev_b32_e32 v90, 16, v94
	v_lshl_add_u32 v91, v91, 23, v119
	v_and_or_b32 v90, v90, s45, v91
	v_lshlrev_b32_e32 v36, 20, v36
	v_or_b32_e32 v91, v90, v36
	v_mov_b32_e32 v90, v37
.LBB230_159:                            ;   in Loop: Header=BB230_14 Depth=1
	s_or_b64 exec, exec, s[54:55]
.LBB230_160:                            ;   in Loop: Header=BB230_14 Depth=1
	s_or_b64 exec, exec, s[52:53]
.LBB230_161:                            ;   in Loop: Header=BB230_14 Depth=1
	s_or_b64 exec, exec, s[50:51]
	global_load_ushort v36, v[56:57], off offset:1536
	v_pk_mov_b32 v[94:95], 0, 0
	v_pk_mov_b32 v[96:97], v[94:95], v[94:95] op_sel:[0,1]
	s_waitcnt vmcnt(0)
	v_and_b32_e32 v98, 0xffff, v36
	v_cmp_ne_u16_sdwa s[52:53], v36, v37 src0_sel:BYTE_0 src1_sel:DWORD
	s_and_saveexec_b64 s[50:51], s[52:53]
	s_cbranch_execz .LBB230_167
; %bb.162:                              ;   in Loop: Header=BB230_14 Depth=1
	v_bfrev_b32_e32 v96, 1
	v_cmp_ne_u16_sdwa s[54:55], v98, s65 src0_sel:BYTE_0 src1_sel:DWORD
	v_mov_b32_e32 v97, 0
	s_and_saveexec_b64 s[52:53], s[54:55]
	s_cbranch_execz .LBB230_166
; %bb.163:                              ;   in Loop: Header=BB230_14 Depth=1
	v_and_b32_e32 v36, 0x7f, v98
	v_mov_b32_e32 v96, 0x7f800001
	v_cmp_ne_u32_e32 vcc, s66, v36
	v_mov_b32_e32 v97, 0
	s_and_saveexec_b64 s[54:55], vcc
	s_cbranch_execz .LBB230_165
; %bb.164:                              ;   in Loop: Header=BB230_14 Depth=1
	v_and_b32_e32 v99, 7, v98
	v_ffbh_u32_e32 v96, v99
	v_min_u32_e32 v101, 32, v96
	v_subrev_u32_e32 v96, 28, v101
	v_lshlrev_b64 v[96:97], v96, v[98:99]
	v_lshrrev_b32_e32 v100, 3, v36
	v_sub_u32_e32 v97, 29, v101
	v_and_b32_e32 v96, 7, v96
	v_cmp_gt_u32_e32 vcc, 8, v36
	v_cndmask_b32_e32 v36, v100, v97, vcc
	v_cndmask_b32_e32 v96, v99, v96, vcc
	v_lshlrev_b32_e32 v96, 20, v96
	v_and_b32_sdwa v97, sext(v98), s45 dst_sel:DWORD dst_unused:UNUSED_PAD src0_sel:BYTE_0 src1_sel:DWORD
	v_lshl_add_u32 v36, v36, 23, v119
	v_or3_b32 v36, v97, v36, v96
	v_pk_mov_b32 v[96:97], v[36:37], v[36:37] op_sel:[0,1]
.LBB230_165:                            ;   in Loop: Header=BB230_14 Depth=1
	s_or_b64 exec, exec, s[54:55]
.LBB230_166:                            ;   in Loop: Header=BB230_14 Depth=1
	s_or_b64 exec, exec, s[52:53]
.LBB230_167:                            ;   in Loop: Header=BB230_14 Depth=1
	s_or_b64 exec, exec, s[50:51]
	v_cmp_ne_u16_sdwa s[52:53], v98, v37 src0_sel:BYTE_1 src1_sel:DWORD
	s_and_saveexec_b64 s[50:51], s[52:53]
	s_cbranch_execz .LBB230_173
; %bb.168:                              ;   in Loop: Header=BB230_14 Depth=1
	v_cmp_ne_u16_sdwa s[54:55], v98, s65 src0_sel:BYTE_1 src1_sel:DWORD
	v_pk_mov_b32 v[94:95], s[44:45], s[44:45] op_sel:[0,1]
	s_and_saveexec_b64 s[52:53], s[54:55]
	s_cbranch_execz .LBB230_172
; %bb.169:                              ;   in Loop: Header=BB230_14 Depth=1
	v_and_b32_sdwa v99, v98, s66 dst_sel:DWORD dst_unused:UNUSED_PAD src0_sel:BYTE_1 src1_sel:DWORD
	s_mov_b32 s48, s44
	v_cmp_ne_u32_e32 vcc, s66, v99
	v_pk_mov_b32 v[94:95], s[48:49], s[48:49] op_sel:[0,1]
	s_and_saveexec_b64 s[54:55], vcc
	s_cbranch_execz .LBB230_171
; %bb.170:                              ;   in Loop: Header=BB230_14 Depth=1
	v_and_b32_sdwa v36, v98, v120 dst_sel:DWORD dst_unused:UNUSED_PAD src0_sel:BYTE_1 src1_sel:DWORD
	v_ffbh_u32_e32 v94, v36
	v_min_u32_e32 v101, 32, v94
	v_subrev_u32_e32 v94, 28, v101
	v_lshlrev_b64 v[94:95], v94, v[36:37]
	v_lshrrev_b32_e32 v100, 3, v99
	v_sub_u32_e32 v95, 29, v101
	v_cmp_gt_u32_e32 vcc, 8, v99
	v_and_b32_e32 v94, 7, v94
	v_cndmask_b32_e32 v95, v100, v95, vcc
	v_cndmask_b32_e32 v36, v36, v94, vcc
	v_lshlrev_b32_e32 v94, 16, v98
	v_lshl_add_u32 v95, v95, 23, v119
	v_and_or_b32 v94, v94, s45, v95
	v_lshlrev_b32_e32 v36, 20, v36
	v_or_b32_e32 v95, v94, v36
	v_mov_b32_e32 v94, v37
.LBB230_171:                            ;   in Loop: Header=BB230_14 Depth=1
	s_or_b64 exec, exec, s[54:55]
.LBB230_172:                            ;   in Loop: Header=BB230_14 Depth=1
	s_or_b64 exec, exec, s[52:53]
.LBB230_173:                            ;   in Loop: Header=BB230_14 Depth=1
	s_or_b64 exec, exec, s[50:51]
	global_load_ushort v36, v[56:57], off offset:1540
	v_pk_mov_b32 v[98:99], 0, 0
	v_pk_mov_b32 v[100:101], v[98:99], v[98:99] op_sel:[0,1]
	s_waitcnt vmcnt(0)
	v_and_b32_e32 v102, 0xffff, v36
	v_cmp_ne_u16_sdwa s[52:53], v36, v37 src0_sel:BYTE_0 src1_sel:DWORD
	s_and_saveexec_b64 s[50:51], s[52:53]
	s_cbranch_execz .LBB230_179
; %bb.174:                              ;   in Loop: Header=BB230_14 Depth=1
	v_bfrev_b32_e32 v100, 1
	v_cmp_ne_u16_sdwa s[54:55], v102, s65 src0_sel:BYTE_0 src1_sel:DWORD
	v_mov_b32_e32 v101, 0
	s_and_saveexec_b64 s[52:53], s[54:55]
	s_cbranch_execz .LBB230_178
; %bb.175:                              ;   in Loop: Header=BB230_14 Depth=1
	v_and_b32_e32 v36, 0x7f, v102
	v_mov_b32_e32 v100, 0x7f800001
	v_cmp_ne_u32_e32 vcc, s66, v36
	v_mov_b32_e32 v101, 0
	s_and_saveexec_b64 s[54:55], vcc
	s_cbranch_execz .LBB230_177
; %bb.176:                              ;   in Loop: Header=BB230_14 Depth=1
	v_and_b32_e32 v103, 7, v102
	v_ffbh_u32_e32 v100, v103
	v_min_u32_e32 v105, 32, v100
	v_subrev_u32_e32 v100, 28, v105
	v_lshlrev_b64 v[100:101], v100, v[102:103]
	v_lshrrev_b32_e32 v104, 3, v36
	v_sub_u32_e32 v101, 29, v105
	v_and_b32_e32 v100, 7, v100
	v_cmp_gt_u32_e32 vcc, 8, v36
	v_cndmask_b32_e32 v36, v104, v101, vcc
	v_cndmask_b32_e32 v100, v103, v100, vcc
	v_lshlrev_b32_e32 v100, 20, v100
	v_and_b32_sdwa v101, sext(v102), s45 dst_sel:DWORD dst_unused:UNUSED_PAD src0_sel:BYTE_0 src1_sel:DWORD
	v_lshl_add_u32 v36, v36, 23, v119
	v_or3_b32 v36, v101, v36, v100
	v_pk_mov_b32 v[100:101], v[36:37], v[36:37] op_sel:[0,1]
.LBB230_177:                            ;   in Loop: Header=BB230_14 Depth=1
	s_or_b64 exec, exec, s[54:55]
.LBB230_178:                            ;   in Loop: Header=BB230_14 Depth=1
	s_or_b64 exec, exec, s[52:53]
.LBB230_179:                            ;   in Loop: Header=BB230_14 Depth=1
	s_or_b64 exec, exec, s[50:51]
	v_cmp_ne_u16_sdwa s[52:53], v102, v37 src0_sel:BYTE_1 src1_sel:DWORD
	s_and_saveexec_b64 s[50:51], s[52:53]
	s_cbranch_execz .LBB230_185
; %bb.180:                              ;   in Loop: Header=BB230_14 Depth=1
	v_cmp_ne_u16_sdwa s[54:55], v102, s65 src0_sel:BYTE_1 src1_sel:DWORD
	v_pk_mov_b32 v[98:99], s[44:45], s[44:45] op_sel:[0,1]
	s_and_saveexec_b64 s[52:53], s[54:55]
	s_cbranch_execz .LBB230_184
; %bb.181:                              ;   in Loop: Header=BB230_14 Depth=1
	v_and_b32_sdwa v103, v102, s66 dst_sel:DWORD dst_unused:UNUSED_PAD src0_sel:BYTE_1 src1_sel:DWORD
	s_mov_b32 s48, s44
	v_cmp_ne_u32_e32 vcc, s66, v103
	v_pk_mov_b32 v[98:99], s[48:49], s[48:49] op_sel:[0,1]
	s_and_saveexec_b64 s[54:55], vcc
	s_cbranch_execz .LBB230_183
; %bb.182:                              ;   in Loop: Header=BB230_14 Depth=1
	v_and_b32_sdwa v36, v102, v120 dst_sel:DWORD dst_unused:UNUSED_PAD src0_sel:BYTE_1 src1_sel:DWORD
	v_ffbh_u32_e32 v98, v36
	v_min_u32_e32 v105, 32, v98
	v_subrev_u32_e32 v98, 28, v105
	v_lshlrev_b64 v[98:99], v98, v[36:37]
	v_lshrrev_b32_e32 v104, 3, v103
	v_sub_u32_e32 v99, 29, v105
	v_cmp_gt_u32_e32 vcc, 8, v103
	v_and_b32_e32 v98, 7, v98
	v_cndmask_b32_e32 v99, v104, v99, vcc
	v_cndmask_b32_e32 v36, v36, v98, vcc
	v_lshlrev_b32_e32 v98, 16, v102
	v_lshl_add_u32 v99, v99, 23, v119
	v_and_or_b32 v98, v98, s45, v99
	v_lshlrev_b32_e32 v36, 20, v36
	v_or_b32_e32 v99, v98, v36
	v_mov_b32_e32 v98, v37
.LBB230_183:                            ;   in Loop: Header=BB230_14 Depth=1
	s_or_b64 exec, exec, s[54:55]
.LBB230_184:                            ;   in Loop: Header=BB230_14 Depth=1
	s_or_b64 exec, exec, s[52:53]
.LBB230_185:                            ;   in Loop: Header=BB230_14 Depth=1
	s_or_b64 exec, exec, s[50:51]
	v_add_co_u32_e32 v104, vcc, 0x600, v56
	v_addc_co_u32_e32 v105, vcc, 0, v57, vcc
	global_load_ushort v36, v[104:105], off offset:8
	v_pk_mov_b32 v[56:57], 0, 0
	v_pk_mov_b32 v[102:103], v[56:57], v[56:57] op_sel:[0,1]
	s_waitcnt vmcnt(0)
	v_and_b32_e32 v106, 0xffff, v36
	v_cmp_ne_u16_sdwa s[52:53], v36, v37 src0_sel:BYTE_0 src1_sel:DWORD
	s_and_saveexec_b64 s[50:51], s[52:53]
	s_cbranch_execz .LBB230_191
; %bb.186:                              ;   in Loop: Header=BB230_14 Depth=1
	v_bfrev_b32_e32 v102, 1
	v_cmp_ne_u16_sdwa s[54:55], v106, s65 src0_sel:BYTE_0 src1_sel:DWORD
	v_mov_b32_e32 v103, 0
	s_and_saveexec_b64 s[52:53], s[54:55]
	s_cbranch_execz .LBB230_190
; %bb.187:                              ;   in Loop: Header=BB230_14 Depth=1
	v_and_b32_e32 v36, 0x7f, v106
	v_mov_b32_e32 v102, 0x7f800001
	v_cmp_ne_u32_e32 vcc, s66, v36
	v_mov_b32_e32 v103, 0
	s_and_saveexec_b64 s[54:55], vcc
	s_cbranch_execz .LBB230_189
; %bb.188:                              ;   in Loop: Header=BB230_14 Depth=1
	v_and_b32_e32 v107, 7, v106
	v_ffbh_u32_e32 v102, v107
	v_min_u32_e32 v123, 32, v102
	v_subrev_u32_e32 v102, 28, v123
	v_lshlrev_b64 v[102:103], v102, v[106:107]
	v_lshrrev_b32_e32 v108, 3, v36
	v_sub_u32_e32 v103, 29, v123
	v_and_b32_e32 v102, 7, v102
	v_cmp_gt_u32_e32 vcc, 8, v36
	v_cndmask_b32_e32 v36, v108, v103, vcc
	v_cndmask_b32_e32 v102, v107, v102, vcc
	v_lshlrev_b32_e32 v102, 20, v102
	v_and_b32_sdwa v103, sext(v106), s45 dst_sel:DWORD dst_unused:UNUSED_PAD src0_sel:BYTE_0 src1_sel:DWORD
	v_lshl_add_u32 v36, v36, 23, v119
	v_or3_b32 v36, v103, v36, v102
	v_pk_mov_b32 v[102:103], v[36:37], v[36:37] op_sel:[0,1]
.LBB230_189:                            ;   in Loop: Header=BB230_14 Depth=1
	s_or_b64 exec, exec, s[54:55]
.LBB230_190:                            ;   in Loop: Header=BB230_14 Depth=1
	s_or_b64 exec, exec, s[52:53]
.LBB230_191:                            ;   in Loop: Header=BB230_14 Depth=1
	s_or_b64 exec, exec, s[50:51]
	v_cmp_ne_u16_sdwa s[52:53], v106, v37 src0_sel:BYTE_1 src1_sel:DWORD
	s_and_saveexec_b64 s[50:51], s[52:53]
	s_cbranch_execz .LBB230_197
; %bb.192:                              ;   in Loop: Header=BB230_14 Depth=1
	v_cmp_ne_u16_sdwa s[54:55], v106, s65 src0_sel:BYTE_1 src1_sel:DWORD
	v_pk_mov_b32 v[56:57], s[44:45], s[44:45] op_sel:[0,1]
	s_and_saveexec_b64 s[52:53], s[54:55]
	s_cbranch_execz .LBB230_196
; %bb.193:                              ;   in Loop: Header=BB230_14 Depth=1
	v_and_b32_sdwa v107, v106, s66 dst_sel:DWORD dst_unused:UNUSED_PAD src0_sel:BYTE_1 src1_sel:DWORD
	s_mov_b32 s48, s44
	v_cmp_ne_u32_e32 vcc, s66, v107
	v_pk_mov_b32 v[56:57], s[48:49], s[48:49] op_sel:[0,1]
	s_and_saveexec_b64 s[54:55], vcc
	s_cbranch_execz .LBB230_195
; %bb.194:                              ;   in Loop: Header=BB230_14 Depth=1
	v_and_b32_sdwa v36, v106, v120 dst_sel:DWORD dst_unused:UNUSED_PAD src0_sel:BYTE_1 src1_sel:DWORD
	v_ffbh_u32_e32 v56, v36
	v_min_u32_e32 v123, 32, v56
	v_subrev_u32_e32 v56, 28, v123
	v_lshlrev_b64 v[56:57], v56, v[36:37]
	v_lshrrev_b32_e32 v108, 3, v107
	v_sub_u32_e32 v57, 29, v123
	v_cmp_gt_u32_e32 vcc, 8, v107
	v_and_b32_e32 v56, 7, v56
	v_cndmask_b32_e32 v57, v108, v57, vcc
	v_cndmask_b32_e32 v36, v36, v56, vcc
	v_lshlrev_b32_e32 v56, 16, v106
	v_lshl_add_u32 v57, v57, 23, v119
	v_and_or_b32 v56, v56, s45, v57
	v_lshlrev_b32_e32 v36, 20, v36
	v_or_b32_e32 v57, v56, v36
	v_mov_b32_e32 v56, v37
.LBB230_195:                            ;   in Loop: Header=BB230_14 Depth=1
	s_or_b64 exec, exec, s[54:55]
.LBB230_196:                            ;   in Loop: Header=BB230_14 Depth=1
	s_or_b64 exec, exec, s[52:53]
.LBB230_197:                            ;   in Loop: Header=BB230_14 Depth=1
	s_or_b64 exec, exec, s[50:51]
	global_load_ushort v36, v[104:105], off offset:12
	v_pk_mov_b32 v[104:105], 0, 0
	v_pk_mov_b32 v[106:107], v[104:105], v[104:105] op_sel:[0,1]
	s_waitcnt vmcnt(0)
	v_and_b32_e32 v108, 0xffff, v36
	v_cmp_ne_u16_sdwa s[52:53], v36, v37 src0_sel:BYTE_0 src1_sel:DWORD
	s_and_saveexec_b64 s[50:51], s[52:53]
	s_cbranch_execz .LBB230_203
; %bb.198:                              ;   in Loop: Header=BB230_14 Depth=1
	v_bfrev_b32_e32 v106, 1
	v_cmp_ne_u16_sdwa s[54:55], v108, s65 src0_sel:BYTE_0 src1_sel:DWORD
	v_mov_b32_e32 v107, 0
	s_and_saveexec_b64 s[52:53], s[54:55]
	s_cbranch_execz .LBB230_202
; %bb.199:                              ;   in Loop: Header=BB230_14 Depth=1
	v_and_b32_e32 v36, 0x7f, v108
	v_mov_b32_e32 v106, 0x7f800001
	v_cmp_ne_u32_e32 vcc, s66, v36
	v_mov_b32_e32 v107, 0
	s_and_saveexec_b64 s[54:55], vcc
	s_cbranch_execz .LBB230_201
; %bb.200:                              ;   in Loop: Header=BB230_14 Depth=1
	v_and_b32_e32 v123, 7, v108
	v_ffbh_u32_e32 v106, v123
	v_min_u32_e32 v125, 32, v106
	v_subrev_u32_e32 v106, 28, v125
	v_lshlrev_b64 v[106:107], v106, v[108:109]
	v_lshrrev_b32_e32 v124, 3, v36
	v_sub_u32_e32 v107, 29, v125
	v_and_b32_e32 v106, 7, v106
	v_cmp_gt_u32_e32 vcc, 8, v36
	v_cndmask_b32_e32 v36, v124, v107, vcc
	v_cndmask_b32_e32 v106, v123, v106, vcc
	v_lshlrev_b32_e32 v106, 20, v106
	v_and_b32_sdwa v107, sext(v108), s45 dst_sel:DWORD dst_unused:UNUSED_PAD src0_sel:BYTE_0 src1_sel:DWORD
	v_lshl_add_u32 v36, v36, 23, v119
	v_or3_b32 v36, v107, v36, v106
	v_pk_mov_b32 v[106:107], v[36:37], v[36:37] op_sel:[0,1]
.LBB230_201:                            ;   in Loop: Header=BB230_14 Depth=1
	s_or_b64 exec, exec, s[54:55]
.LBB230_202:                            ;   in Loop: Header=BB230_14 Depth=1
	s_or_b64 exec, exec, s[52:53]
.LBB230_203:                            ;   in Loop: Header=BB230_14 Depth=1
	s_or_b64 exec, exec, s[50:51]
	v_cmp_ne_u16_sdwa s[52:53], v108, v37 src0_sel:BYTE_1 src1_sel:DWORD
	s_and_saveexec_b64 s[50:51], s[52:53]
	s_cbranch_execz .LBB230_209
; %bb.204:                              ;   in Loop: Header=BB230_14 Depth=1
	v_cmp_ne_u16_sdwa s[54:55], v108, s65 src0_sel:BYTE_1 src1_sel:DWORD
	v_pk_mov_b32 v[104:105], s[44:45], s[44:45] op_sel:[0,1]
	s_and_saveexec_b64 s[52:53], s[54:55]
	s_cbranch_execz .LBB230_208
; %bb.205:                              ;   in Loop: Header=BB230_14 Depth=1
	v_and_b32_sdwa v123, v108, s66 dst_sel:DWORD dst_unused:UNUSED_PAD src0_sel:BYTE_1 src1_sel:DWORD
	s_mov_b32 s48, s44
	v_cmp_ne_u32_e32 vcc, s66, v123
	v_pk_mov_b32 v[104:105], s[48:49], s[48:49] op_sel:[0,1]
	s_and_saveexec_b64 s[54:55], vcc
	s_cbranch_execz .LBB230_207
; %bb.206:                              ;   in Loop: Header=BB230_14 Depth=1
	v_and_b32_sdwa v36, v108, v120 dst_sel:DWORD dst_unused:UNUSED_PAD src0_sel:BYTE_1 src1_sel:DWORD
	v_ffbh_u32_e32 v104, v36
	v_min_u32_e32 v125, 32, v104
	v_subrev_u32_e32 v104, 28, v125
	v_lshlrev_b64 v[104:105], v104, v[36:37]
	v_lshrrev_b32_e32 v124, 3, v123
	v_sub_u32_e32 v105, 29, v125
	v_cmp_gt_u32_e32 vcc, 8, v123
	v_and_b32_e32 v104, 7, v104
	v_cndmask_b32_e32 v105, v124, v105, vcc
	v_cndmask_b32_e32 v36, v36, v104, vcc
	v_lshlrev_b32_e32 v104, 16, v108
	v_lshl_add_u32 v105, v105, 23, v119
	v_and_or_b32 v104, v104, s45, v105
	v_lshlrev_b32_e32 v36, 20, v36
	v_or_b32_e32 v105, v104, v36
	v_mov_b32_e32 v104, v37
.LBB230_207:                            ;   in Loop: Header=BB230_14 Depth=1
	s_or_b64 exec, exec, s[54:55]
.LBB230_208:                            ;   in Loop: Header=BB230_14 Depth=1
	s_or_b64 exec, exec, s[52:53]
.LBB230_209:                            ;   in Loop: Header=BB230_14 Depth=1
	s_or_b64 exec, exec, s[50:51]
	v_or_b32_e32 v49, v49, v51
	v_or_b32_e32 v48, v48, v50
	s_waitcnt lgkmcnt(0)
	v_pk_mul_f32 v[48:49], s[12:13], v[48:49] op_sel_hi:[0,1]
	v_or_b32_e32 v45, v45, v47
	v_or_b32_e32 v44, v44, v46
	v_pk_mul_f32 v[44:45], s[12:13], v[44:45] op_sel_hi:[0,1]
	v_mul_f32_e32 v32, v32, v48
	v_or_b32_e32 v53, v53, v55
	v_or_b32_e32 v52, v52, v54
	v_fmac_f32_e32 v32, v30, v44
	v_mul_f32_e32 v30, v33, v49
	v_or_b32_e32 v59, v59, v61
	v_or_b32_e32 v58, v58, v60
	v_pk_mul_f32 v[52:53], s[12:13], v[52:53] op_sel_hi:[0,1]
	v_fmac_f32_e32 v30, v31, v45
	v_or_b32_e32 v63, v63, v65
	v_or_b32_e32 v62, v62, v64
	v_pk_mul_f32 v[58:59], s[12:13], v[58:59] op_sel_hi:[0,1]
	v_fmac_f32_e32 v32, v26, v52
	v_fmac_f32_e32 v30, v27, v53
	v_or_b32_e32 v67, v67, v69
	v_or_b32_e32 v66, v66, v68
	v_pk_mul_f32 v[62:63], s[12:13], v[62:63] op_sel_hi:[0,1]
	v_fmac_f32_e32 v32, v28, v58
	;; [unrolled: 5-line block ×9, first 2 shown]
	v_fmac_f32_e32 v30, v11, v87
	v_or_b32_e32 v99, v99, v101
	v_or_b32_e32 v98, v98, v100
	v_pk_mul_f32 v[94:95], s[12:13], v[94:95] op_sel_hi:[0,1]
	v_and_b32_e32 v46, 64, v121
	v_fmac_f32_e32 v32, v12, v90
	v_fmac_f32_e32 v30, v13, v91
	v_or_b32_e32 v57, v57, v103
	v_or_b32_e32 v56, v56, v102
	v_pk_mul_f32 v[98:99], s[12:13], v[98:99] op_sel_hi:[0,1]
	v_xor_b32_e32 v36, 1, v121
	v_add_u32_e32 v46, 64, v46
	v_fmac_f32_e32 v32, v6, v94
	v_fmac_f32_e32 v30, v7, v95
	v_pk_mul_f32 v[56:57], s[12:13], v[56:57] op_sel_hi:[0,1]
	v_cmp_lt_i32_e32 vcc, v36, v46
	v_or_b32_e32 v47, v105, v107
	v_or_b32_e32 v46, v104, v106
	v_fmac_f32_e32 v32, v8, v98
	v_fmac_f32_e32 v30, v9, v99
	v_pk_mul_f32 v[46:47], s[12:13], v[46:47] op_sel_hi:[0,1]
	v_fmac_f32_e32 v32, v2, v56
	v_fmac_f32_e32 v30, v3, v57
	v_cndmask_b32_e32 v36, v121, v36, vcc
	v_fmac_f32_e32 v32, v4, v46
	v_fmac_f32_e32 v30, v5, v47
	v_lshlrev_b32_e32 v36, 2, v36
	v_add_f32_e32 v2, v32, v30
	ds_bpermute_b32 v3, v36, v2
	s_and_saveexec_b64 s[50:51], s[2:3]
	s_cbranch_execz .LBB230_12
; %bb.210:                              ;   in Loop: Header=BB230_14 Depth=1
	v_add_u32_e32 v4, v117, v115
	v_cvt_f32_i32_e32 v4, v4
	s_waitcnt lgkmcnt(0)
	v_add_f32_e32 v2, v2, v3
	v_add_u32_e32 v5, v111, v115
	v_cmp_gt_i32_e32 vcc, s33, v5
	v_mul_f32_e32 v3, s60, v4
	v_cndmask_b32_e64 v3, 0, v3, s[4:5]
	v_fmac_f32_e32 v3, s43, v2
	v_cndmask_b32_e32 v2, 0, v3, vcc
	ds_write_b32 v116, v2
	v_max_f32_e32 v2, v114, v114
	v_max_f32_e32 v2, v2, v3
	v_cndmask_b32_e32 v114, v114, v2, vcc
	s_branch .LBB230_12
.LBB230_211:
	s_or_b64 exec, exec, s[46:47]
.LBB230_212:
	s_or_b64 exec, exec, s[14:15]
	v_mbcnt_hi_u32_b32 v4, -1, v110
	v_and_b32_e32 v2, 64, v4
	v_add_u32_e32 v8, 64, v2
	v_xor_b32_e32 v2, 32, v4
	v_cmp_lt_i32_e32 vcc, v2, v8
	v_cndmask_b32_e32 v2, v4, v2, vcc
	v_lshlrev_b32_e32 v2, 2, v2
	s_waitcnt lgkmcnt(0)
	ds_bpermute_b32 v3, v2, v114
	v_xor_b32_e32 v6, 16, v4
	v_max_f32_e32 v5, v114, v114
	v_cmp_lt_i32_e32 vcc, v6, v8
	v_xor_b32_e32 v7, 8, v4
	s_waitcnt lgkmcnt(0)
	v_max_f32_e32 v3, v3, v3
	v_max_f32_e32 v5, v5, v3
	v_cndmask_b32_e32 v3, v4, v6, vcc
	v_lshlrev_b32_e32 v3, 2, v3
	ds_bpermute_b32 v6, v3, v5
	v_cmp_lt_i32_e32 vcc, v7, v8
	v_xor_b32_e32 v9, 4, v4
	v_and_b32_e32 v60, 63, v0
	s_waitcnt lgkmcnt(0)
	v_max_f32_e32 v6, v6, v6
	v_max_f32_e32 v6, v5, v6
	v_cndmask_b32_e32 v5, v4, v7, vcc
	v_lshlrev_b32_e32 v5, 2, v5
	ds_bpermute_b32 v7, v5, v6
	v_cmp_lt_i32_e32 vcc, v9, v8
	s_waitcnt lgkmcnt(0)
	v_max_f32_e32 v7, v7, v7
	v_max_f32_e32 v6, v6, v7
	v_cndmask_b32_e32 v7, v4, v9, vcc
	v_lshlrev_b32_e32 v62, 2, v7
	ds_bpermute_b32 v7, v62, v6
	v_xor_b32_e32 v9, 2, v4
	v_cmp_lt_i32_e32 vcc, v9, v8
	s_waitcnt lgkmcnt(0)
	v_max_f32_e32 v7, v7, v7
	v_max_f32_e32 v7, v6, v7
	v_cndmask_b32_e32 v6, v4, v9, vcc
	v_lshlrev_b32_e32 v61, 2, v6
	ds_bpermute_b32 v9, v61, v7
	v_cmp_eq_u32_e32 vcc, 0, v60
	v_lshlrev_b32_e32 v6, 2, v109
	s_and_saveexec_b64 s[2:3], vcc
	s_cbranch_execz .LBB230_214
; %bb.213:
	s_waitcnt lgkmcnt(0)
	v_max_f32_e32 v9, v9, v9
	v_max_f32_e32 v7, v7, v7
	;; [unrolled: 1-line block ×3, first 2 shown]
	ds_write_b32 v6, v7 offset:256
.LBB230_214:
	s_or_b64 exec, exec, s[2:3]
	v_cmp_gt_u32_e64 s[2:3], 2, v60
	s_waitcnt lgkmcnt(0)
	v_mov_b32_e32 v9, 0xff7fffff
	v_lshlrev_b32_e32 v7, 2, v60
	s_barrier
	s_and_saveexec_b64 s[4:5], s[2:3]
	s_cbranch_execz .LBB230_216
; %bb.215:
	ds_read_b32 v9, v7 offset:256
.LBB230_216:
	s_or_b64 exec, exec, s[4:5]
	v_xor_b32_e32 v10, 1, v4
	v_cmp_lt_i32_e64 s[4:5], v10, v8
	v_cndmask_b32_e64 v8, v4, v10, s[4:5]
	v_lshlrev_b32_e32 v63, 2, v8
	s_waitcnt lgkmcnt(0)
	ds_bpermute_b32 v8, v63, v9
	v_max_f32_e32 v9, v9, v9
	v_lshlrev_b32_e32 v4, 2, v4
	s_sub_i32 s4, s58, s61
	s_lshl_b32 s4, s4, 5
	s_waitcnt lgkmcnt(0)
	v_max_f32_e32 v8, v8, v8
	v_max_f32_e32 v9, v9, v8
	v_and_b32_e32 v8, 0x100, v4
	ds_bpermute_b32 v4, v8, v9
	s_add_i32 s4, s4, s59
	s_min_i32 s43, s4, s33
	s_sub_i32 s12, s43, s59
	v_cmp_gt_i32_e64 s[4:5], s12, v0
	v_mov_b32_e32 v9, 0
	s_and_saveexec_b64 s[14:15], s[4:5]
	s_cbranch_execz .LBB230_220
; %bb.217:
	v_mov_b32_e32 v9, 0x110
	v_lshl_add_u32 v10, v0, 2, v9
	s_mov_b64 s[20:21], 0
	v_mov_b32_e32 v9, 0
	v_mov_b32_e32 v11, v0
.LBB230_218:                            ; =>This Inner Loop Header: Depth=1
	ds_read_b32 v12, v10
	v_add_u32_e32 v11, 0x80, v11
	v_cmp_le_i32_e64 s[10:11], s12, v11
	s_or_b64 s[20:21], s[10:11], s[20:21]
	s_waitcnt lgkmcnt(0)
	v_sub_f32_e32 v12, v12, v4
	v_mul_f32_e32 v12, 0x3fb8aa3b, v12
	v_exp_f32_e32 v12, v12
	ds_write_b32 v10, v12
	v_add_f32_e32 v9, v9, v12
	v_add_u32_e32 v10, 0x200, v10
	s_andn2_b64 exec, exec, s[20:21]
	s_cbranch_execnz .LBB230_218
; %bb.219:
	s_or_b64 exec, exec, s[20:21]
.LBB230_220:
	s_or_b64 exec, exec, s[14:15]
	ds_bpermute_b32 v2, v2, v9
	s_waitcnt lgkmcnt(0)
	v_add_f32_e32 v2, v9, v2
	ds_bpermute_b32 v3, v3, v2
	s_waitcnt lgkmcnt(0)
	v_add_f32_e32 v2, v2, v3
	;; [unrolled: 3-line block ×6, first 2 shown]
	s_and_saveexec_b64 s[10:11], vcc
	s_cbranch_execz .LBB230_222
; %bb.221:
	ds_write_b32 v6, v2 offset:264
.LBB230_222:
	s_or_b64 exec, exec, s[10:11]
	s_waitcnt lgkmcnt(0)
	s_barrier
	s_and_saveexec_b64 s[10:11], s[2:3]
	s_cbranch_execz .LBB230_224
; %bb.223:
	ds_read_b32 v2, v7 offset:264
.LBB230_224:
	s_or_b64 exec, exec, s[10:11]
	s_waitcnt lgkmcnt(0)
	ds_bpermute_b32 v3, v63, v2
	s_waitcnt lgkmcnt(0)
	v_add_f32_e32 v2, v2, v3
	ds_bpermute_b32 v5, v8, v2
	s_and_saveexec_b64 s[2:3], s[4:5]
	s_cbranch_execz .LBB230_237
; %bb.225:
	s_waitcnt lgkmcnt(0)
	v_add_f32_e32 v2, 0x358637bd, v5
	v_div_scale_f32 v3, s[4:5], v2, v2, 1.0
	v_rcp_f32_e32 v6, v3
	v_div_scale_f32 v7, vcc, 1.0, v2, 1.0
	s_movk_i32 s4, 0x7f
	v_fma_f32 v8, -v3, v6, 1.0
	v_fmac_f32_e32 v6, v8, v6
	v_mul_f32_e32 v8, v7, v6
	v_fma_f32 v9, -v3, v8, v7
	v_fmac_f32_e32 v8, v9, v6
	v_fma_f32 v3, -v3, v8, v7
	v_div_fmas_f32 v3, v3, v6, v8
	v_div_fixup_f32 v2, v3, v2, 1.0
	v_xad_u32 v3, v0, -1, s43
	v_subrev_u32_e32 v6, s59, v3
	v_cmp_lt_u32_e32 vcc, s4, v6
	s_mov_b64 s[10:11], -1
	v_mov_b32_e32 v3, v0
	s_and_saveexec_b64 s[4:5], vcc
	s_cbranch_execz .LBB230_234
; %bb.226:
	v_lshrrev_b32_e32 v6, 7, v6
	v_add_u32_e32 v8, -1, v6
	v_lshrrev_b32_e32 v7, 1, v8
	v_mov_b32_e32 v3, v2
	v_add_u32_e32 v7, 1, v7
	v_cmp_lt_u32_e32 vcc, 13, v8
	v_mov_b32_e32 v10, 0
	s_and_saveexec_b64 s[10:11], vcc
	s_cbranch_execz .LBB230_230
; %bb.227:
	v_mov_b32_e32 v9, 0x110
	v_and_b32_e32 v8, -8, v7
	v_lshl_add_u32 v9, v0, 2, v9
	s_mov_b32 s20, 0
	s_mov_b64 s[14:15], 0
.LBB230_228:                            ; =>This Inner Loop Header: Depth=1
	ds_read2st64_b32 v[10:11], v9 offset1:2
	ds_read2st64_b32 v[12:13], v9 offset0:4 offset1:6
	ds_read2st64_b32 v[14:15], v9 offset0:8 offset1:10
	;; [unrolled: 1-line block ×3, first 2 shown]
	v_add_u32_e32 v8, -8, v8
	s_waitcnt lgkmcnt(3)
	v_pk_mul_f32 v[10:11], v[2:3], v[10:11]
	s_waitcnt lgkmcnt(2)
	v_pk_mul_f32 v[12:13], v[2:3], v[12:13]
	ds_write2st64_b32 v9, v10, v11 offset1:2
	ds_write2st64_b32 v9, v12, v13 offset0:4 offset1:6
	ds_read2st64_b32 v[12:13], v9 offset0:16 offset1:18
	s_waitcnt lgkmcnt(4)
	v_pk_mul_f32 v[10:11], v[2:3], v[14:15]
	ds_write2st64_b32 v9, v10, v11 offset0:8 offset1:10
	s_waitcnt lgkmcnt(4)
	v_pk_mul_f32 v[10:11], v[2:3], v[16:17]
	ds_write2st64_b32 v9, v10, v11 offset0:12 offset1:14
	ds_read2st64_b32 v[10:11], v9 offset0:20 offset1:22
	s_waitcnt lgkmcnt(3)
	v_pk_mul_f32 v[12:13], v[2:3], v[12:13]
	ds_read2st64_b32 v[14:15], v9 offset0:24 offset1:26
	ds_write2st64_b32 v9, v12, v13 offset0:16 offset1:18
	ds_read2st64_b32 v[12:13], v9 offset0:28 offset1:30
	s_waitcnt lgkmcnt(3)
	v_pk_mul_f32 v[10:11], v[2:3], v[10:11]
	ds_write2st64_b32 v9, v10, v11 offset0:20 offset1:22
	s_waitcnt lgkmcnt(3)
	v_pk_mul_f32 v[10:11], v[2:3], v[14:15]
	ds_write2st64_b32 v9, v10, v11 offset0:24 offset1:26
	s_waitcnt lgkmcnt(2)
	v_pk_mul_f32 v[10:11], v[2:3], v[12:13]
	s_add_i32 s20, s20, 16
	v_cmp_eq_u32_e32 vcc, 0, v8
	ds_write2st64_b32 v9, v10, v11 offset0:28 offset1:30
	v_add_u32_e32 v9, 0x2000, v9
	s_or_b64 s[14:15], vcc, s[14:15]
	v_mov_b32_e32 v10, s20
	s_andn2_b64 exec, exec, s[14:15]
	s_cbranch_execnz .LBB230_228
; %bb.229:
	s_or_b64 exec, exec, s[14:15]
.LBB230_230:
	s_or_b64 exec, exec, s[10:11]
	v_and_b32_e32 v7, 7, v7
	v_cmp_ne_u32_e32 vcc, 0, v7
	s_and_saveexec_b64 s[10:11], vcc
	s_cbranch_execz .LBB230_233
; %bb.231:
	v_lshlrev_b32_e32 v8, 9, v10
	s_movk_i32 s14, 0x110
	v_add3_u32 v8, v8, v41, s14
	s_mov_b64 s[14:15], 0
.LBB230_232:                            ; =>This Inner Loop Header: Depth=1
	ds_read2st64_b32 v[10:11], v8 offset1:2
	v_add_u32_e32 v7, -1, v7
	v_cmp_eq_u32_e32 vcc, 0, v7
	s_or_b64 s[14:15], vcc, s[14:15]
	s_waitcnt lgkmcnt(0)
	v_pk_mul_f32 v[10:11], v[2:3], v[10:11]
	ds_write2st64_b32 v8, v10, v11 offset1:2
	v_add_u32_e32 v8, 0x400, v8
	s_andn2_b64 exec, exec, s[14:15]
	s_cbranch_execnz .LBB230_232
.LBB230_233:
	s_or_b64 exec, exec, s[10:11]
	v_add_u32_e32 v6, 1, v6
	v_and_b32_e32 v7, 0x3fffffe, v6
	v_cmp_ne_u32_e32 vcc, v6, v7
	v_lshl_add_u32 v3, v7, 7, v0
	s_orn2_b64 s[10:11], vcc, exec
.LBB230_234:
	s_or_b64 exec, exec, s[4:5]
	s_and_b64 exec, exec, s[10:11]
	s_cbranch_execz .LBB230_237
; %bb.235:
	v_mov_b32_e32 v6, 0x110
	v_lshl_add_u32 v6, v3, 2, v6
	s_mov_b64 s[4:5], 0
.LBB230_236:                            ; =>This Inner Loop Header: Depth=1
	ds_read_b32 v7, v6
	v_add_u32_e32 v3, 0x80, v3
	v_cmp_le_i32_e32 vcc, s12, v3
	s_or_b64 s[4:5], vcc, s[4:5]
	s_waitcnt lgkmcnt(0)
	v_mul_f32_e32 v7, v2, v7
	ds_write_b32 v6, v7
	v_add_u32_e32 v6, 0x200, v6
	s_andn2_b64 exec, exec, s[4:5]
	s_cbranch_execnz .LBB230_236
.LBB230_237:
	s_or_b64 exec, exec, s[2:3]
	s_mul_i32 s2, s29, s34
	v_cmp_eq_u32_e32 vcc, 0, v0
	s_mul_i32 s2, s2, s9
	s_waitcnt lgkmcnt(0)
	s_barrier
	s_and_saveexec_b64 s[4:5], vcc
	s_cbranch_execz .LBB230_239
; %bb.238:
	s_ashr_i32 s3, s2, 31
	s_lshl_b64 s[10:11], s[2:3], 2
	s_add_u32 s3, s26, s10
	s_mul_i32 s14, s29, s6
	s_addc_u32 s9, s27, s11
	s_ashr_i32 s15, s14, 31
	s_lshl_b64 s[14:15], s[14:15], 2
	s_add_u32 s3, s3, s14
	s_addc_u32 s6, s9, s15
	s_ashr_i32 s9, s8, 31
	s_lshl_b64 s[20:21], s[8:9], 2
	s_add_u32 s26, s3, s20
	s_addc_u32 s27, s6, s21
	s_add_u32 s3, s24, s10
	s_addc_u32 s6, s25, s11
	;; [unrolled: 2-line block ×3, first 2 shown]
	s_add_u32 s10, s3, s20
	v_mov_b32_e32 v2, 0
	s_addc_u32 s11, s6, s21
	global_store_dword v2, v4, s[26:27]
	global_store_dword v2, v5, s[10:11]
.LBB230_239:
	s_or_b64 exec, exec, s[4:5]
	s_mov_b32 s12, 0
	v_mov_b32_e32 v9, 0
	v_and_b32_e32 v64, 7, v0
	v_mov_b32_e32 v8, 0
	v_mov_b32_e32 v7, 0
	;; [unrolled: 1-line block ×7, first 2 shown]
	s_and_saveexec_b64 s[4:5], s[0:1]
	s_cbranch_execz .LBB230_453
; %bb.240:
	s_sub_i32 s3, s16, s17
	s_ashr_i32 s0, s19, 31
	s_add_u32 s1, s40, s19
	s_addc_u32 s0, s41, s0
	s_abs_i32 s9, s18
	v_cvt_f32_u32_e32 v2, s9
	s_sub_i32 s6, 0, s9
	v_and_b32_e32 v3, 0xfc, v41
	s_add_i32 s27, s7, -1
	v_rcp_iflag_f32_e32 v2, v2
	v_mov_b32_e32 v4, s0
	v_add_co_u32_e32 v14, vcc, s1, v3
	v_mul_f32_e32 v2, 0x4f7ffffe, v2
	v_cvt_u32_f32_e32 v2, v2
	s_lshl_b64 s[0:1], s[38:39], 2
	v_addc_co_u32_e32 v15, vcc, 0, v4, vcc
	v_mul_lo_u32 v5, s6, v2
	v_mul_hi_u32 v5, v2, v5
	v_add_u32_e32 v66, v2, v5
	v_lshlrev_b64 v[2:3], 2, v[34:35]
	s_add_u32 s0, s36, s0
	s_addc_u32 s1, s37, s1
	v_add_co_u32_e32 v16, vcc, s0, v2
	v_lshlrev_b32_e32 v2, 4, v64
	s_mov_b32 s26, s13
	v_mov_b32_e32 v4, s1
	v_lshl_or_b32 v2, v109, 7, v2
	s_mov_b32 s13, s12
	v_addc_co_u32_e32 v17, vcc, v4, v3, vcc
	v_add_u32_e32 v35, 0x110, v2
	s_mov_b32 s14, s12
	s_mov_b32 s15, s12
	;; [unrolled: 1-line block ×6, first 2 shown]
	v_pk_mov_b32 v[2:3], s[12:13], s[12:13] op_sel:[0,1]
	v_and_b32_e32 v65, 28, v41
	s_mov_b64 s[6:7], 0
	v_pk_mov_b32 v[4:5], s[14:15], s[14:15] op_sel:[0,1]
	v_pk_mov_b32 v[6:7], s[16:17], s[16:17] op_sel:[0,1]
	v_pk_mov_b32 v[8:9], s[18:19], s[18:19] op_sel:[0,1]
	s_movk_i32 s34, 0x80
	s_movk_i32 s36, 0x7f
	v_mov_b32_e32 v19, 0
	s_brev_b32 s13, 1
	s_mov_b32 s11, 0x7f800001
	s_mov_b32 s37, 0xffffff
	v_bfrev_b32_e32 v67, 60
	v_mov_b32_e32 v68, 7
	v_mov_b32_e32 v69, 24
	s_branch .LBB230_243
.LBB230_241:                            ;   in Loop: Header=BB230_243 Depth=1
	s_or_b64 exec, exec, s[0:1]
	v_mul_f32_e32 v18, v11, v21
	v_fmac_f32_e32 v18, v10, v20
	v_fmac_f32_e32 v18, v12, v22
	v_fmac_f32_e32 v18, v13, v23
	v_add_f32_e32 v2, v2, v18
	v_mul_f32_e32 v18, v11, v27
	v_fmac_f32_e32 v18, v10, v26
	v_fmac_f32_e32 v18, v12, v28
	v_fmac_f32_e32 v18, v13, v29
	v_add_f32_e32 v3, v3, v18
	;; [unrolled: 5-line block ×6, first 2 shown]
	v_mul_f32_e32 v18, v11, v49
	v_mul_f32_e32 v11, v11, v25
	v_fmac_f32_e32 v18, v10, v48
	v_fmac_f32_e32 v11, v10, v24
	;; [unrolled: 1-line block ×6, first 2 shown]
	v_add_f32_e32 v8, v8, v18
	v_add_f32_e32 v9, v9, v11
.LBB230_242:                            ;   in Loop: Header=BB230_243 Depth=1
	s_or_b64 exec, exec, s[14:15]
	v_add_co_u32_e32 v16, vcc, 8, v16
	v_add_u32_e32 v34, 2, v34
	v_addc_co_u32_e32 v17, vcc, 0, v17, vcc
	v_cmp_le_i32_e32 vcc, s58, v34
	v_add_u32_e32 v1, 64, v1
	s_or_b64 s[6:7], vcc, s[6:7]
	v_add_u32_e32 v35, 0x100, v35
	s_andn2_b64 exec, exec, s[6:7]
	s_cbranch_execz .LBB230_452
.LBB230_243:                            ; =>This Inner Loop Header: Depth=1
	v_sub_u32_e32 v11, 0, v1
	v_max_i32_e32 v11, v1, v11
	v_mul_hi_u32 v12, v11, s56
	v_mul_lo_u32 v13, v12, s35
	v_sub_u32_e32 v11, v11, v13
	v_add_u32_e32 v13, 1, v12
	v_cmp_le_u32_e32 vcc, s35, v11
	v_cndmask_b32_e32 v12, v12, v13, vcc
	v_subrev_u32_e32 v13, s35, v11
	v_cndmask_b32_e32 v11, v11, v13, vcc
	v_ashrrev_i32_e32 v10, 31, v1
	v_add_u32_e32 v13, 1, v12
	v_cmp_le_u32_e32 vcc, s35, v11
	v_xor_b32_e32 v10, s57, v10
	v_cndmask_b32_e32 v11, v12, v13, vcc
	v_xor_b32_e32 v11, v11, v10
	v_sub_u32_e32 v10, v11, v10
	v_add_u32_e32 v11, s42, v10
	v_sub_u32_e32 v13, 0, v11
	v_ashrrev_i32_e32 v12, 31, v11
	v_max_i32_e32 v11, v11, v13
	v_mul_hi_u32 v13, v11, v66
	v_mul_lo_u32 v13, v13, s9
	v_sub_u32_e32 v11, v11, v13
	v_subrev_u32_e32 v13, s9, v11
	v_cmp_le_u32_e32 vcc, s9, v11
	v_cndmask_b32_e32 v11, v11, v13, vcc
	v_subrev_u32_e32 v13, s9, v11
	v_cmp_le_u32_e32 vcc, s9, v11
	v_cndmask_b32_e32 v11, v11, v13, vcc
	v_xor_b32_e32 v11, v11, v12
	v_sub_u32_e32 v11, v11, v12
	v_cmp_eq_u32_e32 vcc, 0, v11
	v_cmp_lt_i32_e64 s[0:1], s3, v10
	s_or_b64 s[0:1], vcc, s[0:1]
	s_and_saveexec_b64 s[14:15], s[0:1]
	s_cbranch_execz .LBB230_242
; %bb.244:                              ;   in Loop: Header=BB230_243 Depth=1
	global_load_dword v10, v[16:17], off
	s_load_dword s16, s[22:23], 0x0
	v_pk_mov_b32 v[26:27], 0, 0
	v_pk_mov_b32 v[22:23], v[26:27], v[26:27] op_sel:[0,1]
	s_waitcnt vmcnt(0)
	v_mad_i64_i32 v[24:25], s[0:1], v10, s26, v[14:15]
	global_load_dword v20, v[24:25], off
	ds_read_b128 v[10:13], v35
	s_waitcnt vmcnt(0)
	v_cmp_ne_u16_sdwa s[18:19], v20, v19 src0_sel:BYTE_0 src1_sel:DWORD
	s_and_saveexec_b64 s[0:1], s[18:19]
	s_cbranch_execz .LBB230_250
; %bb.245:                              ;   in Loop: Header=BB230_243 Depth=1
	v_bfrev_b32_e32 v22, 1
	v_cmp_ne_u16_sdwa s[20:21], v20, s34 src0_sel:BYTE_0 src1_sel:DWORD
	v_mov_b32_e32 v23, 0
	s_and_saveexec_b64 s[18:19], s[20:21]
	s_cbranch_execz .LBB230_249
; %bb.246:                              ;   in Loop: Header=BB230_243 Depth=1
	v_and_b32_e32 v18, 0x7f, v20
	v_mov_b32_e32 v22, 0x7f800001
	v_cmp_ne_u32_e32 vcc, s36, v18
	v_mov_b32_e32 v23, 0
	s_and_saveexec_b64 s[20:21], vcc
	s_cbranch_execz .LBB230_248
; %bb.247:                              ;   in Loop: Header=BB230_243 Depth=1
	v_and_b32_e32 v21, 7, v20
	v_ffbh_u32_e32 v22, v21
	v_min_u32_e32 v29, 32, v22
	v_subrev_u32_e32 v22, 28, v29
	v_lshlrev_b64 v[22:23], v22, v[20:21]
	v_lshrrev_b32_e32 v28, 3, v18
	v_sub_u32_e32 v23, 29, v29
	v_and_b32_e32 v22, 7, v22
	v_cmp_gt_u32_e32 vcc, 8, v18
	v_cndmask_b32_e32 v18, v28, v23, vcc
	v_cndmask_b32_e32 v21, v21, v22, vcc
	v_lshlrev_b32_e32 v21, 20, v21
	v_and_b32_sdwa v22, sext(v20), s13 dst_sel:DWORD dst_unused:UNUSED_PAD src0_sel:BYTE_0 src1_sel:DWORD
	v_lshl_add_u32 v18, v18, 23, v67
	v_or3_b32 v18, v22, v18, v21
	v_pk_mov_b32 v[22:23], v[18:19], v[18:19] op_sel:[0,1]
.LBB230_248:                            ;   in Loop: Header=BB230_243 Depth=1
	s_or_b64 exec, exec, s[20:21]
.LBB230_249:                            ;   in Loop: Header=BB230_243 Depth=1
	s_or_b64 exec, exec, s[18:19]
.LBB230_250:                            ;   in Loop: Header=BB230_243 Depth=1
	s_or_b64 exec, exec, s[0:1]
	v_cmp_ne_u16_sdwa s[18:19], v20, v19 src0_sel:BYTE_1 src1_sel:DWORD
	s_and_saveexec_b64 s[0:1], s[18:19]
	s_cbranch_execz .LBB230_256
; %bb.251:                              ;   in Loop: Header=BB230_243 Depth=1
	v_cmp_ne_u16_sdwa s[20:21], v20, s34 src0_sel:BYTE_1 src1_sel:DWORD
	v_pk_mov_b32 v[26:27], s[12:13], s[12:13] op_sel:[0,1]
	s_and_saveexec_b64 s[18:19], s[20:21]
	s_cbranch_execz .LBB230_255
; %bb.252:                              ;   in Loop: Header=BB230_243 Depth=1
	v_and_b32_sdwa v21, v20, s36 dst_sel:DWORD dst_unused:UNUSED_PAD src0_sel:BYTE_1 src1_sel:DWORD
	s_mov_b32 s10, s12
	v_cmp_ne_u32_e32 vcc, s36, v21
	v_pk_mov_b32 v[26:27], s[10:11], s[10:11] op_sel:[0,1]
	s_and_saveexec_b64 s[20:21], vcc
	s_cbranch_execz .LBB230_254
; %bb.253:                              ;   in Loop: Header=BB230_243 Depth=1
	v_and_b32_sdwa v18, v20, v68 dst_sel:DWORD dst_unused:UNUSED_PAD src0_sel:BYTE_1 src1_sel:DWORD
	v_ffbh_u32_e32 v26, v18
	v_min_u32_e32 v29, 32, v26
	v_subrev_u32_e32 v26, 28, v29
	v_lshlrev_b64 v[26:27], v26, v[18:19]
	v_lshrrev_b32_e32 v28, 3, v21
	v_sub_u32_e32 v27, 29, v29
	v_cmp_gt_u32_e32 vcc, 8, v21
	v_and_b32_e32 v26, 7, v26
	v_cndmask_b32_e32 v21, v28, v27, vcc
	v_cndmask_b32_e32 v18, v18, v26, vcc
	v_lshlrev_b32_e32 v26, 16, v20
	v_lshl_add_u32 v21, v21, 23, v67
	v_and_or_b32 v21, v26, s13, v21
	v_lshlrev_b32_e32 v18, 20, v18
	v_or_b32_e32 v27, v21, v18
	v_mov_b32_e32 v26, v19
.LBB230_254:                            ;   in Loop: Header=BB230_243 Depth=1
	s_or_b64 exec, exec, s[20:21]
.LBB230_255:                            ;   in Loop: Header=BB230_243 Depth=1
	s_or_b64 exec, exec, s[18:19]
.LBB230_256:                            ;   in Loop: Header=BB230_243 Depth=1
	s_or_b64 exec, exec, s[0:1]
	v_lshrrev_b32_e32 v18, 16, v20
	v_pk_mov_b32 v[30:31], 0, 0
	v_cmp_ne_u16_sdwa s[18:19], v18, v19 src0_sel:BYTE_0 src1_sel:DWORD
	v_pk_mov_b32 v[28:29], v[30:31], v[30:31] op_sel:[0,1]
	s_and_saveexec_b64 s[0:1], s[18:19]
	s_cbranch_execz .LBB230_262
; %bb.257:                              ;   in Loop: Header=BB230_243 Depth=1
	v_bfrev_b32_e32 v28, 1
	v_cmp_ne_u16_sdwa s[20:21], v18, s34 src0_sel:BYTE_0 src1_sel:DWORD
	v_mov_b32_e32 v29, 0
	s_and_saveexec_b64 s[18:19], s[20:21]
	s_cbranch_execz .LBB230_261
; %bb.258:                              ;   in Loop: Header=BB230_243 Depth=1
	v_bfe_u32 v21, v20, 16, 7
	v_mov_b32_e32 v28, 0x7f800001
	v_cmp_ne_u32_e32 vcc, s36, v21
	v_mov_b32_e32 v29, 0
	s_and_saveexec_b64 s[20:21], vcc
	s_cbranch_execz .LBB230_260
; %bb.259:                              ;   in Loop: Header=BB230_243 Depth=1
	v_and_b32_e32 v32, 7, v18
	v_ffbh_u32_e32 v28, v32
	v_min_u32_e32 v36, 32, v28
	v_subrev_u32_e32 v28, 28, v36
	v_lshlrev_b64 v[28:29], v28, v[18:19]
	v_lshrrev_b32_e32 v33, 3, v21
	v_sub_u32_e32 v29, 29, v36
	v_and_b32_e32 v28, 7, v28
	v_cmp_gt_u32_e32 vcc, 8, v21
	v_cndmask_b32_e32 v21, v33, v29, vcc
	v_cndmask_b32_e32 v28, v32, v28, vcc
	v_lshlrev_b32_e32 v28, 20, v28
	v_and_b32_sdwa v18, sext(v18), s13 dst_sel:DWORD dst_unused:UNUSED_PAD src0_sel:BYTE_0 src1_sel:DWORD
	v_lshl_add_u32 v21, v21, 23, v67
	v_or3_b32 v18, v18, v21, v28
	v_pk_mov_b32 v[28:29], v[18:19], v[18:19] op_sel:[0,1]
.LBB230_260:                            ;   in Loop: Header=BB230_243 Depth=1
	s_or_b64 exec, exec, s[20:21]
.LBB230_261:                            ;   in Loop: Header=BB230_243 Depth=1
	s_or_b64 exec, exec, s[18:19]
.LBB230_262:                            ;   in Loop: Header=BB230_243 Depth=1
	s_or_b64 exec, exec, s[0:1]
	v_cmp_lt_u32_e32 vcc, s37, v20
	s_and_saveexec_b64 s[0:1], vcc
	s_cbranch_execz .LBB230_268
; %bb.263:                              ;   in Loop: Header=BB230_243 Depth=1
	v_cmp_ne_u32_sdwa s[20:21], v20, s34 src0_sel:BYTE_3 src1_sel:DWORD
	v_pk_mov_b32 v[30:31], s[12:13], s[12:13] op_sel:[0,1]
	s_and_saveexec_b64 s[18:19], s[20:21]
	s_cbranch_execz .LBB230_267
; %bb.264:                              ;   in Loop: Header=BB230_243 Depth=1
	v_bfe_u32 v21, v20, 24, 7
	s_mov_b32 s10, s12
	v_cmp_ne_u32_e32 vcc, s36, v21
	v_pk_mov_b32 v[30:31], s[10:11], s[10:11] op_sel:[0,1]
	s_and_saveexec_b64 s[20:21], vcc
	s_cbranch_execz .LBB230_266
; %bb.265:                              ;   in Loop: Header=BB230_243 Depth=1
	v_and_b32_sdwa v18, v20, v68 dst_sel:DWORD dst_unused:UNUSED_PAD src0_sel:BYTE_3 src1_sel:DWORD
	v_ffbh_u32_e32 v30, v18
	v_min_u32_e32 v33, 32, v30
	v_subrev_u32_e32 v30, 28, v33
	v_lshlrev_b64 v[30:31], v30, v[18:19]
	v_lshrrev_b32_e32 v32, 3, v21
	v_sub_u32_e32 v31, 29, v33
	v_cmp_gt_u32_e32 vcc, 8, v21
	v_and_b32_e32 v30, 7, v30
	v_cndmask_b32_e32 v21, v32, v31, vcc
	v_cndmask_b32_e32 v18, v18, v30, vcc
	v_lshlrev_b32_sdwa v20, v69, v20 dst_sel:DWORD dst_unused:UNUSED_PAD src0_sel:DWORD src1_sel:BYTE_3
	v_lshl_add_u32 v21, v21, 23, v67
	v_and_or_b32 v20, v20, s13, v21
	v_lshlrev_b32_e32 v18, 20, v18
	v_or_b32_e32 v31, v20, v18
	v_mov_b32_e32 v30, v19
.LBB230_266:                            ;   in Loop: Header=BB230_243 Depth=1
	s_or_b64 exec, exec, s[20:21]
.LBB230_267:                            ;   in Loop: Header=BB230_243 Depth=1
	s_or_b64 exec, exec, s[18:19]
.LBB230_268:                            ;   in Loop: Header=BB230_243 Depth=1
	s_or_b64 exec, exec, s[0:1]
	v_add_u32_e32 v70, v65, v1
	v_or_b32_e32 v21, v27, v23
	v_or_b32_e32 v20, v26, v22
	;; [unrolled: 1-line block ×4, first 2 shown]
	v_cmp_eq_u32_e32 vcc, s27, v34
	s_waitcnt lgkmcnt(0)
	v_pk_mul_f32 v[20:21], s[16:17], v[20:21] op_sel_hi:[0,1]
	v_pk_mul_f32 v[22:23], s[16:17], v[22:23] op_sel_hi:[0,1]
	v_add_u32_e32 v73, 1, v70
	v_add_u32_e32 v72, 2, v70
	;; [unrolled: 1-line block ×3, first 2 shown]
	s_and_saveexec_b64 s[18:19], vcc
; %bb.269:                              ;   in Loop: Header=BB230_243 Depth=1
	v_cmp_gt_i32_e64 s[0:1], s33, v70
	v_cndmask_b32_e64 v20, 0, v20, s[0:1]
	v_cmp_gt_i32_e64 s[0:1], s33, v73
	v_cndmask_b32_e64 v21, 0, v21, s[0:1]
	v_cmp_gt_i32_e64 s[0:1], s33, v72
	v_cndmask_b32_e64 v22, 0, v22, s[0:1]
	v_cmp_gt_i32_e64 s[0:1], s33, v71
	v_cndmask_b32_e64 v23, 0, v23, s[0:1]
; %bb.270:                              ;   in Loop: Header=BB230_243 Depth=1
	s_or_b64 exec, exec, s[18:19]
	global_load_dword v26, v[24:25], off offset:256
	v_pk_mov_b32 v[30:31], 0, 0
	v_pk_mov_b32 v[28:29], v[30:31], v[30:31] op_sel:[0,1]
	s_waitcnt vmcnt(0)
	v_cmp_ne_u16_sdwa s[0:1], v26, v19 src0_sel:BYTE_0 src1_sel:DWORD
	s_and_saveexec_b64 s[18:19], s[0:1]
	s_cbranch_execz .LBB230_276
; %bb.271:                              ;   in Loop: Header=BB230_243 Depth=1
	v_bfrev_b32_e32 v28, 1
	v_cmp_ne_u16_sdwa s[0:1], v26, s34 src0_sel:BYTE_0 src1_sel:DWORD
	v_mov_b32_e32 v29, 0
	s_and_saveexec_b64 s[20:21], s[0:1]
	s_cbranch_execz .LBB230_275
; %bb.272:                              ;   in Loop: Header=BB230_243 Depth=1
	v_and_b32_e32 v18, 0x7f, v26
	v_mov_b32_e32 v28, 0x7f800001
	v_cmp_ne_u32_e64 s[0:1], s36, v18
	v_mov_b32_e32 v29, 0
	s_and_saveexec_b64 s[24:25], s[0:1]
	s_cbranch_execz .LBB230_274
; %bb.273:                              ;   in Loop: Header=BB230_243 Depth=1
	v_and_b32_e32 v27, 7, v26
	v_ffbh_u32_e32 v28, v27
	v_min_u32_e32 v33, 32, v28
	v_subrev_u32_e32 v28, 28, v33
	v_lshlrev_b64 v[28:29], v28, v[26:27]
	v_lshrrev_b32_e32 v32, 3, v18
	v_sub_u32_e32 v29, 29, v33
	v_and_b32_e32 v28, 7, v28
	v_cmp_gt_u32_e64 s[0:1], 8, v18
	v_cndmask_b32_e64 v18, v32, v29, s[0:1]
	v_cndmask_b32_e64 v27, v27, v28, s[0:1]
	v_lshlrev_b32_e32 v27, 20, v27
	v_and_b32_sdwa v28, sext(v26), s13 dst_sel:DWORD dst_unused:UNUSED_PAD src0_sel:BYTE_0 src1_sel:DWORD
	v_lshl_add_u32 v18, v18, 23, v67
	v_or3_b32 v18, v28, v18, v27
	v_pk_mov_b32 v[28:29], v[18:19], v[18:19] op_sel:[0,1]
.LBB230_274:                            ;   in Loop: Header=BB230_243 Depth=1
	s_or_b64 exec, exec, s[24:25]
.LBB230_275:                            ;   in Loop: Header=BB230_243 Depth=1
	s_or_b64 exec, exec, s[20:21]
.LBB230_276:                            ;   in Loop: Header=BB230_243 Depth=1
	s_or_b64 exec, exec, s[18:19]
	v_cmp_ne_u16_sdwa s[0:1], v26, v19 src0_sel:BYTE_1 src1_sel:DWORD
	s_and_saveexec_b64 s[18:19], s[0:1]
	s_cbranch_execz .LBB230_282
; %bb.277:                              ;   in Loop: Header=BB230_243 Depth=1
	v_cmp_ne_u16_sdwa s[0:1], v26, s34 src0_sel:BYTE_1 src1_sel:DWORD
	v_pk_mov_b32 v[30:31], s[12:13], s[12:13] op_sel:[0,1]
	s_and_saveexec_b64 s[20:21], s[0:1]
	s_cbranch_execz .LBB230_281
; %bb.278:                              ;   in Loop: Header=BB230_243 Depth=1
	v_and_b32_sdwa v27, v26, s36 dst_sel:DWORD dst_unused:UNUSED_PAD src0_sel:BYTE_1 src1_sel:DWORD
	s_mov_b32 s10, s12
	v_cmp_ne_u32_e64 s[0:1], s36, v27
	v_pk_mov_b32 v[30:31], s[10:11], s[10:11] op_sel:[0,1]
	s_and_saveexec_b64 s[24:25], s[0:1]
	s_cbranch_execz .LBB230_280
; %bb.279:                              ;   in Loop: Header=BB230_243 Depth=1
	v_and_b32_sdwa v18, v26, v68 dst_sel:DWORD dst_unused:UNUSED_PAD src0_sel:BYTE_1 src1_sel:DWORD
	v_ffbh_u32_e32 v30, v18
	v_min_u32_e32 v33, 32, v30
	v_subrev_u32_e32 v30, 28, v33
	v_lshlrev_b64 v[30:31], v30, v[18:19]
	v_lshrrev_b32_e32 v32, 3, v27
	v_sub_u32_e32 v31, 29, v33
	v_cmp_gt_u32_e64 s[0:1], 8, v27
	v_and_b32_e32 v30, 7, v30
	v_cndmask_b32_e64 v27, v32, v31, s[0:1]
	v_cndmask_b32_e64 v18, v18, v30, s[0:1]
	v_lshlrev_b32_e32 v30, 16, v26
	v_lshl_add_u32 v27, v27, 23, v67
	v_and_or_b32 v27, v30, s13, v27
	v_lshlrev_b32_e32 v18, 20, v18
	v_or_b32_e32 v31, v27, v18
	v_mov_b32_e32 v30, v19
.LBB230_280:                            ;   in Loop: Header=BB230_243 Depth=1
	s_or_b64 exec, exec, s[24:25]
.LBB230_281:                            ;   in Loop: Header=BB230_243 Depth=1
	s_or_b64 exec, exec, s[20:21]
.LBB230_282:                            ;   in Loop: Header=BB230_243 Depth=1
	s_or_b64 exec, exec, s[18:19]
	v_lshrrev_b32_e32 v18, 16, v26
	v_pk_mov_b32 v[36:37], 0, 0
	v_cmp_ne_u16_sdwa s[0:1], v18, v19 src0_sel:BYTE_0 src1_sel:DWORD
	v_pk_mov_b32 v[32:33], v[36:37], v[36:37] op_sel:[0,1]
	s_and_saveexec_b64 s[18:19], s[0:1]
	s_cbranch_execz .LBB230_288
; %bb.283:                              ;   in Loop: Header=BB230_243 Depth=1
	v_bfrev_b32_e32 v32, 1
	v_cmp_ne_u16_sdwa s[0:1], v18, s34 src0_sel:BYTE_0 src1_sel:DWORD
	v_mov_b32_e32 v33, 0
	s_and_saveexec_b64 s[20:21], s[0:1]
	s_cbranch_execz .LBB230_287
; %bb.284:                              ;   in Loop: Header=BB230_243 Depth=1
	v_bfe_u32 v27, v26, 16, 7
	v_mov_b32_e32 v32, 0x7f800001
	v_cmp_ne_u32_e64 s[0:1], s36, v27
	v_mov_b32_e32 v33, 0
	s_and_saveexec_b64 s[24:25], s[0:1]
	s_cbranch_execz .LBB230_286
; %bb.285:                              ;   in Loop: Header=BB230_243 Depth=1
	v_and_b32_e32 v38, 7, v18
	v_ffbh_u32_e32 v32, v38
	v_min_u32_e32 v40, 32, v32
	v_subrev_u32_e32 v32, 28, v40
	v_lshlrev_b64 v[32:33], v32, v[18:19]
	v_lshrrev_b32_e32 v39, 3, v27
	v_sub_u32_e32 v33, 29, v40
	v_and_b32_e32 v32, 7, v32
	v_cmp_gt_u32_e64 s[0:1], 8, v27
	v_cndmask_b32_e64 v27, v39, v33, s[0:1]
	v_cndmask_b32_e64 v32, v38, v32, s[0:1]
	v_lshlrev_b32_e32 v32, 20, v32
	v_and_b32_sdwa v18, sext(v18), s13 dst_sel:DWORD dst_unused:UNUSED_PAD src0_sel:BYTE_0 src1_sel:DWORD
	v_lshl_add_u32 v27, v27, 23, v67
	v_or3_b32 v18, v18, v27, v32
	v_pk_mov_b32 v[32:33], v[18:19], v[18:19] op_sel:[0,1]
.LBB230_286:                            ;   in Loop: Header=BB230_243 Depth=1
	s_or_b64 exec, exec, s[24:25]
.LBB230_287:                            ;   in Loop: Header=BB230_243 Depth=1
	s_or_b64 exec, exec, s[20:21]
.LBB230_288:                            ;   in Loop: Header=BB230_243 Depth=1
	s_or_b64 exec, exec, s[18:19]
	v_cmp_lt_u32_e64 s[0:1], s37, v26
	s_and_saveexec_b64 s[18:19], s[0:1]
	s_cbranch_execz .LBB230_294
; %bb.289:                              ;   in Loop: Header=BB230_243 Depth=1
	v_cmp_ne_u32_sdwa s[0:1], v26, s34 src0_sel:BYTE_3 src1_sel:DWORD
	v_pk_mov_b32 v[36:37], s[12:13], s[12:13] op_sel:[0,1]
	s_and_saveexec_b64 s[20:21], s[0:1]
	s_cbranch_execz .LBB230_293
; %bb.290:                              ;   in Loop: Header=BB230_243 Depth=1
	v_bfe_u32 v27, v26, 24, 7
	s_mov_b32 s10, s12
	v_cmp_ne_u32_e64 s[0:1], s36, v27
	v_pk_mov_b32 v[36:37], s[10:11], s[10:11] op_sel:[0,1]
	s_and_saveexec_b64 s[24:25], s[0:1]
	s_cbranch_execz .LBB230_292
; %bb.291:                              ;   in Loop: Header=BB230_243 Depth=1
	v_and_b32_sdwa v18, v26, v68 dst_sel:DWORD dst_unused:UNUSED_PAD src0_sel:BYTE_3 src1_sel:DWORD
	v_ffbh_u32_e32 v36, v18
	v_min_u32_e32 v39, 32, v36
	v_subrev_u32_e32 v36, 28, v39
	v_lshlrev_b64 v[36:37], v36, v[18:19]
	v_lshrrev_b32_e32 v38, 3, v27
	v_sub_u32_e32 v37, 29, v39
	v_cmp_gt_u32_e64 s[0:1], 8, v27
	v_and_b32_e32 v36, 7, v36
	v_cndmask_b32_e64 v27, v38, v37, s[0:1]
	v_cndmask_b32_e64 v18, v18, v36, s[0:1]
	v_lshlrev_b32_sdwa v26, v69, v26 dst_sel:DWORD dst_unused:UNUSED_PAD src0_sel:DWORD src1_sel:BYTE_3
	v_lshl_add_u32 v27, v27, 23, v67
	v_and_or_b32 v26, v26, s13, v27
	v_lshlrev_b32_e32 v18, 20, v18
	v_or_b32_e32 v37, v26, v18
	v_mov_b32_e32 v36, v19
.LBB230_292:                            ;   in Loop: Header=BB230_243 Depth=1
	s_or_b64 exec, exec, s[24:25]
.LBB230_293:                            ;   in Loop: Header=BB230_243 Depth=1
	s_or_b64 exec, exec, s[20:21]
.LBB230_294:                            ;   in Loop: Header=BB230_243 Depth=1
	s_or_b64 exec, exec, s[18:19]
	s_mov_b32 s17, s16
	v_or_b32_e32 v27, v31, v29
	v_or_b32_e32 v26, v30, v28
	;; [unrolled: 1-line block ×4, first 2 shown]
	v_pk_mul_f32 v[26:27], s[16:17], v[26:27]
	v_pk_mul_f32 v[28:29], s[16:17], v[28:29]
	s_and_saveexec_b64 s[18:19], vcc
; %bb.295:                              ;   in Loop: Header=BB230_243 Depth=1
	v_cmp_gt_i32_e64 s[0:1], s33, v70
	v_cndmask_b32_e64 v26, 0, v26, s[0:1]
	v_cmp_gt_i32_e64 s[0:1], s33, v73
	v_cndmask_b32_e64 v27, 0, v27, s[0:1]
	;; [unrolled: 2-line block ×4, first 2 shown]
; %bb.296:                              ;   in Loop: Header=BB230_243 Depth=1
	s_or_b64 exec, exec, s[18:19]
	global_load_dword v30, v[24:25], off offset:512
	v_pk_mov_b32 v[36:37], 0, 0
	v_pk_mov_b32 v[32:33], v[36:37], v[36:37] op_sel:[0,1]
	s_waitcnt vmcnt(0)
	v_cmp_ne_u16_sdwa s[0:1], v30, v19 src0_sel:BYTE_0 src1_sel:DWORD
	s_and_saveexec_b64 s[18:19], s[0:1]
	s_cbranch_execz .LBB230_302
; %bb.297:                              ;   in Loop: Header=BB230_243 Depth=1
	v_bfrev_b32_e32 v32, 1
	v_cmp_ne_u16_sdwa s[0:1], v30, s34 src0_sel:BYTE_0 src1_sel:DWORD
	v_mov_b32_e32 v33, 0
	s_and_saveexec_b64 s[20:21], s[0:1]
	s_cbranch_execz .LBB230_301
; %bb.298:                              ;   in Loop: Header=BB230_243 Depth=1
	v_and_b32_e32 v18, 0x7f, v30
	v_mov_b32_e32 v32, 0x7f800001
	v_cmp_ne_u32_e64 s[0:1], s36, v18
	v_mov_b32_e32 v33, 0
	s_and_saveexec_b64 s[24:25], s[0:1]
	s_cbranch_execz .LBB230_300
; %bb.299:                              ;   in Loop: Header=BB230_243 Depth=1
	v_and_b32_e32 v31, 7, v30
	v_ffbh_u32_e32 v32, v31
	v_min_u32_e32 v39, 32, v32
	v_subrev_u32_e32 v32, 28, v39
	v_lshlrev_b64 v[32:33], v32, v[30:31]
	v_lshrrev_b32_e32 v38, 3, v18
	v_sub_u32_e32 v33, 29, v39
	v_and_b32_e32 v32, 7, v32
	v_cmp_gt_u32_e64 s[0:1], 8, v18
	v_cndmask_b32_e64 v18, v38, v33, s[0:1]
	v_cndmask_b32_e64 v31, v31, v32, s[0:1]
	v_lshlrev_b32_e32 v31, 20, v31
	v_and_b32_sdwa v32, sext(v30), s13 dst_sel:DWORD dst_unused:UNUSED_PAD src0_sel:BYTE_0 src1_sel:DWORD
	v_lshl_add_u32 v18, v18, 23, v67
	v_or3_b32 v18, v32, v18, v31
	v_pk_mov_b32 v[32:33], v[18:19], v[18:19] op_sel:[0,1]
.LBB230_300:                            ;   in Loop: Header=BB230_243 Depth=1
	s_or_b64 exec, exec, s[24:25]
.LBB230_301:                            ;   in Loop: Header=BB230_243 Depth=1
	s_or_b64 exec, exec, s[20:21]
.LBB230_302:                            ;   in Loop: Header=BB230_243 Depth=1
	s_or_b64 exec, exec, s[18:19]
	v_cmp_ne_u16_sdwa s[0:1], v30, v19 src0_sel:BYTE_1 src1_sel:DWORD
	s_and_saveexec_b64 s[18:19], s[0:1]
	s_cbranch_execz .LBB230_308
; %bb.303:                              ;   in Loop: Header=BB230_243 Depth=1
	v_cmp_ne_u16_sdwa s[0:1], v30, s34 src0_sel:BYTE_1 src1_sel:DWORD
	v_pk_mov_b32 v[36:37], s[12:13], s[12:13] op_sel:[0,1]
	s_and_saveexec_b64 s[20:21], s[0:1]
	s_cbranch_execz .LBB230_307
; %bb.304:                              ;   in Loop: Header=BB230_243 Depth=1
	v_and_b32_sdwa v31, v30, s36 dst_sel:DWORD dst_unused:UNUSED_PAD src0_sel:BYTE_1 src1_sel:DWORD
	s_mov_b32 s10, s12
	v_cmp_ne_u32_e64 s[0:1], s36, v31
	v_pk_mov_b32 v[36:37], s[10:11], s[10:11] op_sel:[0,1]
	s_and_saveexec_b64 s[24:25], s[0:1]
	s_cbranch_execz .LBB230_306
; %bb.305:                              ;   in Loop: Header=BB230_243 Depth=1
	v_and_b32_sdwa v18, v30, v68 dst_sel:DWORD dst_unused:UNUSED_PAD src0_sel:BYTE_1 src1_sel:DWORD
	v_ffbh_u32_e32 v36, v18
	v_min_u32_e32 v39, 32, v36
	v_subrev_u32_e32 v36, 28, v39
	v_lshlrev_b64 v[36:37], v36, v[18:19]
	v_lshrrev_b32_e32 v38, 3, v31
	v_sub_u32_e32 v37, 29, v39
	v_cmp_gt_u32_e64 s[0:1], 8, v31
	v_and_b32_e32 v36, 7, v36
	v_cndmask_b32_e64 v31, v38, v37, s[0:1]
	v_cndmask_b32_e64 v18, v18, v36, s[0:1]
	v_lshlrev_b32_e32 v36, 16, v30
	v_lshl_add_u32 v31, v31, 23, v67
	v_and_or_b32 v31, v36, s13, v31
	v_lshlrev_b32_e32 v18, 20, v18
	v_or_b32_e32 v37, v31, v18
	v_mov_b32_e32 v36, v19
.LBB230_306:                            ;   in Loop: Header=BB230_243 Depth=1
	s_or_b64 exec, exec, s[24:25]
.LBB230_307:                            ;   in Loop: Header=BB230_243 Depth=1
	s_or_b64 exec, exec, s[20:21]
.LBB230_308:                            ;   in Loop: Header=BB230_243 Depth=1
	s_or_b64 exec, exec, s[18:19]
	v_lshrrev_b32_e32 v18, 16, v30
	v_pk_mov_b32 v[40:41], 0, 0
	v_cmp_ne_u16_sdwa s[0:1], v18, v19 src0_sel:BYTE_0 src1_sel:DWORD
	v_pk_mov_b32 v[38:39], v[40:41], v[40:41] op_sel:[0,1]
	s_and_saveexec_b64 s[18:19], s[0:1]
	s_cbranch_execz .LBB230_314
; %bb.309:                              ;   in Loop: Header=BB230_243 Depth=1
	v_bfrev_b32_e32 v38, 1
	v_cmp_ne_u16_sdwa s[0:1], v18, s34 src0_sel:BYTE_0 src1_sel:DWORD
	v_mov_b32_e32 v39, 0
	s_and_saveexec_b64 s[20:21], s[0:1]
	s_cbranch_execz .LBB230_313
; %bb.310:                              ;   in Loop: Header=BB230_243 Depth=1
	v_bfe_u32 v31, v30, 16, 7
	v_mov_b32_e32 v38, 0x7f800001
	v_cmp_ne_u32_e64 s[0:1], s36, v31
	v_mov_b32_e32 v39, 0
	s_and_saveexec_b64 s[24:25], s[0:1]
	s_cbranch_execz .LBB230_312
; %bb.311:                              ;   in Loop: Header=BB230_243 Depth=1
	v_and_b32_e32 v42, 7, v18
	v_ffbh_u32_e32 v38, v42
	v_min_u32_e32 v44, 32, v38
	v_subrev_u32_e32 v38, 28, v44
	v_lshlrev_b64 v[38:39], v38, v[18:19]
	v_lshrrev_b32_e32 v43, 3, v31
	v_sub_u32_e32 v39, 29, v44
	v_and_b32_e32 v38, 7, v38
	v_cmp_gt_u32_e64 s[0:1], 8, v31
	v_cndmask_b32_e64 v31, v43, v39, s[0:1]
	v_cndmask_b32_e64 v38, v42, v38, s[0:1]
	v_lshlrev_b32_e32 v38, 20, v38
	v_and_b32_sdwa v18, sext(v18), s13 dst_sel:DWORD dst_unused:UNUSED_PAD src0_sel:BYTE_0 src1_sel:DWORD
	v_lshl_add_u32 v31, v31, 23, v67
	v_or3_b32 v18, v18, v31, v38
	v_pk_mov_b32 v[38:39], v[18:19], v[18:19] op_sel:[0,1]
.LBB230_312:                            ;   in Loop: Header=BB230_243 Depth=1
	s_or_b64 exec, exec, s[24:25]
.LBB230_313:                            ;   in Loop: Header=BB230_243 Depth=1
	s_or_b64 exec, exec, s[20:21]
.LBB230_314:                            ;   in Loop: Header=BB230_243 Depth=1
	s_or_b64 exec, exec, s[18:19]
	v_cmp_lt_u32_e64 s[0:1], s37, v30
	s_and_saveexec_b64 s[18:19], s[0:1]
	s_cbranch_execz .LBB230_320
; %bb.315:                              ;   in Loop: Header=BB230_243 Depth=1
	v_cmp_ne_u32_sdwa s[0:1], v30, s34 src0_sel:BYTE_3 src1_sel:DWORD
	v_pk_mov_b32 v[40:41], s[12:13], s[12:13] op_sel:[0,1]
	s_and_saveexec_b64 s[20:21], s[0:1]
	s_cbranch_execz .LBB230_319
; %bb.316:                              ;   in Loop: Header=BB230_243 Depth=1
	v_bfe_u32 v31, v30, 24, 7
	s_mov_b32 s10, s12
	v_cmp_ne_u32_e64 s[0:1], s36, v31
	v_pk_mov_b32 v[40:41], s[10:11], s[10:11] op_sel:[0,1]
	s_and_saveexec_b64 s[24:25], s[0:1]
	s_cbranch_execz .LBB230_318
; %bb.317:                              ;   in Loop: Header=BB230_243 Depth=1
	v_and_b32_sdwa v18, v30, v68 dst_sel:DWORD dst_unused:UNUSED_PAD src0_sel:BYTE_3 src1_sel:DWORD
	v_ffbh_u32_e32 v40, v18
	v_min_u32_e32 v43, 32, v40
	v_subrev_u32_e32 v40, 28, v43
	v_lshlrev_b64 v[40:41], v40, v[18:19]
	v_lshrrev_b32_e32 v42, 3, v31
	v_sub_u32_e32 v41, 29, v43
	v_cmp_gt_u32_e64 s[0:1], 8, v31
	v_and_b32_e32 v40, 7, v40
	v_cndmask_b32_e64 v31, v42, v41, s[0:1]
	v_cndmask_b32_e64 v18, v18, v40, s[0:1]
	v_lshlrev_b32_sdwa v30, v69, v30 dst_sel:DWORD dst_unused:UNUSED_PAD src0_sel:DWORD src1_sel:BYTE_3
	v_lshl_add_u32 v31, v31, 23, v67
	v_and_or_b32 v30, v30, s13, v31
	v_lshlrev_b32_e32 v18, 20, v18
	v_or_b32_e32 v41, v30, v18
	v_mov_b32_e32 v40, v19
.LBB230_318:                            ;   in Loop: Header=BB230_243 Depth=1
	s_or_b64 exec, exec, s[24:25]
.LBB230_319:                            ;   in Loop: Header=BB230_243 Depth=1
	s_or_b64 exec, exec, s[20:21]
.LBB230_320:                            ;   in Loop: Header=BB230_243 Depth=1
	s_or_b64 exec, exec, s[18:19]
	v_or_b32_e32 v31, v37, v33
	v_or_b32_e32 v30, v36, v32
	;; [unrolled: 1-line block ×4, first 2 shown]
	v_pk_mul_f32 v[30:31], s[16:17], v[30:31]
	v_pk_mul_f32 v[32:33], s[16:17], v[32:33]
	s_and_saveexec_b64 s[18:19], vcc
; %bb.321:                              ;   in Loop: Header=BB230_243 Depth=1
	v_cmp_gt_i32_e64 s[0:1], s33, v70
	v_cndmask_b32_e64 v30, 0, v30, s[0:1]
	v_cmp_gt_i32_e64 s[0:1], s33, v73
	v_cndmask_b32_e64 v31, 0, v31, s[0:1]
	;; [unrolled: 2-line block ×4, first 2 shown]
; %bb.322:                              ;   in Loop: Header=BB230_243 Depth=1
	s_or_b64 exec, exec, s[18:19]
	global_load_dword v36, v[24:25], off offset:768
	v_pk_mov_b32 v[40:41], 0, 0
	v_pk_mov_b32 v[38:39], v[40:41], v[40:41] op_sel:[0,1]
	s_waitcnt vmcnt(0)
	v_cmp_ne_u16_sdwa s[0:1], v36, v19 src0_sel:BYTE_0 src1_sel:DWORD
	s_and_saveexec_b64 s[18:19], s[0:1]
	s_cbranch_execz .LBB230_328
; %bb.323:                              ;   in Loop: Header=BB230_243 Depth=1
	v_bfrev_b32_e32 v38, 1
	v_cmp_ne_u16_sdwa s[0:1], v36, s34 src0_sel:BYTE_0 src1_sel:DWORD
	v_mov_b32_e32 v39, 0
	s_and_saveexec_b64 s[20:21], s[0:1]
	s_cbranch_execz .LBB230_327
; %bb.324:                              ;   in Loop: Header=BB230_243 Depth=1
	v_and_b32_e32 v18, 0x7f, v36
	v_mov_b32_e32 v38, 0x7f800001
	v_cmp_ne_u32_e64 s[0:1], s36, v18
	v_mov_b32_e32 v39, 0
	s_and_saveexec_b64 s[24:25], s[0:1]
	s_cbranch_execz .LBB230_326
; %bb.325:                              ;   in Loop: Header=BB230_243 Depth=1
	v_and_b32_e32 v37, 7, v36
	v_ffbh_u32_e32 v38, v37
	v_min_u32_e32 v43, 32, v38
	v_subrev_u32_e32 v38, 28, v43
	v_lshlrev_b64 v[38:39], v38, v[36:37]
	v_lshrrev_b32_e32 v42, 3, v18
	v_sub_u32_e32 v39, 29, v43
	v_and_b32_e32 v38, 7, v38
	v_cmp_gt_u32_e64 s[0:1], 8, v18
	v_cndmask_b32_e64 v18, v42, v39, s[0:1]
	v_cndmask_b32_e64 v37, v37, v38, s[0:1]
	v_lshlrev_b32_e32 v37, 20, v37
	v_and_b32_sdwa v38, sext(v36), s13 dst_sel:DWORD dst_unused:UNUSED_PAD src0_sel:BYTE_0 src1_sel:DWORD
	v_lshl_add_u32 v18, v18, 23, v67
	v_or3_b32 v18, v38, v18, v37
	v_pk_mov_b32 v[38:39], v[18:19], v[18:19] op_sel:[0,1]
.LBB230_326:                            ;   in Loop: Header=BB230_243 Depth=1
	s_or_b64 exec, exec, s[24:25]
.LBB230_327:                            ;   in Loop: Header=BB230_243 Depth=1
	s_or_b64 exec, exec, s[20:21]
.LBB230_328:                            ;   in Loop: Header=BB230_243 Depth=1
	s_or_b64 exec, exec, s[18:19]
	v_cmp_ne_u16_sdwa s[0:1], v36, v19 src0_sel:BYTE_1 src1_sel:DWORD
	s_and_saveexec_b64 s[18:19], s[0:1]
	s_cbranch_execz .LBB230_334
; %bb.329:                              ;   in Loop: Header=BB230_243 Depth=1
	v_cmp_ne_u16_sdwa s[0:1], v36, s34 src0_sel:BYTE_1 src1_sel:DWORD
	v_pk_mov_b32 v[40:41], s[12:13], s[12:13] op_sel:[0,1]
	s_and_saveexec_b64 s[20:21], s[0:1]
	s_cbranch_execz .LBB230_333
; %bb.330:                              ;   in Loop: Header=BB230_243 Depth=1
	v_and_b32_sdwa v37, v36, s36 dst_sel:DWORD dst_unused:UNUSED_PAD src0_sel:BYTE_1 src1_sel:DWORD
	s_mov_b32 s10, s12
	v_cmp_ne_u32_e64 s[0:1], s36, v37
	v_pk_mov_b32 v[40:41], s[10:11], s[10:11] op_sel:[0,1]
	s_and_saveexec_b64 s[24:25], s[0:1]
	s_cbranch_execz .LBB230_332
; %bb.331:                              ;   in Loop: Header=BB230_243 Depth=1
	v_and_b32_sdwa v18, v36, v68 dst_sel:DWORD dst_unused:UNUSED_PAD src0_sel:BYTE_1 src1_sel:DWORD
	v_ffbh_u32_e32 v40, v18
	v_min_u32_e32 v43, 32, v40
	v_subrev_u32_e32 v40, 28, v43
	v_lshlrev_b64 v[40:41], v40, v[18:19]
	v_lshrrev_b32_e32 v42, 3, v37
	v_sub_u32_e32 v41, 29, v43
	v_cmp_gt_u32_e64 s[0:1], 8, v37
	v_and_b32_e32 v40, 7, v40
	v_cndmask_b32_e64 v37, v42, v41, s[0:1]
	v_cndmask_b32_e64 v18, v18, v40, s[0:1]
	v_lshlrev_b32_e32 v40, 16, v36
	v_lshl_add_u32 v37, v37, 23, v67
	v_and_or_b32 v37, v40, s13, v37
	v_lshlrev_b32_e32 v18, 20, v18
	v_or_b32_e32 v41, v37, v18
	v_mov_b32_e32 v40, v19
.LBB230_332:                            ;   in Loop: Header=BB230_243 Depth=1
	s_or_b64 exec, exec, s[24:25]
.LBB230_333:                            ;   in Loop: Header=BB230_243 Depth=1
	s_or_b64 exec, exec, s[20:21]
.LBB230_334:                            ;   in Loop: Header=BB230_243 Depth=1
	s_or_b64 exec, exec, s[18:19]
	v_lshrrev_b32_e32 v18, 16, v36
	v_pk_mov_b32 v[44:45], 0, 0
	v_cmp_ne_u16_sdwa s[0:1], v18, v19 src0_sel:BYTE_0 src1_sel:DWORD
	v_pk_mov_b32 v[42:43], v[44:45], v[44:45] op_sel:[0,1]
	s_and_saveexec_b64 s[18:19], s[0:1]
	s_cbranch_execz .LBB230_340
; %bb.335:                              ;   in Loop: Header=BB230_243 Depth=1
	v_bfrev_b32_e32 v42, 1
	v_cmp_ne_u16_sdwa s[0:1], v18, s34 src0_sel:BYTE_0 src1_sel:DWORD
	v_mov_b32_e32 v43, 0
	s_and_saveexec_b64 s[20:21], s[0:1]
	s_cbranch_execz .LBB230_339
; %bb.336:                              ;   in Loop: Header=BB230_243 Depth=1
	v_bfe_u32 v37, v36, 16, 7
	v_mov_b32_e32 v42, 0x7f800001
	v_cmp_ne_u32_e64 s[0:1], s36, v37
	v_mov_b32_e32 v43, 0
	s_and_saveexec_b64 s[24:25], s[0:1]
	s_cbranch_execz .LBB230_338
; %bb.337:                              ;   in Loop: Header=BB230_243 Depth=1
	v_and_b32_e32 v46, 7, v18
	v_ffbh_u32_e32 v42, v46
	v_min_u32_e32 v48, 32, v42
	v_subrev_u32_e32 v42, 28, v48
	v_lshlrev_b64 v[42:43], v42, v[18:19]
	v_lshrrev_b32_e32 v47, 3, v37
	v_sub_u32_e32 v43, 29, v48
	v_and_b32_e32 v42, 7, v42
	v_cmp_gt_u32_e64 s[0:1], 8, v37
	v_cndmask_b32_e64 v37, v47, v43, s[0:1]
	v_cndmask_b32_e64 v42, v46, v42, s[0:1]
	v_lshlrev_b32_e32 v42, 20, v42
	v_and_b32_sdwa v18, sext(v18), s13 dst_sel:DWORD dst_unused:UNUSED_PAD src0_sel:BYTE_0 src1_sel:DWORD
	v_lshl_add_u32 v37, v37, 23, v67
	v_or3_b32 v18, v18, v37, v42
	v_pk_mov_b32 v[42:43], v[18:19], v[18:19] op_sel:[0,1]
.LBB230_338:                            ;   in Loop: Header=BB230_243 Depth=1
	s_or_b64 exec, exec, s[24:25]
.LBB230_339:                            ;   in Loop: Header=BB230_243 Depth=1
	s_or_b64 exec, exec, s[20:21]
.LBB230_340:                            ;   in Loop: Header=BB230_243 Depth=1
	s_or_b64 exec, exec, s[18:19]
	v_cmp_lt_u32_e64 s[0:1], s37, v36
	s_and_saveexec_b64 s[18:19], s[0:1]
	s_cbranch_execz .LBB230_346
; %bb.341:                              ;   in Loop: Header=BB230_243 Depth=1
	v_cmp_ne_u32_sdwa s[0:1], v36, s34 src0_sel:BYTE_3 src1_sel:DWORD
	v_pk_mov_b32 v[44:45], s[12:13], s[12:13] op_sel:[0,1]
	s_and_saveexec_b64 s[20:21], s[0:1]
	s_cbranch_execz .LBB230_345
; %bb.342:                              ;   in Loop: Header=BB230_243 Depth=1
	v_bfe_u32 v37, v36, 24, 7
	s_mov_b32 s10, s12
	v_cmp_ne_u32_e64 s[0:1], s36, v37
	v_pk_mov_b32 v[44:45], s[10:11], s[10:11] op_sel:[0,1]
	s_and_saveexec_b64 s[24:25], s[0:1]
	s_cbranch_execz .LBB230_344
; %bb.343:                              ;   in Loop: Header=BB230_243 Depth=1
	v_and_b32_sdwa v18, v36, v68 dst_sel:DWORD dst_unused:UNUSED_PAD src0_sel:BYTE_3 src1_sel:DWORD
	v_ffbh_u32_e32 v44, v18
	v_min_u32_e32 v47, 32, v44
	v_subrev_u32_e32 v44, 28, v47
	v_lshlrev_b64 v[44:45], v44, v[18:19]
	v_lshrrev_b32_e32 v46, 3, v37
	v_sub_u32_e32 v45, 29, v47
	v_cmp_gt_u32_e64 s[0:1], 8, v37
	v_and_b32_e32 v44, 7, v44
	v_cndmask_b32_e64 v37, v46, v45, s[0:1]
	v_cndmask_b32_e64 v18, v18, v44, s[0:1]
	v_lshlrev_b32_sdwa v36, v69, v36 dst_sel:DWORD dst_unused:UNUSED_PAD src0_sel:DWORD src1_sel:BYTE_3
	v_lshl_add_u32 v37, v37, 23, v67
	v_and_or_b32 v36, v36, s13, v37
	v_lshlrev_b32_e32 v18, 20, v18
	v_or_b32_e32 v45, v36, v18
	v_mov_b32_e32 v44, v19
.LBB230_344:                            ;   in Loop: Header=BB230_243 Depth=1
	s_or_b64 exec, exec, s[24:25]
.LBB230_345:                            ;   in Loop: Header=BB230_243 Depth=1
	s_or_b64 exec, exec, s[20:21]
.LBB230_346:                            ;   in Loop: Header=BB230_243 Depth=1
	s_or_b64 exec, exec, s[18:19]
	v_or_b32_e32 v37, v41, v39
	v_or_b32_e32 v36, v40, v38
	;; [unrolled: 1-line block ×4, first 2 shown]
	v_pk_mul_f32 v[36:37], s[16:17], v[36:37]
	v_pk_mul_f32 v[38:39], s[16:17], v[38:39]
	s_and_saveexec_b64 s[18:19], vcc
; %bb.347:                              ;   in Loop: Header=BB230_243 Depth=1
	v_cmp_gt_i32_e64 s[0:1], s33, v70
	v_cndmask_b32_e64 v36, 0, v36, s[0:1]
	v_cmp_gt_i32_e64 s[0:1], s33, v73
	v_cndmask_b32_e64 v37, 0, v37, s[0:1]
	;; [unrolled: 2-line block ×4, first 2 shown]
; %bb.348:                              ;   in Loop: Header=BB230_243 Depth=1
	s_or_b64 exec, exec, s[18:19]
	global_load_dword v40, v[24:25], off offset:1024
	v_pk_mov_b32 v[44:45], 0, 0
	v_pk_mov_b32 v[42:43], v[44:45], v[44:45] op_sel:[0,1]
	s_waitcnt vmcnt(0)
	v_cmp_ne_u16_sdwa s[0:1], v40, v19 src0_sel:BYTE_0 src1_sel:DWORD
	s_and_saveexec_b64 s[18:19], s[0:1]
	s_cbranch_execz .LBB230_354
; %bb.349:                              ;   in Loop: Header=BB230_243 Depth=1
	v_bfrev_b32_e32 v42, 1
	v_cmp_ne_u16_sdwa s[0:1], v40, s34 src0_sel:BYTE_0 src1_sel:DWORD
	v_mov_b32_e32 v43, 0
	s_and_saveexec_b64 s[20:21], s[0:1]
	s_cbranch_execz .LBB230_353
; %bb.350:                              ;   in Loop: Header=BB230_243 Depth=1
	v_and_b32_e32 v18, 0x7f, v40
	v_mov_b32_e32 v42, 0x7f800001
	v_cmp_ne_u32_e64 s[0:1], s36, v18
	v_mov_b32_e32 v43, 0
	s_and_saveexec_b64 s[24:25], s[0:1]
	s_cbranch_execz .LBB230_352
; %bb.351:                              ;   in Loop: Header=BB230_243 Depth=1
	v_and_b32_e32 v41, 7, v40
	v_ffbh_u32_e32 v42, v41
	v_min_u32_e32 v47, 32, v42
	v_subrev_u32_e32 v42, 28, v47
	v_lshlrev_b64 v[42:43], v42, v[40:41]
	v_lshrrev_b32_e32 v46, 3, v18
	v_sub_u32_e32 v43, 29, v47
	v_and_b32_e32 v42, 7, v42
	v_cmp_gt_u32_e64 s[0:1], 8, v18
	v_cndmask_b32_e64 v18, v46, v43, s[0:1]
	v_cndmask_b32_e64 v41, v41, v42, s[0:1]
	v_lshlrev_b32_e32 v41, 20, v41
	v_and_b32_sdwa v42, sext(v40), s13 dst_sel:DWORD dst_unused:UNUSED_PAD src0_sel:BYTE_0 src1_sel:DWORD
	v_lshl_add_u32 v18, v18, 23, v67
	v_or3_b32 v18, v42, v18, v41
	v_pk_mov_b32 v[42:43], v[18:19], v[18:19] op_sel:[0,1]
.LBB230_352:                            ;   in Loop: Header=BB230_243 Depth=1
	s_or_b64 exec, exec, s[24:25]
.LBB230_353:                            ;   in Loop: Header=BB230_243 Depth=1
	s_or_b64 exec, exec, s[20:21]
.LBB230_354:                            ;   in Loop: Header=BB230_243 Depth=1
	s_or_b64 exec, exec, s[18:19]
	v_cmp_ne_u16_sdwa s[0:1], v40, v19 src0_sel:BYTE_1 src1_sel:DWORD
	s_and_saveexec_b64 s[18:19], s[0:1]
	s_cbranch_execz .LBB230_360
; %bb.355:                              ;   in Loop: Header=BB230_243 Depth=1
	v_cmp_ne_u16_sdwa s[0:1], v40, s34 src0_sel:BYTE_1 src1_sel:DWORD
	v_pk_mov_b32 v[44:45], s[12:13], s[12:13] op_sel:[0,1]
	s_and_saveexec_b64 s[20:21], s[0:1]
	s_cbranch_execz .LBB230_359
; %bb.356:                              ;   in Loop: Header=BB230_243 Depth=1
	v_and_b32_sdwa v41, v40, s36 dst_sel:DWORD dst_unused:UNUSED_PAD src0_sel:BYTE_1 src1_sel:DWORD
	s_mov_b32 s10, s12
	v_cmp_ne_u32_e64 s[0:1], s36, v41
	v_pk_mov_b32 v[44:45], s[10:11], s[10:11] op_sel:[0,1]
	s_and_saveexec_b64 s[24:25], s[0:1]
	s_cbranch_execz .LBB230_358
; %bb.357:                              ;   in Loop: Header=BB230_243 Depth=1
	v_and_b32_sdwa v18, v40, v68 dst_sel:DWORD dst_unused:UNUSED_PAD src0_sel:BYTE_1 src1_sel:DWORD
	v_ffbh_u32_e32 v44, v18
	v_min_u32_e32 v47, 32, v44
	v_subrev_u32_e32 v44, 28, v47
	v_lshlrev_b64 v[44:45], v44, v[18:19]
	v_lshrrev_b32_e32 v46, 3, v41
	v_sub_u32_e32 v45, 29, v47
	v_cmp_gt_u32_e64 s[0:1], 8, v41
	v_and_b32_e32 v44, 7, v44
	v_cndmask_b32_e64 v41, v46, v45, s[0:1]
	v_cndmask_b32_e64 v18, v18, v44, s[0:1]
	v_lshlrev_b32_e32 v44, 16, v40
	v_lshl_add_u32 v41, v41, 23, v67
	v_and_or_b32 v41, v44, s13, v41
	v_lshlrev_b32_e32 v18, 20, v18
	v_or_b32_e32 v45, v41, v18
	v_mov_b32_e32 v44, v19
.LBB230_358:                            ;   in Loop: Header=BB230_243 Depth=1
	s_or_b64 exec, exec, s[24:25]
.LBB230_359:                            ;   in Loop: Header=BB230_243 Depth=1
	s_or_b64 exec, exec, s[20:21]
.LBB230_360:                            ;   in Loop: Header=BB230_243 Depth=1
	s_or_b64 exec, exec, s[18:19]
	v_lshrrev_b32_e32 v18, 16, v40
	v_pk_mov_b32 v[48:49], 0, 0
	v_cmp_ne_u16_sdwa s[0:1], v18, v19 src0_sel:BYTE_0 src1_sel:DWORD
	v_pk_mov_b32 v[46:47], v[48:49], v[48:49] op_sel:[0,1]
	s_and_saveexec_b64 s[18:19], s[0:1]
	s_cbranch_execz .LBB230_366
; %bb.361:                              ;   in Loop: Header=BB230_243 Depth=1
	v_bfrev_b32_e32 v46, 1
	v_cmp_ne_u16_sdwa s[0:1], v18, s34 src0_sel:BYTE_0 src1_sel:DWORD
	v_mov_b32_e32 v47, 0
	s_and_saveexec_b64 s[20:21], s[0:1]
	s_cbranch_execz .LBB230_365
; %bb.362:                              ;   in Loop: Header=BB230_243 Depth=1
	v_bfe_u32 v41, v40, 16, 7
	v_mov_b32_e32 v46, 0x7f800001
	v_cmp_ne_u32_e64 s[0:1], s36, v41
	v_mov_b32_e32 v47, 0
	s_and_saveexec_b64 s[24:25], s[0:1]
	s_cbranch_execz .LBB230_364
; %bb.363:                              ;   in Loop: Header=BB230_243 Depth=1
	v_and_b32_e32 v50, 7, v18
	v_ffbh_u32_e32 v46, v50
	v_min_u32_e32 v52, 32, v46
	v_subrev_u32_e32 v46, 28, v52
	v_lshlrev_b64 v[46:47], v46, v[18:19]
	v_lshrrev_b32_e32 v51, 3, v41
	v_sub_u32_e32 v47, 29, v52
	v_and_b32_e32 v46, 7, v46
	v_cmp_gt_u32_e64 s[0:1], 8, v41
	v_cndmask_b32_e64 v41, v51, v47, s[0:1]
	v_cndmask_b32_e64 v46, v50, v46, s[0:1]
	v_lshlrev_b32_e32 v46, 20, v46
	v_and_b32_sdwa v18, sext(v18), s13 dst_sel:DWORD dst_unused:UNUSED_PAD src0_sel:BYTE_0 src1_sel:DWORD
	v_lshl_add_u32 v41, v41, 23, v67
	v_or3_b32 v18, v18, v41, v46
	v_pk_mov_b32 v[46:47], v[18:19], v[18:19] op_sel:[0,1]
.LBB230_364:                            ;   in Loop: Header=BB230_243 Depth=1
	s_or_b64 exec, exec, s[24:25]
.LBB230_365:                            ;   in Loop: Header=BB230_243 Depth=1
	s_or_b64 exec, exec, s[20:21]
.LBB230_366:                            ;   in Loop: Header=BB230_243 Depth=1
	s_or_b64 exec, exec, s[18:19]
	v_cmp_lt_u32_e64 s[0:1], s37, v40
	s_and_saveexec_b64 s[18:19], s[0:1]
	s_cbranch_execz .LBB230_372
; %bb.367:                              ;   in Loop: Header=BB230_243 Depth=1
	v_cmp_ne_u32_sdwa s[0:1], v40, s34 src0_sel:BYTE_3 src1_sel:DWORD
	v_pk_mov_b32 v[48:49], s[12:13], s[12:13] op_sel:[0,1]
	s_and_saveexec_b64 s[20:21], s[0:1]
	s_cbranch_execz .LBB230_371
; %bb.368:                              ;   in Loop: Header=BB230_243 Depth=1
	v_bfe_u32 v41, v40, 24, 7
	s_mov_b32 s10, s12
	v_cmp_ne_u32_e64 s[0:1], s36, v41
	v_pk_mov_b32 v[48:49], s[10:11], s[10:11] op_sel:[0,1]
	s_and_saveexec_b64 s[24:25], s[0:1]
	s_cbranch_execz .LBB230_370
; %bb.369:                              ;   in Loop: Header=BB230_243 Depth=1
	v_and_b32_sdwa v18, v40, v68 dst_sel:DWORD dst_unused:UNUSED_PAD src0_sel:BYTE_3 src1_sel:DWORD
	v_ffbh_u32_e32 v48, v18
	v_min_u32_e32 v51, 32, v48
	v_subrev_u32_e32 v48, 28, v51
	v_lshlrev_b64 v[48:49], v48, v[18:19]
	v_lshrrev_b32_e32 v50, 3, v41
	v_sub_u32_e32 v49, 29, v51
	v_cmp_gt_u32_e64 s[0:1], 8, v41
	v_and_b32_e32 v48, 7, v48
	v_cndmask_b32_e64 v41, v50, v49, s[0:1]
	v_cndmask_b32_e64 v18, v18, v48, s[0:1]
	v_lshlrev_b32_sdwa v40, v69, v40 dst_sel:DWORD dst_unused:UNUSED_PAD src0_sel:DWORD src1_sel:BYTE_3
	v_lshl_add_u32 v41, v41, 23, v67
	v_and_or_b32 v40, v40, s13, v41
	v_lshlrev_b32_e32 v18, 20, v18
	v_or_b32_e32 v49, v40, v18
	v_mov_b32_e32 v48, v19
.LBB230_370:                            ;   in Loop: Header=BB230_243 Depth=1
	s_or_b64 exec, exec, s[24:25]
.LBB230_371:                            ;   in Loop: Header=BB230_243 Depth=1
	s_or_b64 exec, exec, s[20:21]
.LBB230_372:                            ;   in Loop: Header=BB230_243 Depth=1
	s_or_b64 exec, exec, s[18:19]
	v_or_b32_e32 v41, v45, v43
	v_or_b32_e32 v40, v44, v42
	;; [unrolled: 1-line block ×4, first 2 shown]
	v_pk_mul_f32 v[40:41], s[16:17], v[40:41]
	v_pk_mul_f32 v[42:43], s[16:17], v[42:43]
	s_and_saveexec_b64 s[18:19], vcc
; %bb.373:                              ;   in Loop: Header=BB230_243 Depth=1
	v_cmp_gt_i32_e64 s[0:1], s33, v70
	v_cndmask_b32_e64 v40, 0, v40, s[0:1]
	v_cmp_gt_i32_e64 s[0:1], s33, v73
	v_cndmask_b32_e64 v41, 0, v41, s[0:1]
	;; [unrolled: 2-line block ×4, first 2 shown]
; %bb.374:                              ;   in Loop: Header=BB230_243 Depth=1
	s_or_b64 exec, exec, s[18:19]
	global_load_dword v44, v[24:25], off offset:1280
	v_pk_mov_b32 v[48:49], 0, 0
	v_pk_mov_b32 v[46:47], v[48:49], v[48:49] op_sel:[0,1]
	s_waitcnt vmcnt(0)
	v_cmp_ne_u16_sdwa s[0:1], v44, v19 src0_sel:BYTE_0 src1_sel:DWORD
	s_and_saveexec_b64 s[18:19], s[0:1]
	s_cbranch_execz .LBB230_380
; %bb.375:                              ;   in Loop: Header=BB230_243 Depth=1
	v_bfrev_b32_e32 v46, 1
	v_cmp_ne_u16_sdwa s[0:1], v44, s34 src0_sel:BYTE_0 src1_sel:DWORD
	v_mov_b32_e32 v47, 0
	s_and_saveexec_b64 s[20:21], s[0:1]
	s_cbranch_execz .LBB230_379
; %bb.376:                              ;   in Loop: Header=BB230_243 Depth=1
	v_and_b32_e32 v18, 0x7f, v44
	v_mov_b32_e32 v46, 0x7f800001
	v_cmp_ne_u32_e64 s[0:1], s36, v18
	v_mov_b32_e32 v47, 0
	s_and_saveexec_b64 s[24:25], s[0:1]
	s_cbranch_execz .LBB230_378
; %bb.377:                              ;   in Loop: Header=BB230_243 Depth=1
	v_and_b32_e32 v45, 7, v44
	v_ffbh_u32_e32 v46, v45
	v_min_u32_e32 v51, 32, v46
	v_subrev_u32_e32 v46, 28, v51
	v_lshlrev_b64 v[46:47], v46, v[44:45]
	v_lshrrev_b32_e32 v50, 3, v18
	v_sub_u32_e32 v47, 29, v51
	v_and_b32_e32 v46, 7, v46
	v_cmp_gt_u32_e64 s[0:1], 8, v18
	v_cndmask_b32_e64 v18, v50, v47, s[0:1]
	v_cndmask_b32_e64 v45, v45, v46, s[0:1]
	v_lshlrev_b32_e32 v45, 20, v45
	v_and_b32_sdwa v46, sext(v44), s13 dst_sel:DWORD dst_unused:UNUSED_PAD src0_sel:BYTE_0 src1_sel:DWORD
	v_lshl_add_u32 v18, v18, 23, v67
	v_or3_b32 v18, v46, v18, v45
	v_pk_mov_b32 v[46:47], v[18:19], v[18:19] op_sel:[0,1]
.LBB230_378:                            ;   in Loop: Header=BB230_243 Depth=1
	s_or_b64 exec, exec, s[24:25]
.LBB230_379:                            ;   in Loop: Header=BB230_243 Depth=1
	s_or_b64 exec, exec, s[20:21]
.LBB230_380:                            ;   in Loop: Header=BB230_243 Depth=1
	s_or_b64 exec, exec, s[18:19]
	v_cmp_ne_u16_sdwa s[0:1], v44, v19 src0_sel:BYTE_1 src1_sel:DWORD
	s_and_saveexec_b64 s[18:19], s[0:1]
	s_cbranch_execz .LBB230_386
; %bb.381:                              ;   in Loop: Header=BB230_243 Depth=1
	v_cmp_ne_u16_sdwa s[0:1], v44, s34 src0_sel:BYTE_1 src1_sel:DWORD
	v_pk_mov_b32 v[48:49], s[12:13], s[12:13] op_sel:[0,1]
	s_and_saveexec_b64 s[20:21], s[0:1]
	s_cbranch_execz .LBB230_385
; %bb.382:                              ;   in Loop: Header=BB230_243 Depth=1
	v_and_b32_sdwa v45, v44, s36 dst_sel:DWORD dst_unused:UNUSED_PAD src0_sel:BYTE_1 src1_sel:DWORD
	s_mov_b32 s10, s12
	v_cmp_ne_u32_e64 s[0:1], s36, v45
	v_pk_mov_b32 v[48:49], s[10:11], s[10:11] op_sel:[0,1]
	s_and_saveexec_b64 s[24:25], s[0:1]
	s_cbranch_execz .LBB230_384
; %bb.383:                              ;   in Loop: Header=BB230_243 Depth=1
	v_and_b32_sdwa v18, v44, v68 dst_sel:DWORD dst_unused:UNUSED_PAD src0_sel:BYTE_1 src1_sel:DWORD
	v_ffbh_u32_e32 v48, v18
	v_min_u32_e32 v51, 32, v48
	v_subrev_u32_e32 v48, 28, v51
	v_lshlrev_b64 v[48:49], v48, v[18:19]
	v_lshrrev_b32_e32 v50, 3, v45
	v_sub_u32_e32 v49, 29, v51
	v_cmp_gt_u32_e64 s[0:1], 8, v45
	v_and_b32_e32 v48, 7, v48
	v_cndmask_b32_e64 v45, v50, v49, s[0:1]
	v_cndmask_b32_e64 v18, v18, v48, s[0:1]
	v_lshlrev_b32_e32 v48, 16, v44
	v_lshl_add_u32 v45, v45, 23, v67
	v_and_or_b32 v45, v48, s13, v45
	v_lshlrev_b32_e32 v18, 20, v18
	v_or_b32_e32 v49, v45, v18
	v_mov_b32_e32 v48, v19
.LBB230_384:                            ;   in Loop: Header=BB230_243 Depth=1
	s_or_b64 exec, exec, s[24:25]
.LBB230_385:                            ;   in Loop: Header=BB230_243 Depth=1
	s_or_b64 exec, exec, s[20:21]
.LBB230_386:                            ;   in Loop: Header=BB230_243 Depth=1
	s_or_b64 exec, exec, s[18:19]
	v_lshrrev_b32_e32 v18, 16, v44
	v_pk_mov_b32 v[52:53], 0, 0
	v_cmp_ne_u16_sdwa s[0:1], v18, v19 src0_sel:BYTE_0 src1_sel:DWORD
	v_pk_mov_b32 v[50:51], v[52:53], v[52:53] op_sel:[0,1]
	s_and_saveexec_b64 s[18:19], s[0:1]
	s_cbranch_execz .LBB230_392
; %bb.387:                              ;   in Loop: Header=BB230_243 Depth=1
	v_bfrev_b32_e32 v50, 1
	v_cmp_ne_u16_sdwa s[0:1], v18, s34 src0_sel:BYTE_0 src1_sel:DWORD
	v_mov_b32_e32 v51, 0
	s_and_saveexec_b64 s[20:21], s[0:1]
	s_cbranch_execz .LBB230_391
; %bb.388:                              ;   in Loop: Header=BB230_243 Depth=1
	v_bfe_u32 v45, v44, 16, 7
	v_mov_b32_e32 v50, 0x7f800001
	v_cmp_ne_u32_e64 s[0:1], s36, v45
	v_mov_b32_e32 v51, 0
	s_and_saveexec_b64 s[24:25], s[0:1]
	s_cbranch_execz .LBB230_390
; %bb.389:                              ;   in Loop: Header=BB230_243 Depth=1
	v_and_b32_e32 v54, 7, v18
	v_ffbh_u32_e32 v50, v54
	v_min_u32_e32 v56, 32, v50
	v_subrev_u32_e32 v50, 28, v56
	v_lshlrev_b64 v[50:51], v50, v[18:19]
	v_lshrrev_b32_e32 v55, 3, v45
	v_sub_u32_e32 v51, 29, v56
	v_and_b32_e32 v50, 7, v50
	v_cmp_gt_u32_e64 s[0:1], 8, v45
	v_cndmask_b32_e64 v45, v55, v51, s[0:1]
	v_cndmask_b32_e64 v50, v54, v50, s[0:1]
	v_lshlrev_b32_e32 v50, 20, v50
	v_and_b32_sdwa v18, sext(v18), s13 dst_sel:DWORD dst_unused:UNUSED_PAD src0_sel:BYTE_0 src1_sel:DWORD
	v_lshl_add_u32 v45, v45, 23, v67
	v_or3_b32 v18, v18, v45, v50
	v_pk_mov_b32 v[50:51], v[18:19], v[18:19] op_sel:[0,1]
.LBB230_390:                            ;   in Loop: Header=BB230_243 Depth=1
	s_or_b64 exec, exec, s[24:25]
.LBB230_391:                            ;   in Loop: Header=BB230_243 Depth=1
	s_or_b64 exec, exec, s[20:21]
.LBB230_392:                            ;   in Loop: Header=BB230_243 Depth=1
	s_or_b64 exec, exec, s[18:19]
	v_cmp_lt_u32_e64 s[0:1], s37, v44
	s_and_saveexec_b64 s[18:19], s[0:1]
	s_cbranch_execz .LBB230_398
; %bb.393:                              ;   in Loop: Header=BB230_243 Depth=1
	v_cmp_ne_u32_sdwa s[0:1], v44, s34 src0_sel:BYTE_3 src1_sel:DWORD
	v_pk_mov_b32 v[52:53], s[12:13], s[12:13] op_sel:[0,1]
	s_and_saveexec_b64 s[20:21], s[0:1]
	s_cbranch_execz .LBB230_397
; %bb.394:                              ;   in Loop: Header=BB230_243 Depth=1
	v_bfe_u32 v45, v44, 24, 7
	s_mov_b32 s10, s12
	v_cmp_ne_u32_e64 s[0:1], s36, v45
	v_pk_mov_b32 v[52:53], s[10:11], s[10:11] op_sel:[0,1]
	s_and_saveexec_b64 s[24:25], s[0:1]
	s_cbranch_execz .LBB230_396
; %bb.395:                              ;   in Loop: Header=BB230_243 Depth=1
	v_and_b32_sdwa v18, v44, v68 dst_sel:DWORD dst_unused:UNUSED_PAD src0_sel:BYTE_3 src1_sel:DWORD
	v_ffbh_u32_e32 v52, v18
	v_min_u32_e32 v55, 32, v52
	v_subrev_u32_e32 v52, 28, v55
	v_lshlrev_b64 v[52:53], v52, v[18:19]
	v_lshrrev_b32_e32 v54, 3, v45
	v_sub_u32_e32 v53, 29, v55
	v_cmp_gt_u32_e64 s[0:1], 8, v45
	v_and_b32_e32 v52, 7, v52
	v_cndmask_b32_e64 v45, v54, v53, s[0:1]
	v_cndmask_b32_e64 v18, v18, v52, s[0:1]
	v_lshlrev_b32_sdwa v44, v69, v44 dst_sel:DWORD dst_unused:UNUSED_PAD src0_sel:DWORD src1_sel:BYTE_3
	v_lshl_add_u32 v45, v45, 23, v67
	v_and_or_b32 v44, v44, s13, v45
	v_lshlrev_b32_e32 v18, 20, v18
	v_or_b32_e32 v53, v44, v18
	v_mov_b32_e32 v52, v19
.LBB230_396:                            ;   in Loop: Header=BB230_243 Depth=1
	s_or_b64 exec, exec, s[24:25]
.LBB230_397:                            ;   in Loop: Header=BB230_243 Depth=1
	s_or_b64 exec, exec, s[20:21]
.LBB230_398:                            ;   in Loop: Header=BB230_243 Depth=1
	s_or_b64 exec, exec, s[18:19]
	v_or_b32_e32 v45, v49, v47
	v_or_b32_e32 v44, v48, v46
	;; [unrolled: 1-line block ×4, first 2 shown]
	v_pk_mul_f32 v[44:45], s[16:17], v[44:45]
	v_pk_mul_f32 v[46:47], s[16:17], v[46:47]
	s_and_saveexec_b64 s[18:19], vcc
; %bb.399:                              ;   in Loop: Header=BB230_243 Depth=1
	v_cmp_gt_i32_e64 s[0:1], s33, v70
	v_cndmask_b32_e64 v44, 0, v44, s[0:1]
	v_cmp_gt_i32_e64 s[0:1], s33, v73
	v_cndmask_b32_e64 v45, 0, v45, s[0:1]
	;; [unrolled: 2-line block ×4, first 2 shown]
; %bb.400:                              ;   in Loop: Header=BB230_243 Depth=1
	s_or_b64 exec, exec, s[18:19]
	global_load_dword v48, v[24:25], off offset:1536
	v_pk_mov_b32 v[52:53], 0, 0
	v_pk_mov_b32 v[50:51], v[52:53], v[52:53] op_sel:[0,1]
	s_waitcnt vmcnt(0)
	v_cmp_ne_u16_sdwa s[0:1], v48, v19 src0_sel:BYTE_0 src1_sel:DWORD
	s_and_saveexec_b64 s[18:19], s[0:1]
	s_cbranch_execz .LBB230_406
; %bb.401:                              ;   in Loop: Header=BB230_243 Depth=1
	v_bfrev_b32_e32 v50, 1
	v_cmp_ne_u16_sdwa s[0:1], v48, s34 src0_sel:BYTE_0 src1_sel:DWORD
	v_mov_b32_e32 v51, 0
	s_and_saveexec_b64 s[20:21], s[0:1]
	s_cbranch_execz .LBB230_405
; %bb.402:                              ;   in Loop: Header=BB230_243 Depth=1
	v_and_b32_e32 v18, 0x7f, v48
	v_mov_b32_e32 v50, 0x7f800001
	v_cmp_ne_u32_e64 s[0:1], s36, v18
	v_mov_b32_e32 v51, 0
	s_and_saveexec_b64 s[24:25], s[0:1]
	s_cbranch_execz .LBB230_404
; %bb.403:                              ;   in Loop: Header=BB230_243 Depth=1
	v_and_b32_e32 v49, 7, v48
	v_ffbh_u32_e32 v50, v49
	v_min_u32_e32 v55, 32, v50
	v_subrev_u32_e32 v50, 28, v55
	v_lshlrev_b64 v[50:51], v50, v[48:49]
	v_lshrrev_b32_e32 v54, 3, v18
	v_sub_u32_e32 v51, 29, v55
	v_and_b32_e32 v50, 7, v50
	v_cmp_gt_u32_e64 s[0:1], 8, v18
	v_cndmask_b32_e64 v18, v54, v51, s[0:1]
	v_cndmask_b32_e64 v49, v49, v50, s[0:1]
	v_lshlrev_b32_e32 v49, 20, v49
	v_and_b32_sdwa v50, sext(v48), s13 dst_sel:DWORD dst_unused:UNUSED_PAD src0_sel:BYTE_0 src1_sel:DWORD
	v_lshl_add_u32 v18, v18, 23, v67
	v_or3_b32 v18, v50, v18, v49
	v_pk_mov_b32 v[50:51], v[18:19], v[18:19] op_sel:[0,1]
.LBB230_404:                            ;   in Loop: Header=BB230_243 Depth=1
	s_or_b64 exec, exec, s[24:25]
.LBB230_405:                            ;   in Loop: Header=BB230_243 Depth=1
	s_or_b64 exec, exec, s[20:21]
.LBB230_406:                            ;   in Loop: Header=BB230_243 Depth=1
	s_or_b64 exec, exec, s[18:19]
	v_cmp_ne_u16_sdwa s[0:1], v48, v19 src0_sel:BYTE_1 src1_sel:DWORD
	s_and_saveexec_b64 s[18:19], s[0:1]
	s_cbranch_execz .LBB230_412
; %bb.407:                              ;   in Loop: Header=BB230_243 Depth=1
	v_cmp_ne_u16_sdwa s[0:1], v48, s34 src0_sel:BYTE_1 src1_sel:DWORD
	v_pk_mov_b32 v[52:53], s[12:13], s[12:13] op_sel:[0,1]
	s_and_saveexec_b64 s[20:21], s[0:1]
	s_cbranch_execz .LBB230_411
; %bb.408:                              ;   in Loop: Header=BB230_243 Depth=1
	v_and_b32_sdwa v49, v48, s36 dst_sel:DWORD dst_unused:UNUSED_PAD src0_sel:BYTE_1 src1_sel:DWORD
	s_mov_b32 s10, s12
	v_cmp_ne_u32_e64 s[0:1], s36, v49
	v_pk_mov_b32 v[52:53], s[10:11], s[10:11] op_sel:[0,1]
	s_and_saveexec_b64 s[24:25], s[0:1]
	s_cbranch_execz .LBB230_410
; %bb.409:                              ;   in Loop: Header=BB230_243 Depth=1
	v_and_b32_sdwa v18, v48, v68 dst_sel:DWORD dst_unused:UNUSED_PAD src0_sel:BYTE_1 src1_sel:DWORD
	v_ffbh_u32_e32 v52, v18
	v_min_u32_e32 v55, 32, v52
	v_subrev_u32_e32 v52, 28, v55
	v_lshlrev_b64 v[52:53], v52, v[18:19]
	v_lshrrev_b32_e32 v54, 3, v49
	v_sub_u32_e32 v53, 29, v55
	v_cmp_gt_u32_e64 s[0:1], 8, v49
	v_and_b32_e32 v52, 7, v52
	v_cndmask_b32_e64 v49, v54, v53, s[0:1]
	v_cndmask_b32_e64 v18, v18, v52, s[0:1]
	v_lshlrev_b32_e32 v52, 16, v48
	v_lshl_add_u32 v49, v49, 23, v67
	v_and_or_b32 v49, v52, s13, v49
	v_lshlrev_b32_e32 v18, 20, v18
	v_or_b32_e32 v53, v49, v18
	v_mov_b32_e32 v52, v19
.LBB230_410:                            ;   in Loop: Header=BB230_243 Depth=1
	s_or_b64 exec, exec, s[24:25]
.LBB230_411:                            ;   in Loop: Header=BB230_243 Depth=1
	s_or_b64 exec, exec, s[20:21]
.LBB230_412:                            ;   in Loop: Header=BB230_243 Depth=1
	s_or_b64 exec, exec, s[18:19]
	v_lshrrev_b32_e32 v18, 16, v48
	v_pk_mov_b32 v[56:57], 0, 0
	v_cmp_ne_u16_sdwa s[0:1], v18, v19 src0_sel:BYTE_0 src1_sel:DWORD
	v_pk_mov_b32 v[54:55], v[56:57], v[56:57] op_sel:[0,1]
	s_and_saveexec_b64 s[18:19], s[0:1]
	s_cbranch_execz .LBB230_418
; %bb.413:                              ;   in Loop: Header=BB230_243 Depth=1
	v_bfrev_b32_e32 v54, 1
	v_cmp_ne_u16_sdwa s[0:1], v18, s34 src0_sel:BYTE_0 src1_sel:DWORD
	v_mov_b32_e32 v55, 0
	s_and_saveexec_b64 s[20:21], s[0:1]
	s_cbranch_execz .LBB230_417
; %bb.414:                              ;   in Loop: Header=BB230_243 Depth=1
	v_bfe_u32 v49, v48, 16, 7
	v_mov_b32_e32 v54, 0x7f800001
	v_cmp_ne_u32_e64 s[0:1], s36, v49
	v_mov_b32_e32 v55, 0
	s_and_saveexec_b64 s[24:25], s[0:1]
	s_cbranch_execz .LBB230_416
; %bb.415:                              ;   in Loop: Header=BB230_243 Depth=1
	v_and_b32_e32 v58, 7, v18
	v_ffbh_u32_e32 v54, v58
	v_min_u32_e32 v74, 32, v54
	v_subrev_u32_e32 v54, 28, v74
	v_lshlrev_b64 v[54:55], v54, v[18:19]
	v_lshrrev_b32_e32 v59, 3, v49
	v_sub_u32_e32 v55, 29, v74
	v_and_b32_e32 v54, 7, v54
	v_cmp_gt_u32_e64 s[0:1], 8, v49
	v_cndmask_b32_e64 v49, v59, v55, s[0:1]
	v_cndmask_b32_e64 v54, v58, v54, s[0:1]
	v_lshlrev_b32_e32 v54, 20, v54
	v_and_b32_sdwa v18, sext(v18), s13 dst_sel:DWORD dst_unused:UNUSED_PAD src0_sel:BYTE_0 src1_sel:DWORD
	v_lshl_add_u32 v49, v49, 23, v67
	v_or3_b32 v18, v18, v49, v54
	v_pk_mov_b32 v[54:55], v[18:19], v[18:19] op_sel:[0,1]
.LBB230_416:                            ;   in Loop: Header=BB230_243 Depth=1
	s_or_b64 exec, exec, s[24:25]
.LBB230_417:                            ;   in Loop: Header=BB230_243 Depth=1
	s_or_b64 exec, exec, s[20:21]
.LBB230_418:                            ;   in Loop: Header=BB230_243 Depth=1
	s_or_b64 exec, exec, s[18:19]
	v_cmp_lt_u32_e64 s[0:1], s37, v48
	s_and_saveexec_b64 s[18:19], s[0:1]
	s_cbranch_execz .LBB230_424
; %bb.419:                              ;   in Loop: Header=BB230_243 Depth=1
	v_cmp_ne_u32_sdwa s[0:1], v48, s34 src0_sel:BYTE_3 src1_sel:DWORD
	v_pk_mov_b32 v[56:57], s[12:13], s[12:13] op_sel:[0,1]
	s_and_saveexec_b64 s[20:21], s[0:1]
	s_cbranch_execz .LBB230_423
; %bb.420:                              ;   in Loop: Header=BB230_243 Depth=1
	v_bfe_u32 v49, v48, 24, 7
	s_mov_b32 s10, s12
	v_cmp_ne_u32_e64 s[0:1], s36, v49
	v_pk_mov_b32 v[56:57], s[10:11], s[10:11] op_sel:[0,1]
	s_and_saveexec_b64 s[24:25], s[0:1]
	s_cbranch_execz .LBB230_422
; %bb.421:                              ;   in Loop: Header=BB230_243 Depth=1
	v_and_b32_sdwa v18, v48, v68 dst_sel:DWORD dst_unused:UNUSED_PAD src0_sel:BYTE_3 src1_sel:DWORD
	v_ffbh_u32_e32 v56, v18
	v_min_u32_e32 v59, 32, v56
	v_subrev_u32_e32 v56, 28, v59
	v_lshlrev_b64 v[56:57], v56, v[18:19]
	v_lshrrev_b32_e32 v58, 3, v49
	v_sub_u32_e32 v57, 29, v59
	v_cmp_gt_u32_e64 s[0:1], 8, v49
	v_and_b32_e32 v56, 7, v56
	v_cndmask_b32_e64 v49, v58, v57, s[0:1]
	v_cndmask_b32_e64 v18, v18, v56, s[0:1]
	v_lshlrev_b32_sdwa v48, v69, v48 dst_sel:DWORD dst_unused:UNUSED_PAD src0_sel:DWORD src1_sel:BYTE_3
	v_lshl_add_u32 v49, v49, 23, v67
	v_and_or_b32 v48, v48, s13, v49
	v_lshlrev_b32_e32 v18, 20, v18
	v_or_b32_e32 v57, v48, v18
	v_mov_b32_e32 v56, v19
.LBB230_422:                            ;   in Loop: Header=BB230_243 Depth=1
	s_or_b64 exec, exec, s[24:25]
.LBB230_423:                            ;   in Loop: Header=BB230_243 Depth=1
	s_or_b64 exec, exec, s[20:21]
.LBB230_424:                            ;   in Loop: Header=BB230_243 Depth=1
	s_or_b64 exec, exec, s[18:19]
	v_or_b32_e32 v49, v53, v51
	v_or_b32_e32 v48, v52, v50
	;; [unrolled: 1-line block ×4, first 2 shown]
	v_pk_mul_f32 v[48:49], s[16:17], v[48:49]
	v_pk_mul_f32 v[50:51], s[16:17], v[50:51]
	s_and_saveexec_b64 s[18:19], vcc
; %bb.425:                              ;   in Loop: Header=BB230_243 Depth=1
	v_cmp_gt_i32_e64 s[0:1], s33, v70
	v_cndmask_b32_e64 v48, 0, v48, s[0:1]
	v_cmp_gt_i32_e64 s[0:1], s33, v73
	v_cndmask_b32_e64 v49, 0, v49, s[0:1]
	;; [unrolled: 2-line block ×4, first 2 shown]
; %bb.426:                              ;   in Loop: Header=BB230_243 Depth=1
	s_or_b64 exec, exec, s[18:19]
	global_load_dword v24, v[24:25], off offset:1792
	v_pk_mov_b32 v[54:55], 0, 0
	v_pk_mov_b32 v[52:53], v[54:55], v[54:55] op_sel:[0,1]
	s_waitcnt vmcnt(0)
	v_cmp_ne_u16_sdwa s[0:1], v24, v19 src0_sel:BYTE_0 src1_sel:DWORD
	s_and_saveexec_b64 s[18:19], s[0:1]
	s_cbranch_execz .LBB230_432
; %bb.427:                              ;   in Loop: Header=BB230_243 Depth=1
	v_bfrev_b32_e32 v52, 1
	v_cmp_ne_u16_sdwa s[0:1], v24, s34 src0_sel:BYTE_0 src1_sel:DWORD
	v_mov_b32_e32 v53, 0
	s_and_saveexec_b64 s[20:21], s[0:1]
	s_cbranch_execz .LBB230_431
; %bb.428:                              ;   in Loop: Header=BB230_243 Depth=1
	v_and_b32_e32 v18, 0x7f, v24
	v_mov_b32_e32 v52, 0x7f800001
	v_cmp_ne_u32_e64 s[0:1], s36, v18
	v_mov_b32_e32 v53, 0
	s_and_saveexec_b64 s[24:25], s[0:1]
	s_cbranch_execz .LBB230_430
; %bb.429:                              ;   in Loop: Header=BB230_243 Depth=1
	v_and_b32_e32 v25, 7, v24
	v_ffbh_u32_e32 v52, v25
	v_min_u32_e32 v57, 32, v52
	v_subrev_u32_e32 v52, 28, v57
	v_lshlrev_b64 v[52:53], v52, v[24:25]
	v_lshrrev_b32_e32 v56, 3, v18
	v_sub_u32_e32 v53, 29, v57
	v_and_b32_e32 v52, 7, v52
	v_cmp_gt_u32_e64 s[0:1], 8, v18
	v_cndmask_b32_e64 v18, v56, v53, s[0:1]
	v_cndmask_b32_e64 v25, v25, v52, s[0:1]
	v_lshlrev_b32_e32 v25, 20, v25
	v_and_b32_sdwa v52, sext(v24), s13 dst_sel:DWORD dst_unused:UNUSED_PAD src0_sel:BYTE_0 src1_sel:DWORD
	v_lshl_add_u32 v18, v18, 23, v67
	v_or3_b32 v18, v52, v18, v25
	v_pk_mov_b32 v[52:53], v[18:19], v[18:19] op_sel:[0,1]
.LBB230_430:                            ;   in Loop: Header=BB230_243 Depth=1
	s_or_b64 exec, exec, s[24:25]
.LBB230_431:                            ;   in Loop: Header=BB230_243 Depth=1
	s_or_b64 exec, exec, s[20:21]
.LBB230_432:                            ;   in Loop: Header=BB230_243 Depth=1
	s_or_b64 exec, exec, s[18:19]
	v_cmp_ne_u16_sdwa s[0:1], v24, v19 src0_sel:BYTE_1 src1_sel:DWORD
	s_and_saveexec_b64 s[18:19], s[0:1]
	s_cbranch_execz .LBB230_438
; %bb.433:                              ;   in Loop: Header=BB230_243 Depth=1
	v_cmp_ne_u16_sdwa s[0:1], v24, s34 src0_sel:BYTE_1 src1_sel:DWORD
	v_pk_mov_b32 v[54:55], s[12:13], s[12:13] op_sel:[0,1]
	s_and_saveexec_b64 s[20:21], s[0:1]
	s_cbranch_execz .LBB230_437
; %bb.434:                              ;   in Loop: Header=BB230_243 Depth=1
	v_and_b32_sdwa v25, v24, s36 dst_sel:DWORD dst_unused:UNUSED_PAD src0_sel:BYTE_1 src1_sel:DWORD
	s_mov_b32 s10, s12
	v_cmp_ne_u32_e64 s[0:1], s36, v25
	v_pk_mov_b32 v[54:55], s[10:11], s[10:11] op_sel:[0,1]
	s_and_saveexec_b64 s[24:25], s[0:1]
	s_cbranch_execz .LBB230_436
; %bb.435:                              ;   in Loop: Header=BB230_243 Depth=1
	v_and_b32_sdwa v18, v24, v68 dst_sel:DWORD dst_unused:UNUSED_PAD src0_sel:BYTE_1 src1_sel:DWORD
	v_ffbh_u32_e32 v54, v18
	v_min_u32_e32 v57, 32, v54
	v_subrev_u32_e32 v54, 28, v57
	v_lshlrev_b64 v[54:55], v54, v[18:19]
	v_lshrrev_b32_e32 v56, 3, v25
	v_sub_u32_e32 v55, 29, v57
	v_cmp_gt_u32_e64 s[0:1], 8, v25
	v_and_b32_e32 v54, 7, v54
	v_cndmask_b32_e64 v25, v56, v55, s[0:1]
	v_cndmask_b32_e64 v18, v18, v54, s[0:1]
	v_lshlrev_b32_e32 v54, 16, v24
	v_lshl_add_u32 v25, v25, 23, v67
	v_and_or_b32 v25, v54, s13, v25
	v_lshlrev_b32_e32 v18, 20, v18
	v_or_b32_e32 v55, v25, v18
	v_mov_b32_e32 v54, v19
.LBB230_436:                            ;   in Loop: Header=BB230_243 Depth=1
	s_or_b64 exec, exec, s[24:25]
.LBB230_437:                            ;   in Loop: Header=BB230_243 Depth=1
	s_or_b64 exec, exec, s[20:21]
.LBB230_438:                            ;   in Loop: Header=BB230_243 Depth=1
	s_or_b64 exec, exec, s[18:19]
	v_lshrrev_b32_e32 v18, 16, v24
	v_pk_mov_b32 v[58:59], 0, 0
	v_cmp_ne_u16_sdwa s[0:1], v18, v19 src0_sel:BYTE_0 src1_sel:DWORD
	v_pk_mov_b32 v[56:57], v[58:59], v[58:59] op_sel:[0,1]
	s_and_saveexec_b64 s[18:19], s[0:1]
	s_cbranch_execz .LBB230_444
; %bb.439:                              ;   in Loop: Header=BB230_243 Depth=1
	v_bfrev_b32_e32 v56, 1
	v_cmp_ne_u16_sdwa s[0:1], v18, s34 src0_sel:BYTE_0 src1_sel:DWORD
	v_mov_b32_e32 v57, 0
	s_and_saveexec_b64 s[20:21], s[0:1]
	s_cbranch_execz .LBB230_443
; %bb.440:                              ;   in Loop: Header=BB230_243 Depth=1
	v_bfe_u32 v25, v24, 16, 7
	v_mov_b32_e32 v56, 0x7f800001
	v_cmp_ne_u32_e64 s[0:1], s36, v25
	v_mov_b32_e32 v57, 0
	s_and_saveexec_b64 s[24:25], s[0:1]
	s_cbranch_execz .LBB230_442
; %bb.441:                              ;   in Loop: Header=BB230_243 Depth=1
	v_and_b32_e32 v74, 7, v18
	v_ffbh_u32_e32 v56, v74
	v_min_u32_e32 v76, 32, v56
	v_subrev_u32_e32 v56, 28, v76
	v_lshlrev_b64 v[56:57], v56, v[18:19]
	v_lshrrev_b32_e32 v75, 3, v25
	v_sub_u32_e32 v57, 29, v76
	v_and_b32_e32 v56, 7, v56
	v_cmp_gt_u32_e64 s[0:1], 8, v25
	v_cndmask_b32_e64 v25, v75, v57, s[0:1]
	v_cndmask_b32_e64 v56, v74, v56, s[0:1]
	v_lshlrev_b32_e32 v56, 20, v56
	v_and_b32_sdwa v18, sext(v18), s13 dst_sel:DWORD dst_unused:UNUSED_PAD src0_sel:BYTE_0 src1_sel:DWORD
	v_lshl_add_u32 v25, v25, 23, v67
	v_or3_b32 v18, v18, v25, v56
	v_pk_mov_b32 v[56:57], v[18:19], v[18:19] op_sel:[0,1]
.LBB230_442:                            ;   in Loop: Header=BB230_243 Depth=1
	s_or_b64 exec, exec, s[24:25]
.LBB230_443:                            ;   in Loop: Header=BB230_243 Depth=1
	s_or_b64 exec, exec, s[20:21]
.LBB230_444:                            ;   in Loop: Header=BB230_243 Depth=1
	s_or_b64 exec, exec, s[18:19]
	v_cmp_lt_u32_e64 s[0:1], s37, v24
	s_and_saveexec_b64 s[18:19], s[0:1]
	s_cbranch_execz .LBB230_450
; %bb.445:                              ;   in Loop: Header=BB230_243 Depth=1
	v_cmp_ne_u32_sdwa s[0:1], v24, s34 src0_sel:BYTE_3 src1_sel:DWORD
	v_pk_mov_b32 v[58:59], s[12:13], s[12:13] op_sel:[0,1]
	s_and_saveexec_b64 s[20:21], s[0:1]
	s_cbranch_execz .LBB230_449
; %bb.446:                              ;   in Loop: Header=BB230_243 Depth=1
	v_bfe_u32 v25, v24, 24, 7
	s_mov_b32 s10, s12
	v_cmp_ne_u32_e64 s[0:1], s36, v25
	v_pk_mov_b32 v[58:59], s[10:11], s[10:11] op_sel:[0,1]
	s_and_saveexec_b64 s[24:25], s[0:1]
	s_cbranch_execz .LBB230_448
; %bb.447:                              ;   in Loop: Header=BB230_243 Depth=1
	v_and_b32_sdwa v18, v24, v68 dst_sel:DWORD dst_unused:UNUSED_PAD src0_sel:BYTE_3 src1_sel:DWORD
	v_ffbh_u32_e32 v58, v18
	v_min_u32_e32 v75, 32, v58
	v_subrev_u32_e32 v58, 28, v75
	v_lshlrev_b64 v[58:59], v58, v[18:19]
	v_lshrrev_b32_e32 v74, 3, v25
	v_sub_u32_e32 v59, 29, v75
	v_cmp_gt_u32_e64 s[0:1], 8, v25
	v_and_b32_e32 v58, 7, v58
	v_cndmask_b32_e64 v25, v74, v59, s[0:1]
	v_cndmask_b32_e64 v18, v18, v58, s[0:1]
	v_lshlrev_b32_sdwa v24, v69, v24 dst_sel:DWORD dst_unused:UNUSED_PAD src0_sel:DWORD src1_sel:BYTE_3
	v_lshl_add_u32 v25, v25, 23, v67
	v_and_or_b32 v24, v24, s13, v25
	v_lshlrev_b32_e32 v18, 20, v18
	v_or_b32_e32 v59, v24, v18
	v_mov_b32_e32 v58, v19
.LBB230_448:                            ;   in Loop: Header=BB230_243 Depth=1
	s_or_b64 exec, exec, s[24:25]
.LBB230_449:                            ;   in Loop: Header=BB230_243 Depth=1
	s_or_b64 exec, exec, s[20:21]
.LBB230_450:                            ;   in Loop: Header=BB230_243 Depth=1
	s_or_b64 exec, exec, s[18:19]
	v_or_b32_e32 v25, v55, v53
	v_or_b32_e32 v24, v54, v52
	v_or_b32_e32 v53, v59, v57
	v_or_b32_e32 v52, v58, v56
	v_pk_mul_f32 v[24:25], s[16:17], v[24:25]
	v_pk_mul_f32 v[52:53], s[16:17], v[52:53]
	s_and_saveexec_b64 s[0:1], vcc
	s_cbranch_execz .LBB230_241
; %bb.451:                              ;   in Loop: Header=BB230_243 Depth=1
	v_cmp_gt_i32_e32 vcc, s33, v70
	v_cndmask_b32_e32 v24, 0, v24, vcc
	v_cmp_gt_i32_e32 vcc, s33, v73
	v_cndmask_b32_e32 v25, 0, v25, vcc
	;; [unrolled: 2-line block ×4, first 2 shown]
	s_branch .LBB230_241
.LBB230_452:
	s_or_b64 exec, exec, s[6:7]
.LBB230_453:
	s_or_b64 exec, exec, s[4:5]
	ds_bpermute_b32 v12, v62, v4
	ds_bpermute_b32 v13, v62, v5
	;; [unrolled: 1-line block ×6, first 2 shown]
	s_waitcnt lgkmcnt(4)
	v_pk_add_f32 v[4:5], v[4:5], v[12:13]
	ds_bpermute_b32 v12, v61, v4
	ds_bpermute_b32 v13, v61, v5
	s_waitcnt lgkmcnt(4)
	v_pk_add_f32 v[2:3], v[2:3], v[10:11]
	s_waitcnt lgkmcnt(2)
	v_pk_add_f32 v[6:7], v[6:7], v[14:15]
	ds_bpermute_b32 v10, v61, v2
	ds_bpermute_b32 v11, v61, v3
	s_waitcnt lgkmcnt(2)
	v_pk_add_f32 v[4:5], v[4:5], v[12:13]
	ds_bpermute_b32 v12, v62, v8
	ds_bpermute_b32 v13, v62, v9
	;; [unrolled: 1-line block ×4, first 2 shown]
	s_waitcnt lgkmcnt(4)
	v_pk_add_f32 v[2:3], v[2:3], v[10:11]
	ds_bpermute_b32 v10, v63, v2
	s_waitcnt lgkmcnt(3)
	v_pk_add_f32 v[8:9], v[8:9], v[12:13]
	ds_bpermute_b32 v12, v61, v8
	ds_bpermute_b32 v13, v61, v9
	s_waitcnt lgkmcnt(3)
	v_pk_add_f32 v[14:15], v[6:7], v[14:15]
	ds_bpermute_b32 v11, v63, v3
	ds_bpermute_b32 v16, v63, v4
	;; [unrolled: 1-line block ×3, first 2 shown]
	s_waitcnt lgkmcnt(3)
	v_pk_add_f32 v[12:13], v[8:9], v[12:13]
	ds_bpermute_b32 v18, v63, v14
	ds_bpermute_b32 v19, v63, v15
	;; [unrolled: 1-line block ×4, first 2 shown]
	v_and_b32_e32 v1, 0x3c7, v0
	s_waitcnt lgkmcnt(6)
	v_pk_add_f32 v[8:9], v[2:3], v[10:11]
	s_waitcnt lgkmcnt(4)
	v_pk_add_f32 v[6:7], v[4:5], v[16:17]
	;; [unrolled: 2-line block ×4, first 2 shown]
	v_cmp_eq_u32_e32 vcc, 64, v1
	s_barrier
	s_and_saveexec_b64 s[0:1], vcc
	s_cbranch_execz .LBB230_455
; %bb.454:
	v_lshrrev_b32_e32 v10, 1, v60
	v_add_u32_e32 v10, 0x110, v10
	ds_write2_b32 v10, v8, v9 offset1:8
	ds_write2_b32 v10, v6, v7 offset0:16 offset1:24
	ds_write2_b32 v10, v2, v3 offset0:32 offset1:40
	;; [unrolled: 1-line block ×3, first 2 shown]
.LBB230_455:
	s_or_b64 exec, exec, s[0:1]
	v_cmp_gt_u32_e32 vcc, 64, v0
	s_waitcnt lgkmcnt(0)
	s_barrier
	s_and_saveexec_b64 s[0:1], vcc
	s_cbranch_execz .LBB230_466
; %bb.456:
	v_cmp_eq_u32_e32 vcc, 0, v64
	v_lshrrev_b32_e32 v10, 3, v0
	s_and_saveexec_b64 s[4:5], vcc
	s_cbranch_execnz .LBB230_469
; %bb.457:
	s_or_b64 exec, exec, s[4:5]
	s_and_saveexec_b64 s[4:5], vcc
	s_cbranch_execnz .LBB230_470
.LBB230_458:
	s_or_b64 exec, exec, s[4:5]
	s_and_saveexec_b64 s[4:5], vcc
	s_cbranch_execnz .LBB230_471
.LBB230_459:
	s_or_b64 exec, exec, s[4:5]
	s_and_saveexec_b64 s[4:5], vcc
	s_cbranch_execnz .LBB230_472
.LBB230_460:
	s_or_b64 exec, exec, s[4:5]
	s_and_saveexec_b64 s[4:5], vcc
	s_cbranch_execnz .LBB230_473
.LBB230_461:
	s_or_b64 exec, exec, s[4:5]
	s_and_saveexec_b64 s[4:5], vcc
	s_cbranch_execnz .LBB230_474
.LBB230_462:
	s_or_b64 exec, exec, s[4:5]
	s_and_saveexec_b64 s[4:5], vcc
	s_cbranch_execnz .LBB230_475
.LBB230_463:
	s_or_b64 exec, exec, s[4:5]
	s_and_saveexec_b64 s[4:5], vcc
	s_cbranch_execz .LBB230_465
.LBB230_464:
	v_mov_b32_e32 v11, 0x110
	v_lshl_add_u32 v10, v10, 2, v11
	ds_read_b32 v10, v10 offset:224
	s_waitcnt lgkmcnt(0)
	v_add_f32_e32 v5, v5, v10
.LBB230_465:
	s_or_b64 exec, exec, s[4:5]
.LBB230_466:
	s_or_b64 exec, exec, s[0:1]
	v_cmp_eq_u32_e32 vcc, 0, v1
	s_barrier
	s_and_saveexec_b64 s[0:1], vcc
	s_cbranch_execz .LBB230_468
; %bb.467:
	s_lshl_b32 s0, s2, 6
	s_ashr_i32 s1, s0, 31
	s_lshl_b64 s[0:1], s[0:1], 2
	s_add_u32 s2, s30, s0
	s_mul_i32 s0, s29, s28
	s_addc_u32 s3, s31, s1
	s_ashr_i32 s1, s0, 31
	s_lshl_b64 s[0:1], s[0:1], 2
	s_add_u32 s2, s2, s0
	s_addc_u32 s3, s3, s1
	s_lshl_b32 s0, s8, 6
	s_ashr_i32 s1, s0, 31
	s_lshl_b64 s[0:1], s[0:1], 2
	s_add_u32 s0, s2, s0
	s_addc_u32 s1, s3, s1
	v_lshrrev_b32_e32 v0, 1, v0
	global_store_dword v0, v8, s[0:1]
	global_store_dword v0, v9, s[0:1] offset:32
	global_store_dword v0, v6, s[0:1] offset:64
	;; [unrolled: 1-line block ×7, first 2 shown]
.LBB230_468:
	s_endpgm
.LBB230_469:
	v_mov_b32_e32 v11, 0x110
	v_lshl_add_u32 v11, v10, 2, v11
	ds_read_b32 v11, v11
	s_waitcnt lgkmcnt(0)
	v_add_f32_e32 v8, v8, v11
	s_or_b64 exec, exec, s[4:5]
	s_and_saveexec_b64 s[4:5], vcc
	s_cbranch_execz .LBB230_458
.LBB230_470:
	v_mov_b32_e32 v11, 0x110
	v_lshl_add_u32 v11, v10, 2, v11
	ds_read_b32 v11, v11 offset:32
	s_waitcnt lgkmcnt(0)
	v_add_f32_e32 v9, v9, v11
	s_or_b64 exec, exec, s[4:5]
	s_and_saveexec_b64 s[4:5], vcc
	s_cbranch_execz .LBB230_459
.LBB230_471:
	v_mov_b32_e32 v11, 0x110
	v_lshl_add_u32 v11, v10, 2, v11
	ds_read_b32 v11, v11 offset:64
	s_waitcnt lgkmcnt(0)
	v_add_f32_e32 v6, v6, v11
	s_or_b64 exec, exec, s[4:5]
	s_and_saveexec_b64 s[4:5], vcc
	s_cbranch_execz .LBB230_460
.LBB230_472:
	v_mov_b32_e32 v11, 0x110
	v_lshl_add_u32 v11, v10, 2, v11
	ds_read_b32 v11, v11 offset:96
	s_waitcnt lgkmcnt(0)
	v_add_f32_e32 v7, v7, v11
	s_or_b64 exec, exec, s[4:5]
	s_and_saveexec_b64 s[4:5], vcc
	s_cbranch_execz .LBB230_461
.LBB230_473:
	v_mov_b32_e32 v11, 0x110
	v_lshl_add_u32 v11, v10, 2, v11
	ds_read_b32 v11, v11 offset:128
	s_waitcnt lgkmcnt(0)
	v_add_f32_e32 v2, v2, v11
	s_or_b64 exec, exec, s[4:5]
	s_and_saveexec_b64 s[4:5], vcc
	s_cbranch_execz .LBB230_462
.LBB230_474:
	v_mov_b32_e32 v11, 0x110
	v_lshl_add_u32 v11, v10, 2, v11
	ds_read_b32 v11, v11 offset:160
	s_waitcnt lgkmcnt(0)
	v_add_f32_e32 v3, v3, v11
	s_or_b64 exec, exec, s[4:5]
	s_and_saveexec_b64 s[4:5], vcc
	s_cbranch_execz .LBB230_463
.LBB230_475:
	v_mov_b32_e32 v11, 0x110
	v_lshl_add_u32 v11, v10, 2, v11
	ds_read_b32 v11, v11 offset:192
	s_waitcnt lgkmcnt(0)
	v_add_f32_e32 v4, v4, v11
	s_or_b64 exec, exec, s[4:5]
	s_and_saveexec_b64 s[4:5], vcc
	s_cbranch_execnz .LBB230_464
	s_branch .LBB230_465
	.section	.rodata,"a",@progbits
	.p2align	6, 0x0
	.amdhsa_kernel _ZN4vllm25paged_attention_v2_kernelIfhLi64ELi32ELi128ELNS_18Fp8KVCacheDataTypeE1ELb1ELi512EEEvPfS2_PT_PKS3_PKT0_S9_ifPKiSB_iPKfiiiSD_SD_iiiii
		.amdhsa_group_segment_fixed_size 272
		.amdhsa_private_segment_fixed_size 0
		.amdhsa_kernarg_size 400
		.amdhsa_user_sgpr_count 6
		.amdhsa_user_sgpr_private_segment_buffer 1
		.amdhsa_user_sgpr_dispatch_ptr 0
		.amdhsa_user_sgpr_queue_ptr 0
		.amdhsa_user_sgpr_kernarg_segment_ptr 1
		.amdhsa_user_sgpr_dispatch_id 0
		.amdhsa_user_sgpr_flat_scratch_init 0
		.amdhsa_user_sgpr_kernarg_preload_length 0
		.amdhsa_user_sgpr_kernarg_preload_offset 0
		.amdhsa_user_sgpr_private_segment_size 0
		.amdhsa_uses_dynamic_stack 0
		.amdhsa_system_sgpr_private_segment_wavefront_offset 0
		.amdhsa_system_sgpr_workgroup_id_x 1
		.amdhsa_system_sgpr_workgroup_id_y 1
		.amdhsa_system_sgpr_workgroup_id_z 1
		.amdhsa_system_sgpr_workgroup_info 0
		.amdhsa_system_vgpr_workitem_id 0
		.amdhsa_next_free_vgpr 126
		.amdhsa_next_free_sgpr 67
		.amdhsa_accum_offset 128
		.amdhsa_reserve_vcc 1
		.amdhsa_reserve_flat_scratch 0
		.amdhsa_float_round_mode_32 0
		.amdhsa_float_round_mode_16_64 0
		.amdhsa_float_denorm_mode_32 3
		.amdhsa_float_denorm_mode_16_64 3
		.amdhsa_dx10_clamp 1
		.amdhsa_ieee_mode 1
		.amdhsa_fp16_overflow 0
		.amdhsa_tg_split 0
		.amdhsa_exception_fp_ieee_invalid_op 0
		.amdhsa_exception_fp_denorm_src 0
		.amdhsa_exception_fp_ieee_div_zero 0
		.amdhsa_exception_fp_ieee_overflow 0
		.amdhsa_exception_fp_ieee_underflow 0
		.amdhsa_exception_fp_ieee_inexact 0
		.amdhsa_exception_int_div_zero 0
	.end_amdhsa_kernel
	.section	.text._ZN4vllm25paged_attention_v2_kernelIfhLi64ELi32ELi128ELNS_18Fp8KVCacheDataTypeE1ELb1ELi512EEEvPfS2_PT_PKS3_PKT0_S9_ifPKiSB_iPKfiiiSD_SD_iiiii,"axG",@progbits,_ZN4vllm25paged_attention_v2_kernelIfhLi64ELi32ELi128ELNS_18Fp8KVCacheDataTypeE1ELb1ELi512EEEvPfS2_PT_PKS3_PKT0_S9_ifPKiSB_iPKfiiiSD_SD_iiiii,comdat
.Lfunc_end230:
	.size	_ZN4vllm25paged_attention_v2_kernelIfhLi64ELi32ELi128ELNS_18Fp8KVCacheDataTypeE1ELb1ELi512EEEvPfS2_PT_PKS3_PKT0_S9_ifPKiSB_iPKfiiiSD_SD_iiiii, .Lfunc_end230-_ZN4vllm25paged_attention_v2_kernelIfhLi64ELi32ELi128ELNS_18Fp8KVCacheDataTypeE1ELb1ELi512EEEvPfS2_PT_PKS3_PKT0_S9_ifPKiSB_iPKfiiiSD_SD_iiiii
                                        ; -- End function
	.section	.AMDGPU.csdata,"",@progbits
; Kernel info:
; codeLenInByte = 18248
; NumSgprs: 71
; NumVgprs: 126
; NumAgprs: 0
; TotalNumVgprs: 126
; ScratchSize: 0
; MemoryBound: 0
; FloatMode: 240
; IeeeMode: 1
; LDSByteSize: 272 bytes/workgroup (compile time only)
; SGPRBlocks: 8
; VGPRBlocks: 15
; NumSGPRsForWavesPerEU: 71
; NumVGPRsForWavesPerEU: 126
; AccumOffset: 128
; Occupancy: 4
; WaveLimiterHint : 1
; COMPUTE_PGM_RSRC2:SCRATCH_EN: 0
; COMPUTE_PGM_RSRC2:USER_SGPR: 6
; COMPUTE_PGM_RSRC2:TRAP_HANDLER: 0
; COMPUTE_PGM_RSRC2:TGID_X_EN: 1
; COMPUTE_PGM_RSRC2:TGID_Y_EN: 1
; COMPUTE_PGM_RSRC2:TGID_Z_EN: 1
; COMPUTE_PGM_RSRC2:TIDIG_COMP_CNT: 0
; COMPUTE_PGM_RSRC3_GFX90A:ACCUM_OFFSET: 31
; COMPUTE_PGM_RSRC3_GFX90A:TG_SPLIT: 0
	.section	.text._ZN4vllm25paged_attention_v2_kernelIfhLi80ELi32ELi128ELNS_18Fp8KVCacheDataTypeE1ELb1ELi512EEEvPfS2_PT_PKS3_PKT0_S9_ifPKiSB_iPKfiiiSD_SD_iiiii,"axG",@progbits,_ZN4vllm25paged_attention_v2_kernelIfhLi80ELi32ELi128ELNS_18Fp8KVCacheDataTypeE1ELb1ELi512EEEvPfS2_PT_PKS3_PKT0_S9_ifPKiSB_iPKfiiiSD_SD_iiiii,comdat
	.protected	_ZN4vllm25paged_attention_v2_kernelIfhLi80ELi32ELi128ELNS_18Fp8KVCacheDataTypeE1ELb1ELi512EEEvPfS2_PT_PKS3_PKT0_S9_ifPKiSB_iPKfiiiSD_SD_iiiii ; -- Begin function _ZN4vllm25paged_attention_v2_kernelIfhLi80ELi32ELi128ELNS_18Fp8KVCacheDataTypeE1ELb1ELi512EEEvPfS2_PT_PKS3_PKT0_S9_ifPKiSB_iPKfiiiSD_SD_iiiii
	.globl	_ZN4vllm25paged_attention_v2_kernelIfhLi80ELi32ELi128ELNS_18Fp8KVCacheDataTypeE1ELb1ELi512EEEvPfS2_PT_PKS3_PKT0_S9_ifPKiSB_iPKfiiiSD_SD_iiiii
	.p2align	8
	.type	_ZN4vllm25paged_attention_v2_kernelIfhLi80ELi32ELi128ELNS_18Fp8KVCacheDataTypeE1ELb1ELi512EEEvPfS2_PT_PKS3_PKT0_S9_ifPKiSB_iPKfiiiSD_SD_iiiii,@function
_ZN4vllm25paged_attention_v2_kernelIfhLi80ELi32ELi128ELNS_18Fp8KVCacheDataTypeE1ELb1ELi512EEEvPfS2_PT_PKS3_PKT0_S9_ifPKiSB_iPKfiiiSD_SD_iiiii: ; @_ZN4vllm25paged_attention_v2_kernelIfhLi80ELi32ELi128ELNS_18Fp8KVCacheDataTypeE1ELb1ELi512EEEvPfS2_PT_PKS3_PKT0_S9_ifPKiSB_iPKfiiiSD_SD_iiiii
; %bb.0:
	s_mov_b64 s[70:71], s[2:3]
	s_mov_b64 s[68:69], s[0:1]
	s_load_dwordx2 s[0:1], s[4:5], 0x40
	s_add_u32 s68, s68, s9
	s_addc_u32 s69, s69, 0
	s_mov_b32 s34, s7
	s_ashr_i32 s35, s7, 31
	s_lshl_b64 s[2:3], s[34:35], 2
	s_waitcnt lgkmcnt(0)
	s_add_u32 s0, s0, s2
	s_addc_u32 s1, s1, s3
	s_load_dword s33, s[0:1], 0x0
	s_lshl_b32 s59, s8, 9
	buffer_store_dword v0, off, s[68:71], 0 offset:28 ; 4-byte Folded Spill
	s_waitcnt lgkmcnt(0)
	s_cmp_ge_i32 s59, s33
	s_cbranch_scc1 .LBB231_572
; %bb.1:
	s_load_dword s9, s[4:5], 0x90
	s_load_dwordx2 s[42:43], s[4:5], 0x30
	s_mov_b32 s60, 0
	s_waitcnt lgkmcnt(0)
	s_abs_i32 s2, s9
	s_abs_i32 s0, s42
	v_cvt_f32_u32_e32 v0, s0
	s_sub_i32 s3, 0, s0
	s_xor_b32 s1, s9, s42
	s_ashr_i32 s1, s1, 31
	v_rcp_iflag_f32_e32 v0, v0
	v_mul_f32_e32 v0, 0x4f7ffffe, v0
	v_cvt_u32_f32_e32 v0, v0
	v_readfirstlane_b32 s7, v0
	s_mul_i32 s3, s3, s7
	s_mul_hi_u32 s3, s7, s3
	s_add_i32 s7, s7, s3
	s_mul_hi_u32 s3, s2, s7
	s_mul_i32 s7, s3, s0
	s_sub_i32 s2, s2, s7
	s_add_i32 s10, s3, 1
	s_sub_i32 s7, s2, s0
	s_cmp_ge_u32 s2, s0
	s_cselect_b32 s3, s10, s3
	s_cselect_b32 s2, s7, s2
	s_add_i32 s7, s3, 1
	s_cmp_ge_u32 s2, s0
	s_cselect_b32 s0, s7, s3
	s_xor_b32 s0, s0, s1
	s_sub_i32 s11, s0, s1
	s_abs_i32 s2, s11
	v_cvt_f32_u32_e32 v0, s2
	s_load_dwordx2 s[0:1], s[4:5], 0x50
	s_sub_i32 s7, 0, s2
	s_abs_i32 s3, s6
	v_rcp_iflag_f32_e32 v0, v0
	v_mul_f32_e32 v0, 0x4f7ffffe, v0
	v_cvt_u32_f32_e32 v0, v0
	v_readfirstlane_b32 s10, v0
	s_mul_i32 s7, s7, s10
	s_mul_hi_u32 s7, s10, s7
	s_add_i32 s10, s10, s7
	s_waitcnt lgkmcnt(0)
	s_cmp_eq_u64 s[0:1], 0
	s_mul_hi_u32 s10, s3, s10
	s_cbranch_scc1 .LBB231_3
; %bb.2:
	s_ashr_i32 s7, s6, 31
	s_lshl_b64 s[12:13], s[6:7], 2
	s_add_u32 s0, s0, s12
	s_addc_u32 s1, s1, s13
	s_load_dword s60, s[0:1], 0x0
.LBB231_3:
	buffer_load_dword v1, off, s[68:71], 0 offset:28 ; 4-byte Folded Reload
	s_load_dwordx4 s[16:19], s[4:5], 0x58
	s_ashr_i32 s7, s6, 31
	s_ashr_i32 s11, s11, 31
	s_mul_i32 s28, s6, 0x50
	s_waitcnt vmcnt(0)
	v_and_b32_e32 v0, 1, v1
	v_cmp_gt_u32_e32 vcc, 40, v1
	v_lshlrev_b32_e32 v18, 2, v1
	s_and_saveexec_b64 s[0:1], vcc
	s_cbranch_execz .LBB231_5
; %bb.4:
	buffer_load_dword v1, off, s[68:71], 0 offset:28 ; 4-byte Folded Reload
	s_load_dwordx2 s[12:13], s[4:5], 0x18
	s_waitcnt lgkmcnt(0)
	s_mul_i32 s14, s34, s16
	s_ashr_i32 s15, s14, 31
	s_lshl_b64 s[14:15], s[14:15], 2
	s_add_u32 s14, s12, s14
	s_addc_u32 s15, s13, s15
	s_ashr_i32 s29, s28, 31
	s_lshl_b64 s[12:13], s[28:29], 2
	s_add_u32 s12, s14, s12
	s_addc_u32 s13, s15, s13
	s_waitcnt vmcnt(0)
	v_lshlrev_b32_e32 v1, 3, v1
	global_load_dwordx2 v[2:3], v1, s[12:13]
	v_and_b32_e32 v1, 0xff8, v18
	s_movk_i32 s12, 0xa0
	v_mad_u32_u24 v1, v0, s12, v1
	s_waitcnt vmcnt(0)
	ds_write_b64 v1, v[2:3]
.LBB231_5:
	s_or_b64 exec, exec, s[0:1]
	s_mul_i32 s1, s10, s2
	s_sub_i32 s1, s3, s1
	s_xor_b32 s0, s7, s11
	s_add_i32 s3, s10, 1
	s_sub_i32 s7, s1, s2
	s_load_dwordx4 s[20:23], s[4:5], 0x78
	s_cmp_ge_u32 s1, s2
	s_cselect_b32 s3, s3, s10
	s_load_dword s10, s[4:5], 0x88
	s_cselect_b32 s1, s7, s1
	s_add_i32 s7, s3, 1
	s_cmp_ge_u32 s1, s2
	s_cselect_b32 s1, s7, s3
	s_waitcnt lgkmcnt(0)
	s_abs_i32 s35, s23
	v_cvt_f32_u32_e32 v1, s35
	s_xor_b32 s1, s1, s0
	s_sub_i32 s2, s1, s0
	s_sub_i32 s0, 0, s35
	v_rcp_iflag_f32_e32 v1, v1
	s_add_i32 s11, s33, -1
	s_abs_i32 s3, s11
	v_mul_f32_e32 v1, 0x4f7ffffe, v1
	v_cvt_u32_f32_e32 v1, v1
	s_barrier
	v_readfirstlane_b32 s56, v1
	s_mul_i32 s0, s0, s56
	s_mul_hi_u32 s0, s56, s0
	s_add_i32 s56, s56, s0
	s_cmp_lt_i32 s10, 0
	s_mul_hi_u32 s7, s3, s56
	s_cbranch_scc0 .LBB231_7
; %bb.6:
	s_mul_i32 s0, s20, s42
	s_add_i32 s0, s2, s0
	s_mul_i32 s0, s0, s10
	s_sub_i32 s42, 1, s0
	s_mov_b64 s[0:1], 0
	s_branch .LBB231_8
.LBB231_7:
	s_mov_b64 s[0:1], -1
                                        ; implicit-def: $sgpr42
.LBB231_8:
	s_load_dwordx2 s[36:37], s[4:5], 0x38
	s_ashr_i32 s11, s11, 31
	s_andn2_b64 vcc, exec, s[0:1]
	s_ashr_i32 s57, s23, 31
	s_cbranch_vccnz .LBB231_10
; %bb.9:
	s_mul_i32 s0, s9, s20
	s_add_i32 s0, s0, s6
	s_mul_i32 s0, s0, s10
	s_add_i32 s42, s0, 1
.LBB231_10:
	s_load_dwordx2 s[40:41], s[4:5], 0x28
	s_load_dword s0, s[4:5], 0x48
	s_load_dwordx4 s[24:27], s[4:5], 0x0
	s_load_dwordx2 s[30:31], s[4:5], 0x10
	s_load_dword s29, s[4:5], 0x98
	s_load_dwordx4 s[12:15], s[4:5], 0x68
	buffer_load_dword v1, off, s[68:71], 0 offset:28 ; 4-byte Folded Reload
	s_mul_i32 s1, s7, s35
	s_waitcnt lgkmcnt(0)
	s_mul_i32 s38, s34, s0
	s_sub_i32 s1, s3, s1
	s_ashr_i32 s39, s38, 31
	s_xor_b32 s0, s11, s57
	s_add_i32 s3, s7, 1
	s_sub_i32 s10, s1, s35
	s_cmp_ge_u32 s1, s35
	s_cselect_b32 s3, s3, s7
	s_cselect_b32 s1, s10, s1
	s_add_i32 s7, s3, 1
	s_cmp_ge_u32 s1, s35
	s_cselect_b32 s1, s7, s3
	s_xor_b32 s1, s1, s0
	s_sub_i32 s20, s1, s0
	s_add_i32 s0, s33, 31
	s_ashr_i32 s1, s0, 31
	s_lshr_b32 s1, s1, 27
	s_add_i32 s0, s0, s1
	s_lshl_b32 s61, s8, 4
	s_ashr_i32 s7, s0, 5
	s_add_i32 s0, s61, 16
	s_min_i32 s58, s0, s7
	v_mov_b32_e32 v3, 0xff7fffff
	s_mul_i32 s23, s2, s18
	s_waitcnt vmcnt(0)
	v_lshrrev_b32_e32 v20, 6, v1
	v_or_b32_e32 v42, s61, v20
	v_cmp_gt_i32_e64 s[0:1], s58, v42
	v_ashrrev_i32_e32 v43, 31, v42
	v_lshl_add_u32 v6, v20, 5, s59
	v_mbcnt_lo_u32_b32 v1, -1, 0
	s_and_saveexec_b64 s[18:19], s[0:1]
	s_cbranch_execz .LBB231_260
; %bb.11:
	v_mov_b32_e32 v4, v1
	buffer_load_dword v1, off, s[68:71], 0 offset:28 ; 4-byte Folded Reload
	s_load_dwordx2 s[4:5], s[4:5], 0x20
	s_sub_i32 s62, s20, s21
	s_ashr_i32 s10, s23, 31
	buffer_store_dword v18, off, s[68:71], 0 offset:64 ; 4-byte Folded Spill
	v_cmp_eq_u32_e64 s[2:3], 0, v0
	s_waitcnt lgkmcnt(0)
	s_add_u32 s4, s4, s23
	s_addc_u32 s5, s5, s10
	v_mov_b32_e32 v3, s5
	s_abs_i32 s64, s22
	s_sub_i32 s10, 0, s64
	v_mul_u32_u24_e32 v9, 0xa0, v0
	s_mov_b32 s44, 0
	s_brev_b32 s45, 1
	s_mov_b32 s63, s17
	v_mov_b32_e32 v45, 0
	v_lshl_add_u32 v8, v20, 5, s59
	s_mov_b64 s[46:47], 0
	s_movk_i32 s65, 0x80
	s_movk_i32 s66, 0x7f
	s_mov_b32 s49, 0x7f800001
	s_waitcnt vmcnt(1)
	v_bfe_u32 v5, v1, 1, 5
	v_lshlrev_b32_e32 v2, 4, v5
	v_add_co_u32_e32 v2, vcc, s4, v2
	v_addc_co_u32_e32 v3, vcc, 0, v3, vcc
	buffer_store_dword v2, off, s[68:71], 0 offset:36 ; 4-byte Folded Spill
	s_nop 0
	buffer_store_dword v3, off, s[68:71], 0 offset:40 ; 4-byte Folded Spill
	v_cvt_f32_u32_e32 v1, s64
	v_lshlrev_b32_e32 v2, 1, v0
	v_cmp_neq_f32_e64 s[4:5], s60, 0
	buffer_store_dword v2, off, s[68:71], 0 offset:44 ; 4-byte Folded Spill
	s_nop 0
	buffer_store_dword v3, off, s[68:71], 0 offset:48 ; 4-byte Folded Spill
	v_rcp_iflag_f32_e32 v1, v1
	buffer_store_dword v20, off, s[68:71], 0 offset:68 ; 4-byte Folded Spill
	buffer_store_dword v5, off, s[68:71], 0 offset:56 ; 4-byte Folded Spill
	v_mul_f32_e32 v1, 0x4f7ffffe, v1
	v_cvt_u32_f32_e32 v1, v1
	v_mul_lo_u32 v0, s10, v1
	v_mul_hi_u32 v0, v1, v0
	v_add_u32_e32 v0, v1, v0
	s_lshl_b64 s[10:11], s[38:39], 2
	buffer_store_dword v0, off, s[68:71], 0 offset:8 ; 4-byte Folded Spill
	v_lshlrev_b64 v[0:1], 2, v[42:43]
	s_add_u32 s10, s36, s10
	v_add_co_u32_e32 v50, vcc, s10, v0
	v_lshlrev_b32_e32 v0, 2, v5
	v_lshl_or_b32 v0, v20, 7, v0
	v_add_u32_e32 v7, 0x150, v0
	v_subrev_u32_e32 v0, s33, v5
	s_addc_u32 s11, s37, s11
	v_add_u32_e32 v0, 1, v0
	v_mov_b32_e32 v2, s11
	buffer_store_dword v0, off, s[68:71], 0 offset:60 ; 4-byte Folded Spill
	v_mbcnt_hi_u32_b32 v0, -1, v4
	v_addc_co_u32_e32 v51, vcc, v2, v1, vcc
	buffer_store_dword v0, off, s[68:71], 0 offset:52 ; 4-byte Folded Spill
	v_mov_b32_e32 v0, 0xff7fffff
	v_mov_b32_e32 v1, v42
	buffer_store_dword v0, off, s[68:71], 0 offset:32 ; 4-byte Folded Spill
	s_branch .LBB231_14
.LBB231_12:                             ;   in Loop: Header=BB231_14 Depth=1
	s_or_b64 exec, exec, s[50:51]
.LBB231_13:                             ;   in Loop: Header=BB231_14 Depth=1
	s_or_b64 exec, exec, s[10:11]
	v_add_co_u32_e32 v50, vcc, 8, v50
	v_add_u32_e32 v1, 2, v1
	v_addc_co_u32_e32 v51, vcc, 0, v51, vcc
	v_cmp_le_i32_e32 vcc, s58, v1
	v_add_u32_e32 v8, 64, v8
	s_or_b64 s[46:47], vcc, s[46:47]
	v_add_u32_e32 v7, 0x100, v7
	s_andn2_b64 exec, exec, s[46:47]
	s_cbranch_execz .LBB231_259
.LBB231_14:                             ; =>This Inner Loop Header: Depth=1
	s_waitcnt lgkmcnt(0)
	v_sub_u32_e32 v2, 0, v8
	v_max_i32_e32 v2, v8, v2
	v_mul_hi_u32 v3, v2, s56
	v_mul_lo_u32 v4, v3, s35
	v_sub_u32_e32 v2, v2, v4
	v_add_u32_e32 v4, 1, v3
	v_cmp_le_u32_e32 vcc, s35, v2
	v_cndmask_b32_e32 v3, v3, v4, vcc
	v_subrev_u32_e32 v4, s35, v2
	v_cndmask_b32_e32 v2, v2, v4, vcc
	v_ashrrev_i32_e32 v0, 31, v8
	v_add_u32_e32 v4, 1, v3
	v_cmp_le_u32_e32 vcc, s35, v2
	v_xor_b32_e32 v0, s57, v0
	v_cndmask_b32_e32 v2, v3, v4, vcc
	v_xor_b32_e32 v2, v2, v0
	v_sub_u32_e32 v0, v2, v0
	v_add_u32_e32 v2, s42, v0
	v_sub_u32_e32 v4, 0, v2
	v_ashrrev_i32_e32 v3, 31, v2
	v_max_i32_e32 v2, v2, v4
	buffer_load_dword v4, off, s[68:71], 0 offset:8 ; 4-byte Folded Reload
	v_cmp_ge_i32_e64 s[10:11], s62, v0
	s_waitcnt vmcnt(0)
	v_mul_hi_u32 v4, v2, v4
	v_mul_lo_u32 v4, v4, s64
	v_sub_u32_e32 v2, v2, v4
	v_subrev_u32_e32 v4, s64, v2
	v_cmp_le_u32_e32 vcc, s64, v2
	v_cndmask_b32_e32 v2, v2, v4, vcc
	v_subrev_u32_e32 v4, s64, v2
	v_cmp_le_u32_e32 vcc, s64, v2
	v_cndmask_b32_e32 v2, v2, v4, vcc
	v_xor_b32_e32 v2, v2, v3
	v_sub_u32_e32 v2, v2, v3
	v_cmp_ne_u32_e32 vcc, 0, v2
	s_and_b64 s[10:11], vcc, s[10:11]
	s_and_b64 s[52:53], s[2:3], s[10:11]
	s_and_saveexec_b64 s[50:51], s[52:53]
	s_cbranch_execz .LBB231_16
; %bb.15:                               ;   in Loop: Header=BB231_14 Depth=1
	v_mov_b32_e32 v0, 0xff7fffff
	ds_write_b32 v7, v0
.LBB231_16:                             ;   in Loop: Header=BB231_14 Depth=1
	s_or_b64 exec, exec, s[50:51]
	s_xor_b64 s[50:51], s[10:11], -1
	s_and_saveexec_b64 s[10:11], s[50:51]
	s_cbranch_execz .LBB231_13
; %bb.17:                               ;   in Loop: Header=BB231_14 Depth=1
	global_load_dword v0, v[50:51], off
	buffer_load_dword v2, off, s[68:71], 0 offset:36 ; 4-byte Folded Reload
	buffer_load_dword v3, off, s[68:71], 0 offset:40 ; 4-byte Folded Reload
	;; [unrolled: 1-line block ×4, first 2 shown]
	v_pk_mov_b32 v[52:53], 0, 0
	s_waitcnt vmcnt(2)
	v_mad_i64_i32 v[2:3], s[50:51], v0, s63, v[2:3]
	s_waitcnt vmcnt(1)
	v_add_co_u32_e32 v64, vcc, v2, v4
	v_addc_co_u32_e32 v65, vcc, 0, v3, vcc
	global_load_ushort v44, v[64:65], off
	ds_read_b128 v[38:41], v9
	ds_read_b128 v[34:37], v9 offset:16
	ds_read_b128 v[30:33], v9 offset:32
	;; [unrolled: 1-line block ×7, first 2 shown]
	s_waitcnt vmcnt(1)
	ds_read_b128 v[2:5], v9 offset:128
	ds_read_b128 v[46:49], v9 offset:144
	s_waitcnt lgkmcnt(0)
	buffer_store_dword v46, off, s[68:71], 0 offset:12 ; 4-byte Folded Spill
	s_nop 0
	buffer_store_dword v47, off, s[68:71], 0 offset:16 ; 4-byte Folded Spill
	buffer_store_dword v48, off, s[68:71], 0 offset:20 ; 4-byte Folded Spill
	buffer_store_dword v49, off, s[68:71], 0 offset:24 ; 4-byte Folded Spill
	s_load_dword s16, s[12:13], 0x0
	buffer_store_dword v52, off, s[68:71], 0 ; 4-byte Folded Spill
	s_nop 0
	buffer_store_dword v53, off, s[68:71], 0 offset:4 ; 4-byte Folded Spill
	s_waitcnt vmcnt(6)
	v_and_b32_e32 v0, 0xffff, v44
	v_cmp_ne_u16_sdwa s[52:53], v44, v45 src0_sel:BYTE_0 src1_sel:DWORD
	s_and_saveexec_b64 s[50:51], s[52:53]
	s_cbranch_execz .LBB231_23
; %bb.18:                               ;   in Loop: Header=BB231_14 Depth=1
	v_bfrev_b32_e32 v46, 1
	v_cmp_ne_u16_sdwa s[54:55], v0, s65 src0_sel:BYTE_0 src1_sel:DWORD
	v_mov_b32_e32 v47, 0
	buffer_store_dword v46, off, s[68:71], 0 ; 4-byte Folded Spill
	s_nop 0
	buffer_store_dword v47, off, s[68:71], 0 offset:4 ; 4-byte Folded Spill
	s_and_saveexec_b64 s[52:53], s[54:55]
	s_cbranch_execz .LBB231_22
; %bb.19:                               ;   in Loop: Header=BB231_14 Depth=1
	v_and_b32_e32 v44, 0x7f, v0
	v_mov_b32_e32 v46, 0x7f800001
	v_cmp_ne_u32_e32 vcc, s66, v44
	v_mov_b32_e32 v47, 0
	buffer_store_dword v46, off, s[68:71], 0 ; 4-byte Folded Spill
	s_nop 0
	buffer_store_dword v47, off, s[68:71], 0 offset:4 ; 4-byte Folded Spill
	s_and_saveexec_b64 s[54:55], vcc
	s_cbranch_execz .LBB231_21
; %bb.20:                               ;   in Loop: Header=BB231_14 Depth=1
	v_and_b32_e32 v48, 7, v0
	v_ffbh_u32_e32 v46, v48
	v_min_u32_e32 v54, 32, v46
	v_subrev_u32_e32 v46, 28, v54
	v_lshlrev_b64 v[46:47], v46, v[0:1]
	v_lshrrev_b32_e32 v49, 3, v44
	v_sub_u32_e32 v47, 29, v54
	v_and_b32_e32 v46, 7, v46
	v_cmp_gt_u32_e32 vcc, 8, v44
	v_cndmask_b32_e32 v44, v49, v47, vcc
	v_cndmask_b32_e32 v46, v48, v46, vcc
	v_bfrev_b32_e32 v48, 60
	v_lshlrev_b32_e32 v46, 20, v46
	v_and_b32_sdwa v47, sext(v0), s45 dst_sel:DWORD dst_unused:UNUSED_PAD src0_sel:BYTE_0 src1_sel:DWORD
	v_lshl_add_u32 v44, v44, 23, v48
	v_or3_b32 v44, v47, v44, v46
	buffer_store_dword v44, off, s[68:71], 0 ; 4-byte Folded Spill
	s_nop 0
	buffer_store_dword v45, off, s[68:71], 0 offset:4 ; 4-byte Folded Spill
.LBB231_21:                             ;   in Loop: Header=BB231_14 Depth=1
	s_or_b64 exec, exec, s[54:55]
.LBB231_22:                             ;   in Loop: Header=BB231_14 Depth=1
	s_or_b64 exec, exec, s[52:53]
.LBB231_23:                             ;   in Loop: Header=BB231_14 Depth=1
	s_or_b64 exec, exec, s[50:51]
	v_cmp_ne_u16_sdwa s[52:53], v0, v45 src0_sel:BYTE_1 src1_sel:DWORD
	s_and_saveexec_b64 s[50:51], s[52:53]
	s_cbranch_execz .LBB231_29
; %bb.24:                               ;   in Loop: Header=BB231_14 Depth=1
	v_cmp_ne_u16_sdwa s[54:55], v0, s65 src0_sel:BYTE_1 src1_sel:DWORD
	v_pk_mov_b32 v[52:53], s[44:45], s[44:45] op_sel:[0,1]
	s_and_saveexec_b64 s[52:53], s[54:55]
	s_cbranch_execz .LBB231_28
; %bb.25:                               ;   in Loop: Header=BB231_14 Depth=1
	v_and_b32_sdwa v46, v0, s66 dst_sel:DWORD dst_unused:UNUSED_PAD src0_sel:BYTE_1 src1_sel:DWORD
	s_mov_b32 s48, s44
	v_cmp_ne_u32_e32 vcc, s66, v46
	v_pk_mov_b32 v[52:53], s[48:49], s[48:49] op_sel:[0,1]
	s_and_saveexec_b64 s[54:55], vcc
	s_cbranch_execz .LBB231_27
; %bb.26:                               ;   in Loop: Header=BB231_14 Depth=1
	v_mov_b32_e32 v44, 7
	v_and_b32_sdwa v44, v0, v44 dst_sel:DWORD dst_unused:UNUSED_PAD src0_sel:BYTE_1 src1_sel:DWORD
	v_ffbh_u32_e32 v48, v44
	v_min_u32_e32 v52, 32, v48
	v_subrev_u32_e32 v48, 28, v52
	v_lshlrev_b64 v[48:49], v48, v[44:45]
	v_lshrrev_b32_e32 v47, 3, v46
	v_sub_u32_e32 v49, 29, v52
	v_cmp_gt_u32_e32 vcc, 8, v46
	v_and_b32_e32 v48, 7, v48
	v_cndmask_b32_e32 v46, v47, v49, vcc
	v_bfrev_b32_e32 v47, 60
	v_cndmask_b32_e32 v44, v44, v48, vcc
	v_lshlrev_b32_e32 v0, 16, v0
	v_lshl_add_u32 v46, v46, 23, v47
	v_and_or_b32 v0, v0, s45, v46
	v_lshlrev_b32_e32 v44, 20, v44
	v_or_b32_e32 v53, v0, v44
	v_mov_b32_e32 v52, v45
.LBB231_27:                             ;   in Loop: Header=BB231_14 Depth=1
	s_or_b64 exec, exec, s[54:55]
.LBB231_28:                             ;   in Loop: Header=BB231_14 Depth=1
	s_or_b64 exec, exec, s[52:53]
.LBB231_29:                             ;   in Loop: Header=BB231_14 Depth=1
	s_or_b64 exec, exec, s[50:51]
	global_load_ushort v44, v[64:65], off offset:4
	v_pk_mov_b32 v[56:57], 0, 0
	v_pk_mov_b32 v[58:59], v[56:57], v[56:57] op_sel:[0,1]
	s_waitcnt vmcnt(0)
	v_and_b32_e32 v0, 0xffff, v44
	v_cmp_ne_u16_sdwa s[52:53], v44, v45 src0_sel:BYTE_0 src1_sel:DWORD
	s_and_saveexec_b64 s[50:51], s[52:53]
	s_cbranch_execz .LBB231_35
; %bb.30:                               ;   in Loop: Header=BB231_14 Depth=1
	v_bfrev_b32_e32 v58, 1
	v_cmp_ne_u16_sdwa s[54:55], v0, s65 src0_sel:BYTE_0 src1_sel:DWORD
	v_mov_b32_e32 v59, 0
	s_and_saveexec_b64 s[52:53], s[54:55]
	s_cbranch_execz .LBB231_34
; %bb.31:                               ;   in Loop: Header=BB231_14 Depth=1
	v_and_b32_e32 v44, 0x7f, v0
	v_mov_b32_e32 v58, 0x7f800001
	v_cmp_ne_u32_e32 vcc, s66, v44
	v_mov_b32_e32 v59, 0
	s_and_saveexec_b64 s[54:55], vcc
	s_cbranch_execz .LBB231_33
; %bb.32:                               ;   in Loop: Header=BB231_14 Depth=1
	v_and_b32_e32 v48, 7, v0
	v_ffbh_u32_e32 v46, v48
	v_min_u32_e32 v54, 32, v46
	v_subrev_u32_e32 v46, 28, v54
	v_lshlrev_b64 v[46:47], v46, v[0:1]
	v_lshrrev_b32_e32 v49, 3, v44
	v_sub_u32_e32 v47, 29, v54
	v_and_b32_e32 v46, 7, v46
	v_cmp_gt_u32_e32 vcc, 8, v44
	v_cndmask_b32_e32 v44, v49, v47, vcc
	v_cndmask_b32_e32 v46, v48, v46, vcc
	v_bfrev_b32_e32 v48, 60
	v_lshlrev_b32_e32 v46, 20, v46
	v_and_b32_sdwa v47, sext(v0), s45 dst_sel:DWORD dst_unused:UNUSED_PAD src0_sel:BYTE_0 src1_sel:DWORD
	v_lshl_add_u32 v44, v44, 23, v48
	v_or3_b32 v44, v47, v44, v46
	v_pk_mov_b32 v[58:59], v[44:45], v[44:45] op_sel:[0,1]
.LBB231_33:                             ;   in Loop: Header=BB231_14 Depth=1
	s_or_b64 exec, exec, s[54:55]
.LBB231_34:                             ;   in Loop: Header=BB231_14 Depth=1
	s_or_b64 exec, exec, s[52:53]
.LBB231_35:                             ;   in Loop: Header=BB231_14 Depth=1
	s_or_b64 exec, exec, s[50:51]
	v_cmp_ne_u16_sdwa s[52:53], v0, v45 src0_sel:BYTE_1 src1_sel:DWORD
	s_and_saveexec_b64 s[50:51], s[52:53]
	s_cbranch_execz .LBB231_41
; %bb.36:                               ;   in Loop: Header=BB231_14 Depth=1
	v_cmp_ne_u16_sdwa s[54:55], v0, s65 src0_sel:BYTE_1 src1_sel:DWORD
	v_pk_mov_b32 v[56:57], s[44:45], s[44:45] op_sel:[0,1]
	s_and_saveexec_b64 s[52:53], s[54:55]
	s_cbranch_execz .LBB231_40
; %bb.37:                               ;   in Loop: Header=BB231_14 Depth=1
	v_and_b32_sdwa v46, v0, s66 dst_sel:DWORD dst_unused:UNUSED_PAD src0_sel:BYTE_1 src1_sel:DWORD
	s_mov_b32 s48, s44
	v_cmp_ne_u32_e32 vcc, s66, v46
	v_pk_mov_b32 v[56:57], s[48:49], s[48:49] op_sel:[0,1]
	s_and_saveexec_b64 s[54:55], vcc
	s_cbranch_execz .LBB231_39
; %bb.38:                               ;   in Loop: Header=BB231_14 Depth=1
	v_mov_b32_e32 v44, 7
	v_and_b32_sdwa v44, v0, v44 dst_sel:DWORD dst_unused:UNUSED_PAD src0_sel:BYTE_1 src1_sel:DWORD
	v_ffbh_u32_e32 v48, v44
	v_min_u32_e32 v54, 32, v48
	v_subrev_u32_e32 v48, 28, v54
	v_lshlrev_b64 v[48:49], v48, v[44:45]
	v_lshrrev_b32_e32 v47, 3, v46
	v_sub_u32_e32 v49, 29, v54
	v_cmp_gt_u32_e32 vcc, 8, v46
	v_and_b32_e32 v48, 7, v48
	v_cndmask_b32_e32 v46, v47, v49, vcc
	v_bfrev_b32_e32 v47, 60
	v_cndmask_b32_e32 v44, v44, v48, vcc
	v_lshlrev_b32_e32 v0, 16, v0
	v_lshl_add_u32 v46, v46, 23, v47
	v_and_or_b32 v0, v0, s45, v46
	v_lshlrev_b32_e32 v44, 20, v44
	v_or_b32_e32 v57, v0, v44
	v_mov_b32_e32 v56, v45
.LBB231_39:                             ;   in Loop: Header=BB231_14 Depth=1
	s_or_b64 exec, exec, s[54:55]
.LBB231_40:                             ;   in Loop: Header=BB231_14 Depth=1
	s_or_b64 exec, exec, s[52:53]
.LBB231_41:                             ;   in Loop: Header=BB231_14 Depth=1
	s_or_b64 exec, exec, s[50:51]
	global_load_ushort v44, v[64:65], off offset:8
	v_pk_mov_b32 v[60:61], 0, 0
	v_pk_mov_b32 v[62:63], v[60:61], v[60:61] op_sel:[0,1]
	s_waitcnt vmcnt(0)
	v_and_b32_e32 v0, 0xffff, v44
	v_cmp_ne_u16_sdwa s[52:53], v44, v45 src0_sel:BYTE_0 src1_sel:DWORD
	s_and_saveexec_b64 s[50:51], s[52:53]
	s_cbranch_execz .LBB231_47
; %bb.42:                               ;   in Loop: Header=BB231_14 Depth=1
	v_bfrev_b32_e32 v62, 1
	v_cmp_ne_u16_sdwa s[54:55], v0, s65 src0_sel:BYTE_0 src1_sel:DWORD
	v_mov_b32_e32 v63, 0
	s_and_saveexec_b64 s[52:53], s[54:55]
	s_cbranch_execz .LBB231_46
; %bb.43:                               ;   in Loop: Header=BB231_14 Depth=1
	v_and_b32_e32 v44, 0x7f, v0
	v_mov_b32_e32 v62, 0x7f800001
	v_cmp_ne_u32_e32 vcc, s66, v44
	v_mov_b32_e32 v63, 0
	s_and_saveexec_b64 s[54:55], vcc
	s_cbranch_execz .LBB231_45
; %bb.44:                               ;   in Loop: Header=BB231_14 Depth=1
	v_and_b32_e32 v48, 7, v0
	v_ffbh_u32_e32 v46, v48
	v_min_u32_e32 v54, 32, v46
	v_subrev_u32_e32 v46, 28, v54
	v_lshlrev_b64 v[46:47], v46, v[0:1]
	v_lshrrev_b32_e32 v49, 3, v44
	v_sub_u32_e32 v47, 29, v54
	v_and_b32_e32 v46, 7, v46
	v_cmp_gt_u32_e32 vcc, 8, v44
	v_cndmask_b32_e32 v44, v49, v47, vcc
	v_cndmask_b32_e32 v46, v48, v46, vcc
	v_bfrev_b32_e32 v48, 60
	v_lshlrev_b32_e32 v46, 20, v46
	v_and_b32_sdwa v47, sext(v0), s45 dst_sel:DWORD dst_unused:UNUSED_PAD src0_sel:BYTE_0 src1_sel:DWORD
	v_lshl_add_u32 v44, v44, 23, v48
	v_or3_b32 v44, v47, v44, v46
	v_pk_mov_b32 v[62:63], v[44:45], v[44:45] op_sel:[0,1]
.LBB231_45:                             ;   in Loop: Header=BB231_14 Depth=1
	s_or_b64 exec, exec, s[54:55]
.LBB231_46:                             ;   in Loop: Header=BB231_14 Depth=1
	s_or_b64 exec, exec, s[52:53]
.LBB231_47:                             ;   in Loop: Header=BB231_14 Depth=1
	s_or_b64 exec, exec, s[50:51]
	v_cmp_ne_u16_sdwa s[52:53], v0, v45 src0_sel:BYTE_1 src1_sel:DWORD
	s_and_saveexec_b64 s[50:51], s[52:53]
	s_cbranch_execz .LBB231_53
; %bb.48:                               ;   in Loop: Header=BB231_14 Depth=1
	v_cmp_ne_u16_sdwa s[54:55], v0, s65 src0_sel:BYTE_1 src1_sel:DWORD
	v_pk_mov_b32 v[60:61], s[44:45], s[44:45] op_sel:[0,1]
	s_and_saveexec_b64 s[52:53], s[54:55]
	s_cbranch_execz .LBB231_52
; %bb.49:                               ;   in Loop: Header=BB231_14 Depth=1
	v_and_b32_sdwa v46, v0, s66 dst_sel:DWORD dst_unused:UNUSED_PAD src0_sel:BYTE_1 src1_sel:DWORD
	s_mov_b32 s48, s44
	v_cmp_ne_u32_e32 vcc, s66, v46
	v_pk_mov_b32 v[60:61], s[48:49], s[48:49] op_sel:[0,1]
	s_and_saveexec_b64 s[54:55], vcc
	s_cbranch_execz .LBB231_51
; %bb.50:                               ;   in Loop: Header=BB231_14 Depth=1
	v_mov_b32_e32 v44, 7
	v_and_b32_sdwa v44, v0, v44 dst_sel:DWORD dst_unused:UNUSED_PAD src0_sel:BYTE_1 src1_sel:DWORD
	v_ffbh_u32_e32 v48, v44
	v_min_u32_e32 v54, 32, v48
	v_subrev_u32_e32 v48, 28, v54
	v_lshlrev_b64 v[48:49], v48, v[44:45]
	v_lshrrev_b32_e32 v47, 3, v46
	v_sub_u32_e32 v49, 29, v54
	v_cmp_gt_u32_e32 vcc, 8, v46
	v_and_b32_e32 v48, 7, v48
	v_cndmask_b32_e32 v46, v47, v49, vcc
	v_bfrev_b32_e32 v47, 60
	v_cndmask_b32_e32 v44, v44, v48, vcc
	v_lshlrev_b32_e32 v0, 16, v0
	v_lshl_add_u32 v46, v46, 23, v47
	v_and_or_b32 v0, v0, s45, v46
	v_lshlrev_b32_e32 v44, 20, v44
	v_or_b32_e32 v61, v0, v44
	v_mov_b32_e32 v60, v45
.LBB231_51:                             ;   in Loop: Header=BB231_14 Depth=1
	s_or_b64 exec, exec, s[54:55]
.LBB231_52:                             ;   in Loop: Header=BB231_14 Depth=1
	s_or_b64 exec, exec, s[52:53]
.LBB231_53:                             ;   in Loop: Header=BB231_14 Depth=1
	s_or_b64 exec, exec, s[50:51]
	global_load_ushort v44, v[64:65], off offset:12
	v_pk_mov_b32 v[66:67], 0, 0
	v_pk_mov_b32 v[68:69], v[66:67], v[66:67] op_sel:[0,1]
	s_waitcnt vmcnt(0)
	v_and_b32_e32 v0, 0xffff, v44
	v_cmp_ne_u16_sdwa s[52:53], v44, v45 src0_sel:BYTE_0 src1_sel:DWORD
	s_and_saveexec_b64 s[50:51], s[52:53]
	s_cbranch_execz .LBB231_59
; %bb.54:                               ;   in Loop: Header=BB231_14 Depth=1
	v_bfrev_b32_e32 v68, 1
	v_cmp_ne_u16_sdwa s[54:55], v0, s65 src0_sel:BYTE_0 src1_sel:DWORD
	v_mov_b32_e32 v69, 0
	s_and_saveexec_b64 s[52:53], s[54:55]
	s_cbranch_execz .LBB231_58
; %bb.55:                               ;   in Loop: Header=BB231_14 Depth=1
	v_and_b32_e32 v44, 0x7f, v0
	v_mov_b32_e32 v68, 0x7f800001
	v_cmp_ne_u32_e32 vcc, s66, v44
	v_mov_b32_e32 v69, 0
	s_and_saveexec_b64 s[54:55], vcc
	s_cbranch_execz .LBB231_57
; %bb.56:                               ;   in Loop: Header=BB231_14 Depth=1
	v_and_b32_e32 v48, 7, v0
	v_ffbh_u32_e32 v46, v48
	v_min_u32_e32 v54, 32, v46
	v_subrev_u32_e32 v46, 28, v54
	v_lshlrev_b64 v[46:47], v46, v[0:1]
	v_lshrrev_b32_e32 v49, 3, v44
	v_sub_u32_e32 v47, 29, v54
	v_and_b32_e32 v46, 7, v46
	v_cmp_gt_u32_e32 vcc, 8, v44
	v_cndmask_b32_e32 v44, v49, v47, vcc
	v_cndmask_b32_e32 v46, v48, v46, vcc
	v_bfrev_b32_e32 v48, 60
	v_lshlrev_b32_e32 v46, 20, v46
	v_and_b32_sdwa v47, sext(v0), s45 dst_sel:DWORD dst_unused:UNUSED_PAD src0_sel:BYTE_0 src1_sel:DWORD
	v_lshl_add_u32 v44, v44, 23, v48
	v_or3_b32 v44, v47, v44, v46
	v_pk_mov_b32 v[68:69], v[44:45], v[44:45] op_sel:[0,1]
.LBB231_57:                             ;   in Loop: Header=BB231_14 Depth=1
	s_or_b64 exec, exec, s[54:55]
.LBB231_58:                             ;   in Loop: Header=BB231_14 Depth=1
	s_or_b64 exec, exec, s[52:53]
.LBB231_59:                             ;   in Loop: Header=BB231_14 Depth=1
	s_or_b64 exec, exec, s[50:51]
	v_cmp_ne_u16_sdwa s[52:53], v0, v45 src0_sel:BYTE_1 src1_sel:DWORD
	s_and_saveexec_b64 s[50:51], s[52:53]
	s_cbranch_execz .LBB231_65
; %bb.60:                               ;   in Loop: Header=BB231_14 Depth=1
	v_cmp_ne_u16_sdwa s[54:55], v0, s65 src0_sel:BYTE_1 src1_sel:DWORD
	v_pk_mov_b32 v[66:67], s[44:45], s[44:45] op_sel:[0,1]
	s_and_saveexec_b64 s[52:53], s[54:55]
	s_cbranch_execz .LBB231_64
; %bb.61:                               ;   in Loop: Header=BB231_14 Depth=1
	v_and_b32_sdwa v46, v0, s66 dst_sel:DWORD dst_unused:UNUSED_PAD src0_sel:BYTE_1 src1_sel:DWORD
	s_mov_b32 s48, s44
	v_cmp_ne_u32_e32 vcc, s66, v46
	v_pk_mov_b32 v[66:67], s[48:49], s[48:49] op_sel:[0,1]
	s_and_saveexec_b64 s[54:55], vcc
	s_cbranch_execz .LBB231_63
; %bb.62:                               ;   in Loop: Header=BB231_14 Depth=1
	v_mov_b32_e32 v44, 7
	v_and_b32_sdwa v44, v0, v44 dst_sel:DWORD dst_unused:UNUSED_PAD src0_sel:BYTE_1 src1_sel:DWORD
	v_ffbh_u32_e32 v48, v44
	v_min_u32_e32 v54, 32, v48
	v_subrev_u32_e32 v48, 28, v54
	v_lshlrev_b64 v[48:49], v48, v[44:45]
	v_lshrrev_b32_e32 v47, 3, v46
	v_sub_u32_e32 v49, 29, v54
	v_cmp_gt_u32_e32 vcc, 8, v46
	v_and_b32_e32 v48, 7, v48
	v_cndmask_b32_e32 v46, v47, v49, vcc
	v_bfrev_b32_e32 v47, 60
	v_cndmask_b32_e32 v44, v44, v48, vcc
	v_lshlrev_b32_e32 v0, 16, v0
	v_lshl_add_u32 v46, v46, 23, v47
	v_and_or_b32 v0, v0, s45, v46
	v_lshlrev_b32_e32 v44, 20, v44
	v_or_b32_e32 v67, v0, v44
	v_mov_b32_e32 v66, v45
.LBB231_63:                             ;   in Loop: Header=BB231_14 Depth=1
	s_or_b64 exec, exec, s[54:55]
.LBB231_64:                             ;   in Loop: Header=BB231_14 Depth=1
	s_or_b64 exec, exec, s[52:53]
.LBB231_65:                             ;   in Loop: Header=BB231_14 Depth=1
	s_or_b64 exec, exec, s[50:51]
	global_load_ushort v44, v[64:65], off offset:512
	v_pk_mov_b32 v[70:71], 0, 0
	v_pk_mov_b32 v[72:73], v[70:71], v[70:71] op_sel:[0,1]
	s_waitcnt vmcnt(0)
	v_and_b32_e32 v0, 0xffff, v44
	v_cmp_ne_u16_sdwa s[52:53], v44, v45 src0_sel:BYTE_0 src1_sel:DWORD
	s_and_saveexec_b64 s[50:51], s[52:53]
	s_cbranch_execz .LBB231_71
; %bb.66:                               ;   in Loop: Header=BB231_14 Depth=1
	v_bfrev_b32_e32 v72, 1
	v_cmp_ne_u16_sdwa s[54:55], v0, s65 src0_sel:BYTE_0 src1_sel:DWORD
	v_mov_b32_e32 v73, 0
	s_and_saveexec_b64 s[52:53], s[54:55]
	s_cbranch_execz .LBB231_70
; %bb.67:                               ;   in Loop: Header=BB231_14 Depth=1
	v_and_b32_e32 v44, 0x7f, v0
	v_mov_b32_e32 v72, 0x7f800001
	v_cmp_ne_u32_e32 vcc, s66, v44
	v_mov_b32_e32 v73, 0
	s_and_saveexec_b64 s[54:55], vcc
	s_cbranch_execz .LBB231_69
; %bb.68:                               ;   in Loop: Header=BB231_14 Depth=1
	v_and_b32_e32 v48, 7, v0
	v_ffbh_u32_e32 v46, v48
	v_min_u32_e32 v54, 32, v46
	v_subrev_u32_e32 v46, 28, v54
	v_lshlrev_b64 v[46:47], v46, v[0:1]
	v_lshrrev_b32_e32 v49, 3, v44
	v_sub_u32_e32 v47, 29, v54
	v_and_b32_e32 v46, 7, v46
	v_cmp_gt_u32_e32 vcc, 8, v44
	v_cndmask_b32_e32 v44, v49, v47, vcc
	v_cndmask_b32_e32 v46, v48, v46, vcc
	v_bfrev_b32_e32 v48, 60
	v_lshlrev_b32_e32 v46, 20, v46
	v_and_b32_sdwa v47, sext(v0), s45 dst_sel:DWORD dst_unused:UNUSED_PAD src0_sel:BYTE_0 src1_sel:DWORD
	v_lshl_add_u32 v44, v44, 23, v48
	v_or3_b32 v44, v47, v44, v46
	v_pk_mov_b32 v[72:73], v[44:45], v[44:45] op_sel:[0,1]
.LBB231_69:                             ;   in Loop: Header=BB231_14 Depth=1
	s_or_b64 exec, exec, s[54:55]
.LBB231_70:                             ;   in Loop: Header=BB231_14 Depth=1
	s_or_b64 exec, exec, s[52:53]
.LBB231_71:                             ;   in Loop: Header=BB231_14 Depth=1
	s_or_b64 exec, exec, s[50:51]
	v_cmp_ne_u16_sdwa s[52:53], v0, v45 src0_sel:BYTE_1 src1_sel:DWORD
	s_and_saveexec_b64 s[50:51], s[52:53]
	s_cbranch_execz .LBB231_77
; %bb.72:                               ;   in Loop: Header=BB231_14 Depth=1
	v_cmp_ne_u16_sdwa s[54:55], v0, s65 src0_sel:BYTE_1 src1_sel:DWORD
	v_pk_mov_b32 v[70:71], s[44:45], s[44:45] op_sel:[0,1]
	s_and_saveexec_b64 s[52:53], s[54:55]
	s_cbranch_execz .LBB231_76
; %bb.73:                               ;   in Loop: Header=BB231_14 Depth=1
	v_and_b32_sdwa v46, v0, s66 dst_sel:DWORD dst_unused:UNUSED_PAD src0_sel:BYTE_1 src1_sel:DWORD
	s_mov_b32 s48, s44
	v_cmp_ne_u32_e32 vcc, s66, v46
	v_pk_mov_b32 v[70:71], s[48:49], s[48:49] op_sel:[0,1]
	s_and_saveexec_b64 s[54:55], vcc
	s_cbranch_execz .LBB231_75
; %bb.74:                               ;   in Loop: Header=BB231_14 Depth=1
	v_mov_b32_e32 v44, 7
	v_and_b32_sdwa v44, v0, v44 dst_sel:DWORD dst_unused:UNUSED_PAD src0_sel:BYTE_1 src1_sel:DWORD
	v_ffbh_u32_e32 v48, v44
	v_min_u32_e32 v54, 32, v48
	v_subrev_u32_e32 v48, 28, v54
	v_lshlrev_b64 v[48:49], v48, v[44:45]
	v_lshrrev_b32_e32 v47, 3, v46
	v_sub_u32_e32 v49, 29, v54
	v_cmp_gt_u32_e32 vcc, 8, v46
	v_and_b32_e32 v48, 7, v48
	v_cndmask_b32_e32 v46, v47, v49, vcc
	v_bfrev_b32_e32 v47, 60
	v_cndmask_b32_e32 v44, v44, v48, vcc
	v_lshlrev_b32_e32 v0, 16, v0
	v_lshl_add_u32 v46, v46, 23, v47
	v_and_or_b32 v0, v0, s45, v46
	v_lshlrev_b32_e32 v44, 20, v44
	v_or_b32_e32 v71, v0, v44
	v_mov_b32_e32 v70, v45
.LBB231_75:                             ;   in Loop: Header=BB231_14 Depth=1
	s_or_b64 exec, exec, s[54:55]
.LBB231_76:                             ;   in Loop: Header=BB231_14 Depth=1
	s_or_b64 exec, exec, s[52:53]
.LBB231_77:                             ;   in Loop: Header=BB231_14 Depth=1
	s_or_b64 exec, exec, s[50:51]
	global_load_ushort v44, v[64:65], off offset:516
	v_pk_mov_b32 v[74:75], 0, 0
	v_pk_mov_b32 v[76:77], v[74:75], v[74:75] op_sel:[0,1]
	s_waitcnt vmcnt(0)
	v_and_b32_e32 v0, 0xffff, v44
	v_cmp_ne_u16_sdwa s[52:53], v44, v45 src0_sel:BYTE_0 src1_sel:DWORD
	s_and_saveexec_b64 s[50:51], s[52:53]
	s_cbranch_execz .LBB231_83
; %bb.78:                               ;   in Loop: Header=BB231_14 Depth=1
	v_bfrev_b32_e32 v76, 1
	v_cmp_ne_u16_sdwa s[54:55], v0, s65 src0_sel:BYTE_0 src1_sel:DWORD
	v_mov_b32_e32 v77, 0
	s_and_saveexec_b64 s[52:53], s[54:55]
	s_cbranch_execz .LBB231_82
; %bb.79:                               ;   in Loop: Header=BB231_14 Depth=1
	v_and_b32_e32 v44, 0x7f, v0
	v_mov_b32_e32 v76, 0x7f800001
	v_cmp_ne_u32_e32 vcc, s66, v44
	v_mov_b32_e32 v77, 0
	s_and_saveexec_b64 s[54:55], vcc
	s_cbranch_execz .LBB231_81
; %bb.80:                               ;   in Loop: Header=BB231_14 Depth=1
	v_and_b32_e32 v48, 7, v0
	v_ffbh_u32_e32 v46, v48
	v_min_u32_e32 v54, 32, v46
	v_subrev_u32_e32 v46, 28, v54
	v_lshlrev_b64 v[46:47], v46, v[0:1]
	v_lshrrev_b32_e32 v49, 3, v44
	v_sub_u32_e32 v47, 29, v54
	v_and_b32_e32 v46, 7, v46
	v_cmp_gt_u32_e32 vcc, 8, v44
	v_cndmask_b32_e32 v44, v49, v47, vcc
	v_cndmask_b32_e32 v46, v48, v46, vcc
	v_bfrev_b32_e32 v48, 60
	v_lshlrev_b32_e32 v46, 20, v46
	v_and_b32_sdwa v47, sext(v0), s45 dst_sel:DWORD dst_unused:UNUSED_PAD src0_sel:BYTE_0 src1_sel:DWORD
	v_lshl_add_u32 v44, v44, 23, v48
	v_or3_b32 v44, v47, v44, v46
	v_pk_mov_b32 v[76:77], v[44:45], v[44:45] op_sel:[0,1]
.LBB231_81:                             ;   in Loop: Header=BB231_14 Depth=1
	s_or_b64 exec, exec, s[54:55]
.LBB231_82:                             ;   in Loop: Header=BB231_14 Depth=1
	s_or_b64 exec, exec, s[52:53]
.LBB231_83:                             ;   in Loop: Header=BB231_14 Depth=1
	s_or_b64 exec, exec, s[50:51]
	v_cmp_ne_u16_sdwa s[52:53], v0, v45 src0_sel:BYTE_1 src1_sel:DWORD
	s_and_saveexec_b64 s[50:51], s[52:53]
	s_cbranch_execz .LBB231_89
; %bb.84:                               ;   in Loop: Header=BB231_14 Depth=1
	v_cmp_ne_u16_sdwa s[54:55], v0, s65 src0_sel:BYTE_1 src1_sel:DWORD
	v_pk_mov_b32 v[74:75], s[44:45], s[44:45] op_sel:[0,1]
	s_and_saveexec_b64 s[52:53], s[54:55]
	s_cbranch_execz .LBB231_88
; %bb.85:                               ;   in Loop: Header=BB231_14 Depth=1
	v_and_b32_sdwa v46, v0, s66 dst_sel:DWORD dst_unused:UNUSED_PAD src0_sel:BYTE_1 src1_sel:DWORD
	s_mov_b32 s48, s44
	v_cmp_ne_u32_e32 vcc, s66, v46
	v_pk_mov_b32 v[74:75], s[48:49], s[48:49] op_sel:[0,1]
	s_and_saveexec_b64 s[54:55], vcc
	s_cbranch_execz .LBB231_87
; %bb.86:                               ;   in Loop: Header=BB231_14 Depth=1
	v_mov_b32_e32 v44, 7
	v_and_b32_sdwa v44, v0, v44 dst_sel:DWORD dst_unused:UNUSED_PAD src0_sel:BYTE_1 src1_sel:DWORD
	v_ffbh_u32_e32 v48, v44
	v_min_u32_e32 v54, 32, v48
	v_subrev_u32_e32 v48, 28, v54
	v_lshlrev_b64 v[48:49], v48, v[44:45]
	v_lshrrev_b32_e32 v47, 3, v46
	v_sub_u32_e32 v49, 29, v54
	v_cmp_gt_u32_e32 vcc, 8, v46
	v_and_b32_e32 v48, 7, v48
	v_cndmask_b32_e32 v46, v47, v49, vcc
	v_bfrev_b32_e32 v47, 60
	v_cndmask_b32_e32 v44, v44, v48, vcc
	v_lshlrev_b32_e32 v0, 16, v0
	v_lshl_add_u32 v46, v46, 23, v47
	v_and_or_b32 v0, v0, s45, v46
	v_lshlrev_b32_e32 v44, 20, v44
	v_or_b32_e32 v75, v0, v44
	v_mov_b32_e32 v74, v45
.LBB231_87:                             ;   in Loop: Header=BB231_14 Depth=1
	s_or_b64 exec, exec, s[54:55]
.LBB231_88:                             ;   in Loop: Header=BB231_14 Depth=1
	s_or_b64 exec, exec, s[52:53]
.LBB231_89:                             ;   in Loop: Header=BB231_14 Depth=1
	s_or_b64 exec, exec, s[50:51]
	v_add_co_u32_e32 v46, vcc, 0x200, v64
	v_addc_co_u32_e32 v47, vcc, 0, v65, vcc
	global_load_ushort v44, v[46:47], off offset:8
	v_pk_mov_b32 v[78:79], 0, 0
	v_pk_mov_b32 v[80:81], v[78:79], v[78:79] op_sel:[0,1]
	s_waitcnt vmcnt(0)
	v_and_b32_e32 v0, 0xffff, v44
	v_cmp_ne_u16_sdwa s[52:53], v44, v45 src0_sel:BYTE_0 src1_sel:DWORD
	s_and_saveexec_b64 s[50:51], s[52:53]
	s_cbranch_execz .LBB231_95
; %bb.90:                               ;   in Loop: Header=BB231_14 Depth=1
	v_bfrev_b32_e32 v80, 1
	v_cmp_ne_u16_sdwa s[54:55], v0, s65 src0_sel:BYTE_0 src1_sel:DWORD
	v_mov_b32_e32 v81, 0
	s_and_saveexec_b64 s[52:53], s[54:55]
	s_cbranch_execz .LBB231_94
; %bb.91:                               ;   in Loop: Header=BB231_14 Depth=1
	v_and_b32_e32 v44, 0x7f, v0
	v_mov_b32_e32 v80, 0x7f800001
	v_cmp_ne_u32_e32 vcc, s66, v44
	v_mov_b32_e32 v81, 0
	s_and_saveexec_b64 s[54:55], vcc
	s_cbranch_execz .LBB231_93
; %bb.92:                               ;   in Loop: Header=BB231_14 Depth=1
	v_and_b32_e32 v54, 7, v0
	v_ffbh_u32_e32 v48, v54
	v_min_u32_e32 v80, 32, v48
	v_subrev_u32_e32 v48, 28, v80
	v_lshlrev_b64 v[48:49], v48, v[0:1]
	v_lshrrev_b32_e32 v55, 3, v44
	v_sub_u32_e32 v49, 29, v80
	v_and_b32_e32 v48, 7, v48
	v_cmp_gt_u32_e32 vcc, 8, v44
	v_cndmask_b32_e32 v44, v55, v49, vcc
	v_cndmask_b32_e32 v48, v54, v48, vcc
	v_bfrev_b32_e32 v54, 60
	v_lshlrev_b32_e32 v48, 20, v48
	v_and_b32_sdwa v49, sext(v0), s45 dst_sel:DWORD dst_unused:UNUSED_PAD src0_sel:BYTE_0 src1_sel:DWORD
	v_lshl_add_u32 v44, v44, 23, v54
	v_or3_b32 v44, v49, v44, v48
	v_pk_mov_b32 v[80:81], v[44:45], v[44:45] op_sel:[0,1]
.LBB231_93:                             ;   in Loop: Header=BB231_14 Depth=1
	s_or_b64 exec, exec, s[54:55]
.LBB231_94:                             ;   in Loop: Header=BB231_14 Depth=1
	s_or_b64 exec, exec, s[52:53]
.LBB231_95:                             ;   in Loop: Header=BB231_14 Depth=1
	s_or_b64 exec, exec, s[50:51]
	v_cmp_ne_u16_sdwa s[52:53], v0, v45 src0_sel:BYTE_1 src1_sel:DWORD
	s_and_saveexec_b64 s[50:51], s[52:53]
	s_cbranch_execz .LBB231_101
; %bb.96:                               ;   in Loop: Header=BB231_14 Depth=1
	v_cmp_ne_u16_sdwa s[54:55], v0, s65 src0_sel:BYTE_1 src1_sel:DWORD
	v_pk_mov_b32 v[78:79], s[44:45], s[44:45] op_sel:[0,1]
	s_and_saveexec_b64 s[52:53], s[54:55]
	s_cbranch_execz .LBB231_100
; %bb.97:                               ;   in Loop: Header=BB231_14 Depth=1
	v_and_b32_sdwa v48, v0, s66 dst_sel:DWORD dst_unused:UNUSED_PAD src0_sel:BYTE_1 src1_sel:DWORD
	s_mov_b32 s48, s44
	v_cmp_ne_u32_e32 vcc, s66, v48
	v_pk_mov_b32 v[78:79], s[48:49], s[48:49] op_sel:[0,1]
	s_and_saveexec_b64 s[54:55], vcc
	s_cbranch_execz .LBB231_99
; %bb.98:                               ;   in Loop: Header=BB231_14 Depth=1
	v_mov_b32_e32 v44, 7
	v_and_b32_sdwa v44, v0, v44 dst_sel:DWORD dst_unused:UNUSED_PAD src0_sel:BYTE_1 src1_sel:DWORD
	v_ffbh_u32_e32 v54, v44
	v_min_u32_e32 v78, 32, v54
	v_subrev_u32_e32 v54, 28, v78
	v_lshlrev_b64 v[54:55], v54, v[44:45]
	v_lshrrev_b32_e32 v49, 3, v48
	v_sub_u32_e32 v55, 29, v78
	v_cmp_gt_u32_e32 vcc, 8, v48
	v_and_b32_e32 v54, 7, v54
	v_cndmask_b32_e32 v48, v49, v55, vcc
	v_bfrev_b32_e32 v49, 60
	v_cndmask_b32_e32 v44, v44, v54, vcc
	v_lshlrev_b32_e32 v0, 16, v0
	v_lshl_add_u32 v48, v48, 23, v49
	v_and_or_b32 v0, v0, s45, v48
	v_lshlrev_b32_e32 v44, 20, v44
	v_or_b32_e32 v79, v0, v44
	v_mov_b32_e32 v78, v45
.LBB231_99:                             ;   in Loop: Header=BB231_14 Depth=1
	s_or_b64 exec, exec, s[54:55]
.LBB231_100:                            ;   in Loop: Header=BB231_14 Depth=1
	s_or_b64 exec, exec, s[52:53]
.LBB231_101:                            ;   in Loop: Header=BB231_14 Depth=1
	s_or_b64 exec, exec, s[50:51]
	global_load_ushort v44, v[46:47], off offset:12
	v_pk_mov_b32 v[82:83], 0, 0
	v_pk_mov_b32 v[84:85], v[82:83], v[82:83] op_sel:[0,1]
	s_waitcnt vmcnt(0)
	v_and_b32_e32 v0, 0xffff, v44
	v_cmp_ne_u16_sdwa s[52:53], v44, v45 src0_sel:BYTE_0 src1_sel:DWORD
	s_and_saveexec_b64 s[50:51], s[52:53]
	s_cbranch_execz .LBB231_107
; %bb.102:                              ;   in Loop: Header=BB231_14 Depth=1
	v_bfrev_b32_e32 v84, 1
	v_cmp_ne_u16_sdwa s[54:55], v0, s65 src0_sel:BYTE_0 src1_sel:DWORD
	v_mov_b32_e32 v85, 0
	s_and_saveexec_b64 s[52:53], s[54:55]
	s_cbranch_execz .LBB231_106
; %bb.103:                              ;   in Loop: Header=BB231_14 Depth=1
	v_and_b32_e32 v44, 0x7f, v0
	v_mov_b32_e32 v84, 0x7f800001
	v_cmp_ne_u32_e32 vcc, s66, v44
	v_mov_b32_e32 v85, 0
	s_and_saveexec_b64 s[54:55], vcc
	s_cbranch_execz .LBB231_105
; %bb.104:                              ;   in Loop: Header=BB231_14 Depth=1
	v_and_b32_e32 v48, 7, v0
	v_ffbh_u32_e32 v46, v48
	v_min_u32_e32 v54, 32, v46
	v_subrev_u32_e32 v46, 28, v54
	v_lshlrev_b64 v[46:47], v46, v[0:1]
	v_lshrrev_b32_e32 v49, 3, v44
	v_sub_u32_e32 v47, 29, v54
	v_and_b32_e32 v46, 7, v46
	v_cmp_gt_u32_e32 vcc, 8, v44
	v_cndmask_b32_e32 v44, v49, v47, vcc
	v_cndmask_b32_e32 v46, v48, v46, vcc
	v_bfrev_b32_e32 v48, 60
	v_lshlrev_b32_e32 v46, 20, v46
	v_and_b32_sdwa v47, sext(v0), s45 dst_sel:DWORD dst_unused:UNUSED_PAD src0_sel:BYTE_0 src1_sel:DWORD
	v_lshl_add_u32 v44, v44, 23, v48
	v_or3_b32 v44, v47, v44, v46
	v_pk_mov_b32 v[84:85], v[44:45], v[44:45] op_sel:[0,1]
.LBB231_105:                            ;   in Loop: Header=BB231_14 Depth=1
	s_or_b64 exec, exec, s[54:55]
.LBB231_106:                            ;   in Loop: Header=BB231_14 Depth=1
	s_or_b64 exec, exec, s[52:53]
.LBB231_107:                            ;   in Loop: Header=BB231_14 Depth=1
	s_or_b64 exec, exec, s[50:51]
	v_cmp_ne_u16_sdwa s[52:53], v0, v45 src0_sel:BYTE_1 src1_sel:DWORD
	s_and_saveexec_b64 s[50:51], s[52:53]
	s_cbranch_execz .LBB231_113
; %bb.108:                              ;   in Loop: Header=BB231_14 Depth=1
	v_cmp_ne_u16_sdwa s[54:55], v0, s65 src0_sel:BYTE_1 src1_sel:DWORD
	v_pk_mov_b32 v[82:83], s[44:45], s[44:45] op_sel:[0,1]
	s_and_saveexec_b64 s[52:53], s[54:55]
	s_cbranch_execz .LBB231_112
; %bb.109:                              ;   in Loop: Header=BB231_14 Depth=1
	v_and_b32_sdwa v46, v0, s66 dst_sel:DWORD dst_unused:UNUSED_PAD src0_sel:BYTE_1 src1_sel:DWORD
	s_mov_b32 s48, s44
	v_cmp_ne_u32_e32 vcc, s66, v46
	v_pk_mov_b32 v[82:83], s[48:49], s[48:49] op_sel:[0,1]
	s_and_saveexec_b64 s[54:55], vcc
	s_cbranch_execz .LBB231_111
; %bb.110:                              ;   in Loop: Header=BB231_14 Depth=1
	v_mov_b32_e32 v44, 7
	v_and_b32_sdwa v44, v0, v44 dst_sel:DWORD dst_unused:UNUSED_PAD src0_sel:BYTE_1 src1_sel:DWORD
	v_ffbh_u32_e32 v48, v44
	v_min_u32_e32 v54, 32, v48
	v_subrev_u32_e32 v48, 28, v54
	v_lshlrev_b64 v[48:49], v48, v[44:45]
	v_lshrrev_b32_e32 v47, 3, v46
	v_sub_u32_e32 v49, 29, v54
	v_cmp_gt_u32_e32 vcc, 8, v46
	v_and_b32_e32 v48, 7, v48
	v_cndmask_b32_e32 v46, v47, v49, vcc
	v_bfrev_b32_e32 v47, 60
	v_cndmask_b32_e32 v44, v44, v48, vcc
	v_lshlrev_b32_e32 v0, 16, v0
	v_lshl_add_u32 v46, v46, 23, v47
	v_and_or_b32 v0, v0, s45, v46
	v_lshlrev_b32_e32 v44, 20, v44
	v_or_b32_e32 v83, v0, v44
	v_mov_b32_e32 v82, v45
.LBB231_111:                            ;   in Loop: Header=BB231_14 Depth=1
	s_or_b64 exec, exec, s[54:55]
.LBB231_112:                            ;   in Loop: Header=BB231_14 Depth=1
	s_or_b64 exec, exec, s[52:53]
.LBB231_113:                            ;   in Loop: Header=BB231_14 Depth=1
	s_or_b64 exec, exec, s[50:51]
	global_load_ushort v44, v[64:65], off offset:1024
	v_pk_mov_b32 v[86:87], 0, 0
	v_pk_mov_b32 v[88:89], v[86:87], v[86:87] op_sel:[0,1]
	s_waitcnt vmcnt(0)
	v_and_b32_e32 v0, 0xffff, v44
	v_cmp_ne_u16_sdwa s[52:53], v44, v45 src0_sel:BYTE_0 src1_sel:DWORD
	s_and_saveexec_b64 s[50:51], s[52:53]
	s_cbranch_execz .LBB231_119
; %bb.114:                              ;   in Loop: Header=BB231_14 Depth=1
	v_bfrev_b32_e32 v88, 1
	v_cmp_ne_u16_sdwa s[54:55], v0, s65 src0_sel:BYTE_0 src1_sel:DWORD
	v_mov_b32_e32 v89, 0
	s_and_saveexec_b64 s[52:53], s[54:55]
	s_cbranch_execz .LBB231_118
; %bb.115:                              ;   in Loop: Header=BB231_14 Depth=1
	v_and_b32_e32 v44, 0x7f, v0
	v_mov_b32_e32 v88, 0x7f800001
	v_cmp_ne_u32_e32 vcc, s66, v44
	v_mov_b32_e32 v89, 0
	s_and_saveexec_b64 s[54:55], vcc
	s_cbranch_execz .LBB231_117
; %bb.116:                              ;   in Loop: Header=BB231_14 Depth=1
	v_and_b32_e32 v48, 7, v0
	v_ffbh_u32_e32 v46, v48
	v_min_u32_e32 v54, 32, v46
	v_subrev_u32_e32 v46, 28, v54
	v_lshlrev_b64 v[46:47], v46, v[0:1]
	v_lshrrev_b32_e32 v49, 3, v44
	v_sub_u32_e32 v47, 29, v54
	v_and_b32_e32 v46, 7, v46
	v_cmp_gt_u32_e32 vcc, 8, v44
	v_cndmask_b32_e32 v44, v49, v47, vcc
	v_cndmask_b32_e32 v46, v48, v46, vcc
	v_bfrev_b32_e32 v48, 60
	v_lshlrev_b32_e32 v46, 20, v46
	v_and_b32_sdwa v47, sext(v0), s45 dst_sel:DWORD dst_unused:UNUSED_PAD src0_sel:BYTE_0 src1_sel:DWORD
	v_lshl_add_u32 v44, v44, 23, v48
	v_or3_b32 v44, v47, v44, v46
	v_pk_mov_b32 v[88:89], v[44:45], v[44:45] op_sel:[0,1]
.LBB231_117:                            ;   in Loop: Header=BB231_14 Depth=1
	s_or_b64 exec, exec, s[54:55]
.LBB231_118:                            ;   in Loop: Header=BB231_14 Depth=1
	s_or_b64 exec, exec, s[52:53]
.LBB231_119:                            ;   in Loop: Header=BB231_14 Depth=1
	s_or_b64 exec, exec, s[50:51]
	v_cmp_ne_u16_sdwa s[52:53], v0, v45 src0_sel:BYTE_1 src1_sel:DWORD
	s_and_saveexec_b64 s[50:51], s[52:53]
	s_cbranch_execz .LBB231_125
; %bb.120:                              ;   in Loop: Header=BB231_14 Depth=1
	v_cmp_ne_u16_sdwa s[54:55], v0, s65 src0_sel:BYTE_1 src1_sel:DWORD
	v_pk_mov_b32 v[86:87], s[44:45], s[44:45] op_sel:[0,1]
	s_and_saveexec_b64 s[52:53], s[54:55]
	s_cbranch_execz .LBB231_124
; %bb.121:                              ;   in Loop: Header=BB231_14 Depth=1
	v_and_b32_sdwa v46, v0, s66 dst_sel:DWORD dst_unused:UNUSED_PAD src0_sel:BYTE_1 src1_sel:DWORD
	s_mov_b32 s48, s44
	v_cmp_ne_u32_e32 vcc, s66, v46
	v_pk_mov_b32 v[86:87], s[48:49], s[48:49] op_sel:[0,1]
	s_and_saveexec_b64 s[54:55], vcc
	s_cbranch_execz .LBB231_123
; %bb.122:                              ;   in Loop: Header=BB231_14 Depth=1
	v_mov_b32_e32 v44, 7
	v_and_b32_sdwa v44, v0, v44 dst_sel:DWORD dst_unused:UNUSED_PAD src0_sel:BYTE_1 src1_sel:DWORD
	v_ffbh_u32_e32 v48, v44
	v_min_u32_e32 v54, 32, v48
	v_subrev_u32_e32 v48, 28, v54
	v_lshlrev_b64 v[48:49], v48, v[44:45]
	v_lshrrev_b32_e32 v47, 3, v46
	v_sub_u32_e32 v49, 29, v54
	v_cmp_gt_u32_e32 vcc, 8, v46
	v_and_b32_e32 v48, 7, v48
	v_cndmask_b32_e32 v46, v47, v49, vcc
	v_bfrev_b32_e32 v47, 60
	v_cndmask_b32_e32 v44, v44, v48, vcc
	v_lshlrev_b32_e32 v0, 16, v0
	v_lshl_add_u32 v46, v46, 23, v47
	v_and_or_b32 v0, v0, s45, v46
	v_lshlrev_b32_e32 v44, 20, v44
	v_or_b32_e32 v87, v0, v44
	v_mov_b32_e32 v86, v45
.LBB231_123:                            ;   in Loop: Header=BB231_14 Depth=1
	s_or_b64 exec, exec, s[54:55]
.LBB231_124:                            ;   in Loop: Header=BB231_14 Depth=1
	s_or_b64 exec, exec, s[52:53]
.LBB231_125:                            ;   in Loop: Header=BB231_14 Depth=1
	s_or_b64 exec, exec, s[50:51]
	global_load_ushort v44, v[64:65], off offset:1028
	v_pk_mov_b32 v[90:91], 0, 0
	v_pk_mov_b32 v[92:93], v[90:91], v[90:91] op_sel:[0,1]
	s_waitcnt vmcnt(0)
	v_and_b32_e32 v0, 0xffff, v44
	v_cmp_ne_u16_sdwa s[52:53], v44, v45 src0_sel:BYTE_0 src1_sel:DWORD
	s_and_saveexec_b64 s[50:51], s[52:53]
	s_cbranch_execz .LBB231_131
; %bb.126:                              ;   in Loop: Header=BB231_14 Depth=1
	v_bfrev_b32_e32 v92, 1
	v_cmp_ne_u16_sdwa s[54:55], v0, s65 src0_sel:BYTE_0 src1_sel:DWORD
	v_mov_b32_e32 v93, 0
	s_and_saveexec_b64 s[52:53], s[54:55]
	s_cbranch_execz .LBB231_130
; %bb.127:                              ;   in Loop: Header=BB231_14 Depth=1
	v_and_b32_e32 v44, 0x7f, v0
	v_mov_b32_e32 v92, 0x7f800001
	v_cmp_ne_u32_e32 vcc, s66, v44
	v_mov_b32_e32 v93, 0
	s_and_saveexec_b64 s[54:55], vcc
	s_cbranch_execz .LBB231_129
; %bb.128:                              ;   in Loop: Header=BB231_14 Depth=1
	v_and_b32_e32 v48, 7, v0
	v_ffbh_u32_e32 v46, v48
	v_min_u32_e32 v54, 32, v46
	v_subrev_u32_e32 v46, 28, v54
	v_lshlrev_b64 v[46:47], v46, v[0:1]
	v_lshrrev_b32_e32 v49, 3, v44
	v_sub_u32_e32 v47, 29, v54
	v_and_b32_e32 v46, 7, v46
	v_cmp_gt_u32_e32 vcc, 8, v44
	v_cndmask_b32_e32 v44, v49, v47, vcc
	v_cndmask_b32_e32 v46, v48, v46, vcc
	v_bfrev_b32_e32 v48, 60
	v_lshlrev_b32_e32 v46, 20, v46
	v_and_b32_sdwa v47, sext(v0), s45 dst_sel:DWORD dst_unused:UNUSED_PAD src0_sel:BYTE_0 src1_sel:DWORD
	v_lshl_add_u32 v44, v44, 23, v48
	v_or3_b32 v44, v47, v44, v46
	v_pk_mov_b32 v[92:93], v[44:45], v[44:45] op_sel:[0,1]
.LBB231_129:                            ;   in Loop: Header=BB231_14 Depth=1
	s_or_b64 exec, exec, s[54:55]
.LBB231_130:                            ;   in Loop: Header=BB231_14 Depth=1
	s_or_b64 exec, exec, s[52:53]
.LBB231_131:                            ;   in Loop: Header=BB231_14 Depth=1
	s_or_b64 exec, exec, s[50:51]
	v_cmp_ne_u16_sdwa s[52:53], v0, v45 src0_sel:BYTE_1 src1_sel:DWORD
	s_and_saveexec_b64 s[50:51], s[52:53]
	s_cbranch_execz .LBB231_137
; %bb.132:                              ;   in Loop: Header=BB231_14 Depth=1
	v_cmp_ne_u16_sdwa s[54:55], v0, s65 src0_sel:BYTE_1 src1_sel:DWORD
	v_pk_mov_b32 v[90:91], s[44:45], s[44:45] op_sel:[0,1]
	s_and_saveexec_b64 s[52:53], s[54:55]
	s_cbranch_execz .LBB231_136
; %bb.133:                              ;   in Loop: Header=BB231_14 Depth=1
	v_and_b32_sdwa v46, v0, s66 dst_sel:DWORD dst_unused:UNUSED_PAD src0_sel:BYTE_1 src1_sel:DWORD
	s_mov_b32 s48, s44
	v_cmp_ne_u32_e32 vcc, s66, v46
	v_pk_mov_b32 v[90:91], s[48:49], s[48:49] op_sel:[0,1]
	s_and_saveexec_b64 s[54:55], vcc
	s_cbranch_execz .LBB231_135
; %bb.134:                              ;   in Loop: Header=BB231_14 Depth=1
	v_mov_b32_e32 v44, 7
	v_and_b32_sdwa v44, v0, v44 dst_sel:DWORD dst_unused:UNUSED_PAD src0_sel:BYTE_1 src1_sel:DWORD
	v_ffbh_u32_e32 v48, v44
	v_min_u32_e32 v54, 32, v48
	v_subrev_u32_e32 v48, 28, v54
	v_lshlrev_b64 v[48:49], v48, v[44:45]
	v_lshrrev_b32_e32 v47, 3, v46
	v_sub_u32_e32 v49, 29, v54
	v_cmp_gt_u32_e32 vcc, 8, v46
	v_and_b32_e32 v48, 7, v48
	v_cndmask_b32_e32 v46, v47, v49, vcc
	v_bfrev_b32_e32 v47, 60
	v_cndmask_b32_e32 v44, v44, v48, vcc
	v_lshlrev_b32_e32 v0, 16, v0
	v_lshl_add_u32 v46, v46, 23, v47
	v_and_or_b32 v0, v0, s45, v46
	v_lshlrev_b32_e32 v44, 20, v44
	v_or_b32_e32 v91, v0, v44
	v_mov_b32_e32 v90, v45
.LBB231_135:                            ;   in Loop: Header=BB231_14 Depth=1
	s_or_b64 exec, exec, s[54:55]
.LBB231_136:                            ;   in Loop: Header=BB231_14 Depth=1
	s_or_b64 exec, exec, s[52:53]
.LBB231_137:                            ;   in Loop: Header=BB231_14 Depth=1
	s_or_b64 exec, exec, s[50:51]
	v_add_co_u32_e32 v46, vcc, 0x400, v64
	v_addc_co_u32_e32 v47, vcc, 0, v65, vcc
	global_load_ushort v44, v[46:47], off offset:8
	v_pk_mov_b32 v[94:95], 0, 0
	v_pk_mov_b32 v[96:97], v[94:95], v[94:95] op_sel:[0,1]
	s_waitcnt vmcnt(0)
	v_and_b32_e32 v0, 0xffff, v44
	v_cmp_ne_u16_sdwa s[52:53], v44, v45 src0_sel:BYTE_0 src1_sel:DWORD
	s_and_saveexec_b64 s[50:51], s[52:53]
	s_cbranch_execz .LBB231_143
; %bb.138:                              ;   in Loop: Header=BB231_14 Depth=1
	v_bfrev_b32_e32 v96, 1
	v_cmp_ne_u16_sdwa s[54:55], v0, s65 src0_sel:BYTE_0 src1_sel:DWORD
	v_mov_b32_e32 v97, 0
	s_and_saveexec_b64 s[52:53], s[54:55]
	s_cbranch_execz .LBB231_142
; %bb.139:                              ;   in Loop: Header=BB231_14 Depth=1
	v_and_b32_e32 v44, 0x7f, v0
	v_mov_b32_e32 v96, 0x7f800001
	v_cmp_ne_u32_e32 vcc, s66, v44
	v_mov_b32_e32 v97, 0
	s_and_saveexec_b64 s[54:55], vcc
	s_cbranch_execz .LBB231_141
; %bb.140:                              ;   in Loop: Header=BB231_14 Depth=1
	v_and_b32_e32 v54, 7, v0
	v_ffbh_u32_e32 v48, v54
	v_min_u32_e32 v96, 32, v48
	v_subrev_u32_e32 v48, 28, v96
	v_lshlrev_b64 v[48:49], v48, v[0:1]
	v_lshrrev_b32_e32 v55, 3, v44
	v_sub_u32_e32 v49, 29, v96
	v_and_b32_e32 v48, 7, v48
	v_cmp_gt_u32_e32 vcc, 8, v44
	v_cndmask_b32_e32 v44, v55, v49, vcc
	v_cndmask_b32_e32 v48, v54, v48, vcc
	v_bfrev_b32_e32 v54, 60
	v_lshlrev_b32_e32 v48, 20, v48
	v_and_b32_sdwa v49, sext(v0), s45 dst_sel:DWORD dst_unused:UNUSED_PAD src0_sel:BYTE_0 src1_sel:DWORD
	v_lshl_add_u32 v44, v44, 23, v54
	v_or3_b32 v44, v49, v44, v48
	v_pk_mov_b32 v[96:97], v[44:45], v[44:45] op_sel:[0,1]
.LBB231_141:                            ;   in Loop: Header=BB231_14 Depth=1
	s_or_b64 exec, exec, s[54:55]
.LBB231_142:                            ;   in Loop: Header=BB231_14 Depth=1
	s_or_b64 exec, exec, s[52:53]
.LBB231_143:                            ;   in Loop: Header=BB231_14 Depth=1
	s_or_b64 exec, exec, s[50:51]
	v_cmp_ne_u16_sdwa s[52:53], v0, v45 src0_sel:BYTE_1 src1_sel:DWORD
	s_and_saveexec_b64 s[50:51], s[52:53]
	s_cbranch_execz .LBB231_149
; %bb.144:                              ;   in Loop: Header=BB231_14 Depth=1
	v_cmp_ne_u16_sdwa s[54:55], v0, s65 src0_sel:BYTE_1 src1_sel:DWORD
	v_pk_mov_b32 v[94:95], s[44:45], s[44:45] op_sel:[0,1]
	s_and_saveexec_b64 s[52:53], s[54:55]
	s_cbranch_execz .LBB231_148
; %bb.145:                              ;   in Loop: Header=BB231_14 Depth=1
	v_and_b32_sdwa v48, v0, s66 dst_sel:DWORD dst_unused:UNUSED_PAD src0_sel:BYTE_1 src1_sel:DWORD
	s_mov_b32 s48, s44
	v_cmp_ne_u32_e32 vcc, s66, v48
	v_pk_mov_b32 v[94:95], s[48:49], s[48:49] op_sel:[0,1]
	s_and_saveexec_b64 s[54:55], vcc
	s_cbranch_execz .LBB231_147
; %bb.146:                              ;   in Loop: Header=BB231_14 Depth=1
	v_mov_b32_e32 v44, 7
	v_and_b32_sdwa v44, v0, v44 dst_sel:DWORD dst_unused:UNUSED_PAD src0_sel:BYTE_1 src1_sel:DWORD
	v_ffbh_u32_e32 v54, v44
	v_min_u32_e32 v94, 32, v54
	v_subrev_u32_e32 v54, 28, v94
	v_lshlrev_b64 v[54:55], v54, v[44:45]
	v_lshrrev_b32_e32 v49, 3, v48
	v_sub_u32_e32 v55, 29, v94
	v_cmp_gt_u32_e32 vcc, 8, v48
	v_and_b32_e32 v54, 7, v54
	v_cndmask_b32_e32 v48, v49, v55, vcc
	v_bfrev_b32_e32 v49, 60
	v_cndmask_b32_e32 v44, v44, v54, vcc
	v_lshlrev_b32_e32 v0, 16, v0
	v_lshl_add_u32 v48, v48, 23, v49
	v_and_or_b32 v0, v0, s45, v48
	v_lshlrev_b32_e32 v44, 20, v44
	v_or_b32_e32 v95, v0, v44
	v_mov_b32_e32 v94, v45
.LBB231_147:                            ;   in Loop: Header=BB231_14 Depth=1
	s_or_b64 exec, exec, s[54:55]
.LBB231_148:                            ;   in Loop: Header=BB231_14 Depth=1
	s_or_b64 exec, exec, s[52:53]
.LBB231_149:                            ;   in Loop: Header=BB231_14 Depth=1
	s_or_b64 exec, exec, s[50:51]
	global_load_ushort v44, v[46:47], off offset:12
	v_pk_mov_b32 v[98:99], 0, 0
	v_pk_mov_b32 v[100:101], v[98:99], v[98:99] op_sel:[0,1]
	s_waitcnt vmcnt(0)
	v_and_b32_e32 v0, 0xffff, v44
	v_cmp_ne_u16_sdwa s[52:53], v44, v45 src0_sel:BYTE_0 src1_sel:DWORD
	s_and_saveexec_b64 s[50:51], s[52:53]
	s_cbranch_execz .LBB231_155
; %bb.150:                              ;   in Loop: Header=BB231_14 Depth=1
	v_bfrev_b32_e32 v100, 1
	v_cmp_ne_u16_sdwa s[54:55], v0, s65 src0_sel:BYTE_0 src1_sel:DWORD
	v_mov_b32_e32 v101, 0
	s_and_saveexec_b64 s[52:53], s[54:55]
	s_cbranch_execz .LBB231_154
; %bb.151:                              ;   in Loop: Header=BB231_14 Depth=1
	v_and_b32_e32 v44, 0x7f, v0
	v_mov_b32_e32 v100, 0x7f800001
	v_cmp_ne_u32_e32 vcc, s66, v44
	v_mov_b32_e32 v101, 0
	s_and_saveexec_b64 s[54:55], vcc
	s_cbranch_execz .LBB231_153
; %bb.152:                              ;   in Loop: Header=BB231_14 Depth=1
	v_and_b32_e32 v48, 7, v0
	v_ffbh_u32_e32 v46, v48
	v_min_u32_e32 v54, 32, v46
	v_subrev_u32_e32 v46, 28, v54
	v_lshlrev_b64 v[46:47], v46, v[0:1]
	v_lshrrev_b32_e32 v49, 3, v44
	v_sub_u32_e32 v47, 29, v54
	v_and_b32_e32 v46, 7, v46
	v_cmp_gt_u32_e32 vcc, 8, v44
	v_cndmask_b32_e32 v44, v49, v47, vcc
	v_cndmask_b32_e32 v46, v48, v46, vcc
	v_bfrev_b32_e32 v48, 60
	v_lshlrev_b32_e32 v46, 20, v46
	v_and_b32_sdwa v47, sext(v0), s45 dst_sel:DWORD dst_unused:UNUSED_PAD src0_sel:BYTE_0 src1_sel:DWORD
	v_lshl_add_u32 v44, v44, 23, v48
	v_or3_b32 v44, v47, v44, v46
	v_pk_mov_b32 v[100:101], v[44:45], v[44:45] op_sel:[0,1]
.LBB231_153:                            ;   in Loop: Header=BB231_14 Depth=1
	s_or_b64 exec, exec, s[54:55]
.LBB231_154:                            ;   in Loop: Header=BB231_14 Depth=1
	s_or_b64 exec, exec, s[52:53]
.LBB231_155:                            ;   in Loop: Header=BB231_14 Depth=1
	s_or_b64 exec, exec, s[50:51]
	v_cmp_ne_u16_sdwa s[52:53], v0, v45 src0_sel:BYTE_1 src1_sel:DWORD
	s_and_saveexec_b64 s[50:51], s[52:53]
	s_cbranch_execz .LBB231_161
; %bb.156:                              ;   in Loop: Header=BB231_14 Depth=1
	v_cmp_ne_u16_sdwa s[54:55], v0, s65 src0_sel:BYTE_1 src1_sel:DWORD
	v_pk_mov_b32 v[98:99], s[44:45], s[44:45] op_sel:[0,1]
	s_and_saveexec_b64 s[52:53], s[54:55]
	s_cbranch_execz .LBB231_160
; %bb.157:                              ;   in Loop: Header=BB231_14 Depth=1
	v_and_b32_sdwa v46, v0, s66 dst_sel:DWORD dst_unused:UNUSED_PAD src0_sel:BYTE_1 src1_sel:DWORD
	s_mov_b32 s48, s44
	v_cmp_ne_u32_e32 vcc, s66, v46
	v_pk_mov_b32 v[98:99], s[48:49], s[48:49] op_sel:[0,1]
	s_and_saveexec_b64 s[54:55], vcc
	s_cbranch_execz .LBB231_159
; %bb.158:                              ;   in Loop: Header=BB231_14 Depth=1
	v_mov_b32_e32 v44, 7
	v_and_b32_sdwa v44, v0, v44 dst_sel:DWORD dst_unused:UNUSED_PAD src0_sel:BYTE_1 src1_sel:DWORD
	v_ffbh_u32_e32 v48, v44
	v_min_u32_e32 v54, 32, v48
	v_subrev_u32_e32 v48, 28, v54
	v_lshlrev_b64 v[48:49], v48, v[44:45]
	v_lshrrev_b32_e32 v47, 3, v46
	v_sub_u32_e32 v49, 29, v54
	v_cmp_gt_u32_e32 vcc, 8, v46
	v_and_b32_e32 v48, 7, v48
	v_cndmask_b32_e32 v46, v47, v49, vcc
	v_bfrev_b32_e32 v47, 60
	v_cndmask_b32_e32 v44, v44, v48, vcc
	v_lshlrev_b32_e32 v0, 16, v0
	v_lshl_add_u32 v46, v46, 23, v47
	v_and_or_b32 v0, v0, s45, v46
	v_lshlrev_b32_e32 v44, 20, v44
	v_or_b32_e32 v99, v0, v44
	v_mov_b32_e32 v98, v45
.LBB231_159:                            ;   in Loop: Header=BB231_14 Depth=1
	s_or_b64 exec, exec, s[54:55]
.LBB231_160:                            ;   in Loop: Header=BB231_14 Depth=1
	s_or_b64 exec, exec, s[52:53]
.LBB231_161:                            ;   in Loop: Header=BB231_14 Depth=1
	s_or_b64 exec, exec, s[50:51]
	global_load_ushort v44, v[64:65], off offset:1536
	v_pk_mov_b32 v[102:103], 0, 0
	v_pk_mov_b32 v[104:105], v[102:103], v[102:103] op_sel:[0,1]
	s_waitcnt vmcnt(0)
	v_and_b32_e32 v0, 0xffff, v44
	v_cmp_ne_u16_sdwa s[52:53], v44, v45 src0_sel:BYTE_0 src1_sel:DWORD
	s_and_saveexec_b64 s[50:51], s[52:53]
	s_cbranch_execz .LBB231_167
; %bb.162:                              ;   in Loop: Header=BB231_14 Depth=1
	v_bfrev_b32_e32 v104, 1
	v_cmp_ne_u16_sdwa s[54:55], v0, s65 src0_sel:BYTE_0 src1_sel:DWORD
	v_mov_b32_e32 v105, 0
	s_and_saveexec_b64 s[52:53], s[54:55]
	s_cbranch_execz .LBB231_166
; %bb.163:                              ;   in Loop: Header=BB231_14 Depth=1
	v_and_b32_e32 v44, 0x7f, v0
	v_mov_b32_e32 v104, 0x7f800001
	v_cmp_ne_u32_e32 vcc, s66, v44
	v_mov_b32_e32 v105, 0
	s_and_saveexec_b64 s[54:55], vcc
	s_cbranch_execz .LBB231_165
; %bb.164:                              ;   in Loop: Header=BB231_14 Depth=1
	v_and_b32_e32 v48, 7, v0
	v_ffbh_u32_e32 v46, v48
	v_min_u32_e32 v54, 32, v46
	v_subrev_u32_e32 v46, 28, v54
	v_lshlrev_b64 v[46:47], v46, v[0:1]
	v_lshrrev_b32_e32 v49, 3, v44
	v_sub_u32_e32 v47, 29, v54
	v_and_b32_e32 v46, 7, v46
	v_cmp_gt_u32_e32 vcc, 8, v44
	v_cndmask_b32_e32 v44, v49, v47, vcc
	v_cndmask_b32_e32 v46, v48, v46, vcc
	v_bfrev_b32_e32 v48, 60
	v_lshlrev_b32_e32 v46, 20, v46
	v_and_b32_sdwa v47, sext(v0), s45 dst_sel:DWORD dst_unused:UNUSED_PAD src0_sel:BYTE_0 src1_sel:DWORD
	v_lshl_add_u32 v44, v44, 23, v48
	v_or3_b32 v44, v47, v44, v46
	v_pk_mov_b32 v[104:105], v[44:45], v[44:45] op_sel:[0,1]
.LBB231_165:                            ;   in Loop: Header=BB231_14 Depth=1
	s_or_b64 exec, exec, s[54:55]
.LBB231_166:                            ;   in Loop: Header=BB231_14 Depth=1
	s_or_b64 exec, exec, s[52:53]
.LBB231_167:                            ;   in Loop: Header=BB231_14 Depth=1
	s_or_b64 exec, exec, s[50:51]
	v_cmp_ne_u16_sdwa s[52:53], v0, v45 src0_sel:BYTE_1 src1_sel:DWORD
	s_and_saveexec_b64 s[50:51], s[52:53]
	s_cbranch_execz .LBB231_173
; %bb.168:                              ;   in Loop: Header=BB231_14 Depth=1
	v_cmp_ne_u16_sdwa s[54:55], v0, s65 src0_sel:BYTE_1 src1_sel:DWORD
	v_pk_mov_b32 v[102:103], s[44:45], s[44:45] op_sel:[0,1]
	s_and_saveexec_b64 s[52:53], s[54:55]
	s_cbranch_execz .LBB231_172
; %bb.169:                              ;   in Loop: Header=BB231_14 Depth=1
	v_and_b32_sdwa v46, v0, s66 dst_sel:DWORD dst_unused:UNUSED_PAD src0_sel:BYTE_1 src1_sel:DWORD
	s_mov_b32 s48, s44
	v_cmp_ne_u32_e32 vcc, s66, v46
	v_pk_mov_b32 v[102:103], s[48:49], s[48:49] op_sel:[0,1]
	s_and_saveexec_b64 s[54:55], vcc
	s_cbranch_execz .LBB231_171
; %bb.170:                              ;   in Loop: Header=BB231_14 Depth=1
	v_mov_b32_e32 v44, 7
	v_and_b32_sdwa v44, v0, v44 dst_sel:DWORD dst_unused:UNUSED_PAD src0_sel:BYTE_1 src1_sel:DWORD
	v_ffbh_u32_e32 v48, v44
	v_min_u32_e32 v54, 32, v48
	v_subrev_u32_e32 v48, 28, v54
	v_lshlrev_b64 v[48:49], v48, v[44:45]
	v_lshrrev_b32_e32 v47, 3, v46
	v_sub_u32_e32 v49, 29, v54
	v_cmp_gt_u32_e32 vcc, 8, v46
	v_and_b32_e32 v48, 7, v48
	v_cndmask_b32_e32 v46, v47, v49, vcc
	v_bfrev_b32_e32 v47, 60
	v_cndmask_b32_e32 v44, v44, v48, vcc
	v_lshlrev_b32_e32 v0, 16, v0
	v_lshl_add_u32 v46, v46, 23, v47
	v_and_or_b32 v0, v0, s45, v46
	v_lshlrev_b32_e32 v44, 20, v44
	v_or_b32_e32 v103, v0, v44
	v_mov_b32_e32 v102, v45
.LBB231_171:                            ;   in Loop: Header=BB231_14 Depth=1
	s_or_b64 exec, exec, s[54:55]
.LBB231_172:                            ;   in Loop: Header=BB231_14 Depth=1
	s_or_b64 exec, exec, s[52:53]
.LBB231_173:                            ;   in Loop: Header=BB231_14 Depth=1
	s_or_b64 exec, exec, s[50:51]
	global_load_ushort v44, v[64:65], off offset:1540
	v_pk_mov_b32 v[106:107], 0, 0
	v_pk_mov_b32 v[108:109], v[106:107], v[106:107] op_sel:[0,1]
	s_waitcnt vmcnt(0)
	v_and_b32_e32 v0, 0xffff, v44
	v_cmp_ne_u16_sdwa s[52:53], v44, v45 src0_sel:BYTE_0 src1_sel:DWORD
	s_and_saveexec_b64 s[50:51], s[52:53]
	s_cbranch_execz .LBB231_179
; %bb.174:                              ;   in Loop: Header=BB231_14 Depth=1
	v_bfrev_b32_e32 v108, 1
	v_cmp_ne_u16_sdwa s[54:55], v0, s65 src0_sel:BYTE_0 src1_sel:DWORD
	v_mov_b32_e32 v109, 0
	s_and_saveexec_b64 s[52:53], s[54:55]
	s_cbranch_execz .LBB231_178
; %bb.175:                              ;   in Loop: Header=BB231_14 Depth=1
	v_and_b32_e32 v44, 0x7f, v0
	v_mov_b32_e32 v108, 0x7f800001
	v_cmp_ne_u32_e32 vcc, s66, v44
	v_mov_b32_e32 v109, 0
	s_and_saveexec_b64 s[54:55], vcc
	s_cbranch_execz .LBB231_177
; %bb.176:                              ;   in Loop: Header=BB231_14 Depth=1
	v_and_b32_e32 v48, 7, v0
	v_lshrrev_b32_e32 v49, 3, v44
	v_cmp_gt_u32_e32 vcc, 8, v44
	v_ffbh_u32_e32 v44, v48
	v_min_u32_e32 v44, 32, v44
	v_subrev_u32_e32 v46, 28, v44
	v_lshlrev_b64 v[46:47], v46, v[0:1]
	v_sub_u32_e32 v44, 29, v44
	v_and_b32_e32 v46, 7, v46
	v_cndmask_b32_e32 v44, v49, v44, vcc
	v_cndmask_b32_e32 v46, v48, v46, vcc
	v_bfrev_b32_e32 v48, 60
	v_lshlrev_b32_e32 v46, 20, v46
	v_and_b32_sdwa v47, sext(v0), s45 dst_sel:DWORD dst_unused:UNUSED_PAD src0_sel:BYTE_0 src1_sel:DWORD
	v_lshl_add_u32 v44, v44, 23, v48
	v_or3_b32 v44, v47, v44, v46
	v_pk_mov_b32 v[108:109], v[44:45], v[44:45] op_sel:[0,1]
.LBB231_177:                            ;   in Loop: Header=BB231_14 Depth=1
	s_or_b64 exec, exec, s[54:55]
.LBB231_178:                            ;   in Loop: Header=BB231_14 Depth=1
	s_or_b64 exec, exec, s[52:53]
.LBB231_179:                            ;   in Loop: Header=BB231_14 Depth=1
	s_or_b64 exec, exec, s[50:51]
	v_cmp_ne_u16_sdwa s[52:53], v0, v45 src0_sel:BYTE_1 src1_sel:DWORD
	s_and_saveexec_b64 s[50:51], s[52:53]
	s_cbranch_execz .LBB231_185
; %bb.180:                              ;   in Loop: Header=BB231_14 Depth=1
	v_cmp_ne_u16_sdwa s[54:55], v0, s65 src0_sel:BYTE_1 src1_sel:DWORD
	v_pk_mov_b32 v[106:107], s[44:45], s[44:45] op_sel:[0,1]
	s_and_saveexec_b64 s[52:53], s[54:55]
	s_cbranch_execz .LBB231_184
; %bb.181:                              ;   in Loop: Header=BB231_14 Depth=1
	v_and_b32_sdwa v46, v0, s66 dst_sel:DWORD dst_unused:UNUSED_PAD src0_sel:BYTE_1 src1_sel:DWORD
	s_mov_b32 s48, s44
	v_cmp_ne_u32_e32 vcc, s66, v46
	v_pk_mov_b32 v[106:107], s[48:49], s[48:49] op_sel:[0,1]
	s_and_saveexec_b64 s[54:55], vcc
	s_cbranch_execz .LBB231_183
; %bb.182:                              ;   in Loop: Header=BB231_14 Depth=1
	v_mov_b32_e32 v44, 7
	v_and_b32_sdwa v44, v0, v44 dst_sel:DWORD dst_unused:UNUSED_PAD src0_sel:BYTE_1 src1_sel:DWORD
	v_lshrrev_b32_e32 v48, 3, v46
	v_cmp_gt_u32_e32 vcc, 8, v46
	v_ffbh_u32_e32 v46, v44
	v_min_u32_e32 v49, 32, v46
	v_subrev_u32_e32 v46, 28, v49
	v_lshlrev_b64 v[46:47], v46, v[44:45]
	v_sub_u32_e32 v47, 29, v49
	v_and_b32_e32 v46, 7, v46
	v_cndmask_b32_e32 v47, v48, v47, vcc
	v_cndmask_b32_e32 v44, v44, v46, vcc
	v_bfrev_b32_e32 v46, 60
	v_lshlrev_b32_e32 v0, 16, v0
	v_lshl_add_u32 v46, v47, 23, v46
	v_and_or_b32 v0, v0, s45, v46
	v_lshlrev_b32_e32 v44, 20, v44
	v_or_b32_e32 v107, v0, v44
	v_mov_b32_e32 v106, v45
.LBB231_183:                            ;   in Loop: Header=BB231_14 Depth=1
	s_or_b64 exec, exec, s[54:55]
.LBB231_184:                            ;   in Loop: Header=BB231_14 Depth=1
	s_or_b64 exec, exec, s[52:53]
.LBB231_185:                            ;   in Loop: Header=BB231_14 Depth=1
	s_or_b64 exec, exec, s[50:51]
	v_add_co_u32_e32 v46, vcc, 0x600, v64
	v_addc_co_u32_e32 v47, vcc, 0, v65, vcc
	global_load_ushort v44, v[46:47], off offset:8
	v_pk_mov_b32 v[110:111], 0, 0
	v_pk_mov_b32 v[112:113], v[110:111], v[110:111] op_sel:[0,1]
	s_waitcnt vmcnt(0)
	v_and_b32_e32 v0, 0xffff, v44
	v_cmp_ne_u16_sdwa s[52:53], v44, v45 src0_sel:BYTE_0 src1_sel:DWORD
	s_and_saveexec_b64 s[50:51], s[52:53]
	s_cbranch_execz .LBB231_191
; %bb.186:                              ;   in Loop: Header=BB231_14 Depth=1
	v_bfrev_b32_e32 v112, 1
	v_cmp_ne_u16_sdwa s[54:55], v0, s65 src0_sel:BYTE_0 src1_sel:DWORD
	v_mov_b32_e32 v113, 0
	s_and_saveexec_b64 s[52:53], s[54:55]
	s_cbranch_execz .LBB231_190
; %bb.187:                              ;   in Loop: Header=BB231_14 Depth=1
	v_and_b32_e32 v44, 0x7f, v0
	v_mov_b32_e32 v112, 0x7f800001
	v_cmp_ne_u32_e32 vcc, s66, v44
	v_mov_b32_e32 v113, 0
	s_and_saveexec_b64 s[54:55], vcc
	s_cbranch_execz .LBB231_189
; %bb.188:                              ;   in Loop: Header=BB231_14 Depth=1
	v_and_b32_e32 v54, 7, v0
	v_lshrrev_b32_e32 v55, 3, v44
	v_cmp_gt_u32_e32 vcc, 8, v44
	v_ffbh_u32_e32 v44, v54
	v_min_u32_e32 v44, 32, v44
	v_subrev_u32_e32 v48, 28, v44
	v_lshlrev_b64 v[48:49], v48, v[0:1]
	v_sub_u32_e32 v44, 29, v44
	v_and_b32_e32 v48, 7, v48
	v_cndmask_b32_e32 v44, v55, v44, vcc
	v_cndmask_b32_e32 v48, v54, v48, vcc
	v_bfrev_b32_e32 v54, 60
	v_lshlrev_b32_e32 v48, 20, v48
	v_and_b32_sdwa v49, sext(v0), s45 dst_sel:DWORD dst_unused:UNUSED_PAD src0_sel:BYTE_0 src1_sel:DWORD
	v_lshl_add_u32 v44, v44, 23, v54
	v_or3_b32 v44, v49, v44, v48
	v_pk_mov_b32 v[112:113], v[44:45], v[44:45] op_sel:[0,1]
.LBB231_189:                            ;   in Loop: Header=BB231_14 Depth=1
	s_or_b64 exec, exec, s[54:55]
.LBB231_190:                            ;   in Loop: Header=BB231_14 Depth=1
	s_or_b64 exec, exec, s[52:53]
.LBB231_191:                            ;   in Loop: Header=BB231_14 Depth=1
	s_or_b64 exec, exec, s[50:51]
	v_cmp_ne_u16_sdwa s[52:53], v0, v45 src0_sel:BYTE_1 src1_sel:DWORD
	s_and_saveexec_b64 s[50:51], s[52:53]
	s_cbranch_execz .LBB231_197
; %bb.192:                              ;   in Loop: Header=BB231_14 Depth=1
	v_cmp_ne_u16_sdwa s[54:55], v0, s65 src0_sel:BYTE_1 src1_sel:DWORD
	v_pk_mov_b32 v[110:111], s[44:45], s[44:45] op_sel:[0,1]
	s_and_saveexec_b64 s[52:53], s[54:55]
	s_cbranch_execz .LBB231_196
; %bb.193:                              ;   in Loop: Header=BB231_14 Depth=1
	v_and_b32_sdwa v48, v0, s66 dst_sel:DWORD dst_unused:UNUSED_PAD src0_sel:BYTE_1 src1_sel:DWORD
	s_mov_b32 s48, s44
	v_cmp_ne_u32_e32 vcc, s66, v48
	v_pk_mov_b32 v[110:111], s[48:49], s[48:49] op_sel:[0,1]
	s_and_saveexec_b64 s[54:55], vcc
	s_cbranch_execz .LBB231_195
; %bb.194:                              ;   in Loop: Header=BB231_14 Depth=1
	v_mov_b32_e32 v44, 7
	v_and_b32_sdwa v44, v0, v44 dst_sel:DWORD dst_unused:UNUSED_PAD src0_sel:BYTE_1 src1_sel:DWORD
	v_lshrrev_b32_e32 v54, 3, v48
	v_cmp_gt_u32_e32 vcc, 8, v48
	v_ffbh_u32_e32 v48, v44
	v_min_u32_e32 v55, 32, v48
	v_subrev_u32_e32 v48, 28, v55
	v_lshlrev_b64 v[48:49], v48, v[44:45]
	v_sub_u32_e32 v49, 29, v55
	v_and_b32_e32 v48, 7, v48
	v_cndmask_b32_e32 v49, v54, v49, vcc
	v_cndmask_b32_e32 v44, v44, v48, vcc
	v_bfrev_b32_e32 v48, 60
	v_lshlrev_b32_e32 v0, 16, v0
	v_lshl_add_u32 v48, v49, 23, v48
	v_and_or_b32 v0, v0, s45, v48
	v_lshlrev_b32_e32 v44, 20, v44
	v_or_b32_e32 v111, v0, v44
	v_mov_b32_e32 v110, v45
.LBB231_195:                            ;   in Loop: Header=BB231_14 Depth=1
	s_or_b64 exec, exec, s[54:55]
.LBB231_196:                            ;   in Loop: Header=BB231_14 Depth=1
	s_or_b64 exec, exec, s[52:53]
.LBB231_197:                            ;   in Loop: Header=BB231_14 Depth=1
	s_or_b64 exec, exec, s[50:51]
	global_load_ushort v44, v[46:47], off offset:12
	v_pk_mov_b32 v[114:115], 0, 0
	v_pk_mov_b32 v[116:117], v[114:115], v[114:115] op_sel:[0,1]
	s_waitcnt vmcnt(0)
	v_and_b32_e32 v0, 0xffff, v44
	v_cmp_ne_u16_sdwa s[52:53], v44, v45 src0_sel:BYTE_0 src1_sel:DWORD
	s_and_saveexec_b64 s[50:51], s[52:53]
	s_cbranch_execz .LBB231_203
; %bb.198:                              ;   in Loop: Header=BB231_14 Depth=1
	v_bfrev_b32_e32 v116, 1
	v_cmp_ne_u16_sdwa s[54:55], v0, s65 src0_sel:BYTE_0 src1_sel:DWORD
	v_mov_b32_e32 v117, 0
	s_and_saveexec_b64 s[52:53], s[54:55]
	s_cbranch_execz .LBB231_202
; %bb.199:                              ;   in Loop: Header=BB231_14 Depth=1
	v_and_b32_e32 v44, 0x7f, v0
	v_mov_b32_e32 v116, 0x7f800001
	v_cmp_ne_u32_e32 vcc, s66, v44
	v_mov_b32_e32 v117, 0
	s_and_saveexec_b64 s[54:55], vcc
	s_cbranch_execz .LBB231_201
; %bb.200:                              ;   in Loop: Header=BB231_14 Depth=1
	v_and_b32_e32 v48, 7, v0
	v_lshrrev_b32_e32 v49, 3, v44
	v_cmp_gt_u32_e32 vcc, 8, v44
	v_ffbh_u32_e32 v44, v48
	v_min_u32_e32 v44, 32, v44
	v_subrev_u32_e32 v46, 28, v44
	v_lshlrev_b64 v[46:47], v46, v[0:1]
	v_sub_u32_e32 v44, 29, v44
	v_and_b32_e32 v46, 7, v46
	v_cndmask_b32_e32 v44, v49, v44, vcc
	v_cndmask_b32_e32 v46, v48, v46, vcc
	v_bfrev_b32_e32 v48, 60
	v_lshlrev_b32_e32 v46, 20, v46
	v_and_b32_sdwa v47, sext(v0), s45 dst_sel:DWORD dst_unused:UNUSED_PAD src0_sel:BYTE_0 src1_sel:DWORD
	v_lshl_add_u32 v44, v44, 23, v48
	v_or3_b32 v44, v47, v44, v46
	v_pk_mov_b32 v[116:117], v[44:45], v[44:45] op_sel:[0,1]
.LBB231_201:                            ;   in Loop: Header=BB231_14 Depth=1
	s_or_b64 exec, exec, s[54:55]
.LBB231_202:                            ;   in Loop: Header=BB231_14 Depth=1
	s_or_b64 exec, exec, s[52:53]
.LBB231_203:                            ;   in Loop: Header=BB231_14 Depth=1
	s_or_b64 exec, exec, s[50:51]
	v_cmp_ne_u16_sdwa s[52:53], v0, v45 src0_sel:BYTE_1 src1_sel:DWORD
	s_and_saveexec_b64 s[50:51], s[52:53]
	s_cbranch_execz .LBB231_209
; %bb.204:                              ;   in Loop: Header=BB231_14 Depth=1
	v_cmp_ne_u16_sdwa s[54:55], v0, s65 src0_sel:BYTE_1 src1_sel:DWORD
	v_pk_mov_b32 v[114:115], s[44:45], s[44:45] op_sel:[0,1]
	s_and_saveexec_b64 s[52:53], s[54:55]
	s_cbranch_execz .LBB231_208
; %bb.205:                              ;   in Loop: Header=BB231_14 Depth=1
	v_and_b32_sdwa v46, v0, s66 dst_sel:DWORD dst_unused:UNUSED_PAD src0_sel:BYTE_1 src1_sel:DWORD
	s_mov_b32 s48, s44
	v_cmp_ne_u32_e32 vcc, s66, v46
	v_pk_mov_b32 v[114:115], s[48:49], s[48:49] op_sel:[0,1]
	s_and_saveexec_b64 s[54:55], vcc
	s_cbranch_execz .LBB231_207
; %bb.206:                              ;   in Loop: Header=BB231_14 Depth=1
	v_mov_b32_e32 v44, 7
	v_and_b32_sdwa v44, v0, v44 dst_sel:DWORD dst_unused:UNUSED_PAD src0_sel:BYTE_1 src1_sel:DWORD
	v_lshrrev_b32_e32 v48, 3, v46
	v_cmp_gt_u32_e32 vcc, 8, v46
	v_ffbh_u32_e32 v46, v44
	v_min_u32_e32 v49, 32, v46
	v_subrev_u32_e32 v46, 28, v49
	v_lshlrev_b64 v[46:47], v46, v[44:45]
	v_sub_u32_e32 v47, 29, v49
	v_and_b32_e32 v46, 7, v46
	v_cndmask_b32_e32 v47, v48, v47, vcc
	v_cndmask_b32_e32 v44, v44, v46, vcc
	v_bfrev_b32_e32 v46, 60
	v_lshlrev_b32_e32 v0, 16, v0
	v_lshl_add_u32 v46, v47, 23, v46
	v_and_or_b32 v0, v0, s45, v46
	v_lshlrev_b32_e32 v44, 20, v44
	v_or_b32_e32 v115, v0, v44
	v_mov_b32_e32 v114, v45
.LBB231_207:                            ;   in Loop: Header=BB231_14 Depth=1
	s_or_b64 exec, exec, s[54:55]
.LBB231_208:                            ;   in Loop: Header=BB231_14 Depth=1
	s_or_b64 exec, exec, s[52:53]
.LBB231_209:                            ;   in Loop: Header=BB231_14 Depth=1
	s_or_b64 exec, exec, s[50:51]
	global_load_ushort v44, v[64:65], off offset:2048
	v_pk_mov_b32 v[118:119], 0, 0
	v_pk_mov_b32 v[120:121], v[118:119], v[118:119] op_sel:[0,1]
	s_waitcnt vmcnt(0)
	v_and_b32_e32 v0, 0xffff, v44
	v_cmp_ne_u16_sdwa s[52:53], v44, v45 src0_sel:BYTE_0 src1_sel:DWORD
	s_and_saveexec_b64 s[50:51], s[52:53]
	s_cbranch_execz .LBB231_215
; %bb.210:                              ;   in Loop: Header=BB231_14 Depth=1
	v_bfrev_b32_e32 v120, 1
	v_cmp_ne_u16_sdwa s[54:55], v0, s65 src0_sel:BYTE_0 src1_sel:DWORD
	v_mov_b32_e32 v121, 0
	s_and_saveexec_b64 s[52:53], s[54:55]
	s_cbranch_execz .LBB231_214
; %bb.211:                              ;   in Loop: Header=BB231_14 Depth=1
	v_and_b32_e32 v44, 0x7f, v0
	v_mov_b32_e32 v120, 0x7f800001
	v_cmp_ne_u32_e32 vcc, s66, v44
	v_mov_b32_e32 v121, 0
	s_and_saveexec_b64 s[54:55], vcc
	s_cbranch_execz .LBB231_213
; %bb.212:                              ;   in Loop: Header=BB231_14 Depth=1
	v_and_b32_e32 v48, 7, v0
	v_lshrrev_b32_e32 v49, 3, v44
	v_cmp_gt_u32_e32 vcc, 8, v44
	v_ffbh_u32_e32 v44, v48
	v_min_u32_e32 v44, 32, v44
	v_subrev_u32_e32 v46, 28, v44
	v_lshlrev_b64 v[46:47], v46, v[0:1]
	v_sub_u32_e32 v44, 29, v44
	v_and_b32_e32 v46, 7, v46
	v_cndmask_b32_e32 v44, v49, v44, vcc
	v_cndmask_b32_e32 v46, v48, v46, vcc
	v_bfrev_b32_e32 v48, 60
	v_lshlrev_b32_e32 v46, 20, v46
	v_and_b32_sdwa v47, sext(v0), s45 dst_sel:DWORD dst_unused:UNUSED_PAD src0_sel:BYTE_0 src1_sel:DWORD
	v_lshl_add_u32 v44, v44, 23, v48
	v_or3_b32 v44, v47, v44, v46
	v_pk_mov_b32 v[120:121], v[44:45], v[44:45] op_sel:[0,1]
.LBB231_213:                            ;   in Loop: Header=BB231_14 Depth=1
	s_or_b64 exec, exec, s[54:55]
.LBB231_214:                            ;   in Loop: Header=BB231_14 Depth=1
	s_or_b64 exec, exec, s[52:53]
.LBB231_215:                            ;   in Loop: Header=BB231_14 Depth=1
	s_or_b64 exec, exec, s[50:51]
	v_cmp_ne_u16_sdwa s[52:53], v0, v45 src0_sel:BYTE_1 src1_sel:DWORD
	s_and_saveexec_b64 s[50:51], s[52:53]
	s_cbranch_execz .LBB231_221
; %bb.216:                              ;   in Loop: Header=BB231_14 Depth=1
	v_cmp_ne_u16_sdwa s[54:55], v0, s65 src0_sel:BYTE_1 src1_sel:DWORD
	v_pk_mov_b32 v[118:119], s[44:45], s[44:45] op_sel:[0,1]
	s_and_saveexec_b64 s[52:53], s[54:55]
	s_cbranch_execz .LBB231_220
; %bb.217:                              ;   in Loop: Header=BB231_14 Depth=1
	v_and_b32_sdwa v46, v0, s66 dst_sel:DWORD dst_unused:UNUSED_PAD src0_sel:BYTE_1 src1_sel:DWORD
	s_mov_b32 s48, s44
	v_cmp_ne_u32_e32 vcc, s66, v46
	v_pk_mov_b32 v[118:119], s[48:49], s[48:49] op_sel:[0,1]
	s_and_saveexec_b64 s[54:55], vcc
	s_cbranch_execz .LBB231_219
; %bb.218:                              ;   in Loop: Header=BB231_14 Depth=1
	v_mov_b32_e32 v44, 7
	v_and_b32_sdwa v44, v0, v44 dst_sel:DWORD dst_unused:UNUSED_PAD src0_sel:BYTE_1 src1_sel:DWORD
	v_lshrrev_b32_e32 v48, 3, v46
	v_cmp_gt_u32_e32 vcc, 8, v46
	v_ffbh_u32_e32 v46, v44
	v_min_u32_e32 v49, 32, v46
	v_subrev_u32_e32 v46, 28, v49
	v_lshlrev_b64 v[46:47], v46, v[44:45]
	v_sub_u32_e32 v47, 29, v49
	v_and_b32_e32 v46, 7, v46
	v_cndmask_b32_e32 v47, v48, v47, vcc
	v_cndmask_b32_e32 v44, v44, v46, vcc
	v_bfrev_b32_e32 v46, 60
	v_lshlrev_b32_e32 v0, 16, v0
	v_lshl_add_u32 v46, v47, 23, v46
	v_and_or_b32 v0, v0, s45, v46
	v_lshlrev_b32_e32 v44, 20, v44
	v_or_b32_e32 v119, v0, v44
	v_mov_b32_e32 v118, v45
.LBB231_219:                            ;   in Loop: Header=BB231_14 Depth=1
	s_or_b64 exec, exec, s[54:55]
.LBB231_220:                            ;   in Loop: Header=BB231_14 Depth=1
	s_or_b64 exec, exec, s[52:53]
.LBB231_221:                            ;   in Loop: Header=BB231_14 Depth=1
	s_or_b64 exec, exec, s[50:51]
	global_load_ushort v44, v[64:65], off offset:2052
	v_pk_mov_b32 v[122:123], 0, 0
	v_pk_mov_b32 v[124:125], v[122:123], v[122:123] op_sel:[0,1]
	s_waitcnt vmcnt(0)
	v_and_b32_e32 v0, 0xffff, v44
	v_cmp_ne_u16_sdwa s[52:53], v44, v45 src0_sel:BYTE_0 src1_sel:DWORD
	s_and_saveexec_b64 s[50:51], s[52:53]
	s_cbranch_execz .LBB231_227
; %bb.222:                              ;   in Loop: Header=BB231_14 Depth=1
	v_bfrev_b32_e32 v124, 1
	v_cmp_ne_u16_sdwa s[54:55], v0, s65 src0_sel:BYTE_0 src1_sel:DWORD
	v_mov_b32_e32 v125, 0
	s_and_saveexec_b64 s[52:53], s[54:55]
	s_cbranch_execz .LBB231_226
; %bb.223:                              ;   in Loop: Header=BB231_14 Depth=1
	v_and_b32_e32 v44, 0x7f, v0
	v_mov_b32_e32 v124, 0x7f800001
	v_cmp_ne_u32_e32 vcc, s66, v44
	v_mov_b32_e32 v125, 0
	s_and_saveexec_b64 s[54:55], vcc
	s_cbranch_execz .LBB231_225
; %bb.224:                              ;   in Loop: Header=BB231_14 Depth=1
	v_and_b32_e32 v48, 7, v0
	v_lshrrev_b32_e32 v49, 3, v44
	v_cmp_gt_u32_e32 vcc, 8, v44
	v_ffbh_u32_e32 v44, v48
	v_min_u32_e32 v44, 32, v44
	v_subrev_u32_e32 v46, 28, v44
	v_lshlrev_b64 v[46:47], v46, v[0:1]
	v_sub_u32_e32 v44, 29, v44
	v_and_b32_e32 v46, 7, v46
	v_cndmask_b32_e32 v44, v49, v44, vcc
	v_cndmask_b32_e32 v46, v48, v46, vcc
	v_bfrev_b32_e32 v48, 60
	v_lshlrev_b32_e32 v46, 20, v46
	v_and_b32_sdwa v47, sext(v0), s45 dst_sel:DWORD dst_unused:UNUSED_PAD src0_sel:BYTE_0 src1_sel:DWORD
	v_lshl_add_u32 v44, v44, 23, v48
	v_or3_b32 v44, v47, v44, v46
	v_pk_mov_b32 v[124:125], v[44:45], v[44:45] op_sel:[0,1]
.LBB231_225:                            ;   in Loop: Header=BB231_14 Depth=1
	s_or_b64 exec, exec, s[54:55]
.LBB231_226:                            ;   in Loop: Header=BB231_14 Depth=1
	s_or_b64 exec, exec, s[52:53]
.LBB231_227:                            ;   in Loop: Header=BB231_14 Depth=1
	s_or_b64 exec, exec, s[50:51]
	v_cmp_ne_u16_sdwa s[52:53], v0, v45 src0_sel:BYTE_1 src1_sel:DWORD
	s_and_saveexec_b64 s[50:51], s[52:53]
	s_cbranch_execz .LBB231_233
; %bb.228:                              ;   in Loop: Header=BB231_14 Depth=1
	v_cmp_ne_u16_sdwa s[54:55], v0, s65 src0_sel:BYTE_1 src1_sel:DWORD
	v_pk_mov_b32 v[122:123], s[44:45], s[44:45] op_sel:[0,1]
	s_and_saveexec_b64 s[52:53], s[54:55]
	s_cbranch_execz .LBB231_232
; %bb.229:                              ;   in Loop: Header=BB231_14 Depth=1
	v_and_b32_sdwa v46, v0, s66 dst_sel:DWORD dst_unused:UNUSED_PAD src0_sel:BYTE_1 src1_sel:DWORD
	s_mov_b32 s48, s44
	v_cmp_ne_u32_e32 vcc, s66, v46
	v_pk_mov_b32 v[122:123], s[48:49], s[48:49] op_sel:[0,1]
	s_and_saveexec_b64 s[54:55], vcc
	s_cbranch_execz .LBB231_231
; %bb.230:                              ;   in Loop: Header=BB231_14 Depth=1
	v_mov_b32_e32 v44, 7
	v_and_b32_sdwa v44, v0, v44 dst_sel:DWORD dst_unused:UNUSED_PAD src0_sel:BYTE_1 src1_sel:DWORD
	v_lshrrev_b32_e32 v48, 3, v46
	v_cmp_gt_u32_e32 vcc, 8, v46
	v_ffbh_u32_e32 v46, v44
	v_min_u32_e32 v49, 32, v46
	v_subrev_u32_e32 v46, 28, v49
	v_lshlrev_b64 v[46:47], v46, v[44:45]
	v_sub_u32_e32 v47, 29, v49
	v_and_b32_e32 v46, 7, v46
	v_cndmask_b32_e32 v47, v48, v47, vcc
	v_cndmask_b32_e32 v44, v44, v46, vcc
	v_bfrev_b32_e32 v46, 60
	v_lshlrev_b32_e32 v0, 16, v0
	v_lshl_add_u32 v46, v47, 23, v46
	v_and_or_b32 v0, v0, s45, v46
	v_lshlrev_b32_e32 v44, 20, v44
	v_or_b32_e32 v123, v0, v44
	v_mov_b32_e32 v122, v45
.LBB231_231:                            ;   in Loop: Header=BB231_14 Depth=1
	s_or_b64 exec, exec, s[54:55]
.LBB231_232:                            ;   in Loop: Header=BB231_14 Depth=1
	s_or_b64 exec, exec, s[52:53]
.LBB231_233:                            ;   in Loop: Header=BB231_14 Depth=1
	s_or_b64 exec, exec, s[50:51]
	v_add_co_u32_e32 v46, vcc, 0x800, v64
	v_addc_co_u32_e32 v47, vcc, 0, v65, vcc
	global_load_ushort v44, v[46:47], off offset:8
	v_pk_mov_b32 v[64:65], 0, 0
	v_pk_mov_b32 v[126:127], v[64:65], v[64:65] op_sel:[0,1]
	s_waitcnt vmcnt(0)
	v_and_b32_e32 v0, 0xffff, v44
	v_cmp_ne_u16_sdwa s[52:53], v44, v45 src0_sel:BYTE_0 src1_sel:DWORD
	s_and_saveexec_b64 s[50:51], s[52:53]
	s_cbranch_execz .LBB231_239
; %bb.234:                              ;   in Loop: Header=BB231_14 Depth=1
	v_bfrev_b32_e32 v126, 1
	v_cmp_ne_u16_sdwa s[54:55], v0, s65 src0_sel:BYTE_0 src1_sel:DWORD
	v_mov_b32_e32 v127, 0
	s_and_saveexec_b64 s[52:53], s[54:55]
	s_cbranch_execz .LBB231_238
; %bb.235:                              ;   in Loop: Header=BB231_14 Depth=1
	v_and_b32_e32 v44, 0x7f, v0
	v_mov_b32_e32 v126, 0x7f800001
	v_cmp_ne_u32_e32 vcc, s66, v44
	v_mov_b32_e32 v127, 0
	s_and_saveexec_b64 s[54:55], vcc
	s_cbranch_execz .LBB231_237
; %bb.236:                              ;   in Loop: Header=BB231_14 Depth=1
	v_and_b32_e32 v54, 7, v0
	v_lshrrev_b32_e32 v55, 3, v44
	v_cmp_gt_u32_e32 vcc, 8, v44
	v_ffbh_u32_e32 v44, v54
	v_min_u32_e32 v44, 32, v44
	v_subrev_u32_e32 v48, 28, v44
	v_lshlrev_b64 v[48:49], v48, v[0:1]
	v_sub_u32_e32 v44, 29, v44
	v_and_b32_e32 v48, 7, v48
	v_cndmask_b32_e32 v44, v55, v44, vcc
	v_cndmask_b32_e32 v48, v54, v48, vcc
	v_bfrev_b32_e32 v54, 60
	v_lshlrev_b32_e32 v48, 20, v48
	v_and_b32_sdwa v49, sext(v0), s45 dst_sel:DWORD dst_unused:UNUSED_PAD src0_sel:BYTE_0 src1_sel:DWORD
	v_lshl_add_u32 v44, v44, 23, v54
	v_or3_b32 v44, v49, v44, v48
	v_pk_mov_b32 v[126:127], v[44:45], v[44:45] op_sel:[0,1]
.LBB231_237:                            ;   in Loop: Header=BB231_14 Depth=1
	s_or_b64 exec, exec, s[54:55]
.LBB231_238:                            ;   in Loop: Header=BB231_14 Depth=1
	s_or_b64 exec, exec, s[52:53]
.LBB231_239:                            ;   in Loop: Header=BB231_14 Depth=1
	s_or_b64 exec, exec, s[50:51]
	v_cmp_ne_u16_sdwa s[52:53], v0, v45 src0_sel:BYTE_1 src1_sel:DWORD
	s_and_saveexec_b64 s[50:51], s[52:53]
	s_cbranch_execz .LBB231_245
; %bb.240:                              ;   in Loop: Header=BB231_14 Depth=1
	v_cmp_ne_u16_sdwa s[54:55], v0, s65 src0_sel:BYTE_1 src1_sel:DWORD
	v_pk_mov_b32 v[64:65], s[44:45], s[44:45] op_sel:[0,1]
	s_and_saveexec_b64 s[52:53], s[54:55]
	s_cbranch_execz .LBB231_244
; %bb.241:                              ;   in Loop: Header=BB231_14 Depth=1
	v_and_b32_sdwa v48, v0, s66 dst_sel:DWORD dst_unused:UNUSED_PAD src0_sel:BYTE_1 src1_sel:DWORD
	s_mov_b32 s48, s44
	v_cmp_ne_u32_e32 vcc, s66, v48
	v_pk_mov_b32 v[64:65], s[48:49], s[48:49] op_sel:[0,1]
	s_and_saveexec_b64 s[54:55], vcc
	s_cbranch_execz .LBB231_243
; %bb.242:                              ;   in Loop: Header=BB231_14 Depth=1
	v_mov_b32_e32 v44, 7
	v_and_b32_sdwa v44, v0, v44 dst_sel:DWORD dst_unused:UNUSED_PAD src0_sel:BYTE_1 src1_sel:DWORD
	v_lshrrev_b32_e32 v54, 3, v48
	v_cmp_gt_u32_e32 vcc, 8, v48
	v_ffbh_u32_e32 v48, v44
	v_min_u32_e32 v55, 32, v48
	v_subrev_u32_e32 v48, 28, v55
	v_lshlrev_b64 v[48:49], v48, v[44:45]
	v_sub_u32_e32 v49, 29, v55
	v_and_b32_e32 v48, 7, v48
	v_cndmask_b32_e32 v49, v54, v49, vcc
	v_cndmask_b32_e32 v44, v44, v48, vcc
	v_bfrev_b32_e32 v48, 60
	v_lshlrev_b32_e32 v0, 16, v0
	v_lshl_add_u32 v48, v49, 23, v48
	v_and_or_b32 v0, v0, s45, v48
	v_lshlrev_b32_e32 v44, 20, v44
	v_or_b32_e32 v65, v0, v44
	v_mov_b32_e32 v64, v45
.LBB231_243:                            ;   in Loop: Header=BB231_14 Depth=1
	s_or_b64 exec, exec, s[54:55]
.LBB231_244:                            ;   in Loop: Header=BB231_14 Depth=1
	s_or_b64 exec, exec, s[52:53]
.LBB231_245:                            ;   in Loop: Header=BB231_14 Depth=1
	s_or_b64 exec, exec, s[50:51]
	global_load_ushort v44, v[46:47], off offset:12
	v_pk_mov_b32 v[48:49], 0, 0
	v_pk_mov_b32 v[46:47], v[48:49], v[48:49] op_sel:[0,1]
	s_waitcnt vmcnt(0)
	v_and_b32_e32 v0, 0xffff, v44
	v_cmp_ne_u16_sdwa s[52:53], v44, v45 src0_sel:BYTE_0 src1_sel:DWORD
	s_and_saveexec_b64 s[50:51], s[52:53]
	s_cbranch_execz .LBB231_251
; %bb.246:                              ;   in Loop: Header=BB231_14 Depth=1
	v_bfrev_b32_e32 v46, 1
	v_cmp_ne_u16_sdwa s[54:55], v0, s65 src0_sel:BYTE_0 src1_sel:DWORD
	v_mov_b32_e32 v47, 0
	s_and_saveexec_b64 s[52:53], s[54:55]
	s_cbranch_execz .LBB231_250
; %bb.247:                              ;   in Loop: Header=BB231_14 Depth=1
	v_and_b32_e32 v44, 0x7f, v0
	v_mov_b32_e32 v46, 0x7f800001
	v_cmp_ne_u32_e32 vcc, s66, v44
	v_mov_b32_e32 v47, 0
	s_and_saveexec_b64 s[54:55], vcc
	s_cbranch_execz .LBB231_249
; %bb.248:                              ;   in Loop: Header=BB231_14 Depth=1
	v_and_b32_e32 v54, 7, v0
	v_lshrrev_b32_e32 v55, 3, v44
	v_cmp_gt_u32_e32 vcc, 8, v44
	v_ffbh_u32_e32 v44, v54
	v_min_u32_e32 v44, 32, v44
	v_subrev_u32_e32 v46, 28, v44
	v_lshlrev_b64 v[46:47], v46, v[0:1]
	v_sub_u32_e32 v44, 29, v44
	v_and_b32_e32 v46, 7, v46
	v_cndmask_b32_e32 v44, v55, v44, vcc
	v_cndmask_b32_e32 v46, v54, v46, vcc
	v_bfrev_b32_e32 v54, 60
	v_lshlrev_b32_e32 v46, 20, v46
	v_and_b32_sdwa v47, sext(v0), s45 dst_sel:DWORD dst_unused:UNUSED_PAD src0_sel:BYTE_0 src1_sel:DWORD
	v_lshl_add_u32 v44, v44, 23, v54
	v_or3_b32 v44, v47, v44, v46
	v_pk_mov_b32 v[46:47], v[44:45], v[44:45] op_sel:[0,1]
.LBB231_249:                            ;   in Loop: Header=BB231_14 Depth=1
	s_or_b64 exec, exec, s[54:55]
.LBB231_250:                            ;   in Loop: Header=BB231_14 Depth=1
	s_or_b64 exec, exec, s[52:53]
.LBB231_251:                            ;   in Loop: Header=BB231_14 Depth=1
	s_or_b64 exec, exec, s[50:51]
	v_cmp_ne_u16_sdwa s[52:53], v0, v45 src0_sel:BYTE_1 src1_sel:DWORD
	s_and_saveexec_b64 s[50:51], s[52:53]
	s_cbranch_execz .LBB231_257
; %bb.252:                              ;   in Loop: Header=BB231_14 Depth=1
	v_cmp_ne_u16_sdwa s[54:55], v0, s65 src0_sel:BYTE_1 src1_sel:DWORD
	v_pk_mov_b32 v[48:49], s[44:45], s[44:45] op_sel:[0,1]
	s_and_saveexec_b64 s[52:53], s[54:55]
	s_cbranch_execz .LBB231_256
; %bb.253:                              ;   in Loop: Header=BB231_14 Depth=1
	v_and_b32_sdwa v54, v0, s66 dst_sel:DWORD dst_unused:UNUSED_PAD src0_sel:BYTE_1 src1_sel:DWORD
	s_mov_b32 s48, s44
	v_cmp_ne_u32_e32 vcc, s66, v54
	v_pk_mov_b32 v[48:49], s[48:49], s[48:49] op_sel:[0,1]
	s_and_saveexec_b64 s[54:55], vcc
	s_cbranch_execz .LBB231_255
; %bb.254:                              ;   in Loop: Header=BB231_14 Depth=1
	v_mov_b32_e32 v44, 7
	v_and_b32_sdwa v44, v0, v44 dst_sel:DWORD dst_unused:UNUSED_PAD src0_sel:BYTE_1 src1_sel:DWORD
	v_ffbh_u32_e32 v48, v44
	v_lshrrev_b32_e32 v55, 3, v54
	v_cmp_gt_u32_e32 vcc, 8, v54
	v_min_u32_e32 v54, 32, v48
	v_subrev_u32_e32 v48, 28, v54
	v_lshlrev_b64 v[48:49], v48, v[44:45]
	v_sub_u32_e32 v49, 29, v54
	v_and_b32_e32 v48, 7, v48
	v_cndmask_b32_e32 v49, v55, v49, vcc
	v_cndmask_b32_e32 v44, v44, v48, vcc
	v_bfrev_b32_e32 v48, 60
	v_lshlrev_b32_e32 v0, 16, v0
	v_lshl_add_u32 v48, v49, 23, v48
	v_and_or_b32 v0, v0, s45, v48
	v_lshlrev_b32_e32 v44, 20, v44
	v_or_b32_e32 v49, v0, v44
	v_mov_b32_e32 v48, v45
.LBB231_255:                            ;   in Loop: Header=BB231_14 Depth=1
	s_or_b64 exec, exec, s[54:55]
.LBB231_256:                            ;   in Loop: Header=BB231_14 Depth=1
	s_or_b64 exec, exec, s[52:53]
.LBB231_257:                            ;   in Loop: Header=BB231_14 Depth=1
	s_or_b64 exec, exec, s[50:51]
	v_or_b32_e32 v57, v57, v59
	v_or_b32_e32 v56, v56, v58
	buffer_load_dword v58, off, s[68:71], 0 ; 4-byte Folded Reload
	buffer_load_dword v59, off, s[68:71], 0 offset:4 ; 4-byte Folded Reload
	s_waitcnt lgkmcnt(0)
	v_pk_mul_f32 v[56:57], s[16:17], v[56:57] op_sel_hi:[0,1]
	v_or_b32_e32 v61, v61, v63
	v_or_b32_e32 v60, v60, v62
	;; [unrolled: 1-line block ×4, first 2 shown]
	v_pk_mul_f32 v[60:61], s[16:17], v[60:61] op_sel_hi:[0,1]
	v_or_b32_e32 v71, v71, v73
	v_or_b32_e32 v70, v70, v72
	v_pk_mul_f32 v[66:67], s[16:17], v[66:67] op_sel_hi:[0,1]
	v_or_b32_e32 v75, v75, v77
	v_or_b32_e32 v74, v74, v76
	;; [unrolled: 3-line block ×3, first 2 shown]
	v_or_b32_e32 v79, v79, v81
	v_or_b32_e32 v78, v78, v80
	v_pk_mul_f32 v[74:75], s[16:17], v[74:75] op_sel_hi:[0,1]
	v_pk_mul_f32 v[64:65], s[16:17], v[54:55] op_sel_hi:[0,1]
	v_or_b32_e32 v55, v123, v125
	v_or_b32_e32 v54, v122, v124
	v_or_b32_e32 v83, v83, v85
	v_or_b32_e32 v82, v82, v84
	v_pk_mul_f32 v[78:79], s[16:17], v[78:79] op_sel_hi:[0,1]
	v_pk_mul_f32 v[122:123], s[16:17], v[54:55] op_sel_hi:[0,1]
	v_or_b32_e32 v55, v119, v121
	v_or_b32_e32 v54, v118, v120
	;; [unrolled: 6-line block ×6, first 2 shown]
	v_pk_mul_f32 v[98:99], s[16:17], v[98:99] op_sel_hi:[0,1]
	v_pk_mul_f32 v[54:55], s[16:17], v[54:55] op_sel_hi:[0,1]
	v_or_b32_e32 v47, v49, v47
	v_or_b32_e32 v46, v48, v46
	v_pk_mul_f32 v[46:47], s[16:17], v[46:47] op_sel_hi:[0,1]
	s_waitcnt vmcnt(1)
	v_or_b32_e32 v52, v52, v58
	buffer_load_dword v58, off, s[68:71], 0 offset:52 ; 4-byte Folded Reload
	s_waitcnt vmcnt(1)
	v_or_b32_e32 v53, v53, v59
	v_pk_mul_f32 v[52:53], s[16:17], v[52:53] op_sel_hi:[0,1]
	s_waitcnt vmcnt(0)
	v_and_b32_e32 v44, 64, v58
	v_xor_b32_e32 v0, 1, v58
	v_add_u32_e32 v44, 64, v44
	v_cmp_lt_i32_e32 vcc, v0, v44
	v_cndmask_b32_e32 v0, v58, v0, vcc
	v_lshlrev_b32_e32 v44, 2, v0
	v_mul_f32_e32 v0, v40, v56
	v_fmac_f32_e32 v0, v38, v52
	v_mul_f32_e32 v38, v41, v57
	v_fmac_f32_e32 v38, v39, v53
	v_fmac_f32_e32 v0, v34, v60
	;; [unrolled: 1-line block ×33, first 2 shown]
	buffer_load_dword v2, off, s[68:71], 0 offset:12 ; 4-byte Folded Reload
	buffer_load_dword v3, off, s[68:71], 0 offset:16 ; 4-byte Folded Reload
	;; [unrolled: 1-line block ×4, first 2 shown]
	s_waitcnt vmcnt(3)
	v_fmac_f32_e32 v0, v2, v64
	s_waitcnt vmcnt(2)
	v_fmac_f32_e32 v38, v3, v65
	;; [unrolled: 2-line block ×4, first 2 shown]
	v_add_f32_e32 v0, v0, v38
	ds_bpermute_b32 v2, v44, v0
	s_and_saveexec_b64 s[50:51], s[2:3]
	s_cbranch_execz .LBB231_12
; %bb.258:                              ;   in Loop: Header=BB231_14 Depth=1
	buffer_load_dword v3, off, s[68:71], 0 offset:60 ; 4-byte Folded Reload
	buffer_load_dword v4, off, s[68:71], 0 offset:56 ; 4-byte Folded Reload
	s_waitcnt lgkmcnt(0)
	v_add_f32_e32 v0, v0, v2
	s_waitcnt vmcnt(1)
	v_add_u32_e32 v3, v3, v8
	v_cvt_f32_i32_e32 v3, v3
	v_mul_f32_e32 v2, s60, v3
	buffer_load_dword v3, off, s[68:71], 0 offset:32 ; 4-byte Folded Reload
	s_waitcnt vmcnt(1)
	v_add_u32_e32 v4, v4, v8
	v_cndmask_b32_e64 v2, 0, v2, s[4:5]
	v_fmac_f32_e32 v2, s43, v0
	v_cmp_gt_i32_e32 vcc, s33, v4
	v_cndmask_b32_e32 v0, 0, v2, vcc
	ds_write_b32 v7, v0
	s_waitcnt vmcnt(0)
	v_max_f32_e32 v0, v3, v3
	v_max_f32_e32 v0, v0, v2
	v_cndmask_b32_e32 v3, v3, v0, vcc
	buffer_store_dword v3, off, s[68:71], 0 offset:32 ; 4-byte Folded Spill
	s_branch .LBB231_12
.LBB231_259:
	s_or_b64 exec, exec, s[46:47]
	buffer_load_dword v18, off, s[68:71], 0 offset:64 ; 4-byte Folded Reload
	buffer_load_dword v20, off, s[68:71], 0 offset:68 ; 4-byte Folded Reload
	;; [unrolled: 1-line block ×3, first 2 shown]
	v_mbcnt_lo_u32_b32 v1, -1, 0
.LBB231_260:
	s_or_b64 exec, exec, s[18:19]
	v_mbcnt_hi_u32_b32 v0, -1, v1
	v_and_b32_e32 v1, 64, v0
	v_add_u32_e32 v8, 64, v1
	v_xor_b32_e32 v1, 32, v0
	v_cmp_lt_i32_e32 vcc, v1, v8
	v_cndmask_b32_e32 v1, v0, v1, vcc
	v_lshlrev_b32_e32 v1, 2, v1
	s_waitcnt vmcnt(0) lgkmcnt(0)
	ds_bpermute_b32 v2, v1, v3
	v_xor_b32_e32 v4, 16, v0
	v_max_f32_e32 v3, v3, v3
	v_cmp_lt_i32_e32 vcc, v4, v8
	v_xor_b32_e32 v5, 8, v0
	s_waitcnt lgkmcnt(0)
	v_max_f32_e32 v2, v2, v2
	v_max_f32_e32 v3, v3, v2
	v_cndmask_b32_e32 v2, v0, v4, vcc
	v_lshlrev_b32_e32 v2, 2, v2
	ds_bpermute_b32 v4, v2, v3
	v_cmp_lt_i32_e32 vcc, v5, v8
	v_xor_b32_e32 v7, 4, v0
	v_xor_b32_e32 v9, 2, v0
	s_waitcnt lgkmcnt(0)
	v_max_f32_e32 v4, v4, v4
	v_max_f32_e32 v4, v3, v4
	v_cndmask_b32_e32 v3, v0, v5, vcc
	v_lshlrev_b32_e32 v3, 2, v3
	ds_bpermute_b32 v5, v3, v4
	v_cmp_lt_i32_e32 vcc, v7, v8
	s_waitcnt lgkmcnt(0)
	v_max_f32_e32 v5, v5, v5
	v_max_f32_e32 v4, v4, v5
	v_cndmask_b32_e32 v5, v0, v7, vcc
	v_lshlrev_b32_e32 v7, 2, v5
	ds_bpermute_b32 v5, v7, v4
	v_cmp_lt_i32_e32 vcc, v9, v8
	s_waitcnt lgkmcnt(0)
	v_max_f32_e32 v5, v5, v5
	v_max_f32_e32 v5, v4, v5
	v_cndmask_b32_e32 v4, v0, v9, vcc
	v_lshlrev_b32_e32 v75, 2, v4
	buffer_load_dword v4, off, s[68:71], 0 offset:28 ; 4-byte Folded Reload
	ds_bpermute_b32 v9, v75, v5
	s_waitcnt vmcnt(0)
	v_and_b32_e32 v74, 63, v4
	v_cmp_eq_u32_e32 vcc, 0, v74
	v_lshlrev_b32_e32 v4, 2, v20
	s_and_saveexec_b64 s[2:3], vcc
	s_cbranch_execz .LBB231_262
; %bb.261:
	s_waitcnt lgkmcnt(0)
	v_max_f32_e32 v9, v9, v9
	v_max_f32_e32 v5, v5, v5
	;; [unrolled: 1-line block ×3, first 2 shown]
	ds_write_b32 v4, v5 offset:320
.LBB231_262:
	s_or_b64 exec, exec, s[2:3]
	v_cmp_gt_u32_e64 s[2:3], 2, v74
	s_waitcnt lgkmcnt(0)
	v_mov_b32_e32 v9, 0xff7fffff
	v_lshlrev_b32_e32 v5, 2, v74
	s_barrier
	s_and_saveexec_b64 s[4:5], s[2:3]
	s_cbranch_execz .LBB231_264
; %bb.263:
	ds_read_b32 v9, v5 offset:320
.LBB231_264:
	s_or_b64 exec, exec, s[4:5]
	v_xor_b32_e32 v10, 1, v0
	v_cmp_lt_i32_e64 s[4:5], v10, v8
	v_cndmask_b32_e64 v8, v0, v10, s[4:5]
	v_lshlrev_b32_e32 v76, 2, v8
	s_waitcnt lgkmcnt(0)
	ds_bpermute_b32 v8, v76, v9
	v_max_f32_e32 v9, v9, v9
	v_lshlrev_b32_e32 v0, 2, v0
	s_sub_i32 s4, s58, s61
	s_lshl_b32 s4, s4, 5
	s_waitcnt lgkmcnt(0)
	v_max_f32_e32 v8, v8, v8
	v_max_f32_e32 v9, v9, v8
	v_and_b32_e32 v8, 0x100, v0
	ds_bpermute_b32 v0, v8, v9
	buffer_load_dword v9, off, s[68:71], 0 offset:28 ; 4-byte Folded Reload
	s_add_i32 s4, s4, s59
	s_min_i32 s43, s4, s33
	s_sub_i32 s16, s43, s59
	s_waitcnt vmcnt(0)
	v_cmp_gt_i32_e64 s[4:5], s16, v9
	v_mov_b32_e32 v9, 0
	s_and_saveexec_b64 s[12:13], s[4:5]
	s_cbranch_execz .LBB231_268
; %bb.265:
	buffer_load_dword v11, off, s[68:71], 0 offset:28 ; 4-byte Folded Reload
	v_mov_b32_e32 v9, 0x150
	s_mov_b64 s[18:19], 0
	s_waitcnt vmcnt(0)
	v_lshl_add_u32 v10, v11, 2, v9
	v_mov_b32_e32 v9, 0
.LBB231_266:                            ; =>This Inner Loop Header: Depth=1
	ds_read_b32 v12, v10
	v_add_u32_e32 v11, 0x80, v11
	v_cmp_le_i32_e64 s[10:11], s16, v11
	s_or_b64 s[18:19], s[10:11], s[18:19]
	s_waitcnt lgkmcnt(0)
	v_sub_f32_e32 v12, v12, v0
	v_mul_f32_e32 v12, 0x3fb8aa3b, v12
	v_exp_f32_e32 v12, v12
	ds_write_b32 v10, v12
	v_add_f32_e32 v9, v9, v12
	v_add_u32_e32 v10, 0x200, v10
	s_andn2_b64 exec, exec, s[18:19]
	s_cbranch_execnz .LBB231_266
; %bb.267:
	s_or_b64 exec, exec, s[18:19]
.LBB231_268:
	s_or_b64 exec, exec, s[12:13]
	ds_bpermute_b32 v1, v1, v9
	s_waitcnt lgkmcnt(0)
	v_add_f32_e32 v1, v9, v1
	ds_bpermute_b32 v2, v2, v1
	s_waitcnt lgkmcnt(0)
	v_add_f32_e32 v1, v1, v2
	;; [unrolled: 3-line block ×6, first 2 shown]
	s_and_saveexec_b64 s[10:11], vcc
	s_cbranch_execz .LBB231_270
; %bb.269:
	ds_write_b32 v4, v1 offset:328
.LBB231_270:
	s_or_b64 exec, exec, s[10:11]
	s_waitcnt lgkmcnt(0)
	s_barrier
	s_and_saveexec_b64 s[10:11], s[2:3]
	s_cbranch_execz .LBB231_272
; %bb.271:
	ds_read_b32 v1, v5 offset:328
.LBB231_272:
	s_or_b64 exec, exec, s[10:11]
	s_waitcnt lgkmcnt(0)
	ds_bpermute_b32 v2, v76, v1
	s_waitcnt lgkmcnt(0)
	v_add_f32_e32 v1, v1, v2
	ds_bpermute_b32 v1, v8, v1
	s_and_saveexec_b64 s[2:3], s[4:5]
	s_cbranch_execz .LBB231_285
; %bb.273:
	s_waitcnt lgkmcnt(0)
	v_add_f32_e32 v2, 0x358637bd, v1
	v_div_scale_f32 v3, s[4:5], v2, v2, 1.0
	v_rcp_f32_e32 v4, v3
	v_div_scale_f32 v5, vcc, 1.0, v2, 1.0
	s_movk_i32 s4, 0x7f
	v_fma_f32 v8, -v3, v4, 1.0
	v_fmac_f32_e32 v4, v8, v4
	v_mul_f32_e32 v8, v5, v4
	v_fma_f32 v9, -v3, v8, v5
	v_fmac_f32_e32 v8, v9, v4
	v_fma_f32 v3, -v3, v8, v5
	buffer_load_dword v5, off, s[68:71], 0 offset:28 ; 4-byte Folded Reload
	v_div_fmas_f32 v3, v3, v4, v8
	v_div_fixup_f32 v2, v3, v2, 1.0
	s_mov_b64 s[10:11], -1
	s_waitcnt vmcnt(0)
	v_xad_u32 v3, v5, -1, s43
	v_subrev_u32_e32 v4, s59, v3
	v_cmp_lt_u32_e32 vcc, s4, v4
	v_mov_b32_e32 v3, v5
	s_and_saveexec_b64 s[4:5], vcc
	s_cbranch_execz .LBB231_282
; %bb.274:
	v_lshrrev_b32_e32 v4, 7, v4
	v_add_u32_e32 v8, -1, v4
	v_lshrrev_b32_e32 v5, 1, v8
	v_mov_b32_e32 v3, v2
	v_add_u32_e32 v5, 1, v5
	v_cmp_lt_u32_e32 vcc, 13, v8
	v_mov_b32_e32 v10, 0
	s_and_saveexec_b64 s[10:11], vcc
	s_cbranch_execz .LBB231_278
; %bb.275:
	buffer_load_dword v10, off, s[68:71], 0 offset:28 ; 4-byte Folded Reload
	v_mov_b32_e32 v9, 0x150
	v_and_b32_e32 v8, -8, v5
	s_mov_b32 s18, 0
	s_mov_b64 s[12:13], 0
	s_waitcnt vmcnt(0)
	v_lshl_add_u32 v9, v10, 2, v9
.LBB231_276:                            ; =>This Inner Loop Header: Depth=1
	ds_read2st64_b32 v[10:11], v9 offset1:2
	ds_read2st64_b32 v[12:13], v9 offset0:4 offset1:6
	ds_read2st64_b32 v[14:15], v9 offset0:8 offset1:10
	;; [unrolled: 1-line block ×3, first 2 shown]
	v_add_u32_e32 v8, -8, v8
	s_waitcnt lgkmcnt(3)
	v_pk_mul_f32 v[10:11], v[2:3], v[10:11]
	s_waitcnt lgkmcnt(2)
	v_pk_mul_f32 v[12:13], v[2:3], v[12:13]
	ds_write2st64_b32 v9, v10, v11 offset1:2
	ds_write2st64_b32 v9, v12, v13 offset0:4 offset1:6
	ds_read2st64_b32 v[12:13], v9 offset0:16 offset1:18
	s_waitcnt lgkmcnt(4)
	v_pk_mul_f32 v[10:11], v[2:3], v[14:15]
	ds_write2st64_b32 v9, v10, v11 offset0:8 offset1:10
	s_waitcnt lgkmcnt(4)
	v_pk_mul_f32 v[10:11], v[2:3], v[16:17]
	ds_write2st64_b32 v9, v10, v11 offset0:12 offset1:14
	ds_read2st64_b32 v[10:11], v9 offset0:20 offset1:22
	s_waitcnt lgkmcnt(3)
	v_pk_mul_f32 v[12:13], v[2:3], v[12:13]
	ds_read2st64_b32 v[14:15], v9 offset0:24 offset1:26
	ds_write2st64_b32 v9, v12, v13 offset0:16 offset1:18
	ds_read2st64_b32 v[12:13], v9 offset0:28 offset1:30
	s_waitcnt lgkmcnt(3)
	v_pk_mul_f32 v[10:11], v[2:3], v[10:11]
	ds_write2st64_b32 v9, v10, v11 offset0:20 offset1:22
	s_waitcnt lgkmcnt(3)
	v_pk_mul_f32 v[10:11], v[2:3], v[14:15]
	ds_write2st64_b32 v9, v10, v11 offset0:24 offset1:26
	s_waitcnt lgkmcnt(2)
	v_pk_mul_f32 v[10:11], v[2:3], v[12:13]
	s_add_i32 s18, s18, 16
	v_cmp_eq_u32_e32 vcc, 0, v8
	ds_write2st64_b32 v9, v10, v11 offset0:28 offset1:30
	v_add_u32_e32 v9, 0x2000, v9
	s_or_b64 s[12:13], vcc, s[12:13]
	v_mov_b32_e32 v10, s18
	s_andn2_b64 exec, exec, s[12:13]
	s_cbranch_execnz .LBB231_276
; %bb.277:
	s_or_b64 exec, exec, s[12:13]
.LBB231_278:
	s_or_b64 exec, exec, s[10:11]
	v_and_b32_e32 v5, 7, v5
	v_cmp_ne_u32_e32 vcc, 0, v5
	s_and_saveexec_b64 s[10:11], vcc
	s_cbranch_execz .LBB231_281
; %bb.279:
	v_lshlrev_b32_e32 v8, 9, v10
	s_movk_i32 s12, 0x150
	v_add3_u32 v8, v8, v18, s12
	s_mov_b64 s[12:13], 0
.LBB231_280:                            ; =>This Inner Loop Header: Depth=1
	ds_read2st64_b32 v[10:11], v8 offset1:2
	v_add_u32_e32 v5, -1, v5
	v_cmp_eq_u32_e32 vcc, 0, v5
	s_or_b64 s[12:13], vcc, s[12:13]
	s_waitcnt lgkmcnt(0)
	v_pk_mul_f32 v[10:11], v[2:3], v[10:11]
	ds_write2st64_b32 v8, v10, v11 offset1:2
	v_add_u32_e32 v8, 0x400, v8
	s_andn2_b64 exec, exec, s[12:13]
	s_cbranch_execnz .LBB231_280
.LBB231_281:
	s_or_b64 exec, exec, s[10:11]
	buffer_load_dword v3, off, s[68:71], 0 offset:28 ; 4-byte Folded Reload
	v_add_u32_e32 v4, 1, v4
	v_and_b32_e32 v5, 0x3fffffe, v4
	v_cmp_ne_u32_e32 vcc, v4, v5
	s_orn2_b64 s[10:11], vcc, exec
	s_waitcnt vmcnt(0)
	v_lshl_add_u32 v3, v5, 7, v3
.LBB231_282:
	s_or_b64 exec, exec, s[4:5]
	s_and_b64 exec, exec, s[10:11]
	s_cbranch_execz .LBB231_285
; %bb.283:
	v_mov_b32_e32 v4, 0x150
	v_lshl_add_u32 v4, v3, 2, v4
	s_mov_b64 s[4:5], 0
.LBB231_284:                            ; =>This Inner Loop Header: Depth=1
	ds_read_b32 v5, v4
	v_add_u32_e32 v3, 0x80, v3
	v_cmp_le_i32_e32 vcc, s16, v3
	s_or_b64 s[4:5], vcc, s[4:5]
	s_waitcnt lgkmcnt(0)
	v_mul_f32_e32 v5, v2, v5
	ds_write_b32 v4, v5
	v_add_u32_e32 v4, 0x200, v4
	s_andn2_b64 exec, exec, s[4:5]
	s_cbranch_execnz .LBB231_284
.LBB231_285:
	s_or_b64 exec, exec, s[2:3]
	s_waitcnt lgkmcnt(0)
	s_barrier
	buffer_load_dword v2, off, s[68:71], 0 offset:28 ; 4-byte Folded Reload
	s_mul_i32 s2, s29, s34
	s_mul_i32 s2, s2, s9
	s_waitcnt vmcnt(0)
	v_cmp_eq_u32_e32 vcc, 0, v2
	s_and_saveexec_b64 s[4:5], vcc
	s_cbranch_execz .LBB231_287
; %bb.286:
	s_ashr_i32 s3, s2, 31
	s_lshl_b64 s[10:11], s[2:3], 2
	s_add_u32 s3, s26, s10
	s_mul_i32 s12, s29, s6
	s_addc_u32 s9, s27, s11
	s_ashr_i32 s13, s12, 31
	s_lshl_b64 s[12:13], s[12:13], 2
	s_add_u32 s3, s3, s12
	s_addc_u32 s6, s9, s13
	s_ashr_i32 s9, s8, 31
	s_lshl_b64 s[18:19], s[8:9], 2
	s_add_u32 s26, s3, s18
	s_addc_u32 s27, s6, s19
	s_add_u32 s3, s24, s10
	s_addc_u32 s6, s25, s11
	;; [unrolled: 2-line block ×3, first 2 shown]
	s_add_u32 s10, s3, s18
	v_mov_b32_e32 v2, 0
	s_addc_u32 s11, s6, s19
	global_store_dword v2, v0, s[26:27]
	global_store_dword v2, v1, s[10:11]
.LBB231_287:
	s_or_b64 exec, exec, s[4:5]
	buffer_load_dword v0, off, s[68:71], 0 offset:28 ; 4-byte Folded Reload
	s_mov_b32 s6, 0
	v_mov_b32_e32 v73, 0
	v_mov_b32_e32 v72, 0
	;; [unrolled: 1-line block ×10, first 2 shown]
	s_waitcnt vmcnt(0)
	v_and_b32_e32 v77, 7, v0
	s_and_saveexec_b64 s[4:5], s[0:1]
	s_cbranch_execz .LBB231_553
; %bb.288:
	s_sub_i32 s3, s20, s21
	s_ashr_i32 s0, s23, 31
	s_add_u32 s1, s40, s23
	s_addc_u32 s0, s41, s0
	s_abs_i32 s9, s22
	v_cvt_f32_u32_e32 v0, s9
	s_add_i32 s27, s7, -1
	s_sub_i32 s7, 0, s9
	v_and_b32_e32 v1, 0xfc, v18
	v_rcp_iflag_f32_e32 v0, v0
	v_mov_b32_e32 v2, s0
	v_add_co_u32_e32 v16, vcc, s1, v1
	v_mul_f32_e32 v0, 0x4f7ffffe, v0
	v_cvt_u32_f32_e32 v0, v0
	s_lshl_b64 s[0:1], s[38:39], 2
	v_addc_co_u32_e32 v17, vcc, 0, v2, vcc
	v_mul_lo_u32 v3, s7, v0
	v_mul_hi_u32 v3, v0, v3
	v_add_u32_e32 v79, v0, v3
	v_lshlrev_b64 v[0:1], 2, v[42:43]
	s_add_u32 s0, s36, s0
	v_and_b32_e32 v78, 28, v18
	s_addc_u32 s1, s37, s1
	v_add_co_u32_e32 v18, vcc, s0, v0
	v_lshlrev_b32_e32 v0, 4, v77
	v_mov_b32_e32 v2, s1
	v_lshl_or_b32 v0, v20, 7, v0
	s_mov_b32 s26, s17
	v_addc_co_u32_e32 v19, vcc, v2, v1, vcc
	v_add_u32_e32 v43, 0x150, v0
	s_mov_b64 s[10:11], 0
	v_mov_b32_e32 v20, 0
	s_movk_i32 s34, 0x80
	s_movk_i32 s36, 0x7f
	v_mov_b32_e32 v23, 0
	s_brev_b32 s7, 1
	s_mov_b32 s13, 0x7f800001
	s_mov_b32 s37, 0xffffff
	v_bfrev_b32_e32 v80, 60
	v_mov_b32_e32 v81, 7
	v_mov_b32_e32 v82, 24
	v_mov_b32_e32 v73, 0
	v_mov_b32_e32 v72, 0
	v_mov_b32_e32 v9, 0
	v_mov_b32_e32 v8, 0
	v_mov_b32_e32 v11, 0
	v_mov_b32_e32 v10, 0
	v_mov_b32_e32 v13, 0
	v_mov_b32_e32 v12, 0
	v_mov_b32_e32 v15, 0
	v_mov_b32_e32 v14, 0
	s_branch .LBB231_291
.LBB231_289:                            ;   in Loop: Header=BB231_291 Depth=1
	s_or_b64 exec, exec, s[0:1]
	v_mul_f32_e32 v21, v3, v61
	v_fmac_f32_e32 v21, v2, v60
	v_fmac_f32_e32 v21, v4, v62
	v_fmac_f32_e32 v21, v5, v63
	v_add_f32_e32 v72, v72, v21
	v_mul_f32_e32 v21, v3, v57
	v_fmac_f32_e32 v21, v2, v56
	v_fmac_f32_e32 v21, v4, v58
	v_fmac_f32_e32 v21, v5, v59
	v_add_f32_e32 v9, v9, v21
	;; [unrolled: 5-line block ×8, first 2 shown]
	v_mul_f32_e32 v21, v3, v25
	v_mul_f32_e32 v1, v3, v1
	v_fmac_f32_e32 v21, v2, v24
	v_fmac_f32_e32 v1, v2, v0
	;; [unrolled: 1-line block ×6, first 2 shown]
	v_add_f32_e32 v14, v14, v21
	v_add_f32_e32 v73, v73, v1
.LBB231_290:                            ;   in Loop: Header=BB231_291 Depth=1
	s_or_b64 exec, exec, s[16:17]
	v_add_co_u32_e32 v18, vcc, 8, v18
	v_add_u32_e32 v42, 2, v42
	v_addc_co_u32_e32 v19, vcc, 0, v19, vcc
	v_cmp_le_i32_e32 vcc, s58, v42
	v_add_u32_e32 v6, 64, v6
	s_or_b64 s[10:11], vcc, s[10:11]
	v_add_u32_e32 v43, 0x100, v43
	s_andn2_b64 exec, exec, s[10:11]
	s_cbranch_execz .LBB231_552
.LBB231_291:                            ; =>This Inner Loop Header: Depth=1
	v_sub_u32_e32 v1, 0, v6
	v_max_i32_e32 v1, v6, v1
	v_mul_hi_u32 v2, v1, s56
	v_mul_lo_u32 v3, v2, s35
	v_sub_u32_e32 v1, v1, v3
	v_add_u32_e32 v3, 1, v2
	v_cmp_le_u32_e32 vcc, s35, v1
	v_cndmask_b32_e32 v2, v2, v3, vcc
	v_subrev_u32_e32 v3, s35, v1
	v_cndmask_b32_e32 v1, v1, v3, vcc
	v_ashrrev_i32_e32 v0, 31, v6
	v_add_u32_e32 v3, 1, v2
	v_cmp_le_u32_e32 vcc, s35, v1
	v_xor_b32_e32 v0, s57, v0
	v_cndmask_b32_e32 v1, v2, v3, vcc
	v_xor_b32_e32 v1, v1, v0
	v_sub_u32_e32 v0, v1, v0
	v_add_u32_e32 v1, s42, v0
	v_sub_u32_e32 v3, 0, v1
	v_ashrrev_i32_e32 v2, 31, v1
	v_max_i32_e32 v1, v1, v3
	v_mul_hi_u32 v3, v1, v79
	v_mul_lo_u32 v3, v3, s9
	v_sub_u32_e32 v1, v1, v3
	v_subrev_u32_e32 v3, s9, v1
	v_cmp_le_u32_e32 vcc, s9, v1
	v_cndmask_b32_e32 v1, v1, v3, vcc
	v_subrev_u32_e32 v3, s9, v1
	v_cmp_le_u32_e32 vcc, s9, v1
	v_cndmask_b32_e32 v1, v1, v3, vcc
	v_xor_b32_e32 v1, v1, v2
	v_sub_u32_e32 v1, v1, v2
	v_cmp_eq_u32_e32 vcc, 0, v1
	v_cmp_lt_i32_e64 s[0:1], s3, v0
	s_or_b64 s[0:1], vcc, s[0:1]
	s_and_saveexec_b64 s[16:17], s[0:1]
	s_cbranch_execz .LBB231_290
; %bb.292:                              ;   in Loop: Header=BB231_291 Depth=1
	global_load_dword v0, v[18:19], off
	ds_read_b128 v[2:5], v43
	s_load_dword s18, s[14:15], 0x0
	v_pk_mov_b32 v[30:31], 0, 0
	v_pk_mov_b32 v[26:27], v[30:31], v[30:31] op_sel:[0,1]
	s_waitcnt vmcnt(0)
	v_mad_i64_i32 v[28:29], s[0:1], v0, s26, v[16:17]
	global_load_dword v24, v[28:29], off
	s_waitcnt vmcnt(0)
	v_cmp_ne_u16_sdwa s[20:21], v24, v20 src0_sel:BYTE_0 src1_sel:DWORD
	s_and_saveexec_b64 s[0:1], s[20:21]
	s_cbranch_execz .LBB231_298
; %bb.293:                              ;   in Loop: Header=BB231_291 Depth=1
	v_bfrev_b32_e32 v26, 1
	v_cmp_ne_u16_sdwa s[22:23], v24, s34 src0_sel:BYTE_0 src1_sel:DWORD
	v_mov_b32_e32 v27, 0
	s_and_saveexec_b64 s[20:21], s[22:23]
	s_cbranch_execz .LBB231_297
; %bb.294:                              ;   in Loop: Header=BB231_291 Depth=1
	v_and_b32_e32 v0, 0x7f, v24
	v_mov_b32_e32 v26, 0x7f800001
	v_cmp_ne_u32_e32 vcc, s36, v0
	v_mov_b32_e32 v27, 0
	s_and_saveexec_b64 s[22:23], vcc
	s_cbranch_execz .LBB231_296
; %bb.295:                              ;   in Loop: Header=BB231_291 Depth=1
	v_and_b32_e32 v1, 7, v24
	v_ffbh_u32_e32 v22, v1
	v_min_u32_e32 v22, 32, v22
	v_subrev_u32_e32 v25, 28, v22
	v_lshlrev_b64 v[26:27], v25, v[24:25]
	v_lshrrev_b32_e32 v21, 3, v0
	v_sub_u32_e32 v22, 29, v22
	v_and_b32_e32 v25, 7, v26
	v_cmp_gt_u32_e32 vcc, 8, v0
	v_cndmask_b32_e32 v0, v21, v22, vcc
	v_cndmask_b32_e32 v1, v1, v25, vcc
	v_lshlrev_b32_e32 v1, 20, v1
	v_and_b32_sdwa v21, sext(v24), s7 dst_sel:DWORD dst_unused:UNUSED_PAD src0_sel:BYTE_0 src1_sel:DWORD
	v_lshl_add_u32 v0, v0, 23, v80
	v_or3_b32 v22, v21, v0, v1
	v_pk_mov_b32 v[26:27], v[22:23], v[22:23] op_sel:[0,1]
.LBB231_296:                            ;   in Loop: Header=BB231_291 Depth=1
	s_or_b64 exec, exec, s[22:23]
.LBB231_297:                            ;   in Loop: Header=BB231_291 Depth=1
	s_or_b64 exec, exec, s[20:21]
.LBB231_298:                            ;   in Loop: Header=BB231_291 Depth=1
	s_or_b64 exec, exec, s[0:1]
	v_cmp_ne_u16_sdwa s[20:21], v24, v20 src0_sel:BYTE_1 src1_sel:DWORD
	s_and_saveexec_b64 s[0:1], s[20:21]
	s_cbranch_execz .LBB231_304
; %bb.299:                              ;   in Loop: Header=BB231_291 Depth=1
	v_cmp_ne_u16_sdwa s[22:23], v24, s34 src0_sel:BYTE_1 src1_sel:DWORD
	v_pk_mov_b32 v[30:31], s[6:7], s[6:7] op_sel:[0,1]
	s_and_saveexec_b64 s[20:21], s[22:23]
	s_cbranch_execz .LBB231_303
; %bb.300:                              ;   in Loop: Header=BB231_291 Depth=1
	v_and_b32_sdwa v0, v24, s36 dst_sel:DWORD dst_unused:UNUSED_PAD src0_sel:BYTE_1 src1_sel:DWORD
	s_mov_b32 s12, s6
	v_cmp_ne_u32_e32 vcc, s36, v0
	v_pk_mov_b32 v[30:31], s[12:13], s[12:13] op_sel:[0,1]
	s_and_saveexec_b64 s[22:23], vcc
	s_cbranch_execz .LBB231_302
; %bb.301:                              ;   in Loop: Header=BB231_291 Depth=1
	v_and_b32_sdwa v22, v24, v81 dst_sel:DWORD dst_unused:UNUSED_PAD src0_sel:BYTE_1 src1_sel:DWORD
	v_ffbh_u32_e32 v21, v22
	v_min_u32_e32 v21, 32, v21
	v_subrev_u32_e32 v25, 28, v21
	v_lshrrev_b32_e32 v1, 3, v0
	v_lshlrev_b64 v[30:31], v25, v[22:23]
	v_sub_u32_e32 v21, 29, v21
	v_cmp_gt_u32_e32 vcc, 8, v0
	v_and_b32_e32 v25, 7, v30
	v_cndmask_b32_e32 v0, v1, v21, vcc
	v_cndmask_b32_e32 v1, v22, v25, vcc
	v_lshlrev_b32_e32 v21, 16, v24
	v_lshl_add_u32 v0, v0, 23, v80
	v_and_or_b32 v0, v21, s7, v0
	v_lshlrev_b32_e32 v1, 20, v1
	v_or_b32_e32 v21, v0, v1
	v_pk_mov_b32 v[30:31], v[20:21], v[20:21] op_sel:[0,1]
.LBB231_302:                            ;   in Loop: Header=BB231_291 Depth=1
	s_or_b64 exec, exec, s[22:23]
.LBB231_303:                            ;   in Loop: Header=BB231_291 Depth=1
	s_or_b64 exec, exec, s[20:21]
.LBB231_304:                            ;   in Loop: Header=BB231_291 Depth=1
	s_or_b64 exec, exec, s[0:1]
	v_lshrrev_b32_e32 v22, 16, v24
	v_pk_mov_b32 v[32:33], 0, 0
	v_cmp_ne_u16_sdwa s[20:21], v22, v20 src0_sel:BYTE_0 src1_sel:DWORD
	v_pk_mov_b32 v[0:1], v[32:33], v[32:33] op_sel:[0,1]
	s_and_saveexec_b64 s[0:1], s[20:21]
	s_cbranch_execz .LBB231_310
; %bb.305:                              ;   in Loop: Header=BB231_291 Depth=1
	v_bfrev_b32_e32 v0, 1
	v_cmp_ne_u16_sdwa s[22:23], v22, s34 src0_sel:BYTE_0 src1_sel:DWORD
	v_mov_b32_e32 v1, 0
	s_and_saveexec_b64 s[20:21], s[22:23]
	s_cbranch_execz .LBB231_309
; %bb.306:                              ;   in Loop: Header=BB231_291 Depth=1
	v_bfe_u32 v21, v24, 16, 7
	v_mov_b32_e32 v0, 0x7f800001
	v_cmp_ne_u32_e32 vcc, s36, v21
	v_mov_b32_e32 v1, 0
	s_and_saveexec_b64 s[22:23], vcc
	s_cbranch_execz .LBB231_308
; %bb.307:                              ;   in Loop: Header=BB231_291 Depth=1
	v_and_b32_e32 v25, 7, v22
	v_ffbh_u32_e32 v0, v25
	v_min_u32_e32 v35, 32, v0
	v_subrev_u32_e32 v0, 28, v35
	v_lshlrev_b64 v[0:1], v0, v[22:23]
	v_lshrrev_b32_e32 v34, 3, v21
	v_sub_u32_e32 v1, 29, v35
	v_and_b32_e32 v0, 7, v0
	v_cmp_gt_u32_e32 vcc, 8, v21
	v_cndmask_b32_e32 v1, v34, v1, vcc
	v_cndmask_b32_e32 v0, v25, v0, vcc
	v_lshlrev_b32_e32 v0, 20, v0
	v_and_b32_sdwa v21, sext(v22), s7 dst_sel:DWORD dst_unused:UNUSED_PAD src0_sel:BYTE_0 src1_sel:DWORD
	v_lshl_add_u32 v1, v1, 23, v80
	v_or3_b32 v22, v21, v1, v0
	v_pk_mov_b32 v[0:1], v[22:23], v[22:23] op_sel:[0,1]
.LBB231_308:                            ;   in Loop: Header=BB231_291 Depth=1
	s_or_b64 exec, exec, s[22:23]
.LBB231_309:                            ;   in Loop: Header=BB231_291 Depth=1
	s_or_b64 exec, exec, s[20:21]
.LBB231_310:                            ;   in Loop: Header=BB231_291 Depth=1
	s_or_b64 exec, exec, s[0:1]
	v_cmp_lt_u32_e32 vcc, s37, v24
	s_and_saveexec_b64 s[0:1], vcc
	s_cbranch_execz .LBB231_316
; %bb.311:                              ;   in Loop: Header=BB231_291 Depth=1
	v_cmp_ne_u32_sdwa s[22:23], v24, s34 src0_sel:BYTE_3 src1_sel:DWORD
	v_pk_mov_b32 v[32:33], s[6:7], s[6:7] op_sel:[0,1]
	s_and_saveexec_b64 s[20:21], s[22:23]
	s_cbranch_execz .LBB231_315
; %bb.312:                              ;   in Loop: Header=BB231_291 Depth=1
	v_bfe_u32 v21, v24, 24, 7
	s_mov_b32 s12, s6
	v_cmp_ne_u32_e32 vcc, s36, v21
	v_pk_mov_b32 v[32:33], s[12:13], s[12:13] op_sel:[0,1]
	s_and_saveexec_b64 s[22:23], vcc
	s_cbranch_execz .LBB231_314
; %bb.313:                              ;   in Loop: Header=BB231_291 Depth=1
	v_and_b32_sdwa v22, v24, v81 dst_sel:DWORD dst_unused:UNUSED_PAD src0_sel:BYTE_3 src1_sel:DWORD
	v_ffbh_u32_e32 v32, v22
	v_min_u32_e32 v34, 32, v32
	v_subrev_u32_e32 v32, 28, v34
	v_lshlrev_b64 v[32:33], v32, v[22:23]
	v_lshrrev_b32_e32 v25, 3, v21
	v_sub_u32_e32 v33, 29, v34
	v_cmp_gt_u32_e32 vcc, 8, v21
	v_and_b32_e32 v32, 7, v32
	v_cndmask_b32_e32 v21, v25, v33, vcc
	v_cndmask_b32_e32 v22, v22, v32, vcc
	v_lshlrev_b32_sdwa v24, v82, v24 dst_sel:DWORD dst_unused:UNUSED_PAD src0_sel:DWORD src1_sel:BYTE_3
	v_lshl_add_u32 v21, v21, 23, v80
	v_and_or_b32 v21, v24, s7, v21
	v_lshlrev_b32_e32 v22, 20, v22
	v_or_b32_e32 v21, v21, v22
	v_pk_mov_b32 v[32:33], v[20:21], v[20:21] op_sel:[0,1]
.LBB231_314:                            ;   in Loop: Header=BB231_291 Depth=1
	s_or_b64 exec, exec, s[22:23]
.LBB231_315:                            ;   in Loop: Header=BB231_291 Depth=1
	s_or_b64 exec, exec, s[20:21]
.LBB231_316:                            ;   in Loop: Header=BB231_291 Depth=1
	s_or_b64 exec, exec, s[0:1]
	v_add_u32_e32 v83, v78, v6
	v_or_b32_e32 v25, v31, v27
	v_or_b32_e32 v24, v30, v26
	;; [unrolled: 1-line block ×4, first 2 shown]
	v_cmp_eq_u32_e32 vcc, s27, v42
	s_waitcnt lgkmcnt(0)
	v_pk_mul_f32 v[24:25], s[18:19], v[24:25] op_sel_hi:[0,1]
	v_pk_mul_f32 v[26:27], s[18:19], v[0:1] op_sel_hi:[0,1]
	v_add_u32_e32 v86, 1, v83
	v_add_u32_e32 v85, 2, v83
	v_add_u32_e32 v84, 3, v83
	s_and_saveexec_b64 s[20:21], vcc
; %bb.317:                              ;   in Loop: Header=BB231_291 Depth=1
	v_cmp_gt_i32_e64 s[0:1], s33, v83
	v_cndmask_b32_e64 v24, 0, v24, s[0:1]
	v_cmp_gt_i32_e64 s[0:1], s33, v86
	v_cndmask_b32_e64 v25, 0, v25, s[0:1]
	;; [unrolled: 2-line block ×4, first 2 shown]
; %bb.318:                              ;   in Loop: Header=BB231_291 Depth=1
	s_or_b64 exec, exec, s[20:21]
	global_load_dword v30, v[28:29], off offset:256
	v_pk_mov_b32 v[34:35], 0, 0
	v_pk_mov_b32 v[32:33], v[34:35], v[34:35] op_sel:[0,1]
	s_waitcnt vmcnt(0)
	v_cmp_ne_u16_sdwa s[0:1], v30, v20 src0_sel:BYTE_0 src1_sel:DWORD
	s_and_saveexec_b64 s[20:21], s[0:1]
	s_cbranch_execz .LBB231_324
; %bb.319:                              ;   in Loop: Header=BB231_291 Depth=1
	v_bfrev_b32_e32 v32, 1
	v_cmp_ne_u16_sdwa s[0:1], v30, s34 src0_sel:BYTE_0 src1_sel:DWORD
	v_mov_b32_e32 v33, 0
	s_and_saveexec_b64 s[22:23], s[0:1]
	s_cbranch_execz .LBB231_323
; %bb.320:                              ;   in Loop: Header=BB231_291 Depth=1
	v_and_b32_e32 v0, 0x7f, v30
	v_mov_b32_e32 v32, 0x7f800001
	v_cmp_ne_u32_e64 s[0:1], s36, v0
	v_mov_b32_e32 v33, 0
	s_and_saveexec_b64 s[24:25], s[0:1]
	s_cbranch_execz .LBB231_322
; %bb.321:                              ;   in Loop: Header=BB231_291 Depth=1
	v_and_b32_e32 v1, 7, v30
	v_ffbh_u32_e32 v22, v1
	v_min_u32_e32 v22, 32, v22
	v_subrev_u32_e32 v31, 28, v22
	v_lshlrev_b64 v[32:33], v31, v[30:31]
	v_lshrrev_b32_e32 v21, 3, v0
	v_sub_u32_e32 v22, 29, v22
	v_and_b32_e32 v31, 7, v32
	v_cmp_gt_u32_e64 s[0:1], 8, v0
	v_cndmask_b32_e64 v0, v21, v22, s[0:1]
	v_cndmask_b32_e64 v1, v1, v31, s[0:1]
	v_lshlrev_b32_e32 v1, 20, v1
	v_and_b32_sdwa v21, sext(v30), s7 dst_sel:DWORD dst_unused:UNUSED_PAD src0_sel:BYTE_0 src1_sel:DWORD
	v_lshl_add_u32 v0, v0, 23, v80
	v_or3_b32 v22, v21, v0, v1
	v_pk_mov_b32 v[32:33], v[22:23], v[22:23] op_sel:[0,1]
.LBB231_322:                            ;   in Loop: Header=BB231_291 Depth=1
	s_or_b64 exec, exec, s[24:25]
.LBB231_323:                            ;   in Loop: Header=BB231_291 Depth=1
	s_or_b64 exec, exec, s[22:23]
.LBB231_324:                            ;   in Loop: Header=BB231_291 Depth=1
	s_or_b64 exec, exec, s[20:21]
	v_cmp_ne_u16_sdwa s[0:1], v30, v20 src0_sel:BYTE_1 src1_sel:DWORD
	s_and_saveexec_b64 s[20:21], s[0:1]
	s_cbranch_execz .LBB231_330
; %bb.325:                              ;   in Loop: Header=BB231_291 Depth=1
	v_cmp_ne_u16_sdwa s[0:1], v30, s34 src0_sel:BYTE_1 src1_sel:DWORD
	v_pk_mov_b32 v[34:35], s[6:7], s[6:7] op_sel:[0,1]
	s_and_saveexec_b64 s[22:23], s[0:1]
	s_cbranch_execz .LBB231_329
; %bb.326:                              ;   in Loop: Header=BB231_291 Depth=1
	v_and_b32_sdwa v0, v30, s36 dst_sel:DWORD dst_unused:UNUSED_PAD src0_sel:BYTE_1 src1_sel:DWORD
	s_mov_b32 s12, s6
	v_cmp_ne_u32_e64 s[0:1], s36, v0
	v_pk_mov_b32 v[34:35], s[12:13], s[12:13] op_sel:[0,1]
	s_and_saveexec_b64 s[24:25], s[0:1]
	s_cbranch_execz .LBB231_328
; %bb.327:                              ;   in Loop: Header=BB231_291 Depth=1
	v_and_b32_sdwa v22, v30, v81 dst_sel:DWORD dst_unused:UNUSED_PAD src0_sel:BYTE_1 src1_sel:DWORD
	v_ffbh_u32_e32 v21, v22
	v_min_u32_e32 v21, 32, v21
	v_subrev_u32_e32 v31, 28, v21
	v_lshrrev_b32_e32 v1, 3, v0
	v_lshlrev_b64 v[34:35], v31, v[22:23]
	v_sub_u32_e32 v21, 29, v21
	v_cmp_gt_u32_e64 s[0:1], 8, v0
	v_and_b32_e32 v31, 7, v34
	v_cndmask_b32_e64 v0, v1, v21, s[0:1]
	v_cndmask_b32_e64 v1, v22, v31, s[0:1]
	v_lshlrev_b32_e32 v21, 16, v30
	v_lshl_add_u32 v0, v0, 23, v80
	v_and_or_b32 v0, v21, s7, v0
	v_lshlrev_b32_e32 v1, 20, v1
	v_or_b32_e32 v21, v0, v1
	v_pk_mov_b32 v[34:35], v[20:21], v[20:21] op_sel:[0,1]
.LBB231_328:                            ;   in Loop: Header=BB231_291 Depth=1
	s_or_b64 exec, exec, s[24:25]
.LBB231_329:                            ;   in Loop: Header=BB231_291 Depth=1
	s_or_b64 exec, exec, s[22:23]
.LBB231_330:                            ;   in Loop: Header=BB231_291 Depth=1
	s_or_b64 exec, exec, s[20:21]
	v_lshrrev_b32_e32 v22, 16, v30
	v_pk_mov_b32 v[36:37], 0, 0
	v_cmp_ne_u16_sdwa s[0:1], v22, v20 src0_sel:BYTE_0 src1_sel:DWORD
	v_pk_mov_b32 v[0:1], v[36:37], v[36:37] op_sel:[0,1]
	s_and_saveexec_b64 s[20:21], s[0:1]
	s_cbranch_execz .LBB231_336
; %bb.331:                              ;   in Loop: Header=BB231_291 Depth=1
	v_bfrev_b32_e32 v0, 1
	v_cmp_ne_u16_sdwa s[0:1], v22, s34 src0_sel:BYTE_0 src1_sel:DWORD
	v_mov_b32_e32 v1, 0
	s_and_saveexec_b64 s[22:23], s[0:1]
	s_cbranch_execz .LBB231_335
; %bb.332:                              ;   in Loop: Header=BB231_291 Depth=1
	v_bfe_u32 v21, v30, 16, 7
	v_mov_b32_e32 v0, 0x7f800001
	v_cmp_ne_u32_e64 s[0:1], s36, v21
	v_mov_b32_e32 v1, 0
	s_and_saveexec_b64 s[24:25], s[0:1]
	s_cbranch_execz .LBB231_334
; %bb.333:                              ;   in Loop: Header=BB231_291 Depth=1
	v_and_b32_e32 v31, 7, v22
	v_ffbh_u32_e32 v0, v31
	v_min_u32_e32 v39, 32, v0
	v_subrev_u32_e32 v0, 28, v39
	v_lshlrev_b64 v[0:1], v0, v[22:23]
	v_lshrrev_b32_e32 v38, 3, v21
	v_sub_u32_e32 v1, 29, v39
	v_and_b32_e32 v0, 7, v0
	v_cmp_gt_u32_e64 s[0:1], 8, v21
	v_cndmask_b32_e64 v1, v38, v1, s[0:1]
	v_cndmask_b32_e64 v0, v31, v0, s[0:1]
	v_lshlrev_b32_e32 v0, 20, v0
	v_and_b32_sdwa v21, sext(v22), s7 dst_sel:DWORD dst_unused:UNUSED_PAD src0_sel:BYTE_0 src1_sel:DWORD
	v_lshl_add_u32 v1, v1, 23, v80
	v_or3_b32 v22, v21, v1, v0
	v_pk_mov_b32 v[0:1], v[22:23], v[22:23] op_sel:[0,1]
.LBB231_334:                            ;   in Loop: Header=BB231_291 Depth=1
	s_or_b64 exec, exec, s[24:25]
.LBB231_335:                            ;   in Loop: Header=BB231_291 Depth=1
	s_or_b64 exec, exec, s[22:23]
.LBB231_336:                            ;   in Loop: Header=BB231_291 Depth=1
	s_or_b64 exec, exec, s[20:21]
	v_cmp_lt_u32_e64 s[0:1], s37, v30
	s_and_saveexec_b64 s[20:21], s[0:1]
	s_cbranch_execz .LBB231_342
; %bb.337:                              ;   in Loop: Header=BB231_291 Depth=1
	v_cmp_ne_u32_sdwa s[0:1], v30, s34 src0_sel:BYTE_3 src1_sel:DWORD
	v_pk_mov_b32 v[36:37], s[6:7], s[6:7] op_sel:[0,1]
	s_and_saveexec_b64 s[22:23], s[0:1]
	s_cbranch_execz .LBB231_341
; %bb.338:                              ;   in Loop: Header=BB231_291 Depth=1
	v_bfe_u32 v21, v30, 24, 7
	s_mov_b32 s12, s6
	v_cmp_ne_u32_e64 s[0:1], s36, v21
	v_pk_mov_b32 v[36:37], s[12:13], s[12:13] op_sel:[0,1]
	s_and_saveexec_b64 s[24:25], s[0:1]
	s_cbranch_execz .LBB231_340
; %bb.339:                              ;   in Loop: Header=BB231_291 Depth=1
	v_and_b32_sdwa v22, v30, v81 dst_sel:DWORD dst_unused:UNUSED_PAD src0_sel:BYTE_3 src1_sel:DWORD
	v_ffbh_u32_e32 v36, v22
	v_min_u32_e32 v38, 32, v36
	v_subrev_u32_e32 v36, 28, v38
	v_lshlrev_b64 v[36:37], v36, v[22:23]
	v_lshrrev_b32_e32 v31, 3, v21
	v_sub_u32_e32 v37, 29, v38
	v_cmp_gt_u32_e64 s[0:1], 8, v21
	v_and_b32_e32 v36, 7, v36
	v_cndmask_b32_e64 v21, v31, v37, s[0:1]
	v_cndmask_b32_e64 v22, v22, v36, s[0:1]
	v_lshlrev_b32_sdwa v30, v82, v30 dst_sel:DWORD dst_unused:UNUSED_PAD src0_sel:DWORD src1_sel:BYTE_3
	v_lshl_add_u32 v21, v21, 23, v80
	v_and_or_b32 v21, v30, s7, v21
	v_lshlrev_b32_e32 v22, 20, v22
	v_or_b32_e32 v21, v21, v22
	v_pk_mov_b32 v[36:37], v[20:21], v[20:21] op_sel:[0,1]
.LBB231_340:                            ;   in Loop: Header=BB231_291 Depth=1
	s_or_b64 exec, exec, s[24:25]
.LBB231_341:                            ;   in Loop: Header=BB231_291 Depth=1
	s_or_b64 exec, exec, s[22:23]
.LBB231_342:                            ;   in Loop: Header=BB231_291 Depth=1
	s_or_b64 exec, exec, s[20:21]
	s_mov_b32 s19, s18
	v_or_b32_e32 v31, v35, v33
	v_or_b32_e32 v30, v34, v32
	;; [unrolled: 1-line block ×4, first 2 shown]
	v_pk_mul_f32 v[30:31], s[18:19], v[30:31]
	v_pk_mul_f32 v[32:33], s[18:19], v[0:1]
	s_and_saveexec_b64 s[20:21], vcc
; %bb.343:                              ;   in Loop: Header=BB231_291 Depth=1
	v_cmp_gt_i32_e64 s[0:1], s33, v83
	v_cndmask_b32_e64 v30, 0, v30, s[0:1]
	v_cmp_gt_i32_e64 s[0:1], s33, v86
	v_cndmask_b32_e64 v31, 0, v31, s[0:1]
	;; [unrolled: 2-line block ×4, first 2 shown]
; %bb.344:                              ;   in Loop: Header=BB231_291 Depth=1
	s_or_b64 exec, exec, s[20:21]
	global_load_dword v34, v[28:29], off offset:512
	v_pk_mov_b32 v[38:39], 0, 0
	v_pk_mov_b32 v[36:37], v[38:39], v[38:39] op_sel:[0,1]
	s_waitcnt vmcnt(0)
	v_cmp_ne_u16_sdwa s[0:1], v34, v20 src0_sel:BYTE_0 src1_sel:DWORD
	s_and_saveexec_b64 s[20:21], s[0:1]
	s_cbranch_execz .LBB231_350
; %bb.345:                              ;   in Loop: Header=BB231_291 Depth=1
	v_bfrev_b32_e32 v36, 1
	v_cmp_ne_u16_sdwa s[0:1], v34, s34 src0_sel:BYTE_0 src1_sel:DWORD
	v_mov_b32_e32 v37, 0
	s_and_saveexec_b64 s[22:23], s[0:1]
	s_cbranch_execz .LBB231_349
; %bb.346:                              ;   in Loop: Header=BB231_291 Depth=1
	v_and_b32_e32 v0, 0x7f, v34
	v_mov_b32_e32 v36, 0x7f800001
	v_cmp_ne_u32_e64 s[0:1], s36, v0
	v_mov_b32_e32 v37, 0
	s_and_saveexec_b64 s[24:25], s[0:1]
	s_cbranch_execz .LBB231_348
; %bb.347:                              ;   in Loop: Header=BB231_291 Depth=1
	v_and_b32_e32 v1, 7, v34
	v_ffbh_u32_e32 v22, v1
	v_min_u32_e32 v22, 32, v22
	v_subrev_u32_e32 v35, 28, v22
	v_lshlrev_b64 v[36:37], v35, v[34:35]
	v_lshrrev_b32_e32 v21, 3, v0
	v_sub_u32_e32 v22, 29, v22
	v_and_b32_e32 v35, 7, v36
	v_cmp_gt_u32_e64 s[0:1], 8, v0
	v_cndmask_b32_e64 v0, v21, v22, s[0:1]
	v_cndmask_b32_e64 v1, v1, v35, s[0:1]
	v_lshlrev_b32_e32 v1, 20, v1
	v_and_b32_sdwa v21, sext(v34), s7 dst_sel:DWORD dst_unused:UNUSED_PAD src0_sel:BYTE_0 src1_sel:DWORD
	v_lshl_add_u32 v0, v0, 23, v80
	v_or3_b32 v22, v21, v0, v1
	v_pk_mov_b32 v[36:37], v[22:23], v[22:23] op_sel:[0,1]
.LBB231_348:                            ;   in Loop: Header=BB231_291 Depth=1
	s_or_b64 exec, exec, s[24:25]
.LBB231_349:                            ;   in Loop: Header=BB231_291 Depth=1
	s_or_b64 exec, exec, s[22:23]
.LBB231_350:                            ;   in Loop: Header=BB231_291 Depth=1
	s_or_b64 exec, exec, s[20:21]
	v_cmp_ne_u16_sdwa s[0:1], v34, v20 src0_sel:BYTE_1 src1_sel:DWORD
	s_and_saveexec_b64 s[20:21], s[0:1]
	s_cbranch_execz .LBB231_356
; %bb.351:                              ;   in Loop: Header=BB231_291 Depth=1
	v_cmp_ne_u16_sdwa s[0:1], v34, s34 src0_sel:BYTE_1 src1_sel:DWORD
	v_pk_mov_b32 v[38:39], s[6:7], s[6:7] op_sel:[0,1]
	s_and_saveexec_b64 s[22:23], s[0:1]
	s_cbranch_execz .LBB231_355
; %bb.352:                              ;   in Loop: Header=BB231_291 Depth=1
	v_and_b32_sdwa v0, v34, s36 dst_sel:DWORD dst_unused:UNUSED_PAD src0_sel:BYTE_1 src1_sel:DWORD
	s_mov_b32 s12, s6
	v_cmp_ne_u32_e64 s[0:1], s36, v0
	v_pk_mov_b32 v[38:39], s[12:13], s[12:13] op_sel:[0,1]
	s_and_saveexec_b64 s[24:25], s[0:1]
	s_cbranch_execz .LBB231_354
; %bb.353:                              ;   in Loop: Header=BB231_291 Depth=1
	v_and_b32_sdwa v22, v34, v81 dst_sel:DWORD dst_unused:UNUSED_PAD src0_sel:BYTE_1 src1_sel:DWORD
	v_ffbh_u32_e32 v21, v22
	v_min_u32_e32 v21, 32, v21
	v_subrev_u32_e32 v35, 28, v21
	v_lshrrev_b32_e32 v1, 3, v0
	v_lshlrev_b64 v[38:39], v35, v[22:23]
	v_sub_u32_e32 v21, 29, v21
	v_cmp_gt_u32_e64 s[0:1], 8, v0
	v_and_b32_e32 v35, 7, v38
	v_cndmask_b32_e64 v0, v1, v21, s[0:1]
	v_cndmask_b32_e64 v1, v22, v35, s[0:1]
	v_lshlrev_b32_e32 v21, 16, v34
	v_lshl_add_u32 v0, v0, 23, v80
	v_and_or_b32 v0, v21, s7, v0
	v_lshlrev_b32_e32 v1, 20, v1
	v_or_b32_e32 v21, v0, v1
	v_pk_mov_b32 v[38:39], v[20:21], v[20:21] op_sel:[0,1]
.LBB231_354:                            ;   in Loop: Header=BB231_291 Depth=1
	s_or_b64 exec, exec, s[24:25]
.LBB231_355:                            ;   in Loop: Header=BB231_291 Depth=1
	s_or_b64 exec, exec, s[22:23]
.LBB231_356:                            ;   in Loop: Header=BB231_291 Depth=1
	s_or_b64 exec, exec, s[20:21]
	v_lshrrev_b32_e32 v22, 16, v34
	v_pk_mov_b32 v[40:41], 0, 0
	v_cmp_ne_u16_sdwa s[0:1], v22, v20 src0_sel:BYTE_0 src1_sel:DWORD
	v_pk_mov_b32 v[0:1], v[40:41], v[40:41] op_sel:[0,1]
	s_and_saveexec_b64 s[20:21], s[0:1]
	s_cbranch_execz .LBB231_362
; %bb.357:                              ;   in Loop: Header=BB231_291 Depth=1
	v_bfrev_b32_e32 v0, 1
	v_cmp_ne_u16_sdwa s[0:1], v22, s34 src0_sel:BYTE_0 src1_sel:DWORD
	v_mov_b32_e32 v1, 0
	s_and_saveexec_b64 s[22:23], s[0:1]
	s_cbranch_execz .LBB231_361
; %bb.358:                              ;   in Loop: Header=BB231_291 Depth=1
	v_bfe_u32 v21, v34, 16, 7
	v_mov_b32_e32 v0, 0x7f800001
	v_cmp_ne_u32_e64 s[0:1], s36, v21
	v_mov_b32_e32 v1, 0
	s_and_saveexec_b64 s[24:25], s[0:1]
	s_cbranch_execz .LBB231_360
; %bb.359:                              ;   in Loop: Header=BB231_291 Depth=1
	v_and_b32_e32 v35, 7, v22
	v_ffbh_u32_e32 v0, v35
	v_min_u32_e32 v45, 32, v0
	v_subrev_u32_e32 v0, 28, v45
	v_lshlrev_b64 v[0:1], v0, v[22:23]
	v_lshrrev_b32_e32 v44, 3, v21
	v_sub_u32_e32 v1, 29, v45
	v_and_b32_e32 v0, 7, v0
	v_cmp_gt_u32_e64 s[0:1], 8, v21
	v_cndmask_b32_e64 v1, v44, v1, s[0:1]
	v_cndmask_b32_e64 v0, v35, v0, s[0:1]
	v_lshlrev_b32_e32 v0, 20, v0
	v_and_b32_sdwa v21, sext(v22), s7 dst_sel:DWORD dst_unused:UNUSED_PAD src0_sel:BYTE_0 src1_sel:DWORD
	v_lshl_add_u32 v1, v1, 23, v80
	v_or3_b32 v22, v21, v1, v0
	v_pk_mov_b32 v[0:1], v[22:23], v[22:23] op_sel:[0,1]
.LBB231_360:                            ;   in Loop: Header=BB231_291 Depth=1
	s_or_b64 exec, exec, s[24:25]
.LBB231_361:                            ;   in Loop: Header=BB231_291 Depth=1
	s_or_b64 exec, exec, s[22:23]
.LBB231_362:                            ;   in Loop: Header=BB231_291 Depth=1
	s_or_b64 exec, exec, s[20:21]
	v_cmp_lt_u32_e64 s[0:1], s37, v34
	s_and_saveexec_b64 s[20:21], s[0:1]
	s_cbranch_execz .LBB231_368
; %bb.363:                              ;   in Loop: Header=BB231_291 Depth=1
	v_cmp_ne_u32_sdwa s[0:1], v34, s34 src0_sel:BYTE_3 src1_sel:DWORD
	v_pk_mov_b32 v[40:41], s[6:7], s[6:7] op_sel:[0,1]
	s_and_saveexec_b64 s[22:23], s[0:1]
	s_cbranch_execz .LBB231_367
; %bb.364:                              ;   in Loop: Header=BB231_291 Depth=1
	v_bfe_u32 v21, v34, 24, 7
	s_mov_b32 s12, s6
	v_cmp_ne_u32_e64 s[0:1], s36, v21
	v_pk_mov_b32 v[40:41], s[12:13], s[12:13] op_sel:[0,1]
	s_and_saveexec_b64 s[24:25], s[0:1]
	s_cbranch_execz .LBB231_366
; %bb.365:                              ;   in Loop: Header=BB231_291 Depth=1
	v_and_b32_sdwa v22, v34, v81 dst_sel:DWORD dst_unused:UNUSED_PAD src0_sel:BYTE_3 src1_sel:DWORD
	v_ffbh_u32_e32 v40, v22
	v_min_u32_e32 v44, 32, v40
	v_subrev_u32_e32 v40, 28, v44
	v_lshlrev_b64 v[40:41], v40, v[22:23]
	v_lshrrev_b32_e32 v35, 3, v21
	v_sub_u32_e32 v41, 29, v44
	v_cmp_gt_u32_e64 s[0:1], 8, v21
	v_and_b32_e32 v40, 7, v40
	v_cndmask_b32_e64 v21, v35, v41, s[0:1]
	v_cndmask_b32_e64 v22, v22, v40, s[0:1]
	v_lshlrev_b32_sdwa v34, v82, v34 dst_sel:DWORD dst_unused:UNUSED_PAD src0_sel:DWORD src1_sel:BYTE_3
	v_lshl_add_u32 v21, v21, 23, v80
	v_and_or_b32 v21, v34, s7, v21
	v_lshlrev_b32_e32 v22, 20, v22
	v_or_b32_e32 v21, v21, v22
	v_pk_mov_b32 v[40:41], v[20:21], v[20:21] op_sel:[0,1]
.LBB231_366:                            ;   in Loop: Header=BB231_291 Depth=1
	s_or_b64 exec, exec, s[24:25]
.LBB231_367:                            ;   in Loop: Header=BB231_291 Depth=1
	s_or_b64 exec, exec, s[22:23]
.LBB231_368:                            ;   in Loop: Header=BB231_291 Depth=1
	s_or_b64 exec, exec, s[20:21]
	v_or_b32_e32 v35, v39, v37
	v_or_b32_e32 v34, v38, v36
	;; [unrolled: 1-line block ×4, first 2 shown]
	v_pk_mul_f32 v[34:35], s[18:19], v[34:35]
	v_pk_mul_f32 v[36:37], s[18:19], v[0:1]
	s_and_saveexec_b64 s[20:21], vcc
; %bb.369:                              ;   in Loop: Header=BB231_291 Depth=1
	v_cmp_gt_i32_e64 s[0:1], s33, v83
	v_cndmask_b32_e64 v34, 0, v34, s[0:1]
	v_cmp_gt_i32_e64 s[0:1], s33, v86
	v_cndmask_b32_e64 v35, 0, v35, s[0:1]
	;; [unrolled: 2-line block ×4, first 2 shown]
; %bb.370:                              ;   in Loop: Header=BB231_291 Depth=1
	s_or_b64 exec, exec, s[20:21]
	global_load_dword v38, v[28:29], off offset:768
	v_pk_mov_b32 v[44:45], 0, 0
	v_pk_mov_b32 v[40:41], v[44:45], v[44:45] op_sel:[0,1]
	s_waitcnt vmcnt(0)
	v_cmp_ne_u16_sdwa s[0:1], v38, v20 src0_sel:BYTE_0 src1_sel:DWORD
	s_and_saveexec_b64 s[20:21], s[0:1]
	s_cbranch_execz .LBB231_376
; %bb.371:                              ;   in Loop: Header=BB231_291 Depth=1
	v_bfrev_b32_e32 v40, 1
	v_cmp_ne_u16_sdwa s[0:1], v38, s34 src0_sel:BYTE_0 src1_sel:DWORD
	v_mov_b32_e32 v41, 0
	s_and_saveexec_b64 s[22:23], s[0:1]
	s_cbranch_execz .LBB231_375
; %bb.372:                              ;   in Loop: Header=BB231_291 Depth=1
	v_and_b32_e32 v0, 0x7f, v38
	v_mov_b32_e32 v40, 0x7f800001
	v_cmp_ne_u32_e64 s[0:1], s36, v0
	v_mov_b32_e32 v41, 0
	s_and_saveexec_b64 s[24:25], s[0:1]
	s_cbranch_execz .LBB231_374
; %bb.373:                              ;   in Loop: Header=BB231_291 Depth=1
	v_and_b32_e32 v1, 7, v38
	v_ffbh_u32_e32 v22, v1
	v_min_u32_e32 v22, 32, v22
	v_subrev_u32_e32 v39, 28, v22
	v_lshlrev_b64 v[40:41], v39, v[38:39]
	v_lshrrev_b32_e32 v21, 3, v0
	v_sub_u32_e32 v22, 29, v22
	v_and_b32_e32 v39, 7, v40
	v_cmp_gt_u32_e64 s[0:1], 8, v0
	v_cndmask_b32_e64 v0, v21, v22, s[0:1]
	v_cndmask_b32_e64 v1, v1, v39, s[0:1]
	v_lshlrev_b32_e32 v1, 20, v1
	v_and_b32_sdwa v21, sext(v38), s7 dst_sel:DWORD dst_unused:UNUSED_PAD src0_sel:BYTE_0 src1_sel:DWORD
	v_lshl_add_u32 v0, v0, 23, v80
	v_or3_b32 v22, v21, v0, v1
	v_pk_mov_b32 v[40:41], v[22:23], v[22:23] op_sel:[0,1]
.LBB231_374:                            ;   in Loop: Header=BB231_291 Depth=1
	s_or_b64 exec, exec, s[24:25]
.LBB231_375:                            ;   in Loop: Header=BB231_291 Depth=1
	s_or_b64 exec, exec, s[22:23]
.LBB231_376:                            ;   in Loop: Header=BB231_291 Depth=1
	s_or_b64 exec, exec, s[20:21]
	v_cmp_ne_u16_sdwa s[0:1], v38, v20 src0_sel:BYTE_1 src1_sel:DWORD
	s_and_saveexec_b64 s[20:21], s[0:1]
	s_cbranch_execz .LBB231_382
; %bb.377:                              ;   in Loop: Header=BB231_291 Depth=1
	v_cmp_ne_u16_sdwa s[0:1], v38, s34 src0_sel:BYTE_1 src1_sel:DWORD
	v_pk_mov_b32 v[44:45], s[6:7], s[6:7] op_sel:[0,1]
	s_and_saveexec_b64 s[22:23], s[0:1]
	s_cbranch_execz .LBB231_381
; %bb.378:                              ;   in Loop: Header=BB231_291 Depth=1
	v_and_b32_sdwa v0, v38, s36 dst_sel:DWORD dst_unused:UNUSED_PAD src0_sel:BYTE_1 src1_sel:DWORD
	s_mov_b32 s12, s6
	v_cmp_ne_u32_e64 s[0:1], s36, v0
	v_pk_mov_b32 v[44:45], s[12:13], s[12:13] op_sel:[0,1]
	s_and_saveexec_b64 s[24:25], s[0:1]
	s_cbranch_execz .LBB231_380
; %bb.379:                              ;   in Loop: Header=BB231_291 Depth=1
	v_and_b32_sdwa v22, v38, v81 dst_sel:DWORD dst_unused:UNUSED_PAD src0_sel:BYTE_1 src1_sel:DWORD
	v_ffbh_u32_e32 v21, v22
	v_min_u32_e32 v21, 32, v21
	v_subrev_u32_e32 v39, 28, v21
	v_lshrrev_b32_e32 v1, 3, v0
	v_lshlrev_b64 v[44:45], v39, v[22:23]
	v_sub_u32_e32 v21, 29, v21
	v_cmp_gt_u32_e64 s[0:1], 8, v0
	v_and_b32_e32 v39, 7, v44
	v_cndmask_b32_e64 v0, v1, v21, s[0:1]
	v_cndmask_b32_e64 v1, v22, v39, s[0:1]
	v_lshlrev_b32_e32 v21, 16, v38
	v_lshl_add_u32 v0, v0, 23, v80
	v_and_or_b32 v0, v21, s7, v0
	v_lshlrev_b32_e32 v1, 20, v1
	v_or_b32_e32 v21, v0, v1
	v_pk_mov_b32 v[44:45], v[20:21], v[20:21] op_sel:[0,1]
.LBB231_380:                            ;   in Loop: Header=BB231_291 Depth=1
	s_or_b64 exec, exec, s[24:25]
.LBB231_381:                            ;   in Loop: Header=BB231_291 Depth=1
	s_or_b64 exec, exec, s[22:23]
.LBB231_382:                            ;   in Loop: Header=BB231_291 Depth=1
	s_or_b64 exec, exec, s[20:21]
	v_lshrrev_b32_e32 v22, 16, v38
	v_pk_mov_b32 v[46:47], 0, 0
	v_cmp_ne_u16_sdwa s[0:1], v22, v20 src0_sel:BYTE_0 src1_sel:DWORD
	v_pk_mov_b32 v[0:1], v[46:47], v[46:47] op_sel:[0,1]
	s_and_saveexec_b64 s[20:21], s[0:1]
	s_cbranch_execz .LBB231_388
; %bb.383:                              ;   in Loop: Header=BB231_291 Depth=1
	v_bfrev_b32_e32 v0, 1
	v_cmp_ne_u16_sdwa s[0:1], v22, s34 src0_sel:BYTE_0 src1_sel:DWORD
	v_mov_b32_e32 v1, 0
	s_and_saveexec_b64 s[22:23], s[0:1]
	s_cbranch_execz .LBB231_387
; %bb.384:                              ;   in Loop: Header=BB231_291 Depth=1
	v_bfe_u32 v21, v38, 16, 7
	v_mov_b32_e32 v0, 0x7f800001
	v_cmp_ne_u32_e64 s[0:1], s36, v21
	v_mov_b32_e32 v1, 0
	s_and_saveexec_b64 s[24:25], s[0:1]
	s_cbranch_execz .LBB231_386
; %bb.385:                              ;   in Loop: Header=BB231_291 Depth=1
	v_and_b32_e32 v39, 7, v22
	v_ffbh_u32_e32 v0, v39
	v_min_u32_e32 v49, 32, v0
	v_subrev_u32_e32 v0, 28, v49
	v_lshlrev_b64 v[0:1], v0, v[22:23]
	v_lshrrev_b32_e32 v48, 3, v21
	v_sub_u32_e32 v1, 29, v49
	v_and_b32_e32 v0, 7, v0
	v_cmp_gt_u32_e64 s[0:1], 8, v21
	v_cndmask_b32_e64 v1, v48, v1, s[0:1]
	v_cndmask_b32_e64 v0, v39, v0, s[0:1]
	v_lshlrev_b32_e32 v0, 20, v0
	v_and_b32_sdwa v21, sext(v22), s7 dst_sel:DWORD dst_unused:UNUSED_PAD src0_sel:BYTE_0 src1_sel:DWORD
	v_lshl_add_u32 v1, v1, 23, v80
	v_or3_b32 v22, v21, v1, v0
	v_pk_mov_b32 v[0:1], v[22:23], v[22:23] op_sel:[0,1]
.LBB231_386:                            ;   in Loop: Header=BB231_291 Depth=1
	s_or_b64 exec, exec, s[24:25]
.LBB231_387:                            ;   in Loop: Header=BB231_291 Depth=1
	s_or_b64 exec, exec, s[22:23]
.LBB231_388:                            ;   in Loop: Header=BB231_291 Depth=1
	s_or_b64 exec, exec, s[20:21]
	v_cmp_lt_u32_e64 s[0:1], s37, v38
	s_and_saveexec_b64 s[20:21], s[0:1]
	s_cbranch_execz .LBB231_394
; %bb.389:                              ;   in Loop: Header=BB231_291 Depth=1
	v_cmp_ne_u32_sdwa s[0:1], v38, s34 src0_sel:BYTE_3 src1_sel:DWORD
	v_pk_mov_b32 v[46:47], s[6:7], s[6:7] op_sel:[0,1]
	s_and_saveexec_b64 s[22:23], s[0:1]
	s_cbranch_execz .LBB231_393
; %bb.390:                              ;   in Loop: Header=BB231_291 Depth=1
	v_bfe_u32 v21, v38, 24, 7
	s_mov_b32 s12, s6
	v_cmp_ne_u32_e64 s[0:1], s36, v21
	v_pk_mov_b32 v[46:47], s[12:13], s[12:13] op_sel:[0,1]
	s_and_saveexec_b64 s[24:25], s[0:1]
	s_cbranch_execz .LBB231_392
; %bb.391:                              ;   in Loop: Header=BB231_291 Depth=1
	v_and_b32_sdwa v22, v38, v81 dst_sel:DWORD dst_unused:UNUSED_PAD src0_sel:BYTE_3 src1_sel:DWORD
	v_ffbh_u32_e32 v46, v22
	v_min_u32_e32 v48, 32, v46
	v_subrev_u32_e32 v46, 28, v48
	v_lshlrev_b64 v[46:47], v46, v[22:23]
	v_lshrrev_b32_e32 v39, 3, v21
	v_sub_u32_e32 v47, 29, v48
	v_cmp_gt_u32_e64 s[0:1], 8, v21
	v_and_b32_e32 v46, 7, v46
	v_cndmask_b32_e64 v21, v39, v47, s[0:1]
	v_cndmask_b32_e64 v22, v22, v46, s[0:1]
	v_lshlrev_b32_sdwa v38, v82, v38 dst_sel:DWORD dst_unused:UNUSED_PAD src0_sel:DWORD src1_sel:BYTE_3
	v_lshl_add_u32 v21, v21, 23, v80
	v_and_or_b32 v21, v38, s7, v21
	v_lshlrev_b32_e32 v22, 20, v22
	v_or_b32_e32 v21, v21, v22
	v_pk_mov_b32 v[46:47], v[20:21], v[20:21] op_sel:[0,1]
.LBB231_392:                            ;   in Loop: Header=BB231_291 Depth=1
	s_or_b64 exec, exec, s[24:25]
.LBB231_393:                            ;   in Loop: Header=BB231_291 Depth=1
	s_or_b64 exec, exec, s[22:23]
.LBB231_394:                            ;   in Loop: Header=BB231_291 Depth=1
	s_or_b64 exec, exec, s[20:21]
	v_or_b32_e32 v39, v45, v41
	v_or_b32_e32 v38, v44, v40
	;; [unrolled: 1-line block ×4, first 2 shown]
	v_pk_mul_f32 v[38:39], s[18:19], v[38:39]
	v_pk_mul_f32 v[40:41], s[18:19], v[0:1]
	s_and_saveexec_b64 s[20:21], vcc
; %bb.395:                              ;   in Loop: Header=BB231_291 Depth=1
	v_cmp_gt_i32_e64 s[0:1], s33, v83
	v_cndmask_b32_e64 v38, 0, v38, s[0:1]
	v_cmp_gt_i32_e64 s[0:1], s33, v86
	v_cndmask_b32_e64 v39, 0, v39, s[0:1]
	;; [unrolled: 2-line block ×4, first 2 shown]
; %bb.396:                              ;   in Loop: Header=BB231_291 Depth=1
	s_or_b64 exec, exec, s[20:21]
	global_load_dword v44, v[28:29], off offset:1024
	v_pk_mov_b32 v[48:49], 0, 0
	v_pk_mov_b32 v[46:47], v[48:49], v[48:49] op_sel:[0,1]
	s_waitcnt vmcnt(0)
	v_cmp_ne_u16_sdwa s[0:1], v44, v20 src0_sel:BYTE_0 src1_sel:DWORD
	s_and_saveexec_b64 s[20:21], s[0:1]
	s_cbranch_execz .LBB231_402
; %bb.397:                              ;   in Loop: Header=BB231_291 Depth=1
	v_bfrev_b32_e32 v46, 1
	v_cmp_ne_u16_sdwa s[0:1], v44, s34 src0_sel:BYTE_0 src1_sel:DWORD
	v_mov_b32_e32 v47, 0
	s_and_saveexec_b64 s[22:23], s[0:1]
	s_cbranch_execz .LBB231_401
; %bb.398:                              ;   in Loop: Header=BB231_291 Depth=1
	v_and_b32_e32 v0, 0x7f, v44
	v_mov_b32_e32 v46, 0x7f800001
	v_cmp_ne_u32_e64 s[0:1], s36, v0
	v_mov_b32_e32 v47, 0
	s_and_saveexec_b64 s[24:25], s[0:1]
	s_cbranch_execz .LBB231_400
; %bb.399:                              ;   in Loop: Header=BB231_291 Depth=1
	v_and_b32_e32 v1, 7, v44
	v_ffbh_u32_e32 v22, v1
	v_min_u32_e32 v22, 32, v22
	v_subrev_u32_e32 v45, 28, v22
	v_lshlrev_b64 v[46:47], v45, v[44:45]
	v_lshrrev_b32_e32 v21, 3, v0
	v_sub_u32_e32 v22, 29, v22
	v_and_b32_e32 v45, 7, v46
	v_cmp_gt_u32_e64 s[0:1], 8, v0
	v_cndmask_b32_e64 v0, v21, v22, s[0:1]
	v_cndmask_b32_e64 v1, v1, v45, s[0:1]
	v_lshlrev_b32_e32 v1, 20, v1
	v_and_b32_sdwa v21, sext(v44), s7 dst_sel:DWORD dst_unused:UNUSED_PAD src0_sel:BYTE_0 src1_sel:DWORD
	v_lshl_add_u32 v0, v0, 23, v80
	v_or3_b32 v22, v21, v0, v1
	v_pk_mov_b32 v[46:47], v[22:23], v[22:23] op_sel:[0,1]
.LBB231_400:                            ;   in Loop: Header=BB231_291 Depth=1
	s_or_b64 exec, exec, s[24:25]
.LBB231_401:                            ;   in Loop: Header=BB231_291 Depth=1
	s_or_b64 exec, exec, s[22:23]
.LBB231_402:                            ;   in Loop: Header=BB231_291 Depth=1
	s_or_b64 exec, exec, s[20:21]
	v_cmp_ne_u16_sdwa s[0:1], v44, v20 src0_sel:BYTE_1 src1_sel:DWORD
	s_and_saveexec_b64 s[20:21], s[0:1]
	s_cbranch_execz .LBB231_408
; %bb.403:                              ;   in Loop: Header=BB231_291 Depth=1
	v_cmp_ne_u16_sdwa s[0:1], v44, s34 src0_sel:BYTE_1 src1_sel:DWORD
	v_pk_mov_b32 v[48:49], s[6:7], s[6:7] op_sel:[0,1]
	s_and_saveexec_b64 s[22:23], s[0:1]
	s_cbranch_execz .LBB231_407
; %bb.404:                              ;   in Loop: Header=BB231_291 Depth=1
	v_and_b32_sdwa v0, v44, s36 dst_sel:DWORD dst_unused:UNUSED_PAD src0_sel:BYTE_1 src1_sel:DWORD
	s_mov_b32 s12, s6
	v_cmp_ne_u32_e64 s[0:1], s36, v0
	v_pk_mov_b32 v[48:49], s[12:13], s[12:13] op_sel:[0,1]
	s_and_saveexec_b64 s[24:25], s[0:1]
	s_cbranch_execz .LBB231_406
; %bb.405:                              ;   in Loop: Header=BB231_291 Depth=1
	v_and_b32_sdwa v22, v44, v81 dst_sel:DWORD dst_unused:UNUSED_PAD src0_sel:BYTE_1 src1_sel:DWORD
	v_ffbh_u32_e32 v21, v22
	v_min_u32_e32 v21, 32, v21
	v_subrev_u32_e32 v45, 28, v21
	v_lshrrev_b32_e32 v1, 3, v0
	v_lshlrev_b64 v[48:49], v45, v[22:23]
	v_sub_u32_e32 v21, 29, v21
	v_cmp_gt_u32_e64 s[0:1], 8, v0
	v_and_b32_e32 v45, 7, v48
	v_cndmask_b32_e64 v0, v1, v21, s[0:1]
	v_cndmask_b32_e64 v1, v22, v45, s[0:1]
	v_lshlrev_b32_e32 v21, 16, v44
	v_lshl_add_u32 v0, v0, 23, v80
	v_and_or_b32 v0, v21, s7, v0
	v_lshlrev_b32_e32 v1, 20, v1
	v_or_b32_e32 v21, v0, v1
	v_pk_mov_b32 v[48:49], v[20:21], v[20:21] op_sel:[0,1]
.LBB231_406:                            ;   in Loop: Header=BB231_291 Depth=1
	s_or_b64 exec, exec, s[24:25]
.LBB231_407:                            ;   in Loop: Header=BB231_291 Depth=1
	s_or_b64 exec, exec, s[22:23]
.LBB231_408:                            ;   in Loop: Header=BB231_291 Depth=1
	s_or_b64 exec, exec, s[20:21]
	v_lshrrev_b32_e32 v22, 16, v44
	v_pk_mov_b32 v[50:51], 0, 0
	v_cmp_ne_u16_sdwa s[0:1], v22, v20 src0_sel:BYTE_0 src1_sel:DWORD
	v_pk_mov_b32 v[0:1], v[50:51], v[50:51] op_sel:[0,1]
	s_and_saveexec_b64 s[20:21], s[0:1]
	s_cbranch_execz .LBB231_414
; %bb.409:                              ;   in Loop: Header=BB231_291 Depth=1
	v_bfrev_b32_e32 v0, 1
	v_cmp_ne_u16_sdwa s[0:1], v22, s34 src0_sel:BYTE_0 src1_sel:DWORD
	v_mov_b32_e32 v1, 0
	s_and_saveexec_b64 s[22:23], s[0:1]
	s_cbranch_execz .LBB231_413
; %bb.410:                              ;   in Loop: Header=BB231_291 Depth=1
	v_bfe_u32 v21, v44, 16, 7
	v_mov_b32_e32 v0, 0x7f800001
	v_cmp_ne_u32_e64 s[0:1], s36, v21
	v_mov_b32_e32 v1, 0
	s_and_saveexec_b64 s[24:25], s[0:1]
	s_cbranch_execz .LBB231_412
; %bb.411:                              ;   in Loop: Header=BB231_291 Depth=1
	v_and_b32_e32 v45, 7, v22
	v_ffbh_u32_e32 v0, v45
	v_min_u32_e32 v53, 32, v0
	v_subrev_u32_e32 v0, 28, v53
	v_lshlrev_b64 v[0:1], v0, v[22:23]
	v_lshrrev_b32_e32 v52, 3, v21
	v_sub_u32_e32 v1, 29, v53
	v_and_b32_e32 v0, 7, v0
	v_cmp_gt_u32_e64 s[0:1], 8, v21
	v_cndmask_b32_e64 v1, v52, v1, s[0:1]
	v_cndmask_b32_e64 v0, v45, v0, s[0:1]
	v_lshlrev_b32_e32 v0, 20, v0
	v_and_b32_sdwa v21, sext(v22), s7 dst_sel:DWORD dst_unused:UNUSED_PAD src0_sel:BYTE_0 src1_sel:DWORD
	v_lshl_add_u32 v1, v1, 23, v80
	v_or3_b32 v22, v21, v1, v0
	v_pk_mov_b32 v[0:1], v[22:23], v[22:23] op_sel:[0,1]
.LBB231_412:                            ;   in Loop: Header=BB231_291 Depth=1
	s_or_b64 exec, exec, s[24:25]
.LBB231_413:                            ;   in Loop: Header=BB231_291 Depth=1
	s_or_b64 exec, exec, s[22:23]
.LBB231_414:                            ;   in Loop: Header=BB231_291 Depth=1
	s_or_b64 exec, exec, s[20:21]
	v_cmp_lt_u32_e64 s[0:1], s37, v44
	s_and_saveexec_b64 s[20:21], s[0:1]
	s_cbranch_execz .LBB231_420
; %bb.415:                              ;   in Loop: Header=BB231_291 Depth=1
	v_cmp_ne_u32_sdwa s[0:1], v44, s34 src0_sel:BYTE_3 src1_sel:DWORD
	v_pk_mov_b32 v[50:51], s[6:7], s[6:7] op_sel:[0,1]
	s_and_saveexec_b64 s[22:23], s[0:1]
	s_cbranch_execz .LBB231_419
; %bb.416:                              ;   in Loop: Header=BB231_291 Depth=1
	v_bfe_u32 v21, v44, 24, 7
	s_mov_b32 s12, s6
	v_cmp_ne_u32_e64 s[0:1], s36, v21
	v_pk_mov_b32 v[50:51], s[12:13], s[12:13] op_sel:[0,1]
	s_and_saveexec_b64 s[24:25], s[0:1]
	s_cbranch_execz .LBB231_418
; %bb.417:                              ;   in Loop: Header=BB231_291 Depth=1
	v_and_b32_sdwa v22, v44, v81 dst_sel:DWORD dst_unused:UNUSED_PAD src0_sel:BYTE_3 src1_sel:DWORD
	v_ffbh_u32_e32 v50, v22
	v_min_u32_e32 v52, 32, v50
	v_subrev_u32_e32 v50, 28, v52
	v_lshlrev_b64 v[50:51], v50, v[22:23]
	v_lshrrev_b32_e32 v45, 3, v21
	v_sub_u32_e32 v51, 29, v52
	v_cmp_gt_u32_e64 s[0:1], 8, v21
	v_and_b32_e32 v50, 7, v50
	v_cndmask_b32_e64 v21, v45, v51, s[0:1]
	v_cndmask_b32_e64 v22, v22, v50, s[0:1]
	v_lshlrev_b32_sdwa v44, v82, v44 dst_sel:DWORD dst_unused:UNUSED_PAD src0_sel:DWORD src1_sel:BYTE_3
	v_lshl_add_u32 v21, v21, 23, v80
	v_and_or_b32 v21, v44, s7, v21
	v_lshlrev_b32_e32 v22, 20, v22
	v_or_b32_e32 v21, v21, v22
	v_pk_mov_b32 v[50:51], v[20:21], v[20:21] op_sel:[0,1]
.LBB231_418:                            ;   in Loop: Header=BB231_291 Depth=1
	s_or_b64 exec, exec, s[24:25]
.LBB231_419:                            ;   in Loop: Header=BB231_291 Depth=1
	s_or_b64 exec, exec, s[22:23]
.LBB231_420:                            ;   in Loop: Header=BB231_291 Depth=1
	s_or_b64 exec, exec, s[20:21]
	v_or_b32_e32 v45, v49, v47
	v_or_b32_e32 v44, v48, v46
	v_or_b32_e32 v1, v51, v1
	v_or_b32_e32 v0, v50, v0
	v_pk_mul_f32 v[44:45], s[18:19], v[44:45]
	v_pk_mul_f32 v[46:47], s[18:19], v[0:1]
	s_and_saveexec_b64 s[20:21], vcc
; %bb.421:                              ;   in Loop: Header=BB231_291 Depth=1
	v_cmp_gt_i32_e64 s[0:1], s33, v83
	v_cndmask_b32_e64 v44, 0, v44, s[0:1]
	v_cmp_gt_i32_e64 s[0:1], s33, v86
	v_cndmask_b32_e64 v45, 0, v45, s[0:1]
	;; [unrolled: 2-line block ×4, first 2 shown]
; %bb.422:                              ;   in Loop: Header=BB231_291 Depth=1
	s_or_b64 exec, exec, s[20:21]
	global_load_dword v48, v[28:29], off offset:1280
	v_pk_mov_b32 v[52:53], 0, 0
	v_pk_mov_b32 v[50:51], v[52:53], v[52:53] op_sel:[0,1]
	s_waitcnt vmcnt(0)
	v_cmp_ne_u16_sdwa s[0:1], v48, v20 src0_sel:BYTE_0 src1_sel:DWORD
	s_and_saveexec_b64 s[20:21], s[0:1]
	s_cbranch_execz .LBB231_428
; %bb.423:                              ;   in Loop: Header=BB231_291 Depth=1
	v_bfrev_b32_e32 v50, 1
	v_cmp_ne_u16_sdwa s[0:1], v48, s34 src0_sel:BYTE_0 src1_sel:DWORD
	v_mov_b32_e32 v51, 0
	s_and_saveexec_b64 s[22:23], s[0:1]
	s_cbranch_execz .LBB231_427
; %bb.424:                              ;   in Loop: Header=BB231_291 Depth=1
	v_and_b32_e32 v0, 0x7f, v48
	v_mov_b32_e32 v50, 0x7f800001
	v_cmp_ne_u32_e64 s[0:1], s36, v0
	v_mov_b32_e32 v51, 0
	s_and_saveexec_b64 s[24:25], s[0:1]
	s_cbranch_execz .LBB231_426
; %bb.425:                              ;   in Loop: Header=BB231_291 Depth=1
	v_and_b32_e32 v1, 7, v48
	v_ffbh_u32_e32 v22, v1
	v_min_u32_e32 v22, 32, v22
	v_subrev_u32_e32 v49, 28, v22
	v_lshlrev_b64 v[50:51], v49, v[48:49]
	v_lshrrev_b32_e32 v21, 3, v0
	v_sub_u32_e32 v22, 29, v22
	v_and_b32_e32 v49, 7, v50
	v_cmp_gt_u32_e64 s[0:1], 8, v0
	v_cndmask_b32_e64 v0, v21, v22, s[0:1]
	v_cndmask_b32_e64 v1, v1, v49, s[0:1]
	v_lshlrev_b32_e32 v1, 20, v1
	v_and_b32_sdwa v21, sext(v48), s7 dst_sel:DWORD dst_unused:UNUSED_PAD src0_sel:BYTE_0 src1_sel:DWORD
	v_lshl_add_u32 v0, v0, 23, v80
	v_or3_b32 v22, v21, v0, v1
	v_pk_mov_b32 v[50:51], v[22:23], v[22:23] op_sel:[0,1]
.LBB231_426:                            ;   in Loop: Header=BB231_291 Depth=1
	s_or_b64 exec, exec, s[24:25]
.LBB231_427:                            ;   in Loop: Header=BB231_291 Depth=1
	s_or_b64 exec, exec, s[22:23]
.LBB231_428:                            ;   in Loop: Header=BB231_291 Depth=1
	s_or_b64 exec, exec, s[20:21]
	v_cmp_ne_u16_sdwa s[0:1], v48, v20 src0_sel:BYTE_1 src1_sel:DWORD
	s_and_saveexec_b64 s[20:21], s[0:1]
	s_cbranch_execz .LBB231_434
; %bb.429:                              ;   in Loop: Header=BB231_291 Depth=1
	v_cmp_ne_u16_sdwa s[0:1], v48, s34 src0_sel:BYTE_1 src1_sel:DWORD
	v_pk_mov_b32 v[52:53], s[6:7], s[6:7] op_sel:[0,1]
	s_and_saveexec_b64 s[22:23], s[0:1]
	s_cbranch_execz .LBB231_433
; %bb.430:                              ;   in Loop: Header=BB231_291 Depth=1
	v_and_b32_sdwa v0, v48, s36 dst_sel:DWORD dst_unused:UNUSED_PAD src0_sel:BYTE_1 src1_sel:DWORD
	s_mov_b32 s12, s6
	v_cmp_ne_u32_e64 s[0:1], s36, v0
	v_pk_mov_b32 v[52:53], s[12:13], s[12:13] op_sel:[0,1]
	s_and_saveexec_b64 s[24:25], s[0:1]
	s_cbranch_execz .LBB231_432
; %bb.431:                              ;   in Loop: Header=BB231_291 Depth=1
	v_and_b32_sdwa v22, v48, v81 dst_sel:DWORD dst_unused:UNUSED_PAD src0_sel:BYTE_1 src1_sel:DWORD
	v_ffbh_u32_e32 v21, v22
	v_min_u32_e32 v21, 32, v21
	v_subrev_u32_e32 v49, 28, v21
	v_lshrrev_b32_e32 v1, 3, v0
	v_lshlrev_b64 v[52:53], v49, v[22:23]
	v_sub_u32_e32 v21, 29, v21
	v_cmp_gt_u32_e64 s[0:1], 8, v0
	v_and_b32_e32 v49, 7, v52
	v_cndmask_b32_e64 v0, v1, v21, s[0:1]
	v_cndmask_b32_e64 v1, v22, v49, s[0:1]
	v_lshlrev_b32_e32 v21, 16, v48
	v_lshl_add_u32 v0, v0, 23, v80
	v_and_or_b32 v0, v21, s7, v0
	v_lshlrev_b32_e32 v1, 20, v1
	v_or_b32_e32 v21, v0, v1
	v_pk_mov_b32 v[52:53], v[20:21], v[20:21] op_sel:[0,1]
.LBB231_432:                            ;   in Loop: Header=BB231_291 Depth=1
	s_or_b64 exec, exec, s[24:25]
.LBB231_433:                            ;   in Loop: Header=BB231_291 Depth=1
	s_or_b64 exec, exec, s[22:23]
.LBB231_434:                            ;   in Loop: Header=BB231_291 Depth=1
	s_or_b64 exec, exec, s[20:21]
	v_lshrrev_b32_e32 v22, 16, v48
	v_pk_mov_b32 v[54:55], 0, 0
	v_cmp_ne_u16_sdwa s[0:1], v22, v20 src0_sel:BYTE_0 src1_sel:DWORD
	v_pk_mov_b32 v[0:1], v[54:55], v[54:55] op_sel:[0,1]
	s_and_saveexec_b64 s[20:21], s[0:1]
	s_cbranch_execz .LBB231_440
; %bb.435:                              ;   in Loop: Header=BB231_291 Depth=1
	v_bfrev_b32_e32 v0, 1
	v_cmp_ne_u16_sdwa s[0:1], v22, s34 src0_sel:BYTE_0 src1_sel:DWORD
	v_mov_b32_e32 v1, 0
	s_and_saveexec_b64 s[22:23], s[0:1]
	s_cbranch_execz .LBB231_439
; %bb.436:                              ;   in Loop: Header=BB231_291 Depth=1
	v_bfe_u32 v21, v48, 16, 7
	v_mov_b32_e32 v0, 0x7f800001
	v_cmp_ne_u32_e64 s[0:1], s36, v21
	v_mov_b32_e32 v1, 0
	s_and_saveexec_b64 s[24:25], s[0:1]
	s_cbranch_execz .LBB231_438
; %bb.437:                              ;   in Loop: Header=BB231_291 Depth=1
	v_and_b32_e32 v49, 7, v22
	v_ffbh_u32_e32 v0, v49
	v_min_u32_e32 v57, 32, v0
	v_subrev_u32_e32 v0, 28, v57
	v_lshlrev_b64 v[0:1], v0, v[22:23]
	v_lshrrev_b32_e32 v56, 3, v21
	v_sub_u32_e32 v1, 29, v57
	v_and_b32_e32 v0, 7, v0
	v_cmp_gt_u32_e64 s[0:1], 8, v21
	v_cndmask_b32_e64 v1, v56, v1, s[0:1]
	v_cndmask_b32_e64 v0, v49, v0, s[0:1]
	v_lshlrev_b32_e32 v0, 20, v0
	v_and_b32_sdwa v21, sext(v22), s7 dst_sel:DWORD dst_unused:UNUSED_PAD src0_sel:BYTE_0 src1_sel:DWORD
	v_lshl_add_u32 v1, v1, 23, v80
	v_or3_b32 v22, v21, v1, v0
	v_pk_mov_b32 v[0:1], v[22:23], v[22:23] op_sel:[0,1]
.LBB231_438:                            ;   in Loop: Header=BB231_291 Depth=1
	s_or_b64 exec, exec, s[24:25]
.LBB231_439:                            ;   in Loop: Header=BB231_291 Depth=1
	s_or_b64 exec, exec, s[22:23]
.LBB231_440:                            ;   in Loop: Header=BB231_291 Depth=1
	s_or_b64 exec, exec, s[20:21]
	v_cmp_lt_u32_e64 s[0:1], s37, v48
	s_and_saveexec_b64 s[20:21], s[0:1]
	s_cbranch_execz .LBB231_446
; %bb.441:                              ;   in Loop: Header=BB231_291 Depth=1
	v_cmp_ne_u32_sdwa s[0:1], v48, s34 src0_sel:BYTE_3 src1_sel:DWORD
	v_pk_mov_b32 v[54:55], s[6:7], s[6:7] op_sel:[0,1]
	s_and_saveexec_b64 s[22:23], s[0:1]
	s_cbranch_execz .LBB231_445
; %bb.442:                              ;   in Loop: Header=BB231_291 Depth=1
	v_bfe_u32 v21, v48, 24, 7
	s_mov_b32 s12, s6
	v_cmp_ne_u32_e64 s[0:1], s36, v21
	v_pk_mov_b32 v[54:55], s[12:13], s[12:13] op_sel:[0,1]
	s_and_saveexec_b64 s[24:25], s[0:1]
	s_cbranch_execz .LBB231_444
; %bb.443:                              ;   in Loop: Header=BB231_291 Depth=1
	v_and_b32_sdwa v22, v48, v81 dst_sel:DWORD dst_unused:UNUSED_PAD src0_sel:BYTE_3 src1_sel:DWORD
	v_ffbh_u32_e32 v54, v22
	v_min_u32_e32 v56, 32, v54
	v_subrev_u32_e32 v54, 28, v56
	v_lshlrev_b64 v[54:55], v54, v[22:23]
	v_lshrrev_b32_e32 v49, 3, v21
	v_sub_u32_e32 v55, 29, v56
	v_cmp_gt_u32_e64 s[0:1], 8, v21
	v_and_b32_e32 v54, 7, v54
	v_cndmask_b32_e64 v21, v49, v55, s[0:1]
	v_cndmask_b32_e64 v22, v22, v54, s[0:1]
	v_lshlrev_b32_sdwa v48, v82, v48 dst_sel:DWORD dst_unused:UNUSED_PAD src0_sel:DWORD src1_sel:BYTE_3
	v_lshl_add_u32 v21, v21, 23, v80
	v_and_or_b32 v21, v48, s7, v21
	v_lshlrev_b32_e32 v22, 20, v22
	v_or_b32_e32 v21, v21, v22
	v_pk_mov_b32 v[54:55], v[20:21], v[20:21] op_sel:[0,1]
.LBB231_444:                            ;   in Loop: Header=BB231_291 Depth=1
	s_or_b64 exec, exec, s[24:25]
.LBB231_445:                            ;   in Loop: Header=BB231_291 Depth=1
	s_or_b64 exec, exec, s[22:23]
.LBB231_446:                            ;   in Loop: Header=BB231_291 Depth=1
	s_or_b64 exec, exec, s[20:21]
	v_or_b32_e32 v49, v53, v51
	v_or_b32_e32 v48, v52, v50
	;; [unrolled: 1-line block ×4, first 2 shown]
	v_pk_mul_f32 v[48:49], s[18:19], v[48:49]
	v_pk_mul_f32 v[50:51], s[18:19], v[0:1]
	s_and_saveexec_b64 s[20:21], vcc
; %bb.447:                              ;   in Loop: Header=BB231_291 Depth=1
	v_cmp_gt_i32_e64 s[0:1], s33, v83
	v_cndmask_b32_e64 v48, 0, v48, s[0:1]
	v_cmp_gt_i32_e64 s[0:1], s33, v86
	v_cndmask_b32_e64 v49, 0, v49, s[0:1]
	;; [unrolled: 2-line block ×4, first 2 shown]
; %bb.448:                              ;   in Loop: Header=BB231_291 Depth=1
	s_or_b64 exec, exec, s[20:21]
	global_load_dword v52, v[28:29], off offset:1536
	v_pk_mov_b32 v[56:57], 0, 0
	v_pk_mov_b32 v[54:55], v[56:57], v[56:57] op_sel:[0,1]
	s_waitcnt vmcnt(0)
	v_cmp_ne_u16_sdwa s[0:1], v52, v20 src0_sel:BYTE_0 src1_sel:DWORD
	s_and_saveexec_b64 s[20:21], s[0:1]
	s_cbranch_execz .LBB231_454
; %bb.449:                              ;   in Loop: Header=BB231_291 Depth=1
	v_bfrev_b32_e32 v54, 1
	v_cmp_ne_u16_sdwa s[0:1], v52, s34 src0_sel:BYTE_0 src1_sel:DWORD
	v_mov_b32_e32 v55, 0
	s_and_saveexec_b64 s[22:23], s[0:1]
	s_cbranch_execz .LBB231_453
; %bb.450:                              ;   in Loop: Header=BB231_291 Depth=1
	v_and_b32_e32 v0, 0x7f, v52
	v_mov_b32_e32 v54, 0x7f800001
	v_cmp_ne_u32_e64 s[0:1], s36, v0
	v_mov_b32_e32 v55, 0
	s_and_saveexec_b64 s[24:25], s[0:1]
	s_cbranch_execz .LBB231_452
; %bb.451:                              ;   in Loop: Header=BB231_291 Depth=1
	v_and_b32_e32 v1, 7, v52
	v_ffbh_u32_e32 v22, v1
	v_min_u32_e32 v22, 32, v22
	v_subrev_u32_e32 v53, 28, v22
	v_lshlrev_b64 v[54:55], v53, v[52:53]
	v_lshrrev_b32_e32 v21, 3, v0
	v_sub_u32_e32 v22, 29, v22
	v_and_b32_e32 v53, 7, v54
	v_cmp_gt_u32_e64 s[0:1], 8, v0
	v_cndmask_b32_e64 v0, v21, v22, s[0:1]
	v_cndmask_b32_e64 v1, v1, v53, s[0:1]
	v_lshlrev_b32_e32 v1, 20, v1
	v_and_b32_sdwa v21, sext(v52), s7 dst_sel:DWORD dst_unused:UNUSED_PAD src0_sel:BYTE_0 src1_sel:DWORD
	v_lshl_add_u32 v0, v0, 23, v80
	v_or3_b32 v22, v21, v0, v1
	v_pk_mov_b32 v[54:55], v[22:23], v[22:23] op_sel:[0,1]
.LBB231_452:                            ;   in Loop: Header=BB231_291 Depth=1
	s_or_b64 exec, exec, s[24:25]
.LBB231_453:                            ;   in Loop: Header=BB231_291 Depth=1
	s_or_b64 exec, exec, s[22:23]
.LBB231_454:                            ;   in Loop: Header=BB231_291 Depth=1
	s_or_b64 exec, exec, s[20:21]
	v_cmp_ne_u16_sdwa s[0:1], v52, v20 src0_sel:BYTE_1 src1_sel:DWORD
	s_and_saveexec_b64 s[20:21], s[0:1]
	s_cbranch_execz .LBB231_460
; %bb.455:                              ;   in Loop: Header=BB231_291 Depth=1
	v_cmp_ne_u16_sdwa s[0:1], v52, s34 src0_sel:BYTE_1 src1_sel:DWORD
	v_pk_mov_b32 v[56:57], s[6:7], s[6:7] op_sel:[0,1]
	s_and_saveexec_b64 s[22:23], s[0:1]
	s_cbranch_execz .LBB231_459
; %bb.456:                              ;   in Loop: Header=BB231_291 Depth=1
	v_and_b32_sdwa v0, v52, s36 dst_sel:DWORD dst_unused:UNUSED_PAD src0_sel:BYTE_1 src1_sel:DWORD
	s_mov_b32 s12, s6
	v_cmp_ne_u32_e64 s[0:1], s36, v0
	v_pk_mov_b32 v[56:57], s[12:13], s[12:13] op_sel:[0,1]
	s_and_saveexec_b64 s[24:25], s[0:1]
	s_cbranch_execz .LBB231_458
; %bb.457:                              ;   in Loop: Header=BB231_291 Depth=1
	v_and_b32_sdwa v22, v52, v81 dst_sel:DWORD dst_unused:UNUSED_PAD src0_sel:BYTE_1 src1_sel:DWORD
	v_ffbh_u32_e32 v21, v22
	v_min_u32_e32 v21, 32, v21
	v_subrev_u32_e32 v53, 28, v21
	v_lshrrev_b32_e32 v1, 3, v0
	v_lshlrev_b64 v[56:57], v53, v[22:23]
	v_sub_u32_e32 v21, 29, v21
	v_cmp_gt_u32_e64 s[0:1], 8, v0
	v_and_b32_e32 v53, 7, v56
	v_cndmask_b32_e64 v0, v1, v21, s[0:1]
	v_cndmask_b32_e64 v1, v22, v53, s[0:1]
	v_lshlrev_b32_e32 v21, 16, v52
	v_lshl_add_u32 v0, v0, 23, v80
	v_and_or_b32 v0, v21, s7, v0
	v_lshlrev_b32_e32 v1, 20, v1
	v_or_b32_e32 v21, v0, v1
	v_pk_mov_b32 v[56:57], v[20:21], v[20:21] op_sel:[0,1]
.LBB231_458:                            ;   in Loop: Header=BB231_291 Depth=1
	s_or_b64 exec, exec, s[24:25]
.LBB231_459:                            ;   in Loop: Header=BB231_291 Depth=1
	s_or_b64 exec, exec, s[22:23]
.LBB231_460:                            ;   in Loop: Header=BB231_291 Depth=1
	s_or_b64 exec, exec, s[20:21]
	v_lshrrev_b32_e32 v22, 16, v52
	v_pk_mov_b32 v[58:59], 0, 0
	v_cmp_ne_u16_sdwa s[0:1], v22, v20 src0_sel:BYTE_0 src1_sel:DWORD
	v_pk_mov_b32 v[0:1], v[58:59], v[58:59] op_sel:[0,1]
	s_and_saveexec_b64 s[20:21], s[0:1]
	s_cbranch_execz .LBB231_466
; %bb.461:                              ;   in Loop: Header=BB231_291 Depth=1
	v_bfrev_b32_e32 v0, 1
	v_cmp_ne_u16_sdwa s[0:1], v22, s34 src0_sel:BYTE_0 src1_sel:DWORD
	v_mov_b32_e32 v1, 0
	s_and_saveexec_b64 s[22:23], s[0:1]
	s_cbranch_execz .LBB231_465
; %bb.462:                              ;   in Loop: Header=BB231_291 Depth=1
	v_bfe_u32 v21, v52, 16, 7
	v_mov_b32_e32 v0, 0x7f800001
	v_cmp_ne_u32_e64 s[0:1], s36, v21
	v_mov_b32_e32 v1, 0
	s_and_saveexec_b64 s[24:25], s[0:1]
	s_cbranch_execz .LBB231_464
; %bb.463:                              ;   in Loop: Header=BB231_291 Depth=1
	v_and_b32_e32 v53, 7, v22
	v_ffbh_u32_e32 v0, v53
	v_min_u32_e32 v61, 32, v0
	v_subrev_u32_e32 v0, 28, v61
	v_lshlrev_b64 v[0:1], v0, v[22:23]
	v_lshrrev_b32_e32 v60, 3, v21
	v_sub_u32_e32 v1, 29, v61
	v_and_b32_e32 v0, 7, v0
	v_cmp_gt_u32_e64 s[0:1], 8, v21
	v_cndmask_b32_e64 v1, v60, v1, s[0:1]
	v_cndmask_b32_e64 v0, v53, v0, s[0:1]
	v_lshlrev_b32_e32 v0, 20, v0
	v_and_b32_sdwa v21, sext(v22), s7 dst_sel:DWORD dst_unused:UNUSED_PAD src0_sel:BYTE_0 src1_sel:DWORD
	v_lshl_add_u32 v1, v1, 23, v80
	v_or3_b32 v22, v21, v1, v0
	v_pk_mov_b32 v[0:1], v[22:23], v[22:23] op_sel:[0,1]
.LBB231_464:                            ;   in Loop: Header=BB231_291 Depth=1
	s_or_b64 exec, exec, s[24:25]
.LBB231_465:                            ;   in Loop: Header=BB231_291 Depth=1
	s_or_b64 exec, exec, s[22:23]
.LBB231_466:                            ;   in Loop: Header=BB231_291 Depth=1
	s_or_b64 exec, exec, s[20:21]
	v_cmp_lt_u32_e64 s[0:1], s37, v52
	s_and_saveexec_b64 s[20:21], s[0:1]
	s_cbranch_execz .LBB231_472
; %bb.467:                              ;   in Loop: Header=BB231_291 Depth=1
	v_cmp_ne_u32_sdwa s[0:1], v52, s34 src0_sel:BYTE_3 src1_sel:DWORD
	v_pk_mov_b32 v[58:59], s[6:7], s[6:7] op_sel:[0,1]
	s_and_saveexec_b64 s[22:23], s[0:1]
	s_cbranch_execz .LBB231_471
; %bb.468:                              ;   in Loop: Header=BB231_291 Depth=1
	v_bfe_u32 v21, v52, 24, 7
	s_mov_b32 s12, s6
	v_cmp_ne_u32_e64 s[0:1], s36, v21
	v_pk_mov_b32 v[58:59], s[12:13], s[12:13] op_sel:[0,1]
	s_and_saveexec_b64 s[24:25], s[0:1]
	s_cbranch_execz .LBB231_470
; %bb.469:                              ;   in Loop: Header=BB231_291 Depth=1
	v_and_b32_sdwa v22, v52, v81 dst_sel:DWORD dst_unused:UNUSED_PAD src0_sel:BYTE_3 src1_sel:DWORD
	v_ffbh_u32_e32 v58, v22
	v_min_u32_e32 v60, 32, v58
	v_subrev_u32_e32 v58, 28, v60
	v_lshlrev_b64 v[58:59], v58, v[22:23]
	v_lshrrev_b32_e32 v53, 3, v21
	v_sub_u32_e32 v59, 29, v60
	v_cmp_gt_u32_e64 s[0:1], 8, v21
	v_and_b32_e32 v58, 7, v58
	v_cndmask_b32_e64 v21, v53, v59, s[0:1]
	v_cndmask_b32_e64 v22, v22, v58, s[0:1]
	v_lshlrev_b32_sdwa v52, v82, v52 dst_sel:DWORD dst_unused:UNUSED_PAD src0_sel:DWORD src1_sel:BYTE_3
	v_lshl_add_u32 v21, v21, 23, v80
	v_and_or_b32 v21, v52, s7, v21
	v_lshlrev_b32_e32 v22, 20, v22
	v_or_b32_e32 v21, v21, v22
	v_pk_mov_b32 v[58:59], v[20:21], v[20:21] op_sel:[0,1]
.LBB231_470:                            ;   in Loop: Header=BB231_291 Depth=1
	s_or_b64 exec, exec, s[24:25]
.LBB231_471:                            ;   in Loop: Header=BB231_291 Depth=1
	s_or_b64 exec, exec, s[22:23]
.LBB231_472:                            ;   in Loop: Header=BB231_291 Depth=1
	s_or_b64 exec, exec, s[20:21]
	v_or_b32_e32 v53, v57, v55
	v_or_b32_e32 v52, v56, v54
	;; [unrolled: 1-line block ×4, first 2 shown]
	v_pk_mul_f32 v[52:53], s[18:19], v[52:53]
	v_pk_mul_f32 v[54:55], s[18:19], v[0:1]
	s_and_saveexec_b64 s[20:21], vcc
; %bb.473:                              ;   in Loop: Header=BB231_291 Depth=1
	v_cmp_gt_i32_e64 s[0:1], s33, v83
	v_cndmask_b32_e64 v52, 0, v52, s[0:1]
	v_cmp_gt_i32_e64 s[0:1], s33, v86
	v_cndmask_b32_e64 v53, 0, v53, s[0:1]
	;; [unrolled: 2-line block ×4, first 2 shown]
; %bb.474:                              ;   in Loop: Header=BB231_291 Depth=1
	s_or_b64 exec, exec, s[20:21]
	global_load_dword v56, v[28:29], off offset:1792
	v_pk_mov_b32 v[60:61], 0, 0
	v_pk_mov_b32 v[58:59], v[60:61], v[60:61] op_sel:[0,1]
	s_waitcnt vmcnt(0)
	v_cmp_ne_u16_sdwa s[0:1], v56, v20 src0_sel:BYTE_0 src1_sel:DWORD
	s_and_saveexec_b64 s[20:21], s[0:1]
	s_cbranch_execz .LBB231_480
; %bb.475:                              ;   in Loop: Header=BB231_291 Depth=1
	v_bfrev_b32_e32 v58, 1
	v_cmp_ne_u16_sdwa s[0:1], v56, s34 src0_sel:BYTE_0 src1_sel:DWORD
	v_mov_b32_e32 v59, 0
	s_and_saveexec_b64 s[22:23], s[0:1]
	s_cbranch_execz .LBB231_479
; %bb.476:                              ;   in Loop: Header=BB231_291 Depth=1
	v_and_b32_e32 v0, 0x7f, v56
	v_mov_b32_e32 v58, 0x7f800001
	v_cmp_ne_u32_e64 s[0:1], s36, v0
	v_mov_b32_e32 v59, 0
	s_and_saveexec_b64 s[24:25], s[0:1]
	s_cbranch_execz .LBB231_478
; %bb.477:                              ;   in Loop: Header=BB231_291 Depth=1
	v_and_b32_e32 v1, 7, v56
	v_ffbh_u32_e32 v22, v1
	v_min_u32_e32 v22, 32, v22
	v_subrev_u32_e32 v57, 28, v22
	v_lshlrev_b64 v[58:59], v57, v[56:57]
	v_lshrrev_b32_e32 v21, 3, v0
	v_sub_u32_e32 v22, 29, v22
	v_and_b32_e32 v57, 7, v58
	v_cmp_gt_u32_e64 s[0:1], 8, v0
	v_cndmask_b32_e64 v0, v21, v22, s[0:1]
	v_cndmask_b32_e64 v1, v1, v57, s[0:1]
	v_lshlrev_b32_e32 v1, 20, v1
	v_and_b32_sdwa v21, sext(v56), s7 dst_sel:DWORD dst_unused:UNUSED_PAD src0_sel:BYTE_0 src1_sel:DWORD
	v_lshl_add_u32 v0, v0, 23, v80
	v_or3_b32 v22, v21, v0, v1
	v_pk_mov_b32 v[58:59], v[22:23], v[22:23] op_sel:[0,1]
.LBB231_478:                            ;   in Loop: Header=BB231_291 Depth=1
	s_or_b64 exec, exec, s[24:25]
.LBB231_479:                            ;   in Loop: Header=BB231_291 Depth=1
	s_or_b64 exec, exec, s[22:23]
.LBB231_480:                            ;   in Loop: Header=BB231_291 Depth=1
	s_or_b64 exec, exec, s[20:21]
	v_cmp_ne_u16_sdwa s[0:1], v56, v20 src0_sel:BYTE_1 src1_sel:DWORD
	s_and_saveexec_b64 s[20:21], s[0:1]
	s_cbranch_execz .LBB231_486
; %bb.481:                              ;   in Loop: Header=BB231_291 Depth=1
	v_cmp_ne_u16_sdwa s[0:1], v56, s34 src0_sel:BYTE_1 src1_sel:DWORD
	v_pk_mov_b32 v[60:61], s[6:7], s[6:7] op_sel:[0,1]
	s_and_saveexec_b64 s[22:23], s[0:1]
	s_cbranch_execz .LBB231_485
; %bb.482:                              ;   in Loop: Header=BB231_291 Depth=1
	v_and_b32_sdwa v0, v56, s36 dst_sel:DWORD dst_unused:UNUSED_PAD src0_sel:BYTE_1 src1_sel:DWORD
	s_mov_b32 s12, s6
	v_cmp_ne_u32_e64 s[0:1], s36, v0
	v_pk_mov_b32 v[60:61], s[12:13], s[12:13] op_sel:[0,1]
	s_and_saveexec_b64 s[24:25], s[0:1]
	s_cbranch_execz .LBB231_484
; %bb.483:                              ;   in Loop: Header=BB231_291 Depth=1
	v_and_b32_sdwa v22, v56, v81 dst_sel:DWORD dst_unused:UNUSED_PAD src0_sel:BYTE_1 src1_sel:DWORD
	v_ffbh_u32_e32 v21, v22
	v_min_u32_e32 v21, 32, v21
	v_subrev_u32_e32 v57, 28, v21
	v_lshrrev_b32_e32 v1, 3, v0
	v_lshlrev_b64 v[60:61], v57, v[22:23]
	v_sub_u32_e32 v21, 29, v21
	v_cmp_gt_u32_e64 s[0:1], 8, v0
	v_and_b32_e32 v57, 7, v60
	v_cndmask_b32_e64 v0, v1, v21, s[0:1]
	v_cndmask_b32_e64 v1, v22, v57, s[0:1]
	v_lshlrev_b32_e32 v21, 16, v56
	v_lshl_add_u32 v0, v0, 23, v80
	v_and_or_b32 v0, v21, s7, v0
	v_lshlrev_b32_e32 v1, 20, v1
	v_or_b32_e32 v21, v0, v1
	v_pk_mov_b32 v[60:61], v[20:21], v[20:21] op_sel:[0,1]
.LBB231_484:                            ;   in Loop: Header=BB231_291 Depth=1
	s_or_b64 exec, exec, s[24:25]
.LBB231_485:                            ;   in Loop: Header=BB231_291 Depth=1
	s_or_b64 exec, exec, s[22:23]
.LBB231_486:                            ;   in Loop: Header=BB231_291 Depth=1
	s_or_b64 exec, exec, s[20:21]
	v_lshrrev_b32_e32 v22, 16, v56
	v_pk_mov_b32 v[62:63], 0, 0
	v_cmp_ne_u16_sdwa s[0:1], v22, v20 src0_sel:BYTE_0 src1_sel:DWORD
	v_pk_mov_b32 v[0:1], v[62:63], v[62:63] op_sel:[0,1]
	s_and_saveexec_b64 s[20:21], s[0:1]
	s_cbranch_execz .LBB231_492
; %bb.487:                              ;   in Loop: Header=BB231_291 Depth=1
	v_bfrev_b32_e32 v0, 1
	v_cmp_ne_u16_sdwa s[0:1], v22, s34 src0_sel:BYTE_0 src1_sel:DWORD
	v_mov_b32_e32 v1, 0
	s_and_saveexec_b64 s[22:23], s[0:1]
	s_cbranch_execz .LBB231_491
; %bb.488:                              ;   in Loop: Header=BB231_291 Depth=1
	v_bfe_u32 v21, v56, 16, 7
	v_mov_b32_e32 v0, 0x7f800001
	v_cmp_ne_u32_e64 s[0:1], s36, v21
	v_mov_b32_e32 v1, 0
	s_and_saveexec_b64 s[24:25], s[0:1]
	s_cbranch_execz .LBB231_490
; %bb.489:                              ;   in Loop: Header=BB231_291 Depth=1
	v_and_b32_e32 v57, 7, v22
	v_ffbh_u32_e32 v0, v57
	v_min_u32_e32 v65, 32, v0
	v_subrev_u32_e32 v0, 28, v65
	v_lshlrev_b64 v[0:1], v0, v[22:23]
	v_lshrrev_b32_e32 v64, 3, v21
	v_sub_u32_e32 v1, 29, v65
	v_and_b32_e32 v0, 7, v0
	v_cmp_gt_u32_e64 s[0:1], 8, v21
	v_cndmask_b32_e64 v1, v64, v1, s[0:1]
	v_cndmask_b32_e64 v0, v57, v0, s[0:1]
	v_lshlrev_b32_e32 v0, 20, v0
	v_and_b32_sdwa v21, sext(v22), s7 dst_sel:DWORD dst_unused:UNUSED_PAD src0_sel:BYTE_0 src1_sel:DWORD
	v_lshl_add_u32 v1, v1, 23, v80
	v_or3_b32 v22, v21, v1, v0
	v_pk_mov_b32 v[0:1], v[22:23], v[22:23] op_sel:[0,1]
.LBB231_490:                            ;   in Loop: Header=BB231_291 Depth=1
	s_or_b64 exec, exec, s[24:25]
.LBB231_491:                            ;   in Loop: Header=BB231_291 Depth=1
	s_or_b64 exec, exec, s[22:23]
.LBB231_492:                            ;   in Loop: Header=BB231_291 Depth=1
	s_or_b64 exec, exec, s[20:21]
	v_cmp_lt_u32_e64 s[0:1], s37, v56
	s_and_saveexec_b64 s[20:21], s[0:1]
	s_cbranch_execz .LBB231_498
; %bb.493:                              ;   in Loop: Header=BB231_291 Depth=1
	v_cmp_ne_u32_sdwa s[0:1], v56, s34 src0_sel:BYTE_3 src1_sel:DWORD
	v_pk_mov_b32 v[62:63], s[6:7], s[6:7] op_sel:[0,1]
	s_and_saveexec_b64 s[22:23], s[0:1]
	s_cbranch_execz .LBB231_497
; %bb.494:                              ;   in Loop: Header=BB231_291 Depth=1
	v_bfe_u32 v21, v56, 24, 7
	s_mov_b32 s12, s6
	v_cmp_ne_u32_e64 s[0:1], s36, v21
	v_pk_mov_b32 v[62:63], s[12:13], s[12:13] op_sel:[0,1]
	s_and_saveexec_b64 s[24:25], s[0:1]
	s_cbranch_execz .LBB231_496
; %bb.495:                              ;   in Loop: Header=BB231_291 Depth=1
	v_and_b32_sdwa v22, v56, v81 dst_sel:DWORD dst_unused:UNUSED_PAD src0_sel:BYTE_3 src1_sel:DWORD
	v_ffbh_u32_e32 v62, v22
	v_min_u32_e32 v64, 32, v62
	v_subrev_u32_e32 v62, 28, v64
	v_lshlrev_b64 v[62:63], v62, v[22:23]
	v_lshrrev_b32_e32 v57, 3, v21
	v_sub_u32_e32 v63, 29, v64
	v_cmp_gt_u32_e64 s[0:1], 8, v21
	v_and_b32_e32 v62, 7, v62
	v_cndmask_b32_e64 v21, v57, v63, s[0:1]
	v_cndmask_b32_e64 v22, v22, v62, s[0:1]
	v_lshlrev_b32_sdwa v56, v82, v56 dst_sel:DWORD dst_unused:UNUSED_PAD src0_sel:DWORD src1_sel:BYTE_3
	v_lshl_add_u32 v21, v21, 23, v80
	v_and_or_b32 v21, v56, s7, v21
	v_lshlrev_b32_e32 v22, 20, v22
	v_or_b32_e32 v21, v21, v22
	v_pk_mov_b32 v[62:63], v[20:21], v[20:21] op_sel:[0,1]
.LBB231_496:                            ;   in Loop: Header=BB231_291 Depth=1
	s_or_b64 exec, exec, s[24:25]
.LBB231_497:                            ;   in Loop: Header=BB231_291 Depth=1
	s_or_b64 exec, exec, s[22:23]
.LBB231_498:                            ;   in Loop: Header=BB231_291 Depth=1
	s_or_b64 exec, exec, s[20:21]
	v_or_b32_e32 v57, v61, v59
	v_or_b32_e32 v56, v60, v58
	;; [unrolled: 1-line block ×4, first 2 shown]
	v_pk_mul_f32 v[56:57], s[18:19], v[56:57]
	v_pk_mul_f32 v[58:59], s[18:19], v[0:1]
	s_and_saveexec_b64 s[20:21], vcc
; %bb.499:                              ;   in Loop: Header=BB231_291 Depth=1
	v_cmp_gt_i32_e64 s[0:1], s33, v83
	v_cndmask_b32_e64 v56, 0, v56, s[0:1]
	v_cmp_gt_i32_e64 s[0:1], s33, v86
	v_cndmask_b32_e64 v57, 0, v57, s[0:1]
	;; [unrolled: 2-line block ×4, first 2 shown]
; %bb.500:                              ;   in Loop: Header=BB231_291 Depth=1
	s_or_b64 exec, exec, s[20:21]
	global_load_dword v60, v[28:29], off offset:2048
	v_pk_mov_b32 v[64:65], 0, 0
	v_pk_mov_b32 v[62:63], v[64:65], v[64:65] op_sel:[0,1]
	s_waitcnt vmcnt(0)
	v_cmp_ne_u16_sdwa s[0:1], v60, v20 src0_sel:BYTE_0 src1_sel:DWORD
	s_and_saveexec_b64 s[20:21], s[0:1]
	s_cbranch_execz .LBB231_506
; %bb.501:                              ;   in Loop: Header=BB231_291 Depth=1
	v_bfrev_b32_e32 v62, 1
	v_cmp_ne_u16_sdwa s[0:1], v60, s34 src0_sel:BYTE_0 src1_sel:DWORD
	v_mov_b32_e32 v63, 0
	s_and_saveexec_b64 s[22:23], s[0:1]
	s_cbranch_execz .LBB231_505
; %bb.502:                              ;   in Loop: Header=BB231_291 Depth=1
	v_and_b32_e32 v0, 0x7f, v60
	v_mov_b32_e32 v62, 0x7f800001
	v_cmp_ne_u32_e64 s[0:1], s36, v0
	v_mov_b32_e32 v63, 0
	s_and_saveexec_b64 s[24:25], s[0:1]
	s_cbranch_execz .LBB231_504
; %bb.503:                              ;   in Loop: Header=BB231_291 Depth=1
	v_and_b32_e32 v1, 7, v60
	v_ffbh_u32_e32 v22, v1
	v_min_u32_e32 v22, 32, v22
	v_subrev_u32_e32 v61, 28, v22
	v_lshlrev_b64 v[62:63], v61, v[60:61]
	v_lshrrev_b32_e32 v21, 3, v0
	v_sub_u32_e32 v22, 29, v22
	v_and_b32_e32 v61, 7, v62
	v_cmp_gt_u32_e64 s[0:1], 8, v0
	v_cndmask_b32_e64 v0, v21, v22, s[0:1]
	v_cndmask_b32_e64 v1, v1, v61, s[0:1]
	v_lshlrev_b32_e32 v1, 20, v1
	v_and_b32_sdwa v21, sext(v60), s7 dst_sel:DWORD dst_unused:UNUSED_PAD src0_sel:BYTE_0 src1_sel:DWORD
	v_lshl_add_u32 v0, v0, 23, v80
	v_or3_b32 v22, v21, v0, v1
	v_pk_mov_b32 v[62:63], v[22:23], v[22:23] op_sel:[0,1]
.LBB231_504:                            ;   in Loop: Header=BB231_291 Depth=1
	s_or_b64 exec, exec, s[24:25]
.LBB231_505:                            ;   in Loop: Header=BB231_291 Depth=1
	s_or_b64 exec, exec, s[22:23]
.LBB231_506:                            ;   in Loop: Header=BB231_291 Depth=1
	s_or_b64 exec, exec, s[20:21]
	v_cmp_ne_u16_sdwa s[0:1], v60, v20 src0_sel:BYTE_1 src1_sel:DWORD
	s_and_saveexec_b64 s[20:21], s[0:1]
	s_cbranch_execz .LBB231_512
; %bb.507:                              ;   in Loop: Header=BB231_291 Depth=1
	v_cmp_ne_u16_sdwa s[0:1], v60, s34 src0_sel:BYTE_1 src1_sel:DWORD
	v_pk_mov_b32 v[64:65], s[6:7], s[6:7] op_sel:[0,1]
	s_and_saveexec_b64 s[22:23], s[0:1]
	s_cbranch_execz .LBB231_511
; %bb.508:                              ;   in Loop: Header=BB231_291 Depth=1
	v_and_b32_sdwa v0, v60, s36 dst_sel:DWORD dst_unused:UNUSED_PAD src0_sel:BYTE_1 src1_sel:DWORD
	s_mov_b32 s12, s6
	v_cmp_ne_u32_e64 s[0:1], s36, v0
	v_pk_mov_b32 v[64:65], s[12:13], s[12:13] op_sel:[0,1]
	s_and_saveexec_b64 s[24:25], s[0:1]
	s_cbranch_execz .LBB231_510
; %bb.509:                              ;   in Loop: Header=BB231_291 Depth=1
	v_and_b32_sdwa v22, v60, v81 dst_sel:DWORD dst_unused:UNUSED_PAD src0_sel:BYTE_1 src1_sel:DWORD
	v_ffbh_u32_e32 v21, v22
	v_min_u32_e32 v21, 32, v21
	v_subrev_u32_e32 v61, 28, v21
	v_lshrrev_b32_e32 v1, 3, v0
	v_lshlrev_b64 v[64:65], v61, v[22:23]
	v_sub_u32_e32 v21, 29, v21
	v_cmp_gt_u32_e64 s[0:1], 8, v0
	v_and_b32_e32 v61, 7, v64
	v_cndmask_b32_e64 v0, v1, v21, s[0:1]
	v_cndmask_b32_e64 v1, v22, v61, s[0:1]
	v_lshlrev_b32_e32 v21, 16, v60
	v_lshl_add_u32 v0, v0, 23, v80
	v_and_or_b32 v0, v21, s7, v0
	v_lshlrev_b32_e32 v1, 20, v1
	v_or_b32_e32 v21, v0, v1
	v_pk_mov_b32 v[64:65], v[20:21], v[20:21] op_sel:[0,1]
.LBB231_510:                            ;   in Loop: Header=BB231_291 Depth=1
	s_or_b64 exec, exec, s[24:25]
.LBB231_511:                            ;   in Loop: Header=BB231_291 Depth=1
	s_or_b64 exec, exec, s[22:23]
.LBB231_512:                            ;   in Loop: Header=BB231_291 Depth=1
	s_or_b64 exec, exec, s[20:21]
	v_lshrrev_b32_e32 v22, 16, v60
	v_pk_mov_b32 v[66:67], 0, 0
	v_cmp_ne_u16_sdwa s[0:1], v22, v20 src0_sel:BYTE_0 src1_sel:DWORD
	v_pk_mov_b32 v[0:1], v[66:67], v[66:67] op_sel:[0,1]
	s_and_saveexec_b64 s[20:21], s[0:1]
	s_cbranch_execz .LBB231_518
; %bb.513:                              ;   in Loop: Header=BB231_291 Depth=1
	v_bfrev_b32_e32 v0, 1
	v_cmp_ne_u16_sdwa s[0:1], v22, s34 src0_sel:BYTE_0 src1_sel:DWORD
	v_mov_b32_e32 v1, 0
	s_and_saveexec_b64 s[22:23], s[0:1]
	s_cbranch_execz .LBB231_517
; %bb.514:                              ;   in Loop: Header=BB231_291 Depth=1
	v_bfe_u32 v21, v60, 16, 7
	v_mov_b32_e32 v0, 0x7f800001
	v_cmp_ne_u32_e64 s[0:1], s36, v21
	v_mov_b32_e32 v1, 0
	s_and_saveexec_b64 s[24:25], s[0:1]
	s_cbranch_execz .LBB231_516
; %bb.515:                              ;   in Loop: Header=BB231_291 Depth=1
	v_and_b32_e32 v61, 7, v22
	v_ffbh_u32_e32 v0, v61
	v_min_u32_e32 v69, 32, v0
	v_subrev_u32_e32 v0, 28, v69
	v_lshlrev_b64 v[0:1], v0, v[22:23]
	v_lshrrev_b32_e32 v68, 3, v21
	v_sub_u32_e32 v1, 29, v69
	v_and_b32_e32 v0, 7, v0
	v_cmp_gt_u32_e64 s[0:1], 8, v21
	v_cndmask_b32_e64 v1, v68, v1, s[0:1]
	v_cndmask_b32_e64 v0, v61, v0, s[0:1]
	v_lshlrev_b32_e32 v0, 20, v0
	v_and_b32_sdwa v21, sext(v22), s7 dst_sel:DWORD dst_unused:UNUSED_PAD src0_sel:BYTE_0 src1_sel:DWORD
	v_lshl_add_u32 v1, v1, 23, v80
	v_or3_b32 v22, v21, v1, v0
	v_pk_mov_b32 v[0:1], v[22:23], v[22:23] op_sel:[0,1]
.LBB231_516:                            ;   in Loop: Header=BB231_291 Depth=1
	s_or_b64 exec, exec, s[24:25]
.LBB231_517:                            ;   in Loop: Header=BB231_291 Depth=1
	s_or_b64 exec, exec, s[22:23]
.LBB231_518:                            ;   in Loop: Header=BB231_291 Depth=1
	s_or_b64 exec, exec, s[20:21]
	v_cmp_lt_u32_e64 s[0:1], s37, v60
	s_and_saveexec_b64 s[20:21], s[0:1]
	s_cbranch_execz .LBB231_524
; %bb.519:                              ;   in Loop: Header=BB231_291 Depth=1
	v_cmp_ne_u32_sdwa s[0:1], v60, s34 src0_sel:BYTE_3 src1_sel:DWORD
	v_pk_mov_b32 v[66:67], s[6:7], s[6:7] op_sel:[0,1]
	s_and_saveexec_b64 s[22:23], s[0:1]
	s_cbranch_execz .LBB231_523
; %bb.520:                              ;   in Loop: Header=BB231_291 Depth=1
	v_bfe_u32 v21, v60, 24, 7
	s_mov_b32 s12, s6
	v_cmp_ne_u32_e64 s[0:1], s36, v21
	v_pk_mov_b32 v[66:67], s[12:13], s[12:13] op_sel:[0,1]
	s_and_saveexec_b64 s[24:25], s[0:1]
	s_cbranch_execz .LBB231_522
; %bb.521:                              ;   in Loop: Header=BB231_291 Depth=1
	v_and_b32_sdwa v22, v60, v81 dst_sel:DWORD dst_unused:UNUSED_PAD src0_sel:BYTE_3 src1_sel:DWORD
	v_ffbh_u32_e32 v66, v22
	v_min_u32_e32 v68, 32, v66
	v_subrev_u32_e32 v66, 28, v68
	v_lshlrev_b64 v[66:67], v66, v[22:23]
	v_lshrrev_b32_e32 v61, 3, v21
	v_sub_u32_e32 v67, 29, v68
	v_cmp_gt_u32_e64 s[0:1], 8, v21
	v_and_b32_e32 v66, 7, v66
	v_cndmask_b32_e64 v21, v61, v67, s[0:1]
	v_cndmask_b32_e64 v22, v22, v66, s[0:1]
	v_lshlrev_b32_sdwa v60, v82, v60 dst_sel:DWORD dst_unused:UNUSED_PAD src0_sel:DWORD src1_sel:BYTE_3
	v_lshl_add_u32 v21, v21, 23, v80
	v_and_or_b32 v21, v60, s7, v21
	v_lshlrev_b32_e32 v22, 20, v22
	v_or_b32_e32 v21, v21, v22
	v_pk_mov_b32 v[66:67], v[20:21], v[20:21] op_sel:[0,1]
.LBB231_522:                            ;   in Loop: Header=BB231_291 Depth=1
	s_or_b64 exec, exec, s[24:25]
.LBB231_523:                            ;   in Loop: Header=BB231_291 Depth=1
	s_or_b64 exec, exec, s[22:23]
.LBB231_524:                            ;   in Loop: Header=BB231_291 Depth=1
	s_or_b64 exec, exec, s[20:21]
	v_or_b32_e32 v61, v65, v63
	v_or_b32_e32 v60, v64, v62
	;; [unrolled: 1-line block ×4, first 2 shown]
	v_pk_mul_f32 v[60:61], s[18:19], v[60:61]
	v_pk_mul_f32 v[62:63], s[18:19], v[0:1]
	s_and_saveexec_b64 s[20:21], vcc
; %bb.525:                              ;   in Loop: Header=BB231_291 Depth=1
	v_cmp_gt_i32_e64 s[0:1], s33, v83
	v_cndmask_b32_e64 v60, 0, v60, s[0:1]
	v_cmp_gt_i32_e64 s[0:1], s33, v86
	v_cndmask_b32_e64 v61, 0, v61, s[0:1]
	;; [unrolled: 2-line block ×4, first 2 shown]
; %bb.526:                              ;   in Loop: Header=BB231_291 Depth=1
	s_or_b64 exec, exec, s[20:21]
	global_load_dword v28, v[28:29], off offset:2304
	v_pk_mov_b32 v[66:67], 0, 0
	v_pk_mov_b32 v[64:65], v[66:67], v[66:67] op_sel:[0,1]
	s_waitcnt vmcnt(0)
	v_cmp_ne_u16_sdwa s[0:1], v28, v20 src0_sel:BYTE_0 src1_sel:DWORD
	s_and_saveexec_b64 s[20:21], s[0:1]
	s_cbranch_execz .LBB231_532
; %bb.527:                              ;   in Loop: Header=BB231_291 Depth=1
	v_bfrev_b32_e32 v64, 1
	v_cmp_ne_u16_sdwa s[0:1], v28, s34 src0_sel:BYTE_0 src1_sel:DWORD
	v_mov_b32_e32 v65, 0
	s_and_saveexec_b64 s[22:23], s[0:1]
	s_cbranch_execz .LBB231_531
; %bb.528:                              ;   in Loop: Header=BB231_291 Depth=1
	v_and_b32_e32 v0, 0x7f, v28
	v_mov_b32_e32 v64, 0x7f800001
	v_cmp_ne_u32_e64 s[0:1], s36, v0
	v_mov_b32_e32 v65, 0
	s_and_saveexec_b64 s[24:25], s[0:1]
	s_cbranch_execz .LBB231_530
; %bb.529:                              ;   in Loop: Header=BB231_291 Depth=1
	v_and_b32_e32 v1, 7, v28
	v_ffbh_u32_e32 v22, v1
	v_min_u32_e32 v22, 32, v22
	v_subrev_u32_e32 v29, 28, v22
	v_lshlrev_b64 v[64:65], v29, v[28:29]
	v_lshrrev_b32_e32 v21, 3, v0
	v_sub_u32_e32 v22, 29, v22
	v_and_b32_e32 v29, 7, v64
	v_cmp_gt_u32_e64 s[0:1], 8, v0
	v_cndmask_b32_e64 v0, v21, v22, s[0:1]
	v_cndmask_b32_e64 v1, v1, v29, s[0:1]
	v_lshlrev_b32_e32 v1, 20, v1
	v_and_b32_sdwa v21, sext(v28), s7 dst_sel:DWORD dst_unused:UNUSED_PAD src0_sel:BYTE_0 src1_sel:DWORD
	v_lshl_add_u32 v0, v0, 23, v80
	v_or3_b32 v22, v21, v0, v1
	v_pk_mov_b32 v[64:65], v[22:23], v[22:23] op_sel:[0,1]
.LBB231_530:                            ;   in Loop: Header=BB231_291 Depth=1
	s_or_b64 exec, exec, s[24:25]
.LBB231_531:                            ;   in Loop: Header=BB231_291 Depth=1
	s_or_b64 exec, exec, s[22:23]
.LBB231_532:                            ;   in Loop: Header=BB231_291 Depth=1
	s_or_b64 exec, exec, s[20:21]
	v_cmp_ne_u16_sdwa s[0:1], v28, v20 src0_sel:BYTE_1 src1_sel:DWORD
	s_and_saveexec_b64 s[20:21], s[0:1]
	s_cbranch_execz .LBB231_538
; %bb.533:                              ;   in Loop: Header=BB231_291 Depth=1
	v_cmp_ne_u16_sdwa s[0:1], v28, s34 src0_sel:BYTE_1 src1_sel:DWORD
	v_pk_mov_b32 v[66:67], s[6:7], s[6:7] op_sel:[0,1]
	s_and_saveexec_b64 s[22:23], s[0:1]
	s_cbranch_execz .LBB231_537
; %bb.534:                              ;   in Loop: Header=BB231_291 Depth=1
	v_and_b32_sdwa v0, v28, s36 dst_sel:DWORD dst_unused:UNUSED_PAD src0_sel:BYTE_1 src1_sel:DWORD
	s_mov_b32 s12, s6
	v_cmp_ne_u32_e64 s[0:1], s36, v0
	v_pk_mov_b32 v[66:67], s[12:13], s[12:13] op_sel:[0,1]
	s_and_saveexec_b64 s[24:25], s[0:1]
	s_cbranch_execz .LBB231_536
; %bb.535:                              ;   in Loop: Header=BB231_291 Depth=1
	v_and_b32_sdwa v22, v28, v81 dst_sel:DWORD dst_unused:UNUSED_PAD src0_sel:BYTE_1 src1_sel:DWORD
	v_ffbh_u32_e32 v21, v22
	v_min_u32_e32 v21, 32, v21
	v_subrev_u32_e32 v29, 28, v21
	v_lshrrev_b32_e32 v1, 3, v0
	v_lshlrev_b64 v[66:67], v29, v[22:23]
	v_sub_u32_e32 v21, 29, v21
	v_cmp_gt_u32_e64 s[0:1], 8, v0
	v_and_b32_e32 v29, 7, v66
	v_cndmask_b32_e64 v0, v1, v21, s[0:1]
	v_cndmask_b32_e64 v1, v22, v29, s[0:1]
	v_lshlrev_b32_e32 v21, 16, v28
	v_lshl_add_u32 v0, v0, 23, v80
	v_and_or_b32 v0, v21, s7, v0
	v_lshlrev_b32_e32 v1, 20, v1
	v_or_b32_e32 v21, v0, v1
	v_pk_mov_b32 v[66:67], v[20:21], v[20:21] op_sel:[0,1]
.LBB231_536:                            ;   in Loop: Header=BB231_291 Depth=1
	s_or_b64 exec, exec, s[24:25]
.LBB231_537:                            ;   in Loop: Header=BB231_291 Depth=1
	s_or_b64 exec, exec, s[22:23]
.LBB231_538:                            ;   in Loop: Header=BB231_291 Depth=1
	s_or_b64 exec, exec, s[20:21]
	v_lshrrev_b32_e32 v0, 16, v28
	v_pk_mov_b32 v[70:71], 0, 0
	v_cmp_ne_u16_sdwa s[0:1], v0, v20 src0_sel:BYTE_0 src1_sel:DWORD
	v_pk_mov_b32 v[68:69], v[70:71], v[70:71] op_sel:[0,1]
	s_and_saveexec_b64 s[20:21], s[0:1]
	s_cbranch_execz .LBB231_544
; %bb.539:                              ;   in Loop: Header=BB231_291 Depth=1
	v_bfrev_b32_e32 v68, 1
	v_cmp_ne_u16_sdwa s[0:1], v0, s34 src0_sel:BYTE_0 src1_sel:DWORD
	v_mov_b32_e32 v69, 0
	s_and_saveexec_b64 s[22:23], s[0:1]
	s_cbranch_execz .LBB231_543
; %bb.540:                              ;   in Loop: Header=BB231_291 Depth=1
	v_bfe_u32 v1, v28, 16, 7
	v_mov_b32_e32 v68, 0x7f800001
	v_cmp_ne_u32_e64 s[0:1], s36, v1
	v_mov_b32_e32 v69, 0
	s_and_saveexec_b64 s[24:25], s[0:1]
	s_cbranch_execz .LBB231_542
; %bb.541:                              ;   in Loop: Header=BB231_291 Depth=1
	v_and_b32_e32 v21, 7, v0
	v_ffbh_u32_e32 v29, v21
	v_min_u32_e32 v29, 32, v29
	v_subrev_u32_e32 v68, 28, v29
	v_lshlrev_b64 v[68:69], v68, v[0:1]
	v_lshrrev_b32_e32 v22, 3, v1
	v_sub_u32_e32 v29, 29, v29
	v_and_b32_e32 v68, 7, v68
	v_cmp_gt_u32_e64 s[0:1], 8, v1
	v_cndmask_b32_e64 v1, v22, v29, s[0:1]
	v_cndmask_b32_e64 v21, v21, v68, s[0:1]
	v_lshlrev_b32_e32 v21, 20, v21
	v_and_b32_sdwa v0, sext(v0), s7 dst_sel:DWORD dst_unused:UNUSED_PAD src0_sel:BYTE_0 src1_sel:DWORD
	v_lshl_add_u32 v1, v1, 23, v80
	v_or3_b32 v22, v0, v1, v21
	v_pk_mov_b32 v[68:69], v[22:23], v[22:23] op_sel:[0,1]
.LBB231_542:                            ;   in Loop: Header=BB231_291 Depth=1
	s_or_b64 exec, exec, s[24:25]
.LBB231_543:                            ;   in Loop: Header=BB231_291 Depth=1
	s_or_b64 exec, exec, s[22:23]
.LBB231_544:                            ;   in Loop: Header=BB231_291 Depth=1
	s_or_b64 exec, exec, s[20:21]
	v_cmp_lt_u32_e64 s[0:1], s37, v28
	s_and_saveexec_b64 s[20:21], s[0:1]
	s_cbranch_execz .LBB231_550
; %bb.545:                              ;   in Loop: Header=BB231_291 Depth=1
	v_cmp_ne_u32_sdwa s[0:1], v28, s34 src0_sel:BYTE_3 src1_sel:DWORD
	v_pk_mov_b32 v[70:71], s[6:7], s[6:7] op_sel:[0,1]
	s_and_saveexec_b64 s[22:23], s[0:1]
	s_cbranch_execz .LBB231_549
; %bb.546:                              ;   in Loop: Header=BB231_291 Depth=1
	v_bfe_u32 v0, v28, 24, 7
	s_mov_b32 s12, s6
	v_cmp_ne_u32_e64 s[0:1], s36, v0
	v_pk_mov_b32 v[70:71], s[12:13], s[12:13] op_sel:[0,1]
	s_and_saveexec_b64 s[24:25], s[0:1]
	s_cbranch_execz .LBB231_548
; %bb.547:                              ;   in Loop: Header=BB231_291 Depth=1
	v_and_b32_sdwa v22, v28, v81 dst_sel:DWORD dst_unused:UNUSED_PAD src0_sel:BYTE_3 src1_sel:DWORD
	v_ffbh_u32_e32 v21, v22
	v_min_u32_e32 v21, 32, v21
	v_subrev_u32_e32 v29, 28, v21
	v_lshrrev_b32_e32 v1, 3, v0
	v_lshlrev_b64 v[70:71], v29, v[22:23]
	v_sub_u32_e32 v21, 29, v21
	v_cmp_gt_u32_e64 s[0:1], 8, v0
	v_and_b32_e32 v29, 7, v70
	v_cndmask_b32_e64 v0, v1, v21, s[0:1]
	v_cndmask_b32_e64 v1, v22, v29, s[0:1]
	v_lshlrev_b32_sdwa v21, v82, v28 dst_sel:DWORD dst_unused:UNUSED_PAD src0_sel:DWORD src1_sel:BYTE_3
	v_lshl_add_u32 v0, v0, 23, v80
	v_and_or_b32 v0, v21, s7, v0
	v_lshlrev_b32_e32 v1, 20, v1
	v_or_b32_e32 v21, v0, v1
	v_pk_mov_b32 v[70:71], v[20:21], v[20:21] op_sel:[0,1]
.LBB231_548:                            ;   in Loop: Header=BB231_291 Depth=1
	s_or_b64 exec, exec, s[24:25]
.LBB231_549:                            ;   in Loop: Header=BB231_291 Depth=1
	s_or_b64 exec, exec, s[22:23]
.LBB231_550:                            ;   in Loop: Header=BB231_291 Depth=1
	s_or_b64 exec, exec, s[20:21]
	v_or_b32_e32 v1, v67, v65
	v_or_b32_e32 v0, v66, v64
	v_or_b32_e32 v29, v71, v69
	v_or_b32_e32 v28, v70, v68
	v_pk_mul_f32 v[0:1], s[18:19], v[0:1]
	v_pk_mul_f32 v[28:29], s[18:19], v[28:29]
	s_and_saveexec_b64 s[0:1], vcc
	s_cbranch_execz .LBB231_289
; %bb.551:                              ;   in Loop: Header=BB231_291 Depth=1
	v_cmp_gt_i32_e32 vcc, s33, v83
	v_cndmask_b32_e32 v0, 0, v0, vcc
	v_cmp_gt_i32_e32 vcc, s33, v86
	v_cndmask_b32_e32 v1, 0, v1, vcc
	;; [unrolled: 2-line block ×4, first 2 shown]
	s_branch .LBB231_289
.LBB231_552:
	s_or_b64 exec, exec, s[10:11]
.LBB231_553:
	s_or_b64 exec, exec, s[4:5]
	ds_bpermute_b32 v2, v7, v12
	ds_bpermute_b32 v3, v7, v13
	ds_bpermute_b32 v0, v7, v14
	ds_bpermute_b32 v1, v7, v15
	ds_bpermute_b32 v16, v7, v8
	ds_bpermute_b32 v17, v7, v9
	s_waitcnt lgkmcnt(4)
	v_pk_add_f32 v[2:3], v[12:13], v[2:3]
	ds_bpermute_b32 v12, v75, v2
	ds_bpermute_b32 v13, v75, v3
	s_waitcnt lgkmcnt(4)
	v_pk_add_f32 v[0:1], v[14:15], v[0:1]
	ds_bpermute_b32 v14, v7, v10
	ds_bpermute_b32 v15, v7, v11
	;; [unrolled: 1-line block ×3, first 2 shown]
	s_waitcnt lgkmcnt(3)
	v_pk_add_f32 v[2:3], v[2:3], v[12:13]
	ds_bpermute_b32 v12, v76, v2
	ds_bpermute_b32 v13, v76, v3
	;; [unrolled: 1-line block ×3, first 2 shown]
	s_waitcnt lgkmcnt(0)
	s_barrier
	v_pk_add_f32 v[10:11], v[10:11], v[14:15]
	v_pk_add_f32 v[20:21], v[72:73], v[6:7]
	;; [unrolled: 1-line block ×3, first 2 shown]
	buffer_load_dword v12, off, s[68:71], 0 offset:28 ; 4-byte Folded Reload
	ds_bpermute_b32 v4, v75, v0
	ds_bpermute_b32 v5, v75, v1
	;; [unrolled: 1-line block ×4, first 2 shown]
	v_pk_add_f32 v[8:9], v[8:9], v[16:17]
	ds_bpermute_b32 v22, v75, v20
	s_waitcnt lgkmcnt(3)
	v_pk_add_f32 v[0:1], v[0:1], v[4:5]
	ds_bpermute_b32 v4, v76, v0
	s_waitcnt lgkmcnt(2)
	v_pk_add_f32 v[10:11], v[10:11], v[14:15]
	ds_bpermute_b32 v14, v75, v8
	ds_bpermute_b32 v15, v75, v9
	;; [unrolled: 1-line block ×6, first 2 shown]
	s_waitcnt lgkmcnt(4)
	v_pk_add_f32 v[14:15], v[8:9], v[14:15]
	ds_bpermute_b32 v18, v76, v14
	ds_bpermute_b32 v19, v76, v15
	s_waitcnt lgkmcnt(5)
	v_pk_add_f32 v[8:9], v[0:1], v[4:5]
	s_waitcnt lgkmcnt(4)
	v_pk_add_f32 v[0:1], v[20:21], v[22:23]
	s_waitcnt lgkmcnt(2)
	v_pk_add_f32 v[4:5], v[10:11], v[16:17]
	ds_bpermute_b32 v10, v76, v0
	ds_bpermute_b32 v11, v76, v1
	s_waitcnt lgkmcnt(2)
	v_pk_add_f32 v[2:3], v[14:15], v[18:19]
	s_waitcnt vmcnt(0)
	v_and_b32_e32 v12, 0x3c7, v12
	v_cmp_ne_u32_e32 vcc, 64, v12
	s_and_saveexec_b64 s[0:1], vcc
	s_xor_b64 s[0:1], exec, s[0:1]
; %bb.554:
                                        ; implicit-def: $vgpr74
; %bb.555:
	s_or_saveexec_b64 s[0:1], s[0:1]
	s_waitcnt lgkmcnt(0)
	v_pk_add_f32 v[10:11], v[0:1], v[10:11]
	s_xor_b64 exec, exec, s[0:1]
	s_cbranch_execz .LBB231_557
; %bb.556:
	v_lshrrev_b32_e32 v0, 1, v74
	v_add_u32_e32 v0, 0x150, v0
	ds_write2_b32 v0, v8, v9 offset1:8
	ds_write2_b32 v0, v6, v7 offset0:16 offset1:24
	ds_write2_b32 v0, v4, v5 offset0:32 offset1:40
	;; [unrolled: 1-line block ×4, first 2 shown]
.LBB231_557:
	s_or_b64 exec, exec, s[0:1]
	s_waitcnt lgkmcnt(0)
	s_barrier
	buffer_load_dword v0, off, s[68:71], 0 offset:28 ; 4-byte Folded Reload
	s_waitcnt vmcnt(0)
	v_cmp_gt_u32_e32 vcc, 64, v0
	s_and_saveexec_b64 s[0:1], vcc
	s_cbranch_execz .LBB231_570
; %bb.558:
	buffer_load_dword v0, off, s[68:71], 0 offset:28 ; 4-byte Folded Reload
	v_cmp_eq_u32_e32 vcc, 0, v77
	s_waitcnt vmcnt(0)
	v_lshrrev_b32_e32 v0, 3, v0
	s_and_saveexec_b64 s[4:5], vcc
	s_cbranch_execnz .LBB231_573
; %bb.559:
	s_or_b64 exec, exec, s[4:5]
	s_and_saveexec_b64 s[4:5], vcc
	s_cbranch_execnz .LBB231_574
.LBB231_560:
	s_or_b64 exec, exec, s[4:5]
	s_and_saveexec_b64 s[4:5], vcc
	s_cbranch_execnz .LBB231_575
.LBB231_561:
	s_or_b64 exec, exec, s[4:5]
	s_and_saveexec_b64 s[4:5], vcc
	s_cbranch_execnz .LBB231_576
.LBB231_562:
	s_or_b64 exec, exec, s[4:5]
	s_and_saveexec_b64 s[4:5], vcc
	s_cbranch_execnz .LBB231_577
.LBB231_563:
	s_or_b64 exec, exec, s[4:5]
	s_and_saveexec_b64 s[4:5], vcc
	s_cbranch_execnz .LBB231_578
.LBB231_564:
	s_or_b64 exec, exec, s[4:5]
	s_and_saveexec_b64 s[4:5], vcc
	s_cbranch_execnz .LBB231_579
.LBB231_565:
	s_or_b64 exec, exec, s[4:5]
	s_and_saveexec_b64 s[4:5], vcc
	s_cbranch_execnz .LBB231_580
.LBB231_566:
	s_or_b64 exec, exec, s[4:5]
	s_and_saveexec_b64 s[4:5], vcc
	s_cbranch_execnz .LBB231_581
.LBB231_567:
	s_or_b64 exec, exec, s[4:5]
	s_and_saveexec_b64 s[4:5], vcc
	s_cbranch_execz .LBB231_569
.LBB231_568:
	v_mov_b32_e32 v1, 0x150
	v_lshl_add_u32 v0, v0, 2, v1
	ds_read_b32 v0, v0 offset:288
	s_waitcnt lgkmcnt(0)
	v_add_f32_e32 v11, v11, v0
.LBB231_569:
	s_or_b64 exec, exec, s[4:5]
.LBB231_570:
	s_or_b64 exec, exec, s[0:1]
	v_cmp_eq_u32_e32 vcc, 0, v12
	s_barrier
	s_and_saveexec_b64 s[0:1], vcc
	s_cbranch_execz .LBB231_572
; %bb.571:
	buffer_load_dword v0, off, s[68:71], 0 offset:28 ; 4-byte Folded Reload
	s_mul_i32 s0, s2, 0x50
	s_ashr_i32 s1, s0, 31
	s_lshl_b64 s[0:1], s[0:1], 2
	s_add_u32 s2, s30, s0
	s_mul_i32 s0, s29, s28
	s_addc_u32 s3, s31, s1
	s_ashr_i32 s1, s0, 31
	s_lshl_b64 s[0:1], s[0:1], 2
	s_add_u32 s2, s2, s0
	s_mul_i32 s0, s8, 0x50
	s_addc_u32 s3, s3, s1
	s_ashr_i32 s1, s0, 31
	s_lshl_b64 s[0:1], s[0:1], 2
	s_add_u32 s0, s2, s0
	s_addc_u32 s1, s3, s1
	s_waitcnt vmcnt(0)
	v_lshrrev_b32_e32 v0, 1, v0
	global_store_dword v0, v8, s[0:1]
	global_store_dword v0, v9, s[0:1] offset:32
	global_store_dword v0, v6, s[0:1] offset:64
	;; [unrolled: 1-line block ×9, first 2 shown]
.LBB231_572:
	s_endpgm
.LBB231_573:
	v_mov_b32_e32 v1, 0x150
	v_lshl_add_u32 v1, v0, 2, v1
	ds_read_b32 v1, v1
	s_waitcnt lgkmcnt(0)
	v_add_f32_e32 v8, v8, v1
	s_or_b64 exec, exec, s[4:5]
	s_and_saveexec_b64 s[4:5], vcc
	s_cbranch_execz .LBB231_560
.LBB231_574:
	v_mov_b32_e32 v1, 0x150
	v_lshl_add_u32 v1, v0, 2, v1
	ds_read_b32 v1, v1 offset:32
	s_waitcnt lgkmcnt(0)
	v_add_f32_e32 v9, v9, v1
	s_or_b64 exec, exec, s[4:5]
	s_and_saveexec_b64 s[4:5], vcc
	s_cbranch_execz .LBB231_561
.LBB231_575:
	v_mov_b32_e32 v1, 0x150
	v_lshl_add_u32 v1, v0, 2, v1
	ds_read_b32 v1, v1 offset:64
	s_waitcnt lgkmcnt(0)
	v_add_f32_e32 v6, v6, v1
	s_or_b64 exec, exec, s[4:5]
	s_and_saveexec_b64 s[4:5], vcc
	s_cbranch_execz .LBB231_562
.LBB231_576:
	v_mov_b32_e32 v1, 0x150
	v_lshl_add_u32 v1, v0, 2, v1
	ds_read_b32 v1, v1 offset:96
	s_waitcnt lgkmcnt(0)
	v_add_f32_e32 v7, v7, v1
	s_or_b64 exec, exec, s[4:5]
	s_and_saveexec_b64 s[4:5], vcc
	s_cbranch_execz .LBB231_563
.LBB231_577:
	v_mov_b32_e32 v1, 0x150
	v_lshl_add_u32 v1, v0, 2, v1
	ds_read_b32 v1, v1 offset:128
	s_waitcnt lgkmcnt(0)
	v_add_f32_e32 v4, v4, v1
	s_or_b64 exec, exec, s[4:5]
	s_and_saveexec_b64 s[4:5], vcc
	s_cbranch_execz .LBB231_564
.LBB231_578:
	v_mov_b32_e32 v1, 0x150
	v_lshl_add_u32 v1, v0, 2, v1
	ds_read_b32 v1, v1 offset:160
	s_waitcnt lgkmcnt(0)
	v_add_f32_e32 v5, v5, v1
	s_or_b64 exec, exec, s[4:5]
	s_and_saveexec_b64 s[4:5], vcc
	s_cbranch_execz .LBB231_565
.LBB231_579:
	v_mov_b32_e32 v1, 0x150
	v_lshl_add_u32 v1, v0, 2, v1
	ds_read_b32 v1, v1 offset:192
	s_waitcnt lgkmcnt(0)
	v_add_f32_e32 v2, v2, v1
	s_or_b64 exec, exec, s[4:5]
	s_and_saveexec_b64 s[4:5], vcc
	s_cbranch_execz .LBB231_566
.LBB231_580:
	v_mov_b32_e32 v1, 0x150
	v_lshl_add_u32 v1, v0, 2, v1
	ds_read_b32 v1, v1 offset:224
	s_waitcnt lgkmcnt(0)
	v_add_f32_e32 v3, v3, v1
	s_or_b64 exec, exec, s[4:5]
	s_and_saveexec_b64 s[4:5], vcc
	s_cbranch_execz .LBB231_567
.LBB231_581:
	v_mov_b32_e32 v1, 0x150
	v_lshl_add_u32 v1, v0, 2, v1
	ds_read_b32 v1, v1 offset:256
	s_waitcnt lgkmcnt(0)
	v_add_f32_e32 v10, v10, v1
	s_or_b64 exec, exec, s[4:5]
	s_and_saveexec_b64 s[4:5], vcc
	s_cbranch_execnz .LBB231_568
	s_branch .LBB231_569
	.section	.rodata,"a",@progbits
	.p2align	6, 0x0
	.amdhsa_kernel _ZN4vllm25paged_attention_v2_kernelIfhLi80ELi32ELi128ELNS_18Fp8KVCacheDataTypeE1ELb1ELi512EEEvPfS2_PT_PKS3_PKT0_S9_ifPKiSB_iPKfiiiSD_SD_iiiii
		.amdhsa_group_segment_fixed_size 336
		.amdhsa_private_segment_fixed_size 76
		.amdhsa_kernarg_size 400
		.amdhsa_user_sgpr_count 6
		.amdhsa_user_sgpr_private_segment_buffer 1
		.amdhsa_user_sgpr_dispatch_ptr 0
		.amdhsa_user_sgpr_queue_ptr 0
		.amdhsa_user_sgpr_kernarg_segment_ptr 1
		.amdhsa_user_sgpr_dispatch_id 0
		.amdhsa_user_sgpr_flat_scratch_init 0
		.amdhsa_user_sgpr_kernarg_preload_length 0
		.amdhsa_user_sgpr_kernarg_preload_offset 0
		.amdhsa_user_sgpr_private_segment_size 0
		.amdhsa_uses_dynamic_stack 0
		.amdhsa_system_sgpr_private_segment_wavefront_offset 1
		.amdhsa_system_sgpr_workgroup_id_x 1
		.amdhsa_system_sgpr_workgroup_id_y 1
		.amdhsa_system_sgpr_workgroup_id_z 1
		.amdhsa_system_sgpr_workgroup_info 0
		.amdhsa_system_vgpr_workitem_id 0
		.amdhsa_next_free_vgpr 128
		.amdhsa_next_free_sgpr 72
		.amdhsa_accum_offset 128
		.amdhsa_reserve_vcc 1
		.amdhsa_reserve_flat_scratch 0
		.amdhsa_float_round_mode_32 0
		.amdhsa_float_round_mode_16_64 0
		.amdhsa_float_denorm_mode_32 3
		.amdhsa_float_denorm_mode_16_64 3
		.amdhsa_dx10_clamp 1
		.amdhsa_ieee_mode 1
		.amdhsa_fp16_overflow 0
		.amdhsa_tg_split 0
		.amdhsa_exception_fp_ieee_invalid_op 0
		.amdhsa_exception_fp_denorm_src 0
		.amdhsa_exception_fp_ieee_div_zero 0
		.amdhsa_exception_fp_ieee_overflow 0
		.amdhsa_exception_fp_ieee_underflow 0
		.amdhsa_exception_fp_ieee_inexact 0
		.amdhsa_exception_int_div_zero 0
	.end_amdhsa_kernel
	.section	.text._ZN4vllm25paged_attention_v2_kernelIfhLi80ELi32ELi128ELNS_18Fp8KVCacheDataTypeE1ELb1ELi512EEEvPfS2_PT_PKS3_PKT0_S9_ifPKiSB_iPKfiiiSD_SD_iiiii,"axG",@progbits,_ZN4vllm25paged_attention_v2_kernelIfhLi80ELi32ELi128ELNS_18Fp8KVCacheDataTypeE1ELb1ELi512EEEvPfS2_PT_PKS3_PKT0_S9_ifPKiSB_iPKfiiiSD_SD_iiiii,comdat
.Lfunc_end231:
	.size	_ZN4vllm25paged_attention_v2_kernelIfhLi80ELi32ELi128ELNS_18Fp8KVCacheDataTypeE1ELb1ELi512EEEvPfS2_PT_PKS3_PKT0_S9_ifPKiSB_iPKfiiiSD_SD_iiiii, .Lfunc_end231-_ZN4vllm25paged_attention_v2_kernelIfhLi80ELi32ELi128ELNS_18Fp8KVCacheDataTypeE1ELb1ELi512EEEvPfS2_PT_PKS3_PKT0_S9_ifPKiSB_iPKfiiiSD_SD_iiiii
                                        ; -- End function
	.section	.AMDGPU.csdata,"",@progbits
; Kernel info:
; codeLenInByte = 22856
; NumSgprs: 76
; NumVgprs: 128
; NumAgprs: 0
; TotalNumVgprs: 128
; ScratchSize: 76
; MemoryBound: 0
; FloatMode: 240
; IeeeMode: 1
; LDSByteSize: 336 bytes/workgroup (compile time only)
; SGPRBlocks: 9
; VGPRBlocks: 15
; NumSGPRsForWavesPerEU: 76
; NumVGPRsForWavesPerEU: 128
; AccumOffset: 128
; Occupancy: 4
; WaveLimiterHint : 1
; COMPUTE_PGM_RSRC2:SCRATCH_EN: 1
; COMPUTE_PGM_RSRC2:USER_SGPR: 6
; COMPUTE_PGM_RSRC2:TRAP_HANDLER: 0
; COMPUTE_PGM_RSRC2:TGID_X_EN: 1
; COMPUTE_PGM_RSRC2:TGID_Y_EN: 1
; COMPUTE_PGM_RSRC2:TGID_Z_EN: 1
; COMPUTE_PGM_RSRC2:TIDIG_COMP_CNT: 0
; COMPUTE_PGM_RSRC3_GFX90A:ACCUM_OFFSET: 31
; COMPUTE_PGM_RSRC3_GFX90A:TG_SPLIT: 0
	.section	.text._ZN4vllm25paged_attention_v2_kernelIfhLi96ELi32ELi128ELNS_18Fp8KVCacheDataTypeE1ELb1ELi512EEEvPfS2_PT_PKS3_PKT0_S9_ifPKiSB_iPKfiiiSD_SD_iiiii,"axG",@progbits,_ZN4vllm25paged_attention_v2_kernelIfhLi96ELi32ELi128ELNS_18Fp8KVCacheDataTypeE1ELb1ELi512EEEvPfS2_PT_PKS3_PKT0_S9_ifPKiSB_iPKfiiiSD_SD_iiiii,comdat
	.protected	_ZN4vllm25paged_attention_v2_kernelIfhLi96ELi32ELi128ELNS_18Fp8KVCacheDataTypeE1ELb1ELi512EEEvPfS2_PT_PKS3_PKT0_S9_ifPKiSB_iPKfiiiSD_SD_iiiii ; -- Begin function _ZN4vllm25paged_attention_v2_kernelIfhLi96ELi32ELi128ELNS_18Fp8KVCacheDataTypeE1ELb1ELi512EEEvPfS2_PT_PKS3_PKT0_S9_ifPKiSB_iPKfiiiSD_SD_iiiii
	.globl	_ZN4vllm25paged_attention_v2_kernelIfhLi96ELi32ELi128ELNS_18Fp8KVCacheDataTypeE1ELb1ELi512EEEvPfS2_PT_PKS3_PKT0_S9_ifPKiSB_iPKfiiiSD_SD_iiiii
	.p2align	8
	.type	_ZN4vllm25paged_attention_v2_kernelIfhLi96ELi32ELi128ELNS_18Fp8KVCacheDataTypeE1ELb1ELi512EEEvPfS2_PT_PKS3_PKT0_S9_ifPKiSB_iPKfiiiSD_SD_iiiii,@function
_ZN4vllm25paged_attention_v2_kernelIfhLi96ELi32ELi128ELNS_18Fp8KVCacheDataTypeE1ELb1ELi512EEEvPfS2_PT_PKS3_PKT0_S9_ifPKiSB_iPKfiiiSD_SD_iiiii: ; @_ZN4vllm25paged_attention_v2_kernelIfhLi96ELi32ELi128ELNS_18Fp8KVCacheDataTypeE1ELb1ELi512EEEvPfS2_PT_PKS3_PKT0_S9_ifPKiSB_iPKfiiiSD_SD_iiiii
; %bb.0:
	s_mov_b64 s[70:71], s[2:3]
	s_mov_b64 s[68:69], s[0:1]
	s_load_dwordx2 s[0:1], s[4:5], 0x40
	s_add_u32 s68, s68, s9
	s_addc_u32 s69, s69, 0
	s_mov_b32 s34, s7
	s_ashr_i32 s35, s7, 31
	s_lshl_b64 s[2:3], s[34:35], 2
	s_waitcnt lgkmcnt(0)
	s_add_u32 s0, s0, s2
	s_addc_u32 s1, s1, s3
	s_load_dword s33, s[0:1], 0x0
	s_lshl_b32 s59, s8, 9
	s_waitcnt lgkmcnt(0)
	s_cmp_ge_i32 s59, s33
	s_cbranch_scc1 .LBB232_674
; %bb.1:
	s_load_dword s9, s[4:5], 0x90
	s_load_dwordx2 s[42:43], s[4:5], 0x30
	v_mov_b32_e32 v18, v0
	s_mov_b32 s60, 0
	s_waitcnt lgkmcnt(0)
	s_abs_i32 s2, s9
	s_abs_i32 s0, s42
	v_cvt_f32_u32_e32 v0, s0
	s_sub_i32 s3, 0, s0
	s_xor_b32 s1, s9, s42
	s_ashr_i32 s1, s1, 31
	v_rcp_iflag_f32_e32 v0, v0
	v_mul_f32_e32 v0, 0x4f7ffffe, v0
	v_cvt_u32_f32_e32 v0, v0
	v_readfirstlane_b32 s7, v0
	s_mul_i32 s3, s3, s7
	s_mul_hi_u32 s3, s7, s3
	s_add_i32 s7, s7, s3
	s_mul_hi_u32 s3, s2, s7
	s_mul_i32 s7, s3, s0
	s_sub_i32 s2, s2, s7
	s_add_i32 s10, s3, 1
	s_sub_i32 s7, s2, s0
	s_cmp_ge_u32 s2, s0
	s_cselect_b32 s3, s10, s3
	s_cselect_b32 s2, s7, s2
	s_add_i32 s7, s3, 1
	s_cmp_ge_u32 s2, s0
	s_cselect_b32 s0, s7, s3
	s_xor_b32 s0, s0, s1
	s_sub_i32 s11, s0, s1
	s_abs_i32 s2, s11
	v_cvt_f32_u32_e32 v0, s2
	s_load_dwordx2 s[0:1], s[4:5], 0x50
	s_sub_i32 s7, 0, s2
	s_abs_i32 s3, s6
	v_rcp_iflag_f32_e32 v0, v0
	v_mul_f32_e32 v0, 0x4f7ffffe, v0
	v_cvt_u32_f32_e32 v0, v0
	v_readfirstlane_b32 s10, v0
	s_mul_i32 s7, s7, s10
	s_mul_hi_u32 s7, s10, s7
	s_add_i32 s10, s10, s7
	s_waitcnt lgkmcnt(0)
	s_cmp_eq_u64 s[0:1], 0
	s_mul_hi_u32 s10, s3, s10
	s_cbranch_scc1 .LBB232_3
; %bb.2:
	s_ashr_i32 s7, s6, 31
	s_lshl_b64 s[12:13], s[6:7], 2
	s_add_u32 s0, s0, s12
	s_addc_u32 s1, s1, s13
	s_load_dword s60, s[0:1], 0x0
.LBB232_3:
	s_load_dwordx4 s[16:19], s[4:5], 0x58
	s_ashr_i32 s7, s6, 31
	s_ashr_i32 s11, s11, 31
	v_and_b32_e32 v0, 1, v18
	s_mul_i32 s28, s6, 0x60
	v_cmp_gt_u32_e32 vcc, 48, v18
	v_lshlrev_b32_e32 v19, 2, v18
	s_and_saveexec_b64 s[0:1], vcc
	s_cbranch_execz .LBB232_5
; %bb.4:
	s_load_dwordx2 s[12:13], s[4:5], 0x18
	s_waitcnt lgkmcnt(0)
	s_mul_i32 s14, s34, s16
	s_ashr_i32 s15, s14, 31
	s_lshl_b64 s[14:15], s[14:15], 2
	v_lshlrev_b32_e32 v1, 3, v18
	s_add_u32 s14, s12, s14
	s_addc_u32 s15, s13, s15
	s_ashr_i32 s29, s28, 31
	s_lshl_b64 s[12:13], s[28:29], 2
	s_add_u32 s12, s14, s12
	s_addc_u32 s13, s15, s13
	global_load_dwordx2 v[2:3], v1, s[12:13]
	v_and_b32_e32 v1, 0xff8, v19
	s_movk_i32 s12, 0xc0
	v_mad_u32_u24 v1, v0, s12, v1
	s_waitcnt vmcnt(0)
	ds_write_b64 v1, v[2:3]
.LBB232_5:
	s_or_b64 exec, exec, s[0:1]
	s_mul_i32 s1, s10, s2
	s_sub_i32 s1, s3, s1
	s_xor_b32 s0, s7, s11
	s_add_i32 s3, s10, 1
	s_sub_i32 s7, s1, s2
	s_load_dwordx4 s[20:23], s[4:5], 0x78
	s_cmp_ge_u32 s1, s2
	s_cselect_b32 s3, s3, s10
	s_load_dword s10, s[4:5], 0x88
	s_cselect_b32 s1, s7, s1
	s_add_i32 s7, s3, 1
	s_cmp_ge_u32 s1, s2
	s_cselect_b32 s1, s7, s3
	s_waitcnt lgkmcnt(0)
	s_abs_i32 s35, s23
	v_cvt_f32_u32_e32 v1, s35
	s_xor_b32 s1, s1, s0
	s_sub_i32 s2, s1, s0
	s_sub_i32 s0, 0, s35
	v_rcp_iflag_f32_e32 v1, v1
	s_add_i32 s11, s33, -1
	s_abs_i32 s3, s11
	v_mul_f32_e32 v1, 0x4f7ffffe, v1
	v_cvt_u32_f32_e32 v1, v1
	s_barrier
	v_readfirstlane_b32 s56, v1
	s_mul_i32 s0, s0, s56
	s_mul_hi_u32 s0, s56, s0
	s_add_i32 s56, s56, s0
	s_cmp_lt_i32 s10, 0
	s_mul_hi_u32 s7, s3, s56
	s_cbranch_scc0 .LBB232_7
; %bb.6:
	s_mul_i32 s0, s20, s42
	s_add_i32 s0, s2, s0
	s_mul_i32 s0, s0, s10
	s_sub_i32 s42, 1, s0
	s_mov_b64 s[0:1], 0
	s_branch .LBB232_8
.LBB232_7:
	s_mov_b64 s[0:1], -1
                                        ; implicit-def: $sgpr42
.LBB232_8:
	s_load_dwordx2 s[36:37], s[4:5], 0x38
	s_ashr_i32 s11, s11, 31
	s_andn2_b64 vcc, exec, s[0:1]
	s_ashr_i32 s57, s23, 31
	s_cbranch_vccnz .LBB232_10
; %bb.9:
	s_mul_i32 s0, s9, s20
	s_add_i32 s0, s0, s6
	s_mul_i32 s0, s0, s10
	s_add_i32 s42, s0, 1
.LBB232_10:
	s_load_dwordx2 s[40:41], s[4:5], 0x28
	s_load_dword s0, s[4:5], 0x48
	s_load_dwordx4 s[24:27], s[4:5], 0x0
	s_load_dwordx2 s[30:31], s[4:5], 0x10
	s_load_dword s29, s[4:5], 0x98
	s_load_dwordx4 s[12:15], s[4:5], 0x68
	s_mul_i32 s1, s7, s35
	s_waitcnt lgkmcnt(0)
	s_mul_i32 s38, s34, s0
	s_sub_i32 s1, s3, s1
	s_ashr_i32 s39, s38, 31
	s_xor_b32 s0, s11, s57
	s_add_i32 s3, s7, 1
	s_sub_i32 s10, s1, s35
	s_cmp_ge_u32 s1, s35
	s_cselect_b32 s3, s3, s7
	s_cselect_b32 s1, s10, s1
	s_add_i32 s7, s3, 1
	s_cmp_ge_u32 s1, s35
	s_cselect_b32 s1, s7, s3
	s_xor_b32 s1, s1, s0
	s_sub_i32 s20, s1, s0
	s_add_i32 s0, s33, 31
	s_ashr_i32 s1, s0, 31
	s_lshr_b32 s1, s1, 27
	s_add_i32 s0, s0, s1
	s_lshl_b32 s61, s8, 4
	s_ashr_i32 s7, s0, 5
	s_add_i32 s0, s61, 16
	v_lshrrev_b32_e32 v22, 6, v18
	s_min_i32 s58, s0, s7
	v_or_b32_e32 v50, s61, v22
	v_cmp_gt_i32_e64 s[0:1], s58, v50
	v_mov_b32_e32 v3, 0xff7fffff
	s_mul_i32 s23, s2, s18
	v_ashrrev_i32_e32 v51, 31, v50
	v_lshl_add_u32 v15, v22, 5, s59
	v_mbcnt_lo_u32_b32 v4, -1, 0
	s_mov_b64 s[18:19], exec
	s_and_b64 s[2:3], s[18:19], s[0:1]
	buffer_store_dword v18, off, s[68:71], 0 offset:156 ; 4-byte Folded Spill
	s_mov_b64 exec, s[2:3]
	s_cbranch_execz .LBB232_308
; %bb.11:
	s_load_dwordx2 s[4:5], s[4:5], 0x20
	s_sub_i32 s62, s20, s21
	s_ashr_i32 s10, s23, 31
	v_bfe_u32 v5, v18, 1, 5
	v_lshlrev_b32_e32 v2, 4, v5
	s_waitcnt lgkmcnt(0)
	s_add_u32 s4, s4, s23
	s_addc_u32 s5, s5, s10
	v_mov_b32_e32 v3, s5
	v_add_co_u32_e32 v2, vcc, s4, v2
	v_addc_co_u32_e32 v3, vcc, 0, v3, vcc
	buffer_store_dword v19, off, s[68:71], 0 offset:160 ; 4-byte Folded Spill
	buffer_store_dword v2, off, s[68:71], 0 offset:128 ; 4-byte Folded Spill
	s_nop 0
	buffer_store_dword v3, off, s[68:71], 0 offset:132 ; 4-byte Folded Spill
	s_abs_i32 s64, s22
	v_cvt_f32_u32_e32 v1, s64
	s_sub_i32 s10, 0, s64
	v_cmp_eq_u32_e64 s[2:3], 0, v0
	v_lshlrev_b32_e32 v2, 1, v0
	v_rcp_iflag_f32_e32 v1, v1
	v_mul_u32_u24_e32 v16, 0xc0, v0
	s_mov_b32 s44, 0
	s_brev_b32 s45, 1
	v_mul_f32_e32 v1, 0x4f7ffffe, v1
	v_cvt_u32_f32_e32 v1, v1
	s_mov_b32 s63, s17
	v_mov_b32_e32 v53, 0
	v_cmp_neq_f32_e64 s[4:5], s60, 0
	v_mul_lo_u32 v0, s10, v1
	v_mul_hi_u32 v0, v1, v0
	v_add_u32_e32 v0, v1, v0
	s_lshl_b64 s[10:11], s[38:39], 2
	s_add_u32 s10, s36, s10
	s_addc_u32 s11, s37, s11
	v_lshl_add_u32 v17, v22, 5, s59
	s_mov_b64 s[46:47], 0
	s_movk_i32 s65, 0x80
	s_movk_i32 s66, 0x7f
	s_mov_b32 s49, 0x7f800001
	v_mov_b32_e32 v19, v50
	buffer_store_dword v2, off, s[68:71], 0 offset:136 ; 4-byte Folded Spill
	s_nop 0
	buffer_store_dword v3, off, s[68:71], 0 offset:140 ; 4-byte Folded Spill
	buffer_store_dword v0, off, s[68:71], 0 offset:40 ; 4-byte Folded Spill
	v_lshlrev_b64 v[0:1], 2, v[50:51]
	v_add_co_u32_e32 v58, vcc, s10, v0
	v_lshlrev_b32_e32 v0, 2, v5
	v_lshl_or_b32 v0, v22, 7, v0
	v_add_u32_e32 v18, 0x190, v0
	v_subrev_u32_e32 v0, s33, v5
	v_add_u32_e32 v0, 1, v0
	v_mov_b32_e32 v2, s11
	buffer_store_dword v0, off, s[68:71], 0 offset:152 ; 4-byte Folded Spill
	v_mbcnt_hi_u32_b32 v0, -1, v4
	v_addc_co_u32_e32 v59, vcc, v2, v1, vcc
	buffer_store_dword v0, off, s[68:71], 0 offset:144 ; 4-byte Folded Spill
	v_mov_b32_e32 v0, 0xff7fffff
	buffer_store_dword v22, off, s[68:71], 0 offset:164 ; 4-byte Folded Spill
	buffer_store_dword v5, off, s[68:71], 0 offset:148 ; 4-byte Folded Spill
	buffer_store_dword v0, off, s[68:71], 0 offset:124 ; 4-byte Folded Spill
	s_branch .LBB232_14
.LBB232_12:                             ;   in Loop: Header=BB232_14 Depth=1
	s_or_b64 exec, exec, s[50:51]
.LBB232_13:                             ;   in Loop: Header=BB232_14 Depth=1
	s_or_b64 exec, exec, s[10:11]
	v_add_co_u32_e32 v58, vcc, 8, v58
	v_add_u32_e32 v19, 2, v19
	v_addc_co_u32_e32 v59, vcc, 0, v59, vcc
	v_cmp_le_i32_e32 vcc, s58, v19
	v_add_u32_e32 v17, 64, v17
	s_or_b64 s[46:47], vcc, s[46:47]
	v_add_u32_e32 v18, 0x100, v18
	s_andn2_b64 exec, exec, s[46:47]
	s_cbranch_execz .LBB232_307
.LBB232_14:                             ; =>This Inner Loop Header: Depth=1
	s_waitcnt lgkmcnt(0)
	v_sub_u32_e32 v1, 0, v17
	v_max_i32_e32 v1, v17, v1
	v_mul_hi_u32 v2, v1, s56
	v_mul_lo_u32 v3, v2, s35
	v_sub_u32_e32 v1, v1, v3
	v_add_u32_e32 v3, 1, v2
	v_cmp_le_u32_e32 vcc, s35, v1
	v_cndmask_b32_e32 v2, v2, v3, vcc
	v_subrev_u32_e32 v3, s35, v1
	v_cndmask_b32_e32 v1, v1, v3, vcc
	v_ashrrev_i32_e32 v0, 31, v17
	v_add_u32_e32 v3, 1, v2
	v_cmp_le_u32_e32 vcc, s35, v1
	v_xor_b32_e32 v0, s57, v0
	v_cndmask_b32_e32 v1, v2, v3, vcc
	v_xor_b32_e32 v1, v1, v0
	v_sub_u32_e32 v0, v1, v0
	v_add_u32_e32 v1, s42, v0
	v_sub_u32_e32 v3, 0, v1
	v_ashrrev_i32_e32 v2, 31, v1
	v_max_i32_e32 v1, v1, v3
	buffer_load_dword v3, off, s[68:71], 0 offset:40 ; 4-byte Folded Reload
	v_cmp_ge_i32_e64 s[10:11], s62, v0
	s_waitcnt vmcnt(0)
	v_mul_hi_u32 v3, v1, v3
	v_mul_lo_u32 v3, v3, s64
	v_sub_u32_e32 v1, v1, v3
	v_subrev_u32_e32 v3, s64, v1
	v_cmp_le_u32_e32 vcc, s64, v1
	v_cndmask_b32_e32 v1, v1, v3, vcc
	v_subrev_u32_e32 v3, s64, v1
	v_cmp_le_u32_e32 vcc, s64, v1
	v_cndmask_b32_e32 v1, v1, v3, vcc
	v_xor_b32_e32 v1, v1, v2
	v_sub_u32_e32 v1, v1, v2
	v_cmp_ne_u32_e32 vcc, 0, v1
	s_and_b64 s[10:11], vcc, s[10:11]
	s_and_b64 s[52:53], s[2:3], s[10:11]
	s_and_saveexec_b64 s[50:51], s[52:53]
	s_cbranch_execz .LBB232_16
; %bb.15:                               ;   in Loop: Header=BB232_14 Depth=1
	v_mov_b32_e32 v0, 0xff7fffff
	ds_write_b32 v18, v0
.LBB232_16:                             ;   in Loop: Header=BB232_14 Depth=1
	s_or_b64 exec, exec, s[50:51]
	s_xor_b64 s[50:51], s[10:11], -1
	s_and_saveexec_b64 s[10:11], s[50:51]
	s_cbranch_execz .LBB232_13
; %bb.17:                               ;   in Loop: Header=BB232_14 Depth=1
	global_load_dword v0, v[58:59], off
	buffer_load_dword v2, off, s[68:71], 0 offset:128 ; 4-byte Folded Reload
	buffer_load_dword v3, off, s[68:71], 0 offset:132 ; 4-byte Folded Reload
	v_pk_mov_b32 v[62:63], 0, 0
	s_waitcnt vmcnt(0)
	v_mad_i64_i32 v[0:1], s[50:51], v0, s63, v[2:3]
	buffer_load_dword v2, off, s[68:71], 0 offset:136 ; 4-byte Folded Reload
	buffer_load_dword v3, off, s[68:71], 0 offset:140 ; 4-byte Folded Reload
	s_waitcnt vmcnt(1)
	v_add_co_u32_e32 v72, vcc, v0, v2
	v_addc_co_u32_e32 v73, vcc, 0, v1, vcc
	global_load_ushort v1, v[72:73], off
	ds_read_b128 v[46:49], v16
	ds_read_b128 v[42:45], v16 offset:16
	ds_read_b128 v[38:41], v16 offset:32
	;; [unrolled: 1-line block ×6, first 2 shown]
	s_waitcnt vmcnt(1)
	ds_read_b128 v[2:5], v16 offset:112
	s_waitcnt lgkmcnt(0)
	buffer_store_dword v2, off, s[68:71], 0 offset:108 ; 4-byte Folded Spill
	s_nop 0
	buffer_store_dword v3, off, s[68:71], 0 offset:112 ; 4-byte Folded Spill
	buffer_store_dword v4, off, s[68:71], 0 offset:116 ; 4-byte Folded Spill
	buffer_store_dword v5, off, s[68:71], 0 offset:120 ; 4-byte Folded Spill
	ds_read_b128 v[2:5], v16 offset:128
	s_waitcnt lgkmcnt(0)
	buffer_store_dword v2, off, s[68:71], 0 offset:92 ; 4-byte Folded Spill
	s_nop 0
	buffer_store_dword v3, off, s[68:71], 0 offset:96 ; 4-byte Folded Spill
	buffer_store_dword v4, off, s[68:71], 0 offset:100 ; 4-byte Folded Spill
	buffer_store_dword v5, off, s[68:71], 0 offset:104 ; 4-byte Folded Spill
	;; [unrolled: 7-line block ×3, first 2 shown]
	ds_read_b128 v[2:5], v16 offset:160
	s_load_dword s16, s[12:13], 0x0
	s_waitcnt lgkmcnt(0)
	buffer_store_dword v2, off, s[68:71], 0 offset:76 ; 4-byte Folded Spill
	s_nop 0
	buffer_store_dword v3, off, s[68:71], 0 offset:80 ; 4-byte Folded Spill
	buffer_store_dword v4, off, s[68:71], 0 offset:84 ; 4-byte Folded Spill
	;; [unrolled: 1-line block ×3, first 2 shown]
	ds_read_b128 v[2:5], v16 offset:176
	s_waitcnt lgkmcnt(0)
	buffer_store_dword v2, off, s[68:71], 0 offset:44 ; 4-byte Folded Spill
	s_nop 0
	buffer_store_dword v3, off, s[68:71], 0 offset:48 ; 4-byte Folded Spill
	buffer_store_dword v4, off, s[68:71], 0 offset:52 ; 4-byte Folded Spill
	;; [unrolled: 1-line block ×3, first 2 shown]
	buffer_store_dword v62, off, s[68:71], 0 ; 4-byte Folded Spill
	s_nop 0
	buffer_store_dword v63, off, s[68:71], 0 offset:4 ; 4-byte Folded Spill
	s_waitcnt vmcnt(22)
	v_and_b32_e32 v0, 0xffff, v1
	v_cmp_ne_u16_sdwa s[52:53], v1, v53 src0_sel:BYTE_0 src1_sel:DWORD
	s_and_saveexec_b64 s[50:51], s[52:53]
	s_cbranch_execz .LBB232_23
; %bb.18:                               ;   in Loop: Header=BB232_14 Depth=1
	v_bfrev_b32_e32 v2, 1
	v_cmp_ne_u16_sdwa s[54:55], v0, s65 src0_sel:BYTE_0 src1_sel:DWORD
	v_mov_b32_e32 v3, 0
	buffer_store_dword v2, off, s[68:71], 0 ; 4-byte Folded Spill
	s_nop 0
	buffer_store_dword v3, off, s[68:71], 0 offset:4 ; 4-byte Folded Spill
	s_and_saveexec_b64 s[52:53], s[54:55]
	s_cbranch_execz .LBB232_22
; %bb.19:                               ;   in Loop: Header=BB232_14 Depth=1
	v_and_b32_e32 v1, 0x7f, v0
	v_mov_b32_e32 v2, 0x7f800001
	v_cmp_ne_u32_e32 vcc, s66, v1
	v_mov_b32_e32 v3, 0
	buffer_store_dword v2, off, s[68:71], 0 ; 4-byte Folded Spill
	s_nop 0
	buffer_store_dword v3, off, s[68:71], 0 offset:4 ; 4-byte Folded Spill
	s_and_saveexec_b64 s[54:55], vcc
	s_cbranch_execz .LBB232_21
; %bb.20:                               ;   in Loop: Header=BB232_14 Depth=1
	v_and_b32_e32 v4, 7, v0
	v_ffbh_u32_e32 v2, v4
	v_min_u32_e32 v6, 32, v2
	v_subrev_u32_e32 v2, 28, v6
	v_lshlrev_b64 v[2:3], v2, v[0:1]
	v_lshrrev_b32_e32 v5, 3, v1
	v_sub_u32_e32 v3, 29, v6
	v_and_b32_e32 v2, 7, v2
	v_cmp_gt_u32_e32 vcc, 8, v1
	v_cndmask_b32_e32 v1, v5, v3, vcc
	v_cndmask_b32_e32 v2, v4, v2, vcc
	v_bfrev_b32_e32 v4, 60
	v_lshlrev_b32_e32 v2, 20, v2
	v_and_b32_sdwa v3, sext(v0), s45 dst_sel:DWORD dst_unused:UNUSED_PAD src0_sel:BYTE_0 src1_sel:DWORD
	v_lshl_add_u32 v1, v1, 23, v4
	v_or3_b32 v52, v3, v1, v2
	buffer_store_dword v52, off, s[68:71], 0 ; 4-byte Folded Spill
	s_nop 0
	buffer_store_dword v53, off, s[68:71], 0 offset:4 ; 4-byte Folded Spill
.LBB232_21:                             ;   in Loop: Header=BB232_14 Depth=1
	s_or_b64 exec, exec, s[54:55]
.LBB232_22:                             ;   in Loop: Header=BB232_14 Depth=1
	s_or_b64 exec, exec, s[52:53]
.LBB232_23:                             ;   in Loop: Header=BB232_14 Depth=1
	s_or_b64 exec, exec, s[50:51]
	v_cmp_ne_u16_sdwa s[52:53], v0, v53 src0_sel:BYTE_1 src1_sel:DWORD
	s_and_saveexec_b64 s[50:51], s[52:53]
	s_cbranch_execz .LBB232_29
; %bb.24:                               ;   in Loop: Header=BB232_14 Depth=1
	v_cmp_ne_u16_sdwa s[54:55], v0, s65 src0_sel:BYTE_1 src1_sel:DWORD
	v_pk_mov_b32 v[62:63], s[44:45], s[44:45] op_sel:[0,1]
	s_and_saveexec_b64 s[52:53], s[54:55]
	s_cbranch_execz .LBB232_28
; %bb.25:                               ;   in Loop: Header=BB232_14 Depth=1
	v_and_b32_sdwa v1, v0, s66 dst_sel:DWORD dst_unused:UNUSED_PAD src0_sel:BYTE_1 src1_sel:DWORD
	s_mov_b32 s48, s44
	v_cmp_ne_u32_e32 vcc, s66, v1
	v_pk_mov_b32 v[62:63], s[48:49], s[48:49] op_sel:[0,1]
	s_and_saveexec_b64 s[54:55], vcc
	s_cbranch_execz .LBB232_27
; %bb.26:                               ;   in Loop: Header=BB232_14 Depth=1
	v_mov_b32_e32 v2, 7
	v_and_b32_sdwa v52, v0, v2 dst_sel:DWORD dst_unused:UNUSED_PAD src0_sel:BYTE_1 src1_sel:DWORD
	v_ffbh_u32_e32 v2, v52
	v_min_u32_e32 v5, 32, v2
	v_subrev_u32_e32 v2, 28, v5
	v_lshlrev_b64 v[2:3], v2, v[52:53]
	v_lshrrev_b32_e32 v4, 3, v1
	v_sub_u32_e32 v3, 29, v5
	v_cmp_gt_u32_e32 vcc, 8, v1
	v_and_b32_e32 v2, 7, v2
	v_cndmask_b32_e32 v1, v4, v3, vcc
	v_bfrev_b32_e32 v3, 60
	v_cndmask_b32_e32 v2, v52, v2, vcc
	v_lshlrev_b32_e32 v0, 16, v0
	v_lshl_add_u32 v1, v1, 23, v3
	v_and_or_b32 v0, v0, s45, v1
	v_lshlrev_b32_e32 v1, 20, v2
	v_or_b32_e32 v63, v0, v1
	v_mov_b32_e32 v62, v53
.LBB232_27:                             ;   in Loop: Header=BB232_14 Depth=1
	s_or_b64 exec, exec, s[54:55]
.LBB232_28:                             ;   in Loop: Header=BB232_14 Depth=1
	s_or_b64 exec, exec, s[52:53]
.LBB232_29:                             ;   in Loop: Header=BB232_14 Depth=1
	s_or_b64 exec, exec, s[50:51]
	global_load_ushort v1, v[72:73], off offset:4
	v_pk_mov_b32 v[64:65], 0, 0
	buffer_store_dword v64, off, s[68:71], 0 offset:8 ; 4-byte Folded Spill
	s_nop 0
	buffer_store_dword v65, off, s[68:71], 0 offset:12 ; 4-byte Folded Spill
	s_waitcnt vmcnt(2)
	v_and_b32_e32 v0, 0xffff, v1
	v_cmp_ne_u16_sdwa s[52:53], v1, v53 src0_sel:BYTE_0 src1_sel:DWORD
	s_and_saveexec_b64 s[50:51], s[52:53]
	s_cbranch_execz .LBB232_35
; %bb.30:                               ;   in Loop: Header=BB232_14 Depth=1
	v_bfrev_b32_e32 v2, 1
	v_cmp_ne_u16_sdwa s[54:55], v0, s65 src0_sel:BYTE_0 src1_sel:DWORD
	v_mov_b32_e32 v3, 0
	buffer_store_dword v2, off, s[68:71], 0 offset:8 ; 4-byte Folded Spill
	s_nop 0
	buffer_store_dword v3, off, s[68:71], 0 offset:12 ; 4-byte Folded Spill
	s_and_saveexec_b64 s[52:53], s[54:55]
	s_cbranch_execz .LBB232_34
; %bb.31:                               ;   in Loop: Header=BB232_14 Depth=1
	v_and_b32_e32 v1, 0x7f, v0
	v_mov_b32_e32 v2, 0x7f800001
	v_cmp_ne_u32_e32 vcc, s66, v1
	v_mov_b32_e32 v3, 0
	buffer_store_dword v2, off, s[68:71], 0 offset:8 ; 4-byte Folded Spill
	s_nop 0
	buffer_store_dword v3, off, s[68:71], 0 offset:12 ; 4-byte Folded Spill
	s_and_saveexec_b64 s[54:55], vcc
	s_cbranch_execz .LBB232_33
; %bb.32:                               ;   in Loop: Header=BB232_14 Depth=1
	v_and_b32_e32 v4, 7, v0
	v_ffbh_u32_e32 v2, v4
	v_min_u32_e32 v6, 32, v2
	v_subrev_u32_e32 v2, 28, v6
	v_lshlrev_b64 v[2:3], v2, v[0:1]
	v_lshrrev_b32_e32 v5, 3, v1
	v_sub_u32_e32 v3, 29, v6
	v_and_b32_e32 v2, 7, v2
	v_cmp_gt_u32_e32 vcc, 8, v1
	v_cndmask_b32_e32 v1, v5, v3, vcc
	v_cndmask_b32_e32 v2, v4, v2, vcc
	v_bfrev_b32_e32 v4, 60
	v_lshlrev_b32_e32 v2, 20, v2
	v_and_b32_sdwa v3, sext(v0), s45 dst_sel:DWORD dst_unused:UNUSED_PAD src0_sel:BYTE_0 src1_sel:DWORD
	v_lshl_add_u32 v1, v1, 23, v4
	v_or3_b32 v52, v3, v1, v2
	buffer_store_dword v52, off, s[68:71], 0 offset:8 ; 4-byte Folded Spill
	s_nop 0
	buffer_store_dword v53, off, s[68:71], 0 offset:12 ; 4-byte Folded Spill
.LBB232_33:                             ;   in Loop: Header=BB232_14 Depth=1
	s_or_b64 exec, exec, s[54:55]
.LBB232_34:                             ;   in Loop: Header=BB232_14 Depth=1
	s_or_b64 exec, exec, s[52:53]
.LBB232_35:                             ;   in Loop: Header=BB232_14 Depth=1
	s_or_b64 exec, exec, s[50:51]
	v_cmp_ne_u16_sdwa s[52:53], v0, v53 src0_sel:BYTE_1 src1_sel:DWORD
	s_and_saveexec_b64 s[50:51], s[52:53]
	s_cbranch_execz .LBB232_41
; %bb.36:                               ;   in Loop: Header=BB232_14 Depth=1
	v_cmp_ne_u16_sdwa s[54:55], v0, s65 src0_sel:BYTE_1 src1_sel:DWORD
	v_pk_mov_b32 v[64:65], s[44:45], s[44:45] op_sel:[0,1]
	s_and_saveexec_b64 s[52:53], s[54:55]
	s_cbranch_execz .LBB232_40
; %bb.37:                               ;   in Loop: Header=BB232_14 Depth=1
	v_and_b32_sdwa v1, v0, s66 dst_sel:DWORD dst_unused:UNUSED_PAD src0_sel:BYTE_1 src1_sel:DWORD
	s_mov_b32 s48, s44
	v_cmp_ne_u32_e32 vcc, s66, v1
	v_pk_mov_b32 v[64:65], s[48:49], s[48:49] op_sel:[0,1]
	s_and_saveexec_b64 s[54:55], vcc
	s_cbranch_execz .LBB232_39
; %bb.38:                               ;   in Loop: Header=BB232_14 Depth=1
	v_mov_b32_e32 v2, 7
	v_and_b32_sdwa v52, v0, v2 dst_sel:DWORD dst_unused:UNUSED_PAD src0_sel:BYTE_1 src1_sel:DWORD
	v_ffbh_u32_e32 v2, v52
	v_min_u32_e32 v5, 32, v2
	v_subrev_u32_e32 v2, 28, v5
	v_lshlrev_b64 v[2:3], v2, v[52:53]
	v_lshrrev_b32_e32 v4, 3, v1
	v_sub_u32_e32 v3, 29, v5
	v_cmp_gt_u32_e32 vcc, 8, v1
	v_and_b32_e32 v2, 7, v2
	v_cndmask_b32_e32 v1, v4, v3, vcc
	v_bfrev_b32_e32 v3, 60
	v_cndmask_b32_e32 v2, v52, v2, vcc
	v_lshlrev_b32_e32 v0, 16, v0
	v_lshl_add_u32 v1, v1, 23, v3
	v_and_or_b32 v0, v0, s45, v1
	v_lshlrev_b32_e32 v1, 20, v2
	v_or_b32_e32 v65, v0, v1
	v_mov_b32_e32 v64, v53
.LBB232_39:                             ;   in Loop: Header=BB232_14 Depth=1
	s_or_b64 exec, exec, s[54:55]
.LBB232_40:                             ;   in Loop: Header=BB232_14 Depth=1
	s_or_b64 exec, exec, s[52:53]
.LBB232_41:                             ;   in Loop: Header=BB232_14 Depth=1
	s_or_b64 exec, exec, s[50:51]
	global_load_ushort v1, v[72:73], off offset:8
	v_pk_mov_b32 v[68:69], 0, 0
	buffer_store_dword v68, off, s[68:71], 0 offset:16 ; 4-byte Folded Spill
	s_nop 0
	buffer_store_dword v69, off, s[68:71], 0 offset:20 ; 4-byte Folded Spill
	s_waitcnt vmcnt(2)
	v_and_b32_e32 v0, 0xffff, v1
	v_cmp_ne_u16_sdwa s[52:53], v1, v53 src0_sel:BYTE_0 src1_sel:DWORD
	s_and_saveexec_b64 s[50:51], s[52:53]
	s_cbranch_execz .LBB232_47
; %bb.42:                               ;   in Loop: Header=BB232_14 Depth=1
	v_bfrev_b32_e32 v2, 1
	v_cmp_ne_u16_sdwa s[54:55], v0, s65 src0_sel:BYTE_0 src1_sel:DWORD
	v_mov_b32_e32 v3, 0
	buffer_store_dword v2, off, s[68:71], 0 offset:16 ; 4-byte Folded Spill
	s_nop 0
	buffer_store_dword v3, off, s[68:71], 0 offset:20 ; 4-byte Folded Spill
	s_and_saveexec_b64 s[52:53], s[54:55]
	s_cbranch_execz .LBB232_46
; %bb.43:                               ;   in Loop: Header=BB232_14 Depth=1
	v_and_b32_e32 v1, 0x7f, v0
	v_mov_b32_e32 v2, 0x7f800001
	v_cmp_ne_u32_e32 vcc, s66, v1
	v_mov_b32_e32 v3, 0
	buffer_store_dword v2, off, s[68:71], 0 offset:16 ; 4-byte Folded Spill
	s_nop 0
	buffer_store_dword v3, off, s[68:71], 0 offset:20 ; 4-byte Folded Spill
	s_and_saveexec_b64 s[54:55], vcc
	s_cbranch_execz .LBB232_45
; %bb.44:                               ;   in Loop: Header=BB232_14 Depth=1
	v_and_b32_e32 v4, 7, v0
	v_ffbh_u32_e32 v2, v4
	v_min_u32_e32 v6, 32, v2
	v_subrev_u32_e32 v2, 28, v6
	v_lshlrev_b64 v[2:3], v2, v[0:1]
	v_lshrrev_b32_e32 v5, 3, v1
	v_sub_u32_e32 v3, 29, v6
	v_and_b32_e32 v2, 7, v2
	v_cmp_gt_u32_e32 vcc, 8, v1
	v_cndmask_b32_e32 v1, v5, v3, vcc
	v_cndmask_b32_e32 v2, v4, v2, vcc
	v_bfrev_b32_e32 v4, 60
	v_lshlrev_b32_e32 v2, 20, v2
	v_and_b32_sdwa v3, sext(v0), s45 dst_sel:DWORD dst_unused:UNUSED_PAD src0_sel:BYTE_0 src1_sel:DWORD
	v_lshl_add_u32 v1, v1, 23, v4
	v_or3_b32 v52, v3, v1, v2
	buffer_store_dword v52, off, s[68:71], 0 offset:16 ; 4-byte Folded Spill
	s_nop 0
	buffer_store_dword v53, off, s[68:71], 0 offset:20 ; 4-byte Folded Spill
.LBB232_45:                             ;   in Loop: Header=BB232_14 Depth=1
	s_or_b64 exec, exec, s[54:55]
.LBB232_46:                             ;   in Loop: Header=BB232_14 Depth=1
	s_or_b64 exec, exec, s[52:53]
.LBB232_47:                             ;   in Loop: Header=BB232_14 Depth=1
	s_or_b64 exec, exec, s[50:51]
	v_cmp_ne_u16_sdwa s[52:53], v0, v53 src0_sel:BYTE_1 src1_sel:DWORD
	s_and_saveexec_b64 s[50:51], s[52:53]
	s_cbranch_execz .LBB232_53
; %bb.48:                               ;   in Loop: Header=BB232_14 Depth=1
	v_cmp_ne_u16_sdwa s[54:55], v0, s65 src0_sel:BYTE_1 src1_sel:DWORD
	v_pk_mov_b32 v[68:69], s[44:45], s[44:45] op_sel:[0,1]
	s_and_saveexec_b64 s[52:53], s[54:55]
	s_cbranch_execz .LBB232_52
; %bb.49:                               ;   in Loop: Header=BB232_14 Depth=1
	v_and_b32_sdwa v1, v0, s66 dst_sel:DWORD dst_unused:UNUSED_PAD src0_sel:BYTE_1 src1_sel:DWORD
	s_mov_b32 s48, s44
	v_cmp_ne_u32_e32 vcc, s66, v1
	v_pk_mov_b32 v[68:69], s[48:49], s[48:49] op_sel:[0,1]
	s_and_saveexec_b64 s[54:55], vcc
	s_cbranch_execz .LBB232_51
; %bb.50:                               ;   in Loop: Header=BB232_14 Depth=1
	v_mov_b32_e32 v2, 7
	v_and_b32_sdwa v52, v0, v2 dst_sel:DWORD dst_unused:UNUSED_PAD src0_sel:BYTE_1 src1_sel:DWORD
	v_ffbh_u32_e32 v2, v52
	v_min_u32_e32 v5, 32, v2
	v_subrev_u32_e32 v2, 28, v5
	v_lshlrev_b64 v[2:3], v2, v[52:53]
	v_lshrrev_b32_e32 v4, 3, v1
	v_sub_u32_e32 v3, 29, v5
	v_cmp_gt_u32_e32 vcc, 8, v1
	v_and_b32_e32 v2, 7, v2
	v_cndmask_b32_e32 v1, v4, v3, vcc
	v_bfrev_b32_e32 v3, 60
	v_cndmask_b32_e32 v2, v52, v2, vcc
	v_lshlrev_b32_e32 v0, 16, v0
	v_lshl_add_u32 v1, v1, 23, v3
	v_and_or_b32 v0, v0, s45, v1
	v_lshlrev_b32_e32 v1, 20, v2
	v_or_b32_e32 v69, v0, v1
	v_mov_b32_e32 v68, v53
.LBB232_51:                             ;   in Loop: Header=BB232_14 Depth=1
	s_or_b64 exec, exec, s[54:55]
.LBB232_52:                             ;   in Loop: Header=BB232_14 Depth=1
	s_or_b64 exec, exec, s[52:53]
.LBB232_53:                             ;   in Loop: Header=BB232_14 Depth=1
	s_or_b64 exec, exec, s[50:51]
	global_load_ushort v1, v[72:73], off offset:12
	v_pk_mov_b32 v[74:75], 0, 0
	buffer_store_dword v74, off, s[68:71], 0 offset:24 ; 4-byte Folded Spill
	s_nop 0
	buffer_store_dword v75, off, s[68:71], 0 offset:28 ; 4-byte Folded Spill
	s_waitcnt vmcnt(2)
	v_and_b32_e32 v0, 0xffff, v1
	v_cmp_ne_u16_sdwa s[52:53], v1, v53 src0_sel:BYTE_0 src1_sel:DWORD
	s_and_saveexec_b64 s[50:51], s[52:53]
	s_cbranch_execz .LBB232_59
; %bb.54:                               ;   in Loop: Header=BB232_14 Depth=1
	v_bfrev_b32_e32 v2, 1
	v_cmp_ne_u16_sdwa s[54:55], v0, s65 src0_sel:BYTE_0 src1_sel:DWORD
	v_mov_b32_e32 v3, 0
	buffer_store_dword v2, off, s[68:71], 0 offset:24 ; 4-byte Folded Spill
	s_nop 0
	buffer_store_dword v3, off, s[68:71], 0 offset:28 ; 4-byte Folded Spill
	s_and_saveexec_b64 s[52:53], s[54:55]
	s_cbranch_execz .LBB232_58
; %bb.55:                               ;   in Loop: Header=BB232_14 Depth=1
	v_and_b32_e32 v1, 0x7f, v0
	v_mov_b32_e32 v2, 0x7f800001
	v_cmp_ne_u32_e32 vcc, s66, v1
	v_mov_b32_e32 v3, 0
	buffer_store_dword v2, off, s[68:71], 0 offset:24 ; 4-byte Folded Spill
	s_nop 0
	buffer_store_dword v3, off, s[68:71], 0 offset:28 ; 4-byte Folded Spill
	s_and_saveexec_b64 s[54:55], vcc
	s_cbranch_execz .LBB232_57
; %bb.56:                               ;   in Loop: Header=BB232_14 Depth=1
	v_and_b32_e32 v4, 7, v0
	v_ffbh_u32_e32 v2, v4
	v_min_u32_e32 v6, 32, v2
	v_subrev_u32_e32 v2, 28, v6
	v_lshlrev_b64 v[2:3], v2, v[0:1]
	v_lshrrev_b32_e32 v5, 3, v1
	v_sub_u32_e32 v3, 29, v6
	v_and_b32_e32 v2, 7, v2
	v_cmp_gt_u32_e32 vcc, 8, v1
	v_cndmask_b32_e32 v1, v5, v3, vcc
	v_cndmask_b32_e32 v2, v4, v2, vcc
	v_bfrev_b32_e32 v4, 60
	v_lshlrev_b32_e32 v2, 20, v2
	v_and_b32_sdwa v3, sext(v0), s45 dst_sel:DWORD dst_unused:UNUSED_PAD src0_sel:BYTE_0 src1_sel:DWORD
	v_lshl_add_u32 v1, v1, 23, v4
	v_or3_b32 v52, v3, v1, v2
	buffer_store_dword v52, off, s[68:71], 0 offset:24 ; 4-byte Folded Spill
	s_nop 0
	buffer_store_dword v53, off, s[68:71], 0 offset:28 ; 4-byte Folded Spill
.LBB232_57:                             ;   in Loop: Header=BB232_14 Depth=1
	s_or_b64 exec, exec, s[54:55]
.LBB232_58:                             ;   in Loop: Header=BB232_14 Depth=1
	s_or_b64 exec, exec, s[52:53]
.LBB232_59:                             ;   in Loop: Header=BB232_14 Depth=1
	s_or_b64 exec, exec, s[50:51]
	v_cmp_ne_u16_sdwa s[52:53], v0, v53 src0_sel:BYTE_1 src1_sel:DWORD
	s_and_saveexec_b64 s[50:51], s[52:53]
	s_cbranch_execz .LBB232_65
; %bb.60:                               ;   in Loop: Header=BB232_14 Depth=1
	v_cmp_ne_u16_sdwa s[54:55], v0, s65 src0_sel:BYTE_1 src1_sel:DWORD
	v_pk_mov_b32 v[74:75], s[44:45], s[44:45] op_sel:[0,1]
	s_and_saveexec_b64 s[52:53], s[54:55]
	s_cbranch_execz .LBB232_64
; %bb.61:                               ;   in Loop: Header=BB232_14 Depth=1
	v_and_b32_sdwa v1, v0, s66 dst_sel:DWORD dst_unused:UNUSED_PAD src0_sel:BYTE_1 src1_sel:DWORD
	s_mov_b32 s48, s44
	v_cmp_ne_u32_e32 vcc, s66, v1
	v_pk_mov_b32 v[74:75], s[48:49], s[48:49] op_sel:[0,1]
	s_and_saveexec_b64 s[54:55], vcc
	s_cbranch_execz .LBB232_63
; %bb.62:                               ;   in Loop: Header=BB232_14 Depth=1
	v_mov_b32_e32 v2, 7
	v_and_b32_sdwa v52, v0, v2 dst_sel:DWORD dst_unused:UNUSED_PAD src0_sel:BYTE_1 src1_sel:DWORD
	v_ffbh_u32_e32 v2, v52
	v_min_u32_e32 v5, 32, v2
	v_subrev_u32_e32 v2, 28, v5
	v_lshlrev_b64 v[2:3], v2, v[52:53]
	v_lshrrev_b32_e32 v4, 3, v1
	v_sub_u32_e32 v3, 29, v5
	v_cmp_gt_u32_e32 vcc, 8, v1
	v_and_b32_e32 v2, 7, v2
	v_cndmask_b32_e32 v1, v4, v3, vcc
	v_bfrev_b32_e32 v3, 60
	v_cndmask_b32_e32 v2, v52, v2, vcc
	v_lshlrev_b32_e32 v0, 16, v0
	v_lshl_add_u32 v1, v1, 23, v3
	v_and_or_b32 v0, v0, s45, v1
	v_lshlrev_b32_e32 v1, 20, v2
	v_or_b32_e32 v75, v0, v1
	v_mov_b32_e32 v74, v53
.LBB232_63:                             ;   in Loop: Header=BB232_14 Depth=1
	s_or_b64 exec, exec, s[54:55]
.LBB232_64:                             ;   in Loop: Header=BB232_14 Depth=1
	s_or_b64 exec, exec, s[52:53]
.LBB232_65:                             ;   in Loop: Header=BB232_14 Depth=1
	s_or_b64 exec, exec, s[50:51]
	global_load_ushort v1, v[72:73], off offset:512
	v_pk_mov_b32 v[78:79], 0, 0
	buffer_store_dword v78, off, s[68:71], 0 offset:32 ; 4-byte Folded Spill
	s_nop 0
	buffer_store_dword v79, off, s[68:71], 0 offset:36 ; 4-byte Folded Spill
	s_waitcnt vmcnt(2)
	v_and_b32_e32 v0, 0xffff, v1
	v_cmp_ne_u16_sdwa s[52:53], v1, v53 src0_sel:BYTE_0 src1_sel:DWORD
	s_and_saveexec_b64 s[50:51], s[52:53]
	s_cbranch_execz .LBB232_71
; %bb.66:                               ;   in Loop: Header=BB232_14 Depth=1
	v_bfrev_b32_e32 v2, 1
	v_cmp_ne_u16_sdwa s[54:55], v0, s65 src0_sel:BYTE_0 src1_sel:DWORD
	v_mov_b32_e32 v3, 0
	buffer_store_dword v2, off, s[68:71], 0 offset:32 ; 4-byte Folded Spill
	s_nop 0
	buffer_store_dword v3, off, s[68:71], 0 offset:36 ; 4-byte Folded Spill
	s_and_saveexec_b64 s[52:53], s[54:55]
	s_cbranch_execz .LBB232_70
; %bb.67:                               ;   in Loop: Header=BB232_14 Depth=1
	v_and_b32_e32 v1, 0x7f, v0
	v_mov_b32_e32 v2, 0x7f800001
	v_cmp_ne_u32_e32 vcc, s66, v1
	v_mov_b32_e32 v3, 0
	buffer_store_dword v2, off, s[68:71], 0 offset:32 ; 4-byte Folded Spill
	s_nop 0
	buffer_store_dword v3, off, s[68:71], 0 offset:36 ; 4-byte Folded Spill
	s_and_saveexec_b64 s[54:55], vcc
	s_cbranch_execz .LBB232_69
; %bb.68:                               ;   in Loop: Header=BB232_14 Depth=1
	v_and_b32_e32 v4, 7, v0
	v_ffbh_u32_e32 v2, v4
	v_min_u32_e32 v6, 32, v2
	v_subrev_u32_e32 v2, 28, v6
	v_lshlrev_b64 v[2:3], v2, v[0:1]
	v_lshrrev_b32_e32 v5, 3, v1
	v_sub_u32_e32 v3, 29, v6
	v_and_b32_e32 v2, 7, v2
	v_cmp_gt_u32_e32 vcc, 8, v1
	v_cndmask_b32_e32 v1, v5, v3, vcc
	v_cndmask_b32_e32 v2, v4, v2, vcc
	v_bfrev_b32_e32 v4, 60
	v_lshlrev_b32_e32 v2, 20, v2
	v_and_b32_sdwa v3, sext(v0), s45 dst_sel:DWORD dst_unused:UNUSED_PAD src0_sel:BYTE_0 src1_sel:DWORD
	v_lshl_add_u32 v1, v1, 23, v4
	v_or3_b32 v52, v3, v1, v2
	buffer_store_dword v52, off, s[68:71], 0 offset:32 ; 4-byte Folded Spill
	s_nop 0
	buffer_store_dword v53, off, s[68:71], 0 offset:36 ; 4-byte Folded Spill
.LBB232_69:                             ;   in Loop: Header=BB232_14 Depth=1
	s_or_b64 exec, exec, s[54:55]
.LBB232_70:                             ;   in Loop: Header=BB232_14 Depth=1
	s_or_b64 exec, exec, s[52:53]
.LBB232_71:                             ;   in Loop: Header=BB232_14 Depth=1
	s_or_b64 exec, exec, s[50:51]
	v_cmp_ne_u16_sdwa s[52:53], v0, v53 src0_sel:BYTE_1 src1_sel:DWORD
	s_and_saveexec_b64 s[50:51], s[52:53]
	s_cbranch_execz .LBB232_77
; %bb.72:                               ;   in Loop: Header=BB232_14 Depth=1
	v_cmp_ne_u16_sdwa s[54:55], v0, s65 src0_sel:BYTE_1 src1_sel:DWORD
	v_pk_mov_b32 v[78:79], s[44:45], s[44:45] op_sel:[0,1]
	s_and_saveexec_b64 s[52:53], s[54:55]
	s_cbranch_execz .LBB232_76
; %bb.73:                               ;   in Loop: Header=BB232_14 Depth=1
	v_and_b32_sdwa v1, v0, s66 dst_sel:DWORD dst_unused:UNUSED_PAD src0_sel:BYTE_1 src1_sel:DWORD
	s_mov_b32 s48, s44
	v_cmp_ne_u32_e32 vcc, s66, v1
	v_pk_mov_b32 v[78:79], s[48:49], s[48:49] op_sel:[0,1]
	s_and_saveexec_b64 s[54:55], vcc
	s_cbranch_execz .LBB232_75
; %bb.74:                               ;   in Loop: Header=BB232_14 Depth=1
	v_mov_b32_e32 v2, 7
	v_and_b32_sdwa v52, v0, v2 dst_sel:DWORD dst_unused:UNUSED_PAD src0_sel:BYTE_1 src1_sel:DWORD
	v_ffbh_u32_e32 v2, v52
	v_min_u32_e32 v5, 32, v2
	v_subrev_u32_e32 v2, 28, v5
	v_lshlrev_b64 v[2:3], v2, v[52:53]
	v_lshrrev_b32_e32 v4, 3, v1
	v_sub_u32_e32 v3, 29, v5
	v_cmp_gt_u32_e32 vcc, 8, v1
	v_and_b32_e32 v2, 7, v2
	v_cndmask_b32_e32 v1, v4, v3, vcc
	v_bfrev_b32_e32 v3, 60
	v_cndmask_b32_e32 v2, v52, v2, vcc
	v_lshlrev_b32_e32 v0, 16, v0
	v_lshl_add_u32 v1, v1, 23, v3
	v_and_or_b32 v0, v0, s45, v1
	v_lshlrev_b32_e32 v1, 20, v2
	v_or_b32_e32 v79, v0, v1
	v_mov_b32_e32 v78, v53
.LBB232_75:                             ;   in Loop: Header=BB232_14 Depth=1
	s_or_b64 exec, exec, s[54:55]
.LBB232_76:                             ;   in Loop: Header=BB232_14 Depth=1
	s_or_b64 exec, exec, s[52:53]
.LBB232_77:                             ;   in Loop: Header=BB232_14 Depth=1
	s_or_b64 exec, exec, s[50:51]
	global_load_ushort v1, v[72:73], off offset:516
	v_pk_mov_b32 v[82:83], 0, 0
	v_pk_mov_b32 v[84:85], v[82:83], v[82:83] op_sel:[0,1]
	s_waitcnt vmcnt(0)
	v_and_b32_e32 v0, 0xffff, v1
	v_cmp_ne_u16_sdwa s[52:53], v1, v53 src0_sel:BYTE_0 src1_sel:DWORD
	s_and_saveexec_b64 s[50:51], s[52:53]
	s_cbranch_execz .LBB232_83
; %bb.78:                               ;   in Loop: Header=BB232_14 Depth=1
	v_bfrev_b32_e32 v84, 1
	v_cmp_ne_u16_sdwa s[54:55], v0, s65 src0_sel:BYTE_0 src1_sel:DWORD
	v_mov_b32_e32 v85, 0
	s_and_saveexec_b64 s[52:53], s[54:55]
	s_cbranch_execz .LBB232_82
; %bb.79:                               ;   in Loop: Header=BB232_14 Depth=1
	v_and_b32_e32 v1, 0x7f, v0
	v_mov_b32_e32 v84, 0x7f800001
	v_cmp_ne_u32_e32 vcc, s66, v1
	v_mov_b32_e32 v85, 0
	s_and_saveexec_b64 s[54:55], vcc
	s_cbranch_execz .LBB232_81
; %bb.80:                               ;   in Loop: Header=BB232_14 Depth=1
	v_and_b32_e32 v4, 7, v0
	v_ffbh_u32_e32 v2, v4
	v_min_u32_e32 v6, 32, v2
	v_subrev_u32_e32 v2, 28, v6
	v_lshlrev_b64 v[2:3], v2, v[0:1]
	v_lshrrev_b32_e32 v5, 3, v1
	v_sub_u32_e32 v3, 29, v6
	v_and_b32_e32 v2, 7, v2
	v_cmp_gt_u32_e32 vcc, 8, v1
	v_cndmask_b32_e32 v1, v5, v3, vcc
	v_cndmask_b32_e32 v2, v4, v2, vcc
	v_bfrev_b32_e32 v4, 60
	v_lshlrev_b32_e32 v2, 20, v2
	v_and_b32_sdwa v3, sext(v0), s45 dst_sel:DWORD dst_unused:UNUSED_PAD src0_sel:BYTE_0 src1_sel:DWORD
	v_lshl_add_u32 v1, v1, 23, v4
	v_or3_b32 v52, v3, v1, v2
	v_pk_mov_b32 v[84:85], v[52:53], v[52:53] op_sel:[0,1]
.LBB232_81:                             ;   in Loop: Header=BB232_14 Depth=1
	s_or_b64 exec, exec, s[54:55]
.LBB232_82:                             ;   in Loop: Header=BB232_14 Depth=1
	s_or_b64 exec, exec, s[52:53]
.LBB232_83:                             ;   in Loop: Header=BB232_14 Depth=1
	s_or_b64 exec, exec, s[50:51]
	v_cmp_ne_u16_sdwa s[52:53], v0, v53 src0_sel:BYTE_1 src1_sel:DWORD
	s_and_saveexec_b64 s[50:51], s[52:53]
	s_cbranch_execz .LBB232_89
; %bb.84:                               ;   in Loop: Header=BB232_14 Depth=1
	v_cmp_ne_u16_sdwa s[54:55], v0, s65 src0_sel:BYTE_1 src1_sel:DWORD
	v_pk_mov_b32 v[82:83], s[44:45], s[44:45] op_sel:[0,1]
	s_and_saveexec_b64 s[52:53], s[54:55]
	s_cbranch_execz .LBB232_88
; %bb.85:                               ;   in Loop: Header=BB232_14 Depth=1
	v_and_b32_sdwa v1, v0, s66 dst_sel:DWORD dst_unused:UNUSED_PAD src0_sel:BYTE_1 src1_sel:DWORD
	s_mov_b32 s48, s44
	v_cmp_ne_u32_e32 vcc, s66, v1
	v_pk_mov_b32 v[82:83], s[48:49], s[48:49] op_sel:[0,1]
	s_and_saveexec_b64 s[54:55], vcc
	s_cbranch_execz .LBB232_87
; %bb.86:                               ;   in Loop: Header=BB232_14 Depth=1
	v_mov_b32_e32 v2, 7
	v_and_b32_sdwa v52, v0, v2 dst_sel:DWORD dst_unused:UNUSED_PAD src0_sel:BYTE_1 src1_sel:DWORD
	v_ffbh_u32_e32 v2, v52
	v_min_u32_e32 v5, 32, v2
	v_subrev_u32_e32 v2, 28, v5
	v_lshlrev_b64 v[2:3], v2, v[52:53]
	v_lshrrev_b32_e32 v4, 3, v1
	v_sub_u32_e32 v3, 29, v5
	v_cmp_gt_u32_e32 vcc, 8, v1
	v_and_b32_e32 v2, 7, v2
	v_cndmask_b32_e32 v1, v4, v3, vcc
	v_bfrev_b32_e32 v3, 60
	v_cndmask_b32_e32 v2, v52, v2, vcc
	v_lshlrev_b32_e32 v0, 16, v0
	v_lshl_add_u32 v1, v1, 23, v3
	v_and_or_b32 v0, v0, s45, v1
	v_lshlrev_b32_e32 v1, 20, v2
	v_or_b32_e32 v83, v0, v1
	v_mov_b32_e32 v82, v53
.LBB232_87:                             ;   in Loop: Header=BB232_14 Depth=1
	s_or_b64 exec, exec, s[54:55]
.LBB232_88:                             ;   in Loop: Header=BB232_14 Depth=1
	s_or_b64 exec, exec, s[52:53]
.LBB232_89:                             ;   in Loop: Header=BB232_14 Depth=1
	s_or_b64 exec, exec, s[50:51]
	v_add_co_u32_e32 v0, vcc, 0x200, v72
	v_addc_co_u32_e32 v1, vcc, 0, v73, vcc
	global_load_ushort v3, v[0:1], off offset:8
	v_pk_mov_b32 v[86:87], 0, 0
	v_pk_mov_b32 v[88:89], v[86:87], v[86:87] op_sel:[0,1]
	s_waitcnt vmcnt(0)
	v_and_b32_e32 v2, 0xffff, v3
	v_cmp_ne_u16_sdwa s[52:53], v3, v53 src0_sel:BYTE_0 src1_sel:DWORD
	s_and_saveexec_b64 s[50:51], s[52:53]
	s_cbranch_execz .LBB232_95
; %bb.90:                               ;   in Loop: Header=BB232_14 Depth=1
	v_bfrev_b32_e32 v88, 1
	v_cmp_ne_u16_sdwa s[54:55], v2, s65 src0_sel:BYTE_0 src1_sel:DWORD
	v_mov_b32_e32 v89, 0
	s_and_saveexec_b64 s[52:53], s[54:55]
	s_cbranch_execz .LBB232_94
; %bb.91:                               ;   in Loop: Header=BB232_14 Depth=1
	v_and_b32_e32 v3, 0x7f, v2
	v_mov_b32_e32 v88, 0x7f800001
	v_cmp_ne_u32_e32 vcc, s66, v3
	v_mov_b32_e32 v89, 0
	s_and_saveexec_b64 s[54:55], vcc
	s_cbranch_execz .LBB232_93
; %bb.92:                               ;   in Loop: Header=BB232_14 Depth=1
	v_and_b32_e32 v6, 7, v2
	v_ffbh_u32_e32 v4, v6
	v_min_u32_e32 v8, 32, v4
	v_subrev_u32_e32 v4, 28, v8
	v_lshlrev_b64 v[4:5], v4, v[2:3]
	v_lshrrev_b32_e32 v7, 3, v3
	v_sub_u32_e32 v5, 29, v8
	v_and_b32_e32 v4, 7, v4
	v_cmp_gt_u32_e32 vcc, 8, v3
	v_cndmask_b32_e32 v3, v7, v5, vcc
	v_cndmask_b32_e32 v4, v6, v4, vcc
	v_bfrev_b32_e32 v6, 60
	v_lshlrev_b32_e32 v4, 20, v4
	v_and_b32_sdwa v5, sext(v2), s45 dst_sel:DWORD dst_unused:UNUSED_PAD src0_sel:BYTE_0 src1_sel:DWORD
	v_lshl_add_u32 v3, v3, 23, v6
	v_or3_b32 v52, v5, v3, v4
	v_pk_mov_b32 v[88:89], v[52:53], v[52:53] op_sel:[0,1]
.LBB232_93:                             ;   in Loop: Header=BB232_14 Depth=1
	s_or_b64 exec, exec, s[54:55]
.LBB232_94:                             ;   in Loop: Header=BB232_14 Depth=1
	s_or_b64 exec, exec, s[52:53]
.LBB232_95:                             ;   in Loop: Header=BB232_14 Depth=1
	s_or_b64 exec, exec, s[50:51]
	v_cmp_ne_u16_sdwa s[52:53], v2, v53 src0_sel:BYTE_1 src1_sel:DWORD
	s_and_saveexec_b64 s[50:51], s[52:53]
	s_cbranch_execz .LBB232_101
; %bb.96:                               ;   in Loop: Header=BB232_14 Depth=1
	v_cmp_ne_u16_sdwa s[54:55], v2, s65 src0_sel:BYTE_1 src1_sel:DWORD
	v_pk_mov_b32 v[86:87], s[44:45], s[44:45] op_sel:[0,1]
	s_and_saveexec_b64 s[52:53], s[54:55]
	s_cbranch_execz .LBB232_100
; %bb.97:                               ;   in Loop: Header=BB232_14 Depth=1
	v_and_b32_sdwa v3, v2, s66 dst_sel:DWORD dst_unused:UNUSED_PAD src0_sel:BYTE_1 src1_sel:DWORD
	s_mov_b32 s48, s44
	v_cmp_ne_u32_e32 vcc, s66, v3
	v_pk_mov_b32 v[86:87], s[48:49], s[48:49] op_sel:[0,1]
	s_and_saveexec_b64 s[54:55], vcc
	s_cbranch_execz .LBB232_99
; %bb.98:                               ;   in Loop: Header=BB232_14 Depth=1
	v_mov_b32_e32 v4, 7
	v_and_b32_sdwa v52, v2, v4 dst_sel:DWORD dst_unused:UNUSED_PAD src0_sel:BYTE_1 src1_sel:DWORD
	v_ffbh_u32_e32 v4, v52
	v_min_u32_e32 v7, 32, v4
	v_subrev_u32_e32 v4, 28, v7
	v_lshlrev_b64 v[4:5], v4, v[52:53]
	v_lshrrev_b32_e32 v6, 3, v3
	v_sub_u32_e32 v5, 29, v7
	v_cmp_gt_u32_e32 vcc, 8, v3
	v_and_b32_e32 v4, 7, v4
	v_cndmask_b32_e32 v3, v6, v5, vcc
	v_bfrev_b32_e32 v5, 60
	v_cndmask_b32_e32 v4, v52, v4, vcc
	v_lshlrev_b32_e32 v2, 16, v2
	v_lshl_add_u32 v3, v3, 23, v5
	v_and_or_b32 v2, v2, s45, v3
	v_lshlrev_b32_e32 v3, 20, v4
	v_or_b32_e32 v87, v2, v3
	v_mov_b32_e32 v86, v53
.LBB232_99:                             ;   in Loop: Header=BB232_14 Depth=1
	s_or_b64 exec, exec, s[54:55]
.LBB232_100:                            ;   in Loop: Header=BB232_14 Depth=1
	s_or_b64 exec, exec, s[52:53]
.LBB232_101:                            ;   in Loop: Header=BB232_14 Depth=1
	s_or_b64 exec, exec, s[50:51]
	global_load_ushort v1, v[0:1], off offset:12
	v_pk_mov_b32 v[90:91], 0, 0
	v_pk_mov_b32 v[92:93], v[90:91], v[90:91] op_sel:[0,1]
	s_waitcnt vmcnt(0)
	v_and_b32_e32 v0, 0xffff, v1
	v_cmp_ne_u16_sdwa s[52:53], v1, v53 src0_sel:BYTE_0 src1_sel:DWORD
	s_and_saveexec_b64 s[50:51], s[52:53]
	s_cbranch_execz .LBB232_107
; %bb.102:                              ;   in Loop: Header=BB232_14 Depth=1
	v_bfrev_b32_e32 v92, 1
	v_cmp_ne_u16_sdwa s[54:55], v0, s65 src0_sel:BYTE_0 src1_sel:DWORD
	v_mov_b32_e32 v93, 0
	s_and_saveexec_b64 s[52:53], s[54:55]
	s_cbranch_execz .LBB232_106
; %bb.103:                              ;   in Loop: Header=BB232_14 Depth=1
	v_and_b32_e32 v1, 0x7f, v0
	v_mov_b32_e32 v92, 0x7f800001
	v_cmp_ne_u32_e32 vcc, s66, v1
	v_mov_b32_e32 v93, 0
	s_and_saveexec_b64 s[54:55], vcc
	s_cbranch_execz .LBB232_105
; %bb.104:                              ;   in Loop: Header=BB232_14 Depth=1
	v_and_b32_e32 v4, 7, v0
	v_ffbh_u32_e32 v2, v4
	v_min_u32_e32 v6, 32, v2
	v_subrev_u32_e32 v2, 28, v6
	v_lshlrev_b64 v[2:3], v2, v[0:1]
	v_lshrrev_b32_e32 v5, 3, v1
	v_sub_u32_e32 v3, 29, v6
	v_and_b32_e32 v2, 7, v2
	v_cmp_gt_u32_e32 vcc, 8, v1
	v_cndmask_b32_e32 v1, v5, v3, vcc
	v_cndmask_b32_e32 v2, v4, v2, vcc
	v_bfrev_b32_e32 v4, 60
	v_lshlrev_b32_e32 v2, 20, v2
	v_and_b32_sdwa v3, sext(v0), s45 dst_sel:DWORD dst_unused:UNUSED_PAD src0_sel:BYTE_0 src1_sel:DWORD
	v_lshl_add_u32 v1, v1, 23, v4
	v_or3_b32 v52, v3, v1, v2
	v_pk_mov_b32 v[92:93], v[52:53], v[52:53] op_sel:[0,1]
.LBB232_105:                            ;   in Loop: Header=BB232_14 Depth=1
	s_or_b64 exec, exec, s[54:55]
.LBB232_106:                            ;   in Loop: Header=BB232_14 Depth=1
	s_or_b64 exec, exec, s[52:53]
.LBB232_107:                            ;   in Loop: Header=BB232_14 Depth=1
	s_or_b64 exec, exec, s[50:51]
	v_cmp_ne_u16_sdwa s[52:53], v0, v53 src0_sel:BYTE_1 src1_sel:DWORD
	s_and_saveexec_b64 s[50:51], s[52:53]
	s_cbranch_execz .LBB232_113
; %bb.108:                              ;   in Loop: Header=BB232_14 Depth=1
	v_cmp_ne_u16_sdwa s[54:55], v0, s65 src0_sel:BYTE_1 src1_sel:DWORD
	v_pk_mov_b32 v[90:91], s[44:45], s[44:45] op_sel:[0,1]
	s_and_saveexec_b64 s[52:53], s[54:55]
	s_cbranch_execz .LBB232_112
; %bb.109:                              ;   in Loop: Header=BB232_14 Depth=1
	v_and_b32_sdwa v1, v0, s66 dst_sel:DWORD dst_unused:UNUSED_PAD src0_sel:BYTE_1 src1_sel:DWORD
	s_mov_b32 s48, s44
	v_cmp_ne_u32_e32 vcc, s66, v1
	v_pk_mov_b32 v[90:91], s[48:49], s[48:49] op_sel:[0,1]
	s_and_saveexec_b64 s[54:55], vcc
	s_cbranch_execz .LBB232_111
; %bb.110:                              ;   in Loop: Header=BB232_14 Depth=1
	v_mov_b32_e32 v2, 7
	v_and_b32_sdwa v52, v0, v2 dst_sel:DWORD dst_unused:UNUSED_PAD src0_sel:BYTE_1 src1_sel:DWORD
	v_ffbh_u32_e32 v2, v52
	v_min_u32_e32 v5, 32, v2
	v_subrev_u32_e32 v2, 28, v5
	v_lshlrev_b64 v[2:3], v2, v[52:53]
	v_lshrrev_b32_e32 v4, 3, v1
	v_sub_u32_e32 v3, 29, v5
	v_cmp_gt_u32_e32 vcc, 8, v1
	v_and_b32_e32 v2, 7, v2
	v_cndmask_b32_e32 v1, v4, v3, vcc
	v_bfrev_b32_e32 v3, 60
	v_cndmask_b32_e32 v2, v52, v2, vcc
	v_lshlrev_b32_e32 v0, 16, v0
	v_lshl_add_u32 v1, v1, 23, v3
	v_and_or_b32 v0, v0, s45, v1
	v_lshlrev_b32_e32 v1, 20, v2
	v_or_b32_e32 v91, v0, v1
	v_mov_b32_e32 v90, v53
.LBB232_111:                            ;   in Loop: Header=BB232_14 Depth=1
	s_or_b64 exec, exec, s[54:55]
.LBB232_112:                            ;   in Loop: Header=BB232_14 Depth=1
	s_or_b64 exec, exec, s[52:53]
.LBB232_113:                            ;   in Loop: Header=BB232_14 Depth=1
	s_or_b64 exec, exec, s[50:51]
	global_load_ushort v1, v[72:73], off offset:1024
	v_pk_mov_b32 v[94:95], 0, 0
	v_pk_mov_b32 v[96:97], v[94:95], v[94:95] op_sel:[0,1]
	s_waitcnt vmcnt(0)
	v_and_b32_e32 v0, 0xffff, v1
	v_cmp_ne_u16_sdwa s[52:53], v1, v53 src0_sel:BYTE_0 src1_sel:DWORD
	s_and_saveexec_b64 s[50:51], s[52:53]
	s_cbranch_execz .LBB232_119
; %bb.114:                              ;   in Loop: Header=BB232_14 Depth=1
	v_bfrev_b32_e32 v96, 1
	v_cmp_ne_u16_sdwa s[54:55], v0, s65 src0_sel:BYTE_0 src1_sel:DWORD
	v_mov_b32_e32 v97, 0
	s_and_saveexec_b64 s[52:53], s[54:55]
	s_cbranch_execz .LBB232_118
; %bb.115:                              ;   in Loop: Header=BB232_14 Depth=1
	v_and_b32_e32 v1, 0x7f, v0
	v_mov_b32_e32 v96, 0x7f800001
	v_cmp_ne_u32_e32 vcc, s66, v1
	v_mov_b32_e32 v97, 0
	s_and_saveexec_b64 s[54:55], vcc
	s_cbranch_execz .LBB232_117
; %bb.116:                              ;   in Loop: Header=BB232_14 Depth=1
	v_and_b32_e32 v4, 7, v0
	v_ffbh_u32_e32 v2, v4
	v_min_u32_e32 v6, 32, v2
	v_subrev_u32_e32 v2, 28, v6
	v_lshlrev_b64 v[2:3], v2, v[0:1]
	v_lshrrev_b32_e32 v5, 3, v1
	v_sub_u32_e32 v3, 29, v6
	v_and_b32_e32 v2, 7, v2
	v_cmp_gt_u32_e32 vcc, 8, v1
	v_cndmask_b32_e32 v1, v5, v3, vcc
	v_cndmask_b32_e32 v2, v4, v2, vcc
	v_bfrev_b32_e32 v4, 60
	v_lshlrev_b32_e32 v2, 20, v2
	v_and_b32_sdwa v3, sext(v0), s45 dst_sel:DWORD dst_unused:UNUSED_PAD src0_sel:BYTE_0 src1_sel:DWORD
	v_lshl_add_u32 v1, v1, 23, v4
	v_or3_b32 v52, v3, v1, v2
	v_pk_mov_b32 v[96:97], v[52:53], v[52:53] op_sel:[0,1]
.LBB232_117:                            ;   in Loop: Header=BB232_14 Depth=1
	s_or_b64 exec, exec, s[54:55]
.LBB232_118:                            ;   in Loop: Header=BB232_14 Depth=1
	s_or_b64 exec, exec, s[52:53]
.LBB232_119:                            ;   in Loop: Header=BB232_14 Depth=1
	s_or_b64 exec, exec, s[50:51]
	v_cmp_ne_u16_sdwa s[52:53], v0, v53 src0_sel:BYTE_1 src1_sel:DWORD
	s_and_saveexec_b64 s[50:51], s[52:53]
	s_cbranch_execz .LBB232_125
; %bb.120:                              ;   in Loop: Header=BB232_14 Depth=1
	v_cmp_ne_u16_sdwa s[54:55], v0, s65 src0_sel:BYTE_1 src1_sel:DWORD
	v_pk_mov_b32 v[94:95], s[44:45], s[44:45] op_sel:[0,1]
	s_and_saveexec_b64 s[52:53], s[54:55]
	s_cbranch_execz .LBB232_124
; %bb.121:                              ;   in Loop: Header=BB232_14 Depth=1
	v_and_b32_sdwa v1, v0, s66 dst_sel:DWORD dst_unused:UNUSED_PAD src0_sel:BYTE_1 src1_sel:DWORD
	s_mov_b32 s48, s44
	v_cmp_ne_u32_e32 vcc, s66, v1
	v_pk_mov_b32 v[94:95], s[48:49], s[48:49] op_sel:[0,1]
	s_and_saveexec_b64 s[54:55], vcc
	s_cbranch_execz .LBB232_123
; %bb.122:                              ;   in Loop: Header=BB232_14 Depth=1
	v_mov_b32_e32 v2, 7
	v_and_b32_sdwa v52, v0, v2 dst_sel:DWORD dst_unused:UNUSED_PAD src0_sel:BYTE_1 src1_sel:DWORD
	v_ffbh_u32_e32 v2, v52
	v_min_u32_e32 v5, 32, v2
	v_subrev_u32_e32 v2, 28, v5
	v_lshlrev_b64 v[2:3], v2, v[52:53]
	v_lshrrev_b32_e32 v4, 3, v1
	v_sub_u32_e32 v3, 29, v5
	v_cmp_gt_u32_e32 vcc, 8, v1
	v_and_b32_e32 v2, 7, v2
	v_cndmask_b32_e32 v1, v4, v3, vcc
	v_bfrev_b32_e32 v3, 60
	v_cndmask_b32_e32 v2, v52, v2, vcc
	v_lshlrev_b32_e32 v0, 16, v0
	v_lshl_add_u32 v1, v1, 23, v3
	v_and_or_b32 v0, v0, s45, v1
	v_lshlrev_b32_e32 v1, 20, v2
	v_or_b32_e32 v95, v0, v1
	v_mov_b32_e32 v94, v53
.LBB232_123:                            ;   in Loop: Header=BB232_14 Depth=1
	s_or_b64 exec, exec, s[54:55]
.LBB232_124:                            ;   in Loop: Header=BB232_14 Depth=1
	s_or_b64 exec, exec, s[52:53]
.LBB232_125:                            ;   in Loop: Header=BB232_14 Depth=1
	s_or_b64 exec, exec, s[50:51]
	global_load_ushort v1, v[72:73], off offset:1028
	v_pk_mov_b32 v[98:99], 0, 0
	v_pk_mov_b32 v[100:101], v[98:99], v[98:99] op_sel:[0,1]
	s_waitcnt vmcnt(0)
	v_and_b32_e32 v0, 0xffff, v1
	v_cmp_ne_u16_sdwa s[52:53], v1, v53 src0_sel:BYTE_0 src1_sel:DWORD
	s_and_saveexec_b64 s[50:51], s[52:53]
	s_cbranch_execz .LBB232_131
; %bb.126:                              ;   in Loop: Header=BB232_14 Depth=1
	v_bfrev_b32_e32 v100, 1
	v_cmp_ne_u16_sdwa s[54:55], v0, s65 src0_sel:BYTE_0 src1_sel:DWORD
	v_mov_b32_e32 v101, 0
	s_and_saveexec_b64 s[52:53], s[54:55]
	s_cbranch_execz .LBB232_130
; %bb.127:                              ;   in Loop: Header=BB232_14 Depth=1
	v_and_b32_e32 v1, 0x7f, v0
	v_mov_b32_e32 v100, 0x7f800001
	v_cmp_ne_u32_e32 vcc, s66, v1
	v_mov_b32_e32 v101, 0
	s_and_saveexec_b64 s[54:55], vcc
	s_cbranch_execz .LBB232_129
; %bb.128:                              ;   in Loop: Header=BB232_14 Depth=1
	v_and_b32_e32 v4, 7, v0
	v_ffbh_u32_e32 v2, v4
	v_min_u32_e32 v6, 32, v2
	v_subrev_u32_e32 v2, 28, v6
	v_lshlrev_b64 v[2:3], v2, v[0:1]
	v_lshrrev_b32_e32 v5, 3, v1
	v_sub_u32_e32 v3, 29, v6
	v_and_b32_e32 v2, 7, v2
	v_cmp_gt_u32_e32 vcc, 8, v1
	v_cndmask_b32_e32 v1, v5, v3, vcc
	v_cndmask_b32_e32 v2, v4, v2, vcc
	v_bfrev_b32_e32 v4, 60
	v_lshlrev_b32_e32 v2, 20, v2
	v_and_b32_sdwa v3, sext(v0), s45 dst_sel:DWORD dst_unused:UNUSED_PAD src0_sel:BYTE_0 src1_sel:DWORD
	v_lshl_add_u32 v1, v1, 23, v4
	v_or3_b32 v52, v3, v1, v2
	v_pk_mov_b32 v[100:101], v[52:53], v[52:53] op_sel:[0,1]
.LBB232_129:                            ;   in Loop: Header=BB232_14 Depth=1
	s_or_b64 exec, exec, s[54:55]
.LBB232_130:                            ;   in Loop: Header=BB232_14 Depth=1
	s_or_b64 exec, exec, s[52:53]
.LBB232_131:                            ;   in Loop: Header=BB232_14 Depth=1
	s_or_b64 exec, exec, s[50:51]
	v_cmp_ne_u16_sdwa s[52:53], v0, v53 src0_sel:BYTE_1 src1_sel:DWORD
	s_and_saveexec_b64 s[50:51], s[52:53]
	s_cbranch_execz .LBB232_137
; %bb.132:                              ;   in Loop: Header=BB232_14 Depth=1
	v_cmp_ne_u16_sdwa s[54:55], v0, s65 src0_sel:BYTE_1 src1_sel:DWORD
	v_pk_mov_b32 v[98:99], s[44:45], s[44:45] op_sel:[0,1]
	s_and_saveexec_b64 s[52:53], s[54:55]
	s_cbranch_execz .LBB232_136
; %bb.133:                              ;   in Loop: Header=BB232_14 Depth=1
	v_and_b32_sdwa v1, v0, s66 dst_sel:DWORD dst_unused:UNUSED_PAD src0_sel:BYTE_1 src1_sel:DWORD
	s_mov_b32 s48, s44
	v_cmp_ne_u32_e32 vcc, s66, v1
	v_pk_mov_b32 v[98:99], s[48:49], s[48:49] op_sel:[0,1]
	s_and_saveexec_b64 s[54:55], vcc
	s_cbranch_execz .LBB232_135
; %bb.134:                              ;   in Loop: Header=BB232_14 Depth=1
	v_mov_b32_e32 v2, 7
	v_and_b32_sdwa v52, v0, v2 dst_sel:DWORD dst_unused:UNUSED_PAD src0_sel:BYTE_1 src1_sel:DWORD
	v_ffbh_u32_e32 v2, v52
	v_min_u32_e32 v5, 32, v2
	v_subrev_u32_e32 v2, 28, v5
	v_lshlrev_b64 v[2:3], v2, v[52:53]
	v_lshrrev_b32_e32 v4, 3, v1
	v_sub_u32_e32 v3, 29, v5
	v_cmp_gt_u32_e32 vcc, 8, v1
	v_and_b32_e32 v2, 7, v2
	v_cndmask_b32_e32 v1, v4, v3, vcc
	v_bfrev_b32_e32 v3, 60
	v_cndmask_b32_e32 v2, v52, v2, vcc
	v_lshlrev_b32_e32 v0, 16, v0
	v_lshl_add_u32 v1, v1, 23, v3
	v_and_or_b32 v0, v0, s45, v1
	v_lshlrev_b32_e32 v1, 20, v2
	v_or_b32_e32 v99, v0, v1
	v_mov_b32_e32 v98, v53
.LBB232_135:                            ;   in Loop: Header=BB232_14 Depth=1
	s_or_b64 exec, exec, s[54:55]
.LBB232_136:                            ;   in Loop: Header=BB232_14 Depth=1
	s_or_b64 exec, exec, s[52:53]
.LBB232_137:                            ;   in Loop: Header=BB232_14 Depth=1
	s_or_b64 exec, exec, s[50:51]
	v_add_co_u32_e32 v0, vcc, 0x400, v72
	v_addc_co_u32_e32 v1, vcc, 0, v73, vcc
	global_load_ushort v3, v[0:1], off offset:8
	v_pk_mov_b32 v[102:103], 0, 0
	v_pk_mov_b32 v[104:105], v[102:103], v[102:103] op_sel:[0,1]
	s_waitcnt vmcnt(0)
	v_and_b32_e32 v2, 0xffff, v3
	v_cmp_ne_u16_sdwa s[52:53], v3, v53 src0_sel:BYTE_0 src1_sel:DWORD
	s_and_saveexec_b64 s[50:51], s[52:53]
	s_cbranch_execz .LBB232_143
; %bb.138:                              ;   in Loop: Header=BB232_14 Depth=1
	v_bfrev_b32_e32 v104, 1
	v_cmp_ne_u16_sdwa s[54:55], v2, s65 src0_sel:BYTE_0 src1_sel:DWORD
	v_mov_b32_e32 v105, 0
	s_and_saveexec_b64 s[52:53], s[54:55]
	s_cbranch_execz .LBB232_142
; %bb.139:                              ;   in Loop: Header=BB232_14 Depth=1
	v_and_b32_e32 v3, 0x7f, v2
	v_mov_b32_e32 v104, 0x7f800001
	v_cmp_ne_u32_e32 vcc, s66, v3
	v_mov_b32_e32 v105, 0
	s_and_saveexec_b64 s[54:55], vcc
	s_cbranch_execz .LBB232_141
; %bb.140:                              ;   in Loop: Header=BB232_14 Depth=1
	v_and_b32_e32 v6, 7, v2
	v_ffbh_u32_e32 v4, v6
	v_min_u32_e32 v8, 32, v4
	v_subrev_u32_e32 v4, 28, v8
	v_lshlrev_b64 v[4:5], v4, v[2:3]
	v_lshrrev_b32_e32 v7, 3, v3
	v_sub_u32_e32 v5, 29, v8
	v_and_b32_e32 v4, 7, v4
	v_cmp_gt_u32_e32 vcc, 8, v3
	v_cndmask_b32_e32 v3, v7, v5, vcc
	v_cndmask_b32_e32 v4, v6, v4, vcc
	v_bfrev_b32_e32 v6, 60
	v_lshlrev_b32_e32 v4, 20, v4
	v_and_b32_sdwa v5, sext(v2), s45 dst_sel:DWORD dst_unused:UNUSED_PAD src0_sel:BYTE_0 src1_sel:DWORD
	v_lshl_add_u32 v3, v3, 23, v6
	v_or3_b32 v52, v5, v3, v4
	v_pk_mov_b32 v[104:105], v[52:53], v[52:53] op_sel:[0,1]
.LBB232_141:                            ;   in Loop: Header=BB232_14 Depth=1
	s_or_b64 exec, exec, s[54:55]
.LBB232_142:                            ;   in Loop: Header=BB232_14 Depth=1
	s_or_b64 exec, exec, s[52:53]
.LBB232_143:                            ;   in Loop: Header=BB232_14 Depth=1
	s_or_b64 exec, exec, s[50:51]
	v_cmp_ne_u16_sdwa s[52:53], v2, v53 src0_sel:BYTE_1 src1_sel:DWORD
	s_and_saveexec_b64 s[50:51], s[52:53]
	s_cbranch_execz .LBB232_149
; %bb.144:                              ;   in Loop: Header=BB232_14 Depth=1
	v_cmp_ne_u16_sdwa s[54:55], v2, s65 src0_sel:BYTE_1 src1_sel:DWORD
	v_pk_mov_b32 v[102:103], s[44:45], s[44:45] op_sel:[0,1]
	s_and_saveexec_b64 s[52:53], s[54:55]
	s_cbranch_execz .LBB232_148
; %bb.145:                              ;   in Loop: Header=BB232_14 Depth=1
	v_and_b32_sdwa v3, v2, s66 dst_sel:DWORD dst_unused:UNUSED_PAD src0_sel:BYTE_1 src1_sel:DWORD
	s_mov_b32 s48, s44
	v_cmp_ne_u32_e32 vcc, s66, v3
	v_pk_mov_b32 v[102:103], s[48:49], s[48:49] op_sel:[0,1]
	s_and_saveexec_b64 s[54:55], vcc
	s_cbranch_execz .LBB232_147
; %bb.146:                              ;   in Loop: Header=BB232_14 Depth=1
	v_mov_b32_e32 v4, 7
	v_and_b32_sdwa v52, v2, v4 dst_sel:DWORD dst_unused:UNUSED_PAD src0_sel:BYTE_1 src1_sel:DWORD
	v_ffbh_u32_e32 v4, v52
	v_min_u32_e32 v7, 32, v4
	v_subrev_u32_e32 v4, 28, v7
	v_lshlrev_b64 v[4:5], v4, v[52:53]
	v_lshrrev_b32_e32 v6, 3, v3
	v_sub_u32_e32 v5, 29, v7
	v_cmp_gt_u32_e32 vcc, 8, v3
	v_and_b32_e32 v4, 7, v4
	v_cndmask_b32_e32 v3, v6, v5, vcc
	v_bfrev_b32_e32 v5, 60
	v_cndmask_b32_e32 v4, v52, v4, vcc
	v_lshlrev_b32_e32 v2, 16, v2
	v_lshl_add_u32 v3, v3, 23, v5
	v_and_or_b32 v2, v2, s45, v3
	v_lshlrev_b32_e32 v3, 20, v4
	v_or_b32_e32 v103, v2, v3
	v_mov_b32_e32 v102, v53
.LBB232_147:                            ;   in Loop: Header=BB232_14 Depth=1
	s_or_b64 exec, exec, s[54:55]
.LBB232_148:                            ;   in Loop: Header=BB232_14 Depth=1
	s_or_b64 exec, exec, s[52:53]
.LBB232_149:                            ;   in Loop: Header=BB232_14 Depth=1
	s_or_b64 exec, exec, s[50:51]
	global_load_ushort v1, v[0:1], off offset:12
	v_pk_mov_b32 v[106:107], 0, 0
	v_pk_mov_b32 v[108:109], v[106:107], v[106:107] op_sel:[0,1]
	s_waitcnt vmcnt(0)
	v_and_b32_e32 v0, 0xffff, v1
	v_cmp_ne_u16_sdwa s[52:53], v1, v53 src0_sel:BYTE_0 src1_sel:DWORD
	s_and_saveexec_b64 s[50:51], s[52:53]
	s_cbranch_execz .LBB232_155
; %bb.150:                              ;   in Loop: Header=BB232_14 Depth=1
	v_bfrev_b32_e32 v108, 1
	v_cmp_ne_u16_sdwa s[54:55], v0, s65 src0_sel:BYTE_0 src1_sel:DWORD
	v_mov_b32_e32 v109, 0
	s_and_saveexec_b64 s[52:53], s[54:55]
	s_cbranch_execz .LBB232_154
; %bb.151:                              ;   in Loop: Header=BB232_14 Depth=1
	v_and_b32_e32 v1, 0x7f, v0
	v_mov_b32_e32 v108, 0x7f800001
	v_cmp_ne_u32_e32 vcc, s66, v1
	v_mov_b32_e32 v109, 0
	s_and_saveexec_b64 s[54:55], vcc
	s_cbranch_execz .LBB232_153
; %bb.152:                              ;   in Loop: Header=BB232_14 Depth=1
	v_and_b32_e32 v4, 7, v0
	v_lshrrev_b32_e32 v5, 3, v1
	v_cmp_gt_u32_e32 vcc, 8, v1
	v_ffbh_u32_e32 v1, v4
	v_min_u32_e32 v1, 32, v1
	v_subrev_u32_e32 v2, 28, v1
	v_lshlrev_b64 v[2:3], v2, v[0:1]
	v_sub_u32_e32 v1, 29, v1
	v_and_b32_e32 v2, 7, v2
	v_cndmask_b32_e32 v1, v5, v1, vcc
	v_cndmask_b32_e32 v2, v4, v2, vcc
	v_bfrev_b32_e32 v4, 60
	v_lshlrev_b32_e32 v2, 20, v2
	v_and_b32_sdwa v3, sext(v0), s45 dst_sel:DWORD dst_unused:UNUSED_PAD src0_sel:BYTE_0 src1_sel:DWORD
	v_lshl_add_u32 v1, v1, 23, v4
	v_or3_b32 v52, v3, v1, v2
	v_pk_mov_b32 v[108:109], v[52:53], v[52:53] op_sel:[0,1]
.LBB232_153:                            ;   in Loop: Header=BB232_14 Depth=1
	s_or_b64 exec, exec, s[54:55]
.LBB232_154:                            ;   in Loop: Header=BB232_14 Depth=1
	s_or_b64 exec, exec, s[52:53]
.LBB232_155:                            ;   in Loop: Header=BB232_14 Depth=1
	s_or_b64 exec, exec, s[50:51]
	v_cmp_ne_u16_sdwa s[52:53], v0, v53 src0_sel:BYTE_1 src1_sel:DWORD
	s_and_saveexec_b64 s[50:51], s[52:53]
	s_cbranch_execz .LBB232_161
; %bb.156:                              ;   in Loop: Header=BB232_14 Depth=1
	v_cmp_ne_u16_sdwa s[54:55], v0, s65 src0_sel:BYTE_1 src1_sel:DWORD
	v_pk_mov_b32 v[106:107], s[44:45], s[44:45] op_sel:[0,1]
	s_and_saveexec_b64 s[52:53], s[54:55]
	s_cbranch_execz .LBB232_160
; %bb.157:                              ;   in Loop: Header=BB232_14 Depth=1
	v_and_b32_sdwa v1, v0, s66 dst_sel:DWORD dst_unused:UNUSED_PAD src0_sel:BYTE_1 src1_sel:DWORD
	s_mov_b32 s48, s44
	v_cmp_ne_u32_e32 vcc, s66, v1
	v_pk_mov_b32 v[106:107], s[48:49], s[48:49] op_sel:[0,1]
	s_and_saveexec_b64 s[54:55], vcc
	s_cbranch_execz .LBB232_159
; %bb.158:                              ;   in Loop: Header=BB232_14 Depth=1
	v_mov_b32_e32 v2, 7
	v_and_b32_sdwa v52, v0, v2 dst_sel:DWORD dst_unused:UNUSED_PAD src0_sel:BYTE_1 src1_sel:DWORD
	v_lshrrev_b32_e32 v4, 3, v1
	v_cmp_gt_u32_e32 vcc, 8, v1
	v_ffbh_u32_e32 v1, v52
	v_min_u32_e32 v1, 32, v1
	v_subrev_u32_e32 v2, 28, v1
	v_lshlrev_b64 v[2:3], v2, v[52:53]
	v_sub_u32_e32 v1, 29, v1
	v_and_b32_e32 v2, 7, v2
	v_cndmask_b32_e32 v1, v4, v1, vcc
	v_bfrev_b32_e32 v3, 60
	v_cndmask_b32_e32 v2, v52, v2, vcc
	v_lshlrev_b32_e32 v0, 16, v0
	v_lshl_add_u32 v1, v1, 23, v3
	v_and_or_b32 v0, v0, s45, v1
	v_lshlrev_b32_e32 v1, 20, v2
	v_or_b32_e32 v107, v0, v1
	v_mov_b32_e32 v106, v53
.LBB232_159:                            ;   in Loop: Header=BB232_14 Depth=1
	s_or_b64 exec, exec, s[54:55]
.LBB232_160:                            ;   in Loop: Header=BB232_14 Depth=1
	s_or_b64 exec, exec, s[52:53]
.LBB232_161:                            ;   in Loop: Header=BB232_14 Depth=1
	s_or_b64 exec, exec, s[50:51]
	global_load_ushort v1, v[72:73], off offset:1536
	v_pk_mov_b32 v[110:111], 0, 0
	v_pk_mov_b32 v[112:113], v[110:111], v[110:111] op_sel:[0,1]
	s_waitcnt vmcnt(0)
	v_and_b32_e32 v0, 0xffff, v1
	v_cmp_ne_u16_sdwa s[52:53], v1, v53 src0_sel:BYTE_0 src1_sel:DWORD
	s_and_saveexec_b64 s[50:51], s[52:53]
	s_cbranch_execz .LBB232_167
; %bb.162:                              ;   in Loop: Header=BB232_14 Depth=1
	v_bfrev_b32_e32 v112, 1
	v_cmp_ne_u16_sdwa s[54:55], v0, s65 src0_sel:BYTE_0 src1_sel:DWORD
	v_mov_b32_e32 v113, 0
	s_and_saveexec_b64 s[52:53], s[54:55]
	s_cbranch_execz .LBB232_166
; %bb.163:                              ;   in Loop: Header=BB232_14 Depth=1
	v_and_b32_e32 v1, 0x7f, v0
	v_mov_b32_e32 v112, 0x7f800001
	v_cmp_ne_u32_e32 vcc, s66, v1
	v_mov_b32_e32 v113, 0
	s_and_saveexec_b64 s[54:55], vcc
	s_cbranch_execz .LBB232_165
; %bb.164:                              ;   in Loop: Header=BB232_14 Depth=1
	v_and_b32_e32 v4, 7, v0
	v_lshrrev_b32_e32 v5, 3, v1
	v_cmp_gt_u32_e32 vcc, 8, v1
	v_ffbh_u32_e32 v1, v4
	v_min_u32_e32 v1, 32, v1
	v_subrev_u32_e32 v2, 28, v1
	v_lshlrev_b64 v[2:3], v2, v[0:1]
	v_sub_u32_e32 v1, 29, v1
	v_and_b32_e32 v2, 7, v2
	v_cndmask_b32_e32 v1, v5, v1, vcc
	v_cndmask_b32_e32 v2, v4, v2, vcc
	v_bfrev_b32_e32 v4, 60
	v_lshlrev_b32_e32 v2, 20, v2
	v_and_b32_sdwa v3, sext(v0), s45 dst_sel:DWORD dst_unused:UNUSED_PAD src0_sel:BYTE_0 src1_sel:DWORD
	v_lshl_add_u32 v1, v1, 23, v4
	v_or3_b32 v52, v3, v1, v2
	v_pk_mov_b32 v[112:113], v[52:53], v[52:53] op_sel:[0,1]
.LBB232_165:                            ;   in Loop: Header=BB232_14 Depth=1
	s_or_b64 exec, exec, s[54:55]
.LBB232_166:                            ;   in Loop: Header=BB232_14 Depth=1
	s_or_b64 exec, exec, s[52:53]
.LBB232_167:                            ;   in Loop: Header=BB232_14 Depth=1
	s_or_b64 exec, exec, s[50:51]
	v_cmp_ne_u16_sdwa s[52:53], v0, v53 src0_sel:BYTE_1 src1_sel:DWORD
	s_and_saveexec_b64 s[50:51], s[52:53]
	s_cbranch_execz .LBB232_173
; %bb.168:                              ;   in Loop: Header=BB232_14 Depth=1
	v_cmp_ne_u16_sdwa s[54:55], v0, s65 src0_sel:BYTE_1 src1_sel:DWORD
	v_pk_mov_b32 v[110:111], s[44:45], s[44:45] op_sel:[0,1]
	s_and_saveexec_b64 s[52:53], s[54:55]
	s_cbranch_execz .LBB232_172
; %bb.169:                              ;   in Loop: Header=BB232_14 Depth=1
	v_and_b32_sdwa v1, v0, s66 dst_sel:DWORD dst_unused:UNUSED_PAD src0_sel:BYTE_1 src1_sel:DWORD
	s_mov_b32 s48, s44
	v_cmp_ne_u32_e32 vcc, s66, v1
	v_pk_mov_b32 v[110:111], s[48:49], s[48:49] op_sel:[0,1]
	s_and_saveexec_b64 s[54:55], vcc
	s_cbranch_execz .LBB232_171
; %bb.170:                              ;   in Loop: Header=BB232_14 Depth=1
	v_mov_b32_e32 v2, 7
	v_and_b32_sdwa v52, v0, v2 dst_sel:DWORD dst_unused:UNUSED_PAD src0_sel:BYTE_1 src1_sel:DWORD
	v_lshrrev_b32_e32 v4, 3, v1
	v_cmp_gt_u32_e32 vcc, 8, v1
	v_ffbh_u32_e32 v1, v52
	v_min_u32_e32 v1, 32, v1
	v_subrev_u32_e32 v2, 28, v1
	v_lshlrev_b64 v[2:3], v2, v[52:53]
	v_sub_u32_e32 v1, 29, v1
	v_and_b32_e32 v2, 7, v2
	v_cndmask_b32_e32 v1, v4, v1, vcc
	v_bfrev_b32_e32 v3, 60
	v_cndmask_b32_e32 v2, v52, v2, vcc
	v_lshlrev_b32_e32 v0, 16, v0
	v_lshl_add_u32 v1, v1, 23, v3
	v_and_or_b32 v0, v0, s45, v1
	v_lshlrev_b32_e32 v1, 20, v2
	v_or_b32_e32 v111, v0, v1
	v_mov_b32_e32 v110, v53
.LBB232_171:                            ;   in Loop: Header=BB232_14 Depth=1
	s_or_b64 exec, exec, s[54:55]
.LBB232_172:                            ;   in Loop: Header=BB232_14 Depth=1
	s_or_b64 exec, exec, s[52:53]
.LBB232_173:                            ;   in Loop: Header=BB232_14 Depth=1
	s_or_b64 exec, exec, s[50:51]
	global_load_ushort v1, v[72:73], off offset:1540
	v_pk_mov_b32 v[114:115], 0, 0
	v_pk_mov_b32 v[116:117], v[114:115], v[114:115] op_sel:[0,1]
	s_waitcnt vmcnt(0)
	v_and_b32_e32 v0, 0xffff, v1
	v_cmp_ne_u16_sdwa s[52:53], v1, v53 src0_sel:BYTE_0 src1_sel:DWORD
	s_and_saveexec_b64 s[50:51], s[52:53]
	s_cbranch_execz .LBB232_179
; %bb.174:                              ;   in Loop: Header=BB232_14 Depth=1
	v_bfrev_b32_e32 v116, 1
	v_cmp_ne_u16_sdwa s[54:55], v0, s65 src0_sel:BYTE_0 src1_sel:DWORD
	v_mov_b32_e32 v117, 0
	s_and_saveexec_b64 s[52:53], s[54:55]
	s_cbranch_execz .LBB232_178
; %bb.175:                              ;   in Loop: Header=BB232_14 Depth=1
	v_and_b32_e32 v1, 0x7f, v0
	v_mov_b32_e32 v116, 0x7f800001
	v_cmp_ne_u32_e32 vcc, s66, v1
	v_mov_b32_e32 v117, 0
	s_and_saveexec_b64 s[54:55], vcc
	s_cbranch_execz .LBB232_177
; %bb.176:                              ;   in Loop: Header=BB232_14 Depth=1
	v_and_b32_e32 v4, 7, v0
	v_lshrrev_b32_e32 v5, 3, v1
	v_cmp_gt_u32_e32 vcc, 8, v1
	v_ffbh_u32_e32 v1, v4
	v_min_u32_e32 v1, 32, v1
	v_subrev_u32_e32 v2, 28, v1
	v_lshlrev_b64 v[2:3], v2, v[0:1]
	v_sub_u32_e32 v1, 29, v1
	v_and_b32_e32 v2, 7, v2
	v_cndmask_b32_e32 v1, v5, v1, vcc
	v_cndmask_b32_e32 v2, v4, v2, vcc
	v_bfrev_b32_e32 v4, 60
	v_lshlrev_b32_e32 v2, 20, v2
	v_and_b32_sdwa v3, sext(v0), s45 dst_sel:DWORD dst_unused:UNUSED_PAD src0_sel:BYTE_0 src1_sel:DWORD
	v_lshl_add_u32 v1, v1, 23, v4
	v_or3_b32 v52, v3, v1, v2
	v_pk_mov_b32 v[116:117], v[52:53], v[52:53] op_sel:[0,1]
.LBB232_177:                            ;   in Loop: Header=BB232_14 Depth=1
	s_or_b64 exec, exec, s[54:55]
.LBB232_178:                            ;   in Loop: Header=BB232_14 Depth=1
	s_or_b64 exec, exec, s[52:53]
.LBB232_179:                            ;   in Loop: Header=BB232_14 Depth=1
	s_or_b64 exec, exec, s[50:51]
	v_cmp_ne_u16_sdwa s[52:53], v0, v53 src0_sel:BYTE_1 src1_sel:DWORD
	s_and_saveexec_b64 s[50:51], s[52:53]
	s_cbranch_execz .LBB232_185
; %bb.180:                              ;   in Loop: Header=BB232_14 Depth=1
	v_cmp_ne_u16_sdwa s[54:55], v0, s65 src0_sel:BYTE_1 src1_sel:DWORD
	v_pk_mov_b32 v[114:115], s[44:45], s[44:45] op_sel:[0,1]
	s_and_saveexec_b64 s[52:53], s[54:55]
	s_cbranch_execz .LBB232_184
; %bb.181:                              ;   in Loop: Header=BB232_14 Depth=1
	v_and_b32_sdwa v1, v0, s66 dst_sel:DWORD dst_unused:UNUSED_PAD src0_sel:BYTE_1 src1_sel:DWORD
	s_mov_b32 s48, s44
	v_cmp_ne_u32_e32 vcc, s66, v1
	v_pk_mov_b32 v[114:115], s[48:49], s[48:49] op_sel:[0,1]
	s_and_saveexec_b64 s[54:55], vcc
	s_cbranch_execz .LBB232_183
; %bb.182:                              ;   in Loop: Header=BB232_14 Depth=1
	v_mov_b32_e32 v2, 7
	v_and_b32_sdwa v52, v0, v2 dst_sel:DWORD dst_unused:UNUSED_PAD src0_sel:BYTE_1 src1_sel:DWORD
	v_lshrrev_b32_e32 v4, 3, v1
	v_cmp_gt_u32_e32 vcc, 8, v1
	v_ffbh_u32_e32 v1, v52
	v_min_u32_e32 v1, 32, v1
	v_subrev_u32_e32 v2, 28, v1
	v_lshlrev_b64 v[2:3], v2, v[52:53]
	v_sub_u32_e32 v1, 29, v1
	v_and_b32_e32 v2, 7, v2
	v_cndmask_b32_e32 v1, v4, v1, vcc
	v_bfrev_b32_e32 v3, 60
	v_cndmask_b32_e32 v2, v52, v2, vcc
	v_lshlrev_b32_e32 v0, 16, v0
	v_lshl_add_u32 v1, v1, 23, v3
	v_and_or_b32 v0, v0, s45, v1
	v_lshlrev_b32_e32 v1, 20, v2
	v_or_b32_e32 v115, v0, v1
	v_mov_b32_e32 v114, v53
.LBB232_183:                            ;   in Loop: Header=BB232_14 Depth=1
	s_or_b64 exec, exec, s[54:55]
.LBB232_184:                            ;   in Loop: Header=BB232_14 Depth=1
	s_or_b64 exec, exec, s[52:53]
.LBB232_185:                            ;   in Loop: Header=BB232_14 Depth=1
	s_or_b64 exec, exec, s[50:51]
	v_add_co_u32_e32 v0, vcc, 0x600, v72
	v_addc_co_u32_e32 v1, vcc, 0, v73, vcc
	global_load_ushort v3, v[0:1], off offset:8
	v_pk_mov_b32 v[118:119], 0, 0
	v_pk_mov_b32 v[120:121], v[118:119], v[118:119] op_sel:[0,1]
	s_waitcnt vmcnt(0)
	v_and_b32_e32 v2, 0xffff, v3
	v_cmp_ne_u16_sdwa s[52:53], v3, v53 src0_sel:BYTE_0 src1_sel:DWORD
	s_and_saveexec_b64 s[50:51], s[52:53]
	s_cbranch_execz .LBB232_191
; %bb.186:                              ;   in Loop: Header=BB232_14 Depth=1
	v_bfrev_b32_e32 v120, 1
	v_cmp_ne_u16_sdwa s[54:55], v2, s65 src0_sel:BYTE_0 src1_sel:DWORD
	v_mov_b32_e32 v121, 0
	s_and_saveexec_b64 s[52:53], s[54:55]
	s_cbranch_execz .LBB232_190
; %bb.187:                              ;   in Loop: Header=BB232_14 Depth=1
	v_and_b32_e32 v3, 0x7f, v2
	v_mov_b32_e32 v120, 0x7f800001
	v_cmp_ne_u32_e32 vcc, s66, v3
	v_mov_b32_e32 v121, 0
	s_and_saveexec_b64 s[54:55], vcc
	s_cbranch_execz .LBB232_189
; %bb.188:                              ;   in Loop: Header=BB232_14 Depth=1
	v_and_b32_e32 v6, 7, v2
	v_lshrrev_b32_e32 v7, 3, v3
	v_cmp_gt_u32_e32 vcc, 8, v3
	v_ffbh_u32_e32 v3, v6
	v_min_u32_e32 v3, 32, v3
	v_subrev_u32_e32 v4, 28, v3
	v_lshlrev_b64 v[4:5], v4, v[2:3]
	v_sub_u32_e32 v3, 29, v3
	v_and_b32_e32 v4, 7, v4
	v_cndmask_b32_e32 v3, v7, v3, vcc
	v_cndmask_b32_e32 v4, v6, v4, vcc
	v_bfrev_b32_e32 v6, 60
	v_lshlrev_b32_e32 v4, 20, v4
	v_and_b32_sdwa v5, sext(v2), s45 dst_sel:DWORD dst_unused:UNUSED_PAD src0_sel:BYTE_0 src1_sel:DWORD
	v_lshl_add_u32 v3, v3, 23, v6
	v_or3_b32 v52, v5, v3, v4
	v_pk_mov_b32 v[120:121], v[52:53], v[52:53] op_sel:[0,1]
.LBB232_189:                            ;   in Loop: Header=BB232_14 Depth=1
	s_or_b64 exec, exec, s[54:55]
.LBB232_190:                            ;   in Loop: Header=BB232_14 Depth=1
	s_or_b64 exec, exec, s[52:53]
.LBB232_191:                            ;   in Loop: Header=BB232_14 Depth=1
	s_or_b64 exec, exec, s[50:51]
	v_cmp_ne_u16_sdwa s[52:53], v2, v53 src0_sel:BYTE_1 src1_sel:DWORD
	s_and_saveexec_b64 s[50:51], s[52:53]
	s_cbranch_execz .LBB232_197
; %bb.192:                              ;   in Loop: Header=BB232_14 Depth=1
	v_cmp_ne_u16_sdwa s[54:55], v2, s65 src0_sel:BYTE_1 src1_sel:DWORD
	v_pk_mov_b32 v[118:119], s[44:45], s[44:45] op_sel:[0,1]
	s_and_saveexec_b64 s[52:53], s[54:55]
	s_cbranch_execz .LBB232_196
; %bb.193:                              ;   in Loop: Header=BB232_14 Depth=1
	v_and_b32_sdwa v3, v2, s66 dst_sel:DWORD dst_unused:UNUSED_PAD src0_sel:BYTE_1 src1_sel:DWORD
	s_mov_b32 s48, s44
	v_cmp_ne_u32_e32 vcc, s66, v3
	v_pk_mov_b32 v[118:119], s[48:49], s[48:49] op_sel:[0,1]
	s_and_saveexec_b64 s[54:55], vcc
	s_cbranch_execz .LBB232_195
; %bb.194:                              ;   in Loop: Header=BB232_14 Depth=1
	v_mov_b32_e32 v4, 7
	v_and_b32_sdwa v52, v2, v4 dst_sel:DWORD dst_unused:UNUSED_PAD src0_sel:BYTE_1 src1_sel:DWORD
	v_lshrrev_b32_e32 v6, 3, v3
	v_cmp_gt_u32_e32 vcc, 8, v3
	v_ffbh_u32_e32 v3, v52
	v_min_u32_e32 v3, 32, v3
	v_subrev_u32_e32 v4, 28, v3
	v_lshlrev_b64 v[4:5], v4, v[52:53]
	v_sub_u32_e32 v3, 29, v3
	v_and_b32_e32 v4, 7, v4
	v_cndmask_b32_e32 v3, v6, v3, vcc
	v_bfrev_b32_e32 v5, 60
	v_cndmask_b32_e32 v4, v52, v4, vcc
	v_lshlrev_b32_e32 v2, 16, v2
	v_lshl_add_u32 v3, v3, 23, v5
	v_and_or_b32 v2, v2, s45, v3
	v_lshlrev_b32_e32 v3, 20, v4
	v_or_b32_e32 v119, v2, v3
	v_mov_b32_e32 v118, v53
.LBB232_195:                            ;   in Loop: Header=BB232_14 Depth=1
	s_or_b64 exec, exec, s[54:55]
.LBB232_196:                            ;   in Loop: Header=BB232_14 Depth=1
	s_or_b64 exec, exec, s[52:53]
.LBB232_197:                            ;   in Loop: Header=BB232_14 Depth=1
	s_or_b64 exec, exec, s[50:51]
	global_load_ushort v1, v[0:1], off offset:12
	v_pk_mov_b32 v[122:123], 0, 0
	v_pk_mov_b32 v[124:125], v[122:123], v[122:123] op_sel:[0,1]
	s_waitcnt vmcnt(0)
	v_and_b32_e32 v0, 0xffff, v1
	v_cmp_ne_u16_sdwa s[52:53], v1, v53 src0_sel:BYTE_0 src1_sel:DWORD
	s_and_saveexec_b64 s[50:51], s[52:53]
	s_cbranch_execz .LBB232_203
; %bb.198:                              ;   in Loop: Header=BB232_14 Depth=1
	v_bfrev_b32_e32 v124, 1
	v_cmp_ne_u16_sdwa s[54:55], v0, s65 src0_sel:BYTE_0 src1_sel:DWORD
	v_mov_b32_e32 v125, 0
	s_and_saveexec_b64 s[52:53], s[54:55]
	s_cbranch_execz .LBB232_202
; %bb.199:                              ;   in Loop: Header=BB232_14 Depth=1
	v_and_b32_e32 v1, 0x7f, v0
	v_mov_b32_e32 v124, 0x7f800001
	v_cmp_ne_u32_e32 vcc, s66, v1
	v_mov_b32_e32 v125, 0
	s_and_saveexec_b64 s[54:55], vcc
	s_cbranch_execz .LBB232_201
; %bb.200:                              ;   in Loop: Header=BB232_14 Depth=1
	v_and_b32_e32 v4, 7, v0
	v_lshrrev_b32_e32 v5, 3, v1
	v_cmp_gt_u32_e32 vcc, 8, v1
	v_ffbh_u32_e32 v1, v4
	v_min_u32_e32 v1, 32, v1
	v_subrev_u32_e32 v2, 28, v1
	v_lshlrev_b64 v[2:3], v2, v[0:1]
	v_sub_u32_e32 v1, 29, v1
	v_and_b32_e32 v2, 7, v2
	v_cndmask_b32_e32 v1, v5, v1, vcc
	v_cndmask_b32_e32 v2, v4, v2, vcc
	v_bfrev_b32_e32 v4, 60
	v_lshlrev_b32_e32 v2, 20, v2
	v_and_b32_sdwa v3, sext(v0), s45 dst_sel:DWORD dst_unused:UNUSED_PAD src0_sel:BYTE_0 src1_sel:DWORD
	v_lshl_add_u32 v1, v1, 23, v4
	v_or3_b32 v52, v3, v1, v2
	v_pk_mov_b32 v[124:125], v[52:53], v[52:53] op_sel:[0,1]
.LBB232_201:                            ;   in Loop: Header=BB232_14 Depth=1
	s_or_b64 exec, exec, s[54:55]
.LBB232_202:                            ;   in Loop: Header=BB232_14 Depth=1
	s_or_b64 exec, exec, s[52:53]
.LBB232_203:                            ;   in Loop: Header=BB232_14 Depth=1
	s_or_b64 exec, exec, s[50:51]
	v_cmp_ne_u16_sdwa s[52:53], v0, v53 src0_sel:BYTE_1 src1_sel:DWORD
	s_and_saveexec_b64 s[50:51], s[52:53]
	s_cbranch_execz .LBB232_209
; %bb.204:                              ;   in Loop: Header=BB232_14 Depth=1
	v_cmp_ne_u16_sdwa s[54:55], v0, s65 src0_sel:BYTE_1 src1_sel:DWORD
	v_pk_mov_b32 v[122:123], s[44:45], s[44:45] op_sel:[0,1]
	s_and_saveexec_b64 s[52:53], s[54:55]
	s_cbranch_execz .LBB232_208
; %bb.205:                              ;   in Loop: Header=BB232_14 Depth=1
	v_and_b32_sdwa v1, v0, s66 dst_sel:DWORD dst_unused:UNUSED_PAD src0_sel:BYTE_1 src1_sel:DWORD
	s_mov_b32 s48, s44
	v_cmp_ne_u32_e32 vcc, s66, v1
	v_pk_mov_b32 v[122:123], s[48:49], s[48:49] op_sel:[0,1]
	s_and_saveexec_b64 s[54:55], vcc
	s_cbranch_execz .LBB232_207
; %bb.206:                              ;   in Loop: Header=BB232_14 Depth=1
	v_mov_b32_e32 v2, 7
	v_and_b32_sdwa v52, v0, v2 dst_sel:DWORD dst_unused:UNUSED_PAD src0_sel:BYTE_1 src1_sel:DWORD
	v_lshrrev_b32_e32 v4, 3, v1
	v_cmp_gt_u32_e32 vcc, 8, v1
	v_ffbh_u32_e32 v1, v52
	v_min_u32_e32 v1, 32, v1
	v_subrev_u32_e32 v2, 28, v1
	v_lshlrev_b64 v[2:3], v2, v[52:53]
	v_sub_u32_e32 v1, 29, v1
	v_and_b32_e32 v2, 7, v2
	v_cndmask_b32_e32 v1, v4, v1, vcc
	v_bfrev_b32_e32 v3, 60
	v_cndmask_b32_e32 v2, v52, v2, vcc
	v_lshlrev_b32_e32 v0, 16, v0
	v_lshl_add_u32 v1, v1, 23, v3
	v_and_or_b32 v0, v0, s45, v1
	v_lshlrev_b32_e32 v1, 20, v2
	v_or_b32_e32 v123, v0, v1
	v_mov_b32_e32 v122, v53
.LBB232_207:                            ;   in Loop: Header=BB232_14 Depth=1
	s_or_b64 exec, exec, s[54:55]
.LBB232_208:                            ;   in Loop: Header=BB232_14 Depth=1
	s_or_b64 exec, exec, s[52:53]
.LBB232_209:                            ;   in Loop: Header=BB232_14 Depth=1
	s_or_b64 exec, exec, s[50:51]
	global_load_ushort v1, v[72:73], off offset:2048
	v_pk_mov_b32 v[126:127], 0, 0
	v_pk_mov_b32 v[56:57], v[126:127], v[126:127] op_sel:[0,1]
	s_waitcnt vmcnt(0)
	v_and_b32_e32 v0, 0xffff, v1
	v_cmp_ne_u16_sdwa s[52:53], v1, v53 src0_sel:BYTE_0 src1_sel:DWORD
	s_and_saveexec_b64 s[50:51], s[52:53]
	s_cbranch_execz .LBB232_215
; %bb.210:                              ;   in Loop: Header=BB232_14 Depth=1
	v_bfrev_b32_e32 v56, 1
	v_cmp_ne_u16_sdwa s[54:55], v0, s65 src0_sel:BYTE_0 src1_sel:DWORD
	v_mov_b32_e32 v57, 0
	s_and_saveexec_b64 s[52:53], s[54:55]
	s_cbranch_execz .LBB232_214
; %bb.211:                              ;   in Loop: Header=BB232_14 Depth=1
	v_and_b32_e32 v1, 0x7f, v0
	v_mov_b32_e32 v56, 0x7f800001
	v_cmp_ne_u32_e32 vcc, s66, v1
	v_mov_b32_e32 v57, 0
	s_and_saveexec_b64 s[54:55], vcc
	s_cbranch_execz .LBB232_213
; %bb.212:                              ;   in Loop: Header=BB232_14 Depth=1
	v_and_b32_e32 v4, 7, v0
	v_lshrrev_b32_e32 v5, 3, v1
	v_cmp_gt_u32_e32 vcc, 8, v1
	v_ffbh_u32_e32 v1, v4
	v_min_u32_e32 v1, 32, v1
	v_subrev_u32_e32 v2, 28, v1
	v_lshlrev_b64 v[2:3], v2, v[0:1]
	v_sub_u32_e32 v1, 29, v1
	v_and_b32_e32 v2, 7, v2
	v_cndmask_b32_e32 v1, v5, v1, vcc
	v_cndmask_b32_e32 v2, v4, v2, vcc
	v_bfrev_b32_e32 v4, 60
	v_lshlrev_b32_e32 v2, 20, v2
	v_and_b32_sdwa v3, sext(v0), s45 dst_sel:DWORD dst_unused:UNUSED_PAD src0_sel:BYTE_0 src1_sel:DWORD
	v_lshl_add_u32 v1, v1, 23, v4
	v_or3_b32 v52, v3, v1, v2
	v_pk_mov_b32 v[56:57], v[52:53], v[52:53] op_sel:[0,1]
.LBB232_213:                            ;   in Loop: Header=BB232_14 Depth=1
	s_or_b64 exec, exec, s[54:55]
.LBB232_214:                            ;   in Loop: Header=BB232_14 Depth=1
	s_or_b64 exec, exec, s[52:53]
.LBB232_215:                            ;   in Loop: Header=BB232_14 Depth=1
	s_or_b64 exec, exec, s[50:51]
	v_cmp_ne_u16_sdwa s[52:53], v0, v53 src0_sel:BYTE_1 src1_sel:DWORD
	s_and_saveexec_b64 s[50:51], s[52:53]
	s_cbranch_execz .LBB232_221
; %bb.216:                              ;   in Loop: Header=BB232_14 Depth=1
	v_cmp_ne_u16_sdwa s[54:55], v0, s65 src0_sel:BYTE_1 src1_sel:DWORD
	v_pk_mov_b32 v[126:127], s[44:45], s[44:45] op_sel:[0,1]
	s_and_saveexec_b64 s[52:53], s[54:55]
	s_cbranch_execz .LBB232_220
; %bb.217:                              ;   in Loop: Header=BB232_14 Depth=1
	v_and_b32_sdwa v1, v0, s66 dst_sel:DWORD dst_unused:UNUSED_PAD src0_sel:BYTE_1 src1_sel:DWORD
	s_mov_b32 s48, s44
	v_cmp_ne_u32_e32 vcc, s66, v1
	v_pk_mov_b32 v[126:127], s[48:49], s[48:49] op_sel:[0,1]
	s_and_saveexec_b64 s[54:55], vcc
	s_cbranch_execz .LBB232_219
; %bb.218:                              ;   in Loop: Header=BB232_14 Depth=1
	v_mov_b32_e32 v2, 7
	v_and_b32_sdwa v52, v0, v2 dst_sel:DWORD dst_unused:UNUSED_PAD src0_sel:BYTE_1 src1_sel:DWORD
	v_lshrrev_b32_e32 v4, 3, v1
	v_cmp_gt_u32_e32 vcc, 8, v1
	v_ffbh_u32_e32 v1, v52
	v_min_u32_e32 v1, 32, v1
	v_subrev_u32_e32 v2, 28, v1
	v_lshlrev_b64 v[2:3], v2, v[52:53]
	v_sub_u32_e32 v1, 29, v1
	v_and_b32_e32 v2, 7, v2
	v_cndmask_b32_e32 v1, v4, v1, vcc
	v_bfrev_b32_e32 v3, 60
	v_cndmask_b32_e32 v2, v52, v2, vcc
	v_lshlrev_b32_e32 v0, 16, v0
	v_lshl_add_u32 v1, v1, 23, v3
	v_and_or_b32 v0, v0, s45, v1
	v_lshlrev_b32_e32 v1, 20, v2
	v_or_b32_e32 v127, v0, v1
	v_mov_b32_e32 v126, v53
.LBB232_219:                            ;   in Loop: Header=BB232_14 Depth=1
	s_or_b64 exec, exec, s[54:55]
.LBB232_220:                            ;   in Loop: Header=BB232_14 Depth=1
	s_or_b64 exec, exec, s[52:53]
.LBB232_221:                            ;   in Loop: Header=BB232_14 Depth=1
	s_or_b64 exec, exec, s[50:51]
	global_load_ushort v0, v[72:73], off offset:2052
	v_pk_mov_b32 v[54:55], 0, 0
	s_waitcnt vmcnt(0)
	v_and_b32_e32 v2, 0xffff, v0
	v_cmp_ne_u16_sdwa s[52:53], v0, v53 src0_sel:BYTE_0 src1_sel:DWORD
	v_pk_mov_b32 v[0:1], v[54:55], v[54:55] op_sel:[0,1]
	s_and_saveexec_b64 s[50:51], s[52:53]
	s_cbranch_execz .LBB232_227
; %bb.222:                              ;   in Loop: Header=BB232_14 Depth=1
	v_bfrev_b32_e32 v0, 1
	v_cmp_ne_u16_sdwa s[54:55], v2, s65 src0_sel:BYTE_0 src1_sel:DWORD
	v_mov_b32_e32 v1, 0
	s_and_saveexec_b64 s[52:53], s[54:55]
	s_cbranch_execz .LBB232_226
; %bb.223:                              ;   in Loop: Header=BB232_14 Depth=1
	v_and_b32_e32 v3, 0x7f, v2
	v_mov_b32_e32 v0, 0x7f800001
	v_cmp_ne_u32_e32 vcc, s66, v3
	v_mov_b32_e32 v1, 0
	s_and_saveexec_b64 s[54:55], vcc
	s_cbranch_execz .LBB232_225
; %bb.224:                              ;   in Loop: Header=BB232_14 Depth=1
	v_and_b32_e32 v4, 7, v2
	v_ffbh_u32_e32 v0, v4
	v_lshrrev_b32_e32 v5, 3, v3
	v_cmp_gt_u32_e32 vcc, 8, v3
	v_min_u32_e32 v3, 32, v0
	v_subrev_u32_e32 v0, 28, v3
	v_lshlrev_b64 v[0:1], v0, v[2:3]
	v_sub_u32_e32 v1, 29, v3
	v_and_b32_e32 v0, 7, v0
	v_cndmask_b32_e32 v1, v5, v1, vcc
	v_cndmask_b32_e32 v0, v4, v0, vcc
	v_bfrev_b32_e32 v4, 60
	v_lshlrev_b32_e32 v0, 20, v0
	v_and_b32_sdwa v3, sext(v2), s45 dst_sel:DWORD dst_unused:UNUSED_PAD src0_sel:BYTE_0 src1_sel:DWORD
	v_lshl_add_u32 v1, v1, 23, v4
	v_or3_b32 v52, v3, v1, v0
	v_pk_mov_b32 v[0:1], v[52:53], v[52:53] op_sel:[0,1]
.LBB232_225:                            ;   in Loop: Header=BB232_14 Depth=1
	s_or_b64 exec, exec, s[54:55]
.LBB232_226:                            ;   in Loop: Header=BB232_14 Depth=1
	s_or_b64 exec, exec, s[52:53]
.LBB232_227:                            ;   in Loop: Header=BB232_14 Depth=1
	s_or_b64 exec, exec, s[50:51]
	v_cmp_ne_u16_sdwa s[52:53], v2, v53 src0_sel:BYTE_1 src1_sel:DWORD
	s_and_saveexec_b64 s[50:51], s[52:53]
	s_cbranch_execz .LBB232_233
; %bb.228:                              ;   in Loop: Header=BB232_14 Depth=1
	v_cmp_ne_u16_sdwa s[54:55], v2, s65 src0_sel:BYTE_1 src1_sel:DWORD
	v_pk_mov_b32 v[54:55], s[44:45], s[44:45] op_sel:[0,1]
	s_and_saveexec_b64 s[52:53], s[54:55]
	s_cbranch_execz .LBB232_232
; %bb.229:                              ;   in Loop: Header=BB232_14 Depth=1
	v_and_b32_sdwa v3, v2, s66 dst_sel:DWORD dst_unused:UNUSED_PAD src0_sel:BYTE_1 src1_sel:DWORD
	s_mov_b32 s48, s44
	v_cmp_ne_u32_e32 vcc, s66, v3
	v_pk_mov_b32 v[54:55], s[48:49], s[48:49] op_sel:[0,1]
	s_and_saveexec_b64 s[54:55], vcc
	s_cbranch_execz .LBB232_231
; %bb.230:                              ;   in Loop: Header=BB232_14 Depth=1
	v_mov_b32_e32 v4, 7
	v_and_b32_sdwa v52, v2, v4 dst_sel:DWORD dst_unused:UNUSED_PAD src0_sel:BYTE_1 src1_sel:DWORD
	v_lshrrev_b32_e32 v6, 3, v3
	v_cmp_gt_u32_e32 vcc, 8, v3
	v_ffbh_u32_e32 v3, v52
	v_min_u32_e32 v3, 32, v3
	v_subrev_u32_e32 v4, 28, v3
	v_lshlrev_b64 v[4:5], v4, v[52:53]
	v_sub_u32_e32 v3, 29, v3
	v_and_b32_e32 v4, 7, v4
	v_cndmask_b32_e32 v3, v6, v3, vcc
	v_bfrev_b32_e32 v5, 60
	v_cndmask_b32_e32 v4, v52, v4, vcc
	v_lshlrev_b32_e32 v2, 16, v2
	v_lshl_add_u32 v3, v3, 23, v5
	v_and_or_b32 v2, v2, s45, v3
	v_lshlrev_b32_e32 v3, 20, v4
	v_or_b32_e32 v55, v2, v3
	v_mov_b32_e32 v54, v53
.LBB232_231:                            ;   in Loop: Header=BB232_14 Depth=1
	s_or_b64 exec, exec, s[54:55]
.LBB232_232:                            ;   in Loop: Header=BB232_14 Depth=1
	s_or_b64 exec, exec, s[52:53]
.LBB232_233:                            ;   in Loop: Header=BB232_14 Depth=1
	s_or_b64 exec, exec, s[50:51]
	v_add_co_u32_e32 v2, vcc, 0x800, v72
	v_addc_co_u32_e32 v3, vcc, 0, v73, vcc
	global_load_ushort v5, v[2:3], off offset:8
	v_pk_mov_b32 v[60:61], 0, 0
	v_pk_mov_b32 v[66:67], v[60:61], v[60:61] op_sel:[0,1]
	s_waitcnt vmcnt(0)
	v_and_b32_e32 v4, 0xffff, v5
	v_cmp_ne_u16_sdwa s[52:53], v5, v53 src0_sel:BYTE_0 src1_sel:DWORD
	s_and_saveexec_b64 s[50:51], s[52:53]
	s_cbranch_execz .LBB232_239
; %bb.234:                              ;   in Loop: Header=BB232_14 Depth=1
	v_bfrev_b32_e32 v66, 1
	v_cmp_ne_u16_sdwa s[54:55], v4, s65 src0_sel:BYTE_0 src1_sel:DWORD
	v_mov_b32_e32 v67, 0
	s_and_saveexec_b64 s[52:53], s[54:55]
	s_cbranch_execz .LBB232_238
; %bb.235:                              ;   in Loop: Header=BB232_14 Depth=1
	v_and_b32_e32 v5, 0x7f, v4
	v_mov_b32_e32 v66, 0x7f800001
	v_cmp_ne_u32_e32 vcc, s66, v5
	v_mov_b32_e32 v67, 0
	s_and_saveexec_b64 s[54:55], vcc
	s_cbranch_execz .LBB232_237
; %bb.236:                              ;   in Loop: Header=BB232_14 Depth=1
	v_and_b32_e32 v8, 7, v4
	v_lshrrev_b32_e32 v9, 3, v5
	v_cmp_gt_u32_e32 vcc, 8, v5
	v_ffbh_u32_e32 v5, v8
	v_min_u32_e32 v5, 32, v5
	v_subrev_u32_e32 v6, 28, v5
	v_lshlrev_b64 v[6:7], v6, v[4:5]
	v_sub_u32_e32 v5, 29, v5
	v_and_b32_e32 v6, 7, v6
	v_cndmask_b32_e32 v5, v9, v5, vcc
	v_cndmask_b32_e32 v6, v8, v6, vcc
	v_bfrev_b32_e32 v8, 60
	v_lshlrev_b32_e32 v6, 20, v6
	v_and_b32_sdwa v7, sext(v4), s45 dst_sel:DWORD dst_unused:UNUSED_PAD src0_sel:BYTE_0 src1_sel:DWORD
	v_lshl_add_u32 v5, v5, 23, v8
	v_or3_b32 v52, v7, v5, v6
	v_pk_mov_b32 v[66:67], v[52:53], v[52:53] op_sel:[0,1]
.LBB232_237:                            ;   in Loop: Header=BB232_14 Depth=1
	s_or_b64 exec, exec, s[54:55]
.LBB232_238:                            ;   in Loop: Header=BB232_14 Depth=1
	s_or_b64 exec, exec, s[52:53]
.LBB232_239:                            ;   in Loop: Header=BB232_14 Depth=1
	s_or_b64 exec, exec, s[50:51]
	v_cmp_ne_u16_sdwa s[52:53], v4, v53 src0_sel:BYTE_1 src1_sel:DWORD
	s_and_saveexec_b64 s[50:51], s[52:53]
	s_cbranch_execz .LBB232_245
; %bb.240:                              ;   in Loop: Header=BB232_14 Depth=1
	v_cmp_ne_u16_sdwa s[54:55], v4, s65 src0_sel:BYTE_1 src1_sel:DWORD
	v_pk_mov_b32 v[60:61], s[44:45], s[44:45] op_sel:[0,1]
	s_and_saveexec_b64 s[52:53], s[54:55]
	s_cbranch_execz .LBB232_244
; %bb.241:                              ;   in Loop: Header=BB232_14 Depth=1
	v_and_b32_sdwa v5, v4, s66 dst_sel:DWORD dst_unused:UNUSED_PAD src0_sel:BYTE_1 src1_sel:DWORD
	s_mov_b32 s48, s44
	v_cmp_ne_u32_e32 vcc, s66, v5
	v_pk_mov_b32 v[60:61], s[48:49], s[48:49] op_sel:[0,1]
	s_and_saveexec_b64 s[54:55], vcc
	s_cbranch_execz .LBB232_243
; %bb.242:                              ;   in Loop: Header=BB232_14 Depth=1
	v_mov_b32_e32 v6, 7
	v_and_b32_sdwa v52, v4, v6 dst_sel:DWORD dst_unused:UNUSED_PAD src0_sel:BYTE_1 src1_sel:DWORD
	v_lshrrev_b32_e32 v8, 3, v5
	v_cmp_gt_u32_e32 vcc, 8, v5
	v_ffbh_u32_e32 v5, v52
	v_min_u32_e32 v5, 32, v5
	v_subrev_u32_e32 v6, 28, v5
	v_lshlrev_b64 v[6:7], v6, v[52:53]
	v_sub_u32_e32 v5, 29, v5
	v_and_b32_e32 v6, 7, v6
	v_cndmask_b32_e32 v5, v8, v5, vcc
	v_bfrev_b32_e32 v7, 60
	v_cndmask_b32_e32 v6, v52, v6, vcc
	v_lshlrev_b32_e32 v4, 16, v4
	v_lshl_add_u32 v5, v5, 23, v7
	v_and_or_b32 v4, v4, s45, v5
	v_lshlrev_b32_e32 v5, 20, v6
	v_or_b32_e32 v61, v4, v5
	v_mov_b32_e32 v60, v53
.LBB232_243:                            ;   in Loop: Header=BB232_14 Depth=1
	s_or_b64 exec, exec, s[54:55]
.LBB232_244:                            ;   in Loop: Header=BB232_14 Depth=1
	s_or_b64 exec, exec, s[52:53]
.LBB232_245:                            ;   in Loop: Header=BB232_14 Depth=1
	s_or_b64 exec, exec, s[50:51]
	global_load_ushort v3, v[2:3], off offset:12
	v_pk_mov_b32 v[70:71], 0, 0
	v_pk_mov_b32 v[76:77], v[70:71], v[70:71] op_sel:[0,1]
	s_waitcnt vmcnt(0)
	v_and_b32_e32 v2, 0xffff, v3
	v_cmp_ne_u16_sdwa s[52:53], v3, v53 src0_sel:BYTE_0 src1_sel:DWORD
	s_and_saveexec_b64 s[50:51], s[52:53]
	s_cbranch_execz .LBB232_251
; %bb.246:                              ;   in Loop: Header=BB232_14 Depth=1
	v_bfrev_b32_e32 v76, 1
	v_cmp_ne_u16_sdwa s[54:55], v2, s65 src0_sel:BYTE_0 src1_sel:DWORD
	v_mov_b32_e32 v77, 0
	s_and_saveexec_b64 s[52:53], s[54:55]
	s_cbranch_execz .LBB232_250
; %bb.247:                              ;   in Loop: Header=BB232_14 Depth=1
	v_and_b32_e32 v3, 0x7f, v2
	v_mov_b32_e32 v76, 0x7f800001
	v_cmp_ne_u32_e32 vcc, s66, v3
	v_mov_b32_e32 v77, 0
	s_and_saveexec_b64 s[54:55], vcc
	s_cbranch_execz .LBB232_249
; %bb.248:                              ;   in Loop: Header=BB232_14 Depth=1
	v_and_b32_e32 v6, 7, v2
	v_lshrrev_b32_e32 v7, 3, v3
	v_cmp_gt_u32_e32 vcc, 8, v3
	v_ffbh_u32_e32 v3, v6
	v_min_u32_e32 v3, 32, v3
	v_subrev_u32_e32 v4, 28, v3
	v_lshlrev_b64 v[4:5], v4, v[2:3]
	v_sub_u32_e32 v3, 29, v3
	v_and_b32_e32 v4, 7, v4
	v_cndmask_b32_e32 v3, v7, v3, vcc
	v_cndmask_b32_e32 v4, v6, v4, vcc
	v_bfrev_b32_e32 v6, 60
	v_lshlrev_b32_e32 v4, 20, v4
	v_and_b32_sdwa v5, sext(v2), s45 dst_sel:DWORD dst_unused:UNUSED_PAD src0_sel:BYTE_0 src1_sel:DWORD
	v_lshl_add_u32 v3, v3, 23, v6
	v_or3_b32 v52, v5, v3, v4
	v_pk_mov_b32 v[76:77], v[52:53], v[52:53] op_sel:[0,1]
.LBB232_249:                            ;   in Loop: Header=BB232_14 Depth=1
	s_or_b64 exec, exec, s[54:55]
.LBB232_250:                            ;   in Loop: Header=BB232_14 Depth=1
	s_or_b64 exec, exec, s[52:53]
.LBB232_251:                            ;   in Loop: Header=BB232_14 Depth=1
	s_or_b64 exec, exec, s[50:51]
	v_cmp_ne_u16_sdwa s[52:53], v2, v53 src0_sel:BYTE_1 src1_sel:DWORD
	s_and_saveexec_b64 s[50:51], s[52:53]
	s_cbranch_execz .LBB232_257
; %bb.252:                              ;   in Loop: Header=BB232_14 Depth=1
	v_cmp_ne_u16_sdwa s[54:55], v2, s65 src0_sel:BYTE_1 src1_sel:DWORD
	v_pk_mov_b32 v[70:71], s[44:45], s[44:45] op_sel:[0,1]
	s_and_saveexec_b64 s[52:53], s[54:55]
	s_cbranch_execz .LBB232_256
; %bb.253:                              ;   in Loop: Header=BB232_14 Depth=1
	v_and_b32_sdwa v3, v2, s66 dst_sel:DWORD dst_unused:UNUSED_PAD src0_sel:BYTE_1 src1_sel:DWORD
	s_mov_b32 s48, s44
	v_cmp_ne_u32_e32 vcc, s66, v3
	v_pk_mov_b32 v[70:71], s[48:49], s[48:49] op_sel:[0,1]
	s_and_saveexec_b64 s[54:55], vcc
	s_cbranch_execz .LBB232_255
; %bb.254:                              ;   in Loop: Header=BB232_14 Depth=1
	v_mov_b32_e32 v4, 7
	v_and_b32_sdwa v52, v2, v4 dst_sel:DWORD dst_unused:UNUSED_PAD src0_sel:BYTE_1 src1_sel:DWORD
	v_lshrrev_b32_e32 v6, 3, v3
	v_cmp_gt_u32_e32 vcc, 8, v3
	v_ffbh_u32_e32 v3, v52
	v_min_u32_e32 v3, 32, v3
	v_subrev_u32_e32 v4, 28, v3
	v_lshlrev_b64 v[4:5], v4, v[52:53]
	v_sub_u32_e32 v3, 29, v3
	v_and_b32_e32 v4, 7, v4
	v_cndmask_b32_e32 v3, v6, v3, vcc
	v_bfrev_b32_e32 v5, 60
	v_cndmask_b32_e32 v4, v52, v4, vcc
	v_lshlrev_b32_e32 v2, 16, v2
	v_lshl_add_u32 v3, v3, 23, v5
	v_and_or_b32 v2, v2, s45, v3
	v_lshlrev_b32_e32 v3, 20, v4
	v_or_b32_e32 v71, v2, v3
	v_mov_b32_e32 v70, v53
.LBB232_255:                            ;   in Loop: Header=BB232_14 Depth=1
	s_or_b64 exec, exec, s[54:55]
.LBB232_256:                            ;   in Loop: Header=BB232_14 Depth=1
	s_or_b64 exec, exec, s[52:53]
.LBB232_257:                            ;   in Loop: Header=BB232_14 Depth=1
	s_or_b64 exec, exec, s[50:51]
	global_load_ushort v2, v[72:73], off offset:2560
	v_pk_mov_b32 v[80:81], 0, 0
	s_waitcnt vmcnt(0)
	v_and_b32_e32 v4, 0xffff, v2
	v_cmp_ne_u16_sdwa s[52:53], v2, v53 src0_sel:BYTE_0 src1_sel:DWORD
	v_pk_mov_b32 v[2:3], v[80:81], v[80:81] op_sel:[0,1]
	s_and_saveexec_b64 s[50:51], s[52:53]
	s_cbranch_execz .LBB232_263
; %bb.258:                              ;   in Loop: Header=BB232_14 Depth=1
	v_bfrev_b32_e32 v2, 1
	v_cmp_ne_u16_sdwa s[54:55], v4, s65 src0_sel:BYTE_0 src1_sel:DWORD
	v_mov_b32_e32 v3, 0
	s_and_saveexec_b64 s[52:53], s[54:55]
	s_cbranch_execz .LBB232_262
; %bb.259:                              ;   in Loop: Header=BB232_14 Depth=1
	v_and_b32_e32 v5, 0x7f, v4
	v_mov_b32_e32 v2, 0x7f800001
	v_cmp_ne_u32_e32 vcc, s66, v5
	v_mov_b32_e32 v3, 0
	s_and_saveexec_b64 s[54:55], vcc
	s_cbranch_execz .LBB232_261
; %bb.260:                              ;   in Loop: Header=BB232_14 Depth=1
	v_and_b32_e32 v6, 7, v4
	v_ffbh_u32_e32 v2, v6
	v_lshrrev_b32_e32 v7, 3, v5
	v_cmp_gt_u32_e32 vcc, 8, v5
	v_min_u32_e32 v5, 32, v2
	v_subrev_u32_e32 v2, 28, v5
	v_lshlrev_b64 v[2:3], v2, v[4:5]
	v_sub_u32_e32 v3, 29, v5
	v_and_b32_e32 v2, 7, v2
	v_cndmask_b32_e32 v3, v7, v3, vcc
	v_cndmask_b32_e32 v2, v6, v2, vcc
	v_bfrev_b32_e32 v6, 60
	v_lshlrev_b32_e32 v2, 20, v2
	v_and_b32_sdwa v5, sext(v4), s45 dst_sel:DWORD dst_unused:UNUSED_PAD src0_sel:BYTE_0 src1_sel:DWORD
	v_lshl_add_u32 v3, v3, 23, v6
	v_or3_b32 v52, v5, v3, v2
	v_pk_mov_b32 v[2:3], v[52:53], v[52:53] op_sel:[0,1]
.LBB232_261:                            ;   in Loop: Header=BB232_14 Depth=1
	s_or_b64 exec, exec, s[54:55]
.LBB232_262:                            ;   in Loop: Header=BB232_14 Depth=1
	s_or_b64 exec, exec, s[52:53]
.LBB232_263:                            ;   in Loop: Header=BB232_14 Depth=1
	s_or_b64 exec, exec, s[50:51]
	v_cmp_ne_u16_sdwa s[52:53], v4, v53 src0_sel:BYTE_1 src1_sel:DWORD
	s_and_saveexec_b64 s[50:51], s[52:53]
	s_cbranch_execz .LBB232_269
; %bb.264:                              ;   in Loop: Header=BB232_14 Depth=1
	v_cmp_ne_u16_sdwa s[54:55], v4, s65 src0_sel:BYTE_1 src1_sel:DWORD
	v_pk_mov_b32 v[80:81], s[44:45], s[44:45] op_sel:[0,1]
	s_and_saveexec_b64 s[52:53], s[54:55]
	s_cbranch_execz .LBB232_268
; %bb.265:                              ;   in Loop: Header=BB232_14 Depth=1
	v_and_b32_sdwa v5, v4, s66 dst_sel:DWORD dst_unused:UNUSED_PAD src0_sel:BYTE_1 src1_sel:DWORD
	s_mov_b32 s48, s44
	v_cmp_ne_u32_e32 vcc, s66, v5
	v_pk_mov_b32 v[80:81], s[48:49], s[48:49] op_sel:[0,1]
	s_and_saveexec_b64 s[54:55], vcc
	s_cbranch_execz .LBB232_267
; %bb.266:                              ;   in Loop: Header=BB232_14 Depth=1
	v_mov_b32_e32 v6, 7
	v_and_b32_sdwa v52, v4, v6 dst_sel:DWORD dst_unused:UNUSED_PAD src0_sel:BYTE_1 src1_sel:DWORD
	v_lshrrev_b32_e32 v8, 3, v5
	v_cmp_gt_u32_e32 vcc, 8, v5
	v_ffbh_u32_e32 v5, v52
	v_min_u32_e32 v5, 32, v5
	v_subrev_u32_e32 v6, 28, v5
	v_lshlrev_b64 v[6:7], v6, v[52:53]
	v_sub_u32_e32 v5, 29, v5
	v_and_b32_e32 v6, 7, v6
	v_cndmask_b32_e32 v5, v8, v5, vcc
	v_bfrev_b32_e32 v7, 60
	v_cndmask_b32_e32 v6, v52, v6, vcc
	v_lshlrev_b32_e32 v4, 16, v4
	v_lshl_add_u32 v5, v5, 23, v7
	v_and_or_b32 v4, v4, s45, v5
	v_lshlrev_b32_e32 v5, 20, v6
	v_or_b32_e32 v81, v4, v5
	v_mov_b32_e32 v80, v53
.LBB232_267:                            ;   in Loop: Header=BB232_14 Depth=1
	s_or_b64 exec, exec, s[54:55]
.LBB232_268:                            ;   in Loop: Header=BB232_14 Depth=1
	s_or_b64 exec, exec, s[52:53]
.LBB232_269:                            ;   in Loop: Header=BB232_14 Depth=1
	s_or_b64 exec, exec, s[50:51]
	global_load_ushort v6, v[72:73], off offset:2564
	v_pk_mov_b32 v[4:5], 0, 0
	s_waitcnt vmcnt(0)
	v_and_b32_e32 v8, 0xffff, v6
	v_cmp_ne_u16_sdwa s[52:53], v6, v53 src0_sel:BYTE_0 src1_sel:DWORD
	v_pk_mov_b32 v[6:7], v[4:5], v[4:5] op_sel:[0,1]
	s_and_saveexec_b64 s[50:51], s[52:53]
	s_cbranch_execz .LBB232_275
; %bb.270:                              ;   in Loop: Header=BB232_14 Depth=1
	v_bfrev_b32_e32 v6, 1
	v_cmp_ne_u16_sdwa s[54:55], v8, s65 src0_sel:BYTE_0 src1_sel:DWORD
	v_mov_b32_e32 v7, 0
	s_and_saveexec_b64 s[52:53], s[54:55]
	s_cbranch_execz .LBB232_274
; %bb.271:                              ;   in Loop: Header=BB232_14 Depth=1
	v_and_b32_e32 v9, 0x7f, v8
	v_mov_b32_e32 v6, 0x7f800001
	v_cmp_ne_u32_e32 vcc, s66, v9
	v_mov_b32_e32 v7, 0
	s_and_saveexec_b64 s[54:55], vcc
	s_cbranch_execz .LBB232_273
; %bb.272:                              ;   in Loop: Header=BB232_14 Depth=1
	v_and_b32_e32 v10, 7, v8
	v_ffbh_u32_e32 v6, v10
	v_lshrrev_b32_e32 v11, 3, v9
	v_cmp_gt_u32_e32 vcc, 8, v9
	v_min_u32_e32 v9, 32, v6
	v_subrev_u32_e32 v6, 28, v9
	v_lshlrev_b64 v[6:7], v6, v[8:9]
	v_sub_u32_e32 v7, 29, v9
	v_and_b32_e32 v6, 7, v6
	v_cndmask_b32_e32 v7, v11, v7, vcc
	v_cndmask_b32_e32 v6, v10, v6, vcc
	v_bfrev_b32_e32 v10, 60
	v_lshlrev_b32_e32 v6, 20, v6
	v_and_b32_sdwa v9, sext(v8), s45 dst_sel:DWORD dst_unused:UNUSED_PAD src0_sel:BYTE_0 src1_sel:DWORD
	v_lshl_add_u32 v7, v7, 23, v10
	v_or3_b32 v52, v9, v7, v6
	v_pk_mov_b32 v[6:7], v[52:53], v[52:53] op_sel:[0,1]
.LBB232_273:                            ;   in Loop: Header=BB232_14 Depth=1
	s_or_b64 exec, exec, s[54:55]
.LBB232_274:                            ;   in Loop: Header=BB232_14 Depth=1
	s_or_b64 exec, exec, s[52:53]
.LBB232_275:                            ;   in Loop: Header=BB232_14 Depth=1
	s_or_b64 exec, exec, s[50:51]
	v_cmp_ne_u16_sdwa s[52:53], v8, v53 src0_sel:BYTE_1 src1_sel:DWORD
	s_and_saveexec_b64 s[50:51], s[52:53]
	s_cbranch_execz .LBB232_281
; %bb.276:                              ;   in Loop: Header=BB232_14 Depth=1
	v_cmp_ne_u16_sdwa s[54:55], v8, s65 src0_sel:BYTE_1 src1_sel:DWORD
	v_pk_mov_b32 v[4:5], s[44:45], s[44:45] op_sel:[0,1]
	s_and_saveexec_b64 s[52:53], s[54:55]
	s_cbranch_execz .LBB232_280
; %bb.277:                              ;   in Loop: Header=BB232_14 Depth=1
	v_and_b32_sdwa v9, v8, s66 dst_sel:DWORD dst_unused:UNUSED_PAD src0_sel:BYTE_1 src1_sel:DWORD
	s_mov_b32 s48, s44
	v_cmp_ne_u32_e32 vcc, s66, v9
	v_pk_mov_b32 v[4:5], s[48:49], s[48:49] op_sel:[0,1]
	s_and_saveexec_b64 s[54:55], vcc
	s_cbranch_execz .LBB232_279
; %bb.278:                              ;   in Loop: Header=BB232_14 Depth=1
	v_mov_b32_e32 v4, 7
	v_and_b32_sdwa v52, v8, v4 dst_sel:DWORD dst_unused:UNUSED_PAD src0_sel:BYTE_1 src1_sel:DWORD
	v_ffbh_u32_e32 v4, v52
	v_lshrrev_b32_e32 v10, 3, v9
	v_cmp_gt_u32_e32 vcc, 8, v9
	v_min_u32_e32 v9, 32, v4
	v_subrev_u32_e32 v4, 28, v9
	v_lshlrev_b64 v[4:5], v4, v[52:53]
	v_sub_u32_e32 v5, 29, v9
	v_and_b32_e32 v4, 7, v4
	v_cndmask_b32_e32 v5, v10, v5, vcc
	v_bfrev_b32_e32 v9, 60
	v_cndmask_b32_e32 v4, v52, v4, vcc
	v_lshlrev_b32_e32 v8, 16, v8
	v_lshl_add_u32 v5, v5, 23, v9
	v_and_or_b32 v5, v8, s45, v5
	v_lshlrev_b32_e32 v4, 20, v4
	v_or_b32_e32 v5, v5, v4
	v_mov_b32_e32 v4, v53
.LBB232_279:                            ;   in Loop: Header=BB232_14 Depth=1
	s_or_b64 exec, exec, s[54:55]
.LBB232_280:                            ;   in Loop: Header=BB232_14 Depth=1
	s_or_b64 exec, exec, s[52:53]
.LBB232_281:                            ;   in Loop: Header=BB232_14 Depth=1
	s_or_b64 exec, exec, s[50:51]
	v_add_co_u32_e32 v8, vcc, 0xa00, v72
	v_addc_co_u32_e32 v9, vcc, 0, v73, vcc
	global_load_ushort v12, v[8:9], off offset:8
	v_pk_mov_b32 v[10:11], 0, 0
	s_waitcnt vmcnt(0)
	v_and_b32_e32 v14, 0xffff, v12
	v_cmp_ne_u16_sdwa s[52:53], v12, v53 src0_sel:BYTE_0 src1_sel:DWORD
	v_pk_mov_b32 v[12:13], v[10:11], v[10:11] op_sel:[0,1]
	s_and_saveexec_b64 s[50:51], s[52:53]
	s_cbranch_execz .LBB232_287
; %bb.282:                              ;   in Loop: Header=BB232_14 Depth=1
	v_bfrev_b32_e32 v12, 1
	v_cmp_ne_u16_sdwa s[54:55], v14, s65 src0_sel:BYTE_0 src1_sel:DWORD
	v_mov_b32_e32 v13, 0
	s_and_saveexec_b64 s[52:53], s[54:55]
	s_cbranch_execz .LBB232_286
; %bb.283:                              ;   in Loop: Header=BB232_14 Depth=1
	v_and_b32_e32 v20, 0x7f, v14
	v_mov_b32_e32 v12, 0x7f800001
	v_cmp_ne_u32_e32 vcc, s66, v20
	v_mov_b32_e32 v13, 0
	s_and_saveexec_b64 s[54:55], vcc
	s_cbranch_execz .LBB232_285
; %bb.284:                              ;   in Loop: Header=BB232_14 Depth=1
	v_and_b32_e32 v52, 7, v14
	v_ffbh_u32_e32 v12, v52
	v_lshrrev_b32_e32 v72, 3, v20
	v_cmp_gt_u32_e32 vcc, 8, v20
	v_min_u32_e32 v20, 32, v12
	v_subrev_u32_e32 v12, 28, v20
	v_lshlrev_b64 v[12:13], v12, v[14:15]
	v_sub_u32_e32 v13, 29, v20
	v_and_b32_e32 v12, 7, v12
	v_cndmask_b32_e32 v13, v72, v13, vcc
	v_cndmask_b32_e32 v12, v52, v12, vcc
	v_bfrev_b32_e32 v21, 60
	v_lshlrev_b32_e32 v12, 20, v12
	v_and_b32_sdwa v20, sext(v14), s45 dst_sel:DWORD dst_unused:UNUSED_PAD src0_sel:BYTE_0 src1_sel:DWORD
	v_lshl_add_u32 v13, v13, 23, v21
	v_or3_b32 v52, v20, v13, v12
	v_pk_mov_b32 v[12:13], v[52:53], v[52:53] op_sel:[0,1]
.LBB232_285:                            ;   in Loop: Header=BB232_14 Depth=1
	s_or_b64 exec, exec, s[54:55]
.LBB232_286:                            ;   in Loop: Header=BB232_14 Depth=1
	s_or_b64 exec, exec, s[52:53]
.LBB232_287:                            ;   in Loop: Header=BB232_14 Depth=1
	s_or_b64 exec, exec, s[50:51]
	v_cmp_ne_u16_sdwa s[52:53], v14, v53 src0_sel:BYTE_1 src1_sel:DWORD
	s_and_saveexec_b64 s[50:51], s[52:53]
	s_cbranch_execz .LBB232_293
; %bb.288:                              ;   in Loop: Header=BB232_14 Depth=1
	v_cmp_ne_u16_sdwa s[54:55], v14, s65 src0_sel:BYTE_1 src1_sel:DWORD
	v_pk_mov_b32 v[10:11], s[44:45], s[44:45] op_sel:[0,1]
	s_and_saveexec_b64 s[52:53], s[54:55]
	s_cbranch_execz .LBB232_292
; %bb.289:                              ;   in Loop: Header=BB232_14 Depth=1
	v_and_b32_sdwa v72, v14, s66 dst_sel:DWORD dst_unused:UNUSED_PAD src0_sel:BYTE_1 src1_sel:DWORD
	s_mov_b32 s48, s44
	v_cmp_ne_u32_e32 vcc, s66, v72
	v_pk_mov_b32 v[10:11], s[48:49], s[48:49] op_sel:[0,1]
	s_and_saveexec_b64 s[54:55], vcc
	s_cbranch_execz .LBB232_291
; %bb.290:                              ;   in Loop: Header=BB232_14 Depth=1
	v_mov_b32_e32 v10, 7
	v_and_b32_sdwa v52, v14, v10 dst_sel:DWORD dst_unused:UNUSED_PAD src0_sel:BYTE_1 src1_sel:DWORD
	v_ffbh_u32_e32 v10, v52
	v_lshrrev_b32_e32 v20, 3, v72
	v_cmp_gt_u32_e32 vcc, 8, v72
	v_min_u32_e32 v72, 32, v10
	v_subrev_u32_e32 v10, 28, v72
	v_lshlrev_b64 v[10:11], v10, v[52:53]
	v_sub_u32_e32 v11, 29, v72
	v_and_b32_e32 v10, 7, v10
	v_cndmask_b32_e32 v11, v20, v11, vcc
	v_bfrev_b32_e32 v20, 60
	v_cndmask_b32_e32 v10, v52, v10, vcc
	v_lshlrev_b32_e32 v14, 16, v14
	v_lshl_add_u32 v11, v11, 23, v20
	v_and_or_b32 v11, v14, s45, v11
	v_lshlrev_b32_e32 v10, 20, v10
	v_or_b32_e32 v11, v11, v10
	v_mov_b32_e32 v10, v53
.LBB232_291:                            ;   in Loop: Header=BB232_14 Depth=1
	s_or_b64 exec, exec, s[54:55]
.LBB232_292:                            ;   in Loop: Header=BB232_14 Depth=1
	s_or_b64 exec, exec, s[52:53]
.LBB232_293:                            ;   in Loop: Header=BB232_14 Depth=1
	s_or_b64 exec, exec, s[50:51]
	global_load_ushort v20, v[8:9], off offset:12
	v_pk_mov_b32 v[8:9], 0, 0
	v_pk_mov_b32 v[72:73], v[8:9], v[8:9] op_sel:[0,1]
	s_waitcnt vmcnt(0)
	v_and_b32_e32 v14, 0xffff, v20
	v_cmp_ne_u16_sdwa s[52:53], v20, v53 src0_sel:BYTE_0 src1_sel:DWORD
	s_and_saveexec_b64 s[50:51], s[52:53]
	s_cbranch_execz .LBB232_299
; %bb.294:                              ;   in Loop: Header=BB232_14 Depth=1
	v_bfrev_b32_e32 v72, 1
	v_cmp_ne_u16_sdwa s[54:55], v14, s65 src0_sel:BYTE_0 src1_sel:DWORD
	v_mov_b32_e32 v73, 0
	s_and_saveexec_b64 s[52:53], s[54:55]
	s_cbranch_execz .LBB232_298
; %bb.295:                              ;   in Loop: Header=BB232_14 Depth=1
	v_and_b32_e32 v20, 0x7f, v14
	v_mov_b32_e32 v72, 0x7f800001
	v_cmp_ne_u32_e32 vcc, s66, v20
	v_mov_b32_e32 v73, 0
	s_and_saveexec_b64 s[54:55], vcc
	s_cbranch_execz .LBB232_297
; %bb.296:                              ;   in Loop: Header=BB232_14 Depth=1
	v_and_b32_e32 v52, 7, v14
	v_lshrrev_b32_e32 v21, 3, v20
	v_cmp_gt_u32_e32 vcc, 8, v20
	v_ffbh_u32_e32 v20, v52
	v_min_u32_e32 v20, 32, v20
	v_subrev_u32_e32 v72, 28, v20
	v_lshlrev_b64 v[72:73], v72, v[14:15]
	v_sub_u32_e32 v20, 29, v20
	v_and_b32_e32 v72, 7, v72
	v_cndmask_b32_e32 v20, v21, v20, vcc
	v_cndmask_b32_e32 v21, v52, v72, vcc
	v_bfrev_b32_e32 v72, 60
	v_lshlrev_b32_e32 v21, 20, v21
	v_and_b32_sdwa v52, sext(v14), s45 dst_sel:DWORD dst_unused:UNUSED_PAD src0_sel:BYTE_0 src1_sel:DWORD
	v_lshl_add_u32 v20, v20, 23, v72
	v_or3_b32 v52, v52, v20, v21
	v_pk_mov_b32 v[72:73], v[52:53], v[52:53] op_sel:[0,1]
.LBB232_297:                            ;   in Loop: Header=BB232_14 Depth=1
	s_or_b64 exec, exec, s[54:55]
.LBB232_298:                            ;   in Loop: Header=BB232_14 Depth=1
	s_or_b64 exec, exec, s[52:53]
.LBB232_299:                            ;   in Loop: Header=BB232_14 Depth=1
	s_or_b64 exec, exec, s[50:51]
	v_cmp_ne_u16_sdwa s[52:53], v14, v53 src0_sel:BYTE_1 src1_sel:DWORD
	s_and_saveexec_b64 s[50:51], s[52:53]
	s_cbranch_execz .LBB232_305
; %bb.300:                              ;   in Loop: Header=BB232_14 Depth=1
	v_cmp_ne_u16_sdwa s[54:55], v14, s65 src0_sel:BYTE_1 src1_sel:DWORD
	v_pk_mov_b32 v[8:9], s[44:45], s[44:45] op_sel:[0,1]
	s_and_saveexec_b64 s[52:53], s[54:55]
	s_cbranch_execz .LBB232_304
; %bb.301:                              ;   in Loop: Header=BB232_14 Depth=1
	v_and_b32_sdwa v20, v14, s66 dst_sel:DWORD dst_unused:UNUSED_PAD src0_sel:BYTE_1 src1_sel:DWORD
	s_mov_b32 s48, s44
	v_cmp_ne_u32_e32 vcc, s66, v20
	v_pk_mov_b32 v[8:9], s[48:49], s[48:49] op_sel:[0,1]
	s_and_saveexec_b64 s[54:55], vcc
	s_cbranch_execz .LBB232_303
; %bb.302:                              ;   in Loop: Header=BB232_14 Depth=1
	v_mov_b32_e32 v8, 7
	v_and_b32_sdwa v52, v14, v8 dst_sel:DWORD dst_unused:UNUSED_PAD src0_sel:BYTE_1 src1_sel:DWORD
	v_ffbh_u32_e32 v8, v52
	v_lshrrev_b32_e32 v21, 3, v20
	v_cmp_gt_u32_e32 vcc, 8, v20
	v_min_u32_e32 v20, 32, v8
	v_subrev_u32_e32 v8, 28, v20
	v_lshlrev_b64 v[8:9], v8, v[52:53]
	v_sub_u32_e32 v9, 29, v20
	v_and_b32_e32 v8, 7, v8
	v_cndmask_b32_e32 v9, v21, v9, vcc
	v_bfrev_b32_e32 v20, 60
	v_cndmask_b32_e32 v8, v52, v8, vcc
	v_lshlrev_b32_e32 v14, 16, v14
	v_lshl_add_u32 v9, v9, 23, v20
	v_and_or_b32 v9, v14, s45, v9
	v_lshlrev_b32_e32 v8, 20, v8
	v_or_b32_e32 v9, v9, v8
	v_mov_b32_e32 v8, v53
.LBB232_303:                            ;   in Loop: Header=BB232_14 Depth=1
	s_or_b64 exec, exec, s[54:55]
.LBB232_304:                            ;   in Loop: Header=BB232_14 Depth=1
	s_or_b64 exec, exec, s[52:53]
.LBB232_305:                            ;   in Loop: Header=BB232_14 Depth=1
	s_or_b64 exec, exec, s[50:51]
	buffer_load_dword v20, off, s[68:71], 0 offset:32 ; 4-byte Folded Reload
	buffer_load_dword v21, off, s[68:71], 0 offset:36 ; 4-byte Folded Reload
	v_or_b32_e32 v83, v83, v85
	v_or_b32_e32 v82, v82, v84
	;; [unrolled: 1-line block ×4, first 2 shown]
	v_pk_mul_f32 v[82:83], s[16:17], v[82:83] op_sel_hi:[0,1]
	v_or_b32_e32 v91, v91, v93
	v_or_b32_e32 v90, v90, v92
	v_pk_mul_f32 v[86:87], s[16:17], v[86:87] op_sel_hi:[0,1]
	v_or_b32_e32 v95, v95, v97
	v_or_b32_e32 v94, v94, v96
	;; [unrolled: 3-line block ×3, first 2 shown]
	v_or_b32_e32 v5, v5, v7
	v_or_b32_e32 v4, v4, v6
	;; [unrolled: 1-line block ×14, first 2 shown]
	v_pk_mul_f32 v[94:95], s[16:17], v[94:95] op_sel_hi:[0,1]
	v_or_b32_e32 v55, v55, v1
	v_or_b32_e32 v54, v54, v0
	v_pk_mul_f32 v[0:1], s[16:17], v[10:11] op_sel_hi:[0,1]
	v_pk_mul_f32 v[10:11], s[16:17], v[60:61] op_sel_hi:[0,1]
	;; [unrolled: 1-line block ×4, first 2 shown]
	v_or_b32_e32 v81, v103, v105
	v_or_b32_e32 v80, v102, v104
	v_pk_mul_f32 v[98:99], s[16:17], v[98:99] op_sel_hi:[0,1]
	v_or_b32_e32 v57, v127, v57
	v_or_b32_e32 v56, v126, v56
	;; [unrolled: 1-line block ×8, first 2 shown]
	v_pk_mul_f32 v[80:81], s[16:17], v[80:81] op_sel_hi:[0,1]
	v_pk_mul_f32 v[2:3], s[16:17], v[4:5] op_sel_hi:[0,1]
	;; [unrolled: 1-line block ×9, first 2 shown]
	v_or_b32_e32 v9, v9, v73
	v_or_b32_e32 v8, v8, v72
	v_pk_mul_f32 v[8:9], s[16:17], v[8:9] op_sel_hi:[0,1]
	s_waitcnt vmcnt(0)
	v_or_b32_e32 v79, v79, v21
	v_or_b32_e32 v78, v78, v20
	buffer_load_dword v20, off, s[68:71], 0 offset:24 ; 4-byte Folded Reload
	buffer_load_dword v21, off, s[68:71], 0 offset:28 ; 4-byte Folded Reload
	v_pk_mul_f32 v[78:79], s[16:17], v[78:79] op_sel_hi:[0,1]
	s_waitcnt vmcnt(0)
	v_or_b32_e32 v75, v75, v21
	v_or_b32_e32 v74, v74, v20
	buffer_load_dword v20, off, s[68:71], 0 offset:16 ; 4-byte Folded Reload
	buffer_load_dword v21, off, s[68:71], 0 offset:20 ; 4-byte Folded Reload
	;; [unrolled: 6-line block ×3, first 2 shown]
	v_pk_mul_f32 v[68:69], s[16:17], v[68:69] op_sel_hi:[0,1]
	s_waitcnt vmcnt(0)
	v_or_b32_e32 v65, v65, v21
	v_or_b32_e32 v64, v64, v20
	buffer_load_dword v20, off, s[68:71], 0 ; 4-byte Folded Reload
	buffer_load_dword v21, off, s[68:71], 0 offset:4 ; 4-byte Folded Reload
	v_pk_mul_f32 v[64:65], s[16:17], v[64:65] op_sel_hi:[0,1]
	s_waitcnt vmcnt(0)
	v_or_b32_e32 v63, v63, v21
	buffer_load_dword v21, off, s[68:71], 0 offset:144 ; 4-byte Folded Reload
	v_or_b32_e32 v62, v62, v20
	v_pk_mul_f32 v[62:63], s[16:17], v[62:63] op_sel_hi:[0,1]
	s_waitcnt vmcnt(0)
	v_and_b32_e32 v20, 64, v21
	v_xor_b32_e32 v14, 1, v21
	v_add_u32_e32 v20, 64, v20
	v_cmp_lt_i32_e32 vcc, v14, v20
	v_cndmask_b32_e32 v14, v21, v14, vcc
	v_mul_f32_e32 v20, v48, v64
	v_mul_f32_e32 v21, v49, v65
	v_fmac_f32_e32 v20, v46, v62
	v_fmac_f32_e32 v21, v47, v63
	;; [unrolled: 1-line block ×26, first 2 shown]
	buffer_load_dword v22, off, s[68:71], 0 offset:108 ; 4-byte Folded Reload
	buffer_load_dword v23, off, s[68:71], 0 offset:112 ; 4-byte Folded Reload
	;; [unrolled: 1-line block ×4, first 2 shown]
	v_lshlrev_b32_e32 v14, 2, v14
	s_waitcnt vmcnt(3)
	v_fmac_f32_e32 v20, v22, v60
	s_waitcnt vmcnt(2)
	v_fmac_f32_e32 v21, v23, v61
	;; [unrolled: 2-line block ×4, first 2 shown]
	buffer_load_dword v22, off, s[68:71], 0 offset:92 ; 4-byte Folded Reload
	buffer_load_dword v23, off, s[68:71], 0 offset:96 ; 4-byte Folded Reload
	buffer_load_dword v24, off, s[68:71], 0 offset:100 ; 4-byte Folded Reload
	buffer_load_dword v25, off, s[68:71], 0 offset:104 ; 4-byte Folded Reload
	s_waitcnt vmcnt(3)
	v_fmac_f32_e32 v20, v22, v54
	s_waitcnt vmcnt(2)
	v_fmac_f32_e32 v21, v23, v55
	s_waitcnt vmcnt(1)
	v_fmac_f32_e32 v20, v24, v12
	s_waitcnt vmcnt(0)
	v_fmac_f32_e32 v21, v25, v13
	buffer_load_dword v22, off, s[68:71], 0 offset:60 ; 4-byte Folded Reload
	buffer_load_dword v23, off, s[68:71], 0 offset:64 ; 4-byte Folded Reload
	;; [unrolled: 1-line block ×4, first 2 shown]
	s_waitcnt vmcnt(3)
	v_fmac_f32_e32 v20, v22, v10
	s_waitcnt vmcnt(2)
	v_fmac_f32_e32 v21, v23, v11
	buffer_load_dword v10, off, s[68:71], 0 offset:76 ; 4-byte Folded Reload
	buffer_load_dword v11, off, s[68:71], 0 offset:80 ; 4-byte Folded Reload
	;; [unrolled: 1-line block ×4, first 2 shown]
	s_waitcnt vmcnt(5)
	v_fmac_f32_e32 v20, v24, v6
	s_waitcnt vmcnt(4)
	v_fmac_f32_e32 v21, v25, v7
	;; [unrolled: 2-line block ×6, first 2 shown]
	buffer_load_dword v2, off, s[68:71], 0 offset:44 ; 4-byte Folded Reload
	buffer_load_dword v3, off, s[68:71], 0 offset:48 ; 4-byte Folded Reload
	buffer_load_dword v4, off, s[68:71], 0 offset:52 ; 4-byte Folded Reload
	buffer_load_dword v5, off, s[68:71], 0 offset:56 ; 4-byte Folded Reload
	s_waitcnt vmcnt(3)
	v_fmac_f32_e32 v20, v2, v0
	s_waitcnt vmcnt(2)
	v_fmac_f32_e32 v21, v3, v1
	s_waitcnt vmcnt(1)
	v_fmac_f32_e32 v20, v4, v8
	s_waitcnt vmcnt(0)
	v_fmac_f32_e32 v21, v5, v9
	v_add_f32_e32 v0, v20, v21
	ds_bpermute_b32 v1, v14, v0
	s_and_saveexec_b64 s[50:51], s[2:3]
	s_cbranch_execz .LBB232_12
; %bb.306:                              ;   in Loop: Header=BB232_14 Depth=1
	buffer_load_dword v2, off, s[68:71], 0 offset:152 ; 4-byte Folded Reload
	buffer_load_dword v3, off, s[68:71], 0 offset:148 ; 4-byte Folded Reload
	s_waitcnt lgkmcnt(0)
	v_add_f32_e32 v0, v0, v1
	s_waitcnt vmcnt(1)
	v_add_u32_e32 v2, v2, v17
	v_cvt_f32_i32_e32 v2, v2
	v_mul_f32_e32 v1, s60, v2
	buffer_load_dword v2, off, s[68:71], 0 offset:124 ; 4-byte Folded Reload
	s_waitcnt vmcnt(1)
	v_add_u32_e32 v3, v3, v17
	v_cndmask_b32_e64 v1, 0, v1, s[4:5]
	v_fmac_f32_e32 v1, s43, v0
	v_cmp_gt_i32_e32 vcc, s33, v3
	v_cndmask_b32_e32 v0, 0, v1, vcc
	ds_write_b32 v18, v0
	s_waitcnt vmcnt(0)
	v_max_f32_e32 v0, v2, v2
	v_max_f32_e32 v0, v0, v1
	v_cndmask_b32_e32 v2, v2, v0, vcc
	buffer_store_dword v2, off, s[68:71], 0 offset:124 ; 4-byte Folded Spill
	s_branch .LBB232_12
.LBB232_307:
	s_or_b64 exec, exec, s[46:47]
	buffer_load_dword v18, off, s[68:71], 0 offset:156 ; 4-byte Folded Reload
	buffer_load_dword v19, off, s[68:71], 0 offset:160 ; 4-byte Folded Reload
	;; [unrolled: 1-line block ×4, first 2 shown]
	v_mbcnt_lo_u32_b32 v4, -1, 0
.LBB232_308:
	s_or_b64 exec, exec, s[18:19]
	v_mbcnt_hi_u32_b32 v2, -1, v4
	v_and_b32_e32 v0, 64, v2
	v_add_u32_e32 v6, 64, v0
	v_xor_b32_e32 v0, 32, v2
	v_cmp_lt_i32_e32 vcc, v0, v6
	v_cndmask_b32_e32 v0, v2, v0, vcc
	v_lshlrev_b32_e32 v0, 2, v0
	s_waitcnt vmcnt(0) lgkmcnt(0)
	ds_bpermute_b32 v1, v0, v3
	v_xor_b32_e32 v4, 16, v2
	v_max_f32_e32 v3, v3, v3
	v_cmp_lt_i32_e32 vcc, v4, v6
	v_xor_b32_e32 v5, 8, v2
	s_waitcnt lgkmcnt(0)
	v_max_f32_e32 v1, v1, v1
	v_max_f32_e32 v3, v3, v1
	v_cndmask_b32_e32 v1, v2, v4, vcc
	v_lshlrev_b32_e32 v1, 2, v1
	ds_bpermute_b32 v4, v1, v3
	v_cmp_lt_i32_e32 vcc, v5, v6
	v_xor_b32_e32 v7, 4, v2
	v_and_b32_e32 v14, 63, v18
	s_waitcnt lgkmcnt(0)
	v_max_f32_e32 v4, v4, v4
	v_max_f32_e32 v4, v3, v4
	v_cndmask_b32_e32 v3, v2, v5, vcc
	v_lshlrev_b32_e32 v3, 2, v3
	ds_bpermute_b32 v5, v3, v4
	v_cmp_lt_i32_e32 vcc, v7, v6
	s_waitcnt lgkmcnt(0)
	v_max_f32_e32 v5, v5, v5
	v_max_f32_e32 v4, v4, v5
	v_cndmask_b32_e32 v5, v2, v7, vcc
	v_lshlrev_b32_e32 v82, 2, v5
	ds_bpermute_b32 v5, v82, v4
	v_xor_b32_e32 v7, 2, v2
	v_cmp_lt_i32_e32 vcc, v7, v6
	s_waitcnt lgkmcnt(0)
	v_max_f32_e32 v5, v5, v5
	v_max_f32_e32 v5, v4, v5
	v_cndmask_b32_e32 v4, v2, v7, vcc
	v_lshlrev_b32_e32 v83, 2, v4
	ds_bpermute_b32 v7, v83, v5
	v_cmp_eq_u32_e32 vcc, 0, v14
	v_lshlrev_b32_e32 v4, 2, v22
	s_and_saveexec_b64 s[2:3], vcc
	s_cbranch_execz .LBB232_310
; %bb.309:
	s_waitcnt lgkmcnt(0)
	v_max_f32_e32 v7, v7, v7
	v_max_f32_e32 v5, v5, v5
	;; [unrolled: 1-line block ×3, first 2 shown]
	ds_write_b32 v4, v5 offset:384
.LBB232_310:
	s_or_b64 exec, exec, s[2:3]
	v_cmp_gt_u32_e64 s[2:3], 2, v14
	s_waitcnt lgkmcnt(0)
	v_mov_b32_e32 v7, 0xff7fffff
	v_lshlrev_b32_e32 v5, 2, v14
	s_barrier
	s_and_saveexec_b64 s[4:5], s[2:3]
	s_cbranch_execz .LBB232_312
; %bb.311:
	ds_read_b32 v7, v5 offset:384
.LBB232_312:
	s_or_b64 exec, exec, s[4:5]
	v_xor_b32_e32 v8, 1, v2
	v_cmp_lt_i32_e64 s[4:5], v8, v6
	v_cndmask_b32_e64 v6, v2, v8, s[4:5]
	v_lshlrev_b32_e32 v84, 2, v6
	s_waitcnt lgkmcnt(0)
	ds_bpermute_b32 v6, v84, v7
	v_max_f32_e32 v7, v7, v7
	v_lshlrev_b32_e32 v2, 2, v2
	s_sub_i32 s4, s58, s61
	s_lshl_b32 s4, s4, 5
	s_waitcnt lgkmcnt(0)
	v_max_f32_e32 v6, v6, v6
	v_max_f32_e32 v7, v7, v6
	v_and_b32_e32 v6, 0x100, v2
	ds_bpermute_b32 v2, v6, v7
	s_add_i32 s4, s4, s59
	s_min_i32 s43, s4, s33
	s_sub_i32 s16, s43, s59
	v_cmp_gt_i32_e64 s[4:5], s16, v18
	v_mov_b32_e32 v7, 0
	s_and_saveexec_b64 s[12:13], s[4:5]
	s_cbranch_execz .LBB232_316
; %bb.313:
	v_mov_b32_e32 v7, 0x190
	v_lshl_add_u32 v8, v18, 2, v7
	s_mov_b64 s[18:19], 0
	v_mov_b32_e32 v7, 0
	v_mov_b32_e32 v9, v18
.LBB232_314:                            ; =>This Inner Loop Header: Depth=1
	ds_read_b32 v10, v8
	v_add_u32_e32 v9, 0x80, v9
	v_cmp_le_i32_e64 s[10:11], s16, v9
	s_or_b64 s[18:19], s[10:11], s[18:19]
	s_waitcnt lgkmcnt(0)
	v_sub_f32_e32 v10, v10, v2
	v_mul_f32_e32 v10, 0x3fb8aa3b, v10
	v_exp_f32_e32 v10, v10
	ds_write_b32 v8, v10
	v_add_f32_e32 v7, v7, v10
	v_add_u32_e32 v8, 0x200, v8
	s_andn2_b64 exec, exec, s[18:19]
	s_cbranch_execnz .LBB232_314
; %bb.315:
	s_or_b64 exec, exec, s[18:19]
.LBB232_316:
	s_or_b64 exec, exec, s[12:13]
	ds_bpermute_b32 v0, v0, v7
	s_waitcnt lgkmcnt(0)
	v_add_f32_e32 v0, v7, v0
	ds_bpermute_b32 v1, v1, v0
	s_waitcnt lgkmcnt(0)
	v_add_f32_e32 v0, v0, v1
	;; [unrolled: 3-line block ×6, first 2 shown]
	s_and_saveexec_b64 s[10:11], vcc
	s_cbranch_execz .LBB232_318
; %bb.317:
	ds_write_b32 v4, v0 offset:392
.LBB232_318:
	s_or_b64 exec, exec, s[10:11]
	s_waitcnt lgkmcnt(0)
	s_barrier
	s_and_saveexec_b64 s[10:11], s[2:3]
	s_cbranch_execz .LBB232_320
; %bb.319:
	ds_read_b32 v0, v5 offset:392
.LBB232_320:
	s_or_b64 exec, exec, s[10:11]
	s_waitcnt lgkmcnt(0)
	ds_bpermute_b32 v1, v84, v0
	s_waitcnt lgkmcnt(0)
	v_add_f32_e32 v0, v0, v1
	ds_bpermute_b32 v3, v6, v0
	s_and_saveexec_b64 s[2:3], s[4:5]
	s_cbranch_execz .LBB232_333
; %bb.321:
	s_waitcnt lgkmcnt(0)
	v_add_f32_e32 v0, 0x358637bd, v3
	v_div_scale_f32 v1, s[4:5], v0, v0, 1.0
	v_rcp_f32_e32 v4, v1
	v_div_scale_f32 v5, vcc, 1.0, v0, 1.0
	s_movk_i32 s4, 0x7f
	v_fma_f32 v6, -v1, v4, 1.0
	v_fmac_f32_e32 v4, v6, v4
	v_mul_f32_e32 v6, v5, v4
	v_fma_f32 v7, -v1, v6, v5
	v_fmac_f32_e32 v6, v7, v4
	v_fma_f32 v1, -v1, v6, v5
	v_div_fmas_f32 v1, v1, v4, v6
	v_div_fixup_f32 v0, v1, v0, 1.0
	v_xad_u32 v1, v18, -1, s43
	v_subrev_u32_e32 v4, s59, v1
	v_cmp_lt_u32_e32 vcc, s4, v4
	s_mov_b64 s[10:11], -1
	v_mov_b32_e32 v1, v18
	s_and_saveexec_b64 s[4:5], vcc
	s_cbranch_execz .LBB232_330
; %bb.322:
	v_lshrrev_b32_e32 v4, 7, v4
	v_add_u32_e32 v6, -1, v4
	v_lshrrev_b32_e32 v5, 1, v6
	v_mov_b32_e32 v1, v0
	v_add_u32_e32 v5, 1, v5
	v_cmp_lt_u32_e32 vcc, 13, v6
	v_mov_b32_e32 v8, 0
	s_and_saveexec_b64 s[10:11], vcc
	s_cbranch_execz .LBB232_326
; %bb.323:
	v_mov_b32_e32 v7, 0x190
	v_and_b32_e32 v6, -8, v5
	v_lshl_add_u32 v7, v18, 2, v7
	s_mov_b32 s18, 0
	s_mov_b64 s[12:13], 0
.LBB232_324:                            ; =>This Inner Loop Header: Depth=1
	ds_read2st64_b32 v[8:9], v7 offset1:2
	ds_read2st64_b32 v[10:11], v7 offset0:4 offset1:6
	ds_read2st64_b32 v[12:13], v7 offset0:8 offset1:10
	;; [unrolled: 1-line block ×3, first 2 shown]
	v_add_u32_e32 v6, -8, v6
	s_waitcnt lgkmcnt(3)
	v_pk_mul_f32 v[8:9], v[0:1], v[8:9]
	s_waitcnt lgkmcnt(2)
	v_pk_mul_f32 v[10:11], v[0:1], v[10:11]
	ds_write2st64_b32 v7, v8, v9 offset1:2
	ds_write2st64_b32 v7, v10, v11 offset0:4 offset1:6
	ds_read2st64_b32 v[10:11], v7 offset0:16 offset1:18
	s_waitcnt lgkmcnt(4)
	v_pk_mul_f32 v[8:9], v[0:1], v[12:13]
	ds_write2st64_b32 v7, v8, v9 offset0:8 offset1:10
	s_waitcnt lgkmcnt(4)
	v_pk_mul_f32 v[8:9], v[0:1], v[16:17]
	ds_write2st64_b32 v7, v8, v9 offset0:12 offset1:14
	ds_read2st64_b32 v[8:9], v7 offset0:20 offset1:22
	s_waitcnt lgkmcnt(3)
	v_pk_mul_f32 v[10:11], v[0:1], v[10:11]
	ds_read2st64_b32 v[12:13], v7 offset0:24 offset1:26
	ds_write2st64_b32 v7, v10, v11 offset0:16 offset1:18
	ds_read2st64_b32 v[10:11], v7 offset0:28 offset1:30
	s_waitcnt lgkmcnt(3)
	v_pk_mul_f32 v[8:9], v[0:1], v[8:9]
	ds_write2st64_b32 v7, v8, v9 offset0:20 offset1:22
	s_waitcnt lgkmcnt(3)
	v_pk_mul_f32 v[8:9], v[0:1], v[12:13]
	ds_write2st64_b32 v7, v8, v9 offset0:24 offset1:26
	s_waitcnt lgkmcnt(2)
	v_pk_mul_f32 v[8:9], v[0:1], v[10:11]
	s_add_i32 s18, s18, 16
	v_cmp_eq_u32_e32 vcc, 0, v6
	ds_write2st64_b32 v7, v8, v9 offset0:28 offset1:30
	v_add_u32_e32 v7, 0x2000, v7
	s_or_b64 s[12:13], vcc, s[12:13]
	v_mov_b32_e32 v8, s18
	s_andn2_b64 exec, exec, s[12:13]
	s_cbranch_execnz .LBB232_324
; %bb.325:
	s_or_b64 exec, exec, s[12:13]
.LBB232_326:
	s_or_b64 exec, exec, s[10:11]
	v_and_b32_e32 v5, 7, v5
	v_cmp_ne_u32_e32 vcc, 0, v5
	s_and_saveexec_b64 s[10:11], vcc
	s_cbranch_execz .LBB232_329
; %bb.327:
	v_lshlrev_b32_e32 v6, 9, v8
	s_movk_i32 s12, 0x190
	v_add3_u32 v6, v6, v19, s12
	s_mov_b64 s[12:13], 0
.LBB232_328:                            ; =>This Inner Loop Header: Depth=1
	ds_read2st64_b32 v[8:9], v6 offset1:2
	v_add_u32_e32 v5, -1, v5
	v_cmp_eq_u32_e32 vcc, 0, v5
	s_or_b64 s[12:13], vcc, s[12:13]
	s_waitcnt lgkmcnt(0)
	v_pk_mul_f32 v[8:9], v[0:1], v[8:9]
	ds_write2st64_b32 v6, v8, v9 offset1:2
	v_add_u32_e32 v6, 0x400, v6
	s_andn2_b64 exec, exec, s[12:13]
	s_cbranch_execnz .LBB232_328
.LBB232_329:
	s_or_b64 exec, exec, s[10:11]
	v_add_u32_e32 v4, 1, v4
	v_and_b32_e32 v5, 0x3fffffe, v4
	v_cmp_ne_u32_e32 vcc, v4, v5
	v_lshl_add_u32 v1, v5, 7, v18
	s_orn2_b64 s[10:11], vcc, exec
.LBB232_330:
	s_or_b64 exec, exec, s[4:5]
	s_and_b64 exec, exec, s[10:11]
	s_cbranch_execz .LBB232_333
; %bb.331:
	v_mov_b32_e32 v4, 0x190
	v_lshl_add_u32 v4, v1, 2, v4
	s_mov_b64 s[4:5], 0
.LBB232_332:                            ; =>This Inner Loop Header: Depth=1
	ds_read_b32 v5, v4
	v_add_u32_e32 v1, 0x80, v1
	v_cmp_le_i32_e32 vcc, s16, v1
	s_or_b64 s[4:5], vcc, s[4:5]
	s_waitcnt lgkmcnt(0)
	v_mul_f32_e32 v5, v0, v5
	ds_write_b32 v4, v5
	v_add_u32_e32 v4, 0x200, v4
	s_andn2_b64 exec, exec, s[4:5]
	s_cbranch_execnz .LBB232_332
.LBB232_333:
	s_or_b64 exec, exec, s[2:3]
	s_mul_i32 s2, s29, s34
	v_cmp_eq_u32_e32 vcc, 0, v18
	s_mul_i32 s2, s2, s9
	s_waitcnt lgkmcnt(0)
	s_barrier
	s_and_saveexec_b64 s[4:5], vcc
	s_cbranch_execz .LBB232_335
; %bb.334:
	s_ashr_i32 s3, s2, 31
	s_lshl_b64 s[10:11], s[2:3], 2
	s_add_u32 s3, s26, s10
	s_mul_i32 s12, s29, s6
	s_addc_u32 s9, s27, s11
	s_ashr_i32 s13, s12, 31
	s_lshl_b64 s[12:13], s[12:13], 2
	s_add_u32 s3, s3, s12
	s_addc_u32 s6, s9, s13
	s_ashr_i32 s9, s8, 31
	s_lshl_b64 s[18:19], s[8:9], 2
	s_add_u32 s26, s3, s18
	s_addc_u32 s27, s6, s19
	s_add_u32 s3, s24, s10
	s_addc_u32 s6, s25, s11
	;; [unrolled: 2-line block ×3, first 2 shown]
	s_add_u32 s10, s3, s18
	v_mov_b32_e32 v0, 0
	s_addc_u32 s11, s6, s19
	global_store_dword v0, v2, s[26:27]
	global_store_dword v0, v3, s[10:11]
.LBB232_335:
	s_or_b64 exec, exec, s[4:5]
	s_mov_b32 s6, 0
	v_mov_b32_e32 v7, 0
	v_and_b32_e32 v85, 7, v18
	v_mov_b32_e32 v6, 0
	v_mov_b32_e32 v9, 0
	;; [unrolled: 1-line block ×11, first 2 shown]
	s_and_saveexec_b64 s[4:5], s[0:1]
	s_cbranch_execz .LBB232_653
; %bb.336:
	s_sub_i32 s3, s20, s21
	s_ashr_i32 s0, s23, 31
	s_add_u32 s1, s40, s23
	s_addc_u32 s0, s41, s0
	s_abs_i32 s9, s22
	v_cvt_f32_u32_e32 v0, s9
	s_add_i32 s27, s7, -1
	s_sub_i32 s7, 0, s9
	v_and_b32_e32 v1, 0xfc, v19
	v_rcp_iflag_f32_e32 v0, v0
	v_mov_b32_e32 v2, s0
	v_add_co_u32_e32 v18, vcc, s1, v1
	v_mul_f32_e32 v0, 0x4f7ffffe, v0
	v_cvt_u32_f32_e32 v0, v0
	s_lshl_b64 s[0:1], s[38:39], 2
	v_and_b32_e32 v86, 28, v19
	v_addc_co_u32_e32 v19, vcc, 0, v2, vcc
	v_mul_lo_u32 v3, s7, v0
	v_mul_hi_u32 v3, v0, v3
	v_add_u32_e32 v87, v0, v3
	v_lshlrev_b64 v[0:1], 2, v[50:51]
	s_add_u32 s0, s36, s0
	s_addc_u32 s1, s37, s1
	v_add_co_u32_e32 v20, vcc, s0, v0
	v_lshlrev_b32_e32 v0, 4, v85
	v_mov_b32_e32 v2, s1
	v_lshl_or_b32 v0, v22, 7, v0
	s_mov_b32 s26, s17
	v_addc_co_u32_e32 v21, vcc, v2, v1, vcc
	v_add_u32_e32 v51, 0x190, v0
	s_mov_b64 s[10:11], 0
	v_mov_b32_e32 v22, 0
	s_movk_i32 s34, 0x80
	s_movk_i32 s36, 0x7f
	v_mov_b32_e32 v25, 0
	s_brev_b32 s7, 1
	s_mov_b32 s13, 0x7f800001
	s_mov_b32 s37, 0xffffff
	v_bfrev_b32_e32 v88, 60
	v_mov_b32_e32 v89, 7
	v_mov_b32_e32 v90, 24
	;; [unrolled: 1-line block ×14, first 2 shown]
	s_branch .LBB232_339
.LBB232_337:                            ;   in Loop: Header=BB232_339 Depth=1
	s_or_b64 exec, exec, s[0:1]
	v_mul_f32_e32 v1, v3, v1
	v_fmac_f32_e32 v1, v2, v0
	v_mul_f32_e32 v0, v3, v59
	v_fmac_f32_e32 v0, v2, v58
	v_fmac_f32_e32 v0, v4, v60
	v_fmac_f32_e32 v0, v5, v61
	v_add_f32_e32 v11, v11, v0
	v_mul_f32_e32 v0, v3, v55
	v_fmac_f32_e32 v0, v2, v54
	v_fmac_f32_e32 v0, v4, v56
	v_fmac_f32_e32 v0, v5, v57
	v_add_f32_e32 v10, v10, v0
	v_mul_f32_e32 v0, v3, v49
	v_fmac_f32_e32 v0, v2, v48
	v_fmac_f32_e32 v0, v4, v52
	v_fmac_f32_e32 v0, v5, v53
	v_add_f32_e32 v13, v13, v0
	v_mul_f32_e32 v0, v3, v45
	v_fmac_f32_e32 v0, v2, v44
	v_fmac_f32_e32 v0, v4, v46
	v_fmac_f32_e32 v0, v5, v47
	v_add_f32_e32 v12, v12, v0
	v_mul_f32_e32 v0, v3, v41
	v_fmac_f32_e32 v0, v2, v40
	v_fmac_f32_e32 v0, v4, v42
	v_fmac_f32_e32 v0, v5, v43
	v_add_f32_e32 v81, v81, v0
	v_mul_f32_e32 v0, v3, v37
	v_fmac_f32_e32 v0, v2, v36
	v_fmac_f32_e32 v0, v4, v38
	v_fmac_f32_e32 v0, v5, v39
	v_add_f32_e32 v80, v80, v0
	v_mul_f32_e32 v0, v3, v33
	v_fmac_f32_e32 v0, v2, v32
	v_fmac_f32_e32 v0, v4, v34
	;; [unrolled: 1-line block ×3, first 2 shown]
	v_mul_f32_e32 v23, v3, v69
	v_add_f32_e32 v17, v17, v0
	v_mul_f32_e32 v0, v3, v27
	v_fmac_f32_e32 v23, v2, v68
	v_fmac_f32_e32 v0, v2, v26
	;; [unrolled: 1-line block ×6, first 2 shown]
	v_add_f32_e32 v6, v6, v23
	v_mul_f32_e32 v23, v3, v65
	v_add_f32_e32 v16, v16, v0
	v_mul_f32_e32 v0, v3, v31
	v_fmac_f32_e32 v23, v2, v64
	v_fmac_f32_e32 v0, v2, v30
	;; [unrolled: 1-line block ×8, first 2 shown]
	v_add_f32_e32 v9, v9, v23
	v_add_f32_e32 v8, v8, v1
	;; [unrolled: 1-line block ×3, first 2 shown]
.LBB232_338:                            ;   in Loop: Header=BB232_339 Depth=1
	s_or_b64 exec, exec, s[16:17]
	v_add_co_u32_e32 v20, vcc, 8, v20
	v_add_u32_e32 v50, 2, v50
	v_addc_co_u32_e32 v21, vcc, 0, v21, vcc
	v_cmp_le_i32_e32 vcc, s58, v50
	v_add_u32_e32 v15, 64, v15
	s_or_b64 s[10:11], vcc, s[10:11]
	v_add_u32_e32 v51, 0x100, v51
	s_andn2_b64 exec, exec, s[10:11]
	s_cbranch_execz .LBB232_652
.LBB232_339:                            ; =>This Inner Loop Header: Depth=1
	v_sub_u32_e32 v1, 0, v15
	v_max_i32_e32 v1, v15, v1
	v_mul_hi_u32 v2, v1, s56
	v_mul_lo_u32 v3, v2, s35
	v_sub_u32_e32 v1, v1, v3
	v_add_u32_e32 v3, 1, v2
	v_cmp_le_u32_e32 vcc, s35, v1
	v_cndmask_b32_e32 v2, v2, v3, vcc
	v_subrev_u32_e32 v3, s35, v1
	v_cndmask_b32_e32 v1, v1, v3, vcc
	v_ashrrev_i32_e32 v0, 31, v15
	v_add_u32_e32 v3, 1, v2
	v_cmp_le_u32_e32 vcc, s35, v1
	v_xor_b32_e32 v0, s57, v0
	v_cndmask_b32_e32 v1, v2, v3, vcc
	v_xor_b32_e32 v1, v1, v0
	v_sub_u32_e32 v0, v1, v0
	v_add_u32_e32 v1, s42, v0
	v_sub_u32_e32 v3, 0, v1
	v_ashrrev_i32_e32 v2, 31, v1
	v_max_i32_e32 v1, v1, v3
	v_mul_hi_u32 v3, v1, v87
	v_mul_lo_u32 v3, v3, s9
	v_sub_u32_e32 v1, v1, v3
	v_subrev_u32_e32 v3, s9, v1
	v_cmp_le_u32_e32 vcc, s9, v1
	v_cndmask_b32_e32 v1, v1, v3, vcc
	v_subrev_u32_e32 v3, s9, v1
	v_cmp_le_u32_e32 vcc, s9, v1
	v_cndmask_b32_e32 v1, v1, v3, vcc
	v_xor_b32_e32 v1, v1, v2
	v_sub_u32_e32 v1, v1, v2
	v_cmp_eq_u32_e32 vcc, 0, v1
	v_cmp_lt_i32_e64 s[0:1], s3, v0
	s_or_b64 s[0:1], vcc, s[0:1]
	s_and_saveexec_b64 s[16:17], s[0:1]
	s_cbranch_execz .LBB232_338
; %bb.340:                              ;   in Loop: Header=BB232_339 Depth=1
	global_load_dword v0, v[20:21], off
	ds_read_b128 v[2:5], v51
	s_load_dword s18, s[14:15], 0x0
	v_pk_mov_b32 v[28:29], 0, 0
	v_pk_mov_b32 v[26:27], v[28:29], v[28:29] op_sel:[0,1]
	s_waitcnt vmcnt(0)
	v_mad_i64_i32 v[30:31], s[0:1], v0, s26, v[18:19]
	global_load_dword v0, v[30:31], off
	s_waitcnt vmcnt(0)
	v_cmp_ne_u16_sdwa s[20:21], v0, v22 src0_sel:BYTE_0 src1_sel:DWORD
	s_and_saveexec_b64 s[0:1], s[20:21]
	s_cbranch_execz .LBB232_346
; %bb.341:                              ;   in Loop: Header=BB232_339 Depth=1
	v_bfrev_b32_e32 v26, 1
	v_cmp_ne_u16_sdwa s[22:23], v0, s34 src0_sel:BYTE_0 src1_sel:DWORD
	v_mov_b32_e32 v27, 0
	s_and_saveexec_b64 s[20:21], s[22:23]
	s_cbranch_execz .LBB232_345
; %bb.342:                              ;   in Loop: Header=BB232_339 Depth=1
	v_and_b32_e32 v1, 0x7f, v0
	v_mov_b32_e32 v26, 0x7f800001
	v_cmp_ne_u32_e32 vcc, s36, v1
	v_mov_b32_e32 v27, 0
	s_and_saveexec_b64 s[22:23], vcc
	s_cbranch_execz .LBB232_344
; %bb.343:                              ;   in Loop: Header=BB232_339 Depth=1
	v_and_b32_e32 v23, 7, v0
	v_ffbh_u32_e32 v26, v23
	v_min_u32_e32 v32, 32, v26
	v_subrev_u32_e32 v26, 28, v32
	v_lshlrev_b64 v[26:27], v26, v[0:1]
	v_lshrrev_b32_e32 v24, 3, v1
	v_sub_u32_e32 v27, 29, v32
	v_and_b32_e32 v26, 7, v26
	v_cmp_gt_u32_e32 vcc, 8, v1
	v_cndmask_b32_e32 v1, v24, v27, vcc
	v_cndmask_b32_e32 v23, v23, v26, vcc
	v_lshlrev_b32_e32 v23, 20, v23
	v_and_b32_sdwa v24, sext(v0), s7 dst_sel:DWORD dst_unused:UNUSED_PAD src0_sel:BYTE_0 src1_sel:DWORD
	v_lshl_add_u32 v1, v1, 23, v88
	v_or3_b32 v24, v24, v1, v23
	v_pk_mov_b32 v[26:27], v[24:25], v[24:25] op_sel:[0,1]
.LBB232_344:                            ;   in Loop: Header=BB232_339 Depth=1
	s_or_b64 exec, exec, s[22:23]
.LBB232_345:                            ;   in Loop: Header=BB232_339 Depth=1
	s_or_b64 exec, exec, s[20:21]
.LBB232_346:                            ;   in Loop: Header=BB232_339 Depth=1
	s_or_b64 exec, exec, s[0:1]
	v_cmp_ne_u16_sdwa s[20:21], v0, v22 src0_sel:BYTE_1 src1_sel:DWORD
	s_and_saveexec_b64 s[0:1], s[20:21]
	s_cbranch_execz .LBB232_352
; %bb.347:                              ;   in Loop: Header=BB232_339 Depth=1
	v_cmp_ne_u16_sdwa s[22:23], v0, s34 src0_sel:BYTE_1 src1_sel:DWORD
	v_pk_mov_b32 v[28:29], s[6:7], s[6:7] op_sel:[0,1]
	s_and_saveexec_b64 s[20:21], s[22:23]
	s_cbranch_execz .LBB232_351
; %bb.348:                              ;   in Loop: Header=BB232_339 Depth=1
	v_and_b32_sdwa v1, v0, s36 dst_sel:DWORD dst_unused:UNUSED_PAD src0_sel:BYTE_1 src1_sel:DWORD
	s_mov_b32 s12, s6
	v_cmp_ne_u32_e32 vcc, s36, v1
	v_pk_mov_b32 v[28:29], s[12:13], s[12:13] op_sel:[0,1]
	s_and_saveexec_b64 s[22:23], vcc
	s_cbranch_execz .LBB232_350
; %bb.349:                              ;   in Loop: Header=BB232_339 Depth=1
	v_and_b32_sdwa v24, v0, v89 dst_sel:DWORD dst_unused:UNUSED_PAD src0_sel:BYTE_1 src1_sel:DWORD
	v_ffbh_u32_e32 v28, v24
	v_min_u32_e32 v32, 32, v28
	v_subrev_u32_e32 v28, 28, v32
	v_lshlrev_b64 v[28:29], v28, v[24:25]
	v_lshrrev_b32_e32 v23, 3, v1
	v_sub_u32_e32 v29, 29, v32
	v_cmp_gt_u32_e32 vcc, 8, v1
	v_and_b32_e32 v28, 7, v28
	v_cndmask_b32_e32 v1, v23, v29, vcc
	v_cndmask_b32_e32 v23, v24, v28, vcc
	v_lshlrev_b32_e32 v24, 16, v0
	v_lshl_add_u32 v1, v1, 23, v88
	v_and_or_b32 v1, v24, s7, v1
	v_lshlrev_b32_e32 v23, 20, v23
	v_or_b32_e32 v23, v1, v23
	v_pk_mov_b32 v[28:29], v[22:23], v[22:23] op_sel:[0,1]
.LBB232_350:                            ;   in Loop: Header=BB232_339 Depth=1
	s_or_b64 exec, exec, s[22:23]
.LBB232_351:                            ;   in Loop: Header=BB232_339 Depth=1
	s_or_b64 exec, exec, s[20:21]
.LBB232_352:                            ;   in Loop: Header=BB232_339 Depth=1
	s_or_b64 exec, exec, s[0:1]
	v_lshrrev_b32_e32 v24, 16, v0
	v_pk_mov_b32 v[34:35], 0, 0
	v_cmp_ne_u16_sdwa s[20:21], v24, v22 src0_sel:BYTE_0 src1_sel:DWORD
	v_pk_mov_b32 v[32:33], v[34:35], v[34:35] op_sel:[0,1]
	s_and_saveexec_b64 s[0:1], s[20:21]
	s_cbranch_execz .LBB232_358
; %bb.353:                              ;   in Loop: Header=BB232_339 Depth=1
	v_bfrev_b32_e32 v32, 1
	v_cmp_ne_u16_sdwa s[22:23], v24, s34 src0_sel:BYTE_0 src1_sel:DWORD
	v_mov_b32_e32 v33, 0
	s_and_saveexec_b64 s[20:21], s[22:23]
	s_cbranch_execz .LBB232_357
; %bb.354:                              ;   in Loop: Header=BB232_339 Depth=1
	v_bfe_u32 v1, v0, 16, 7
	v_mov_b32_e32 v32, 0x7f800001
	v_cmp_ne_u32_e32 vcc, s36, v1
	v_mov_b32_e32 v33, 0
	s_and_saveexec_b64 s[22:23], vcc
	s_cbranch_execz .LBB232_356
; %bb.355:                              ;   in Loop: Header=BB232_339 Depth=1
	v_and_b32_e32 v23, 7, v24
	v_ffbh_u32_e32 v32, v23
	v_min_u32_e32 v37, 32, v32
	v_subrev_u32_e32 v32, 28, v37
	v_lshlrev_b64 v[32:33], v32, v[24:25]
	v_lshrrev_b32_e32 v36, 3, v1
	v_sub_u32_e32 v33, 29, v37
	v_and_b32_e32 v32, 7, v32
	v_cmp_gt_u32_e32 vcc, 8, v1
	v_cndmask_b32_e32 v1, v36, v33, vcc
	v_cndmask_b32_e32 v23, v23, v32, vcc
	v_lshlrev_b32_e32 v23, 20, v23
	v_and_b32_sdwa v24, sext(v24), s7 dst_sel:DWORD dst_unused:UNUSED_PAD src0_sel:BYTE_0 src1_sel:DWORD
	v_lshl_add_u32 v1, v1, 23, v88
	v_or3_b32 v24, v24, v1, v23
	v_pk_mov_b32 v[32:33], v[24:25], v[24:25] op_sel:[0,1]
.LBB232_356:                            ;   in Loop: Header=BB232_339 Depth=1
	s_or_b64 exec, exec, s[22:23]
.LBB232_357:                            ;   in Loop: Header=BB232_339 Depth=1
	s_or_b64 exec, exec, s[20:21]
.LBB232_358:                            ;   in Loop: Header=BB232_339 Depth=1
	s_or_b64 exec, exec, s[0:1]
	v_cmp_lt_u32_e32 vcc, s37, v0
	s_and_saveexec_b64 s[0:1], vcc
	s_cbranch_execz .LBB232_364
; %bb.359:                              ;   in Loop: Header=BB232_339 Depth=1
	v_cmp_ne_u32_sdwa s[22:23], v0, s34 src0_sel:BYTE_3 src1_sel:DWORD
	v_pk_mov_b32 v[34:35], s[6:7], s[6:7] op_sel:[0,1]
	s_and_saveexec_b64 s[20:21], s[22:23]
	s_cbranch_execz .LBB232_363
; %bb.360:                              ;   in Loop: Header=BB232_339 Depth=1
	v_bfe_u32 v1, v0, 24, 7
	s_mov_b32 s12, s6
	v_cmp_ne_u32_e32 vcc, s36, v1
	v_pk_mov_b32 v[34:35], s[12:13], s[12:13] op_sel:[0,1]
	s_and_saveexec_b64 s[22:23], vcc
	s_cbranch_execz .LBB232_362
; %bb.361:                              ;   in Loop: Header=BB232_339 Depth=1
	v_and_b32_sdwa v24, v0, v89 dst_sel:DWORD dst_unused:UNUSED_PAD src0_sel:BYTE_3 src1_sel:DWORD
	v_ffbh_u32_e32 v34, v24
	v_min_u32_e32 v36, 32, v34
	v_subrev_u32_e32 v34, 28, v36
	v_lshlrev_b64 v[34:35], v34, v[24:25]
	v_lshrrev_b32_e32 v23, 3, v1
	v_sub_u32_e32 v35, 29, v36
	v_cmp_gt_u32_e32 vcc, 8, v1
	v_and_b32_e32 v34, 7, v34
	v_cndmask_b32_e32 v1, v23, v35, vcc
	v_cndmask_b32_e32 v23, v24, v34, vcc
	v_lshlrev_b32_sdwa v0, v90, v0 dst_sel:DWORD dst_unused:UNUSED_PAD src0_sel:DWORD src1_sel:BYTE_3
	v_lshl_add_u32 v1, v1, 23, v88
	v_and_or_b32 v0, v0, s7, v1
	v_lshlrev_b32_e32 v1, 20, v23
	v_or_b32_e32 v23, v0, v1
	v_pk_mov_b32 v[34:35], v[22:23], v[22:23] op_sel:[0,1]
.LBB232_362:                            ;   in Loop: Header=BB232_339 Depth=1
	s_or_b64 exec, exec, s[22:23]
.LBB232_363:                            ;   in Loop: Header=BB232_339 Depth=1
	s_or_b64 exec, exec, s[20:21]
.LBB232_364:                            ;   in Loop: Header=BB232_339 Depth=1
	s_or_b64 exec, exec, s[0:1]
	v_or_b32_e32 v1, v29, v27
	v_or_b32_e32 v0, v28, v26
	v_add_u32_e32 v91, v86, v15
	s_waitcnt lgkmcnt(0)
	v_pk_mul_f32 v[26:27], s[18:19], v[0:1] op_sel_hi:[0,1]
	v_or_b32_e32 v1, v35, v33
	v_or_b32_e32 v0, v34, v32
	v_cmp_eq_u32_e32 vcc, s27, v50
	v_pk_mul_f32 v[28:29], s[18:19], v[0:1] op_sel_hi:[0,1]
	v_add_u32_e32 v94, 1, v91
	v_add_u32_e32 v93, 2, v91
	;; [unrolled: 1-line block ×3, first 2 shown]
	s_and_saveexec_b64 s[20:21], vcc
; %bb.365:                              ;   in Loop: Header=BB232_339 Depth=1
	v_cmp_gt_i32_e64 s[0:1], s33, v91
	v_cndmask_b32_e64 v26, 0, v26, s[0:1]
	v_cmp_gt_i32_e64 s[0:1], s33, v94
	v_cndmask_b32_e64 v27, 0, v27, s[0:1]
	;; [unrolled: 2-line block ×4, first 2 shown]
; %bb.366:                              ;   in Loop: Header=BB232_339 Depth=1
	s_or_b64 exec, exec, s[20:21]
	global_load_dword v0, v[30:31], off offset:256
	v_pk_mov_b32 v[34:35], 0, 0
	v_pk_mov_b32 v[32:33], v[34:35], v[34:35] op_sel:[0,1]
	s_waitcnt vmcnt(0)
	v_cmp_ne_u16_sdwa s[0:1], v0, v22 src0_sel:BYTE_0 src1_sel:DWORD
	s_and_saveexec_b64 s[20:21], s[0:1]
	s_cbranch_execz .LBB232_372
; %bb.367:                              ;   in Loop: Header=BB232_339 Depth=1
	v_bfrev_b32_e32 v32, 1
	v_cmp_ne_u16_sdwa s[0:1], v0, s34 src0_sel:BYTE_0 src1_sel:DWORD
	v_mov_b32_e32 v33, 0
	s_and_saveexec_b64 s[22:23], s[0:1]
	s_cbranch_execz .LBB232_371
; %bb.368:                              ;   in Loop: Header=BB232_339 Depth=1
	v_and_b32_e32 v1, 0x7f, v0
	v_mov_b32_e32 v32, 0x7f800001
	v_cmp_ne_u32_e64 s[0:1], s36, v1
	v_mov_b32_e32 v33, 0
	s_and_saveexec_b64 s[24:25], s[0:1]
	s_cbranch_execz .LBB232_370
; %bb.369:                              ;   in Loop: Header=BB232_339 Depth=1
	v_and_b32_e32 v23, 7, v0
	v_ffbh_u32_e32 v32, v23
	v_min_u32_e32 v36, 32, v32
	v_subrev_u32_e32 v32, 28, v36
	v_lshlrev_b64 v[32:33], v32, v[0:1]
	v_lshrrev_b32_e32 v24, 3, v1
	v_sub_u32_e32 v33, 29, v36
	v_and_b32_e32 v32, 7, v32
	v_cmp_gt_u32_e64 s[0:1], 8, v1
	v_cndmask_b32_e64 v1, v24, v33, s[0:1]
	v_cndmask_b32_e64 v23, v23, v32, s[0:1]
	v_lshlrev_b32_e32 v23, 20, v23
	v_and_b32_sdwa v24, sext(v0), s7 dst_sel:DWORD dst_unused:UNUSED_PAD src0_sel:BYTE_0 src1_sel:DWORD
	v_lshl_add_u32 v1, v1, 23, v88
	v_or3_b32 v24, v24, v1, v23
	v_pk_mov_b32 v[32:33], v[24:25], v[24:25] op_sel:[0,1]
.LBB232_370:                            ;   in Loop: Header=BB232_339 Depth=1
	s_or_b64 exec, exec, s[24:25]
.LBB232_371:                            ;   in Loop: Header=BB232_339 Depth=1
	s_or_b64 exec, exec, s[22:23]
.LBB232_372:                            ;   in Loop: Header=BB232_339 Depth=1
	s_or_b64 exec, exec, s[20:21]
	v_cmp_ne_u16_sdwa s[0:1], v0, v22 src0_sel:BYTE_1 src1_sel:DWORD
	s_and_saveexec_b64 s[20:21], s[0:1]
	s_cbranch_execz .LBB232_378
; %bb.373:                              ;   in Loop: Header=BB232_339 Depth=1
	v_cmp_ne_u16_sdwa s[0:1], v0, s34 src0_sel:BYTE_1 src1_sel:DWORD
	v_pk_mov_b32 v[34:35], s[6:7], s[6:7] op_sel:[0,1]
	s_and_saveexec_b64 s[22:23], s[0:1]
	s_cbranch_execz .LBB232_377
; %bb.374:                              ;   in Loop: Header=BB232_339 Depth=1
	v_and_b32_sdwa v1, v0, s36 dst_sel:DWORD dst_unused:UNUSED_PAD src0_sel:BYTE_1 src1_sel:DWORD
	s_mov_b32 s12, s6
	v_cmp_ne_u32_e64 s[0:1], s36, v1
	v_pk_mov_b32 v[34:35], s[12:13], s[12:13] op_sel:[0,1]
	s_and_saveexec_b64 s[24:25], s[0:1]
	s_cbranch_execz .LBB232_376
; %bb.375:                              ;   in Loop: Header=BB232_339 Depth=1
	v_and_b32_sdwa v24, v0, v89 dst_sel:DWORD dst_unused:UNUSED_PAD src0_sel:BYTE_1 src1_sel:DWORD
	v_ffbh_u32_e32 v34, v24
	v_min_u32_e32 v36, 32, v34
	v_subrev_u32_e32 v34, 28, v36
	v_lshlrev_b64 v[34:35], v34, v[24:25]
	v_lshrrev_b32_e32 v23, 3, v1
	v_sub_u32_e32 v35, 29, v36
	v_cmp_gt_u32_e64 s[0:1], 8, v1
	v_and_b32_e32 v34, 7, v34
	v_cndmask_b32_e64 v1, v23, v35, s[0:1]
	v_cndmask_b32_e64 v23, v24, v34, s[0:1]
	v_lshlrev_b32_e32 v24, 16, v0
	v_lshl_add_u32 v1, v1, 23, v88
	v_and_or_b32 v1, v24, s7, v1
	v_lshlrev_b32_e32 v23, 20, v23
	v_or_b32_e32 v23, v1, v23
	v_pk_mov_b32 v[34:35], v[22:23], v[22:23] op_sel:[0,1]
.LBB232_376:                            ;   in Loop: Header=BB232_339 Depth=1
	s_or_b64 exec, exec, s[24:25]
.LBB232_377:                            ;   in Loop: Header=BB232_339 Depth=1
	s_or_b64 exec, exec, s[22:23]
.LBB232_378:                            ;   in Loop: Header=BB232_339 Depth=1
	s_or_b64 exec, exec, s[20:21]
	v_lshrrev_b32_e32 v24, 16, v0
	v_pk_mov_b32 v[38:39], 0, 0
	v_cmp_ne_u16_sdwa s[0:1], v24, v22 src0_sel:BYTE_0 src1_sel:DWORD
	v_pk_mov_b32 v[36:37], v[38:39], v[38:39] op_sel:[0,1]
	s_and_saveexec_b64 s[20:21], s[0:1]
	s_cbranch_execz .LBB232_384
; %bb.379:                              ;   in Loop: Header=BB232_339 Depth=1
	v_bfrev_b32_e32 v36, 1
	v_cmp_ne_u16_sdwa s[0:1], v24, s34 src0_sel:BYTE_0 src1_sel:DWORD
	v_mov_b32_e32 v37, 0
	s_and_saveexec_b64 s[22:23], s[0:1]
	s_cbranch_execz .LBB232_383
; %bb.380:                              ;   in Loop: Header=BB232_339 Depth=1
	v_bfe_u32 v1, v0, 16, 7
	v_mov_b32_e32 v36, 0x7f800001
	v_cmp_ne_u32_e64 s[0:1], s36, v1
	v_mov_b32_e32 v37, 0
	s_and_saveexec_b64 s[24:25], s[0:1]
	s_cbranch_execz .LBB232_382
; %bb.381:                              ;   in Loop: Header=BB232_339 Depth=1
	v_and_b32_e32 v23, 7, v24
	v_ffbh_u32_e32 v36, v23
	v_min_u32_e32 v41, 32, v36
	v_subrev_u32_e32 v36, 28, v41
	v_lshlrev_b64 v[36:37], v36, v[24:25]
	v_lshrrev_b32_e32 v40, 3, v1
	v_sub_u32_e32 v37, 29, v41
	v_and_b32_e32 v36, 7, v36
	v_cmp_gt_u32_e64 s[0:1], 8, v1
	v_cndmask_b32_e64 v1, v40, v37, s[0:1]
	v_cndmask_b32_e64 v23, v23, v36, s[0:1]
	v_lshlrev_b32_e32 v23, 20, v23
	v_and_b32_sdwa v24, sext(v24), s7 dst_sel:DWORD dst_unused:UNUSED_PAD src0_sel:BYTE_0 src1_sel:DWORD
	v_lshl_add_u32 v1, v1, 23, v88
	v_or3_b32 v24, v24, v1, v23
	v_pk_mov_b32 v[36:37], v[24:25], v[24:25] op_sel:[0,1]
.LBB232_382:                            ;   in Loop: Header=BB232_339 Depth=1
	s_or_b64 exec, exec, s[24:25]
.LBB232_383:                            ;   in Loop: Header=BB232_339 Depth=1
	s_or_b64 exec, exec, s[22:23]
.LBB232_384:                            ;   in Loop: Header=BB232_339 Depth=1
	s_or_b64 exec, exec, s[20:21]
	v_cmp_lt_u32_e64 s[0:1], s37, v0
	s_and_saveexec_b64 s[20:21], s[0:1]
	s_cbranch_execz .LBB232_390
; %bb.385:                              ;   in Loop: Header=BB232_339 Depth=1
	v_cmp_ne_u32_sdwa s[0:1], v0, s34 src0_sel:BYTE_3 src1_sel:DWORD
	v_pk_mov_b32 v[38:39], s[6:7], s[6:7] op_sel:[0,1]
	s_and_saveexec_b64 s[22:23], s[0:1]
	s_cbranch_execz .LBB232_389
; %bb.386:                              ;   in Loop: Header=BB232_339 Depth=1
	v_bfe_u32 v1, v0, 24, 7
	s_mov_b32 s12, s6
	v_cmp_ne_u32_e64 s[0:1], s36, v1
	v_pk_mov_b32 v[38:39], s[12:13], s[12:13] op_sel:[0,1]
	s_and_saveexec_b64 s[24:25], s[0:1]
	s_cbranch_execz .LBB232_388
; %bb.387:                              ;   in Loop: Header=BB232_339 Depth=1
	v_and_b32_sdwa v24, v0, v89 dst_sel:DWORD dst_unused:UNUSED_PAD src0_sel:BYTE_3 src1_sel:DWORD
	v_ffbh_u32_e32 v38, v24
	v_min_u32_e32 v40, 32, v38
	v_subrev_u32_e32 v38, 28, v40
	v_lshlrev_b64 v[38:39], v38, v[24:25]
	v_lshrrev_b32_e32 v23, 3, v1
	v_sub_u32_e32 v39, 29, v40
	v_cmp_gt_u32_e64 s[0:1], 8, v1
	v_and_b32_e32 v38, 7, v38
	v_cndmask_b32_e64 v1, v23, v39, s[0:1]
	v_cndmask_b32_e64 v23, v24, v38, s[0:1]
	v_lshlrev_b32_sdwa v0, v90, v0 dst_sel:DWORD dst_unused:UNUSED_PAD src0_sel:DWORD src1_sel:BYTE_3
	v_lshl_add_u32 v1, v1, 23, v88
	v_and_or_b32 v0, v0, s7, v1
	v_lshlrev_b32_e32 v1, 20, v23
	v_or_b32_e32 v23, v0, v1
	v_pk_mov_b32 v[38:39], v[22:23], v[22:23] op_sel:[0,1]
.LBB232_388:                            ;   in Loop: Header=BB232_339 Depth=1
	s_or_b64 exec, exec, s[24:25]
.LBB232_389:                            ;   in Loop: Header=BB232_339 Depth=1
	s_or_b64 exec, exec, s[22:23]
.LBB232_390:                            ;   in Loop: Header=BB232_339 Depth=1
	s_or_b64 exec, exec, s[20:21]
	s_mov_b32 s19, s18
	v_or_b32_e32 v1, v35, v33
	v_or_b32_e32 v0, v34, v32
	v_pk_mul_f32 v[32:33], s[18:19], v[0:1]
	v_or_b32_e32 v1, v39, v37
	v_or_b32_e32 v0, v38, v36
	v_pk_mul_f32 v[34:35], s[18:19], v[0:1]
	s_and_saveexec_b64 s[20:21], vcc
; %bb.391:                              ;   in Loop: Header=BB232_339 Depth=1
	v_cmp_gt_i32_e64 s[0:1], s33, v91
	v_cndmask_b32_e64 v32, 0, v32, s[0:1]
	v_cmp_gt_i32_e64 s[0:1], s33, v94
	v_cndmask_b32_e64 v33, 0, v33, s[0:1]
	;; [unrolled: 2-line block ×4, first 2 shown]
; %bb.392:                              ;   in Loop: Header=BB232_339 Depth=1
	s_or_b64 exec, exec, s[20:21]
	global_load_dword v0, v[30:31], off offset:512
	v_pk_mov_b32 v[38:39], 0, 0
	v_pk_mov_b32 v[36:37], v[38:39], v[38:39] op_sel:[0,1]
	s_waitcnt vmcnt(0)
	v_cmp_ne_u16_sdwa s[0:1], v0, v22 src0_sel:BYTE_0 src1_sel:DWORD
	s_and_saveexec_b64 s[20:21], s[0:1]
	s_cbranch_execz .LBB232_398
; %bb.393:                              ;   in Loop: Header=BB232_339 Depth=1
	v_bfrev_b32_e32 v36, 1
	v_cmp_ne_u16_sdwa s[0:1], v0, s34 src0_sel:BYTE_0 src1_sel:DWORD
	v_mov_b32_e32 v37, 0
	s_and_saveexec_b64 s[22:23], s[0:1]
	s_cbranch_execz .LBB232_397
; %bb.394:                              ;   in Loop: Header=BB232_339 Depth=1
	v_and_b32_e32 v1, 0x7f, v0
	v_mov_b32_e32 v36, 0x7f800001
	v_cmp_ne_u32_e64 s[0:1], s36, v1
	v_mov_b32_e32 v37, 0
	s_and_saveexec_b64 s[24:25], s[0:1]
	s_cbranch_execz .LBB232_396
; %bb.395:                              ;   in Loop: Header=BB232_339 Depth=1
	v_and_b32_e32 v23, 7, v0
	v_ffbh_u32_e32 v36, v23
	v_min_u32_e32 v40, 32, v36
	v_subrev_u32_e32 v36, 28, v40
	v_lshlrev_b64 v[36:37], v36, v[0:1]
	v_lshrrev_b32_e32 v24, 3, v1
	v_sub_u32_e32 v37, 29, v40
	v_and_b32_e32 v36, 7, v36
	v_cmp_gt_u32_e64 s[0:1], 8, v1
	v_cndmask_b32_e64 v1, v24, v37, s[0:1]
	v_cndmask_b32_e64 v23, v23, v36, s[0:1]
	v_lshlrev_b32_e32 v23, 20, v23
	v_and_b32_sdwa v24, sext(v0), s7 dst_sel:DWORD dst_unused:UNUSED_PAD src0_sel:BYTE_0 src1_sel:DWORD
	v_lshl_add_u32 v1, v1, 23, v88
	v_or3_b32 v24, v24, v1, v23
	v_pk_mov_b32 v[36:37], v[24:25], v[24:25] op_sel:[0,1]
.LBB232_396:                            ;   in Loop: Header=BB232_339 Depth=1
	s_or_b64 exec, exec, s[24:25]
.LBB232_397:                            ;   in Loop: Header=BB232_339 Depth=1
	s_or_b64 exec, exec, s[22:23]
.LBB232_398:                            ;   in Loop: Header=BB232_339 Depth=1
	s_or_b64 exec, exec, s[20:21]
	v_cmp_ne_u16_sdwa s[0:1], v0, v22 src0_sel:BYTE_1 src1_sel:DWORD
	s_and_saveexec_b64 s[20:21], s[0:1]
	s_cbranch_execz .LBB232_404
; %bb.399:                              ;   in Loop: Header=BB232_339 Depth=1
	v_cmp_ne_u16_sdwa s[0:1], v0, s34 src0_sel:BYTE_1 src1_sel:DWORD
	v_pk_mov_b32 v[38:39], s[6:7], s[6:7] op_sel:[0,1]
	s_and_saveexec_b64 s[22:23], s[0:1]
	s_cbranch_execz .LBB232_403
; %bb.400:                              ;   in Loop: Header=BB232_339 Depth=1
	v_and_b32_sdwa v1, v0, s36 dst_sel:DWORD dst_unused:UNUSED_PAD src0_sel:BYTE_1 src1_sel:DWORD
	s_mov_b32 s12, s6
	v_cmp_ne_u32_e64 s[0:1], s36, v1
	v_pk_mov_b32 v[38:39], s[12:13], s[12:13] op_sel:[0,1]
	s_and_saveexec_b64 s[24:25], s[0:1]
	s_cbranch_execz .LBB232_402
; %bb.401:                              ;   in Loop: Header=BB232_339 Depth=1
	v_and_b32_sdwa v24, v0, v89 dst_sel:DWORD dst_unused:UNUSED_PAD src0_sel:BYTE_1 src1_sel:DWORD
	v_ffbh_u32_e32 v38, v24
	v_min_u32_e32 v40, 32, v38
	v_subrev_u32_e32 v38, 28, v40
	v_lshlrev_b64 v[38:39], v38, v[24:25]
	v_lshrrev_b32_e32 v23, 3, v1
	v_sub_u32_e32 v39, 29, v40
	v_cmp_gt_u32_e64 s[0:1], 8, v1
	v_and_b32_e32 v38, 7, v38
	v_cndmask_b32_e64 v1, v23, v39, s[0:1]
	v_cndmask_b32_e64 v23, v24, v38, s[0:1]
	v_lshlrev_b32_e32 v24, 16, v0
	v_lshl_add_u32 v1, v1, 23, v88
	v_and_or_b32 v1, v24, s7, v1
	v_lshlrev_b32_e32 v23, 20, v23
	v_or_b32_e32 v23, v1, v23
	v_pk_mov_b32 v[38:39], v[22:23], v[22:23] op_sel:[0,1]
.LBB232_402:                            ;   in Loop: Header=BB232_339 Depth=1
	s_or_b64 exec, exec, s[24:25]
.LBB232_403:                            ;   in Loop: Header=BB232_339 Depth=1
	s_or_b64 exec, exec, s[22:23]
.LBB232_404:                            ;   in Loop: Header=BB232_339 Depth=1
	s_or_b64 exec, exec, s[20:21]
	v_lshrrev_b32_e32 v24, 16, v0
	v_pk_mov_b32 v[42:43], 0, 0
	v_cmp_ne_u16_sdwa s[0:1], v24, v22 src0_sel:BYTE_0 src1_sel:DWORD
	v_pk_mov_b32 v[40:41], v[42:43], v[42:43] op_sel:[0,1]
	s_and_saveexec_b64 s[20:21], s[0:1]
	s_cbranch_execz .LBB232_410
; %bb.405:                              ;   in Loop: Header=BB232_339 Depth=1
	v_bfrev_b32_e32 v40, 1
	v_cmp_ne_u16_sdwa s[0:1], v24, s34 src0_sel:BYTE_0 src1_sel:DWORD
	v_mov_b32_e32 v41, 0
	s_and_saveexec_b64 s[22:23], s[0:1]
	s_cbranch_execz .LBB232_409
; %bb.406:                              ;   in Loop: Header=BB232_339 Depth=1
	v_bfe_u32 v1, v0, 16, 7
	v_mov_b32_e32 v40, 0x7f800001
	v_cmp_ne_u32_e64 s[0:1], s36, v1
	v_mov_b32_e32 v41, 0
	s_and_saveexec_b64 s[24:25], s[0:1]
	s_cbranch_execz .LBB232_408
; %bb.407:                              ;   in Loop: Header=BB232_339 Depth=1
	v_and_b32_e32 v23, 7, v24
	v_ffbh_u32_e32 v40, v23
	v_min_u32_e32 v45, 32, v40
	v_subrev_u32_e32 v40, 28, v45
	v_lshlrev_b64 v[40:41], v40, v[24:25]
	v_lshrrev_b32_e32 v44, 3, v1
	v_sub_u32_e32 v41, 29, v45
	v_and_b32_e32 v40, 7, v40
	v_cmp_gt_u32_e64 s[0:1], 8, v1
	v_cndmask_b32_e64 v1, v44, v41, s[0:1]
	v_cndmask_b32_e64 v23, v23, v40, s[0:1]
	v_lshlrev_b32_e32 v23, 20, v23
	v_and_b32_sdwa v24, sext(v24), s7 dst_sel:DWORD dst_unused:UNUSED_PAD src0_sel:BYTE_0 src1_sel:DWORD
	v_lshl_add_u32 v1, v1, 23, v88
	v_or3_b32 v24, v24, v1, v23
	v_pk_mov_b32 v[40:41], v[24:25], v[24:25] op_sel:[0,1]
.LBB232_408:                            ;   in Loop: Header=BB232_339 Depth=1
	s_or_b64 exec, exec, s[24:25]
.LBB232_409:                            ;   in Loop: Header=BB232_339 Depth=1
	s_or_b64 exec, exec, s[22:23]
.LBB232_410:                            ;   in Loop: Header=BB232_339 Depth=1
	s_or_b64 exec, exec, s[20:21]
	v_cmp_lt_u32_e64 s[0:1], s37, v0
	s_and_saveexec_b64 s[20:21], s[0:1]
	s_cbranch_execz .LBB232_416
; %bb.411:                              ;   in Loop: Header=BB232_339 Depth=1
	v_cmp_ne_u32_sdwa s[0:1], v0, s34 src0_sel:BYTE_3 src1_sel:DWORD
	v_pk_mov_b32 v[42:43], s[6:7], s[6:7] op_sel:[0,1]
	s_and_saveexec_b64 s[22:23], s[0:1]
	s_cbranch_execz .LBB232_415
; %bb.412:                              ;   in Loop: Header=BB232_339 Depth=1
	v_bfe_u32 v1, v0, 24, 7
	s_mov_b32 s12, s6
	v_cmp_ne_u32_e64 s[0:1], s36, v1
	v_pk_mov_b32 v[42:43], s[12:13], s[12:13] op_sel:[0,1]
	s_and_saveexec_b64 s[24:25], s[0:1]
	s_cbranch_execz .LBB232_414
; %bb.413:                              ;   in Loop: Header=BB232_339 Depth=1
	v_and_b32_sdwa v24, v0, v89 dst_sel:DWORD dst_unused:UNUSED_PAD src0_sel:BYTE_3 src1_sel:DWORD
	v_ffbh_u32_e32 v42, v24
	v_min_u32_e32 v44, 32, v42
	v_subrev_u32_e32 v42, 28, v44
	v_lshlrev_b64 v[42:43], v42, v[24:25]
	v_lshrrev_b32_e32 v23, 3, v1
	v_sub_u32_e32 v43, 29, v44
	v_cmp_gt_u32_e64 s[0:1], 8, v1
	v_and_b32_e32 v42, 7, v42
	v_cndmask_b32_e64 v1, v23, v43, s[0:1]
	v_cndmask_b32_e64 v23, v24, v42, s[0:1]
	v_lshlrev_b32_sdwa v0, v90, v0 dst_sel:DWORD dst_unused:UNUSED_PAD src0_sel:DWORD src1_sel:BYTE_3
	v_lshl_add_u32 v1, v1, 23, v88
	v_and_or_b32 v0, v0, s7, v1
	v_lshlrev_b32_e32 v1, 20, v23
	v_or_b32_e32 v23, v0, v1
	v_pk_mov_b32 v[42:43], v[22:23], v[22:23] op_sel:[0,1]
.LBB232_414:                            ;   in Loop: Header=BB232_339 Depth=1
	s_or_b64 exec, exec, s[24:25]
.LBB232_415:                            ;   in Loop: Header=BB232_339 Depth=1
	s_or_b64 exec, exec, s[22:23]
.LBB232_416:                            ;   in Loop: Header=BB232_339 Depth=1
	s_or_b64 exec, exec, s[20:21]
	v_or_b32_e32 v1, v39, v37
	v_or_b32_e32 v0, v38, v36
	v_pk_mul_f32 v[36:37], s[18:19], v[0:1]
	v_or_b32_e32 v1, v43, v41
	v_or_b32_e32 v0, v42, v40
	v_pk_mul_f32 v[38:39], s[18:19], v[0:1]
	s_and_saveexec_b64 s[20:21], vcc
; %bb.417:                              ;   in Loop: Header=BB232_339 Depth=1
	v_cmp_gt_i32_e64 s[0:1], s33, v91
	v_cndmask_b32_e64 v36, 0, v36, s[0:1]
	v_cmp_gt_i32_e64 s[0:1], s33, v94
	v_cndmask_b32_e64 v37, 0, v37, s[0:1]
	;; [unrolled: 2-line block ×4, first 2 shown]
; %bb.418:                              ;   in Loop: Header=BB232_339 Depth=1
	s_or_b64 exec, exec, s[20:21]
	global_load_dword v0, v[30:31], off offset:768
	v_pk_mov_b32 v[42:43], 0, 0
	v_pk_mov_b32 v[40:41], v[42:43], v[42:43] op_sel:[0,1]
	s_waitcnt vmcnt(0)
	v_cmp_ne_u16_sdwa s[0:1], v0, v22 src0_sel:BYTE_0 src1_sel:DWORD
	s_and_saveexec_b64 s[20:21], s[0:1]
	s_cbranch_execz .LBB232_424
; %bb.419:                              ;   in Loop: Header=BB232_339 Depth=1
	v_bfrev_b32_e32 v40, 1
	v_cmp_ne_u16_sdwa s[0:1], v0, s34 src0_sel:BYTE_0 src1_sel:DWORD
	v_mov_b32_e32 v41, 0
	s_and_saveexec_b64 s[22:23], s[0:1]
	s_cbranch_execz .LBB232_423
; %bb.420:                              ;   in Loop: Header=BB232_339 Depth=1
	v_and_b32_e32 v1, 0x7f, v0
	v_mov_b32_e32 v40, 0x7f800001
	v_cmp_ne_u32_e64 s[0:1], s36, v1
	v_mov_b32_e32 v41, 0
	s_and_saveexec_b64 s[24:25], s[0:1]
	s_cbranch_execz .LBB232_422
; %bb.421:                              ;   in Loop: Header=BB232_339 Depth=1
	v_and_b32_e32 v23, 7, v0
	v_ffbh_u32_e32 v40, v23
	v_min_u32_e32 v44, 32, v40
	v_subrev_u32_e32 v40, 28, v44
	v_lshlrev_b64 v[40:41], v40, v[0:1]
	v_lshrrev_b32_e32 v24, 3, v1
	v_sub_u32_e32 v41, 29, v44
	v_and_b32_e32 v40, 7, v40
	v_cmp_gt_u32_e64 s[0:1], 8, v1
	v_cndmask_b32_e64 v1, v24, v41, s[0:1]
	v_cndmask_b32_e64 v23, v23, v40, s[0:1]
	v_lshlrev_b32_e32 v23, 20, v23
	v_and_b32_sdwa v24, sext(v0), s7 dst_sel:DWORD dst_unused:UNUSED_PAD src0_sel:BYTE_0 src1_sel:DWORD
	v_lshl_add_u32 v1, v1, 23, v88
	v_or3_b32 v24, v24, v1, v23
	v_pk_mov_b32 v[40:41], v[24:25], v[24:25] op_sel:[0,1]
.LBB232_422:                            ;   in Loop: Header=BB232_339 Depth=1
	s_or_b64 exec, exec, s[24:25]
.LBB232_423:                            ;   in Loop: Header=BB232_339 Depth=1
	s_or_b64 exec, exec, s[22:23]
.LBB232_424:                            ;   in Loop: Header=BB232_339 Depth=1
	s_or_b64 exec, exec, s[20:21]
	v_cmp_ne_u16_sdwa s[0:1], v0, v22 src0_sel:BYTE_1 src1_sel:DWORD
	s_and_saveexec_b64 s[20:21], s[0:1]
	s_cbranch_execz .LBB232_430
; %bb.425:                              ;   in Loop: Header=BB232_339 Depth=1
	v_cmp_ne_u16_sdwa s[0:1], v0, s34 src0_sel:BYTE_1 src1_sel:DWORD
	v_pk_mov_b32 v[42:43], s[6:7], s[6:7] op_sel:[0,1]
	s_and_saveexec_b64 s[22:23], s[0:1]
	s_cbranch_execz .LBB232_429
; %bb.426:                              ;   in Loop: Header=BB232_339 Depth=1
	v_and_b32_sdwa v1, v0, s36 dst_sel:DWORD dst_unused:UNUSED_PAD src0_sel:BYTE_1 src1_sel:DWORD
	s_mov_b32 s12, s6
	v_cmp_ne_u32_e64 s[0:1], s36, v1
	v_pk_mov_b32 v[42:43], s[12:13], s[12:13] op_sel:[0,1]
	s_and_saveexec_b64 s[24:25], s[0:1]
	s_cbranch_execz .LBB232_428
; %bb.427:                              ;   in Loop: Header=BB232_339 Depth=1
	v_and_b32_sdwa v24, v0, v89 dst_sel:DWORD dst_unused:UNUSED_PAD src0_sel:BYTE_1 src1_sel:DWORD
	v_ffbh_u32_e32 v42, v24
	v_min_u32_e32 v44, 32, v42
	v_subrev_u32_e32 v42, 28, v44
	v_lshlrev_b64 v[42:43], v42, v[24:25]
	v_lshrrev_b32_e32 v23, 3, v1
	v_sub_u32_e32 v43, 29, v44
	v_cmp_gt_u32_e64 s[0:1], 8, v1
	v_and_b32_e32 v42, 7, v42
	v_cndmask_b32_e64 v1, v23, v43, s[0:1]
	v_cndmask_b32_e64 v23, v24, v42, s[0:1]
	v_lshlrev_b32_e32 v24, 16, v0
	v_lshl_add_u32 v1, v1, 23, v88
	v_and_or_b32 v1, v24, s7, v1
	v_lshlrev_b32_e32 v23, 20, v23
	v_or_b32_e32 v23, v1, v23
	v_pk_mov_b32 v[42:43], v[22:23], v[22:23] op_sel:[0,1]
.LBB232_428:                            ;   in Loop: Header=BB232_339 Depth=1
	s_or_b64 exec, exec, s[24:25]
.LBB232_429:                            ;   in Loop: Header=BB232_339 Depth=1
	s_or_b64 exec, exec, s[22:23]
.LBB232_430:                            ;   in Loop: Header=BB232_339 Depth=1
	s_or_b64 exec, exec, s[20:21]
	v_lshrrev_b32_e32 v24, 16, v0
	v_pk_mov_b32 v[46:47], 0, 0
	v_cmp_ne_u16_sdwa s[0:1], v24, v22 src0_sel:BYTE_0 src1_sel:DWORD
	v_pk_mov_b32 v[44:45], v[46:47], v[46:47] op_sel:[0,1]
	s_and_saveexec_b64 s[20:21], s[0:1]
	s_cbranch_execz .LBB232_436
; %bb.431:                              ;   in Loop: Header=BB232_339 Depth=1
	v_bfrev_b32_e32 v44, 1
	v_cmp_ne_u16_sdwa s[0:1], v24, s34 src0_sel:BYTE_0 src1_sel:DWORD
	v_mov_b32_e32 v45, 0
	s_and_saveexec_b64 s[22:23], s[0:1]
	s_cbranch_execz .LBB232_435
; %bb.432:                              ;   in Loop: Header=BB232_339 Depth=1
	v_bfe_u32 v1, v0, 16, 7
	v_mov_b32_e32 v44, 0x7f800001
	v_cmp_ne_u32_e64 s[0:1], s36, v1
	v_mov_b32_e32 v45, 0
	s_and_saveexec_b64 s[24:25], s[0:1]
	s_cbranch_execz .LBB232_434
; %bb.433:                              ;   in Loop: Header=BB232_339 Depth=1
	v_and_b32_e32 v23, 7, v24
	v_ffbh_u32_e32 v44, v23
	v_min_u32_e32 v49, 32, v44
	v_subrev_u32_e32 v44, 28, v49
	v_lshlrev_b64 v[44:45], v44, v[24:25]
	v_lshrrev_b32_e32 v48, 3, v1
	v_sub_u32_e32 v45, 29, v49
	v_and_b32_e32 v44, 7, v44
	v_cmp_gt_u32_e64 s[0:1], 8, v1
	v_cndmask_b32_e64 v1, v48, v45, s[0:1]
	v_cndmask_b32_e64 v23, v23, v44, s[0:1]
	v_lshlrev_b32_e32 v23, 20, v23
	v_and_b32_sdwa v24, sext(v24), s7 dst_sel:DWORD dst_unused:UNUSED_PAD src0_sel:BYTE_0 src1_sel:DWORD
	v_lshl_add_u32 v1, v1, 23, v88
	v_or3_b32 v24, v24, v1, v23
	v_pk_mov_b32 v[44:45], v[24:25], v[24:25] op_sel:[0,1]
.LBB232_434:                            ;   in Loop: Header=BB232_339 Depth=1
	s_or_b64 exec, exec, s[24:25]
.LBB232_435:                            ;   in Loop: Header=BB232_339 Depth=1
	s_or_b64 exec, exec, s[22:23]
.LBB232_436:                            ;   in Loop: Header=BB232_339 Depth=1
	s_or_b64 exec, exec, s[20:21]
	v_cmp_lt_u32_e64 s[0:1], s37, v0
	s_and_saveexec_b64 s[20:21], s[0:1]
	s_cbranch_execz .LBB232_442
; %bb.437:                              ;   in Loop: Header=BB232_339 Depth=1
	v_cmp_ne_u32_sdwa s[0:1], v0, s34 src0_sel:BYTE_3 src1_sel:DWORD
	v_pk_mov_b32 v[46:47], s[6:7], s[6:7] op_sel:[0,1]
	s_and_saveexec_b64 s[22:23], s[0:1]
	s_cbranch_execz .LBB232_441
; %bb.438:                              ;   in Loop: Header=BB232_339 Depth=1
	v_bfe_u32 v1, v0, 24, 7
	s_mov_b32 s12, s6
	v_cmp_ne_u32_e64 s[0:1], s36, v1
	v_pk_mov_b32 v[46:47], s[12:13], s[12:13] op_sel:[0,1]
	s_and_saveexec_b64 s[24:25], s[0:1]
	s_cbranch_execz .LBB232_440
; %bb.439:                              ;   in Loop: Header=BB232_339 Depth=1
	v_and_b32_sdwa v24, v0, v89 dst_sel:DWORD dst_unused:UNUSED_PAD src0_sel:BYTE_3 src1_sel:DWORD
	v_ffbh_u32_e32 v46, v24
	v_min_u32_e32 v48, 32, v46
	v_subrev_u32_e32 v46, 28, v48
	v_lshlrev_b64 v[46:47], v46, v[24:25]
	v_lshrrev_b32_e32 v23, 3, v1
	v_sub_u32_e32 v47, 29, v48
	v_cmp_gt_u32_e64 s[0:1], 8, v1
	v_and_b32_e32 v46, 7, v46
	v_cndmask_b32_e64 v1, v23, v47, s[0:1]
	v_cndmask_b32_e64 v23, v24, v46, s[0:1]
	v_lshlrev_b32_sdwa v0, v90, v0 dst_sel:DWORD dst_unused:UNUSED_PAD src0_sel:DWORD src1_sel:BYTE_3
	v_lshl_add_u32 v1, v1, 23, v88
	v_and_or_b32 v0, v0, s7, v1
	v_lshlrev_b32_e32 v1, 20, v23
	v_or_b32_e32 v23, v0, v1
	v_pk_mov_b32 v[46:47], v[22:23], v[22:23] op_sel:[0,1]
.LBB232_440:                            ;   in Loop: Header=BB232_339 Depth=1
	s_or_b64 exec, exec, s[24:25]
.LBB232_441:                            ;   in Loop: Header=BB232_339 Depth=1
	s_or_b64 exec, exec, s[22:23]
.LBB232_442:                            ;   in Loop: Header=BB232_339 Depth=1
	s_or_b64 exec, exec, s[20:21]
	v_or_b32_e32 v1, v43, v41
	v_or_b32_e32 v0, v42, v40
	v_pk_mul_f32 v[40:41], s[18:19], v[0:1]
	v_or_b32_e32 v1, v47, v45
	v_or_b32_e32 v0, v46, v44
	v_pk_mul_f32 v[42:43], s[18:19], v[0:1]
	s_and_saveexec_b64 s[20:21], vcc
; %bb.443:                              ;   in Loop: Header=BB232_339 Depth=1
	v_cmp_gt_i32_e64 s[0:1], s33, v91
	v_cndmask_b32_e64 v40, 0, v40, s[0:1]
	v_cmp_gt_i32_e64 s[0:1], s33, v94
	v_cndmask_b32_e64 v41, 0, v41, s[0:1]
	;; [unrolled: 2-line block ×4, first 2 shown]
; %bb.444:                              ;   in Loop: Header=BB232_339 Depth=1
	s_or_b64 exec, exec, s[20:21]
	global_load_dword v0, v[30:31], off offset:1024
	v_pk_mov_b32 v[46:47], 0, 0
	v_pk_mov_b32 v[44:45], v[46:47], v[46:47] op_sel:[0,1]
	s_waitcnt vmcnt(0)
	v_cmp_ne_u16_sdwa s[0:1], v0, v22 src0_sel:BYTE_0 src1_sel:DWORD
	s_and_saveexec_b64 s[20:21], s[0:1]
	s_cbranch_execz .LBB232_450
; %bb.445:                              ;   in Loop: Header=BB232_339 Depth=1
	v_bfrev_b32_e32 v44, 1
	v_cmp_ne_u16_sdwa s[0:1], v0, s34 src0_sel:BYTE_0 src1_sel:DWORD
	v_mov_b32_e32 v45, 0
	s_and_saveexec_b64 s[22:23], s[0:1]
	s_cbranch_execz .LBB232_449
; %bb.446:                              ;   in Loop: Header=BB232_339 Depth=1
	v_and_b32_e32 v1, 0x7f, v0
	v_mov_b32_e32 v44, 0x7f800001
	v_cmp_ne_u32_e64 s[0:1], s36, v1
	v_mov_b32_e32 v45, 0
	s_and_saveexec_b64 s[24:25], s[0:1]
	s_cbranch_execz .LBB232_448
; %bb.447:                              ;   in Loop: Header=BB232_339 Depth=1
	v_and_b32_e32 v23, 7, v0
	v_ffbh_u32_e32 v44, v23
	v_min_u32_e32 v48, 32, v44
	v_subrev_u32_e32 v44, 28, v48
	v_lshlrev_b64 v[44:45], v44, v[0:1]
	v_lshrrev_b32_e32 v24, 3, v1
	v_sub_u32_e32 v45, 29, v48
	v_and_b32_e32 v44, 7, v44
	v_cmp_gt_u32_e64 s[0:1], 8, v1
	v_cndmask_b32_e64 v1, v24, v45, s[0:1]
	v_cndmask_b32_e64 v23, v23, v44, s[0:1]
	v_lshlrev_b32_e32 v23, 20, v23
	v_and_b32_sdwa v24, sext(v0), s7 dst_sel:DWORD dst_unused:UNUSED_PAD src0_sel:BYTE_0 src1_sel:DWORD
	v_lshl_add_u32 v1, v1, 23, v88
	v_or3_b32 v24, v24, v1, v23
	v_pk_mov_b32 v[44:45], v[24:25], v[24:25] op_sel:[0,1]
.LBB232_448:                            ;   in Loop: Header=BB232_339 Depth=1
	s_or_b64 exec, exec, s[24:25]
.LBB232_449:                            ;   in Loop: Header=BB232_339 Depth=1
	s_or_b64 exec, exec, s[22:23]
.LBB232_450:                            ;   in Loop: Header=BB232_339 Depth=1
	s_or_b64 exec, exec, s[20:21]
	v_cmp_ne_u16_sdwa s[0:1], v0, v22 src0_sel:BYTE_1 src1_sel:DWORD
	s_and_saveexec_b64 s[20:21], s[0:1]
	s_cbranch_execz .LBB232_456
; %bb.451:                              ;   in Loop: Header=BB232_339 Depth=1
	v_cmp_ne_u16_sdwa s[0:1], v0, s34 src0_sel:BYTE_1 src1_sel:DWORD
	v_pk_mov_b32 v[46:47], s[6:7], s[6:7] op_sel:[0,1]
	s_and_saveexec_b64 s[22:23], s[0:1]
	s_cbranch_execz .LBB232_455
; %bb.452:                              ;   in Loop: Header=BB232_339 Depth=1
	v_and_b32_sdwa v1, v0, s36 dst_sel:DWORD dst_unused:UNUSED_PAD src0_sel:BYTE_1 src1_sel:DWORD
	s_mov_b32 s12, s6
	v_cmp_ne_u32_e64 s[0:1], s36, v1
	v_pk_mov_b32 v[46:47], s[12:13], s[12:13] op_sel:[0,1]
	s_and_saveexec_b64 s[24:25], s[0:1]
	s_cbranch_execz .LBB232_454
; %bb.453:                              ;   in Loop: Header=BB232_339 Depth=1
	v_and_b32_sdwa v24, v0, v89 dst_sel:DWORD dst_unused:UNUSED_PAD src0_sel:BYTE_1 src1_sel:DWORD
	v_ffbh_u32_e32 v46, v24
	v_min_u32_e32 v48, 32, v46
	v_subrev_u32_e32 v46, 28, v48
	v_lshlrev_b64 v[46:47], v46, v[24:25]
	v_lshrrev_b32_e32 v23, 3, v1
	v_sub_u32_e32 v47, 29, v48
	v_cmp_gt_u32_e64 s[0:1], 8, v1
	v_and_b32_e32 v46, 7, v46
	v_cndmask_b32_e64 v1, v23, v47, s[0:1]
	v_cndmask_b32_e64 v23, v24, v46, s[0:1]
	v_lshlrev_b32_e32 v24, 16, v0
	v_lshl_add_u32 v1, v1, 23, v88
	v_and_or_b32 v1, v24, s7, v1
	v_lshlrev_b32_e32 v23, 20, v23
	v_or_b32_e32 v23, v1, v23
	v_pk_mov_b32 v[46:47], v[22:23], v[22:23] op_sel:[0,1]
.LBB232_454:                            ;   in Loop: Header=BB232_339 Depth=1
	s_or_b64 exec, exec, s[24:25]
.LBB232_455:                            ;   in Loop: Header=BB232_339 Depth=1
	s_or_b64 exec, exec, s[22:23]
.LBB232_456:                            ;   in Loop: Header=BB232_339 Depth=1
	s_or_b64 exec, exec, s[20:21]
	v_lshrrev_b32_e32 v24, 16, v0
	v_pk_mov_b32 v[52:53], 0, 0
	v_cmp_ne_u16_sdwa s[0:1], v24, v22 src0_sel:BYTE_0 src1_sel:DWORD
	v_pk_mov_b32 v[48:49], v[52:53], v[52:53] op_sel:[0,1]
	s_and_saveexec_b64 s[20:21], s[0:1]
	s_cbranch_execz .LBB232_462
; %bb.457:                              ;   in Loop: Header=BB232_339 Depth=1
	v_bfrev_b32_e32 v48, 1
	v_cmp_ne_u16_sdwa s[0:1], v24, s34 src0_sel:BYTE_0 src1_sel:DWORD
	v_mov_b32_e32 v49, 0
	s_and_saveexec_b64 s[22:23], s[0:1]
	s_cbranch_execz .LBB232_461
; %bb.458:                              ;   in Loop: Header=BB232_339 Depth=1
	v_bfe_u32 v1, v0, 16, 7
	v_mov_b32_e32 v48, 0x7f800001
	v_cmp_ne_u32_e64 s[0:1], s36, v1
	v_mov_b32_e32 v49, 0
	s_and_saveexec_b64 s[24:25], s[0:1]
	s_cbranch_execz .LBB232_460
; %bb.459:                              ;   in Loop: Header=BB232_339 Depth=1
	v_and_b32_e32 v23, 7, v24
	v_ffbh_u32_e32 v48, v23
	v_min_u32_e32 v55, 32, v48
	v_subrev_u32_e32 v48, 28, v55
	v_lshlrev_b64 v[48:49], v48, v[24:25]
	v_lshrrev_b32_e32 v54, 3, v1
	v_sub_u32_e32 v49, 29, v55
	v_and_b32_e32 v48, 7, v48
	v_cmp_gt_u32_e64 s[0:1], 8, v1
	v_cndmask_b32_e64 v1, v54, v49, s[0:1]
	v_cndmask_b32_e64 v23, v23, v48, s[0:1]
	v_lshlrev_b32_e32 v23, 20, v23
	v_and_b32_sdwa v24, sext(v24), s7 dst_sel:DWORD dst_unused:UNUSED_PAD src0_sel:BYTE_0 src1_sel:DWORD
	v_lshl_add_u32 v1, v1, 23, v88
	v_or3_b32 v24, v24, v1, v23
	v_pk_mov_b32 v[48:49], v[24:25], v[24:25] op_sel:[0,1]
.LBB232_460:                            ;   in Loop: Header=BB232_339 Depth=1
	s_or_b64 exec, exec, s[24:25]
.LBB232_461:                            ;   in Loop: Header=BB232_339 Depth=1
	s_or_b64 exec, exec, s[22:23]
.LBB232_462:                            ;   in Loop: Header=BB232_339 Depth=1
	s_or_b64 exec, exec, s[20:21]
	v_cmp_lt_u32_e64 s[0:1], s37, v0
	s_and_saveexec_b64 s[20:21], s[0:1]
	s_cbranch_execz .LBB232_468
; %bb.463:                              ;   in Loop: Header=BB232_339 Depth=1
	v_cmp_ne_u32_sdwa s[0:1], v0, s34 src0_sel:BYTE_3 src1_sel:DWORD
	v_pk_mov_b32 v[52:53], s[6:7], s[6:7] op_sel:[0,1]
	s_and_saveexec_b64 s[22:23], s[0:1]
	s_cbranch_execz .LBB232_467
; %bb.464:                              ;   in Loop: Header=BB232_339 Depth=1
	v_bfe_u32 v1, v0, 24, 7
	s_mov_b32 s12, s6
	v_cmp_ne_u32_e64 s[0:1], s36, v1
	v_pk_mov_b32 v[52:53], s[12:13], s[12:13] op_sel:[0,1]
	s_and_saveexec_b64 s[24:25], s[0:1]
	s_cbranch_execz .LBB232_466
; %bb.465:                              ;   in Loop: Header=BB232_339 Depth=1
	v_and_b32_sdwa v24, v0, v89 dst_sel:DWORD dst_unused:UNUSED_PAD src0_sel:BYTE_3 src1_sel:DWORD
	v_ffbh_u32_e32 v52, v24
	v_min_u32_e32 v54, 32, v52
	v_subrev_u32_e32 v52, 28, v54
	v_lshlrev_b64 v[52:53], v52, v[24:25]
	v_lshrrev_b32_e32 v23, 3, v1
	v_sub_u32_e32 v53, 29, v54
	v_cmp_gt_u32_e64 s[0:1], 8, v1
	v_and_b32_e32 v52, 7, v52
	v_cndmask_b32_e64 v1, v23, v53, s[0:1]
	v_cndmask_b32_e64 v23, v24, v52, s[0:1]
	v_lshlrev_b32_sdwa v0, v90, v0 dst_sel:DWORD dst_unused:UNUSED_PAD src0_sel:DWORD src1_sel:BYTE_3
	v_lshl_add_u32 v1, v1, 23, v88
	v_and_or_b32 v0, v0, s7, v1
	v_lshlrev_b32_e32 v1, 20, v23
	v_or_b32_e32 v23, v0, v1
	v_pk_mov_b32 v[52:53], v[22:23], v[22:23] op_sel:[0,1]
.LBB232_466:                            ;   in Loop: Header=BB232_339 Depth=1
	s_or_b64 exec, exec, s[24:25]
.LBB232_467:                            ;   in Loop: Header=BB232_339 Depth=1
	s_or_b64 exec, exec, s[22:23]
.LBB232_468:                            ;   in Loop: Header=BB232_339 Depth=1
	s_or_b64 exec, exec, s[20:21]
	v_or_b32_e32 v1, v47, v45
	v_or_b32_e32 v0, v46, v44
	v_pk_mul_f32 v[44:45], s[18:19], v[0:1]
	v_or_b32_e32 v1, v53, v49
	v_or_b32_e32 v0, v52, v48
	v_pk_mul_f32 v[46:47], s[18:19], v[0:1]
	s_and_saveexec_b64 s[20:21], vcc
; %bb.469:                              ;   in Loop: Header=BB232_339 Depth=1
	v_cmp_gt_i32_e64 s[0:1], s33, v91
	v_cndmask_b32_e64 v44, 0, v44, s[0:1]
	v_cmp_gt_i32_e64 s[0:1], s33, v94
	v_cndmask_b32_e64 v45, 0, v45, s[0:1]
	;; [unrolled: 2-line block ×4, first 2 shown]
; %bb.470:                              ;   in Loop: Header=BB232_339 Depth=1
	s_or_b64 exec, exec, s[20:21]
	global_load_dword v0, v[30:31], off offset:1280
	v_pk_mov_b32 v[52:53], 0, 0
	v_pk_mov_b32 v[48:49], v[52:53], v[52:53] op_sel:[0,1]
	s_waitcnt vmcnt(0)
	v_cmp_ne_u16_sdwa s[0:1], v0, v22 src0_sel:BYTE_0 src1_sel:DWORD
	s_and_saveexec_b64 s[20:21], s[0:1]
	s_cbranch_execz .LBB232_476
; %bb.471:                              ;   in Loop: Header=BB232_339 Depth=1
	v_bfrev_b32_e32 v48, 1
	v_cmp_ne_u16_sdwa s[0:1], v0, s34 src0_sel:BYTE_0 src1_sel:DWORD
	v_mov_b32_e32 v49, 0
	s_and_saveexec_b64 s[22:23], s[0:1]
	s_cbranch_execz .LBB232_475
; %bb.472:                              ;   in Loop: Header=BB232_339 Depth=1
	v_and_b32_e32 v1, 0x7f, v0
	v_mov_b32_e32 v48, 0x7f800001
	v_cmp_ne_u32_e64 s[0:1], s36, v1
	v_mov_b32_e32 v49, 0
	s_and_saveexec_b64 s[24:25], s[0:1]
	s_cbranch_execz .LBB232_474
; %bb.473:                              ;   in Loop: Header=BB232_339 Depth=1
	v_and_b32_e32 v23, 7, v0
	v_ffbh_u32_e32 v48, v23
	v_min_u32_e32 v54, 32, v48
	v_subrev_u32_e32 v48, 28, v54
	v_lshlrev_b64 v[48:49], v48, v[0:1]
	v_lshrrev_b32_e32 v24, 3, v1
	v_sub_u32_e32 v49, 29, v54
	v_and_b32_e32 v48, 7, v48
	v_cmp_gt_u32_e64 s[0:1], 8, v1
	v_cndmask_b32_e64 v1, v24, v49, s[0:1]
	v_cndmask_b32_e64 v23, v23, v48, s[0:1]
	v_lshlrev_b32_e32 v23, 20, v23
	v_and_b32_sdwa v24, sext(v0), s7 dst_sel:DWORD dst_unused:UNUSED_PAD src0_sel:BYTE_0 src1_sel:DWORD
	v_lshl_add_u32 v1, v1, 23, v88
	v_or3_b32 v24, v24, v1, v23
	v_pk_mov_b32 v[48:49], v[24:25], v[24:25] op_sel:[0,1]
.LBB232_474:                            ;   in Loop: Header=BB232_339 Depth=1
	s_or_b64 exec, exec, s[24:25]
.LBB232_475:                            ;   in Loop: Header=BB232_339 Depth=1
	s_or_b64 exec, exec, s[22:23]
.LBB232_476:                            ;   in Loop: Header=BB232_339 Depth=1
	s_or_b64 exec, exec, s[20:21]
	v_cmp_ne_u16_sdwa s[0:1], v0, v22 src0_sel:BYTE_1 src1_sel:DWORD
	s_and_saveexec_b64 s[20:21], s[0:1]
	s_cbranch_execz .LBB232_482
; %bb.477:                              ;   in Loop: Header=BB232_339 Depth=1
	v_cmp_ne_u16_sdwa s[0:1], v0, s34 src0_sel:BYTE_1 src1_sel:DWORD
	v_pk_mov_b32 v[52:53], s[6:7], s[6:7] op_sel:[0,1]
	s_and_saveexec_b64 s[22:23], s[0:1]
	s_cbranch_execz .LBB232_481
; %bb.478:                              ;   in Loop: Header=BB232_339 Depth=1
	v_and_b32_sdwa v1, v0, s36 dst_sel:DWORD dst_unused:UNUSED_PAD src0_sel:BYTE_1 src1_sel:DWORD
	s_mov_b32 s12, s6
	v_cmp_ne_u32_e64 s[0:1], s36, v1
	v_pk_mov_b32 v[52:53], s[12:13], s[12:13] op_sel:[0,1]
	s_and_saveexec_b64 s[24:25], s[0:1]
	s_cbranch_execz .LBB232_480
; %bb.479:                              ;   in Loop: Header=BB232_339 Depth=1
	v_and_b32_sdwa v24, v0, v89 dst_sel:DWORD dst_unused:UNUSED_PAD src0_sel:BYTE_1 src1_sel:DWORD
	v_ffbh_u32_e32 v52, v24
	v_min_u32_e32 v54, 32, v52
	v_subrev_u32_e32 v52, 28, v54
	v_lshlrev_b64 v[52:53], v52, v[24:25]
	v_lshrrev_b32_e32 v23, 3, v1
	v_sub_u32_e32 v53, 29, v54
	v_cmp_gt_u32_e64 s[0:1], 8, v1
	v_and_b32_e32 v52, 7, v52
	v_cndmask_b32_e64 v1, v23, v53, s[0:1]
	v_cndmask_b32_e64 v23, v24, v52, s[0:1]
	v_lshlrev_b32_e32 v24, 16, v0
	v_lshl_add_u32 v1, v1, 23, v88
	v_and_or_b32 v1, v24, s7, v1
	v_lshlrev_b32_e32 v23, 20, v23
	v_or_b32_e32 v23, v1, v23
	v_pk_mov_b32 v[52:53], v[22:23], v[22:23] op_sel:[0,1]
.LBB232_480:                            ;   in Loop: Header=BB232_339 Depth=1
	s_or_b64 exec, exec, s[24:25]
.LBB232_481:                            ;   in Loop: Header=BB232_339 Depth=1
	s_or_b64 exec, exec, s[22:23]
.LBB232_482:                            ;   in Loop: Header=BB232_339 Depth=1
	s_or_b64 exec, exec, s[20:21]
	v_lshrrev_b32_e32 v24, 16, v0
	v_pk_mov_b32 v[56:57], 0, 0
	v_cmp_ne_u16_sdwa s[0:1], v24, v22 src0_sel:BYTE_0 src1_sel:DWORD
	v_pk_mov_b32 v[54:55], v[56:57], v[56:57] op_sel:[0,1]
	s_and_saveexec_b64 s[20:21], s[0:1]
	s_cbranch_execz .LBB232_488
; %bb.483:                              ;   in Loop: Header=BB232_339 Depth=1
	v_bfrev_b32_e32 v54, 1
	v_cmp_ne_u16_sdwa s[0:1], v24, s34 src0_sel:BYTE_0 src1_sel:DWORD
	v_mov_b32_e32 v55, 0
	s_and_saveexec_b64 s[22:23], s[0:1]
	s_cbranch_execz .LBB232_487
; %bb.484:                              ;   in Loop: Header=BB232_339 Depth=1
	v_bfe_u32 v1, v0, 16, 7
	v_mov_b32_e32 v54, 0x7f800001
	v_cmp_ne_u32_e64 s[0:1], s36, v1
	v_mov_b32_e32 v55, 0
	s_and_saveexec_b64 s[24:25], s[0:1]
	s_cbranch_execz .LBB232_486
; %bb.485:                              ;   in Loop: Header=BB232_339 Depth=1
	v_and_b32_e32 v23, 7, v24
	v_ffbh_u32_e32 v54, v23
	v_min_u32_e32 v59, 32, v54
	v_subrev_u32_e32 v54, 28, v59
	v_lshlrev_b64 v[54:55], v54, v[24:25]
	v_lshrrev_b32_e32 v58, 3, v1
	v_sub_u32_e32 v55, 29, v59
	v_and_b32_e32 v54, 7, v54
	v_cmp_gt_u32_e64 s[0:1], 8, v1
	v_cndmask_b32_e64 v1, v58, v55, s[0:1]
	v_cndmask_b32_e64 v23, v23, v54, s[0:1]
	v_lshlrev_b32_e32 v23, 20, v23
	v_and_b32_sdwa v24, sext(v24), s7 dst_sel:DWORD dst_unused:UNUSED_PAD src0_sel:BYTE_0 src1_sel:DWORD
	v_lshl_add_u32 v1, v1, 23, v88
	v_or3_b32 v24, v24, v1, v23
	v_pk_mov_b32 v[54:55], v[24:25], v[24:25] op_sel:[0,1]
.LBB232_486:                            ;   in Loop: Header=BB232_339 Depth=1
	s_or_b64 exec, exec, s[24:25]
.LBB232_487:                            ;   in Loop: Header=BB232_339 Depth=1
	s_or_b64 exec, exec, s[22:23]
.LBB232_488:                            ;   in Loop: Header=BB232_339 Depth=1
	s_or_b64 exec, exec, s[20:21]
	v_cmp_lt_u32_e64 s[0:1], s37, v0
	s_and_saveexec_b64 s[20:21], s[0:1]
	s_cbranch_execz .LBB232_494
; %bb.489:                              ;   in Loop: Header=BB232_339 Depth=1
	v_cmp_ne_u32_sdwa s[0:1], v0, s34 src0_sel:BYTE_3 src1_sel:DWORD
	v_pk_mov_b32 v[56:57], s[6:7], s[6:7] op_sel:[0,1]
	s_and_saveexec_b64 s[22:23], s[0:1]
	s_cbranch_execz .LBB232_493
; %bb.490:                              ;   in Loop: Header=BB232_339 Depth=1
	v_bfe_u32 v1, v0, 24, 7
	s_mov_b32 s12, s6
	v_cmp_ne_u32_e64 s[0:1], s36, v1
	v_pk_mov_b32 v[56:57], s[12:13], s[12:13] op_sel:[0,1]
	s_and_saveexec_b64 s[24:25], s[0:1]
	s_cbranch_execz .LBB232_492
; %bb.491:                              ;   in Loop: Header=BB232_339 Depth=1
	v_and_b32_sdwa v24, v0, v89 dst_sel:DWORD dst_unused:UNUSED_PAD src0_sel:BYTE_3 src1_sel:DWORD
	v_ffbh_u32_e32 v56, v24
	v_min_u32_e32 v58, 32, v56
	v_subrev_u32_e32 v56, 28, v58
	v_lshlrev_b64 v[56:57], v56, v[24:25]
	v_lshrrev_b32_e32 v23, 3, v1
	v_sub_u32_e32 v57, 29, v58
	v_cmp_gt_u32_e64 s[0:1], 8, v1
	v_and_b32_e32 v56, 7, v56
	v_cndmask_b32_e64 v1, v23, v57, s[0:1]
	v_cndmask_b32_e64 v23, v24, v56, s[0:1]
	v_lshlrev_b32_sdwa v0, v90, v0 dst_sel:DWORD dst_unused:UNUSED_PAD src0_sel:DWORD src1_sel:BYTE_3
	v_lshl_add_u32 v1, v1, 23, v88
	v_and_or_b32 v0, v0, s7, v1
	v_lshlrev_b32_e32 v1, 20, v23
	v_or_b32_e32 v23, v0, v1
	v_pk_mov_b32 v[56:57], v[22:23], v[22:23] op_sel:[0,1]
.LBB232_492:                            ;   in Loop: Header=BB232_339 Depth=1
	s_or_b64 exec, exec, s[24:25]
.LBB232_493:                            ;   in Loop: Header=BB232_339 Depth=1
	s_or_b64 exec, exec, s[22:23]
.LBB232_494:                            ;   in Loop: Header=BB232_339 Depth=1
	s_or_b64 exec, exec, s[20:21]
	v_or_b32_e32 v1, v53, v49
	v_or_b32_e32 v0, v52, v48
	v_pk_mul_f32 v[48:49], s[18:19], v[0:1]
	v_or_b32_e32 v1, v57, v55
	v_or_b32_e32 v0, v56, v54
	v_pk_mul_f32 v[52:53], s[18:19], v[0:1]
	s_and_saveexec_b64 s[20:21], vcc
; %bb.495:                              ;   in Loop: Header=BB232_339 Depth=1
	v_cmp_gt_i32_e64 s[0:1], s33, v91
	v_cndmask_b32_e64 v48, 0, v48, s[0:1]
	v_cmp_gt_i32_e64 s[0:1], s33, v94
	v_cndmask_b32_e64 v49, 0, v49, s[0:1]
	;; [unrolled: 2-line block ×4, first 2 shown]
; %bb.496:                              ;   in Loop: Header=BB232_339 Depth=1
	s_or_b64 exec, exec, s[20:21]
	global_load_dword v0, v[30:31], off offset:1536
	v_pk_mov_b32 v[56:57], 0, 0
	v_pk_mov_b32 v[54:55], v[56:57], v[56:57] op_sel:[0,1]
	s_waitcnt vmcnt(0)
	v_cmp_ne_u16_sdwa s[0:1], v0, v22 src0_sel:BYTE_0 src1_sel:DWORD
	s_and_saveexec_b64 s[20:21], s[0:1]
	s_cbranch_execz .LBB232_502
; %bb.497:                              ;   in Loop: Header=BB232_339 Depth=1
	v_bfrev_b32_e32 v54, 1
	v_cmp_ne_u16_sdwa s[0:1], v0, s34 src0_sel:BYTE_0 src1_sel:DWORD
	v_mov_b32_e32 v55, 0
	s_and_saveexec_b64 s[22:23], s[0:1]
	s_cbranch_execz .LBB232_501
; %bb.498:                              ;   in Loop: Header=BB232_339 Depth=1
	v_and_b32_e32 v1, 0x7f, v0
	v_mov_b32_e32 v54, 0x7f800001
	v_cmp_ne_u32_e64 s[0:1], s36, v1
	v_mov_b32_e32 v55, 0
	s_and_saveexec_b64 s[24:25], s[0:1]
	s_cbranch_execz .LBB232_500
; %bb.499:                              ;   in Loop: Header=BB232_339 Depth=1
	v_and_b32_e32 v23, 7, v0
	v_ffbh_u32_e32 v54, v23
	v_min_u32_e32 v58, 32, v54
	v_subrev_u32_e32 v54, 28, v58
	v_lshlrev_b64 v[54:55], v54, v[0:1]
	v_lshrrev_b32_e32 v24, 3, v1
	v_sub_u32_e32 v55, 29, v58
	v_and_b32_e32 v54, 7, v54
	v_cmp_gt_u32_e64 s[0:1], 8, v1
	v_cndmask_b32_e64 v1, v24, v55, s[0:1]
	v_cndmask_b32_e64 v23, v23, v54, s[0:1]
	v_lshlrev_b32_e32 v23, 20, v23
	v_and_b32_sdwa v24, sext(v0), s7 dst_sel:DWORD dst_unused:UNUSED_PAD src0_sel:BYTE_0 src1_sel:DWORD
	v_lshl_add_u32 v1, v1, 23, v88
	v_or3_b32 v24, v24, v1, v23
	v_pk_mov_b32 v[54:55], v[24:25], v[24:25] op_sel:[0,1]
.LBB232_500:                            ;   in Loop: Header=BB232_339 Depth=1
	s_or_b64 exec, exec, s[24:25]
.LBB232_501:                            ;   in Loop: Header=BB232_339 Depth=1
	s_or_b64 exec, exec, s[22:23]
.LBB232_502:                            ;   in Loop: Header=BB232_339 Depth=1
	s_or_b64 exec, exec, s[20:21]
	v_cmp_ne_u16_sdwa s[0:1], v0, v22 src0_sel:BYTE_1 src1_sel:DWORD
	s_and_saveexec_b64 s[20:21], s[0:1]
	s_cbranch_execz .LBB232_508
; %bb.503:                              ;   in Loop: Header=BB232_339 Depth=1
	v_cmp_ne_u16_sdwa s[0:1], v0, s34 src0_sel:BYTE_1 src1_sel:DWORD
	v_pk_mov_b32 v[56:57], s[6:7], s[6:7] op_sel:[0,1]
	s_and_saveexec_b64 s[22:23], s[0:1]
	s_cbranch_execz .LBB232_507
; %bb.504:                              ;   in Loop: Header=BB232_339 Depth=1
	v_and_b32_sdwa v1, v0, s36 dst_sel:DWORD dst_unused:UNUSED_PAD src0_sel:BYTE_1 src1_sel:DWORD
	s_mov_b32 s12, s6
	v_cmp_ne_u32_e64 s[0:1], s36, v1
	v_pk_mov_b32 v[56:57], s[12:13], s[12:13] op_sel:[0,1]
	s_and_saveexec_b64 s[24:25], s[0:1]
	s_cbranch_execz .LBB232_506
; %bb.505:                              ;   in Loop: Header=BB232_339 Depth=1
	v_and_b32_sdwa v24, v0, v89 dst_sel:DWORD dst_unused:UNUSED_PAD src0_sel:BYTE_1 src1_sel:DWORD
	v_ffbh_u32_e32 v56, v24
	v_min_u32_e32 v58, 32, v56
	v_subrev_u32_e32 v56, 28, v58
	v_lshlrev_b64 v[56:57], v56, v[24:25]
	v_lshrrev_b32_e32 v23, 3, v1
	v_sub_u32_e32 v57, 29, v58
	v_cmp_gt_u32_e64 s[0:1], 8, v1
	v_and_b32_e32 v56, 7, v56
	v_cndmask_b32_e64 v1, v23, v57, s[0:1]
	v_cndmask_b32_e64 v23, v24, v56, s[0:1]
	v_lshlrev_b32_e32 v24, 16, v0
	v_lshl_add_u32 v1, v1, 23, v88
	v_and_or_b32 v1, v24, s7, v1
	v_lshlrev_b32_e32 v23, 20, v23
	v_or_b32_e32 v23, v1, v23
	v_pk_mov_b32 v[56:57], v[22:23], v[22:23] op_sel:[0,1]
.LBB232_506:                            ;   in Loop: Header=BB232_339 Depth=1
	s_or_b64 exec, exec, s[24:25]
.LBB232_507:                            ;   in Loop: Header=BB232_339 Depth=1
	s_or_b64 exec, exec, s[22:23]
.LBB232_508:                            ;   in Loop: Header=BB232_339 Depth=1
	s_or_b64 exec, exec, s[20:21]
	v_lshrrev_b32_e32 v24, 16, v0
	v_pk_mov_b32 v[60:61], 0, 0
	v_cmp_ne_u16_sdwa s[0:1], v24, v22 src0_sel:BYTE_0 src1_sel:DWORD
	v_pk_mov_b32 v[58:59], v[60:61], v[60:61] op_sel:[0,1]
	s_and_saveexec_b64 s[20:21], s[0:1]
	s_cbranch_execz .LBB232_514
; %bb.509:                              ;   in Loop: Header=BB232_339 Depth=1
	v_bfrev_b32_e32 v58, 1
	v_cmp_ne_u16_sdwa s[0:1], v24, s34 src0_sel:BYTE_0 src1_sel:DWORD
	v_mov_b32_e32 v59, 0
	s_and_saveexec_b64 s[22:23], s[0:1]
	s_cbranch_execz .LBB232_513
; %bb.510:                              ;   in Loop: Header=BB232_339 Depth=1
	v_bfe_u32 v1, v0, 16, 7
	v_mov_b32_e32 v58, 0x7f800001
	v_cmp_ne_u32_e64 s[0:1], s36, v1
	v_mov_b32_e32 v59, 0
	s_and_saveexec_b64 s[24:25], s[0:1]
	s_cbranch_execz .LBB232_512
; %bb.511:                              ;   in Loop: Header=BB232_339 Depth=1
	v_and_b32_e32 v23, 7, v24
	v_ffbh_u32_e32 v58, v23
	v_min_u32_e32 v63, 32, v58
	v_subrev_u32_e32 v58, 28, v63
	v_lshlrev_b64 v[58:59], v58, v[24:25]
	v_lshrrev_b32_e32 v62, 3, v1
	v_sub_u32_e32 v59, 29, v63
	v_and_b32_e32 v58, 7, v58
	v_cmp_gt_u32_e64 s[0:1], 8, v1
	v_cndmask_b32_e64 v1, v62, v59, s[0:1]
	v_cndmask_b32_e64 v23, v23, v58, s[0:1]
	v_lshlrev_b32_e32 v23, 20, v23
	v_and_b32_sdwa v24, sext(v24), s7 dst_sel:DWORD dst_unused:UNUSED_PAD src0_sel:BYTE_0 src1_sel:DWORD
	v_lshl_add_u32 v1, v1, 23, v88
	v_or3_b32 v24, v24, v1, v23
	v_pk_mov_b32 v[58:59], v[24:25], v[24:25] op_sel:[0,1]
.LBB232_512:                            ;   in Loop: Header=BB232_339 Depth=1
	s_or_b64 exec, exec, s[24:25]
.LBB232_513:                            ;   in Loop: Header=BB232_339 Depth=1
	s_or_b64 exec, exec, s[22:23]
.LBB232_514:                            ;   in Loop: Header=BB232_339 Depth=1
	s_or_b64 exec, exec, s[20:21]
	v_cmp_lt_u32_e64 s[0:1], s37, v0
	s_and_saveexec_b64 s[20:21], s[0:1]
	s_cbranch_execz .LBB232_520
; %bb.515:                              ;   in Loop: Header=BB232_339 Depth=1
	v_cmp_ne_u32_sdwa s[0:1], v0, s34 src0_sel:BYTE_3 src1_sel:DWORD
	v_pk_mov_b32 v[60:61], s[6:7], s[6:7] op_sel:[0,1]
	s_and_saveexec_b64 s[22:23], s[0:1]
	s_cbranch_execz .LBB232_519
; %bb.516:                              ;   in Loop: Header=BB232_339 Depth=1
	v_bfe_u32 v1, v0, 24, 7
	s_mov_b32 s12, s6
	v_cmp_ne_u32_e64 s[0:1], s36, v1
	v_pk_mov_b32 v[60:61], s[12:13], s[12:13] op_sel:[0,1]
	s_and_saveexec_b64 s[24:25], s[0:1]
	s_cbranch_execz .LBB232_518
; %bb.517:                              ;   in Loop: Header=BB232_339 Depth=1
	v_and_b32_sdwa v24, v0, v89 dst_sel:DWORD dst_unused:UNUSED_PAD src0_sel:BYTE_3 src1_sel:DWORD
	v_ffbh_u32_e32 v60, v24
	v_min_u32_e32 v62, 32, v60
	v_subrev_u32_e32 v60, 28, v62
	v_lshlrev_b64 v[60:61], v60, v[24:25]
	v_lshrrev_b32_e32 v23, 3, v1
	v_sub_u32_e32 v61, 29, v62
	v_cmp_gt_u32_e64 s[0:1], 8, v1
	v_and_b32_e32 v60, 7, v60
	v_cndmask_b32_e64 v1, v23, v61, s[0:1]
	v_cndmask_b32_e64 v23, v24, v60, s[0:1]
	v_lshlrev_b32_sdwa v0, v90, v0 dst_sel:DWORD dst_unused:UNUSED_PAD src0_sel:DWORD src1_sel:BYTE_3
	v_lshl_add_u32 v1, v1, 23, v88
	v_and_or_b32 v0, v0, s7, v1
	v_lshlrev_b32_e32 v1, 20, v23
	v_or_b32_e32 v23, v0, v1
	v_pk_mov_b32 v[60:61], v[22:23], v[22:23] op_sel:[0,1]
.LBB232_518:                            ;   in Loop: Header=BB232_339 Depth=1
	s_or_b64 exec, exec, s[24:25]
.LBB232_519:                            ;   in Loop: Header=BB232_339 Depth=1
	s_or_b64 exec, exec, s[22:23]
.LBB232_520:                            ;   in Loop: Header=BB232_339 Depth=1
	s_or_b64 exec, exec, s[20:21]
	v_or_b32_e32 v1, v57, v55
	v_or_b32_e32 v0, v56, v54
	v_pk_mul_f32 v[54:55], s[18:19], v[0:1]
	v_or_b32_e32 v1, v61, v59
	v_or_b32_e32 v0, v60, v58
	v_pk_mul_f32 v[56:57], s[18:19], v[0:1]
	s_and_saveexec_b64 s[20:21], vcc
; %bb.521:                              ;   in Loop: Header=BB232_339 Depth=1
	v_cmp_gt_i32_e64 s[0:1], s33, v91
	v_cndmask_b32_e64 v54, 0, v54, s[0:1]
	v_cmp_gt_i32_e64 s[0:1], s33, v94
	v_cndmask_b32_e64 v55, 0, v55, s[0:1]
	v_cmp_gt_i32_e64 s[0:1], s33, v93
	v_cndmask_b32_e64 v56, 0, v56, s[0:1]
	v_cmp_gt_i32_e64 s[0:1], s33, v92
	v_cndmask_b32_e64 v57, 0, v57, s[0:1]
; %bb.522:                              ;   in Loop: Header=BB232_339 Depth=1
	s_or_b64 exec, exec, s[20:21]
	global_load_dword v0, v[30:31], off offset:1792
	v_pk_mov_b32 v[60:61], 0, 0
	v_pk_mov_b32 v[58:59], v[60:61], v[60:61] op_sel:[0,1]
	s_waitcnt vmcnt(0)
	v_cmp_ne_u16_sdwa s[0:1], v0, v22 src0_sel:BYTE_0 src1_sel:DWORD
	s_and_saveexec_b64 s[20:21], s[0:1]
	s_cbranch_execz .LBB232_528
; %bb.523:                              ;   in Loop: Header=BB232_339 Depth=1
	v_bfrev_b32_e32 v58, 1
	v_cmp_ne_u16_sdwa s[0:1], v0, s34 src0_sel:BYTE_0 src1_sel:DWORD
	v_mov_b32_e32 v59, 0
	s_and_saveexec_b64 s[22:23], s[0:1]
	s_cbranch_execz .LBB232_527
; %bb.524:                              ;   in Loop: Header=BB232_339 Depth=1
	v_and_b32_e32 v1, 0x7f, v0
	v_mov_b32_e32 v58, 0x7f800001
	v_cmp_ne_u32_e64 s[0:1], s36, v1
	v_mov_b32_e32 v59, 0
	s_and_saveexec_b64 s[24:25], s[0:1]
	s_cbranch_execz .LBB232_526
; %bb.525:                              ;   in Loop: Header=BB232_339 Depth=1
	v_and_b32_e32 v23, 7, v0
	v_ffbh_u32_e32 v58, v23
	v_min_u32_e32 v62, 32, v58
	v_subrev_u32_e32 v58, 28, v62
	v_lshlrev_b64 v[58:59], v58, v[0:1]
	v_lshrrev_b32_e32 v24, 3, v1
	v_sub_u32_e32 v59, 29, v62
	v_and_b32_e32 v58, 7, v58
	v_cmp_gt_u32_e64 s[0:1], 8, v1
	v_cndmask_b32_e64 v1, v24, v59, s[0:1]
	v_cndmask_b32_e64 v23, v23, v58, s[0:1]
	v_lshlrev_b32_e32 v23, 20, v23
	v_and_b32_sdwa v24, sext(v0), s7 dst_sel:DWORD dst_unused:UNUSED_PAD src0_sel:BYTE_0 src1_sel:DWORD
	v_lshl_add_u32 v1, v1, 23, v88
	v_or3_b32 v24, v24, v1, v23
	v_pk_mov_b32 v[58:59], v[24:25], v[24:25] op_sel:[0,1]
.LBB232_526:                            ;   in Loop: Header=BB232_339 Depth=1
	s_or_b64 exec, exec, s[24:25]
.LBB232_527:                            ;   in Loop: Header=BB232_339 Depth=1
	s_or_b64 exec, exec, s[22:23]
.LBB232_528:                            ;   in Loop: Header=BB232_339 Depth=1
	s_or_b64 exec, exec, s[20:21]
	v_cmp_ne_u16_sdwa s[0:1], v0, v22 src0_sel:BYTE_1 src1_sel:DWORD
	s_and_saveexec_b64 s[20:21], s[0:1]
	s_cbranch_execz .LBB232_534
; %bb.529:                              ;   in Loop: Header=BB232_339 Depth=1
	v_cmp_ne_u16_sdwa s[0:1], v0, s34 src0_sel:BYTE_1 src1_sel:DWORD
	v_pk_mov_b32 v[60:61], s[6:7], s[6:7] op_sel:[0,1]
	s_and_saveexec_b64 s[22:23], s[0:1]
	s_cbranch_execz .LBB232_533
; %bb.530:                              ;   in Loop: Header=BB232_339 Depth=1
	v_and_b32_sdwa v1, v0, s36 dst_sel:DWORD dst_unused:UNUSED_PAD src0_sel:BYTE_1 src1_sel:DWORD
	s_mov_b32 s12, s6
	v_cmp_ne_u32_e64 s[0:1], s36, v1
	v_pk_mov_b32 v[60:61], s[12:13], s[12:13] op_sel:[0,1]
	s_and_saveexec_b64 s[24:25], s[0:1]
	s_cbranch_execz .LBB232_532
; %bb.531:                              ;   in Loop: Header=BB232_339 Depth=1
	v_and_b32_sdwa v24, v0, v89 dst_sel:DWORD dst_unused:UNUSED_PAD src0_sel:BYTE_1 src1_sel:DWORD
	v_ffbh_u32_e32 v60, v24
	v_min_u32_e32 v62, 32, v60
	v_subrev_u32_e32 v60, 28, v62
	v_lshlrev_b64 v[60:61], v60, v[24:25]
	v_lshrrev_b32_e32 v23, 3, v1
	v_sub_u32_e32 v61, 29, v62
	v_cmp_gt_u32_e64 s[0:1], 8, v1
	v_and_b32_e32 v60, 7, v60
	v_cndmask_b32_e64 v1, v23, v61, s[0:1]
	v_cndmask_b32_e64 v23, v24, v60, s[0:1]
	v_lshlrev_b32_e32 v24, 16, v0
	v_lshl_add_u32 v1, v1, 23, v88
	v_and_or_b32 v1, v24, s7, v1
	v_lshlrev_b32_e32 v23, 20, v23
	v_or_b32_e32 v23, v1, v23
	v_pk_mov_b32 v[60:61], v[22:23], v[22:23] op_sel:[0,1]
.LBB232_532:                            ;   in Loop: Header=BB232_339 Depth=1
	s_or_b64 exec, exec, s[24:25]
.LBB232_533:                            ;   in Loop: Header=BB232_339 Depth=1
	s_or_b64 exec, exec, s[22:23]
.LBB232_534:                            ;   in Loop: Header=BB232_339 Depth=1
	s_or_b64 exec, exec, s[20:21]
	v_lshrrev_b32_e32 v24, 16, v0
	v_pk_mov_b32 v[64:65], 0, 0
	v_cmp_ne_u16_sdwa s[0:1], v24, v22 src0_sel:BYTE_0 src1_sel:DWORD
	v_pk_mov_b32 v[62:63], v[64:65], v[64:65] op_sel:[0,1]
	s_and_saveexec_b64 s[20:21], s[0:1]
	s_cbranch_execz .LBB232_540
; %bb.535:                              ;   in Loop: Header=BB232_339 Depth=1
	v_bfrev_b32_e32 v62, 1
	v_cmp_ne_u16_sdwa s[0:1], v24, s34 src0_sel:BYTE_0 src1_sel:DWORD
	v_mov_b32_e32 v63, 0
	s_and_saveexec_b64 s[22:23], s[0:1]
	s_cbranch_execz .LBB232_539
; %bb.536:                              ;   in Loop: Header=BB232_339 Depth=1
	v_bfe_u32 v1, v0, 16, 7
	v_mov_b32_e32 v62, 0x7f800001
	v_cmp_ne_u32_e64 s[0:1], s36, v1
	v_mov_b32_e32 v63, 0
	s_and_saveexec_b64 s[24:25], s[0:1]
	s_cbranch_execz .LBB232_538
; %bb.537:                              ;   in Loop: Header=BB232_339 Depth=1
	v_and_b32_e32 v23, 7, v24
	v_ffbh_u32_e32 v62, v23
	v_min_u32_e32 v67, 32, v62
	v_subrev_u32_e32 v62, 28, v67
	v_lshlrev_b64 v[62:63], v62, v[24:25]
	v_lshrrev_b32_e32 v66, 3, v1
	v_sub_u32_e32 v63, 29, v67
	v_and_b32_e32 v62, 7, v62
	v_cmp_gt_u32_e64 s[0:1], 8, v1
	v_cndmask_b32_e64 v1, v66, v63, s[0:1]
	v_cndmask_b32_e64 v23, v23, v62, s[0:1]
	v_lshlrev_b32_e32 v23, 20, v23
	v_and_b32_sdwa v24, sext(v24), s7 dst_sel:DWORD dst_unused:UNUSED_PAD src0_sel:BYTE_0 src1_sel:DWORD
	v_lshl_add_u32 v1, v1, 23, v88
	v_or3_b32 v24, v24, v1, v23
	v_pk_mov_b32 v[62:63], v[24:25], v[24:25] op_sel:[0,1]
.LBB232_538:                            ;   in Loop: Header=BB232_339 Depth=1
	s_or_b64 exec, exec, s[24:25]
.LBB232_539:                            ;   in Loop: Header=BB232_339 Depth=1
	s_or_b64 exec, exec, s[22:23]
.LBB232_540:                            ;   in Loop: Header=BB232_339 Depth=1
	s_or_b64 exec, exec, s[20:21]
	v_cmp_lt_u32_e64 s[0:1], s37, v0
	s_and_saveexec_b64 s[20:21], s[0:1]
	s_cbranch_execz .LBB232_546
; %bb.541:                              ;   in Loop: Header=BB232_339 Depth=1
	v_cmp_ne_u32_sdwa s[0:1], v0, s34 src0_sel:BYTE_3 src1_sel:DWORD
	v_pk_mov_b32 v[64:65], s[6:7], s[6:7] op_sel:[0,1]
	s_and_saveexec_b64 s[22:23], s[0:1]
	s_cbranch_execz .LBB232_545
; %bb.542:                              ;   in Loop: Header=BB232_339 Depth=1
	v_bfe_u32 v1, v0, 24, 7
	s_mov_b32 s12, s6
	v_cmp_ne_u32_e64 s[0:1], s36, v1
	v_pk_mov_b32 v[64:65], s[12:13], s[12:13] op_sel:[0,1]
	s_and_saveexec_b64 s[24:25], s[0:1]
	s_cbranch_execz .LBB232_544
; %bb.543:                              ;   in Loop: Header=BB232_339 Depth=1
	v_and_b32_sdwa v24, v0, v89 dst_sel:DWORD dst_unused:UNUSED_PAD src0_sel:BYTE_3 src1_sel:DWORD
	v_ffbh_u32_e32 v64, v24
	v_min_u32_e32 v66, 32, v64
	v_subrev_u32_e32 v64, 28, v66
	v_lshlrev_b64 v[64:65], v64, v[24:25]
	v_lshrrev_b32_e32 v23, 3, v1
	v_sub_u32_e32 v65, 29, v66
	v_cmp_gt_u32_e64 s[0:1], 8, v1
	v_and_b32_e32 v64, 7, v64
	v_cndmask_b32_e64 v1, v23, v65, s[0:1]
	v_cndmask_b32_e64 v23, v24, v64, s[0:1]
	v_lshlrev_b32_sdwa v0, v90, v0 dst_sel:DWORD dst_unused:UNUSED_PAD src0_sel:DWORD src1_sel:BYTE_3
	v_lshl_add_u32 v1, v1, 23, v88
	v_and_or_b32 v0, v0, s7, v1
	v_lshlrev_b32_e32 v1, 20, v23
	v_or_b32_e32 v23, v0, v1
	v_pk_mov_b32 v[64:65], v[22:23], v[22:23] op_sel:[0,1]
.LBB232_544:                            ;   in Loop: Header=BB232_339 Depth=1
	s_or_b64 exec, exec, s[24:25]
.LBB232_545:                            ;   in Loop: Header=BB232_339 Depth=1
	s_or_b64 exec, exec, s[22:23]
.LBB232_546:                            ;   in Loop: Header=BB232_339 Depth=1
	s_or_b64 exec, exec, s[20:21]
	v_or_b32_e32 v1, v61, v59
	v_or_b32_e32 v0, v60, v58
	v_pk_mul_f32 v[58:59], s[18:19], v[0:1]
	v_or_b32_e32 v1, v65, v63
	v_or_b32_e32 v0, v64, v62
	v_pk_mul_f32 v[60:61], s[18:19], v[0:1]
	s_and_saveexec_b64 s[20:21], vcc
; %bb.547:                              ;   in Loop: Header=BB232_339 Depth=1
	v_cmp_gt_i32_e64 s[0:1], s33, v91
	v_cndmask_b32_e64 v58, 0, v58, s[0:1]
	v_cmp_gt_i32_e64 s[0:1], s33, v94
	v_cndmask_b32_e64 v59, 0, v59, s[0:1]
	;; [unrolled: 2-line block ×4, first 2 shown]
; %bb.548:                              ;   in Loop: Header=BB232_339 Depth=1
	s_or_b64 exec, exec, s[20:21]
	global_load_dword v0, v[30:31], off offset:2048
	v_pk_mov_b32 v[64:65], 0, 0
	v_pk_mov_b32 v[62:63], v[64:65], v[64:65] op_sel:[0,1]
	s_waitcnt vmcnt(0)
	v_cmp_ne_u16_sdwa s[0:1], v0, v22 src0_sel:BYTE_0 src1_sel:DWORD
	s_and_saveexec_b64 s[20:21], s[0:1]
	s_cbranch_execz .LBB232_554
; %bb.549:                              ;   in Loop: Header=BB232_339 Depth=1
	v_bfrev_b32_e32 v62, 1
	v_cmp_ne_u16_sdwa s[0:1], v0, s34 src0_sel:BYTE_0 src1_sel:DWORD
	v_mov_b32_e32 v63, 0
	s_and_saveexec_b64 s[22:23], s[0:1]
	s_cbranch_execz .LBB232_553
; %bb.550:                              ;   in Loop: Header=BB232_339 Depth=1
	v_and_b32_e32 v1, 0x7f, v0
	v_mov_b32_e32 v62, 0x7f800001
	v_cmp_ne_u32_e64 s[0:1], s36, v1
	v_mov_b32_e32 v63, 0
	s_and_saveexec_b64 s[24:25], s[0:1]
	s_cbranch_execz .LBB232_552
; %bb.551:                              ;   in Loop: Header=BB232_339 Depth=1
	v_and_b32_e32 v23, 7, v0
	v_ffbh_u32_e32 v62, v23
	v_min_u32_e32 v66, 32, v62
	v_subrev_u32_e32 v62, 28, v66
	v_lshlrev_b64 v[62:63], v62, v[0:1]
	v_lshrrev_b32_e32 v24, 3, v1
	v_sub_u32_e32 v63, 29, v66
	v_and_b32_e32 v62, 7, v62
	v_cmp_gt_u32_e64 s[0:1], 8, v1
	v_cndmask_b32_e64 v1, v24, v63, s[0:1]
	v_cndmask_b32_e64 v23, v23, v62, s[0:1]
	v_lshlrev_b32_e32 v23, 20, v23
	v_and_b32_sdwa v24, sext(v0), s7 dst_sel:DWORD dst_unused:UNUSED_PAD src0_sel:BYTE_0 src1_sel:DWORD
	v_lshl_add_u32 v1, v1, 23, v88
	v_or3_b32 v24, v24, v1, v23
	v_pk_mov_b32 v[62:63], v[24:25], v[24:25] op_sel:[0,1]
.LBB232_552:                            ;   in Loop: Header=BB232_339 Depth=1
	s_or_b64 exec, exec, s[24:25]
.LBB232_553:                            ;   in Loop: Header=BB232_339 Depth=1
	s_or_b64 exec, exec, s[22:23]
.LBB232_554:                            ;   in Loop: Header=BB232_339 Depth=1
	s_or_b64 exec, exec, s[20:21]
	v_cmp_ne_u16_sdwa s[0:1], v0, v22 src0_sel:BYTE_1 src1_sel:DWORD
	s_and_saveexec_b64 s[20:21], s[0:1]
	s_cbranch_execz .LBB232_560
; %bb.555:                              ;   in Loop: Header=BB232_339 Depth=1
	v_cmp_ne_u16_sdwa s[0:1], v0, s34 src0_sel:BYTE_1 src1_sel:DWORD
	v_pk_mov_b32 v[64:65], s[6:7], s[6:7] op_sel:[0,1]
	s_and_saveexec_b64 s[22:23], s[0:1]
	s_cbranch_execz .LBB232_559
; %bb.556:                              ;   in Loop: Header=BB232_339 Depth=1
	v_and_b32_sdwa v1, v0, s36 dst_sel:DWORD dst_unused:UNUSED_PAD src0_sel:BYTE_1 src1_sel:DWORD
	s_mov_b32 s12, s6
	v_cmp_ne_u32_e64 s[0:1], s36, v1
	v_pk_mov_b32 v[64:65], s[12:13], s[12:13] op_sel:[0,1]
	s_and_saveexec_b64 s[24:25], s[0:1]
	s_cbranch_execz .LBB232_558
; %bb.557:                              ;   in Loop: Header=BB232_339 Depth=1
	v_and_b32_sdwa v24, v0, v89 dst_sel:DWORD dst_unused:UNUSED_PAD src0_sel:BYTE_1 src1_sel:DWORD
	v_ffbh_u32_e32 v64, v24
	v_min_u32_e32 v66, 32, v64
	v_subrev_u32_e32 v64, 28, v66
	v_lshlrev_b64 v[64:65], v64, v[24:25]
	v_lshrrev_b32_e32 v23, 3, v1
	v_sub_u32_e32 v65, 29, v66
	v_cmp_gt_u32_e64 s[0:1], 8, v1
	v_and_b32_e32 v64, 7, v64
	v_cndmask_b32_e64 v1, v23, v65, s[0:1]
	v_cndmask_b32_e64 v23, v24, v64, s[0:1]
	v_lshlrev_b32_e32 v24, 16, v0
	v_lshl_add_u32 v1, v1, 23, v88
	v_and_or_b32 v1, v24, s7, v1
	v_lshlrev_b32_e32 v23, 20, v23
	v_or_b32_e32 v23, v1, v23
	v_pk_mov_b32 v[64:65], v[22:23], v[22:23] op_sel:[0,1]
.LBB232_558:                            ;   in Loop: Header=BB232_339 Depth=1
	s_or_b64 exec, exec, s[24:25]
.LBB232_559:                            ;   in Loop: Header=BB232_339 Depth=1
	s_or_b64 exec, exec, s[22:23]
.LBB232_560:                            ;   in Loop: Header=BB232_339 Depth=1
	s_or_b64 exec, exec, s[20:21]
	v_lshrrev_b32_e32 v24, 16, v0
	v_pk_mov_b32 v[68:69], 0, 0
	v_cmp_ne_u16_sdwa s[0:1], v24, v22 src0_sel:BYTE_0 src1_sel:DWORD
	v_pk_mov_b32 v[66:67], v[68:69], v[68:69] op_sel:[0,1]
	s_and_saveexec_b64 s[20:21], s[0:1]
	s_cbranch_execz .LBB232_566
; %bb.561:                              ;   in Loop: Header=BB232_339 Depth=1
	v_bfrev_b32_e32 v66, 1
	v_cmp_ne_u16_sdwa s[0:1], v24, s34 src0_sel:BYTE_0 src1_sel:DWORD
	v_mov_b32_e32 v67, 0
	s_and_saveexec_b64 s[22:23], s[0:1]
	s_cbranch_execz .LBB232_565
; %bb.562:                              ;   in Loop: Header=BB232_339 Depth=1
	v_bfe_u32 v1, v0, 16, 7
	v_mov_b32_e32 v66, 0x7f800001
	v_cmp_ne_u32_e64 s[0:1], s36, v1
	v_mov_b32_e32 v67, 0
	s_and_saveexec_b64 s[24:25], s[0:1]
	s_cbranch_execz .LBB232_564
; %bb.563:                              ;   in Loop: Header=BB232_339 Depth=1
	v_and_b32_e32 v23, 7, v24
	v_ffbh_u32_e32 v66, v23
	v_min_u32_e32 v71, 32, v66
	v_subrev_u32_e32 v66, 28, v71
	v_lshlrev_b64 v[66:67], v66, v[24:25]
	v_lshrrev_b32_e32 v70, 3, v1
	v_sub_u32_e32 v67, 29, v71
	v_and_b32_e32 v66, 7, v66
	v_cmp_gt_u32_e64 s[0:1], 8, v1
	v_cndmask_b32_e64 v1, v70, v67, s[0:1]
	v_cndmask_b32_e64 v23, v23, v66, s[0:1]
	v_lshlrev_b32_e32 v23, 20, v23
	v_and_b32_sdwa v24, sext(v24), s7 dst_sel:DWORD dst_unused:UNUSED_PAD src0_sel:BYTE_0 src1_sel:DWORD
	v_lshl_add_u32 v1, v1, 23, v88
	v_or3_b32 v24, v24, v1, v23
	v_pk_mov_b32 v[66:67], v[24:25], v[24:25] op_sel:[0,1]
.LBB232_564:                            ;   in Loop: Header=BB232_339 Depth=1
	s_or_b64 exec, exec, s[24:25]
.LBB232_565:                            ;   in Loop: Header=BB232_339 Depth=1
	s_or_b64 exec, exec, s[22:23]
.LBB232_566:                            ;   in Loop: Header=BB232_339 Depth=1
	s_or_b64 exec, exec, s[20:21]
	v_cmp_lt_u32_e64 s[0:1], s37, v0
	s_and_saveexec_b64 s[20:21], s[0:1]
	s_cbranch_execz .LBB232_572
; %bb.567:                              ;   in Loop: Header=BB232_339 Depth=1
	v_cmp_ne_u32_sdwa s[0:1], v0, s34 src0_sel:BYTE_3 src1_sel:DWORD
	v_pk_mov_b32 v[68:69], s[6:7], s[6:7] op_sel:[0,1]
	s_and_saveexec_b64 s[22:23], s[0:1]
	s_cbranch_execz .LBB232_571
; %bb.568:                              ;   in Loop: Header=BB232_339 Depth=1
	v_bfe_u32 v1, v0, 24, 7
	s_mov_b32 s12, s6
	v_cmp_ne_u32_e64 s[0:1], s36, v1
	v_pk_mov_b32 v[68:69], s[12:13], s[12:13] op_sel:[0,1]
	s_and_saveexec_b64 s[24:25], s[0:1]
	s_cbranch_execz .LBB232_570
; %bb.569:                              ;   in Loop: Header=BB232_339 Depth=1
	v_and_b32_sdwa v24, v0, v89 dst_sel:DWORD dst_unused:UNUSED_PAD src0_sel:BYTE_3 src1_sel:DWORD
	v_ffbh_u32_e32 v68, v24
	v_min_u32_e32 v70, 32, v68
	v_subrev_u32_e32 v68, 28, v70
	v_lshlrev_b64 v[68:69], v68, v[24:25]
	v_lshrrev_b32_e32 v23, 3, v1
	v_sub_u32_e32 v69, 29, v70
	v_cmp_gt_u32_e64 s[0:1], 8, v1
	v_and_b32_e32 v68, 7, v68
	v_cndmask_b32_e64 v1, v23, v69, s[0:1]
	v_cndmask_b32_e64 v23, v24, v68, s[0:1]
	v_lshlrev_b32_sdwa v0, v90, v0 dst_sel:DWORD dst_unused:UNUSED_PAD src0_sel:DWORD src1_sel:BYTE_3
	v_lshl_add_u32 v1, v1, 23, v88
	v_and_or_b32 v0, v0, s7, v1
	v_lshlrev_b32_e32 v1, 20, v23
	v_or_b32_e32 v23, v0, v1
	v_pk_mov_b32 v[68:69], v[22:23], v[22:23] op_sel:[0,1]
.LBB232_570:                            ;   in Loop: Header=BB232_339 Depth=1
	s_or_b64 exec, exec, s[24:25]
.LBB232_571:                            ;   in Loop: Header=BB232_339 Depth=1
	s_or_b64 exec, exec, s[22:23]
.LBB232_572:                            ;   in Loop: Header=BB232_339 Depth=1
	s_or_b64 exec, exec, s[20:21]
	v_or_b32_e32 v1, v65, v63
	v_or_b32_e32 v0, v64, v62
	;; [unrolled: 1-line block ×4, first 2 shown]
	v_pk_mul_f32 v[0:1], s[18:19], v[0:1]
	v_pk_mul_f32 v[62:63], s[18:19], v[62:63]
	s_and_saveexec_b64 s[20:21], vcc
; %bb.573:                              ;   in Loop: Header=BB232_339 Depth=1
	v_cmp_gt_i32_e64 s[0:1], s33, v91
	v_cndmask_b32_e64 v0, 0, v0, s[0:1]
	v_cmp_gt_i32_e64 s[0:1], s33, v94
	v_cndmask_b32_e64 v1, 0, v1, s[0:1]
	;; [unrolled: 2-line block ×4, first 2 shown]
; %bb.574:                              ;   in Loop: Header=BB232_339 Depth=1
	s_or_b64 exec, exec, s[20:21]
	global_load_dword v64, v[30:31], off offset:2304
	v_pk_mov_b32 v[68:69], 0, 0
	v_pk_mov_b32 v[66:67], v[68:69], v[68:69] op_sel:[0,1]
	s_waitcnt vmcnt(0)
	v_cmp_ne_u16_sdwa s[0:1], v64, v22 src0_sel:BYTE_0 src1_sel:DWORD
	s_and_saveexec_b64 s[20:21], s[0:1]
	s_cbranch_execz .LBB232_580
; %bb.575:                              ;   in Loop: Header=BB232_339 Depth=1
	v_bfrev_b32_e32 v66, 1
	v_cmp_ne_u16_sdwa s[0:1], v64, s34 src0_sel:BYTE_0 src1_sel:DWORD
	v_mov_b32_e32 v67, 0
	s_and_saveexec_b64 s[22:23], s[0:1]
	s_cbranch_execz .LBB232_579
; %bb.576:                              ;   in Loop: Header=BB232_339 Depth=1
	v_and_b32_e32 v23, 0x7f, v64
	v_mov_b32_e32 v66, 0x7f800001
	v_cmp_ne_u32_e64 s[0:1], s36, v23
	v_mov_b32_e32 v67, 0
	s_and_saveexec_b64 s[24:25], s[0:1]
	s_cbranch_execz .LBB232_578
; %bb.577:                              ;   in Loop: Header=BB232_339 Depth=1
	v_and_b32_e32 v24, 7, v64
	v_ffbh_u32_e32 v66, v24
	v_min_u32_e32 v70, 32, v66
	v_lshrrev_b32_e32 v65, 3, v23
	v_subrev_u32_e32 v66, 28, v70
	v_lshlrev_b64 v[66:67], v66, v[64:65]
	v_sub_u32_e32 v67, 29, v70
	v_and_b32_e32 v66, 7, v66
	v_cmp_gt_u32_e64 s[0:1], 8, v23
	v_cndmask_b32_e64 v23, v65, v67, s[0:1]
	v_cndmask_b32_e64 v24, v24, v66, s[0:1]
	v_lshlrev_b32_e32 v24, 20, v24
	v_and_b32_sdwa v65, sext(v64), s7 dst_sel:DWORD dst_unused:UNUSED_PAD src0_sel:BYTE_0 src1_sel:DWORD
	v_lshl_add_u32 v23, v23, 23, v88
	v_or3_b32 v24, v65, v23, v24
	v_pk_mov_b32 v[66:67], v[24:25], v[24:25] op_sel:[0,1]
.LBB232_578:                            ;   in Loop: Header=BB232_339 Depth=1
	s_or_b64 exec, exec, s[24:25]
.LBB232_579:                            ;   in Loop: Header=BB232_339 Depth=1
	s_or_b64 exec, exec, s[22:23]
.LBB232_580:                            ;   in Loop: Header=BB232_339 Depth=1
	s_or_b64 exec, exec, s[20:21]
	v_cmp_ne_u16_sdwa s[0:1], v64, v22 src0_sel:BYTE_1 src1_sel:DWORD
	s_and_saveexec_b64 s[20:21], s[0:1]
	s_cbranch_execz .LBB232_586
; %bb.581:                              ;   in Loop: Header=BB232_339 Depth=1
	v_cmp_ne_u16_sdwa s[0:1], v64, s34 src0_sel:BYTE_1 src1_sel:DWORD
	v_pk_mov_b32 v[68:69], s[6:7], s[6:7] op_sel:[0,1]
	s_and_saveexec_b64 s[22:23], s[0:1]
	s_cbranch_execz .LBB232_585
; %bb.582:                              ;   in Loop: Header=BB232_339 Depth=1
	v_and_b32_sdwa v23, v64, s36 dst_sel:DWORD dst_unused:UNUSED_PAD src0_sel:BYTE_1 src1_sel:DWORD
	s_mov_b32 s12, s6
	v_cmp_ne_u32_e64 s[0:1], s36, v23
	v_pk_mov_b32 v[68:69], s[12:13], s[12:13] op_sel:[0,1]
	s_and_saveexec_b64 s[24:25], s[0:1]
	s_cbranch_execz .LBB232_584
; %bb.583:                              ;   in Loop: Header=BB232_339 Depth=1
	v_and_b32_sdwa v24, v64, v89 dst_sel:DWORD dst_unused:UNUSED_PAD src0_sel:BYTE_1 src1_sel:DWORD
	v_ffbh_u32_e32 v68, v24
	v_min_u32_e32 v70, 32, v68
	v_subrev_u32_e32 v68, 28, v70
	v_lshlrev_b64 v[68:69], v68, v[24:25]
	v_lshrrev_b32_e32 v65, 3, v23
	v_sub_u32_e32 v69, 29, v70
	v_cmp_gt_u32_e64 s[0:1], 8, v23
	v_and_b32_e32 v68, 7, v68
	v_cndmask_b32_e64 v23, v65, v69, s[0:1]
	v_cndmask_b32_e64 v24, v24, v68, s[0:1]
	v_lshlrev_b32_e32 v65, 16, v64
	v_lshl_add_u32 v23, v23, 23, v88
	v_and_or_b32 v23, v65, s7, v23
	v_lshlrev_b32_e32 v24, 20, v24
	v_or_b32_e32 v23, v23, v24
	v_pk_mov_b32 v[68:69], v[22:23], v[22:23] op_sel:[0,1]
.LBB232_584:                            ;   in Loop: Header=BB232_339 Depth=1
	s_or_b64 exec, exec, s[24:25]
.LBB232_585:                            ;   in Loop: Header=BB232_339 Depth=1
	s_or_b64 exec, exec, s[22:23]
.LBB232_586:                            ;   in Loop: Header=BB232_339 Depth=1
	s_or_b64 exec, exec, s[20:21]
	v_lshrrev_b32_e32 v24, 16, v64
	v_pk_mov_b32 v[72:73], 0, 0
	v_cmp_ne_u16_sdwa s[0:1], v24, v22 src0_sel:BYTE_0 src1_sel:DWORD
	v_pk_mov_b32 v[70:71], v[72:73], v[72:73] op_sel:[0,1]
	s_and_saveexec_b64 s[20:21], s[0:1]
	s_cbranch_execz .LBB232_592
; %bb.587:                              ;   in Loop: Header=BB232_339 Depth=1
	v_bfrev_b32_e32 v70, 1
	v_cmp_ne_u16_sdwa s[0:1], v24, s34 src0_sel:BYTE_0 src1_sel:DWORD
	v_mov_b32_e32 v71, 0
	s_and_saveexec_b64 s[22:23], s[0:1]
	s_cbranch_execz .LBB232_591
; %bb.588:                              ;   in Loop: Header=BB232_339 Depth=1
	v_bfe_u32 v23, v64, 16, 7
	v_mov_b32_e32 v70, 0x7f800001
	v_cmp_ne_u32_e64 s[0:1], s36, v23
	v_mov_b32_e32 v71, 0
	s_and_saveexec_b64 s[24:25], s[0:1]
	s_cbranch_execz .LBB232_590
; %bb.589:                              ;   in Loop: Header=BB232_339 Depth=1
	v_and_b32_e32 v65, 7, v24
	v_ffbh_u32_e32 v70, v65
	v_min_u32_e32 v75, 32, v70
	v_subrev_u32_e32 v70, 28, v75
	v_lshlrev_b64 v[70:71], v70, v[24:25]
	v_lshrrev_b32_e32 v74, 3, v23
	v_sub_u32_e32 v71, 29, v75
	v_and_b32_e32 v70, 7, v70
	v_cmp_gt_u32_e64 s[0:1], 8, v23
	v_cndmask_b32_e64 v23, v74, v71, s[0:1]
	v_cndmask_b32_e64 v65, v65, v70, s[0:1]
	v_lshlrev_b32_e32 v65, 20, v65
	v_and_b32_sdwa v24, sext(v24), s7 dst_sel:DWORD dst_unused:UNUSED_PAD src0_sel:BYTE_0 src1_sel:DWORD
	v_lshl_add_u32 v23, v23, 23, v88
	v_or3_b32 v24, v24, v23, v65
	v_pk_mov_b32 v[70:71], v[24:25], v[24:25] op_sel:[0,1]
.LBB232_590:                            ;   in Loop: Header=BB232_339 Depth=1
	s_or_b64 exec, exec, s[24:25]
.LBB232_591:                            ;   in Loop: Header=BB232_339 Depth=1
	s_or_b64 exec, exec, s[22:23]
.LBB232_592:                            ;   in Loop: Header=BB232_339 Depth=1
	s_or_b64 exec, exec, s[20:21]
	v_cmp_lt_u32_e64 s[0:1], s37, v64
	s_and_saveexec_b64 s[20:21], s[0:1]
	s_cbranch_execz .LBB232_598
; %bb.593:                              ;   in Loop: Header=BB232_339 Depth=1
	v_cmp_ne_u32_sdwa s[0:1], v64, s34 src0_sel:BYTE_3 src1_sel:DWORD
	v_pk_mov_b32 v[72:73], s[6:7], s[6:7] op_sel:[0,1]
	s_and_saveexec_b64 s[22:23], s[0:1]
	s_cbranch_execz .LBB232_597
; %bb.594:                              ;   in Loop: Header=BB232_339 Depth=1
	v_bfe_u32 v23, v64, 24, 7
	s_mov_b32 s12, s6
	v_cmp_ne_u32_e64 s[0:1], s36, v23
	v_pk_mov_b32 v[72:73], s[12:13], s[12:13] op_sel:[0,1]
	s_and_saveexec_b64 s[24:25], s[0:1]
	s_cbranch_execz .LBB232_596
; %bb.595:                              ;   in Loop: Header=BB232_339 Depth=1
	v_and_b32_sdwa v24, v64, v89 dst_sel:DWORD dst_unused:UNUSED_PAD src0_sel:BYTE_3 src1_sel:DWORD
	v_ffbh_u32_e32 v72, v24
	v_min_u32_e32 v74, 32, v72
	v_subrev_u32_e32 v72, 28, v74
	v_lshlrev_b64 v[72:73], v72, v[24:25]
	v_lshrrev_b32_e32 v65, 3, v23
	v_sub_u32_e32 v73, 29, v74
	v_cmp_gt_u32_e64 s[0:1], 8, v23
	v_and_b32_e32 v72, 7, v72
	v_cndmask_b32_e64 v23, v65, v73, s[0:1]
	v_cndmask_b32_e64 v24, v24, v72, s[0:1]
	v_lshlrev_b32_sdwa v64, v90, v64 dst_sel:DWORD dst_unused:UNUSED_PAD src0_sel:DWORD src1_sel:BYTE_3
	v_lshl_add_u32 v23, v23, 23, v88
	v_and_or_b32 v23, v64, s7, v23
	v_lshlrev_b32_e32 v24, 20, v24
	v_or_b32_e32 v23, v23, v24
	v_pk_mov_b32 v[72:73], v[22:23], v[22:23] op_sel:[0,1]
.LBB232_596:                            ;   in Loop: Header=BB232_339 Depth=1
	s_or_b64 exec, exec, s[24:25]
.LBB232_597:                            ;   in Loop: Header=BB232_339 Depth=1
	s_or_b64 exec, exec, s[22:23]
.LBB232_598:                            ;   in Loop: Header=BB232_339 Depth=1
	s_or_b64 exec, exec, s[20:21]
	v_or_b32_e32 v65, v69, v67
	v_or_b32_e32 v64, v68, v66
	;; [unrolled: 1-line block ×4, first 2 shown]
	v_pk_mul_f32 v[64:65], s[18:19], v[64:65]
	v_pk_mul_f32 v[66:67], s[18:19], v[66:67]
	s_and_saveexec_b64 s[20:21], vcc
; %bb.599:                              ;   in Loop: Header=BB232_339 Depth=1
	v_cmp_gt_i32_e64 s[0:1], s33, v91
	v_cndmask_b32_e64 v64, 0, v64, s[0:1]
	v_cmp_gt_i32_e64 s[0:1], s33, v94
	v_cndmask_b32_e64 v65, 0, v65, s[0:1]
	;; [unrolled: 2-line block ×4, first 2 shown]
; %bb.600:                              ;   in Loop: Header=BB232_339 Depth=1
	s_or_b64 exec, exec, s[20:21]
	global_load_dword v68, v[30:31], off offset:2560
	v_pk_mov_b32 v[72:73], 0, 0
	v_pk_mov_b32 v[70:71], v[72:73], v[72:73] op_sel:[0,1]
	s_waitcnt vmcnt(0)
	v_cmp_ne_u16_sdwa s[0:1], v68, v22 src0_sel:BYTE_0 src1_sel:DWORD
	s_and_saveexec_b64 s[20:21], s[0:1]
	s_cbranch_execz .LBB232_606
; %bb.601:                              ;   in Loop: Header=BB232_339 Depth=1
	v_bfrev_b32_e32 v70, 1
	v_cmp_ne_u16_sdwa s[0:1], v68, s34 src0_sel:BYTE_0 src1_sel:DWORD
	v_mov_b32_e32 v71, 0
	s_and_saveexec_b64 s[22:23], s[0:1]
	s_cbranch_execz .LBB232_605
; %bb.602:                              ;   in Loop: Header=BB232_339 Depth=1
	v_and_b32_e32 v23, 0x7f, v68
	v_mov_b32_e32 v70, 0x7f800001
	v_cmp_ne_u32_e64 s[0:1], s36, v23
	v_mov_b32_e32 v71, 0
	s_and_saveexec_b64 s[24:25], s[0:1]
	s_cbranch_execz .LBB232_604
; %bb.603:                              ;   in Loop: Header=BB232_339 Depth=1
	v_and_b32_e32 v24, 7, v68
	v_ffbh_u32_e32 v70, v24
	v_min_u32_e32 v74, 32, v70
	v_lshrrev_b32_e32 v69, 3, v23
	v_subrev_u32_e32 v70, 28, v74
	v_lshlrev_b64 v[70:71], v70, v[68:69]
	v_sub_u32_e32 v71, 29, v74
	v_and_b32_e32 v70, 7, v70
	v_cmp_gt_u32_e64 s[0:1], 8, v23
	v_cndmask_b32_e64 v23, v69, v71, s[0:1]
	v_cndmask_b32_e64 v24, v24, v70, s[0:1]
	v_lshlrev_b32_e32 v24, 20, v24
	v_and_b32_sdwa v69, sext(v68), s7 dst_sel:DWORD dst_unused:UNUSED_PAD src0_sel:BYTE_0 src1_sel:DWORD
	v_lshl_add_u32 v23, v23, 23, v88
	v_or3_b32 v24, v69, v23, v24
	v_pk_mov_b32 v[70:71], v[24:25], v[24:25] op_sel:[0,1]
.LBB232_604:                            ;   in Loop: Header=BB232_339 Depth=1
	s_or_b64 exec, exec, s[24:25]
.LBB232_605:                            ;   in Loop: Header=BB232_339 Depth=1
	s_or_b64 exec, exec, s[22:23]
.LBB232_606:                            ;   in Loop: Header=BB232_339 Depth=1
	s_or_b64 exec, exec, s[20:21]
	v_cmp_ne_u16_sdwa s[0:1], v68, v22 src0_sel:BYTE_1 src1_sel:DWORD
	s_and_saveexec_b64 s[20:21], s[0:1]
	s_cbranch_execz .LBB232_612
; %bb.607:                              ;   in Loop: Header=BB232_339 Depth=1
	v_cmp_ne_u16_sdwa s[0:1], v68, s34 src0_sel:BYTE_1 src1_sel:DWORD
	v_pk_mov_b32 v[72:73], s[6:7], s[6:7] op_sel:[0,1]
	s_and_saveexec_b64 s[22:23], s[0:1]
	s_cbranch_execz .LBB232_611
; %bb.608:                              ;   in Loop: Header=BB232_339 Depth=1
	v_and_b32_sdwa v23, v68, s36 dst_sel:DWORD dst_unused:UNUSED_PAD src0_sel:BYTE_1 src1_sel:DWORD
	s_mov_b32 s12, s6
	v_cmp_ne_u32_e64 s[0:1], s36, v23
	v_pk_mov_b32 v[72:73], s[12:13], s[12:13] op_sel:[0,1]
	s_and_saveexec_b64 s[24:25], s[0:1]
	s_cbranch_execz .LBB232_610
; %bb.609:                              ;   in Loop: Header=BB232_339 Depth=1
	v_and_b32_sdwa v24, v68, v89 dst_sel:DWORD dst_unused:UNUSED_PAD src0_sel:BYTE_1 src1_sel:DWORD
	v_ffbh_u32_e32 v72, v24
	v_min_u32_e32 v74, 32, v72
	v_subrev_u32_e32 v72, 28, v74
	v_lshlrev_b64 v[72:73], v72, v[24:25]
	v_lshrrev_b32_e32 v69, 3, v23
	v_sub_u32_e32 v73, 29, v74
	v_cmp_gt_u32_e64 s[0:1], 8, v23
	v_and_b32_e32 v72, 7, v72
	v_cndmask_b32_e64 v23, v69, v73, s[0:1]
	v_cndmask_b32_e64 v24, v24, v72, s[0:1]
	v_lshlrev_b32_e32 v69, 16, v68
	v_lshl_add_u32 v23, v23, 23, v88
	v_and_or_b32 v23, v69, s7, v23
	v_lshlrev_b32_e32 v24, 20, v24
	v_or_b32_e32 v23, v23, v24
	v_pk_mov_b32 v[72:73], v[22:23], v[22:23] op_sel:[0,1]
.LBB232_610:                            ;   in Loop: Header=BB232_339 Depth=1
	s_or_b64 exec, exec, s[24:25]
.LBB232_611:                            ;   in Loop: Header=BB232_339 Depth=1
	s_or_b64 exec, exec, s[22:23]
.LBB232_612:                            ;   in Loop: Header=BB232_339 Depth=1
	s_or_b64 exec, exec, s[20:21]
	v_lshrrev_b32_e32 v24, 16, v68
	v_pk_mov_b32 v[76:77], 0, 0
	v_cmp_ne_u16_sdwa s[0:1], v24, v22 src0_sel:BYTE_0 src1_sel:DWORD
	v_pk_mov_b32 v[74:75], v[76:77], v[76:77] op_sel:[0,1]
	s_and_saveexec_b64 s[20:21], s[0:1]
	s_cbranch_execz .LBB232_618
; %bb.613:                              ;   in Loop: Header=BB232_339 Depth=1
	v_bfrev_b32_e32 v74, 1
	v_cmp_ne_u16_sdwa s[0:1], v24, s34 src0_sel:BYTE_0 src1_sel:DWORD
	v_mov_b32_e32 v75, 0
	s_and_saveexec_b64 s[22:23], s[0:1]
	s_cbranch_execz .LBB232_617
; %bb.614:                              ;   in Loop: Header=BB232_339 Depth=1
	v_bfe_u32 v23, v68, 16, 7
	v_mov_b32_e32 v74, 0x7f800001
	v_cmp_ne_u32_e64 s[0:1], s36, v23
	v_mov_b32_e32 v75, 0
	s_and_saveexec_b64 s[24:25], s[0:1]
	s_cbranch_execz .LBB232_616
; %bb.615:                              ;   in Loop: Header=BB232_339 Depth=1
	v_and_b32_e32 v69, 7, v24
	v_ffbh_u32_e32 v74, v69
	v_min_u32_e32 v79, 32, v74
	v_subrev_u32_e32 v74, 28, v79
	v_lshlrev_b64 v[74:75], v74, v[24:25]
	v_lshrrev_b32_e32 v78, 3, v23
	v_sub_u32_e32 v75, 29, v79
	v_and_b32_e32 v74, 7, v74
	v_cmp_gt_u32_e64 s[0:1], 8, v23
	v_cndmask_b32_e64 v23, v78, v75, s[0:1]
	v_cndmask_b32_e64 v69, v69, v74, s[0:1]
	v_lshlrev_b32_e32 v69, 20, v69
	v_and_b32_sdwa v24, sext(v24), s7 dst_sel:DWORD dst_unused:UNUSED_PAD src0_sel:BYTE_0 src1_sel:DWORD
	v_lshl_add_u32 v23, v23, 23, v88
	v_or3_b32 v24, v24, v23, v69
	v_pk_mov_b32 v[74:75], v[24:25], v[24:25] op_sel:[0,1]
.LBB232_616:                            ;   in Loop: Header=BB232_339 Depth=1
	s_or_b64 exec, exec, s[24:25]
.LBB232_617:                            ;   in Loop: Header=BB232_339 Depth=1
	s_or_b64 exec, exec, s[22:23]
.LBB232_618:                            ;   in Loop: Header=BB232_339 Depth=1
	s_or_b64 exec, exec, s[20:21]
	v_cmp_lt_u32_e64 s[0:1], s37, v68
	s_and_saveexec_b64 s[20:21], s[0:1]
	s_cbranch_execz .LBB232_624
; %bb.619:                              ;   in Loop: Header=BB232_339 Depth=1
	v_cmp_ne_u32_sdwa s[0:1], v68, s34 src0_sel:BYTE_3 src1_sel:DWORD
	v_pk_mov_b32 v[76:77], s[6:7], s[6:7] op_sel:[0,1]
	s_and_saveexec_b64 s[22:23], s[0:1]
	s_cbranch_execz .LBB232_623
; %bb.620:                              ;   in Loop: Header=BB232_339 Depth=1
	v_bfe_u32 v23, v68, 24, 7
	s_mov_b32 s12, s6
	v_cmp_ne_u32_e64 s[0:1], s36, v23
	v_pk_mov_b32 v[76:77], s[12:13], s[12:13] op_sel:[0,1]
	s_and_saveexec_b64 s[24:25], s[0:1]
	s_cbranch_execz .LBB232_622
; %bb.621:                              ;   in Loop: Header=BB232_339 Depth=1
	v_and_b32_sdwa v24, v68, v89 dst_sel:DWORD dst_unused:UNUSED_PAD src0_sel:BYTE_3 src1_sel:DWORD
	v_ffbh_u32_e32 v76, v24
	v_min_u32_e32 v78, 32, v76
	v_subrev_u32_e32 v76, 28, v78
	v_lshlrev_b64 v[76:77], v76, v[24:25]
	v_lshrrev_b32_e32 v69, 3, v23
	v_sub_u32_e32 v77, 29, v78
	v_cmp_gt_u32_e64 s[0:1], 8, v23
	v_and_b32_e32 v76, 7, v76
	v_cndmask_b32_e64 v23, v69, v77, s[0:1]
	v_cndmask_b32_e64 v24, v24, v76, s[0:1]
	v_lshlrev_b32_sdwa v68, v90, v68 dst_sel:DWORD dst_unused:UNUSED_PAD src0_sel:DWORD src1_sel:BYTE_3
	v_lshl_add_u32 v23, v23, 23, v88
	v_and_or_b32 v23, v68, s7, v23
	v_lshlrev_b32_e32 v24, 20, v24
	v_or_b32_e32 v23, v23, v24
	v_pk_mov_b32 v[76:77], v[22:23], v[22:23] op_sel:[0,1]
.LBB232_622:                            ;   in Loop: Header=BB232_339 Depth=1
	s_or_b64 exec, exec, s[24:25]
.LBB232_623:                            ;   in Loop: Header=BB232_339 Depth=1
	s_or_b64 exec, exec, s[22:23]
.LBB232_624:                            ;   in Loop: Header=BB232_339 Depth=1
	s_or_b64 exec, exec, s[20:21]
	v_or_b32_e32 v69, v73, v71
	v_or_b32_e32 v68, v72, v70
	;; [unrolled: 1-line block ×4, first 2 shown]
	v_pk_mul_f32 v[68:69], s[18:19], v[68:69]
	v_pk_mul_f32 v[70:71], s[18:19], v[70:71]
	s_and_saveexec_b64 s[20:21], vcc
; %bb.625:                              ;   in Loop: Header=BB232_339 Depth=1
	v_cmp_gt_i32_e64 s[0:1], s33, v91
	v_cndmask_b32_e64 v68, 0, v68, s[0:1]
	v_cmp_gt_i32_e64 s[0:1], s33, v94
	v_cndmask_b32_e64 v69, 0, v69, s[0:1]
	;; [unrolled: 2-line block ×4, first 2 shown]
; %bb.626:                              ;   in Loop: Header=BB232_339 Depth=1
	s_or_b64 exec, exec, s[20:21]
	global_load_dword v30, v[30:31], off offset:2816
	v_pk_mov_b32 v[74:75], 0, 0
	v_pk_mov_b32 v[72:73], v[74:75], v[74:75] op_sel:[0,1]
	s_waitcnt vmcnt(0)
	v_cmp_ne_u16_sdwa s[0:1], v30, v22 src0_sel:BYTE_0 src1_sel:DWORD
	s_and_saveexec_b64 s[20:21], s[0:1]
	s_cbranch_execz .LBB232_632
; %bb.627:                              ;   in Loop: Header=BB232_339 Depth=1
	v_bfrev_b32_e32 v72, 1
	v_cmp_ne_u16_sdwa s[0:1], v30, s34 src0_sel:BYTE_0 src1_sel:DWORD
	v_mov_b32_e32 v73, 0
	s_and_saveexec_b64 s[22:23], s[0:1]
	s_cbranch_execz .LBB232_631
; %bb.628:                              ;   in Loop: Header=BB232_339 Depth=1
	v_and_b32_e32 v23, 0x7f, v30
	v_mov_b32_e32 v72, 0x7f800001
	v_cmp_ne_u32_e64 s[0:1], s36, v23
	v_mov_b32_e32 v73, 0
	s_and_saveexec_b64 s[24:25], s[0:1]
	s_cbranch_execz .LBB232_630
; %bb.629:                              ;   in Loop: Header=BB232_339 Depth=1
	v_and_b32_e32 v24, 7, v30
	v_ffbh_u32_e32 v72, v24
	v_min_u32_e32 v76, 32, v72
	v_lshrrev_b32_e32 v31, 3, v23
	v_subrev_u32_e32 v72, 28, v76
	v_lshlrev_b64 v[72:73], v72, v[30:31]
	v_sub_u32_e32 v73, 29, v76
	v_and_b32_e32 v72, 7, v72
	v_cmp_gt_u32_e64 s[0:1], 8, v23
	v_cndmask_b32_e64 v23, v31, v73, s[0:1]
	v_cndmask_b32_e64 v24, v24, v72, s[0:1]
	v_lshlrev_b32_e32 v24, 20, v24
	v_and_b32_sdwa v31, sext(v30), s7 dst_sel:DWORD dst_unused:UNUSED_PAD src0_sel:BYTE_0 src1_sel:DWORD
	v_lshl_add_u32 v23, v23, 23, v88
	v_or3_b32 v24, v31, v23, v24
	v_pk_mov_b32 v[72:73], v[24:25], v[24:25] op_sel:[0,1]
.LBB232_630:                            ;   in Loop: Header=BB232_339 Depth=1
	s_or_b64 exec, exec, s[24:25]
.LBB232_631:                            ;   in Loop: Header=BB232_339 Depth=1
	s_or_b64 exec, exec, s[22:23]
.LBB232_632:                            ;   in Loop: Header=BB232_339 Depth=1
	s_or_b64 exec, exec, s[20:21]
	v_cmp_ne_u16_sdwa s[0:1], v30, v22 src0_sel:BYTE_1 src1_sel:DWORD
	s_and_saveexec_b64 s[20:21], s[0:1]
	s_cbranch_execz .LBB232_638
; %bb.633:                              ;   in Loop: Header=BB232_339 Depth=1
	v_cmp_ne_u16_sdwa s[0:1], v30, s34 src0_sel:BYTE_1 src1_sel:DWORD
	v_pk_mov_b32 v[74:75], s[6:7], s[6:7] op_sel:[0,1]
	s_and_saveexec_b64 s[22:23], s[0:1]
	s_cbranch_execz .LBB232_637
; %bb.634:                              ;   in Loop: Header=BB232_339 Depth=1
	v_and_b32_sdwa v23, v30, s36 dst_sel:DWORD dst_unused:UNUSED_PAD src0_sel:BYTE_1 src1_sel:DWORD
	s_mov_b32 s12, s6
	v_cmp_ne_u32_e64 s[0:1], s36, v23
	v_pk_mov_b32 v[74:75], s[12:13], s[12:13] op_sel:[0,1]
	s_and_saveexec_b64 s[24:25], s[0:1]
	s_cbranch_execz .LBB232_636
; %bb.635:                              ;   in Loop: Header=BB232_339 Depth=1
	v_and_b32_sdwa v24, v30, v89 dst_sel:DWORD dst_unused:UNUSED_PAD src0_sel:BYTE_1 src1_sel:DWORD
	v_ffbh_u32_e32 v74, v24
	v_min_u32_e32 v76, 32, v74
	v_subrev_u32_e32 v74, 28, v76
	v_lshlrev_b64 v[74:75], v74, v[24:25]
	v_lshrrev_b32_e32 v31, 3, v23
	v_sub_u32_e32 v75, 29, v76
	v_cmp_gt_u32_e64 s[0:1], 8, v23
	v_and_b32_e32 v74, 7, v74
	v_cndmask_b32_e64 v23, v31, v75, s[0:1]
	v_cndmask_b32_e64 v24, v24, v74, s[0:1]
	v_lshlrev_b32_e32 v31, 16, v30
	v_lshl_add_u32 v23, v23, 23, v88
	v_and_or_b32 v23, v31, s7, v23
	v_lshlrev_b32_e32 v24, 20, v24
	v_or_b32_e32 v23, v23, v24
	v_pk_mov_b32 v[74:75], v[22:23], v[22:23] op_sel:[0,1]
.LBB232_636:                            ;   in Loop: Header=BB232_339 Depth=1
	s_or_b64 exec, exec, s[24:25]
.LBB232_637:                            ;   in Loop: Header=BB232_339 Depth=1
	s_or_b64 exec, exec, s[22:23]
.LBB232_638:                            ;   in Loop: Header=BB232_339 Depth=1
	s_or_b64 exec, exec, s[20:21]
	v_lshrrev_b32_e32 v24, 16, v30
	v_pk_mov_b32 v[78:79], 0, 0
	v_cmp_ne_u16_sdwa s[0:1], v24, v22 src0_sel:BYTE_0 src1_sel:DWORD
	v_pk_mov_b32 v[76:77], v[78:79], v[78:79] op_sel:[0,1]
	s_and_saveexec_b64 s[20:21], s[0:1]
	s_cbranch_execz .LBB232_644
; %bb.639:                              ;   in Loop: Header=BB232_339 Depth=1
	v_bfrev_b32_e32 v76, 1
	v_cmp_ne_u16_sdwa s[0:1], v24, s34 src0_sel:BYTE_0 src1_sel:DWORD
	v_mov_b32_e32 v77, 0
	s_and_saveexec_b64 s[22:23], s[0:1]
	s_cbranch_execz .LBB232_643
; %bb.640:                              ;   in Loop: Header=BB232_339 Depth=1
	v_bfe_u32 v23, v30, 16, 7
	v_mov_b32_e32 v76, 0x7f800001
	v_cmp_ne_u32_e64 s[0:1], s36, v23
	v_mov_b32_e32 v77, 0
	s_and_saveexec_b64 s[24:25], s[0:1]
	s_cbranch_execz .LBB232_642
; %bb.641:                              ;   in Loop: Header=BB232_339 Depth=1
	v_and_b32_e32 v31, 7, v24
	v_ffbh_u32_e32 v76, v31
	v_min_u32_e32 v96, 32, v76
	v_subrev_u32_e32 v76, 28, v96
	v_lshlrev_b64 v[76:77], v76, v[24:25]
	v_lshrrev_b32_e32 v95, 3, v23
	v_sub_u32_e32 v77, 29, v96
	v_and_b32_e32 v76, 7, v76
	v_cmp_gt_u32_e64 s[0:1], 8, v23
	v_cndmask_b32_e64 v23, v95, v77, s[0:1]
	v_cndmask_b32_e64 v31, v31, v76, s[0:1]
	v_lshlrev_b32_e32 v31, 20, v31
	v_and_b32_sdwa v24, sext(v24), s7 dst_sel:DWORD dst_unused:UNUSED_PAD src0_sel:BYTE_0 src1_sel:DWORD
	v_lshl_add_u32 v23, v23, 23, v88
	v_or3_b32 v24, v24, v23, v31
	v_pk_mov_b32 v[76:77], v[24:25], v[24:25] op_sel:[0,1]
.LBB232_642:                            ;   in Loop: Header=BB232_339 Depth=1
	s_or_b64 exec, exec, s[24:25]
.LBB232_643:                            ;   in Loop: Header=BB232_339 Depth=1
	s_or_b64 exec, exec, s[22:23]
.LBB232_644:                            ;   in Loop: Header=BB232_339 Depth=1
	s_or_b64 exec, exec, s[20:21]
	v_cmp_lt_u32_e64 s[0:1], s37, v30
	s_and_saveexec_b64 s[20:21], s[0:1]
	s_cbranch_execz .LBB232_650
; %bb.645:                              ;   in Loop: Header=BB232_339 Depth=1
	v_cmp_ne_u32_sdwa s[0:1], v30, s34 src0_sel:BYTE_3 src1_sel:DWORD
	v_pk_mov_b32 v[78:79], s[6:7], s[6:7] op_sel:[0,1]
	s_and_saveexec_b64 s[22:23], s[0:1]
	s_cbranch_execz .LBB232_649
; %bb.646:                              ;   in Loop: Header=BB232_339 Depth=1
	v_bfe_u32 v23, v30, 24, 7
	s_mov_b32 s12, s6
	v_cmp_ne_u32_e64 s[0:1], s36, v23
	v_pk_mov_b32 v[78:79], s[12:13], s[12:13] op_sel:[0,1]
	s_and_saveexec_b64 s[24:25], s[0:1]
	s_cbranch_execz .LBB232_648
; %bb.647:                              ;   in Loop: Header=BB232_339 Depth=1
	v_and_b32_sdwa v24, v30, v89 dst_sel:DWORD dst_unused:UNUSED_PAD src0_sel:BYTE_3 src1_sel:DWORD
	v_ffbh_u32_e32 v78, v24
	v_min_u32_e32 v95, 32, v78
	v_subrev_u32_e32 v78, 28, v95
	v_lshlrev_b64 v[78:79], v78, v[24:25]
	v_lshrrev_b32_e32 v31, 3, v23
	v_sub_u32_e32 v79, 29, v95
	v_cmp_gt_u32_e64 s[0:1], 8, v23
	v_and_b32_e32 v78, 7, v78
	v_cndmask_b32_e64 v23, v31, v79, s[0:1]
	v_cndmask_b32_e64 v24, v24, v78, s[0:1]
	v_lshlrev_b32_sdwa v30, v90, v30 dst_sel:DWORD dst_unused:UNUSED_PAD src0_sel:DWORD src1_sel:BYTE_3
	v_lshl_add_u32 v23, v23, 23, v88
	v_and_or_b32 v23, v30, s7, v23
	v_lshlrev_b32_e32 v24, 20, v24
	v_or_b32_e32 v23, v23, v24
	v_pk_mov_b32 v[78:79], v[22:23], v[22:23] op_sel:[0,1]
.LBB232_648:                            ;   in Loop: Header=BB232_339 Depth=1
	s_or_b64 exec, exec, s[24:25]
.LBB232_649:                            ;   in Loop: Header=BB232_339 Depth=1
	s_or_b64 exec, exec, s[22:23]
.LBB232_650:                            ;   in Loop: Header=BB232_339 Depth=1
	s_or_b64 exec, exec, s[20:21]
	v_or_b32_e32 v31, v75, v73
	v_or_b32_e32 v30, v74, v72
	;; [unrolled: 1-line block ×4, first 2 shown]
	v_pk_mul_f32 v[30:31], s[18:19], v[30:31]
	v_pk_mul_f32 v[72:73], s[18:19], v[72:73]
	s_and_saveexec_b64 s[0:1], vcc
	s_cbranch_execz .LBB232_337
; %bb.651:                              ;   in Loop: Header=BB232_339 Depth=1
	v_cmp_gt_i32_e32 vcc, s33, v91
	v_cndmask_b32_e32 v30, 0, v30, vcc
	v_cmp_gt_i32_e32 vcc, s33, v94
	v_cndmask_b32_e32 v31, 0, v31, vcc
	;; [unrolled: 2-line block ×4, first 2 shown]
	s_branch .LBB232_337
.LBB232_652:
	s_or_b64 exec, exec, s[10:11]
.LBB232_653:
	s_or_b64 exec, exec, s[4:5]
	ds_bpermute_b32 v0, v82, v16
	ds_bpermute_b32 v1, v82, v17
	;; [unrolled: 1-line block ×6, first 2 shown]
	s_waitcnt lgkmcnt(4)
	v_pk_add_f32 v[0:1], v[16:17], v[0:1]
	ds_bpermute_b32 v4, v83, v0
	ds_bpermute_b32 v5, v83, v1
	s_waitcnt lgkmcnt(4)
	v_pk_add_f32 v[2:3], v[80:81], v[2:3]
	ds_bpermute_b32 v16, v83, v2
	ds_bpermute_b32 v17, v83, v3
	s_waitcnt lgkmcnt(4)
	v_pk_add_f32 v[8:9], v[8:9], v[20:21]
	s_waitcnt lgkmcnt(2)
	v_pk_add_f32 v[0:1], v[0:1], v[4:5]
	ds_bpermute_b32 v4, v84, v0
	ds_bpermute_b32 v5, v84, v1
	s_waitcnt lgkmcnt(2)
	v_pk_add_f32 v[2:3], v[2:3], v[16:17]
	ds_bpermute_b32 v16, v84, v2
	ds_bpermute_b32 v17, v84, v3
	;; [unrolled: 4-line block ×3, first 2 shown]
	s_barrier
	s_waitcnt lgkmcnt(0)
	ds_bpermute_b32 v18, v82, v12
	ds_bpermute_b32 v19, v82, v13
	v_pk_add_f32 v[4:5], v[10:11], v[4:5]
	ds_bpermute_b32 v10, v83, v4
	ds_bpermute_b32 v11, v83, v5
	ds_bpermute_b32 v22, v82, v6
	s_waitcnt lgkmcnt(3)
	v_pk_add_f32 v[12:13], v[12:13], v[18:19]
	ds_bpermute_b32 v23, v82, v7
	ds_bpermute_b32 v18, v83, v12
	s_waitcnt lgkmcnt(3)
	v_pk_add_f32 v[4:5], v[4:5], v[10:11]
	ds_bpermute_b32 v10, v83, v8
	ds_bpermute_b32 v11, v83, v9
	;; [unrolled: 1-line block ×3, first 2 shown]
	s_waitcnt lgkmcnt(4)
	v_pk_add_f32 v[22:23], v[6:7], v[22:23]
	ds_bpermute_b32 v26, v83, v22
	ds_bpermute_b32 v27, v83, v23
	s_waitcnt lgkmcnt(3)
	v_pk_add_f32 v[10:11], v[8:9], v[10:11]
	v_pk_add_f32 v[8:9], v[2:3], v[16:17]
	buffer_load_dword v16, off, s[68:71], 0 offset:156 ; 4-byte Folded Reload
	s_waitcnt lgkmcnt(2)
	v_pk_add_f32 v[12:13], v[12:13], v[18:19]
	ds_bpermute_b32 v24, v84, v10
	ds_bpermute_b32 v25, v84, v11
	ds_bpermute_b32 v18, v84, v12
	ds_bpermute_b32 v19, v84, v13
	ds_bpermute_b32 v20, v84, v4
	ds_bpermute_b32 v21, v84, v5
	s_waitcnt lgkmcnt(4)
	v_pk_add_f32 v[2:3], v[10:11], v[24:25]
	v_pk_add_f32 v[10:11], v[22:23], v[26:27]
	s_waitcnt lgkmcnt(2)
	v_pk_add_f32 v[6:7], v[12:13], v[18:19]
	ds_bpermute_b32 v12, v84, v10
	ds_bpermute_b32 v13, v84, v11
	s_waitcnt lgkmcnt(2)
	v_pk_add_f32 v[4:5], v[4:5], v[20:21]
	s_waitcnt vmcnt(0)
	v_and_b32_e32 v15, 0x3c7, v16
	v_cmp_ne_u32_e32 vcc, 64, v15
	s_and_saveexec_b64 s[0:1], vcc
	s_xor_b64 s[0:1], exec, s[0:1]
; %bb.654:
                                        ; implicit-def: $vgpr14
; %bb.655:
	s_or_saveexec_b64 s[0:1], s[0:1]
	s_waitcnt lgkmcnt(0)
	v_pk_add_f32 v[10:11], v[10:11], v[12:13]
	s_xor_b64 exec, exec, s[0:1]
	s_cbranch_execz .LBB232_657
; %bb.656:
	v_lshrrev_b32_e32 v12, 1, v14
	v_add_u32_e32 v12, 0x190, v12
	ds_write2_b32 v12, v0, v1 offset1:8
	ds_write2_b32 v12, v8, v9 offset0:16 offset1:24
	ds_write2_b32 v12, v6, v7 offset0:32 offset1:40
	;; [unrolled: 1-line block ×5, first 2 shown]
.LBB232_657:
	s_or_b64 exec, exec, s[0:1]
	v_cmp_gt_u32_e32 vcc, 64, v16
	s_waitcnt lgkmcnt(0)
	s_barrier
	s_and_saveexec_b64 s[0:1], vcc
	s_cbranch_execz .LBB232_672
; %bb.658:
	v_cmp_eq_u32_e32 vcc, 0, v85
	v_lshrrev_b32_e32 v12, 3, v16
	s_and_saveexec_b64 s[4:5], vcc
	s_cbranch_execnz .LBB232_675
; %bb.659:
	s_or_b64 exec, exec, s[4:5]
	s_and_saveexec_b64 s[4:5], vcc
	s_cbranch_execnz .LBB232_676
.LBB232_660:
	s_or_b64 exec, exec, s[4:5]
	s_and_saveexec_b64 s[4:5], vcc
	s_cbranch_execnz .LBB232_677
.LBB232_661:
	s_or_b64 exec, exec, s[4:5]
	s_and_saveexec_b64 s[4:5], vcc
	s_cbranch_execnz .LBB232_678
.LBB232_662:
	s_or_b64 exec, exec, s[4:5]
	s_and_saveexec_b64 s[4:5], vcc
	s_cbranch_execnz .LBB232_679
.LBB232_663:
	s_or_b64 exec, exec, s[4:5]
	s_and_saveexec_b64 s[4:5], vcc
	s_cbranch_execnz .LBB232_680
.LBB232_664:
	s_or_b64 exec, exec, s[4:5]
	s_and_saveexec_b64 s[4:5], vcc
	s_cbranch_execnz .LBB232_681
.LBB232_665:
	s_or_b64 exec, exec, s[4:5]
	s_and_saveexec_b64 s[4:5], vcc
	s_cbranch_execnz .LBB232_682
.LBB232_666:
	s_or_b64 exec, exec, s[4:5]
	s_and_saveexec_b64 s[4:5], vcc
	s_cbranch_execnz .LBB232_683
.LBB232_667:
	s_or_b64 exec, exec, s[4:5]
	s_and_saveexec_b64 s[4:5], vcc
	s_cbranch_execnz .LBB232_684
.LBB232_668:
	s_or_b64 exec, exec, s[4:5]
	s_and_saveexec_b64 s[4:5], vcc
	s_cbranch_execnz .LBB232_685
.LBB232_669:
	s_or_b64 exec, exec, s[4:5]
	s_and_saveexec_b64 s[4:5], vcc
	s_cbranch_execz .LBB232_671
.LBB232_670:
	v_mov_b32_e32 v13, 0x190
	v_lshl_add_u32 v12, v12, 2, v13
	ds_read_b32 v12, v12 offset:352
	s_waitcnt lgkmcnt(0)
	v_add_f32_e32 v11, v11, v12
.LBB232_671:
	s_or_b64 exec, exec, s[4:5]
.LBB232_672:
	s_or_b64 exec, exec, s[0:1]
	v_cmp_eq_u32_e32 vcc, 0, v15
	s_barrier
	s_and_saveexec_b64 s[0:1], vcc
	s_cbranch_execz .LBB232_674
; %bb.673:
	s_mul_i32 s0, s2, 0x60
	s_ashr_i32 s1, s0, 31
	s_lshl_b64 s[0:1], s[0:1], 2
	s_add_u32 s2, s30, s0
	s_mul_i32 s0, s29, s28
	s_addc_u32 s3, s31, s1
	s_ashr_i32 s1, s0, 31
	s_lshl_b64 s[0:1], s[0:1], 2
	s_add_u32 s2, s2, s0
	s_mul_i32 s0, s8, 0x60
	s_addc_u32 s3, s3, s1
	s_ashr_i32 s1, s0, 31
	s_lshl_b64 s[0:1], s[0:1], 2
	s_add_u32 s0, s2, s0
	s_addc_u32 s1, s3, s1
	v_lshrrev_b32_e32 v12, 1, v16
	global_store_dword v12, v0, s[0:1]
	global_store_dword v12, v1, s[0:1] offset:32
	global_store_dword v12, v8, s[0:1] offset:64
	;; [unrolled: 1-line block ×11, first 2 shown]
.LBB232_674:
	s_endpgm
.LBB232_675:
	v_mov_b32_e32 v13, 0x190
	v_lshl_add_u32 v13, v12, 2, v13
	ds_read_b32 v13, v13
	s_waitcnt lgkmcnt(0)
	v_add_f32_e32 v0, v0, v13
	s_or_b64 exec, exec, s[4:5]
	s_and_saveexec_b64 s[4:5], vcc
	s_cbranch_execz .LBB232_660
.LBB232_676:
	v_mov_b32_e32 v13, 0x190
	v_lshl_add_u32 v13, v12, 2, v13
	ds_read_b32 v13, v13 offset:32
	s_waitcnt lgkmcnt(0)
	v_add_f32_e32 v1, v1, v13
	s_or_b64 exec, exec, s[4:5]
	s_and_saveexec_b64 s[4:5], vcc
	s_cbranch_execz .LBB232_661
.LBB232_677:
	v_mov_b32_e32 v13, 0x190
	v_lshl_add_u32 v13, v12, 2, v13
	ds_read_b32 v13, v13 offset:64
	s_waitcnt lgkmcnt(0)
	v_add_f32_e32 v8, v8, v13
	s_or_b64 exec, exec, s[4:5]
	s_and_saveexec_b64 s[4:5], vcc
	s_cbranch_execz .LBB232_662
.LBB232_678:
	v_mov_b32_e32 v13, 0x190
	v_lshl_add_u32 v13, v12, 2, v13
	ds_read_b32 v13, v13 offset:96
	s_waitcnt lgkmcnt(0)
	v_add_f32_e32 v9, v9, v13
	s_or_b64 exec, exec, s[4:5]
	s_and_saveexec_b64 s[4:5], vcc
	s_cbranch_execz .LBB232_663
.LBB232_679:
	v_mov_b32_e32 v13, 0x190
	v_lshl_add_u32 v13, v12, 2, v13
	ds_read_b32 v13, v13 offset:128
	s_waitcnt lgkmcnt(0)
	v_add_f32_e32 v6, v6, v13
	s_or_b64 exec, exec, s[4:5]
	s_and_saveexec_b64 s[4:5], vcc
	s_cbranch_execz .LBB232_664
.LBB232_680:
	v_mov_b32_e32 v13, 0x190
	v_lshl_add_u32 v13, v12, 2, v13
	ds_read_b32 v13, v13 offset:160
	s_waitcnt lgkmcnt(0)
	v_add_f32_e32 v7, v7, v13
	s_or_b64 exec, exec, s[4:5]
	s_and_saveexec_b64 s[4:5], vcc
	s_cbranch_execz .LBB232_665
.LBB232_681:
	v_mov_b32_e32 v13, 0x190
	v_lshl_add_u32 v13, v12, 2, v13
	ds_read_b32 v13, v13 offset:192
	s_waitcnt lgkmcnt(0)
	v_add_f32_e32 v4, v4, v13
	s_or_b64 exec, exec, s[4:5]
	s_and_saveexec_b64 s[4:5], vcc
	s_cbranch_execz .LBB232_666
.LBB232_682:
	v_mov_b32_e32 v13, 0x190
	v_lshl_add_u32 v13, v12, 2, v13
	ds_read_b32 v13, v13 offset:224
	s_waitcnt lgkmcnt(0)
	v_add_f32_e32 v5, v5, v13
	s_or_b64 exec, exec, s[4:5]
	s_and_saveexec_b64 s[4:5], vcc
	s_cbranch_execz .LBB232_667
.LBB232_683:
	v_mov_b32_e32 v13, 0x190
	v_lshl_add_u32 v13, v12, 2, v13
	ds_read_b32 v13, v13 offset:256
	s_waitcnt lgkmcnt(0)
	v_add_f32_e32 v2, v2, v13
	s_or_b64 exec, exec, s[4:5]
	s_and_saveexec_b64 s[4:5], vcc
	s_cbranch_execz .LBB232_668
.LBB232_684:
	v_mov_b32_e32 v13, 0x190
	v_lshl_add_u32 v13, v12, 2, v13
	ds_read_b32 v13, v13 offset:288
	s_waitcnt lgkmcnt(0)
	v_add_f32_e32 v3, v3, v13
	s_or_b64 exec, exec, s[4:5]
	s_and_saveexec_b64 s[4:5], vcc
	s_cbranch_execz .LBB232_669
.LBB232_685:
	v_mov_b32_e32 v13, 0x190
	v_lshl_add_u32 v13, v12, 2, v13
	ds_read_b32 v13, v13 offset:320
	s_waitcnt lgkmcnt(0)
	v_add_f32_e32 v10, v10, v13
	s_or_b64 exec, exec, s[4:5]
	s_and_saveexec_b64 s[4:5], vcc
	s_cbranch_execnz .LBB232_670
	s_branch .LBB232_671
	.section	.rodata,"a",@progbits
	.p2align	6, 0x0
	.amdhsa_kernel _ZN4vllm25paged_attention_v2_kernelIfhLi96ELi32ELi128ELNS_18Fp8KVCacheDataTypeE1ELb1ELi512EEEvPfS2_PT_PKS3_PKT0_S9_ifPKiSB_iPKfiiiSD_SD_iiiii
		.amdhsa_group_segment_fixed_size 400
		.amdhsa_private_segment_fixed_size 172
		.amdhsa_kernarg_size 400
		.amdhsa_user_sgpr_count 6
		.amdhsa_user_sgpr_private_segment_buffer 1
		.amdhsa_user_sgpr_dispatch_ptr 0
		.amdhsa_user_sgpr_queue_ptr 0
		.amdhsa_user_sgpr_kernarg_segment_ptr 1
		.amdhsa_user_sgpr_dispatch_id 0
		.amdhsa_user_sgpr_flat_scratch_init 0
		.amdhsa_user_sgpr_kernarg_preload_length 0
		.amdhsa_user_sgpr_kernarg_preload_offset 0
		.amdhsa_user_sgpr_private_segment_size 0
		.amdhsa_uses_dynamic_stack 0
		.amdhsa_system_sgpr_private_segment_wavefront_offset 1
		.amdhsa_system_sgpr_workgroup_id_x 1
		.amdhsa_system_sgpr_workgroup_id_y 1
		.amdhsa_system_sgpr_workgroup_id_z 1
		.amdhsa_system_sgpr_workgroup_info 0
		.amdhsa_system_vgpr_workitem_id 0
		.amdhsa_next_free_vgpr 128
		.amdhsa_next_free_sgpr 72
		.amdhsa_accum_offset 128
		.amdhsa_reserve_vcc 1
		.amdhsa_reserve_flat_scratch 0
		.amdhsa_float_round_mode_32 0
		.amdhsa_float_round_mode_16_64 0
		.amdhsa_float_denorm_mode_32 3
		.amdhsa_float_denorm_mode_16_64 3
		.amdhsa_dx10_clamp 1
		.amdhsa_ieee_mode 1
		.amdhsa_fp16_overflow 0
		.amdhsa_tg_split 0
		.amdhsa_exception_fp_ieee_invalid_op 0
		.amdhsa_exception_fp_denorm_src 0
		.amdhsa_exception_fp_ieee_div_zero 0
		.amdhsa_exception_fp_ieee_overflow 0
		.amdhsa_exception_fp_ieee_underflow 0
		.amdhsa_exception_fp_ieee_inexact 0
		.amdhsa_exception_int_div_zero 0
	.end_amdhsa_kernel
	.section	.text._ZN4vllm25paged_attention_v2_kernelIfhLi96ELi32ELi128ELNS_18Fp8KVCacheDataTypeE1ELb1ELi512EEEvPfS2_PT_PKS3_PKT0_S9_ifPKiSB_iPKfiiiSD_SD_iiiii,"axG",@progbits,_ZN4vllm25paged_attention_v2_kernelIfhLi96ELi32ELi128ELNS_18Fp8KVCacheDataTypeE1ELb1ELi512EEEvPfS2_PT_PKS3_PKT0_S9_ifPKiSB_iPKfiiiSD_SD_iiiii,comdat
.Lfunc_end232:
	.size	_ZN4vllm25paged_attention_v2_kernelIfhLi96ELi32ELi128ELNS_18Fp8KVCacheDataTypeE1ELb1ELi512EEEvPfS2_PT_PKS3_PKT0_S9_ifPKiSB_iPKfiiiSD_SD_iiiii, .Lfunc_end232-_ZN4vllm25paged_attention_v2_kernelIfhLi96ELi32ELi128ELNS_18Fp8KVCacheDataTypeE1ELb1ELi512EEEvPfS2_PT_PKS3_PKT0_S9_ifPKiSB_iPKfiiiSD_SD_iiiii
                                        ; -- End function
	.section	.AMDGPU.csdata,"",@progbits
; Kernel info:
; codeLenInByte = 27116
; NumSgprs: 76
; NumVgprs: 128
; NumAgprs: 0
; TotalNumVgprs: 128
; ScratchSize: 172
; MemoryBound: 0
; FloatMode: 240
; IeeeMode: 1
; LDSByteSize: 400 bytes/workgroup (compile time only)
; SGPRBlocks: 9
; VGPRBlocks: 15
; NumSGPRsForWavesPerEU: 76
; NumVGPRsForWavesPerEU: 128
; AccumOffset: 128
; Occupancy: 4
; WaveLimiterHint : 1
; COMPUTE_PGM_RSRC2:SCRATCH_EN: 1
; COMPUTE_PGM_RSRC2:USER_SGPR: 6
; COMPUTE_PGM_RSRC2:TRAP_HANDLER: 0
; COMPUTE_PGM_RSRC2:TGID_X_EN: 1
; COMPUTE_PGM_RSRC2:TGID_Y_EN: 1
; COMPUTE_PGM_RSRC2:TGID_Z_EN: 1
; COMPUTE_PGM_RSRC2:TIDIG_COMP_CNT: 0
; COMPUTE_PGM_RSRC3_GFX90A:ACCUM_OFFSET: 31
; COMPUTE_PGM_RSRC3_GFX90A:TG_SPLIT: 0
	.text
	.p2align	2                               ; -- Begin function _ZN4vllm22paged_attention_kernelIfhLi112ELi32ELi128ELNS_18Fp8KVCacheDataTypeE1ELb1ELi512EEEvPfS2_PT_PKS3_PKT0_S9_ifPKiSB_iPKfiiiSD_SD_iiiii
	.type	_ZN4vllm22paged_attention_kernelIfhLi112ELi32ELi128ELNS_18Fp8KVCacheDataTypeE1ELb1ELi512EEEvPfS2_PT_PKS3_PKT0_S9_ifPKiSB_iPKfiiiSD_SD_iiiii,@function
_ZN4vllm22paged_attention_kernelIfhLi112ELi32ELi128ELNS_18Fp8KVCacheDataTypeE1ELb1ELi512EEEvPfS2_PT_PKS3_PKT0_S9_ifPKiSB_iPKfiiiSD_SD_iiiii: ; @_ZN4vllm22paged_attention_kernelIfhLi112ELi32ELi128ELNS_18Fp8KVCacheDataTypeE1ELb1ELi512EEEvPfS2_PT_PKS3_PKT0_S9_ifPKiSB_iPKfiiiSD_SD_iiiii
; %bb.0:
	s_waitcnt vmcnt(0) expcnt(0) lgkmcnt(0)
	s_or_saveexec_b64 s[4:5], -1
	buffer_store_dword v63, off, s[0:3], s32 offset:588 ; 4-byte Folded Spill
	s_mov_b64 exec, s[4:5]
	buffer_store_dword v40, off, s[0:3], s32 offset:192 ; 4-byte Folded Spill
	buffer_store_dword v41, off, s[0:3], s32 offset:188 ; 4-byte Folded Spill
	;; [unrolled: 1-line block ×47, first 2 shown]
	v_writelane_b32 v63, s34, 0
	v_writelane_b32 v63, s35, 1
	;; [unrolled: 1-line block ×13, first 2 shown]
	s_mov_b32 s22, s13
	s_ashr_i32 s23, s13, 31
	buffer_store_dword v26, off, s[0:3], s32 offset:472 ; 4-byte Folded Spill
	s_nop 0
	buffer_store_dword v27, off, s[0:3], s32 offset:476 ; 4-byte Folded Spill
	buffer_store_dword v24, off, s[0:3], s32 offset:480 ; 4-byte Folded Spill
	s_nop 0
	buffer_store_dword v25, off, s[0:3], s32 offset:484 ; 4-byte Folded Spill
	;; [unrolled: 3-line block ×3, first 2 shown]
	s_lshl_b64 s[4:5], s[22:23], 2
	v_mov_b32_e32 v26, v1
	v_mov_b32_e32 v27, v0
	v_mov_b32_e32 v1, s5
	v_add_co_u32_e32 v0, vcc, s4, v16
	buffer_store_dword v5, off, s[0:3], s32 offset:512 ; 4-byte Folded Spill
	buffer_store_dword v4, off, s[0:3], s32 offset:508 ; 4-byte Folded Spill
	v_addc_co_u32_e32 v1, vcc, v17, v1, vcc
	flat_load_dword v62, v[0:1]
	buffer_load_dword v4, off, s[0:3], s32 offset:4
	buffer_load_dword v5, off, s[0:3], s32
	s_lshl_b32 s23, s14, 9
	v_mov_b32_e32 v25, v20
	v_mov_b32_e32 v24, v19
	;; [unrolled: 1-line block ×6, first 2 shown]
	s_waitcnt vmcnt(0) lgkmcnt(0)
	v_cmp_lt_i32_e32 vcc, s23, v62
	s_and_saveexec_b64 s[16:17], vcc
	s_cbranch_execz .LBB233_775
; %bb.1:
	v_sub_u32_e32 v0, 0, v12
	v_max_i32_e32 v0, v12, v0
	v_cvt_f32_u32_e32 v1, v0
	s_load_dword s4, s[8:9], 0x10
	s_load_dword s6, s[8:9], 0x0
	v_sub_u32_e32 v3, 0, v0
	s_mov_b32 s20, s15
	v_rcp_iflag_f32_e32 v1, v1
	s_waitcnt lgkmcnt(0)
	s_lshr_b32 s4, s4, 16
	s_cmp_lg_u32 s4, 0
	s_cselect_b64 s[4:5], -1, 0
	v_mul_f32_e32 v1, 0x4f7ffffe, v1
	v_cvt_u32_f32_e32 v1, v1
	s_cmp_lg_u64 s[4:5], 0
	s_addc_u32 s15, s6, 0
	s_abs_i32 s4, s15
	v_mul_lo_u32 v3, v3, v1
	v_mul_hi_u32 v3, v1, v3
	v_add_u32_e32 v1, v1, v3
	v_mul_hi_u32 v1, s4, v1
	v_mul_lo_u32 v3, v1, v0
	v_sub_u32_e32 v3, s4, v3
	v_add_u32_e32 v10, 1, v1
	v_cmp_ge_u32_e32 vcc, v3, v0
	v_cndmask_b32_e32 v1, v1, v10, vcc
	v_sub_u32_e32 v10, v3, v0
	v_cndmask_b32_e32 v3, v3, v10, vcc
	v_xor_b32_e32 v2, s15, v12
	v_add_u32_e32 v10, 1, v1
	v_cmp_ge_u32_e32 vcc, v3, v0
	v_ashrrev_i32_e32 v2, 31, v2
	v_cndmask_b32_e32 v0, v1, v10, vcc
	v_xor_b32_e32 v0, v0, v2
	v_sub_u32_e32 v3, v0, v2
	v_sub_u32_e32 v0, 0, v3
	v_max_i32_e32 v2, v3, v0
	v_cvt_f32_u32_e32 v0, v2
	v_sub_u32_e32 v1, 0, v2
	s_abs_i32 s6, s12
	v_cmp_ne_u64_e32 vcc, 0, v[24:25]
	v_rcp_iflag_f32_e32 v0, v0
	v_mul_f32_e32 v0, 0x4f7ffffe, v0
	v_cvt_u32_f32_e32 v0, v0
	v_mul_lo_u32 v1, v1, v0
	v_mul_hi_u32 v1, v0, v1
	v_add_u32_e32 v0, v0, v1
	v_mad_u64_u32 v[0:1], s[4:5], s6, v0, 0
	v_mov_b32_e32 v0, 0
	buffer_store_dword v0, off, s[0:3], s32 offset:500 ; 4-byte Folded Spill
	s_and_saveexec_b64 s[4:5], vcc
	s_cbranch_execz .LBB233_3
; %bb.2:
	s_ashr_i32 s13, s12, 31
	s_lshl_b64 s[10:11], s[12:13], 2
	v_mov_b32_e32 v0, s11
	v_add_co_u32_e32 v10, vcc, s10, v24
	v_addc_co_u32_e32 v11, vcc, v25, v0, vcc
	flat_load_dword v0, v[10:11]
	s_waitcnt vmcnt(0) lgkmcnt(0)
	buffer_store_dword v0, off, s[0:3], s32 offset:500 ; 4-byte Folded Spill
.LBB233_3:
	s_or_b64 exec, exec, s[4:5]
	v_ashrrev_i32_e32 v0, 31, v3
	v_and_b32_e32 v3, 0x3ff, v31
	s_ashr_i32 s7, s12, 31
	v_and_b32_e32 v10, 1, v3
	s_mul_i32 s18, s12, 0x70
	v_cmp_gt_u32_e32 vcc, 56, v3
	v_lshlrev_b32_e32 v24, 2, v3
	buffer_store_dword v3, off, s[0:3], s32 offset:468 ; 4-byte Folded Spill
	s_and_saveexec_b64 s[4:5], vcc
	s_cbranch_execz .LBB233_5
; %bb.4:
	v_mul_lo_u32 v16, s22, v21
	v_ashrrev_i32_e32 v17, 31, v16
	v_lshlrev_b64 v[16:17], 2, v[16:17]
	v_add_co_u32_e32 v3, vcc, v6, v16
	s_ashr_i32 s19, s18, 31
	v_addc_co_u32_e32 v6, vcc, v7, v17, vcc
	s_lshl_b64 s[10:11], s[18:19], 2
	v_mov_b32_e32 v7, s11
	v_add_co_u32_e32 v3, vcc, s10, v3
	v_addc_co_u32_e32 v7, vcc, v6, v7, vcc
	buffer_load_dword v6, off, s[0:3], s32 offset:468 ; 4-byte Folded Reload
	s_movk_i32 s10, 0xe0
	s_waitcnt vmcnt(0)
	v_lshlrev_b32_e32 v6, 3, v6
	v_add_co_u32_e32 v6, vcc, v3, v6
	v_addc_co_u32_e32 v7, vcc, 0, v7, vcc
	flat_load_dwordx2 v[6:7], v[6:7]
	v_and_b32_e32 v3, 0xff8, v24
	v_mad_u32_u24 v3, v10, s10, v3
	s_waitcnt vmcnt(0) lgkmcnt(0)
	ds_write_b64 v3, v[6:7]
.LBB233_5:
	s_or_b64 exec, exec, s[4:5]
	v_mul_lo_u32 v3, v1, v2
	v_sub_u32_e32 v3, s6, v3
	v_add_u32_e32 v6, 1, v1
	v_cmp_ge_u32_e32 vcc, v3, v2
	v_cndmask_b32_e32 v1, v1, v6, vcc
	v_sub_u32_e32 v6, v3, v2
	v_cndmask_b32_e32 v3, v3, v6, vcc
	v_cmp_ge_u32_e32 vcc, v3, v2
	v_sub_u32_e32 v2, 0, v5
	v_max_i32_e32 v3, v5, v2
	v_cvt_f32_u32_e32 v2, v3
	v_add_u32_e32 v6, 1, v1
	v_xor_b32_e32 v0, s7, v0
	v_cndmask_b32_e32 v1, v1, v6, vcc
	v_xor_b32_e32 v1, v1, v0
	v_sub_u32_e32 v0, v1, v0
	v_rcp_iflag_f32_e32 v1, v2
	s_waitcnt lgkmcnt(0)
	s_barrier
	v_mul_f32_e32 v1, 0x4f7ffffe, v1
	v_cvt_u32_f32_e32 v2, v1
	buffer_store_dword v3, off, s[0:3], s32 offset:212 ; 4-byte Folded Spill
	v_sub_u32_e32 v3, 0, v3
	v_add_u32_e32 v6, -1, v62
	v_mul_lo_u32 v3, v3, v2
	v_sub_u32_e32 v1, 0, v6
	v_mul_hi_u32 v3, v2, v3
	v_max_i32_e32 v1, v6, v1
	v_add_u32_e32 v2, v2, v3
	buffer_store_dword v2, off, s[0:3], s32 offset:216 ; 4-byte Folded Spill
	v_mad_u64_u32 v[2:3], s[4:5], v1, v2, 0
	v_cmp_gt_i32_e32 vcc, 0, v4
                                        ; implicit-def: $vgpr2
	buffer_store_dword v2, off, s[0:3], s32 offset:204 ; 4-byte Folded Spill
	s_nop 0
	buffer_store_dword v3, off, s[0:3], s32 offset:208 ; 4-byte Folded Spill
	s_and_saveexec_b64 s[4:5], vcc
	s_xor_b64 s[4:5], exec, s[4:5]
	s_cbranch_execz .LBB233_7
; %bb.6:
	v_mad_u64_u32 v[16:17], s[6:7], v28, v12, v[0:1]
	v_mul_lo_u32 v2, v16, v4
	v_sub_u32_e32 v2, 1, v2
	buffer_store_dword v2, off, s[0:3], s32 offset:204 ; 4-byte Folded Spill
	s_nop 0
	buffer_store_dword v3, off, s[0:3], s32 offset:208 ; 4-byte Folded Spill
                                        ; implicit-def: $vgpr28
                                        ; implicit-def: $vgpr4
.LBB233_7:
	s_or_saveexec_b64 s[4:5], s[4:5]
	v_ashrrev_i32_e32 v2, 31, v6
	v_ashrrev_i32_e32 v5, 31, v5
	buffer_store_dword v5, off, s[0:3], s32 offset:196 ; 4-byte Folded Spill
	s_xor_b64 exec, exec, s[4:5]
	s_cbranch_execz .LBB233_9
; %bb.8:
	v_mul_lo_u32 v5, s15, v28
	v_add_u32_e32 v5, s12, v5
	v_mad_u64_u32 v[4:5], s[6:7], v5, v4, 1
	buffer_store_dword v4, off, s[0:3], s32 offset:204 ; 4-byte Folded Spill
	s_nop 0
	buffer_store_dword v5, off, s[0:3], s32 offset:208 ; 4-byte Folded Spill
.LBB233_9:
	s_or_b64 exec, exec, s[4:5]
	s_load_dword s42, s[8:9], 0x14
	s_load_dword s13, s[8:9], 0x8
	buffer_load_dword v6, off, s[0:3], s32 offset:196 ; 4-byte Folded Reload
	buffer_load_dword v7, off, s[0:3], s32 offset:212 ; 4-byte Folded Reload
	s_lshl_b32 s19, s14, 4
	s_add_i32 s4, s19, 16
	v_mul_lo_u32 v4, s22, v18
	v_ashrrev_i32_e32 v5, 31, v4
	v_mul_lo_u32 v23, v0, v23
	v_mov_b32_e32 v61, 0xff7fffff
	v_ashrrev_i32_e32 v37, 31, v23
	v_sub_u32_e32 v38, 0, v30
	v_lshlrev_b64 v[34:35], 2, v[4:5]
	v_mbcnt_lo_u32_b32 v4, -1, 0
	s_waitcnt vmcnt(1)
	v_xor_b32_e32 v2, v2, v6
	s_waitcnt vmcnt(0)
	v_mul_lo_u32 v6, v3, v7
	v_sub_u32_e32 v1, v1, v6
	v_add_u32_e32 v6, 1, v3
	v_cmp_ge_u32_e32 vcc, v1, v7
	v_cndmask_b32_e32 v3, v3, v6, vcc
	v_sub_u32_e32 v6, v1, v7
	v_cndmask_b32_e32 v1, v1, v6, vcc
	v_add_u32_e32 v6, 1, v3
	v_cmp_ge_u32_e32 vcc, v1, v7
	v_cndmask_b32_e32 v1, v3, v6, vcc
	v_xor_b32_e32 v1, v1, v2
	v_sub_u32_e32 v1, v1, v2
	v_add_u32_e32 v2, 31, v62
	v_ashrrev_i32_e32 v3, 31, v2
	v_lshrrev_b32_e32 v3, 27, v3
	v_add_u32_e32 v2, v2, v3
	v_ashrrev_i32_e32 v36, 5, v2
	buffer_load_dword v2, off, s[0:3], s32 offset:468 ; 4-byte Folded Reload
	v_min_i32_e32 v3, s4, v36
	buffer_store_dword v3, off, s[0:3], s32 offset:200 ; 4-byte Folded Spill
	v_sub_u32_e32 v1, v1, v29
	buffer_store_dword v1, off, s[0:3], s32 offset:220 ; 4-byte Folded Spill
	s_waitcnt vmcnt(2)
	v_lshrrev_b32_e32 v31, 6, v2
	v_or_b32_e32 v2, s19, v31
	v_cmp_lt_i32_e64 s[4:5], v2, v3
	v_ashrrev_i32_e32 v3, 31, v2
	v_accvgpr_write_b32 a13, v3
	v_accvgpr_write_b32 a12, v2
	v_lshl_add_u32 v0, v31, 5, s23
	buffer_store_dword v0, off, s[0:3], s32 offset:516 ; 4-byte Folded Spill
	s_and_saveexec_b64 s[24:25], s[4:5]
	s_cbranch_execz .LBB233_355
; %bb.10:
	buffer_store_dword v36, off, s[0:3], s32 offset:524 ; 4-byte Folded Spill
	buffer_store_dword v24, off, s[0:3], s32 offset:520 ; 4-byte Folded Spill
	buffer_store_dword v33, off, s[0:3], s32 offset:552 ; 4-byte Folded Spill
	buffer_store_dword v32, off, s[0:3], s32 offset:556 ; 4-byte Folded Spill
	buffer_store_dword v27, off, s[0:3], s32 offset:564 ; 4-byte Folded Spill
	buffer_store_dword v26, off, s[0:3], s32 offset:560 ; 4-byte Folded Spill
	buffer_store_dword v22, off, s[0:3], s32 offset:572 ; 4-byte Folded Spill
	buffer_store_dword v20, off, s[0:3], s32 offset:568 ; 4-byte Folded Spill
	buffer_load_dword v0, off, s[0:3], s32 offset:468 ; 4-byte Folded Reload
	s_ashr_i32 s21, s20, 31
	buffer_store_dword v23, off, s[0:3], s32 offset:548 ; 4-byte Folded Spill
	buffer_store_dword v37, off, s[0:3], s32 offset:528 ; 4-byte Folded Spill
	s_lshl_b64 s[10:11], s[20:21], 2
	s_getpc_b64 s[28:29]
	s_add_u32 s28, s28, llvm.amdgcn.dynlds.offset.table@rel32@lo+4
	s_addc_u32 s29, s29, llvm.amdgcn.dynlds.offset.table@rel32@hi+12
	s_add_u32 s28, s10, s28
	s_addc_u32 s29, s11, s29
	s_mov_b32 s26, 0
	s_brev_b32 s27, 1
	v_cmp_eq_u32_e64 s[6:7], 0, v10
	v_mov_b32_e32 v5, 0
	v_mul_u32_u24_e32 v58, 0xe0, v10
	v_lshl_add_u32 v39, v31, 5, s23
	s_mov_b64 s[30:31], 0
	s_movk_i32 s43, 0x80
	s_movk_i32 s44, 0x7f
	s_mov_b32 s35, 0x7f800001
	v_mov_b32_e32 v61, 0xff7fffff
	s_waitcnt vmcnt(2)
	v_bfe_u32 v47, v0, 1, 5
	v_add_co_u32_e32 v0, vcc, v8, v23
	v_addc_co_u32_e32 v1, vcc, v9, v37, vcc
	v_lshlrev_b32_e32 v2, 4, v47
	v_add_co_u32_e32 v0, vcc, v0, v2
	v_addc_co_u32_e32 v1, vcc, 0, v1, vcc
	buffer_store_dword v0, off, s[0:3], s32 offset:492 ; 4-byte Folded Spill
	s_nop 0
	buffer_store_dword v1, off, s[0:3], s32 offset:496 ; 4-byte Folded Spill
	buffer_store_dword v30, off, s[0:3], s32 offset:580 ; 4-byte Folded Spill
	buffer_store_dword v38, off, s[0:3], s32 offset:532 ; 4-byte Folded Spill
	buffer_load_dword v2, off, s[0:3], s32 offset:500 ; 4-byte Folded Reload
	v_lshlrev_b32_e32 v0, 1, v10
	v_max_i32_e32 v1, v30, v38
	v_accvgpr_write_b32 a38, v0
	v_cvt_f32_u32_e32 v0, v1
	buffer_store_dword v1, off, s[0:3], s32 offset:264 ; 4-byte Folded Spill
	v_sub_u32_e32 v1, 0, v1
	s_load_dword s21, s[28:29], 0x0
	v_rcp_iflag_f32_e32 v0, v0
	v_mul_f32_e32 v0, 0x4f7ffffe, v0
	v_cvt_u32_f32_e32 v0, v0
	v_mul_lo_u32 v1, v1, v0
	v_mul_hi_u32 v1, v0, v1
	v_add_u32_e32 v0, v0, v1
	buffer_store_dword v0, off, s[0:3], s32 offset:256 ; 4-byte Folded Spill
	s_nop 0
	buffer_store_dword v1, off, s[0:3], s32 offset:260 ; 4-byte Folded Spill
	s_waitcnt vmcnt(3)
	v_cmp_neq_f32_e64 s[8:9], 0, v2
	v_accvgpr_read_b32 v2, a12
	v_accvgpr_read_b32 v3, a13
	v_lshlrev_b64 v[0:1], 2, v[2:3]
	v_add_co_u32_e32 v0, vcc, v34, v0
	buffer_store_dword v34, off, s[0:3], s32 offset:540 ; 4-byte Folded Spill
	s_nop 0
	buffer_store_dword v35, off, s[0:3], s32 offset:544 ; 4-byte Folded Spill
	v_mov_b32_e32 v46, v2
	buffer_store_dword v14, off, s[0:3], s32 offset:576 ; 4-byte Folded Spill
	buffer_store_dword v15, off, s[0:3], s32 offset:584 ; 4-byte Folded Spill
	;; [unrolled: 1-line block ×3, first 2 shown]
	v_addc_co_u32_e32 v1, vcc, v35, v1, vcc
	v_add_co_u32_e32 v26, vcc, v14, v0
	v_lshlrev_b32_e32 v0, 2, v47
	v_lshl_or_b32 v60, v31, 7, v0
	v_sub_u32_e32 v0, v47, v62
	v_add_u32_e32 v0, 1, v0
	v_addc_co_u32_e32 v27, vcc, v15, v1, vcc
	buffer_store_dword v0, off, s[0:3], s32 offset:504 ; 4-byte Folded Spill
	v_mbcnt_hi_u32_b32 v0, -1, v4
	buffer_store_dword v0, off, s[0:3], s32 offset:488 ; 4-byte Folded Spill
	s_branch .LBB233_13
.LBB233_11:                             ;   in Loop: Header=BB233_13 Depth=1
	s_or_b64 exec, exec, s[36:37]
.LBB233_12:                             ;   in Loop: Header=BB233_13 Depth=1
	s_or_b64 exec, exec, s[10:11]
	buffer_load_dword v0, off, s[0:3], s32 offset:200 ; 4-byte Folded Reload
	v_add_co_u32_e32 v26, vcc, 8, v26
	v_add_u32_e32 v46, 2, v46
	v_addc_co_u32_e32 v27, vcc, 0, v27, vcc
	v_add_u32_e32 v39, 64, v39
	v_add_u32_e32 v60, 0x100, v60
	s_waitcnt vmcnt(0)
	v_cmp_ge_i32_e32 vcc, v46, v0
	s_or_b64 s[30:31], vcc, s[30:31]
	s_andn2_b64 exec, exec, s[30:31]
	s_cbranch_execz .LBB233_354
.LBB233_13:                             ; =>This Inner Loop Header: Depth=1
	s_waitcnt lgkmcnt(0)
	buffer_load_dword v1, off, s[0:3], s32 offset:196 ; 4-byte Folded Reload
	buffer_load_dword v4, off, s[0:3], s32 offset:212 ; 4-byte Folded Reload
	;; [unrolled: 1-line block ×3, first 2 shown]
	v_ashrrev_i32_e32 v0, 31, v39
	s_waitcnt vmcnt(2)
	v_xor_b32_e32 v0, v0, v1
	v_sub_u32_e32 v1, 0, v39
	v_max_i32_e32 v1, v39, v1
	s_waitcnt vmcnt(0)
	v_mul_hi_u32 v2, v1, v2
	v_mul_lo_u32 v3, v2, v4
	v_sub_u32_e32 v1, v1, v3
	v_add_u32_e32 v3, 1, v2
	v_cmp_ge_u32_e32 vcc, v1, v4
	v_cndmask_b32_e32 v2, v2, v3, vcc
	v_sub_u32_e32 v3, v1, v4
	v_cndmask_b32_e32 v1, v1, v3, vcc
	v_add_u32_e32 v3, 1, v2
	v_cmp_ge_u32_e32 vcc, v1, v4
	v_cndmask_b32_e32 v1, v2, v3, vcc
	buffer_load_dword v2, off, s[0:3], s32 offset:204 ; 4-byte Folded Reload
	buffer_load_dword v3, off, s[0:3], s32 offset:208 ; 4-byte Folded Reload
	buffer_load_dword v6, off, s[0:3], s32 offset:256 ; 4-byte Folded Reload
	buffer_load_dword v7, off, s[0:3], s32 offset:260 ; 4-byte Folded Reload
	buffer_load_dword v4, off, s[0:3], s32 offset:264 ; 4-byte Folded Reload
	v_xor_b32_e32 v1, v1, v0
	v_sub_u32_e32 v0, v1, v0
	s_waitcnt vmcnt(4)
	v_add_u32_e32 v1, v0, v2
	s_waitcnt vmcnt(3)
	v_sub_u32_e32 v3, 0, v1
	v_ashrrev_i32_e32 v2, 31, v1
	v_max_i32_e32 v1, v1, v3
	s_waitcnt vmcnt(2)
	v_mul_hi_u32 v3, v1, v6
	s_waitcnt vmcnt(0)
	v_mul_lo_u32 v3, v3, v4
	v_sub_u32_e32 v1, v1, v3
	v_sub_u32_e32 v3, v1, v4
	v_cmp_ge_u32_e32 vcc, v1, v4
	v_cndmask_b32_e32 v1, v1, v3, vcc
	v_sub_u32_e32 v3, v1, v4
	v_cmp_ge_u32_e32 vcc, v1, v4
	v_cndmask_b32_e32 v1, v1, v3, vcc
	v_xor_b32_e32 v1, v1, v2
	v_sub_u32_e32 v1, v1, v2
	v_cmp_ne_u32_e32 vcc, 0, v1
	buffer_load_dword v1, off, s[0:3], s32 offset:220 ; 4-byte Folded Reload
	s_waitcnt vmcnt(0)
	v_cmp_le_i32_e64 s[10:11], v0, v1
	s_and_b64 s[10:11], vcc, s[10:11]
	s_and_b64 s[36:37], s[6:7], s[10:11]
	s_and_saveexec_b64 vcc, s[36:37]
	s_cbranch_execz .LBB233_15
; %bb.14:                               ;   in Loop: Header=BB233_13 Depth=1
	s_waitcnt lgkmcnt(0)
	v_add_u32_e32 v0, s21, v60
	v_mov_b32_e32 v1, 0xff7fffff
	ds_write_b32 v0, v1
.LBB233_15:                             ;   in Loop: Header=BB233_13 Depth=1
	s_or_b64 exec, exec, vcc
	s_xor_b64 vcc, s[10:11], -1
	s_and_saveexec_b64 s[10:11], vcc
	s_cbranch_execz .LBB233_12
; %bb.16:                               ;   in Loop: Header=BB233_13 Depth=1
	flat_load_dword v0, v[26:27]
	buffer_load_dword v2, off, s[0:3], s32 offset:248 ; 4-byte Folded Reload
	buffer_load_dword v3, off, s[0:3], s32 offset:252 ; 4-byte Folded Reload
	;; [unrolled: 1-line block ×4, first 2 shown]
	v_pk_mov_b32 v[24:25], 0, 0
	v_pk_mov_b32 v[22:23], v[24:25], v[24:25] op_sel:[0,1]
	s_waitcnt vmcnt(0) lgkmcnt(0)
	v_mad_i64_i32 v[0:1], vcc, v0, v2, v[6:7]
	v_accvgpr_read_b32 v2, a38
	v_add_co_u32_e32 v0, vcc, v0, v2
	v_addc_co_u32_e32 v1, vcc, 0, v1, vcc
	flat_load_ushort v3, v[0:1]
	buffer_load_dword v6, off, s[0:3], s32 offset:480 ; 4-byte Folded Reload
	buffer_load_dword v7, off, s[0:3], s32 offset:484 ; 4-byte Folded Reload
	s_waitcnt vmcnt(0) lgkmcnt(0)
	v_and_b32_e32 v2, 0xffff, v3
	flat_load_dword v12, v[6:7]
	ds_read_b128 v[6:9], v58
	s_waitcnt lgkmcnt(0)
	buffer_store_dword v6, off, s[0:3], s32 offset:452 ; 4-byte Folded Spill
	s_nop 0
	buffer_store_dword v7, off, s[0:3], s32 offset:456 ; 4-byte Folded Spill
	buffer_store_dword v8, off, s[0:3], s32 offset:460 ; 4-byte Folded Spill
	buffer_store_dword v9, off, s[0:3], s32 offset:464 ; 4-byte Folded Spill
	ds_read_b128 v[6:9], v58 offset:16
	s_waitcnt lgkmcnt(0)
	buffer_store_dword v6, off, s[0:3], s32 offset:436 ; 4-byte Folded Spill
	s_nop 0
	buffer_store_dword v7, off, s[0:3], s32 offset:440 ; 4-byte Folded Spill
	buffer_store_dword v8, off, s[0:3], s32 offset:444 ; 4-byte Folded Spill
	buffer_store_dword v9, off, s[0:3], s32 offset:448 ; 4-byte Folded Spill
	ds_read_b128 v[6:9], v58 offset:32
	;; [unrolled: 7-line block ×7, first 2 shown]
	s_waitcnt lgkmcnt(0)
	buffer_store_dword v6, off, s[0:3], s32 offset:340 ; 4-byte Folded Spill
	s_nop 0
	buffer_store_dword v7, off, s[0:3], s32 offset:344 ; 4-byte Folded Spill
	buffer_store_dword v8, off, s[0:3], s32 offset:348 ; 4-byte Folded Spill
	;; [unrolled: 1-line block ×3, first 2 shown]
	ds_read_b64 v[6:7], v58 offset:192
	s_waitcnt lgkmcnt(0)
	buffer_store_dword v6, off, s[0:3], s32 offset:268 ; 4-byte Folded Spill
	s_nop 0
	buffer_store_dword v7, off, s[0:3], s32 offset:272 ; 4-byte Folded Spill
	ds_read_b128 v[6:9], v58 offset:128
	s_waitcnt lgkmcnt(0)
	buffer_store_dword v6, off, s[0:3], s32 offset:324 ; 4-byte Folded Spill
	s_nop 0
	buffer_store_dword v7, off, s[0:3], s32 offset:328 ; 4-byte Folded Spill
	buffer_store_dword v8, off, s[0:3], s32 offset:332 ; 4-byte Folded Spill
	buffer_store_dword v9, off, s[0:3], s32 offset:336 ; 4-byte Folded Spill
	ds_read_b128 v[6:9], v58 offset:144
	s_waitcnt lgkmcnt(0)
	buffer_store_dword v6, off, s[0:3], s32 offset:308 ; 4-byte Folded Spill
	s_nop 0
	buffer_store_dword v7, off, s[0:3], s32 offset:312 ; 4-byte Folded Spill
	buffer_store_dword v8, off, s[0:3], s32 offset:316 ; 4-byte Folded Spill
	;; [unrolled: 7-line block ×3, first 2 shown]
	buffer_store_dword v9, off, s[0:3], s32 offset:304 ; 4-byte Folded Spill
	ds_read_b128 v[6:9], v58 offset:176
	v_cmp_ne_u16_sdwa vcc, v3, v5 src0_sel:BYTE_0 src1_sel:DWORD
	s_waitcnt lgkmcnt(0)
	buffer_store_dword v6, off, s[0:3], s32 offset:276 ; 4-byte Folded Spill
	s_nop 0
	buffer_store_dword v7, off, s[0:3], s32 offset:280 ; 4-byte Folded Spill
	buffer_store_dword v8, off, s[0:3], s32 offset:284 ; 4-byte Folded Spill
	;; [unrolled: 1-line block ×3, first 2 shown]
	s_and_saveexec_b64 s[36:37], vcc
	s_cbranch_execz .LBB233_22
; %bb.17:                               ;   in Loop: Header=BB233_13 Depth=1
	v_bfrev_b32_e32 v22, 1
	v_cmp_ne_u16_sdwa vcc, v2, s43 src0_sel:BYTE_0 src1_sel:DWORD
	v_mov_b32_e32 v23, 0
	s_and_saveexec_b64 s[38:39], vcc
	s_cbranch_execz .LBB233_21
; %bb.18:                               ;   in Loop: Header=BB233_13 Depth=1
	v_and_b32_e32 v3, 0x7f, v2
	v_mov_b32_e32 v22, 0x7f800001
	v_cmp_ne_u32_e32 vcc, s44, v3
	v_mov_b32_e32 v23, 0
	s_and_saveexec_b64 s[40:41], vcc
	s_cbranch_execz .LBB233_20
; %bb.19:                               ;   in Loop: Header=BB233_13 Depth=1
	v_and_b32_e32 v4, 7, v2
	v_ffbh_u32_e32 v6, v4
	v_min_u32_e32 v9, 32, v6
	v_subrev_u32_e32 v6, 28, v9
	v_lshlrev_b64 v[6:7], v6, v[2:3]
	v_lshrrev_b32_e32 v8, 3, v3
	v_sub_u32_e32 v7, 29, v9
	v_and_b32_e32 v6, 7, v6
	v_cmp_gt_u32_e32 vcc, 8, v3
	v_cndmask_b32_e32 v3, v8, v7, vcc
	v_cndmask_b32_e32 v4, v4, v6, vcc
	v_bfrev_b32_e32 v7, 60
	v_lshlrev_b32_e32 v4, 20, v4
	v_and_b32_sdwa v6, sext(v2), s27 dst_sel:DWORD dst_unused:UNUSED_PAD src0_sel:BYTE_0 src1_sel:DWORD
	v_lshl_add_u32 v3, v3, 23, v7
	v_or3_b32 v4, v6, v3, v4
	v_pk_mov_b32 v[22:23], v[4:5], v[4:5] op_sel:[0,1]
.LBB233_20:                             ;   in Loop: Header=BB233_13 Depth=1
	s_or_b64 exec, exec, s[40:41]
.LBB233_21:                             ;   in Loop: Header=BB233_13 Depth=1
	s_or_b64 exec, exec, s[38:39]
.LBB233_22:                             ;   in Loop: Header=BB233_13 Depth=1
	s_or_b64 exec, exec, s[36:37]
	v_cmp_ne_u16_sdwa vcc, v2, v5 src0_sel:BYTE_1 src1_sel:DWORD
	s_and_saveexec_b64 s[36:37], vcc
	s_cbranch_execz .LBB233_28
; %bb.23:                               ;   in Loop: Header=BB233_13 Depth=1
	v_cmp_ne_u16_sdwa vcc, v2, s43 src0_sel:BYTE_1 src1_sel:DWORD
	v_pk_mov_b32 v[24:25], s[26:27], s[26:27] op_sel:[0,1]
	s_and_saveexec_b64 s[38:39], vcc
	s_cbranch_execz .LBB233_27
; %bb.24:                               ;   in Loop: Header=BB233_13 Depth=1
	v_and_b32_sdwa v3, v2, s44 dst_sel:DWORD dst_unused:UNUSED_PAD src0_sel:BYTE_1 src1_sel:DWORD
	s_mov_b32 s34, s26
	v_cmp_ne_u32_e32 vcc, s44, v3
	v_pk_mov_b32 v[24:25], s[34:35], s[34:35] op_sel:[0,1]
	s_and_saveexec_b64 s[40:41], vcc
	s_cbranch_execz .LBB233_26
; %bb.25:                               ;   in Loop: Header=BB233_13 Depth=1
	v_mov_b32_e32 v4, 7
	v_and_b32_sdwa v4, v2, v4 dst_sel:DWORD dst_unused:UNUSED_PAD src0_sel:BYTE_1 src1_sel:DWORD
	v_ffbh_u32_e32 v6, v4
	v_min_u32_e32 v9, 32, v6
	v_subrev_u32_e32 v6, 28, v9
	v_lshlrev_b64 v[6:7], v6, v[4:5]
	v_lshrrev_b32_e32 v8, 3, v3
	v_sub_u32_e32 v7, 29, v9
	v_and_b32_e32 v6, 7, v6
	v_cmp_gt_u32_e32 vcc, 8, v3
	v_cndmask_b32_e32 v3, v8, v7, vcc
	v_cndmask_b32_e32 v4, v4, v6, vcc
	v_bfrev_b32_e32 v6, 60
	v_lshlrev_b32_e32 v2, 16, v2
	v_lshl_add_u32 v3, v3, 23, v6
	v_and_or_b32 v2, v2, s27, v3
	v_lshlrev_b32_e32 v3, 20, v4
	v_or_b32_e32 v25, v2, v3
	v_mov_b32_e32 v24, v5
.LBB233_26:                             ;   in Loop: Header=BB233_13 Depth=1
	s_or_b64 exec, exec, s[40:41]
.LBB233_27:                             ;   in Loop: Header=BB233_13 Depth=1
	s_or_b64 exec, exec, s[38:39]
.LBB233_28:                             ;   in Loop: Header=BB233_13 Depth=1
	s_or_b64 exec, exec, s[36:37]
	flat_load_ushort v3, v[0:1] offset:4
	v_pk_mov_b32 v[50:51], 0, 0
	buffer_store_dword v50, off, s[0:3], s32 offset:224 ; 4-byte Folded Spill
	s_nop 0
	buffer_store_dword v51, off, s[0:3], s32 offset:228 ; 4-byte Folded Spill
	s_waitcnt vmcnt(0) lgkmcnt(0)
	v_and_b32_e32 v2, 0xffff, v3
	v_cmp_ne_u16_sdwa vcc, v3, v5 src0_sel:BYTE_0 src1_sel:DWORD
	s_and_saveexec_b64 s[36:37], vcc
	s_cbranch_execz .LBB233_34
; %bb.29:                               ;   in Loop: Header=BB233_13 Depth=1
	v_bfrev_b32_e32 v6, 1
	v_cmp_ne_u16_sdwa vcc, v2, s43 src0_sel:BYTE_0 src1_sel:DWORD
	v_mov_b32_e32 v7, 0
	buffer_store_dword v6, off, s[0:3], s32 offset:224 ; 4-byte Folded Spill
	s_nop 0
	buffer_store_dword v7, off, s[0:3], s32 offset:228 ; 4-byte Folded Spill
	s_and_saveexec_b64 s[38:39], vcc
	s_cbranch_execz .LBB233_33
; %bb.30:                               ;   in Loop: Header=BB233_13 Depth=1
	v_and_b32_e32 v3, 0x7f, v2
	v_mov_b32_e32 v6, 0x7f800001
	v_cmp_ne_u32_e32 vcc, s44, v3
	v_mov_b32_e32 v7, 0
	buffer_store_dword v6, off, s[0:3], s32 offset:224 ; 4-byte Folded Spill
	s_nop 0
	buffer_store_dword v7, off, s[0:3], s32 offset:228 ; 4-byte Folded Spill
	s_and_saveexec_b64 s[40:41], vcc
	s_cbranch_execz .LBB233_32
; %bb.31:                               ;   in Loop: Header=BB233_13 Depth=1
	v_and_b32_e32 v4, 7, v2
	v_ffbh_u32_e32 v6, v4
	v_min_u32_e32 v9, 32, v6
	v_subrev_u32_e32 v6, 28, v9
	v_lshlrev_b64 v[6:7], v6, v[2:3]
	v_lshrrev_b32_e32 v8, 3, v3
	v_sub_u32_e32 v7, 29, v9
	v_and_b32_e32 v6, 7, v6
	v_cmp_gt_u32_e32 vcc, 8, v3
	v_cndmask_b32_e32 v3, v8, v7, vcc
	v_cndmask_b32_e32 v4, v4, v6, vcc
	v_bfrev_b32_e32 v7, 60
	v_lshlrev_b32_e32 v4, 20, v4
	v_and_b32_sdwa v6, sext(v2), s27 dst_sel:DWORD dst_unused:UNUSED_PAD src0_sel:BYTE_0 src1_sel:DWORD
	v_lshl_add_u32 v3, v3, 23, v7
	v_or3_b32 v4, v6, v3, v4
	buffer_store_dword v4, off, s[0:3], s32 offset:224 ; 4-byte Folded Spill
	s_nop 0
	buffer_store_dword v5, off, s[0:3], s32 offset:228 ; 4-byte Folded Spill
.LBB233_32:                             ;   in Loop: Header=BB233_13 Depth=1
	s_or_b64 exec, exec, s[40:41]
.LBB233_33:                             ;   in Loop: Header=BB233_13 Depth=1
	s_or_b64 exec, exec, s[38:39]
.LBB233_34:                             ;   in Loop: Header=BB233_13 Depth=1
	s_or_b64 exec, exec, s[36:37]
	v_cmp_ne_u16_sdwa vcc, v2, v5 src0_sel:BYTE_1 src1_sel:DWORD
	s_and_saveexec_b64 s[36:37], vcc
	s_cbranch_execz .LBB233_40
; %bb.35:                               ;   in Loop: Header=BB233_13 Depth=1
	v_cmp_ne_u16_sdwa vcc, v2, s43 src0_sel:BYTE_1 src1_sel:DWORD
	v_pk_mov_b32 v[50:51], s[26:27], s[26:27] op_sel:[0,1]
	s_and_saveexec_b64 s[38:39], vcc
	s_cbranch_execz .LBB233_39
; %bb.36:                               ;   in Loop: Header=BB233_13 Depth=1
	v_and_b32_sdwa v3, v2, s44 dst_sel:DWORD dst_unused:UNUSED_PAD src0_sel:BYTE_1 src1_sel:DWORD
	s_mov_b32 s34, s26
	v_cmp_ne_u32_e32 vcc, s44, v3
	v_pk_mov_b32 v[50:51], s[34:35], s[34:35] op_sel:[0,1]
	s_and_saveexec_b64 s[40:41], vcc
	s_cbranch_execz .LBB233_38
; %bb.37:                               ;   in Loop: Header=BB233_13 Depth=1
	v_mov_b32_e32 v4, 7
	v_and_b32_sdwa v4, v2, v4 dst_sel:DWORD dst_unused:UNUSED_PAD src0_sel:BYTE_1 src1_sel:DWORD
	v_ffbh_u32_e32 v6, v4
	v_min_u32_e32 v9, 32, v6
	v_subrev_u32_e32 v6, 28, v9
	v_lshlrev_b64 v[6:7], v6, v[4:5]
	v_lshrrev_b32_e32 v8, 3, v3
	v_sub_u32_e32 v7, 29, v9
	v_and_b32_e32 v6, 7, v6
	v_cmp_gt_u32_e32 vcc, 8, v3
	v_cndmask_b32_e32 v3, v8, v7, vcc
	v_cndmask_b32_e32 v4, v4, v6, vcc
	v_bfrev_b32_e32 v6, 60
	v_lshlrev_b32_e32 v2, 16, v2
	v_lshl_add_u32 v3, v3, 23, v6
	v_and_or_b32 v2, v2, s27, v3
	v_lshlrev_b32_e32 v3, 20, v4
	v_or_b32_e32 v51, v2, v3
	v_mov_b32_e32 v50, v5
.LBB233_38:                             ;   in Loop: Header=BB233_13 Depth=1
	s_or_b64 exec, exec, s[40:41]
.LBB233_39:                             ;   in Loop: Header=BB233_13 Depth=1
	s_or_b64 exec, exec, s[38:39]
.LBB233_40:                             ;   in Loop: Header=BB233_13 Depth=1
	s_or_b64 exec, exec, s[36:37]
	flat_load_ushort v3, v[0:1] offset:8
	v_pk_mov_b32 v[6:7], 0, 0
	buffer_store_dword v6, off, s[0:3], s32 offset:240 ; 4-byte Folded Spill
	s_nop 0
	buffer_store_dword v7, off, s[0:3], s32 offset:244 ; 4-byte Folded Spill
	buffer_store_dword v6, off, s[0:3], s32 offset:232 ; 4-byte Folded Spill
	s_nop 0
	buffer_store_dword v7, off, s[0:3], s32 offset:236 ; 4-byte Folded Spill
	s_waitcnt vmcnt(0) lgkmcnt(0)
	v_and_b32_e32 v2, 0xffff, v3
	v_cmp_ne_u16_sdwa vcc, v3, v5 src0_sel:BYTE_0 src1_sel:DWORD
	s_and_saveexec_b64 s[36:37], vcc
	s_cbranch_execz .LBB233_46
; %bb.41:                               ;   in Loop: Header=BB233_13 Depth=1
	v_bfrev_b32_e32 v6, 1
	v_cmp_ne_u16_sdwa vcc, v2, s43 src0_sel:BYTE_0 src1_sel:DWORD
	v_mov_b32_e32 v7, 0
	buffer_store_dword v6, off, s[0:3], s32 offset:232 ; 4-byte Folded Spill
	s_nop 0
	buffer_store_dword v7, off, s[0:3], s32 offset:236 ; 4-byte Folded Spill
	s_and_saveexec_b64 s[38:39], vcc
	s_cbranch_execz .LBB233_45
; %bb.42:                               ;   in Loop: Header=BB233_13 Depth=1
	v_and_b32_e32 v3, 0x7f, v2
	v_mov_b32_e32 v6, 0x7f800001
	v_cmp_ne_u32_e32 vcc, s44, v3
	v_mov_b32_e32 v7, 0
	buffer_store_dword v6, off, s[0:3], s32 offset:232 ; 4-byte Folded Spill
	s_nop 0
	buffer_store_dword v7, off, s[0:3], s32 offset:236 ; 4-byte Folded Spill
	s_and_saveexec_b64 s[40:41], vcc
	s_cbranch_execz .LBB233_44
; %bb.43:                               ;   in Loop: Header=BB233_13 Depth=1
	v_and_b32_e32 v4, 7, v2
	v_ffbh_u32_e32 v6, v4
	v_min_u32_e32 v9, 32, v6
	v_subrev_u32_e32 v6, 28, v9
	v_lshlrev_b64 v[6:7], v6, v[2:3]
	v_lshrrev_b32_e32 v8, 3, v3
	v_sub_u32_e32 v7, 29, v9
	v_and_b32_e32 v6, 7, v6
	v_cmp_gt_u32_e32 vcc, 8, v3
	v_cndmask_b32_e32 v3, v8, v7, vcc
	v_cndmask_b32_e32 v4, v4, v6, vcc
	v_bfrev_b32_e32 v7, 60
	v_lshlrev_b32_e32 v4, 20, v4
	v_and_b32_sdwa v6, sext(v2), s27 dst_sel:DWORD dst_unused:UNUSED_PAD src0_sel:BYTE_0 src1_sel:DWORD
	v_lshl_add_u32 v3, v3, 23, v7
	v_or3_b32 v4, v6, v3, v4
	buffer_store_dword v4, off, s[0:3], s32 offset:232 ; 4-byte Folded Spill
	s_nop 0
	buffer_store_dword v5, off, s[0:3], s32 offset:236 ; 4-byte Folded Spill
.LBB233_44:                             ;   in Loop: Header=BB233_13 Depth=1
	s_or_b64 exec, exec, s[40:41]
.LBB233_45:                             ;   in Loop: Header=BB233_13 Depth=1
	s_or_b64 exec, exec, s[38:39]
.LBB233_46:                             ;   in Loop: Header=BB233_13 Depth=1
	s_or_b64 exec, exec, s[36:37]
	v_cmp_ne_u16_sdwa vcc, v2, v5 src0_sel:BYTE_1 src1_sel:DWORD
	s_and_saveexec_b64 s[36:37], vcc
	s_cbranch_execz .LBB233_52
; %bb.47:                               ;   in Loop: Header=BB233_13 Depth=1
	v_cmp_ne_u16_sdwa vcc, v2, s43 src0_sel:BYTE_1 src1_sel:DWORD
	v_pk_mov_b32 v[6:7], s[26:27], s[26:27] op_sel:[0,1]
	buffer_store_dword v6, off, s[0:3], s32 offset:240 ; 4-byte Folded Spill
	s_nop 0
	buffer_store_dword v7, off, s[0:3], s32 offset:244 ; 4-byte Folded Spill
	s_and_saveexec_b64 s[38:39], vcc
	s_cbranch_execz .LBB233_51
; %bb.48:                               ;   in Loop: Header=BB233_13 Depth=1
	v_and_b32_sdwa v3, v2, s44 dst_sel:DWORD dst_unused:UNUSED_PAD src0_sel:BYTE_1 src1_sel:DWORD
	s_mov_b32 s34, s26
	v_cmp_ne_u32_e32 vcc, s44, v3
	v_pk_mov_b32 v[6:7], s[34:35], s[34:35] op_sel:[0,1]
	buffer_store_dword v6, off, s[0:3], s32 offset:240 ; 4-byte Folded Spill
	s_nop 0
	buffer_store_dword v7, off, s[0:3], s32 offset:244 ; 4-byte Folded Spill
	s_and_saveexec_b64 s[40:41], vcc
	s_cbranch_execz .LBB233_50
; %bb.49:                               ;   in Loop: Header=BB233_13 Depth=1
	v_mov_b32_e32 v4, 7
	v_and_b32_sdwa v4, v2, v4 dst_sel:DWORD dst_unused:UNUSED_PAD src0_sel:BYTE_1 src1_sel:DWORD
	v_ffbh_u32_e32 v6, v4
	v_min_u32_e32 v9, 32, v6
	v_subrev_u32_e32 v6, 28, v9
	v_lshlrev_b64 v[6:7], v6, v[4:5]
	v_lshrrev_b32_e32 v8, 3, v3
	v_sub_u32_e32 v7, 29, v9
	v_and_b32_e32 v6, 7, v6
	v_cmp_gt_u32_e32 vcc, 8, v3
	v_cndmask_b32_e32 v3, v8, v7, vcc
	v_cndmask_b32_e32 v4, v4, v6, vcc
	v_bfrev_b32_e32 v6, 60
	v_lshlrev_b32_e32 v2, 16, v2
	v_lshl_add_u32 v3, v3, 23, v6
	v_and_or_b32 v2, v2, s27, v3
	v_lshlrev_b32_e32 v3, 20, v4
	v_or_b32_e32 v3, v2, v3
	v_mov_b32_e32 v2, v5
	buffer_store_dword v2, off, s[0:3], s32 offset:240 ; 4-byte Folded Spill
	s_nop 0
	buffer_store_dword v3, off, s[0:3], s32 offset:244 ; 4-byte Folded Spill
.LBB233_50:                             ;   in Loop: Header=BB233_13 Depth=1
	s_or_b64 exec, exec, s[40:41]
.LBB233_51:                             ;   in Loop: Header=BB233_13 Depth=1
	s_or_b64 exec, exec, s[38:39]
.LBB233_52:                             ;   in Loop: Header=BB233_13 Depth=1
	s_or_b64 exec, exec, s[36:37]
	flat_load_ushort v3, v[0:1] offset:12
	v_pk_mov_b32 v[6:7], 0, 0
	v_accvgpr_write_b32 a41, v7
	v_accvgpr_write_b32 a63, v7
	;; [unrolled: 1-line block ×4, first 2 shown]
	s_waitcnt vmcnt(0) lgkmcnt(0)
	v_and_b32_e32 v2, 0xffff, v3
	v_cmp_ne_u16_sdwa vcc, v3, v5 src0_sel:BYTE_0 src1_sel:DWORD
	s_and_saveexec_b64 s[36:37], vcc
	s_cbranch_execz .LBB233_58
; %bb.53:                               ;   in Loop: Header=BB233_13 Depth=1
	v_bfrev_b32_e32 v6, 1
	v_mov_b32_e32 v7, 0
	v_accvgpr_write_b32 a63, v7
	v_cmp_ne_u16_sdwa vcc, v2, s43 src0_sel:BYTE_0 src1_sel:DWORD
	v_accvgpr_write_b32 a62, v6
	s_and_saveexec_b64 s[38:39], vcc
	s_cbranch_execz .LBB233_57
; %bb.54:                               ;   in Loop: Header=BB233_13 Depth=1
	v_mov_b32_e32 v6, 0x7f800001
	v_mov_b32_e32 v7, 0
	v_and_b32_e32 v3, 0x7f, v2
	v_accvgpr_write_b32 a63, v7
	v_cmp_ne_u32_e32 vcc, s44, v3
	v_accvgpr_write_b32 a62, v6
	s_and_saveexec_b64 s[40:41], vcc
	s_cbranch_execz .LBB233_56
; %bb.55:                               ;   in Loop: Header=BB233_13 Depth=1
	v_and_b32_e32 v4, 7, v2
	v_lshrrev_b32_e32 v8, 3, v3
	v_cmp_gt_u32_e32 vcc, 8, v3
	v_ffbh_u32_e32 v3, v4
	v_min_u32_e32 v3, 32, v3
	v_subrev_u32_e32 v6, 28, v3
	v_lshlrev_b64 v[6:7], v6, v[2:3]
	v_sub_u32_e32 v3, 29, v3
	v_and_b32_e32 v6, 7, v6
	v_cndmask_b32_e32 v3, v8, v3, vcc
	v_cndmask_b32_e32 v4, v4, v6, vcc
	v_bfrev_b32_e32 v7, 60
	v_lshlrev_b32_e32 v4, 20, v4
	v_and_b32_sdwa v6, sext(v2), s27 dst_sel:DWORD dst_unused:UNUSED_PAD src0_sel:BYTE_0 src1_sel:DWORD
	v_lshl_add_u32 v3, v3, 23, v7
	v_or3_b32 v4, v6, v3, v4
	v_accvgpr_write_b32 a63, v5
	v_accvgpr_write_b32 a62, v4
.LBB233_56:                             ;   in Loop: Header=BB233_13 Depth=1
	s_or_b64 exec, exec, s[40:41]
.LBB233_57:                             ;   in Loop: Header=BB233_13 Depth=1
	s_or_b64 exec, exec, s[38:39]
.LBB233_58:                             ;   in Loop: Header=BB233_13 Depth=1
	s_or_b64 exec, exec, s[36:37]
	v_cmp_ne_u16_sdwa vcc, v2, v5 src0_sel:BYTE_1 src1_sel:DWORD
	s_and_saveexec_b64 s[36:37], vcc
	s_cbranch_execz .LBB233_64
; %bb.59:                               ;   in Loop: Header=BB233_13 Depth=1
	v_accvgpr_write_b32 a41, s27
	v_cmp_ne_u16_sdwa vcc, v2, s43 src0_sel:BYTE_1 src1_sel:DWORD
	v_accvgpr_write_b32 a40, s26
	s_and_saveexec_b64 s[38:39], vcc
	s_cbranch_execz .LBB233_63
; %bb.60:                               ;   in Loop: Header=BB233_13 Depth=1
	v_and_b32_sdwa v3, v2, s44 dst_sel:DWORD dst_unused:UNUSED_PAD src0_sel:BYTE_1 src1_sel:DWORD
	s_mov_b32 s34, s26
	v_accvgpr_write_b32 a41, s35
	v_cmp_ne_u32_e32 vcc, s44, v3
	v_accvgpr_write_b32 a40, s34
	s_and_saveexec_b64 s[40:41], vcc
	s_cbranch_execz .LBB233_62
; %bb.61:                               ;   in Loop: Header=BB233_13 Depth=1
	v_mov_b32_e32 v4, 7
	v_and_b32_sdwa v4, v2, v4 dst_sel:DWORD dst_unused:UNUSED_PAD src0_sel:BYTE_1 src1_sel:DWORD
	v_lshrrev_b32_e32 v8, 3, v3
	v_cmp_gt_u32_e32 vcc, 8, v3
	v_ffbh_u32_e32 v3, v4
	v_min_u32_e32 v3, 32, v3
	v_subrev_u32_e32 v6, 28, v3
	v_lshlrev_b64 v[6:7], v6, v[4:5]
	v_sub_u32_e32 v3, 29, v3
	v_and_b32_e32 v6, 7, v6
	v_cndmask_b32_e32 v3, v8, v3, vcc
	v_cndmask_b32_e32 v4, v4, v6, vcc
	v_bfrev_b32_e32 v6, 60
	v_lshlrev_b32_e32 v2, 16, v2
	v_lshl_add_u32 v3, v3, 23, v6
	v_and_or_b32 v2, v2, s27, v3
	v_lshlrev_b32_e32 v3, 20, v4
	v_or_b32_e32 v3, v2, v3
	v_mov_b32_e32 v2, v5
	v_accvgpr_write_b32 a41, v3
	v_accvgpr_write_b32 a40, v2
.LBB233_62:                             ;   in Loop: Header=BB233_13 Depth=1
	s_or_b64 exec, exec, s[40:41]
.LBB233_63:                             ;   in Loop: Header=BB233_13 Depth=1
	s_or_b64 exec, exec, s[38:39]
.LBB233_64:                             ;   in Loop: Header=BB233_13 Depth=1
	s_or_b64 exec, exec, s[36:37]
	flat_load_ushort v3, v[0:1] offset:512
	v_pk_mov_b32 v[6:7], 0, 0
	v_accvgpr_write_b32 a45, v7
	v_accvgpr_write_b32 a49, v7
	;; [unrolled: 1-line block ×4, first 2 shown]
	s_waitcnt vmcnt(0) lgkmcnt(0)
	v_and_b32_e32 v2, 0xffff, v3
	v_cmp_ne_u16_sdwa vcc, v3, v5 src0_sel:BYTE_0 src1_sel:DWORD
	s_and_saveexec_b64 s[36:37], vcc
	s_cbranch_execz .LBB233_70
; %bb.65:                               ;   in Loop: Header=BB233_13 Depth=1
	v_bfrev_b32_e32 v6, 1
	v_mov_b32_e32 v7, 0
	v_accvgpr_write_b32 a49, v7
	v_cmp_ne_u16_sdwa vcc, v2, s43 src0_sel:BYTE_0 src1_sel:DWORD
	v_accvgpr_write_b32 a48, v6
	s_and_saveexec_b64 s[38:39], vcc
	s_cbranch_execz .LBB233_69
; %bb.66:                               ;   in Loop: Header=BB233_13 Depth=1
	v_mov_b32_e32 v6, 0x7f800001
	v_mov_b32_e32 v7, 0
	v_and_b32_e32 v3, 0x7f, v2
	v_accvgpr_write_b32 a49, v7
	v_cmp_ne_u32_e32 vcc, s44, v3
	v_accvgpr_write_b32 a48, v6
	s_and_saveexec_b64 s[40:41], vcc
	s_cbranch_execz .LBB233_68
; %bb.67:                               ;   in Loop: Header=BB233_13 Depth=1
	v_and_b32_e32 v4, 7, v2
	v_lshrrev_b32_e32 v8, 3, v3
	v_cmp_gt_u32_e32 vcc, 8, v3
	v_ffbh_u32_e32 v3, v4
	v_min_u32_e32 v3, 32, v3
	v_subrev_u32_e32 v6, 28, v3
	v_lshlrev_b64 v[6:7], v6, v[2:3]
	v_sub_u32_e32 v3, 29, v3
	v_and_b32_e32 v6, 7, v6
	v_cndmask_b32_e32 v3, v8, v3, vcc
	v_cndmask_b32_e32 v4, v4, v6, vcc
	v_bfrev_b32_e32 v7, 60
	v_lshlrev_b32_e32 v4, 20, v4
	v_and_b32_sdwa v6, sext(v2), s27 dst_sel:DWORD dst_unused:UNUSED_PAD src0_sel:BYTE_0 src1_sel:DWORD
	v_lshl_add_u32 v3, v3, 23, v7
	v_or3_b32 v4, v6, v3, v4
	v_accvgpr_write_b32 a49, v5
	v_accvgpr_write_b32 a48, v4
.LBB233_68:                             ;   in Loop: Header=BB233_13 Depth=1
	s_or_b64 exec, exec, s[40:41]
.LBB233_69:                             ;   in Loop: Header=BB233_13 Depth=1
	s_or_b64 exec, exec, s[38:39]
.LBB233_70:                             ;   in Loop: Header=BB233_13 Depth=1
	s_or_b64 exec, exec, s[36:37]
	v_cmp_ne_u16_sdwa vcc, v2, v5 src0_sel:BYTE_1 src1_sel:DWORD
	s_and_saveexec_b64 s[36:37], vcc
	s_cbranch_execz .LBB233_76
; %bb.71:                               ;   in Loop: Header=BB233_13 Depth=1
	v_accvgpr_write_b32 a45, s27
	v_cmp_ne_u16_sdwa vcc, v2, s43 src0_sel:BYTE_1 src1_sel:DWORD
	v_accvgpr_write_b32 a44, s26
	s_and_saveexec_b64 s[38:39], vcc
	s_cbranch_execz .LBB233_75
; %bb.72:                               ;   in Loop: Header=BB233_13 Depth=1
	v_and_b32_sdwa v3, v2, s44 dst_sel:DWORD dst_unused:UNUSED_PAD src0_sel:BYTE_1 src1_sel:DWORD
	s_mov_b32 s34, s26
	v_accvgpr_write_b32 a45, s35
	v_cmp_ne_u32_e32 vcc, s44, v3
	v_accvgpr_write_b32 a44, s34
	s_and_saveexec_b64 s[40:41], vcc
	s_cbranch_execz .LBB233_74
; %bb.73:                               ;   in Loop: Header=BB233_13 Depth=1
	v_mov_b32_e32 v4, 7
	v_and_b32_sdwa v4, v2, v4 dst_sel:DWORD dst_unused:UNUSED_PAD src0_sel:BYTE_1 src1_sel:DWORD
	v_lshrrev_b32_e32 v8, 3, v3
	v_cmp_gt_u32_e32 vcc, 8, v3
	v_ffbh_u32_e32 v3, v4
	v_min_u32_e32 v3, 32, v3
	v_subrev_u32_e32 v6, 28, v3
	v_lshlrev_b64 v[6:7], v6, v[4:5]
	v_sub_u32_e32 v3, 29, v3
	v_and_b32_e32 v6, 7, v6
	v_cndmask_b32_e32 v3, v8, v3, vcc
	v_cndmask_b32_e32 v4, v4, v6, vcc
	v_bfrev_b32_e32 v6, 60
	v_lshlrev_b32_e32 v2, 16, v2
	v_lshl_add_u32 v3, v3, 23, v6
	v_and_or_b32 v2, v2, s27, v3
	v_lshlrev_b32_e32 v3, 20, v4
	v_or_b32_e32 v3, v2, v3
	v_mov_b32_e32 v2, v5
	v_accvgpr_write_b32 a45, v3
	v_accvgpr_write_b32 a44, v2
.LBB233_74:                             ;   in Loop: Header=BB233_13 Depth=1
	s_or_b64 exec, exec, s[40:41]
.LBB233_75:                             ;   in Loop: Header=BB233_13 Depth=1
	s_or_b64 exec, exec, s[38:39]
.LBB233_76:                             ;   in Loop: Header=BB233_13 Depth=1
	s_or_b64 exec, exec, s[36:37]
	flat_load_ushort v3, v[0:1] offset:516
	v_pk_mov_b32 v[6:7], 0, 0
	v_accvgpr_write_b32 a47, v7
	v_accvgpr_write_b32 a53, v7
	;; [unrolled: 1-line block ×4, first 2 shown]
	s_waitcnt vmcnt(0) lgkmcnt(0)
	v_and_b32_e32 v2, 0xffff, v3
	v_cmp_ne_u16_sdwa vcc, v3, v5 src0_sel:BYTE_0 src1_sel:DWORD
	s_and_saveexec_b64 s[36:37], vcc
	s_cbranch_execz .LBB233_82
; %bb.77:                               ;   in Loop: Header=BB233_13 Depth=1
	v_bfrev_b32_e32 v6, 1
	v_mov_b32_e32 v7, 0
	v_accvgpr_write_b32 a53, v7
	v_cmp_ne_u16_sdwa vcc, v2, s43 src0_sel:BYTE_0 src1_sel:DWORD
	v_accvgpr_write_b32 a52, v6
	s_and_saveexec_b64 s[38:39], vcc
	s_cbranch_execz .LBB233_81
; %bb.78:                               ;   in Loop: Header=BB233_13 Depth=1
	v_mov_b32_e32 v6, 0x7f800001
	v_mov_b32_e32 v7, 0
	v_and_b32_e32 v3, 0x7f, v2
	v_accvgpr_write_b32 a53, v7
	v_cmp_ne_u32_e32 vcc, s44, v3
	v_accvgpr_write_b32 a52, v6
	s_and_saveexec_b64 s[40:41], vcc
	s_cbranch_execz .LBB233_80
; %bb.79:                               ;   in Loop: Header=BB233_13 Depth=1
	v_and_b32_e32 v4, 7, v2
	v_lshrrev_b32_e32 v8, 3, v3
	v_cmp_gt_u32_e32 vcc, 8, v3
	v_ffbh_u32_e32 v3, v4
	v_min_u32_e32 v3, 32, v3
	v_subrev_u32_e32 v6, 28, v3
	v_lshlrev_b64 v[6:7], v6, v[2:3]
	v_sub_u32_e32 v3, 29, v3
	v_and_b32_e32 v6, 7, v6
	v_cndmask_b32_e32 v3, v8, v3, vcc
	v_cndmask_b32_e32 v4, v4, v6, vcc
	v_bfrev_b32_e32 v7, 60
	v_lshlrev_b32_e32 v4, 20, v4
	v_and_b32_sdwa v6, sext(v2), s27 dst_sel:DWORD dst_unused:UNUSED_PAD src0_sel:BYTE_0 src1_sel:DWORD
	v_lshl_add_u32 v3, v3, 23, v7
	v_or3_b32 v4, v6, v3, v4
	v_accvgpr_write_b32 a53, v5
	v_accvgpr_write_b32 a52, v4
.LBB233_80:                             ;   in Loop: Header=BB233_13 Depth=1
	s_or_b64 exec, exec, s[40:41]
.LBB233_81:                             ;   in Loop: Header=BB233_13 Depth=1
	s_or_b64 exec, exec, s[38:39]
.LBB233_82:                             ;   in Loop: Header=BB233_13 Depth=1
	s_or_b64 exec, exec, s[36:37]
	v_cmp_ne_u16_sdwa vcc, v2, v5 src0_sel:BYTE_1 src1_sel:DWORD
	s_and_saveexec_b64 s[36:37], vcc
	s_cbranch_execz .LBB233_88
; %bb.83:                               ;   in Loop: Header=BB233_13 Depth=1
	v_accvgpr_write_b32 a47, s27
	v_cmp_ne_u16_sdwa vcc, v2, s43 src0_sel:BYTE_1 src1_sel:DWORD
	v_accvgpr_write_b32 a46, s26
	s_and_saveexec_b64 s[38:39], vcc
	s_cbranch_execz .LBB233_87
; %bb.84:                               ;   in Loop: Header=BB233_13 Depth=1
	v_and_b32_sdwa v3, v2, s44 dst_sel:DWORD dst_unused:UNUSED_PAD src0_sel:BYTE_1 src1_sel:DWORD
	s_mov_b32 s34, s26
	v_accvgpr_write_b32 a47, s35
	v_cmp_ne_u32_e32 vcc, s44, v3
	v_accvgpr_write_b32 a46, s34
	s_and_saveexec_b64 s[40:41], vcc
	s_cbranch_execz .LBB233_86
; %bb.85:                               ;   in Loop: Header=BB233_13 Depth=1
	v_mov_b32_e32 v4, 7
	v_and_b32_sdwa v4, v2, v4 dst_sel:DWORD dst_unused:UNUSED_PAD src0_sel:BYTE_1 src1_sel:DWORD
	v_lshrrev_b32_e32 v8, 3, v3
	v_cmp_gt_u32_e32 vcc, 8, v3
	v_ffbh_u32_e32 v3, v4
	v_min_u32_e32 v3, 32, v3
	v_subrev_u32_e32 v6, 28, v3
	v_lshlrev_b64 v[6:7], v6, v[4:5]
	v_sub_u32_e32 v3, 29, v3
	v_and_b32_e32 v6, 7, v6
	v_cndmask_b32_e32 v3, v8, v3, vcc
	v_cndmask_b32_e32 v4, v4, v6, vcc
	v_bfrev_b32_e32 v6, 60
	v_lshlrev_b32_e32 v2, 16, v2
	v_lshl_add_u32 v3, v3, 23, v6
	v_and_or_b32 v2, v2, s27, v3
	v_lshlrev_b32_e32 v3, 20, v4
	v_or_b32_e32 v3, v2, v3
	v_mov_b32_e32 v2, v5
	v_accvgpr_write_b32 a47, v3
	v_accvgpr_write_b32 a46, v2
.LBB233_86:                             ;   in Loop: Header=BB233_13 Depth=1
	s_or_b64 exec, exec, s[40:41]
.LBB233_87:                             ;   in Loop: Header=BB233_13 Depth=1
	s_or_b64 exec, exec, s[38:39]
.LBB233_88:                             ;   in Loop: Header=BB233_13 Depth=1
	s_or_b64 exec, exec, s[36:37]
	v_add_co_u32_e32 v2, vcc, 0x200, v0
	v_addc_co_u32_e32 v3, vcc, 0, v1, vcc
	flat_load_ushort v4, v[2:3] offset:8
	v_pk_mov_b32 v[8:9], 0, 0
	v_accvgpr_write_b32 a51, v9
	v_accvgpr_write_b32 a57, v9
	;; [unrolled: 1-line block ×4, first 2 shown]
	s_waitcnt vmcnt(0) lgkmcnt(0)
	v_and_b32_e32 v6, 0xffff, v4
	v_cmp_ne_u16_sdwa vcc, v4, v5 src0_sel:BYTE_0 src1_sel:DWORD
	s_and_saveexec_b64 s[36:37], vcc
	s_cbranch_execz .LBB233_94
; %bb.89:                               ;   in Loop: Header=BB233_13 Depth=1
	v_bfrev_b32_e32 v8, 1
	v_mov_b32_e32 v9, 0
	v_accvgpr_write_b32 a57, v9
	v_cmp_ne_u16_sdwa vcc, v6, s43 src0_sel:BYTE_0 src1_sel:DWORD
	v_accvgpr_write_b32 a56, v8
	s_and_saveexec_b64 s[38:39], vcc
	s_cbranch_execz .LBB233_93
; %bb.90:                               ;   in Loop: Header=BB233_13 Depth=1
	v_mov_b32_e32 v8, 0x7f800001
	v_mov_b32_e32 v9, 0
	v_and_b32_e32 v4, 0x7f, v6
	v_accvgpr_write_b32 a57, v9
	v_cmp_ne_u32_e32 vcc, s44, v4
	v_accvgpr_write_b32 a56, v8
	s_and_saveexec_b64 s[40:41], vcc
	s_cbranch_execz .LBB233_92
; %bb.91:                               ;   in Loop: Header=BB233_13 Depth=1
	v_and_b32_e32 v7, 7, v6
	v_lshrrev_b32_e32 v10, 3, v4
	v_cmp_gt_u32_e32 vcc, 8, v4
	v_ffbh_u32_e32 v4, v7
	v_min_u32_e32 v4, 32, v4
	v_subrev_u32_e32 v8, 28, v4
	v_lshlrev_b64 v[8:9], v8, v[6:7]
	v_sub_u32_e32 v4, 29, v4
	v_and_b32_e32 v8, 7, v8
	v_cndmask_b32_e32 v4, v10, v4, vcc
	v_cndmask_b32_e32 v7, v7, v8, vcc
	v_bfrev_b32_e32 v9, 60
	v_lshlrev_b32_e32 v7, 20, v7
	v_and_b32_sdwa v8, sext(v6), s27 dst_sel:DWORD dst_unused:UNUSED_PAD src0_sel:BYTE_0 src1_sel:DWORD
	v_lshl_add_u32 v4, v4, 23, v9
	v_or3_b32 v4, v8, v4, v7
	v_accvgpr_write_b32 a57, v5
	v_accvgpr_write_b32 a56, v4
.LBB233_92:                             ;   in Loop: Header=BB233_13 Depth=1
	s_or_b64 exec, exec, s[40:41]
.LBB233_93:                             ;   in Loop: Header=BB233_13 Depth=1
	s_or_b64 exec, exec, s[38:39]
.LBB233_94:                             ;   in Loop: Header=BB233_13 Depth=1
	s_or_b64 exec, exec, s[36:37]
	v_cmp_ne_u16_sdwa vcc, v6, v5 src0_sel:BYTE_1 src1_sel:DWORD
	s_and_saveexec_b64 s[36:37], vcc
	s_cbranch_execz .LBB233_100
; %bb.95:                               ;   in Loop: Header=BB233_13 Depth=1
	v_accvgpr_write_b32 a51, s27
	v_cmp_ne_u16_sdwa vcc, v6, s43 src0_sel:BYTE_1 src1_sel:DWORD
	v_accvgpr_write_b32 a50, s26
	s_and_saveexec_b64 s[38:39], vcc
	s_cbranch_execz .LBB233_99
; %bb.96:                               ;   in Loop: Header=BB233_13 Depth=1
	v_and_b32_sdwa v7, v6, s44 dst_sel:DWORD dst_unused:UNUSED_PAD src0_sel:BYTE_1 src1_sel:DWORD
	s_mov_b32 s34, s26
	v_accvgpr_write_b32 a51, s35
	v_cmp_ne_u32_e32 vcc, s44, v7
	v_accvgpr_write_b32 a50, s34
	s_and_saveexec_b64 s[40:41], vcc
	s_cbranch_execz .LBB233_98
; %bb.97:                               ;   in Loop: Header=BB233_13 Depth=1
	v_mov_b32_e32 v4, 7
	v_and_b32_sdwa v4, v6, v4 dst_sel:DWORD dst_unused:UNUSED_PAD src0_sel:BYTE_1 src1_sel:DWORD
	v_lshrrev_b32_e32 v10, 3, v7
	v_cmp_gt_u32_e32 vcc, 8, v7
	v_ffbh_u32_e32 v7, v4
	v_min_u32_e32 v7, 32, v7
	v_subrev_u32_e32 v8, 28, v7
	v_lshlrev_b64 v[8:9], v8, v[4:5]
	v_sub_u32_e32 v7, 29, v7
	v_and_b32_e32 v8, 7, v8
	v_cndmask_b32_e32 v7, v10, v7, vcc
	v_cndmask_b32_e32 v4, v4, v8, vcc
	v_bfrev_b32_e32 v8, 60
	v_lshlrev_b32_e32 v6, 16, v6
	v_lshl_add_u32 v7, v7, 23, v8
	v_and_or_b32 v6, v6, s27, v7
	v_lshlrev_b32_e32 v4, 20, v4
	v_or_b32_e32 v7, v6, v4
	v_mov_b32_e32 v6, v5
	v_accvgpr_write_b32 a51, v7
	v_accvgpr_write_b32 a50, v6
.LBB233_98:                             ;   in Loop: Header=BB233_13 Depth=1
	s_or_b64 exec, exec, s[40:41]
.LBB233_99:                             ;   in Loop: Header=BB233_13 Depth=1
	s_or_b64 exec, exec, s[38:39]
.LBB233_100:                            ;   in Loop: Header=BB233_13 Depth=1
	s_or_b64 exec, exec, s[36:37]
	flat_load_ushort v3, v[2:3] offset:12
	v_pk_mov_b32 v[6:7], 0, 0
	v_accvgpr_write_b32 a55, v7
	v_accvgpr_write_b32 a31, v7
	;; [unrolled: 1-line block ×4, first 2 shown]
	s_waitcnt vmcnt(0) lgkmcnt(0)
	v_and_b32_e32 v2, 0xffff, v3
	v_cmp_ne_u16_sdwa vcc, v3, v5 src0_sel:BYTE_0 src1_sel:DWORD
	s_and_saveexec_b64 s[36:37], vcc
	s_cbranch_execz .LBB233_106
; %bb.101:                              ;   in Loop: Header=BB233_13 Depth=1
	v_bfrev_b32_e32 v6, 1
	v_mov_b32_e32 v7, 0
	v_accvgpr_write_b32 a31, v7
	v_cmp_ne_u16_sdwa vcc, v2, s43 src0_sel:BYTE_0 src1_sel:DWORD
	v_accvgpr_write_b32 a30, v6
	s_and_saveexec_b64 s[38:39], vcc
	s_cbranch_execz .LBB233_105
; %bb.102:                              ;   in Loop: Header=BB233_13 Depth=1
	v_mov_b32_e32 v6, 0x7f800001
	v_mov_b32_e32 v7, 0
	v_and_b32_e32 v3, 0x7f, v2
	v_accvgpr_write_b32 a31, v7
	v_cmp_ne_u32_e32 vcc, s44, v3
	v_accvgpr_write_b32 a30, v6
	s_and_saveexec_b64 s[40:41], vcc
	s_cbranch_execz .LBB233_104
; %bb.103:                              ;   in Loop: Header=BB233_13 Depth=1
	v_and_b32_e32 v4, 7, v2
	v_lshrrev_b32_e32 v8, 3, v3
	v_cmp_gt_u32_e32 vcc, 8, v3
	v_ffbh_u32_e32 v3, v4
	v_min_u32_e32 v3, 32, v3
	v_subrev_u32_e32 v6, 28, v3
	v_lshlrev_b64 v[6:7], v6, v[2:3]
	v_sub_u32_e32 v3, 29, v3
	v_and_b32_e32 v6, 7, v6
	v_cndmask_b32_e32 v3, v8, v3, vcc
	v_cndmask_b32_e32 v4, v4, v6, vcc
	v_bfrev_b32_e32 v7, 60
	v_lshlrev_b32_e32 v4, 20, v4
	v_and_b32_sdwa v6, sext(v2), s27 dst_sel:DWORD dst_unused:UNUSED_PAD src0_sel:BYTE_0 src1_sel:DWORD
	v_lshl_add_u32 v3, v3, 23, v7
	v_or3_b32 v4, v6, v3, v4
	v_accvgpr_write_b32 a31, v5
	v_accvgpr_write_b32 a30, v4
.LBB233_104:                            ;   in Loop: Header=BB233_13 Depth=1
	s_or_b64 exec, exec, s[40:41]
.LBB233_105:                            ;   in Loop: Header=BB233_13 Depth=1
	s_or_b64 exec, exec, s[38:39]
.LBB233_106:                            ;   in Loop: Header=BB233_13 Depth=1
	s_or_b64 exec, exec, s[36:37]
	v_cmp_ne_u16_sdwa vcc, v2, v5 src0_sel:BYTE_1 src1_sel:DWORD
	s_and_saveexec_b64 s[36:37], vcc
	s_cbranch_execz .LBB233_112
; %bb.107:                              ;   in Loop: Header=BB233_13 Depth=1
	v_accvgpr_write_b32 a55, s27
	v_cmp_ne_u16_sdwa vcc, v2, s43 src0_sel:BYTE_1 src1_sel:DWORD
	v_accvgpr_write_b32 a54, s26
	s_and_saveexec_b64 s[38:39], vcc
	s_cbranch_execz .LBB233_111
; %bb.108:                              ;   in Loop: Header=BB233_13 Depth=1
	v_and_b32_sdwa v3, v2, s44 dst_sel:DWORD dst_unused:UNUSED_PAD src0_sel:BYTE_1 src1_sel:DWORD
	s_mov_b32 s34, s26
	v_accvgpr_write_b32 a55, s35
	v_cmp_ne_u32_e32 vcc, s44, v3
	v_accvgpr_write_b32 a54, s34
	s_and_saveexec_b64 s[40:41], vcc
	s_cbranch_execz .LBB233_110
; %bb.109:                              ;   in Loop: Header=BB233_13 Depth=1
	v_mov_b32_e32 v4, 7
	v_and_b32_sdwa v4, v2, v4 dst_sel:DWORD dst_unused:UNUSED_PAD src0_sel:BYTE_1 src1_sel:DWORD
	v_lshrrev_b32_e32 v8, 3, v3
	v_cmp_gt_u32_e32 vcc, 8, v3
	v_ffbh_u32_e32 v3, v4
	v_min_u32_e32 v3, 32, v3
	v_subrev_u32_e32 v6, 28, v3
	v_lshlrev_b64 v[6:7], v6, v[4:5]
	v_sub_u32_e32 v3, 29, v3
	v_and_b32_e32 v6, 7, v6
	v_cndmask_b32_e32 v3, v8, v3, vcc
	v_cndmask_b32_e32 v4, v4, v6, vcc
	v_bfrev_b32_e32 v6, 60
	v_lshlrev_b32_e32 v2, 16, v2
	v_lshl_add_u32 v3, v3, 23, v6
	v_and_or_b32 v2, v2, s27, v3
	v_lshlrev_b32_e32 v3, 20, v4
	v_or_b32_e32 v3, v2, v3
	v_mov_b32_e32 v2, v5
	v_accvgpr_write_b32 a55, v3
	v_accvgpr_write_b32 a54, v2
.LBB233_110:                            ;   in Loop: Header=BB233_13 Depth=1
	s_or_b64 exec, exec, s[40:41]
.LBB233_111:                            ;   in Loop: Header=BB233_13 Depth=1
	s_or_b64 exec, exec, s[38:39]
.LBB233_112:                            ;   in Loop: Header=BB233_13 Depth=1
	s_or_b64 exec, exec, s[36:37]
	flat_load_ushort v3, v[0:1] offset:1024
	v_pk_mov_b32 v[6:7], 0, 0
	v_accvgpr_write_b32 a29, v7
	v_accvgpr_write_b32 a61, v7
	;; [unrolled: 1-line block ×4, first 2 shown]
	s_waitcnt vmcnt(0) lgkmcnt(0)
	v_and_b32_e32 v2, 0xffff, v3
	v_cmp_ne_u16_sdwa vcc, v3, v5 src0_sel:BYTE_0 src1_sel:DWORD
	s_and_saveexec_b64 s[36:37], vcc
	s_cbranch_execz .LBB233_118
; %bb.113:                              ;   in Loop: Header=BB233_13 Depth=1
	v_bfrev_b32_e32 v6, 1
	v_mov_b32_e32 v7, 0
	v_accvgpr_write_b32 a61, v7
	v_cmp_ne_u16_sdwa vcc, v2, s43 src0_sel:BYTE_0 src1_sel:DWORD
	v_accvgpr_write_b32 a60, v6
	s_and_saveexec_b64 s[38:39], vcc
	s_cbranch_execz .LBB233_117
; %bb.114:                              ;   in Loop: Header=BB233_13 Depth=1
	v_mov_b32_e32 v6, 0x7f800001
	v_mov_b32_e32 v7, 0
	v_and_b32_e32 v3, 0x7f, v2
	v_accvgpr_write_b32 a61, v7
	v_cmp_ne_u32_e32 vcc, s44, v3
	v_accvgpr_write_b32 a60, v6
	s_and_saveexec_b64 s[40:41], vcc
	s_cbranch_execz .LBB233_116
; %bb.115:                              ;   in Loop: Header=BB233_13 Depth=1
	v_and_b32_e32 v4, 7, v2
	v_lshrrev_b32_e32 v8, 3, v3
	v_cmp_gt_u32_e32 vcc, 8, v3
	v_ffbh_u32_e32 v3, v4
	v_min_u32_e32 v3, 32, v3
	v_subrev_u32_e32 v6, 28, v3
	v_lshlrev_b64 v[6:7], v6, v[2:3]
	v_sub_u32_e32 v3, 29, v3
	v_and_b32_e32 v6, 7, v6
	v_cndmask_b32_e32 v3, v8, v3, vcc
	v_cndmask_b32_e32 v4, v4, v6, vcc
	v_bfrev_b32_e32 v7, 60
	v_lshlrev_b32_e32 v4, 20, v4
	v_and_b32_sdwa v6, sext(v2), s27 dst_sel:DWORD dst_unused:UNUSED_PAD src0_sel:BYTE_0 src1_sel:DWORD
	v_lshl_add_u32 v3, v3, 23, v7
	v_or3_b32 v4, v6, v3, v4
	v_accvgpr_write_b32 a61, v5
	v_accvgpr_write_b32 a60, v4
.LBB233_116:                            ;   in Loop: Header=BB233_13 Depth=1
	s_or_b64 exec, exec, s[40:41]
.LBB233_117:                            ;   in Loop: Header=BB233_13 Depth=1
	s_or_b64 exec, exec, s[38:39]
.LBB233_118:                            ;   in Loop: Header=BB233_13 Depth=1
	s_or_b64 exec, exec, s[36:37]
	v_cmp_ne_u16_sdwa vcc, v2, v5 src0_sel:BYTE_1 src1_sel:DWORD
	s_and_saveexec_b64 s[36:37], vcc
	s_cbranch_execz .LBB233_124
; %bb.119:                              ;   in Loop: Header=BB233_13 Depth=1
	v_accvgpr_write_b32 a29, s27
	v_cmp_ne_u16_sdwa vcc, v2, s43 src0_sel:BYTE_1 src1_sel:DWORD
	v_accvgpr_write_b32 a28, s26
	s_and_saveexec_b64 s[38:39], vcc
	s_cbranch_execz .LBB233_123
; %bb.120:                              ;   in Loop: Header=BB233_13 Depth=1
	s_mov_b32 s34, s26
	v_and_b32_sdwa v3, v2, s44 dst_sel:DWORD dst_unused:UNUSED_PAD src0_sel:BYTE_1 src1_sel:DWORD
	v_accvgpr_write_b32 a28, s34
	v_cmp_ne_u32_e32 vcc, s44, v3
	v_accvgpr_write_b32 a29, s35
	s_and_saveexec_b64 s[40:41], vcc
	s_cbranch_execz .LBB233_122
; %bb.121:                              ;   in Loop: Header=BB233_13 Depth=1
	v_mov_b32_e32 v4, 7
	v_and_b32_sdwa v4, v2, v4 dst_sel:DWORD dst_unused:UNUSED_PAD src0_sel:BYTE_1 src1_sel:DWORD
	v_lshrrev_b32_e32 v8, 3, v3
	v_cmp_gt_u32_e32 vcc, 8, v3
	v_ffbh_u32_e32 v3, v4
	v_min_u32_e32 v3, 32, v3
	v_subrev_u32_e32 v6, 28, v3
	v_lshlrev_b64 v[6:7], v6, v[4:5]
	v_sub_u32_e32 v3, 29, v3
	v_and_b32_e32 v6, 7, v6
	v_cndmask_b32_e32 v3, v8, v3, vcc
	v_cndmask_b32_e32 v4, v4, v6, vcc
	v_bfrev_b32_e32 v6, 60
	v_lshlrev_b32_e32 v2, 16, v2
	v_lshl_add_u32 v3, v3, 23, v6
	v_and_or_b32 v2, v2, s27, v3
	v_lshlrev_b32_e32 v3, 20, v4
	v_or_b32_e32 v3, v2, v3
	v_mov_b32_e32 v2, v5
	v_accvgpr_write_b32 a29, v3
	v_accvgpr_write_b32 a28, v2
.LBB233_122:                            ;   in Loop: Header=BB233_13 Depth=1
	s_or_b64 exec, exec, s[40:41]
.LBB233_123:                            ;   in Loop: Header=BB233_13 Depth=1
	s_or_b64 exec, exec, s[38:39]
.LBB233_124:                            ;   in Loop: Header=BB233_13 Depth=1
	s_or_b64 exec, exec, s[36:37]
	flat_load_ushort v3, v[0:1] offset:1028
	v_pk_mov_b32 v[6:7], 0, 0
	v_accvgpr_write_b32 a59, v7
	v_accvgpr_write_b32 a27, v7
	;; [unrolled: 1-line block ×4, first 2 shown]
	s_waitcnt vmcnt(0) lgkmcnt(0)
	v_and_b32_e32 v2, 0xffff, v3
	v_cmp_ne_u16_sdwa vcc, v3, v5 src0_sel:BYTE_0 src1_sel:DWORD
	s_and_saveexec_b64 s[36:37], vcc
	s_cbranch_execz .LBB233_130
; %bb.125:                              ;   in Loop: Header=BB233_13 Depth=1
	v_bfrev_b32_e32 v6, 1
	v_mov_b32_e32 v7, 0
	v_accvgpr_write_b32 a27, v7
	v_cmp_ne_u16_sdwa vcc, v2, s43 src0_sel:BYTE_0 src1_sel:DWORD
	v_accvgpr_write_b32 a26, v6
	s_and_saveexec_b64 s[38:39], vcc
	s_cbranch_execz .LBB233_129
; %bb.126:                              ;   in Loop: Header=BB233_13 Depth=1
	v_mov_b32_e32 v6, 0x7f800001
	v_mov_b32_e32 v7, 0
	v_and_b32_e32 v3, 0x7f, v2
	v_accvgpr_write_b32 a27, v7
	v_cmp_ne_u32_e32 vcc, s44, v3
	v_accvgpr_write_b32 a26, v6
	s_and_saveexec_b64 s[40:41], vcc
	s_cbranch_execz .LBB233_128
; %bb.127:                              ;   in Loop: Header=BB233_13 Depth=1
	v_and_b32_e32 v4, 7, v2
	v_lshrrev_b32_e32 v8, 3, v3
	v_cmp_gt_u32_e32 vcc, 8, v3
	v_ffbh_u32_e32 v3, v4
	v_min_u32_e32 v3, 32, v3
	v_subrev_u32_e32 v6, 28, v3
	v_lshlrev_b64 v[6:7], v6, v[2:3]
	v_sub_u32_e32 v3, 29, v3
	v_and_b32_e32 v6, 7, v6
	v_cndmask_b32_e32 v3, v8, v3, vcc
	v_cndmask_b32_e32 v4, v4, v6, vcc
	v_bfrev_b32_e32 v7, 60
	v_lshlrev_b32_e32 v4, 20, v4
	v_and_b32_sdwa v6, sext(v2), s27 dst_sel:DWORD dst_unused:UNUSED_PAD src0_sel:BYTE_0 src1_sel:DWORD
	v_lshl_add_u32 v3, v3, 23, v7
	v_or3_b32 v4, v6, v3, v4
	v_accvgpr_write_b32 a27, v5
	v_accvgpr_write_b32 a26, v4
.LBB233_128:                            ;   in Loop: Header=BB233_13 Depth=1
	s_or_b64 exec, exec, s[40:41]
.LBB233_129:                            ;   in Loop: Header=BB233_13 Depth=1
	s_or_b64 exec, exec, s[38:39]
.LBB233_130:                            ;   in Loop: Header=BB233_13 Depth=1
	s_or_b64 exec, exec, s[36:37]
	v_cmp_ne_u16_sdwa vcc, v2, v5 src0_sel:BYTE_1 src1_sel:DWORD
	s_and_saveexec_b64 s[36:37], vcc
	s_cbranch_execz .LBB233_136
; %bb.131:                              ;   in Loop: Header=BB233_13 Depth=1
	v_accvgpr_write_b32 a59, s27
	v_cmp_ne_u16_sdwa vcc, v2, s43 src0_sel:BYTE_1 src1_sel:DWORD
	v_accvgpr_write_b32 a58, s26
	s_and_saveexec_b64 s[38:39], vcc
	s_cbranch_execz .LBB233_135
; %bb.132:                              ;   in Loop: Header=BB233_13 Depth=1
	v_and_b32_sdwa v3, v2, s44 dst_sel:DWORD dst_unused:UNUSED_PAD src0_sel:BYTE_1 src1_sel:DWORD
	s_mov_b32 s34, s26
	v_accvgpr_write_b32 a59, s35
	v_cmp_ne_u32_e32 vcc, s44, v3
	v_accvgpr_write_b32 a58, s34
	s_and_saveexec_b64 s[40:41], vcc
	s_cbranch_execz .LBB233_134
; %bb.133:                              ;   in Loop: Header=BB233_13 Depth=1
	v_mov_b32_e32 v4, 7
	v_and_b32_sdwa v4, v2, v4 dst_sel:DWORD dst_unused:UNUSED_PAD src0_sel:BYTE_1 src1_sel:DWORD
	v_lshrrev_b32_e32 v8, 3, v3
	v_cmp_gt_u32_e32 vcc, 8, v3
	v_ffbh_u32_e32 v3, v4
	v_min_u32_e32 v3, 32, v3
	v_subrev_u32_e32 v6, 28, v3
	v_lshlrev_b64 v[6:7], v6, v[4:5]
	v_sub_u32_e32 v3, 29, v3
	v_and_b32_e32 v6, 7, v6
	v_cndmask_b32_e32 v3, v8, v3, vcc
	v_cndmask_b32_e32 v4, v4, v6, vcc
	v_bfrev_b32_e32 v6, 60
	v_lshlrev_b32_e32 v2, 16, v2
	v_lshl_add_u32 v3, v3, 23, v6
	v_and_or_b32 v2, v2, s27, v3
	v_lshlrev_b32_e32 v3, 20, v4
	v_or_b32_e32 v3, v2, v3
	v_mov_b32_e32 v2, v5
	v_accvgpr_write_b32 a59, v3
	v_accvgpr_write_b32 a58, v2
.LBB233_134:                            ;   in Loop: Header=BB233_13 Depth=1
	s_or_b64 exec, exec, s[40:41]
.LBB233_135:                            ;   in Loop: Header=BB233_13 Depth=1
	s_or_b64 exec, exec, s[38:39]
.LBB233_136:                            ;   in Loop: Header=BB233_13 Depth=1
	s_or_b64 exec, exec, s[36:37]
	v_add_co_u32_e32 v2, vcc, 0x400, v0
	v_addc_co_u32_e32 v3, vcc, 0, v1, vcc
	flat_load_ushort v4, v[2:3] offset:8
	v_pk_mov_b32 v[8:9], 0, 0
	v_accvgpr_write_b32 a25, v9
	v_accvgpr_write_b32 a19, v9
	;; [unrolled: 1-line block ×4, first 2 shown]
	s_waitcnt vmcnt(0) lgkmcnt(0)
	v_and_b32_e32 v6, 0xffff, v4
	v_cmp_ne_u16_sdwa vcc, v4, v5 src0_sel:BYTE_0 src1_sel:DWORD
	s_and_saveexec_b64 s[36:37], vcc
	s_cbranch_execz .LBB233_142
; %bb.137:                              ;   in Loop: Header=BB233_13 Depth=1
	v_bfrev_b32_e32 v8, 1
	v_mov_b32_e32 v9, 0
	v_accvgpr_write_b32 a19, v9
	v_cmp_ne_u16_sdwa vcc, v6, s43 src0_sel:BYTE_0 src1_sel:DWORD
	v_accvgpr_write_b32 a18, v8
	s_and_saveexec_b64 s[38:39], vcc
	s_cbranch_execz .LBB233_141
; %bb.138:                              ;   in Loop: Header=BB233_13 Depth=1
	v_mov_b32_e32 v8, 0x7f800001
	v_mov_b32_e32 v9, 0
	v_and_b32_e32 v4, 0x7f, v6
	v_accvgpr_write_b32 a19, v9
	v_cmp_ne_u32_e32 vcc, s44, v4
	v_accvgpr_write_b32 a18, v8
	s_and_saveexec_b64 s[40:41], vcc
	s_cbranch_execz .LBB233_140
; %bb.139:                              ;   in Loop: Header=BB233_13 Depth=1
	v_and_b32_e32 v7, 7, v6
	v_lshrrev_b32_e32 v10, 3, v4
	v_cmp_gt_u32_e32 vcc, 8, v4
	v_ffbh_u32_e32 v4, v7
	v_min_u32_e32 v4, 32, v4
	v_subrev_u32_e32 v8, 28, v4
	v_lshlrev_b64 v[8:9], v8, v[6:7]
	v_sub_u32_e32 v4, 29, v4
	v_and_b32_e32 v8, 7, v8
	v_cndmask_b32_e32 v4, v10, v4, vcc
	v_cndmask_b32_e32 v7, v7, v8, vcc
	v_bfrev_b32_e32 v9, 60
	v_lshlrev_b32_e32 v7, 20, v7
	v_and_b32_sdwa v8, sext(v6), s27 dst_sel:DWORD dst_unused:UNUSED_PAD src0_sel:BYTE_0 src1_sel:DWORD
	v_lshl_add_u32 v4, v4, 23, v9
	v_or3_b32 v4, v8, v4, v7
	v_accvgpr_write_b32 a19, v5
	v_accvgpr_write_b32 a18, v4
.LBB233_140:                            ;   in Loop: Header=BB233_13 Depth=1
	s_or_b64 exec, exec, s[40:41]
.LBB233_141:                            ;   in Loop: Header=BB233_13 Depth=1
	s_or_b64 exec, exec, s[38:39]
.LBB233_142:                            ;   in Loop: Header=BB233_13 Depth=1
	s_or_b64 exec, exec, s[36:37]
	v_cmp_ne_u16_sdwa vcc, v6, v5 src0_sel:BYTE_1 src1_sel:DWORD
	s_and_saveexec_b64 s[36:37], vcc
	s_cbranch_execz .LBB233_148
; %bb.143:                              ;   in Loop: Header=BB233_13 Depth=1
	v_accvgpr_write_b32 a24, s26
	v_cmp_ne_u16_sdwa vcc, v6, s43 src0_sel:BYTE_1 src1_sel:DWORD
	v_accvgpr_write_b32 a25, s27
	s_and_saveexec_b64 s[38:39], vcc
	s_cbranch_execz .LBB233_147
; %bb.144:                              ;   in Loop: Header=BB233_13 Depth=1
	s_mov_b32 s34, s26
	v_and_b32_sdwa v7, v6, s44 dst_sel:DWORD dst_unused:UNUSED_PAD src0_sel:BYTE_1 src1_sel:DWORD
	v_accvgpr_write_b32 a24, s34
	v_cmp_ne_u32_e32 vcc, s44, v7
	v_accvgpr_write_b32 a25, s35
	s_and_saveexec_b64 s[40:41], vcc
	s_cbranch_execz .LBB233_146
; %bb.145:                              ;   in Loop: Header=BB233_13 Depth=1
	v_mov_b32_e32 v4, 7
	v_and_b32_sdwa v4, v6, v4 dst_sel:DWORD dst_unused:UNUSED_PAD src0_sel:BYTE_1 src1_sel:DWORD
	v_lshrrev_b32_e32 v10, 3, v7
	v_cmp_gt_u32_e32 vcc, 8, v7
	v_ffbh_u32_e32 v7, v4
	v_min_u32_e32 v7, 32, v7
	v_subrev_u32_e32 v8, 28, v7
	v_lshlrev_b64 v[8:9], v8, v[4:5]
	v_sub_u32_e32 v7, 29, v7
	v_and_b32_e32 v8, 7, v8
	v_cndmask_b32_e32 v7, v10, v7, vcc
	v_cndmask_b32_e32 v4, v4, v8, vcc
	v_bfrev_b32_e32 v8, 60
	v_lshlrev_b32_e32 v6, 16, v6
	v_lshl_add_u32 v7, v7, 23, v8
	v_and_or_b32 v6, v6, s27, v7
	v_lshlrev_b32_e32 v4, 20, v4
	v_or_b32_e32 v7, v6, v4
	v_mov_b32_e32 v6, v5
	v_accvgpr_write_b32 a25, v7
	v_accvgpr_write_b32 a24, v6
.LBB233_146:                            ;   in Loop: Header=BB233_13 Depth=1
	s_or_b64 exec, exec, s[40:41]
.LBB233_147:                            ;   in Loop: Header=BB233_13 Depth=1
	s_or_b64 exec, exec, s[38:39]
.LBB233_148:                            ;   in Loop: Header=BB233_13 Depth=1
	s_or_b64 exec, exec, s[36:37]
	flat_load_ushort v3, v[2:3] offset:12
	v_pk_mov_b32 v[6:7], 0, 0
	v_accvgpr_write_b32 a17, v7
	v_accvgpr_write_b32 a23, v7
	;; [unrolled: 1-line block ×4, first 2 shown]
	s_waitcnt vmcnt(0) lgkmcnt(0)
	v_and_b32_e32 v2, 0xffff, v3
	v_cmp_ne_u16_sdwa vcc, v3, v5 src0_sel:BYTE_0 src1_sel:DWORD
	s_and_saveexec_b64 s[36:37], vcc
	s_cbranch_execz .LBB233_154
; %bb.149:                              ;   in Loop: Header=BB233_13 Depth=1
	v_bfrev_b32_e32 v6, 1
	v_mov_b32_e32 v7, 0
	v_accvgpr_write_b32 a23, v7
	v_cmp_ne_u16_sdwa vcc, v2, s43 src0_sel:BYTE_0 src1_sel:DWORD
	v_accvgpr_write_b32 a22, v6
	s_and_saveexec_b64 s[38:39], vcc
	s_cbranch_execz .LBB233_153
; %bb.150:                              ;   in Loop: Header=BB233_13 Depth=1
	v_mov_b32_e32 v6, 0x7f800001
	v_mov_b32_e32 v7, 0
	v_and_b32_e32 v3, 0x7f, v2
	v_accvgpr_write_b32 a23, v7
	v_cmp_ne_u32_e32 vcc, s44, v3
	v_accvgpr_write_b32 a22, v6
	s_and_saveexec_b64 s[40:41], vcc
	s_cbranch_execz .LBB233_152
; %bb.151:                              ;   in Loop: Header=BB233_13 Depth=1
	v_and_b32_e32 v4, 7, v2
	v_lshrrev_b32_e32 v8, 3, v3
	v_cmp_gt_u32_e32 vcc, 8, v3
	v_ffbh_u32_e32 v3, v4
	v_min_u32_e32 v3, 32, v3
	v_subrev_u32_e32 v6, 28, v3
	v_lshlrev_b64 v[6:7], v6, v[2:3]
	v_sub_u32_e32 v3, 29, v3
	v_and_b32_e32 v6, 7, v6
	v_cndmask_b32_e32 v3, v8, v3, vcc
	v_cndmask_b32_e32 v4, v4, v6, vcc
	v_bfrev_b32_e32 v7, 60
	v_lshlrev_b32_e32 v4, 20, v4
	v_and_b32_sdwa v6, sext(v2), s27 dst_sel:DWORD dst_unused:UNUSED_PAD src0_sel:BYTE_0 src1_sel:DWORD
	v_lshl_add_u32 v3, v3, 23, v7
	v_or3_b32 v4, v6, v3, v4
	v_accvgpr_write_b32 a23, v5
	v_accvgpr_write_b32 a22, v4
.LBB233_152:                            ;   in Loop: Header=BB233_13 Depth=1
	s_or_b64 exec, exec, s[40:41]
.LBB233_153:                            ;   in Loop: Header=BB233_13 Depth=1
	s_or_b64 exec, exec, s[38:39]
.LBB233_154:                            ;   in Loop: Header=BB233_13 Depth=1
	s_or_b64 exec, exec, s[36:37]
	v_cmp_ne_u16_sdwa vcc, v2, v5 src0_sel:BYTE_1 src1_sel:DWORD
	s_and_saveexec_b64 s[36:37], vcc
	s_cbranch_execz .LBB233_160
; %bb.155:                              ;   in Loop: Header=BB233_13 Depth=1
	v_accvgpr_write_b32 a16, s26
	v_cmp_ne_u16_sdwa vcc, v2, s43 src0_sel:BYTE_1 src1_sel:DWORD
	v_accvgpr_write_b32 a17, s27
	s_and_saveexec_b64 s[38:39], vcc
	s_cbranch_execz .LBB233_159
; %bb.156:                              ;   in Loop: Header=BB233_13 Depth=1
	s_mov_b32 s34, s26
	v_and_b32_sdwa v3, v2, s44 dst_sel:DWORD dst_unused:UNUSED_PAD src0_sel:BYTE_1 src1_sel:DWORD
	v_accvgpr_write_b32 a16, s34
	v_cmp_ne_u32_e32 vcc, s44, v3
	v_accvgpr_write_b32 a17, s35
	s_and_saveexec_b64 s[40:41], vcc
	s_cbranch_execz .LBB233_158
; %bb.157:                              ;   in Loop: Header=BB233_13 Depth=1
	v_mov_b32_e32 v4, 7
	v_and_b32_sdwa v4, v2, v4 dst_sel:DWORD dst_unused:UNUSED_PAD src0_sel:BYTE_1 src1_sel:DWORD
	v_lshrrev_b32_e32 v8, 3, v3
	v_cmp_gt_u32_e32 vcc, 8, v3
	v_ffbh_u32_e32 v3, v4
	v_min_u32_e32 v3, 32, v3
	v_subrev_u32_e32 v6, 28, v3
	v_lshlrev_b64 v[6:7], v6, v[4:5]
	v_sub_u32_e32 v3, 29, v3
	v_and_b32_e32 v6, 7, v6
	v_cndmask_b32_e32 v3, v8, v3, vcc
	v_cndmask_b32_e32 v4, v4, v6, vcc
	v_bfrev_b32_e32 v6, 60
	v_lshlrev_b32_e32 v2, 16, v2
	v_lshl_add_u32 v3, v3, 23, v6
	v_and_or_b32 v2, v2, s27, v3
	v_lshlrev_b32_e32 v3, 20, v4
	v_or_b32_e32 v3, v2, v3
	v_mov_b32_e32 v2, v5
	v_accvgpr_write_b32 a17, v3
	v_accvgpr_write_b32 a16, v2
.LBB233_158:                            ;   in Loop: Header=BB233_13 Depth=1
	s_or_b64 exec, exec, s[40:41]
.LBB233_159:                            ;   in Loop: Header=BB233_13 Depth=1
	s_or_b64 exec, exec, s[38:39]
.LBB233_160:                            ;   in Loop: Header=BB233_13 Depth=1
	s_or_b64 exec, exec, s[36:37]
	flat_load_ushort v3, v[0:1] offset:1536
	v_pk_mov_b32 v[6:7], 0, 0
	v_accvgpr_write_b32 a21, v7
	v_accvgpr_write_b32 a6, v6
	;; [unrolled: 1-line block ×4, first 2 shown]
	s_waitcnt vmcnt(0) lgkmcnt(0)
	v_and_b32_e32 v2, 0xffff, v3
	v_cmp_ne_u16_sdwa vcc, v3, v5 src0_sel:BYTE_0 src1_sel:DWORD
	s_and_saveexec_b64 s[36:37], vcc
	s_cbranch_execz .LBB233_166
; %bb.161:                              ;   in Loop: Header=BB233_13 Depth=1
	v_bfrev_b32_e32 v6, 1
	v_mov_b32_e32 v7, 0
	v_accvgpr_write_b32 a6, v6
	v_cmp_ne_u16_sdwa vcc, v2, s43 src0_sel:BYTE_0 src1_sel:DWORD
	v_accvgpr_write_b32 a7, v7
	s_and_saveexec_b64 s[38:39], vcc
	s_cbranch_execz .LBB233_165
; %bb.162:                              ;   in Loop: Header=BB233_13 Depth=1
	v_mov_b32_e32 v6, 0x7f800001
	v_and_b32_e32 v3, 0x7f, v2
	v_mov_b32_e32 v7, 0
	v_accvgpr_write_b32 a6, v6
	v_cmp_ne_u32_e32 vcc, s44, v3
	v_accvgpr_write_b32 a7, v7
	s_and_saveexec_b64 s[40:41], vcc
	s_cbranch_execz .LBB233_164
; %bb.163:                              ;   in Loop: Header=BB233_13 Depth=1
	v_and_b32_e32 v4, 7, v2
	v_lshrrev_b32_e32 v8, 3, v3
	v_cmp_gt_u32_e32 vcc, 8, v3
	v_ffbh_u32_e32 v3, v4
	v_min_u32_e32 v3, 32, v3
	v_subrev_u32_e32 v6, 28, v3
	v_lshlrev_b64 v[6:7], v6, v[2:3]
	v_sub_u32_e32 v3, 29, v3
	v_and_b32_e32 v6, 7, v6
	v_cndmask_b32_e32 v3, v8, v3, vcc
	v_cndmask_b32_e32 v4, v4, v6, vcc
	v_bfrev_b32_e32 v7, 60
	v_lshlrev_b32_e32 v4, 20, v4
	v_and_b32_sdwa v6, sext(v2), s27 dst_sel:DWORD dst_unused:UNUSED_PAD src0_sel:BYTE_0 src1_sel:DWORD
	v_lshl_add_u32 v3, v3, 23, v7
	v_or3_b32 v4, v6, v3, v4
	v_accvgpr_write_b32 a7, v5
	v_accvgpr_write_b32 a6, v4
.LBB233_164:                            ;   in Loop: Header=BB233_13 Depth=1
	s_or_b64 exec, exec, s[40:41]
.LBB233_165:                            ;   in Loop: Header=BB233_13 Depth=1
	s_or_b64 exec, exec, s[38:39]
.LBB233_166:                            ;   in Loop: Header=BB233_13 Depth=1
	s_or_b64 exec, exec, s[36:37]
	v_cmp_ne_u16_sdwa vcc, v2, v5 src0_sel:BYTE_1 src1_sel:DWORD
	s_and_saveexec_b64 s[36:37], vcc
	s_cbranch_execz .LBB233_172
; %bb.167:                              ;   in Loop: Header=BB233_13 Depth=1
	v_accvgpr_write_b32 a20, s26
	v_cmp_ne_u16_sdwa vcc, v2, s43 src0_sel:BYTE_1 src1_sel:DWORD
	v_accvgpr_write_b32 a21, s27
	s_and_saveexec_b64 s[38:39], vcc
	s_cbranch_execz .LBB233_171
; %bb.168:                              ;   in Loop: Header=BB233_13 Depth=1
	s_mov_b32 s34, s26
	v_and_b32_sdwa v3, v2, s44 dst_sel:DWORD dst_unused:UNUSED_PAD src0_sel:BYTE_1 src1_sel:DWORD
	v_accvgpr_write_b32 a20, s34
	v_cmp_ne_u32_e32 vcc, s44, v3
	v_accvgpr_write_b32 a21, s35
	s_and_saveexec_b64 s[40:41], vcc
	s_cbranch_execz .LBB233_170
; %bb.169:                              ;   in Loop: Header=BB233_13 Depth=1
	v_mov_b32_e32 v4, 7
	v_and_b32_sdwa v4, v2, v4 dst_sel:DWORD dst_unused:UNUSED_PAD src0_sel:BYTE_1 src1_sel:DWORD
	v_lshrrev_b32_e32 v8, 3, v3
	v_cmp_gt_u32_e32 vcc, 8, v3
	v_ffbh_u32_e32 v3, v4
	v_min_u32_e32 v3, 32, v3
	v_subrev_u32_e32 v6, 28, v3
	v_lshlrev_b64 v[6:7], v6, v[4:5]
	v_sub_u32_e32 v3, 29, v3
	v_and_b32_e32 v6, 7, v6
	v_cndmask_b32_e32 v3, v8, v3, vcc
	v_cndmask_b32_e32 v4, v4, v6, vcc
	v_bfrev_b32_e32 v6, 60
	v_lshlrev_b32_e32 v2, 16, v2
	v_lshl_add_u32 v3, v3, 23, v6
	v_and_or_b32 v2, v2, s27, v3
	v_lshlrev_b32_e32 v3, 20, v4
	v_or_b32_e32 v3, v2, v3
	v_mov_b32_e32 v2, v5
	v_accvgpr_write_b32 a21, v3
	v_accvgpr_write_b32 a20, v2
.LBB233_170:                            ;   in Loop: Header=BB233_13 Depth=1
	s_or_b64 exec, exec, s[40:41]
.LBB233_171:                            ;   in Loop: Header=BB233_13 Depth=1
	s_or_b64 exec, exec, s[38:39]
.LBB233_172:                            ;   in Loop: Header=BB233_13 Depth=1
	s_or_b64 exec, exec, s[36:37]
	flat_load_ushort v3, v[0:1] offset:1540
	v_pk_mov_b32 v[6:7], 0, 0
	v_accvgpr_write_b32 a4, v6
	v_accvgpr_write_b32 a2, v6
	;; [unrolled: 1-line block ×4, first 2 shown]
	s_waitcnt vmcnt(0) lgkmcnt(0)
	v_and_b32_e32 v2, 0xffff, v3
	v_cmp_ne_u16_sdwa vcc, v3, v5 src0_sel:BYTE_0 src1_sel:DWORD
	s_and_saveexec_b64 s[36:37], vcc
	s_cbranch_execz .LBB233_178
; %bb.173:                              ;   in Loop: Header=BB233_13 Depth=1
	v_bfrev_b32_e32 v6, 1
	v_mov_b32_e32 v7, 0
	v_accvgpr_write_b32 a2, v6
	v_cmp_ne_u16_sdwa vcc, v2, s43 src0_sel:BYTE_0 src1_sel:DWORD
	v_accvgpr_write_b32 a3, v7
	s_and_saveexec_b64 s[38:39], vcc
	s_cbranch_execz .LBB233_177
; %bb.174:                              ;   in Loop: Header=BB233_13 Depth=1
	v_mov_b32_e32 v6, 0x7f800001
	v_and_b32_e32 v3, 0x7f, v2
	v_mov_b32_e32 v7, 0
	v_accvgpr_write_b32 a2, v6
	v_cmp_ne_u32_e32 vcc, s44, v3
	v_accvgpr_write_b32 a3, v7
	s_and_saveexec_b64 s[40:41], vcc
	s_cbranch_execz .LBB233_176
; %bb.175:                              ;   in Loop: Header=BB233_13 Depth=1
	v_and_b32_e32 v4, 7, v2
	v_lshrrev_b32_e32 v8, 3, v3
	v_cmp_gt_u32_e32 vcc, 8, v3
	v_ffbh_u32_e32 v3, v4
	v_min_u32_e32 v3, 32, v3
	v_subrev_u32_e32 v6, 28, v3
	v_lshlrev_b64 v[6:7], v6, v[2:3]
	v_sub_u32_e32 v3, 29, v3
	v_and_b32_e32 v6, 7, v6
	v_cndmask_b32_e32 v3, v8, v3, vcc
	v_cndmask_b32_e32 v4, v4, v6, vcc
	v_bfrev_b32_e32 v7, 60
	v_lshlrev_b32_e32 v4, 20, v4
	v_and_b32_sdwa v6, sext(v2), s27 dst_sel:DWORD dst_unused:UNUSED_PAD src0_sel:BYTE_0 src1_sel:DWORD
	v_lshl_add_u32 v3, v3, 23, v7
	v_or3_b32 v4, v6, v3, v4
	v_accvgpr_write_b32 a2, v4
	v_accvgpr_write_b32 a3, v5
.LBB233_176:                            ;   in Loop: Header=BB233_13 Depth=1
	s_or_b64 exec, exec, s[40:41]
.LBB233_177:                            ;   in Loop: Header=BB233_13 Depth=1
	s_or_b64 exec, exec, s[38:39]
.LBB233_178:                            ;   in Loop: Header=BB233_13 Depth=1
	s_or_b64 exec, exec, s[36:37]
	v_cmp_ne_u16_sdwa vcc, v2, v5 src0_sel:BYTE_1 src1_sel:DWORD
	s_and_saveexec_b64 s[36:37], vcc
	s_cbranch_execz .LBB233_184
; %bb.179:                              ;   in Loop: Header=BB233_13 Depth=1
	v_accvgpr_write_b32 a4, s26
	v_cmp_ne_u16_sdwa vcc, v2, s43 src0_sel:BYTE_1 src1_sel:DWORD
	v_accvgpr_write_b32 a5, s27
	s_and_saveexec_b64 s[38:39], vcc
	s_cbranch_execz .LBB233_183
; %bb.180:                              ;   in Loop: Header=BB233_13 Depth=1
	s_mov_b32 s34, s26
	v_and_b32_sdwa v3, v2, s44 dst_sel:DWORD dst_unused:UNUSED_PAD src0_sel:BYTE_1 src1_sel:DWORD
	v_accvgpr_write_b32 a4, s34
	v_cmp_ne_u32_e32 vcc, s44, v3
	v_accvgpr_write_b32 a5, s35
	s_and_saveexec_b64 s[40:41], vcc
	s_cbranch_execz .LBB233_182
; %bb.181:                              ;   in Loop: Header=BB233_13 Depth=1
	v_mov_b32_e32 v4, 7
	v_and_b32_sdwa v4, v2, v4 dst_sel:DWORD dst_unused:UNUSED_PAD src0_sel:BYTE_1 src1_sel:DWORD
	v_lshrrev_b32_e32 v8, 3, v3
	v_cmp_gt_u32_e32 vcc, 8, v3
	v_ffbh_u32_e32 v3, v4
	v_min_u32_e32 v3, 32, v3
	v_subrev_u32_e32 v6, 28, v3
	v_lshlrev_b64 v[6:7], v6, v[4:5]
	v_sub_u32_e32 v3, 29, v3
	v_and_b32_e32 v6, 7, v6
	v_cndmask_b32_e32 v3, v8, v3, vcc
	v_cndmask_b32_e32 v4, v4, v6, vcc
	v_bfrev_b32_e32 v6, 60
	v_lshlrev_b32_e32 v2, 16, v2
	v_lshl_add_u32 v3, v3, 23, v6
	v_and_or_b32 v2, v2, s27, v3
	v_lshlrev_b32_e32 v3, 20, v4
	v_or_b32_e32 v3, v2, v3
	v_mov_b32_e32 v2, v5
	v_accvgpr_write_b32 a5, v3
	v_accvgpr_write_b32 a4, v2
.LBB233_182:                            ;   in Loop: Header=BB233_13 Depth=1
	s_or_b64 exec, exec, s[40:41]
.LBB233_183:                            ;   in Loop: Header=BB233_13 Depth=1
	s_or_b64 exec, exec, s[38:39]
.LBB233_184:                            ;   in Loop: Header=BB233_13 Depth=1
	s_or_b64 exec, exec, s[36:37]
	v_add_co_u32_e32 v2, vcc, 0x600, v0
	v_addc_co_u32_e32 v3, vcc, 0, v1, vcc
	flat_load_ushort v4, v[2:3] offset:8
	v_pk_mov_b32 v[8:9], 0, 0
	v_accvgpr_write_b32 a0, v8
	v_accvgpr_write_b32 a11, v9
	;; [unrolled: 1-line block ×4, first 2 shown]
	s_waitcnt vmcnt(0) lgkmcnt(0)
	v_and_b32_e32 v6, 0xffff, v4
	v_cmp_ne_u16_sdwa vcc, v4, v5 src0_sel:BYTE_0 src1_sel:DWORD
	s_and_saveexec_b64 s[36:37], vcc
	s_cbranch_execz .LBB233_190
; %bb.185:                              ;   in Loop: Header=BB233_13 Depth=1
	v_bfrev_b32_e32 v8, 1
	v_mov_b32_e32 v9, 0
	v_accvgpr_write_b32 a11, v9
	v_cmp_ne_u16_sdwa vcc, v6, s43 src0_sel:BYTE_0 src1_sel:DWORD
	v_accvgpr_write_b32 a10, v8
	s_and_saveexec_b64 s[38:39], vcc
	s_cbranch_execz .LBB233_189
; %bb.186:                              ;   in Loop: Header=BB233_13 Depth=1
	v_mov_b32_e32 v8, 0x7f800001
	v_mov_b32_e32 v9, 0
	v_and_b32_e32 v4, 0x7f, v6
	v_accvgpr_write_b32 a11, v9
	v_cmp_ne_u32_e32 vcc, s44, v4
	v_accvgpr_write_b32 a10, v8
	s_and_saveexec_b64 s[40:41], vcc
	s_cbranch_execz .LBB233_188
; %bb.187:                              ;   in Loop: Header=BB233_13 Depth=1
	v_and_b32_e32 v7, 7, v6
	v_lshrrev_b32_e32 v14, 3, v4
	v_cmp_gt_u32_e32 vcc, 8, v4
	v_ffbh_u32_e32 v4, v7
	v_min_u32_e32 v4, 32, v4
	v_subrev_u32_e32 v10, 28, v4
	v_lshlrev_b64 v[10:11], v10, v[6:7]
	v_sub_u32_e32 v4, 29, v4
	v_and_b32_e32 v10, 7, v10
	v_cndmask_b32_e32 v4, v14, v4, vcc
	v_cndmask_b32_e32 v7, v7, v10, vcc
	v_bfrev_b32_e32 v8, 60
	v_lshlrev_b32_e32 v7, 20, v7
	v_and_b32_sdwa v10, sext(v6), s27 dst_sel:DWORD dst_unused:UNUSED_PAD src0_sel:BYTE_0 src1_sel:DWORD
	v_lshl_add_u32 v4, v4, 23, v8
	v_or3_b32 v4, v10, v4, v7
	v_accvgpr_write_b32 a11, v5
	v_accvgpr_write_b32 a10, v4
.LBB233_188:                            ;   in Loop: Header=BB233_13 Depth=1
	s_or_b64 exec, exec, s[40:41]
.LBB233_189:                            ;   in Loop: Header=BB233_13 Depth=1
	s_or_b64 exec, exec, s[38:39]
.LBB233_190:                            ;   in Loop: Header=BB233_13 Depth=1
	s_or_b64 exec, exec, s[36:37]
	v_cmp_ne_u16_sdwa vcc, v6, v5 src0_sel:BYTE_1 src1_sel:DWORD
	s_and_saveexec_b64 s[36:37], vcc
	s_cbranch_execz .LBB233_196
; %bb.191:                              ;   in Loop: Header=BB233_13 Depth=1
	v_accvgpr_write_b32 a0, s26
	v_cmp_ne_u16_sdwa vcc, v6, s43 src0_sel:BYTE_1 src1_sel:DWORD
	v_accvgpr_write_b32 a1, s27
	s_and_saveexec_b64 s[38:39], vcc
	s_cbranch_execz .LBB233_195
; %bb.192:                              ;   in Loop: Header=BB233_13 Depth=1
	s_mov_b32 s34, s26
	v_and_b32_sdwa v7, v6, s44 dst_sel:DWORD dst_unused:UNUSED_PAD src0_sel:BYTE_1 src1_sel:DWORD
	v_accvgpr_write_b32 a0, s34
	v_cmp_ne_u32_e32 vcc, s44, v7
	v_accvgpr_write_b32 a1, s35
	s_and_saveexec_b64 s[40:41], vcc
	s_cbranch_execz .LBB233_194
; %bb.193:                              ;   in Loop: Header=BB233_13 Depth=1
	v_mov_b32_e32 v4, 7
	v_and_b32_sdwa v4, v6, v4 dst_sel:DWORD dst_unused:UNUSED_PAD src0_sel:BYTE_1 src1_sel:DWORD
	v_lshrrev_b32_e32 v10, 3, v7
	v_cmp_gt_u32_e32 vcc, 8, v7
	v_ffbh_u32_e32 v7, v4
	v_min_u32_e32 v7, 32, v7
	v_subrev_u32_e32 v8, 28, v7
	v_lshlrev_b64 v[8:9], v8, v[4:5]
	v_sub_u32_e32 v7, 29, v7
	v_and_b32_e32 v8, 7, v8
	v_cndmask_b32_e32 v7, v10, v7, vcc
	v_cndmask_b32_e32 v4, v4, v8, vcc
	v_bfrev_b32_e32 v8, 60
	v_lshlrev_b32_e32 v6, 16, v6
	v_lshl_add_u32 v7, v7, 23, v8
	v_and_or_b32 v6, v6, s27, v7
	v_lshlrev_b32_e32 v4, 20, v4
	v_or_b32_e32 v7, v6, v4
	v_mov_b32_e32 v6, v5
	v_accvgpr_write_b32 a0, v6
	v_accvgpr_write_b32 a1, v7
.LBB233_194:                            ;   in Loop: Header=BB233_13 Depth=1
	s_or_b64 exec, exec, s[40:41]
.LBB233_195:                            ;   in Loop: Header=BB233_13 Depth=1
	s_or_b64 exec, exec, s[38:39]
.LBB233_196:                            ;   in Loop: Header=BB233_13 Depth=1
	s_or_b64 exec, exec, s[36:37]
	flat_load_ushort v3, v[2:3] offset:12
	v_pk_mov_b32 v[6:7], 0, 0
	v_accvgpr_write_b32 a9, v7
	v_accvgpr_write_b32 a37, v7
	;; [unrolled: 1-line block ×4, first 2 shown]
	s_waitcnt vmcnt(0) lgkmcnt(0)
	v_and_b32_e32 v2, 0xffff, v3
	v_cmp_ne_u16_sdwa vcc, v3, v5 src0_sel:BYTE_0 src1_sel:DWORD
	s_and_saveexec_b64 s[36:37], vcc
	s_cbranch_execz .LBB233_202
; %bb.197:                              ;   in Loop: Header=BB233_13 Depth=1
	v_bfrev_b32_e32 v6, 1
	v_mov_b32_e32 v7, 0
	v_accvgpr_write_b32 a37, v7
	v_cmp_ne_u16_sdwa vcc, v2, s43 src0_sel:BYTE_0 src1_sel:DWORD
	v_accvgpr_write_b32 a36, v6
	s_and_saveexec_b64 s[38:39], vcc
	s_cbranch_execz .LBB233_201
; %bb.198:                              ;   in Loop: Header=BB233_13 Depth=1
	v_mov_b32_e32 v6, 0x7f800001
	v_mov_b32_e32 v7, 0
	v_and_b32_e32 v3, 0x7f, v2
	v_accvgpr_write_b32 a37, v7
	v_cmp_ne_u32_e32 vcc, s44, v3
	v_accvgpr_write_b32 a36, v6
	s_and_saveexec_b64 s[40:41], vcc
	s_cbranch_execz .LBB233_200
; %bb.199:                              ;   in Loop: Header=BB233_13 Depth=1
	v_and_b32_e32 v4, 7, v2
	v_lshrrev_b32_e32 v10, 3, v3
	v_cmp_gt_u32_e32 vcc, 8, v3
	v_ffbh_u32_e32 v3, v4
	v_min_u32_e32 v3, 32, v3
	v_subrev_u32_e32 v6, 28, v3
	v_lshlrev_b64 v[6:7], v6, v[2:3]
	v_sub_u32_e32 v3, 29, v3
	v_and_b32_e32 v6, 7, v6
	v_cndmask_b32_e32 v3, v10, v3, vcc
	v_cndmask_b32_e32 v4, v4, v6, vcc
	v_bfrev_b32_e32 v7, 60
	v_lshlrev_b32_e32 v4, 20, v4
	v_and_b32_sdwa v6, sext(v2), s27 dst_sel:DWORD dst_unused:UNUSED_PAD src0_sel:BYTE_0 src1_sel:DWORD
	v_lshl_add_u32 v3, v3, 23, v7
	v_or3_b32 v4, v6, v3, v4
	v_accvgpr_write_b32 a37, v5
	v_accvgpr_write_b32 a36, v4
.LBB233_200:                            ;   in Loop: Header=BB233_13 Depth=1
	s_or_b64 exec, exec, s[40:41]
.LBB233_201:                            ;   in Loop: Header=BB233_13 Depth=1
	s_or_b64 exec, exec, s[38:39]
.LBB233_202:                            ;   in Loop: Header=BB233_13 Depth=1
	s_or_b64 exec, exec, s[36:37]
	v_cmp_ne_u16_sdwa vcc, v2, v5 src0_sel:BYTE_1 src1_sel:DWORD
	s_and_saveexec_b64 s[36:37], vcc
	s_cbranch_execz .LBB233_208
; %bb.203:                              ;   in Loop: Header=BB233_13 Depth=1
	v_accvgpr_write_b32 a8, s26
	v_cmp_ne_u16_sdwa vcc, v2, s43 src0_sel:BYTE_1 src1_sel:DWORD
	v_accvgpr_write_b32 a9, s27
	s_and_saveexec_b64 s[38:39], vcc
	s_cbranch_execz .LBB233_207
; %bb.204:                              ;   in Loop: Header=BB233_13 Depth=1
	s_mov_b32 s34, s26
	v_and_b32_sdwa v3, v2, s44 dst_sel:DWORD dst_unused:UNUSED_PAD src0_sel:BYTE_1 src1_sel:DWORD
	v_accvgpr_write_b32 a8, s34
	v_cmp_ne_u32_e32 vcc, s44, v3
	v_accvgpr_write_b32 a9, s35
	s_and_saveexec_b64 s[40:41], vcc
	s_cbranch_execz .LBB233_206
; %bb.205:                              ;   in Loop: Header=BB233_13 Depth=1
	v_mov_b32_e32 v4, 7
	v_and_b32_sdwa v4, v2, v4 dst_sel:DWORD dst_unused:UNUSED_PAD src0_sel:BYTE_1 src1_sel:DWORD
	v_lshrrev_b32_e32 v10, 3, v3
	v_cmp_gt_u32_e32 vcc, 8, v3
	v_ffbh_u32_e32 v3, v4
	v_min_u32_e32 v3, 32, v3
	v_subrev_u32_e32 v6, 28, v3
	v_lshlrev_b64 v[6:7], v6, v[4:5]
	v_sub_u32_e32 v3, 29, v3
	v_and_b32_e32 v6, 7, v6
	v_cndmask_b32_e32 v3, v10, v3, vcc
	v_cndmask_b32_e32 v4, v4, v6, vcc
	v_bfrev_b32_e32 v6, 60
	v_lshlrev_b32_e32 v2, 16, v2
	v_lshl_add_u32 v3, v3, 23, v6
	v_and_or_b32 v2, v2, s27, v3
	v_lshlrev_b32_e32 v3, 20, v4
	v_or_b32_e32 v3, v2, v3
	v_mov_b32_e32 v2, v5
	v_accvgpr_write_b32 a9, v3
	v_accvgpr_write_b32 a8, v2
.LBB233_206:                            ;   in Loop: Header=BB233_13 Depth=1
	s_or_b64 exec, exec, s[40:41]
.LBB233_207:                            ;   in Loop: Header=BB233_13 Depth=1
	s_or_b64 exec, exec, s[38:39]
.LBB233_208:                            ;   in Loop: Header=BB233_13 Depth=1
	s_or_b64 exec, exec, s[36:37]
	flat_load_ushort v3, v[0:1] offset:2048
	v_pk_mov_b32 v[30:31], 0, 0
	v_accvgpr_write_b32 a35, v31
	v_accvgpr_write_b32 a34, v30
	s_waitcnt vmcnt(0) lgkmcnt(0)
	v_and_b32_e32 v2, 0xffff, v3
	v_cmp_ne_u16_sdwa vcc, v3, v5 src0_sel:BYTE_0 src1_sel:DWORD
	s_and_saveexec_b64 s[36:37], vcc
	s_cbranch_execz .LBB233_214
; %bb.209:                              ;   in Loop: Header=BB233_13 Depth=1
	v_bfrev_b32_e32 v6, 1
	v_mov_b32_e32 v7, 0
	v_accvgpr_write_b32 a35, v7
	v_cmp_ne_u16_sdwa vcc, v2, s43 src0_sel:BYTE_0 src1_sel:DWORD
	v_accvgpr_write_b32 a34, v6
	s_and_saveexec_b64 s[38:39], vcc
	s_cbranch_execz .LBB233_213
; %bb.210:                              ;   in Loop: Header=BB233_13 Depth=1
	v_mov_b32_e32 v6, 0x7f800001
	v_mov_b32_e32 v7, 0
	v_and_b32_e32 v3, 0x7f, v2
	v_accvgpr_write_b32 a35, v7
	v_cmp_ne_u32_e32 vcc, s44, v3
	v_accvgpr_write_b32 a34, v6
	s_and_saveexec_b64 s[40:41], vcc
	s_cbranch_execz .LBB233_212
; %bb.211:                              ;   in Loop: Header=BB233_13 Depth=1
	v_and_b32_e32 v4, 7, v2
	v_lshrrev_b32_e32 v10, 3, v3
	v_cmp_gt_u32_e32 vcc, 8, v3
	v_ffbh_u32_e32 v3, v4
	v_min_u32_e32 v3, 32, v3
	v_subrev_u32_e32 v6, 28, v3
	v_lshlrev_b64 v[6:7], v6, v[2:3]
	v_sub_u32_e32 v3, 29, v3
	v_and_b32_e32 v6, 7, v6
	v_cndmask_b32_e32 v3, v10, v3, vcc
	v_cndmask_b32_e32 v4, v4, v6, vcc
	v_bfrev_b32_e32 v7, 60
	v_lshlrev_b32_e32 v4, 20, v4
	v_and_b32_sdwa v6, sext(v2), s27 dst_sel:DWORD dst_unused:UNUSED_PAD src0_sel:BYTE_0 src1_sel:DWORD
	v_lshl_add_u32 v3, v3, 23, v7
	v_or3_b32 v4, v6, v3, v4
	v_accvgpr_write_b32 a35, v5
	v_accvgpr_write_b32 a34, v4
.LBB233_212:                            ;   in Loop: Header=BB233_13 Depth=1
	s_or_b64 exec, exec, s[40:41]
.LBB233_213:                            ;   in Loop: Header=BB233_13 Depth=1
	s_or_b64 exec, exec, s[38:39]
.LBB233_214:                            ;   in Loop: Header=BB233_13 Depth=1
	s_or_b64 exec, exec, s[36:37]
	v_cmp_ne_u16_sdwa vcc, v2, v5 src0_sel:BYTE_1 src1_sel:DWORD
	s_and_saveexec_b64 s[36:37], vcc
	s_cbranch_execz .LBB233_220
; %bb.215:                              ;   in Loop: Header=BB233_13 Depth=1
	v_cmp_ne_u16_sdwa vcc, v2, s43 src0_sel:BYTE_1 src1_sel:DWORD
	v_pk_mov_b32 v[30:31], s[26:27], s[26:27] op_sel:[0,1]
	s_and_saveexec_b64 s[38:39], vcc
	s_cbranch_execz .LBB233_219
; %bb.216:                              ;   in Loop: Header=BB233_13 Depth=1
	v_and_b32_sdwa v3, v2, s44 dst_sel:DWORD dst_unused:UNUSED_PAD src0_sel:BYTE_1 src1_sel:DWORD
	s_mov_b32 s34, s26
	v_cmp_ne_u32_e32 vcc, s44, v3
	v_pk_mov_b32 v[30:31], s[34:35], s[34:35] op_sel:[0,1]
	s_and_saveexec_b64 s[40:41], vcc
	s_cbranch_execz .LBB233_218
; %bb.217:                              ;   in Loop: Header=BB233_13 Depth=1
	v_mov_b32_e32 v4, 7
	v_and_b32_sdwa v4, v2, v4 dst_sel:DWORD dst_unused:UNUSED_PAD src0_sel:BYTE_1 src1_sel:DWORD
	v_lshrrev_b32_e32 v10, 3, v3
	v_cmp_gt_u32_e32 vcc, 8, v3
	v_ffbh_u32_e32 v3, v4
	v_min_u32_e32 v3, 32, v3
	v_subrev_u32_e32 v6, 28, v3
	v_lshlrev_b64 v[6:7], v6, v[4:5]
	v_sub_u32_e32 v3, 29, v3
	v_and_b32_e32 v6, 7, v6
	v_cndmask_b32_e32 v3, v10, v3, vcc
	v_cndmask_b32_e32 v4, v4, v6, vcc
	v_bfrev_b32_e32 v6, 60
	v_lshlrev_b32_e32 v2, 16, v2
	v_lshl_add_u32 v3, v3, 23, v6
	v_and_or_b32 v2, v2, s27, v3
	v_lshlrev_b32_e32 v3, 20, v4
	v_or_b32_e32 v31, v2, v3
	v_mov_b32_e32 v30, v5
.LBB233_218:                            ;   in Loop: Header=BB233_13 Depth=1
	s_or_b64 exec, exec, s[40:41]
.LBB233_219:                            ;   in Loop: Header=BB233_13 Depth=1
	s_or_b64 exec, exec, s[38:39]
.LBB233_220:                            ;   in Loop: Header=BB233_13 Depth=1
	s_or_b64 exec, exec, s[36:37]
	flat_load_ushort v3, v[0:1] offset:2052
	v_pk_mov_b32 v[8:9], 0, 0
	v_accvgpr_write_b32 a15, v9
	v_accvgpr_write_b32 a14, v8
	s_waitcnt vmcnt(0) lgkmcnt(0)
	v_and_b32_e32 v2, 0xffff, v3
	v_cmp_ne_u16_sdwa vcc, v3, v5 src0_sel:BYTE_0 src1_sel:DWORD
	s_and_saveexec_b64 s[36:37], vcc
	s_cbranch_execz .LBB233_226
; %bb.221:                              ;   in Loop: Header=BB233_13 Depth=1
	v_bfrev_b32_e32 v6, 1
	v_mov_b32_e32 v7, 0
	v_accvgpr_write_b32 a15, v7
	v_cmp_ne_u16_sdwa vcc, v2, s43 src0_sel:BYTE_0 src1_sel:DWORD
	v_accvgpr_write_b32 a14, v6
	s_and_saveexec_b64 s[38:39], vcc
	s_cbranch_execz .LBB233_225
; %bb.222:                              ;   in Loop: Header=BB233_13 Depth=1
	v_mov_b32_e32 v6, 0x7f800001
	v_mov_b32_e32 v7, 0
	v_and_b32_e32 v3, 0x7f, v2
	v_accvgpr_write_b32 a15, v7
	v_cmp_ne_u32_e32 vcc, s44, v3
	v_accvgpr_write_b32 a14, v6
	s_and_saveexec_b64 s[40:41], vcc
	s_cbranch_execz .LBB233_224
; %bb.223:                              ;   in Loop: Header=BB233_13 Depth=1
	v_and_b32_e32 v4, 7, v2
	v_lshrrev_b32_e32 v10, 3, v3
	v_cmp_gt_u32_e32 vcc, 8, v3
	v_ffbh_u32_e32 v3, v4
	v_min_u32_e32 v3, 32, v3
	v_subrev_u32_e32 v6, 28, v3
	v_lshlrev_b64 v[6:7], v6, v[2:3]
	v_sub_u32_e32 v3, 29, v3
	v_and_b32_e32 v6, 7, v6
	v_cndmask_b32_e32 v3, v10, v3, vcc
	v_cndmask_b32_e32 v4, v4, v6, vcc
	v_bfrev_b32_e32 v7, 60
	v_lshlrev_b32_e32 v4, 20, v4
	v_and_b32_sdwa v6, sext(v2), s27 dst_sel:DWORD dst_unused:UNUSED_PAD src0_sel:BYTE_0 src1_sel:DWORD
	v_lshl_add_u32 v3, v3, 23, v7
	v_or3_b32 v4, v6, v3, v4
	v_accvgpr_write_b32 a15, v5
	v_accvgpr_write_b32 a14, v4
.LBB233_224:                            ;   in Loop: Header=BB233_13 Depth=1
	s_or_b64 exec, exec, s[40:41]
.LBB233_225:                            ;   in Loop: Header=BB233_13 Depth=1
	s_or_b64 exec, exec, s[38:39]
.LBB233_226:                            ;   in Loop: Header=BB233_13 Depth=1
	s_or_b64 exec, exec, s[36:37]
	v_cmp_ne_u16_sdwa vcc, v2, v5 src0_sel:BYTE_1 src1_sel:DWORD
	s_and_saveexec_b64 s[36:37], vcc
	s_cbranch_execz .LBB233_232
; %bb.227:                              ;   in Loop: Header=BB233_13 Depth=1
	v_cmp_ne_u16_sdwa vcc, v2, s43 src0_sel:BYTE_1 src1_sel:DWORD
	v_pk_mov_b32 v[8:9], s[26:27], s[26:27] op_sel:[0,1]
	s_and_saveexec_b64 s[38:39], vcc
	s_cbranch_execz .LBB233_231
; %bb.228:                              ;   in Loop: Header=BB233_13 Depth=1
	v_and_b32_sdwa v3, v2, s44 dst_sel:DWORD dst_unused:UNUSED_PAD src0_sel:BYTE_1 src1_sel:DWORD
	s_mov_b32 s34, s26
	v_cmp_ne_u32_e32 vcc, s44, v3
	v_pk_mov_b32 v[8:9], s[34:35], s[34:35] op_sel:[0,1]
	s_and_saveexec_b64 s[40:41], vcc
	s_cbranch_execz .LBB233_230
; %bb.229:                              ;   in Loop: Header=BB233_13 Depth=1
	v_mov_b32_e32 v4, 7
	v_and_b32_sdwa v4, v2, v4 dst_sel:DWORD dst_unused:UNUSED_PAD src0_sel:BYTE_1 src1_sel:DWORD
	v_lshrrev_b32_e32 v10, 3, v3
	v_cmp_gt_u32_e32 vcc, 8, v3
	v_ffbh_u32_e32 v3, v4
	v_min_u32_e32 v3, 32, v3
	v_subrev_u32_e32 v6, 28, v3
	v_lshlrev_b64 v[6:7], v6, v[4:5]
	v_sub_u32_e32 v3, 29, v3
	v_and_b32_e32 v6, 7, v6
	v_cndmask_b32_e32 v3, v10, v3, vcc
	v_cndmask_b32_e32 v4, v4, v6, vcc
	v_bfrev_b32_e32 v6, 60
	v_lshlrev_b32_e32 v2, 16, v2
	v_lshl_add_u32 v3, v3, 23, v6
	v_and_or_b32 v2, v2, s27, v3
	v_lshlrev_b32_e32 v3, 20, v4
	v_or_b32_e32 v9, v2, v3
	v_mov_b32_e32 v8, v5
.LBB233_230:                            ;   in Loop: Header=BB233_13 Depth=1
	s_or_b64 exec, exec, s[40:41]
.LBB233_231:                            ;   in Loop: Header=BB233_13 Depth=1
	s_or_b64 exec, exec, s[38:39]
.LBB233_232:                            ;   in Loop: Header=BB233_13 Depth=1
	s_or_b64 exec, exec, s[36:37]
	v_add_co_u32_e32 v2, vcc, 0x800, v0
	v_addc_co_u32_e32 v3, vcc, 0, v1, vcc
	flat_load_ushort v4, v[2:3] offset:8
	v_pk_mov_b32 v[14:15], 0, 0
	v_accvgpr_write_b32 a33, v15
	v_accvgpr_write_b32 a32, v14
	s_waitcnt vmcnt(0) lgkmcnt(0)
	v_and_b32_e32 v6, 0xffff, v4
	v_cmp_ne_u16_sdwa vcc, v4, v5 src0_sel:BYTE_0 src1_sel:DWORD
	s_and_saveexec_b64 s[36:37], vcc
	s_cbranch_execz .LBB233_238
; %bb.233:                              ;   in Loop: Header=BB233_13 Depth=1
	v_bfrev_b32_e32 v10, 1
	v_mov_b32_e32 v11, 0
	v_accvgpr_write_b32 a33, v11
	v_cmp_ne_u16_sdwa vcc, v6, s43 src0_sel:BYTE_0 src1_sel:DWORD
	v_accvgpr_write_b32 a32, v10
	s_and_saveexec_b64 s[38:39], vcc
	s_cbranch_execz .LBB233_237
; %bb.234:                              ;   in Loop: Header=BB233_13 Depth=1
	v_mov_b32_e32 v10, 0x7f800001
	v_mov_b32_e32 v11, 0
	v_and_b32_e32 v4, 0x7f, v6
	v_accvgpr_write_b32 a33, v11
	v_cmp_ne_u32_e32 vcc, s44, v4
	v_accvgpr_write_b32 a32, v10
	s_and_saveexec_b64 s[40:41], vcc
	s_cbranch_execz .LBB233_236
; %bb.235:                              ;   in Loop: Header=BB233_13 Depth=1
	v_and_b32_e32 v7, 7, v6
	v_lshrrev_b32_e32 v16, 3, v4
	v_cmp_gt_u32_e32 vcc, 8, v4
	v_ffbh_u32_e32 v4, v7
	v_min_u32_e32 v4, 32, v4
	v_subrev_u32_e32 v10, 28, v4
	v_lshlrev_b64 v[10:11], v10, v[6:7]
	v_sub_u32_e32 v4, 29, v4
	v_and_b32_e32 v10, 7, v10
	v_cndmask_b32_e32 v4, v16, v4, vcc
	v_cndmask_b32_e32 v7, v7, v10, vcc
	v_bfrev_b32_e32 v11, 60
	v_lshlrev_b32_e32 v7, 20, v7
	v_and_b32_sdwa v10, sext(v6), s27 dst_sel:DWORD dst_unused:UNUSED_PAD src0_sel:BYTE_0 src1_sel:DWORD
	v_lshl_add_u32 v4, v4, 23, v11
	v_or3_b32 v4, v10, v4, v7
	v_accvgpr_write_b32 a33, v5
	v_accvgpr_write_b32 a32, v4
.LBB233_236:                            ;   in Loop: Header=BB233_13 Depth=1
	s_or_b64 exec, exec, s[40:41]
.LBB233_237:                            ;   in Loop: Header=BB233_13 Depth=1
	s_or_b64 exec, exec, s[38:39]
.LBB233_238:                            ;   in Loop: Header=BB233_13 Depth=1
	s_or_b64 exec, exec, s[36:37]
	v_cmp_ne_u16_sdwa vcc, v6, v5 src0_sel:BYTE_1 src1_sel:DWORD
	s_and_saveexec_b64 s[36:37], vcc
	s_cbranch_execz .LBB233_244
; %bb.239:                              ;   in Loop: Header=BB233_13 Depth=1
	v_cmp_ne_u16_sdwa vcc, v6, s43 src0_sel:BYTE_1 src1_sel:DWORD
	v_pk_mov_b32 v[14:15], s[26:27], s[26:27] op_sel:[0,1]
	s_and_saveexec_b64 s[38:39], vcc
	s_cbranch_execz .LBB233_243
; %bb.240:                              ;   in Loop: Header=BB233_13 Depth=1
	v_and_b32_sdwa v7, v6, s44 dst_sel:DWORD dst_unused:UNUSED_PAD src0_sel:BYTE_1 src1_sel:DWORD
	s_mov_b32 s34, s26
	v_cmp_ne_u32_e32 vcc, s44, v7
	v_pk_mov_b32 v[14:15], s[34:35], s[34:35] op_sel:[0,1]
	s_and_saveexec_b64 s[40:41], vcc
	s_cbranch_execz .LBB233_242
; %bb.241:                              ;   in Loop: Header=BB233_13 Depth=1
	v_mov_b32_e32 v4, 7
	v_and_b32_sdwa v4, v6, v4 dst_sel:DWORD dst_unused:UNUSED_PAD src0_sel:BYTE_1 src1_sel:DWORD
	v_lshrrev_b32_e32 v14, 3, v7
	v_cmp_gt_u32_e32 vcc, 8, v7
	v_ffbh_u32_e32 v7, v4
	v_min_u32_e32 v7, 32, v7
	v_subrev_u32_e32 v10, 28, v7
	v_lshlrev_b64 v[10:11], v10, v[4:5]
	v_sub_u32_e32 v7, 29, v7
	v_and_b32_e32 v10, 7, v10
	v_cndmask_b32_e32 v7, v14, v7, vcc
	v_cndmask_b32_e32 v4, v4, v10, vcc
	v_bfrev_b32_e32 v10, 60
	v_lshlrev_b32_e32 v6, 16, v6
	v_lshl_add_u32 v7, v7, 23, v10
	v_and_or_b32 v6, v6, s27, v7
	v_lshlrev_b32_e32 v4, 20, v4
	v_or_b32_e32 v15, v6, v4
	v_mov_b32_e32 v14, v5
.LBB233_242:                            ;   in Loop: Header=BB233_13 Depth=1
	s_or_b64 exec, exec, s[40:41]
.LBB233_243:                            ;   in Loop: Header=BB233_13 Depth=1
	s_or_b64 exec, exec, s[38:39]
.LBB233_244:                            ;   in Loop: Header=BB233_13 Depth=1
	s_or_b64 exec, exec, s[36:37]
	flat_load_ushort v2, v[2:3] offset:12
	v_pk_mov_b32 v[54:55], 0, 0
	s_waitcnt vmcnt(0) lgkmcnt(0)
	v_and_b32_e32 v6, 0xffff, v2
	v_cmp_ne_u16_sdwa vcc, v2, v5 src0_sel:BYTE_0 src1_sel:DWORD
	v_pk_mov_b32 v[2:3], v[54:55], v[54:55] op_sel:[0,1]
	s_and_saveexec_b64 s[36:37], vcc
	s_cbranch_execz .LBB233_250
; %bb.245:                              ;   in Loop: Header=BB233_13 Depth=1
	v_bfrev_b32_e32 v2, 1
	v_cmp_ne_u16_sdwa vcc, v6, s43 src0_sel:BYTE_0 src1_sel:DWORD
	v_mov_b32_e32 v3, 0
	s_and_saveexec_b64 s[38:39], vcc
	s_cbranch_execz .LBB233_249
; %bb.246:                              ;   in Loop: Header=BB233_13 Depth=1
	v_and_b32_e32 v4, 0x7f, v6
	v_mov_b32_e32 v2, 0x7f800001
	v_cmp_ne_u32_e32 vcc, s44, v4
	v_mov_b32_e32 v3, 0
	s_and_saveexec_b64 s[40:41], vcc
	s_cbranch_execz .LBB233_248
; %bb.247:                              ;   in Loop: Header=BB233_13 Depth=1
	v_and_b32_e32 v7, 7, v6
	v_ffbh_u32_e32 v2, v7
	v_lshrrev_b32_e32 v10, 3, v4
	v_cmp_gt_u32_e32 vcc, 8, v4
	v_min_u32_e32 v4, 32, v2
	v_subrev_u32_e32 v2, 28, v4
	v_lshlrev_b64 v[2:3], v2, v[6:7]
	v_sub_u32_e32 v3, 29, v4
	v_and_b32_e32 v2, 7, v2
	v_cndmask_b32_e32 v3, v10, v3, vcc
	v_cndmask_b32_e32 v2, v7, v2, vcc
	v_bfrev_b32_e32 v7, 60
	v_lshlrev_b32_e32 v2, 20, v2
	v_and_b32_sdwa v4, sext(v6), s27 dst_sel:DWORD dst_unused:UNUSED_PAD src0_sel:BYTE_0 src1_sel:DWORD
	v_lshl_add_u32 v3, v3, 23, v7
	v_or3_b32 v4, v4, v3, v2
	v_pk_mov_b32 v[2:3], v[4:5], v[4:5] op_sel:[0,1]
.LBB233_248:                            ;   in Loop: Header=BB233_13 Depth=1
	s_or_b64 exec, exec, s[40:41]
.LBB233_249:                            ;   in Loop: Header=BB233_13 Depth=1
	s_or_b64 exec, exec, s[38:39]
.LBB233_250:                            ;   in Loop: Header=BB233_13 Depth=1
	s_or_b64 exec, exec, s[36:37]
	v_cmp_ne_u16_sdwa vcc, v6, v5 src0_sel:BYTE_1 src1_sel:DWORD
	s_and_saveexec_b64 s[36:37], vcc
	s_cbranch_execz .LBB233_256
; %bb.251:                              ;   in Loop: Header=BB233_13 Depth=1
	v_cmp_ne_u16_sdwa vcc, v6, s43 src0_sel:BYTE_1 src1_sel:DWORD
	v_pk_mov_b32 v[54:55], s[26:27], s[26:27] op_sel:[0,1]
	s_and_saveexec_b64 s[38:39], vcc
	s_cbranch_execz .LBB233_255
; %bb.252:                              ;   in Loop: Header=BB233_13 Depth=1
	v_and_b32_sdwa v7, v6, s44 dst_sel:DWORD dst_unused:UNUSED_PAD src0_sel:BYTE_1 src1_sel:DWORD
	s_mov_b32 s34, s26
	v_cmp_ne_u32_e32 vcc, s44, v7
	v_pk_mov_b32 v[54:55], s[34:35], s[34:35] op_sel:[0,1]
	s_and_saveexec_b64 s[40:41], vcc
	s_cbranch_execz .LBB233_254
; %bb.253:                              ;   in Loop: Header=BB233_13 Depth=1
	v_mov_b32_e32 v4, 7
	v_and_b32_sdwa v4, v6, v4 dst_sel:DWORD dst_unused:UNUSED_PAD src0_sel:BYTE_1 src1_sel:DWORD
	v_lshrrev_b32_e32 v16, 3, v7
	v_cmp_gt_u32_e32 vcc, 8, v7
	v_ffbh_u32_e32 v7, v4
	v_min_u32_e32 v7, 32, v7
	v_subrev_u32_e32 v10, 28, v7
	v_lshlrev_b64 v[10:11], v10, v[4:5]
	v_sub_u32_e32 v7, 29, v7
	v_and_b32_e32 v10, 7, v10
	v_cndmask_b32_e32 v7, v16, v7, vcc
	v_cndmask_b32_e32 v4, v4, v10, vcc
	v_bfrev_b32_e32 v10, 60
	v_lshlrev_b32_e32 v6, 16, v6
	v_lshl_add_u32 v7, v7, 23, v10
	v_and_or_b32 v6, v6, s27, v7
	v_lshlrev_b32_e32 v4, 20, v4
	v_or_b32_e32 v55, v6, v4
	v_mov_b32_e32 v54, v5
.LBB233_254:                            ;   in Loop: Header=BB233_13 Depth=1
	s_or_b64 exec, exec, s[40:41]
.LBB233_255:                            ;   in Loop: Header=BB233_13 Depth=1
	s_or_b64 exec, exec, s[38:39]
.LBB233_256:                            ;   in Loop: Header=BB233_13 Depth=1
	s_or_b64 exec, exec, s[36:37]
	flat_load_ushort v4, v[0:1] offset:2560
	v_pk_mov_b32 v[40:41], 0, 0
	v_pk_mov_b32 v[16:17], v[40:41], v[40:41] op_sel:[0,1]
	s_waitcnt vmcnt(0) lgkmcnt(0)
	v_and_b32_e32 v6, 0xffff, v4
	v_cmp_ne_u16_sdwa vcc, v4, v5 src0_sel:BYTE_0 src1_sel:DWORD
	s_and_saveexec_b64 s[36:37], vcc
	s_cbranch_execz .LBB233_262
; %bb.257:                              ;   in Loop: Header=BB233_13 Depth=1
	v_bfrev_b32_e32 v16, 1
	v_cmp_ne_u16_sdwa vcc, v6, s43 src0_sel:BYTE_0 src1_sel:DWORD
	v_mov_b32_e32 v17, 0
	s_and_saveexec_b64 s[38:39], vcc
	s_cbranch_execz .LBB233_261
; %bb.258:                              ;   in Loop: Header=BB233_13 Depth=1
	v_and_b32_e32 v4, 0x7f, v6
	v_mov_b32_e32 v16, 0x7f800001
	v_cmp_ne_u32_e32 vcc, s44, v4
	v_mov_b32_e32 v17, 0
	s_and_saveexec_b64 s[40:41], vcc
	s_cbranch_execz .LBB233_260
; %bb.259:                              ;   in Loop: Header=BB233_13 Depth=1
	v_and_b32_e32 v7, 7, v6
	v_lshrrev_b32_e32 v16, 3, v4
	v_cmp_gt_u32_e32 vcc, 8, v4
	v_ffbh_u32_e32 v4, v7
	v_min_u32_e32 v4, 32, v4
	v_subrev_u32_e32 v10, 28, v4
	v_lshlrev_b64 v[10:11], v10, v[6:7]
	v_sub_u32_e32 v4, 29, v4
	v_and_b32_e32 v10, 7, v10
	v_cndmask_b32_e32 v4, v16, v4, vcc
	v_cndmask_b32_e32 v7, v7, v10, vcc
	v_bfrev_b32_e32 v11, 60
	v_lshlrev_b32_e32 v7, 20, v7
	v_and_b32_sdwa v10, sext(v6), s27 dst_sel:DWORD dst_unused:UNUSED_PAD src0_sel:BYTE_0 src1_sel:DWORD
	v_lshl_add_u32 v4, v4, 23, v11
	v_or3_b32 v4, v10, v4, v7
	v_pk_mov_b32 v[16:17], v[4:5], v[4:5] op_sel:[0,1]
.LBB233_260:                            ;   in Loop: Header=BB233_13 Depth=1
	s_or_b64 exec, exec, s[40:41]
.LBB233_261:                            ;   in Loop: Header=BB233_13 Depth=1
	s_or_b64 exec, exec, s[38:39]
.LBB233_262:                            ;   in Loop: Header=BB233_13 Depth=1
	s_or_b64 exec, exec, s[36:37]
	v_cmp_ne_u16_sdwa vcc, v6, v5 src0_sel:BYTE_1 src1_sel:DWORD
	s_and_saveexec_b64 s[36:37], vcc
	s_cbranch_execz .LBB233_268
; %bb.263:                              ;   in Loop: Header=BB233_13 Depth=1
	v_cmp_ne_u16_sdwa vcc, v6, s43 src0_sel:BYTE_1 src1_sel:DWORD
	v_pk_mov_b32 v[40:41], s[26:27], s[26:27] op_sel:[0,1]
	s_and_saveexec_b64 s[38:39], vcc
	s_cbranch_execz .LBB233_267
; %bb.264:                              ;   in Loop: Header=BB233_13 Depth=1
	v_and_b32_sdwa v7, v6, s44 dst_sel:DWORD dst_unused:UNUSED_PAD src0_sel:BYTE_1 src1_sel:DWORD
	s_mov_b32 s34, s26
	v_cmp_ne_u32_e32 vcc, s44, v7
	v_pk_mov_b32 v[40:41], s[34:35], s[34:35] op_sel:[0,1]
	s_and_saveexec_b64 s[40:41], vcc
	s_cbranch_execz .LBB233_266
; %bb.265:                              ;   in Loop: Header=BB233_13 Depth=1
	v_mov_b32_e32 v4, 7
	v_and_b32_sdwa v4, v6, v4 dst_sel:DWORD dst_unused:UNUSED_PAD src0_sel:BYTE_1 src1_sel:DWORD
	v_lshrrev_b32_e32 v18, 3, v7
	v_cmp_gt_u32_e32 vcc, 8, v7
	v_ffbh_u32_e32 v7, v4
	v_min_u32_e32 v7, 32, v7
	v_subrev_u32_e32 v10, 28, v7
	v_lshlrev_b64 v[10:11], v10, v[4:5]
	v_sub_u32_e32 v7, 29, v7
	v_and_b32_e32 v10, 7, v10
	v_cndmask_b32_e32 v7, v18, v7, vcc
	v_cndmask_b32_e32 v4, v4, v10, vcc
	v_bfrev_b32_e32 v10, 60
	v_lshlrev_b32_e32 v6, 16, v6
	v_lshl_add_u32 v7, v7, 23, v10
	v_and_or_b32 v6, v6, s27, v7
	v_lshlrev_b32_e32 v4, 20, v4
	v_or_b32_e32 v41, v6, v4
	v_mov_b32_e32 v40, v5
.LBB233_266:                            ;   in Loop: Header=BB233_13 Depth=1
	s_or_b64 exec, exec, s[40:41]
.LBB233_267:                            ;   in Loop: Header=BB233_13 Depth=1
	s_or_b64 exec, exec, s[38:39]
.LBB233_268:                            ;   in Loop: Header=BB233_13 Depth=1
	s_or_b64 exec, exec, s[36:37]
	flat_load_ushort v4, v[0:1] offset:2564
	v_pk_mov_b32 v[44:45], 0, 0
	v_pk_mov_b32 v[18:19], v[44:45], v[44:45] op_sel:[0,1]
	s_waitcnt vmcnt(0) lgkmcnt(0)
	v_and_b32_e32 v6, 0xffff, v4
	v_cmp_ne_u16_sdwa vcc, v4, v5 src0_sel:BYTE_0 src1_sel:DWORD
	s_and_saveexec_b64 s[36:37], vcc
	s_cbranch_execz .LBB233_274
; %bb.269:                              ;   in Loop: Header=BB233_13 Depth=1
	v_bfrev_b32_e32 v18, 1
	v_cmp_ne_u16_sdwa vcc, v6, s43 src0_sel:BYTE_0 src1_sel:DWORD
	v_mov_b32_e32 v19, 0
	s_and_saveexec_b64 s[38:39], vcc
	s_cbranch_execz .LBB233_273
; %bb.270:                              ;   in Loop: Header=BB233_13 Depth=1
	v_and_b32_e32 v4, 0x7f, v6
	v_mov_b32_e32 v18, 0x7f800001
	v_cmp_ne_u32_e32 vcc, s44, v4
	v_mov_b32_e32 v19, 0
	s_and_saveexec_b64 s[40:41], vcc
	s_cbranch_execz .LBB233_272
; %bb.271:                              ;   in Loop: Header=BB233_13 Depth=1
	v_and_b32_e32 v7, 7, v6
	v_lshrrev_b32_e32 v18, 3, v4
	v_cmp_gt_u32_e32 vcc, 8, v4
	v_ffbh_u32_e32 v4, v7
	v_min_u32_e32 v4, 32, v4
	v_subrev_u32_e32 v10, 28, v4
	v_lshlrev_b64 v[10:11], v10, v[6:7]
	v_sub_u32_e32 v4, 29, v4
	v_and_b32_e32 v10, 7, v10
	v_cndmask_b32_e32 v4, v18, v4, vcc
	v_cndmask_b32_e32 v7, v7, v10, vcc
	v_bfrev_b32_e32 v11, 60
	v_lshlrev_b32_e32 v7, 20, v7
	v_and_b32_sdwa v10, sext(v6), s27 dst_sel:DWORD dst_unused:UNUSED_PAD src0_sel:BYTE_0 src1_sel:DWORD
	v_lshl_add_u32 v4, v4, 23, v11
	v_or3_b32 v4, v10, v4, v7
	v_pk_mov_b32 v[18:19], v[4:5], v[4:5] op_sel:[0,1]
.LBB233_272:                            ;   in Loop: Header=BB233_13 Depth=1
	s_or_b64 exec, exec, s[40:41]
.LBB233_273:                            ;   in Loop: Header=BB233_13 Depth=1
	s_or_b64 exec, exec, s[38:39]
.LBB233_274:                            ;   in Loop: Header=BB233_13 Depth=1
	s_or_b64 exec, exec, s[36:37]
	v_cmp_ne_u16_sdwa vcc, v6, v5 src0_sel:BYTE_1 src1_sel:DWORD
	s_and_saveexec_b64 s[36:37], vcc
	s_cbranch_execz .LBB233_280
; %bb.275:                              ;   in Loop: Header=BB233_13 Depth=1
	v_cmp_ne_u16_sdwa vcc, v6, s43 src0_sel:BYTE_1 src1_sel:DWORD
	v_pk_mov_b32 v[44:45], s[26:27], s[26:27] op_sel:[0,1]
	s_and_saveexec_b64 s[38:39], vcc
	s_cbranch_execz .LBB233_279
; %bb.276:                              ;   in Loop: Header=BB233_13 Depth=1
	v_and_b32_sdwa v7, v6, s44 dst_sel:DWORD dst_unused:UNUSED_PAD src0_sel:BYTE_1 src1_sel:DWORD
	s_mov_b32 s34, s26
	v_cmp_ne_u32_e32 vcc, s44, v7
	v_pk_mov_b32 v[44:45], s[34:35], s[34:35] op_sel:[0,1]
	s_and_saveexec_b64 s[40:41], vcc
	s_cbranch_execz .LBB233_278
; %bb.277:                              ;   in Loop: Header=BB233_13 Depth=1
	v_mov_b32_e32 v4, 7
	v_and_b32_sdwa v4, v6, v4 dst_sel:DWORD dst_unused:UNUSED_PAD src0_sel:BYTE_1 src1_sel:DWORD
	v_lshrrev_b32_e32 v20, 3, v7
	v_cmp_gt_u32_e32 vcc, 8, v7
	v_ffbh_u32_e32 v7, v4
	v_min_u32_e32 v7, 32, v7
	v_subrev_u32_e32 v10, 28, v7
	v_lshlrev_b64 v[10:11], v10, v[4:5]
	v_sub_u32_e32 v7, 29, v7
	v_and_b32_e32 v10, 7, v10
	v_cndmask_b32_e32 v7, v20, v7, vcc
	v_cndmask_b32_e32 v4, v4, v10, vcc
	v_bfrev_b32_e32 v10, 60
	v_lshlrev_b32_e32 v6, 16, v6
	v_lshl_add_u32 v7, v7, 23, v10
	v_and_or_b32 v6, v6, s27, v7
	v_lshlrev_b32_e32 v4, 20, v4
	v_or_b32_e32 v45, v6, v4
	v_mov_b32_e32 v44, v5
.LBB233_278:                            ;   in Loop: Header=BB233_13 Depth=1
	s_or_b64 exec, exec, s[40:41]
.LBB233_279:                            ;   in Loop: Header=BB233_13 Depth=1
	s_or_b64 exec, exec, s[38:39]
.LBB233_280:                            ;   in Loop: Header=BB233_13 Depth=1
	s_or_b64 exec, exec, s[36:37]
	v_add_co_u32_e32 v6, vcc, 0xa00, v0
	v_addc_co_u32_e32 v7, vcc, 0, v1, vcc
	flat_load_ushort v4, v[6:7] offset:8
	v_pk_mov_b32 v[56:57], 0, 0
	v_pk_mov_b32 v[32:33], v[56:57], v[56:57] op_sel:[0,1]
	s_waitcnt vmcnt(0) lgkmcnt(0)
	v_and_b32_e32 v10, 0xffff, v4
	v_cmp_ne_u16_sdwa vcc, v4, v5 src0_sel:BYTE_0 src1_sel:DWORD
	s_and_saveexec_b64 s[36:37], vcc
	s_cbranch_execz .LBB233_286
; %bb.281:                              ;   in Loop: Header=BB233_13 Depth=1
	v_bfrev_b32_e32 v32, 1
	v_cmp_ne_u16_sdwa vcc, v10, s43 src0_sel:BYTE_0 src1_sel:DWORD
	v_mov_b32_e32 v33, 0
	s_and_saveexec_b64 s[38:39], vcc
	s_cbranch_execz .LBB233_285
; %bb.282:                              ;   in Loop: Header=BB233_13 Depth=1
	v_and_b32_e32 v4, 0x7f, v10
	v_mov_b32_e32 v32, 0x7f800001
	v_cmp_ne_u32_e32 vcc, s44, v4
	v_mov_b32_e32 v33, 0
	s_and_saveexec_b64 s[40:41], vcc
	s_cbranch_execz .LBB233_284
; %bb.283:                              ;   in Loop: Header=BB233_13 Depth=1
	v_and_b32_e32 v11, 7, v10
	v_lshrrev_b32_e32 v28, 3, v4
	v_cmp_gt_u32_e32 vcc, 8, v4
	v_ffbh_u32_e32 v4, v11
	v_min_u32_e32 v4, 32, v4
	v_subrev_u32_e32 v20, 28, v4
	v_lshlrev_b64 v[20:21], v20, v[10:11]
	v_sub_u32_e32 v4, 29, v4
	v_and_b32_e32 v20, 7, v20
	v_cndmask_b32_e32 v4, v28, v4, vcc
	v_cndmask_b32_e32 v11, v11, v20, vcc
	v_bfrev_b32_e32 v21, 60
	v_lshlrev_b32_e32 v11, 20, v11
	v_and_b32_sdwa v20, sext(v10), s27 dst_sel:DWORD dst_unused:UNUSED_PAD src0_sel:BYTE_0 src1_sel:DWORD
	v_lshl_add_u32 v4, v4, 23, v21
	v_or3_b32 v4, v20, v4, v11
	v_pk_mov_b32 v[32:33], v[4:5], v[4:5] op_sel:[0,1]
.LBB233_284:                            ;   in Loop: Header=BB233_13 Depth=1
	s_or_b64 exec, exec, s[40:41]
.LBB233_285:                            ;   in Loop: Header=BB233_13 Depth=1
	s_or_b64 exec, exec, s[38:39]
.LBB233_286:                            ;   in Loop: Header=BB233_13 Depth=1
	s_or_b64 exec, exec, s[36:37]
	v_cmp_ne_u16_sdwa vcc, v10, v5 src0_sel:BYTE_1 src1_sel:DWORD
	s_and_saveexec_b64 s[36:37], vcc
	s_cbranch_execz .LBB233_292
; %bb.287:                              ;   in Loop: Header=BB233_13 Depth=1
	v_cmp_ne_u16_sdwa vcc, v10, s43 src0_sel:BYTE_1 src1_sel:DWORD
	v_pk_mov_b32 v[56:57], s[26:27], s[26:27] op_sel:[0,1]
	s_and_saveexec_b64 s[38:39], vcc
	s_cbranch_execz .LBB233_291
; %bb.288:                              ;   in Loop: Header=BB233_13 Depth=1
	v_and_b32_sdwa v11, v10, s44 dst_sel:DWORD dst_unused:UNUSED_PAD src0_sel:BYTE_1 src1_sel:DWORD
	s_mov_b32 s34, s26
	v_cmp_ne_u32_e32 vcc, s44, v11
	v_pk_mov_b32 v[56:57], s[34:35], s[34:35] op_sel:[0,1]
	s_and_saveexec_b64 s[40:41], vcc
	s_cbranch_execz .LBB233_290
; %bb.289:                              ;   in Loop: Header=BB233_13 Depth=1
	v_mov_b32_e32 v4, 7
	v_and_b32_sdwa v4, v10, v4 dst_sel:DWORD dst_unused:UNUSED_PAD src0_sel:BYTE_1 src1_sel:DWORD
	v_lshrrev_b32_e32 v28, 3, v11
	v_cmp_gt_u32_e32 vcc, 8, v11
	v_ffbh_u32_e32 v11, v4
	v_min_u32_e32 v11, 32, v11
	v_subrev_u32_e32 v20, 28, v11
	v_lshlrev_b64 v[20:21], v20, v[4:5]
	v_sub_u32_e32 v11, 29, v11
	v_and_b32_e32 v20, 7, v20
	v_cndmask_b32_e32 v11, v28, v11, vcc
	v_cndmask_b32_e32 v4, v4, v20, vcc
	v_bfrev_b32_e32 v20, 60
	v_lshlrev_b32_e32 v10, 16, v10
	v_lshl_add_u32 v11, v11, 23, v20
	v_and_or_b32 v10, v10, s27, v11
	v_lshlrev_b32_e32 v4, 20, v4
	v_or_b32_e32 v57, v10, v4
	v_mov_b32_e32 v56, v5
.LBB233_290:                            ;   in Loop: Header=BB233_13 Depth=1
	s_or_b64 exec, exec, s[40:41]
.LBB233_291:                            ;   in Loop: Header=BB233_13 Depth=1
	s_or_b64 exec, exec, s[38:39]
.LBB233_292:                            ;   in Loop: Header=BB233_13 Depth=1
	s_or_b64 exec, exec, s[36:37]
	flat_load_ushort v4, v[6:7] offset:12
	v_pk_mov_b32 v[10:11], 0, 0
	v_pk_mov_b32 v[36:37], v[10:11], v[10:11] op_sel:[0,1]
	s_waitcnt vmcnt(0) lgkmcnt(0)
	v_and_b32_e32 v6, 0xffff, v4
	v_cmp_ne_u16_sdwa vcc, v4, v5 src0_sel:BYTE_0 src1_sel:DWORD
	s_and_saveexec_b64 s[36:37], vcc
	s_cbranch_execz .LBB233_298
; %bb.293:                              ;   in Loop: Header=BB233_13 Depth=1
	v_bfrev_b32_e32 v36, 1
	v_cmp_ne_u16_sdwa vcc, v6, s43 src0_sel:BYTE_0 src1_sel:DWORD
	v_mov_b32_e32 v37, 0
	s_and_saveexec_b64 s[38:39], vcc
	s_cbranch_execz .LBB233_297
; %bb.294:                              ;   in Loop: Header=BB233_13 Depth=1
	v_and_b32_e32 v4, 0x7f, v6
	v_mov_b32_e32 v36, 0x7f800001
	v_cmp_ne_u32_e32 vcc, s44, v4
	v_mov_b32_e32 v37, 0
	s_and_saveexec_b64 s[40:41], vcc
	s_cbranch_execz .LBB233_296
; %bb.295:                              ;   in Loop: Header=BB233_13 Depth=1
	v_and_b32_e32 v7, 7, v6
	v_lshrrev_b32_e32 v28, 3, v4
	v_cmp_gt_u32_e32 vcc, 8, v4
	v_ffbh_u32_e32 v4, v7
	v_min_u32_e32 v4, 32, v4
	v_subrev_u32_e32 v20, 28, v4
	v_lshlrev_b64 v[20:21], v20, v[6:7]
	v_sub_u32_e32 v4, 29, v4
	v_and_b32_e32 v20, 7, v20
	v_cndmask_b32_e32 v4, v28, v4, vcc
	v_cndmask_b32_e32 v7, v7, v20, vcc
	v_bfrev_b32_e32 v21, 60
	v_lshlrev_b32_e32 v7, 20, v7
	v_and_b32_sdwa v20, sext(v6), s27 dst_sel:DWORD dst_unused:UNUSED_PAD src0_sel:BYTE_0 src1_sel:DWORD
	v_lshl_add_u32 v4, v4, 23, v21
	v_or3_b32 v4, v20, v4, v7
	v_pk_mov_b32 v[36:37], v[4:5], v[4:5] op_sel:[0,1]
.LBB233_296:                            ;   in Loop: Header=BB233_13 Depth=1
	s_or_b64 exec, exec, s[40:41]
.LBB233_297:                            ;   in Loop: Header=BB233_13 Depth=1
	s_or_b64 exec, exec, s[38:39]
.LBB233_298:                            ;   in Loop: Header=BB233_13 Depth=1
	s_or_b64 exec, exec, s[36:37]
	v_cmp_ne_u16_sdwa vcc, v6, v5 src0_sel:BYTE_1 src1_sel:DWORD
	s_and_saveexec_b64 s[36:37], vcc
	s_cbranch_execz .LBB233_304
; %bb.299:                              ;   in Loop: Header=BB233_13 Depth=1
	v_cmp_ne_u16_sdwa vcc, v6, s43 src0_sel:BYTE_1 src1_sel:DWORD
	v_pk_mov_b32 v[10:11], s[26:27], s[26:27] op_sel:[0,1]
	s_and_saveexec_b64 s[38:39], vcc
	s_cbranch_execz .LBB233_303
; %bb.300:                              ;   in Loop: Header=BB233_13 Depth=1
	v_and_b32_sdwa v7, v6, s44 dst_sel:DWORD dst_unused:UNUSED_PAD src0_sel:BYTE_1 src1_sel:DWORD
	s_mov_b32 s34, s26
	v_cmp_ne_u32_e32 vcc, s44, v7
	v_pk_mov_b32 v[10:11], s[34:35], s[34:35] op_sel:[0,1]
	s_and_saveexec_b64 s[40:41], vcc
	s_cbranch_execz .LBB233_302
; %bb.301:                              ;   in Loop: Header=BB233_13 Depth=1
	v_mov_b32_e32 v4, 7
	v_and_b32_sdwa v4, v6, v4 dst_sel:DWORD dst_unused:UNUSED_PAD src0_sel:BYTE_1 src1_sel:DWORD
	v_lshrrev_b32_e32 v20, 3, v7
	v_cmp_gt_u32_e32 vcc, 8, v7
	v_ffbh_u32_e32 v7, v4
	v_min_u32_e32 v7, 32, v7
	v_subrev_u32_e32 v10, 28, v7
	v_lshlrev_b64 v[10:11], v10, v[4:5]
	v_sub_u32_e32 v7, 29, v7
	v_and_b32_e32 v10, 7, v10
	v_cndmask_b32_e32 v7, v20, v7, vcc
	v_cndmask_b32_e32 v4, v4, v10, vcc
	v_bfrev_b32_e32 v10, 60
	v_lshlrev_b32_e32 v6, 16, v6
	v_lshl_add_u32 v7, v7, 23, v10
	v_and_or_b32 v6, v6, s27, v7
	v_lshlrev_b32_e32 v4, 20, v4
	v_or_b32_e32 v11, v6, v4
	v_mov_b32_e32 v10, v5
.LBB233_302:                            ;   in Loop: Header=BB233_13 Depth=1
	s_or_b64 exec, exec, s[40:41]
.LBB233_303:                            ;   in Loop: Header=BB233_13 Depth=1
	s_or_b64 exec, exec, s[38:39]
.LBB233_304:                            ;   in Loop: Header=BB233_13 Depth=1
	s_or_b64 exec, exec, s[36:37]
	flat_load_ushort v4, v[0:1] offset:3072
	v_pk_mov_b32 v[6:7], 0, 0
	v_pk_mov_b32 v[48:49], v[6:7], v[6:7] op_sel:[0,1]
	s_waitcnt vmcnt(0) lgkmcnt(0)
	v_and_b32_e32 v20, 0xffff, v4
	v_cmp_ne_u16_sdwa vcc, v4, v5 src0_sel:BYTE_0 src1_sel:DWORD
	s_and_saveexec_b64 s[36:37], vcc
	s_cbranch_execz .LBB233_310
; %bb.305:                              ;   in Loop: Header=BB233_13 Depth=1
	v_bfrev_b32_e32 v48, 1
	v_cmp_ne_u16_sdwa vcc, v20, s43 src0_sel:BYTE_0 src1_sel:DWORD
	v_mov_b32_e32 v49, 0
	s_and_saveexec_b64 s[38:39], vcc
	s_cbranch_execz .LBB233_309
; %bb.306:                              ;   in Loop: Header=BB233_13 Depth=1
	v_and_b32_e32 v4, 0x7f, v20
	v_mov_b32_e32 v48, 0x7f800001
	v_cmp_ne_u32_e32 vcc, s44, v4
	v_mov_b32_e32 v49, 0
	s_and_saveexec_b64 s[40:41], vcc
	s_cbranch_execz .LBB233_308
; %bb.307:                              ;   in Loop: Header=BB233_13 Depth=1
	v_and_b32_e32 v21, 7, v20
	v_lshrrev_b32_e32 v34, 3, v4
	v_cmp_gt_u32_e32 vcc, 8, v4
	v_ffbh_u32_e32 v4, v21
	v_min_u32_e32 v4, 32, v4
	v_subrev_u32_e32 v28, 28, v4
	v_lshlrev_b64 v[28:29], v28, v[20:21]
	v_sub_u32_e32 v4, 29, v4
	v_and_b32_e32 v28, 7, v28
	v_cndmask_b32_e32 v4, v34, v4, vcc
	v_cndmask_b32_e32 v21, v21, v28, vcc
	v_bfrev_b32_e32 v29, 60
	v_lshlrev_b32_e32 v21, 20, v21
	v_and_b32_sdwa v28, sext(v20), s27 dst_sel:DWORD dst_unused:UNUSED_PAD src0_sel:BYTE_0 src1_sel:DWORD
	v_lshl_add_u32 v4, v4, 23, v29
	v_or3_b32 v4, v28, v4, v21
	v_pk_mov_b32 v[48:49], v[4:5], v[4:5] op_sel:[0,1]
.LBB233_308:                            ;   in Loop: Header=BB233_13 Depth=1
	s_or_b64 exec, exec, s[40:41]
.LBB233_309:                            ;   in Loop: Header=BB233_13 Depth=1
	s_or_b64 exec, exec, s[38:39]
.LBB233_310:                            ;   in Loop: Header=BB233_13 Depth=1
	s_or_b64 exec, exec, s[36:37]
	v_cmp_ne_u16_sdwa vcc, v20, v5 src0_sel:BYTE_1 src1_sel:DWORD
	s_and_saveexec_b64 s[36:37], vcc
	s_cbranch_execz .LBB233_316
; %bb.311:                              ;   in Loop: Header=BB233_13 Depth=1
	v_cmp_ne_u16_sdwa vcc, v20, s43 src0_sel:BYTE_1 src1_sel:DWORD
	v_pk_mov_b32 v[6:7], s[26:27], s[26:27] op_sel:[0,1]
	s_and_saveexec_b64 s[38:39], vcc
	s_cbranch_execz .LBB233_315
; %bb.312:                              ;   in Loop: Header=BB233_13 Depth=1
	v_and_b32_sdwa v21, v20, s44 dst_sel:DWORD dst_unused:UNUSED_PAD src0_sel:BYTE_1 src1_sel:DWORD
	s_mov_b32 s34, s26
	v_cmp_ne_u32_e32 vcc, s44, v21
	v_pk_mov_b32 v[6:7], s[34:35], s[34:35] op_sel:[0,1]
	s_and_saveexec_b64 s[40:41], vcc
	s_cbranch_execz .LBB233_314
; %bb.313:                              ;   in Loop: Header=BB233_13 Depth=1
	v_mov_b32_e32 v4, 7
	v_and_b32_sdwa v4, v20, v4 dst_sel:DWORD dst_unused:UNUSED_PAD src0_sel:BYTE_1 src1_sel:DWORD
	v_ffbh_u32_e32 v6, v4
	v_lshrrev_b32_e32 v28, 3, v21
	v_cmp_gt_u32_e32 vcc, 8, v21
	v_min_u32_e32 v21, 32, v6
	v_subrev_u32_e32 v6, 28, v21
	v_lshlrev_b64 v[6:7], v6, v[4:5]
	v_sub_u32_e32 v7, 29, v21
	v_and_b32_e32 v6, 7, v6
	v_cndmask_b32_e32 v7, v28, v7, vcc
	v_cndmask_b32_e32 v4, v4, v6, vcc
	v_lshlrev_b32_e32 v6, 16, v20
	v_bfrev_b32_e32 v20, 60
	v_lshl_add_u32 v7, v7, 23, v20
	v_and_or_b32 v6, v6, s27, v7
	v_lshlrev_b32_e32 v4, 20, v4
	v_or_b32_e32 v7, v6, v4
	v_mov_b32_e32 v6, v5
.LBB233_314:                            ;   in Loop: Header=BB233_13 Depth=1
	s_or_b64 exec, exec, s[40:41]
.LBB233_315:                            ;   in Loop: Header=BB233_13 Depth=1
	s_or_b64 exec, exec, s[38:39]
.LBB233_316:                            ;   in Loop: Header=BB233_13 Depth=1
	s_or_b64 exec, exec, s[36:37]
	flat_load_ushort v4, v[0:1] offset:3076
	v_pk_mov_b32 v[28:29], 0, 0
	v_pk_mov_b32 v[52:53], v[28:29], v[28:29] op_sel:[0,1]
	s_waitcnt vmcnt(0) lgkmcnt(0)
	v_and_b32_e32 v20, 0xffff, v4
	v_cmp_ne_u16_sdwa vcc, v4, v5 src0_sel:BYTE_0 src1_sel:DWORD
	s_and_saveexec_b64 s[36:37], vcc
	s_cbranch_execz .LBB233_322
; %bb.317:                              ;   in Loop: Header=BB233_13 Depth=1
	v_bfrev_b32_e32 v52, 1
	v_cmp_ne_u16_sdwa vcc, v20, s43 src0_sel:BYTE_0 src1_sel:DWORD
	v_mov_b32_e32 v53, 0
	s_and_saveexec_b64 s[38:39], vcc
	s_cbranch_execz .LBB233_321
; %bb.318:                              ;   in Loop: Header=BB233_13 Depth=1
	v_and_b32_e32 v4, 0x7f, v20
	v_mov_b32_e32 v52, 0x7f800001
	v_cmp_ne_u32_e32 vcc, s44, v4
	v_mov_b32_e32 v53, 0
	s_and_saveexec_b64 s[40:41], vcc
	s_cbranch_execz .LBB233_320
; %bb.319:                              ;   in Loop: Header=BB233_13 Depth=1
	v_and_b32_e32 v21, 7, v20
	v_lshrrev_b32_e32 v38, 3, v4
	v_cmp_gt_u32_e32 vcc, 8, v4
	v_ffbh_u32_e32 v4, v21
	v_min_u32_e32 v4, 32, v4
	v_subrev_u32_e32 v34, 28, v4
	v_lshlrev_b64 v[34:35], v34, v[20:21]
	v_sub_u32_e32 v4, 29, v4
	v_and_b32_e32 v34, 7, v34
	v_cndmask_b32_e32 v4, v38, v4, vcc
	v_cndmask_b32_e32 v21, v21, v34, vcc
	v_bfrev_b32_e32 v35, 60
	v_lshlrev_b32_e32 v21, 20, v21
	v_and_b32_sdwa v34, sext(v20), s27 dst_sel:DWORD dst_unused:UNUSED_PAD src0_sel:BYTE_0 src1_sel:DWORD
	v_lshl_add_u32 v4, v4, 23, v35
	v_or3_b32 v4, v34, v4, v21
	v_pk_mov_b32 v[52:53], v[4:5], v[4:5] op_sel:[0,1]
.LBB233_320:                            ;   in Loop: Header=BB233_13 Depth=1
	s_or_b64 exec, exec, s[40:41]
.LBB233_321:                            ;   in Loop: Header=BB233_13 Depth=1
	s_or_b64 exec, exec, s[38:39]
.LBB233_322:                            ;   in Loop: Header=BB233_13 Depth=1
	s_or_b64 exec, exec, s[36:37]
	v_cmp_ne_u16_sdwa vcc, v20, v5 src0_sel:BYTE_1 src1_sel:DWORD
	s_and_saveexec_b64 s[36:37], vcc
	s_cbranch_execz .LBB233_328
; %bb.323:                              ;   in Loop: Header=BB233_13 Depth=1
	v_cmp_ne_u16_sdwa vcc, v20, s43 src0_sel:BYTE_1 src1_sel:DWORD
	v_pk_mov_b32 v[28:29], s[26:27], s[26:27] op_sel:[0,1]
	s_and_saveexec_b64 s[38:39], vcc
	s_cbranch_execz .LBB233_327
; %bb.324:                              ;   in Loop: Header=BB233_13 Depth=1
	v_and_b32_sdwa v21, v20, s44 dst_sel:DWORD dst_unused:UNUSED_PAD src0_sel:BYTE_1 src1_sel:DWORD
	s_mov_b32 s34, s26
	v_cmp_ne_u32_e32 vcc, s44, v21
	v_pk_mov_b32 v[28:29], s[34:35], s[34:35] op_sel:[0,1]
	s_and_saveexec_b64 s[40:41], vcc
	s_cbranch_execz .LBB233_326
; %bb.325:                              ;   in Loop: Header=BB233_13 Depth=1
	v_mov_b32_e32 v4, 7
	v_and_b32_sdwa v4, v20, v4 dst_sel:DWORD dst_unused:UNUSED_PAD src0_sel:BYTE_1 src1_sel:DWORD
	v_lshrrev_b32_e32 v34, 3, v21
	v_cmp_gt_u32_e32 vcc, 8, v21
	v_ffbh_u32_e32 v21, v4
	v_min_u32_e32 v21, 32, v21
	v_subrev_u32_e32 v28, 28, v21
	v_lshlrev_b64 v[28:29], v28, v[4:5]
	v_sub_u32_e32 v21, 29, v21
	v_and_b32_e32 v28, 7, v28
	v_cndmask_b32_e32 v21, v34, v21, vcc
	v_cndmask_b32_e32 v4, v4, v28, vcc
	v_bfrev_b32_e32 v28, 60
	v_lshlrev_b32_e32 v20, 16, v20
	v_lshl_add_u32 v21, v21, 23, v28
	v_and_or_b32 v20, v20, s27, v21
	v_lshlrev_b32_e32 v4, 20, v4
	v_or_b32_e32 v29, v20, v4
	v_mov_b32_e32 v28, v5
.LBB233_326:                            ;   in Loop: Header=BB233_13 Depth=1
	s_or_b64 exec, exec, s[40:41]
.LBB233_327:                            ;   in Loop: Header=BB233_13 Depth=1
	s_or_b64 exec, exec, s[38:39]
.LBB233_328:                            ;   in Loop: Header=BB233_13 Depth=1
	s_or_b64 exec, exec, s[36:37]
	v_add_co_u32_e32 v34, vcc, 0xc00, v0
	v_addc_co_u32_e32 v35, vcc, 0, v1, vcc
	flat_load_ushort v4, v[34:35] offset:8
	v_pk_mov_b32 v[0:1], 0, 0
	v_pk_mov_b32 v[20:21], v[0:1], v[0:1] op_sel:[0,1]
	s_waitcnt vmcnt(0) lgkmcnt(0)
	v_and_b32_e32 v38, 0xffff, v4
	v_cmp_ne_u16_sdwa vcc, v4, v5 src0_sel:BYTE_0 src1_sel:DWORD
	s_and_saveexec_b64 s[36:37], vcc
	s_cbranch_execz .LBB233_334
; %bb.329:                              ;   in Loop: Header=BB233_13 Depth=1
	v_bfrev_b32_e32 v20, 1
	v_cmp_ne_u16_sdwa vcc, v38, s43 src0_sel:BYTE_0 src1_sel:DWORD
	v_mov_b32_e32 v21, 0
	s_and_saveexec_b64 s[38:39], vcc
	s_cbranch_execz .LBB233_333
; %bb.330:                              ;   in Loop: Header=BB233_13 Depth=1
	v_and_b32_e32 v4, 0x7f, v38
	v_mov_b32_e32 v20, 0x7f800001
	v_cmp_ne_u32_e32 vcc, s44, v4
	v_mov_b32_e32 v21, 0
	s_and_saveexec_b64 s[40:41], vcc
	s_cbranch_execz .LBB233_332
; %bb.331:                              ;   in Loop: Header=BB233_13 Depth=1
	v_pk_mov_b32 v[42:43], v[50:51], v[50:51] op_sel:[0,1]
	v_and_b32_e32 v50, 7, v38
	v_lshrrev_b32_e32 v51, 3, v4
	v_cmp_gt_u32_e32 vcc, 8, v4
	v_ffbh_u32_e32 v4, v50
	v_min_u32_e32 v4, 32, v4
	v_subrev_u32_e32 v20, 28, v4
	v_lshlrev_b64 v[20:21], v20, v[38:39]
	v_sub_u32_e32 v4, 29, v4
	v_and_b32_e32 v20, 7, v20
	v_cndmask_b32_e32 v4, v51, v4, vcc
	v_cndmask_b32_e32 v20, v50, v20, vcc
	v_bfrev_b32_e32 v50, 60
	v_lshlrev_b32_e32 v20, 20, v20
	v_and_b32_sdwa v21, sext(v38), s27 dst_sel:DWORD dst_unused:UNUSED_PAD src0_sel:BYTE_0 src1_sel:DWORD
	v_lshl_add_u32 v4, v4, 23, v50
	v_or3_b32 v4, v21, v4, v20
	v_pk_mov_b32 v[50:51], v[42:43], v[42:43] op_sel:[0,1]
	v_pk_mov_b32 v[20:21], v[4:5], v[4:5] op_sel:[0,1]
.LBB233_332:                            ;   in Loop: Header=BB233_13 Depth=1
	s_or_b64 exec, exec, s[40:41]
.LBB233_333:                            ;   in Loop: Header=BB233_13 Depth=1
	s_or_b64 exec, exec, s[38:39]
.LBB233_334:                            ;   in Loop: Header=BB233_13 Depth=1
	s_or_b64 exec, exec, s[36:37]
	v_cmp_ne_u16_sdwa vcc, v38, v5 src0_sel:BYTE_1 src1_sel:DWORD
	s_and_saveexec_b64 s[36:37], vcc
	s_cbranch_execz .LBB233_340
; %bb.335:                              ;   in Loop: Header=BB233_13 Depth=1
	v_cmp_ne_u16_sdwa vcc, v38, s43 src0_sel:BYTE_1 src1_sel:DWORD
	v_pk_mov_b32 v[0:1], s[26:27], s[26:27] op_sel:[0,1]
	s_and_saveexec_b64 s[38:39], vcc
	s_cbranch_execz .LBB233_339
; %bb.336:                              ;   in Loop: Header=BB233_13 Depth=1
	v_and_b32_sdwa v42, v38, s44 dst_sel:DWORD dst_unused:UNUSED_PAD src0_sel:BYTE_1 src1_sel:DWORD
	s_mov_b32 s34, s26
	v_cmp_ne_u32_e32 vcc, s44, v42
	v_pk_mov_b32 v[0:1], s[34:35], s[34:35] op_sel:[0,1]
	s_and_saveexec_b64 s[40:41], vcc
	s_cbranch_execz .LBB233_338
; %bb.337:                              ;   in Loop: Header=BB233_13 Depth=1
	v_mov_b32_e32 v0, 7
	v_and_b32_sdwa v4, v38, v0 dst_sel:DWORD dst_unused:UNUSED_PAD src0_sel:BYTE_1 src1_sel:DWORD
	v_accvgpr_write_b32 a42, v50
	v_ffbh_u32_e32 v0, v4
	v_accvgpr_write_b32 a43, v51
	v_min_u32_e32 v51, 32, v0
	v_subrev_u32_e32 v0, 28, v51
	v_lshlrev_b64 v[0:1], v0, v[4:5]
	v_lshrrev_b32_e32 v50, 3, v42
	v_cmp_gt_u32_e32 vcc, 8, v42
	v_sub_u32_e32 v1, 29, v51
	v_and_b32_e32 v0, 7, v0
	v_cndmask_b32_e32 v1, v50, v1, vcc
	v_cndmask_b32_e32 v0, v4, v0, vcc
	v_lshlrev_b32_e32 v4, 16, v38
	v_bfrev_b32_e32 v38, 60
	v_lshl_add_u32 v1, v1, 23, v38
	v_accvgpr_read_b32 v51, a43
	v_and_or_b32 v1, v4, s27, v1
	v_lshlrev_b32_e32 v0, 20, v0
	v_accvgpr_read_b32 v50, a42
	v_or_b32_e32 v1, v1, v0
	v_mov_b32_e32 v0, v5
.LBB233_338:                            ;   in Loop: Header=BB233_13 Depth=1
	s_or_b64 exec, exec, s[40:41]
.LBB233_339:                            ;   in Loop: Header=BB233_13 Depth=1
	s_or_b64 exec, exec, s[38:39]
.LBB233_340:                            ;   in Loop: Header=BB233_13 Depth=1
	s_or_b64 exec, exec, s[36:37]
	flat_load_ushort v4, v[34:35] offset:12
	v_pk_mov_b32 v[34:35], 0, 0
	v_pk_mov_b32 v[42:43], v[34:35], v[34:35] op_sel:[0,1]
	s_waitcnt vmcnt(0) lgkmcnt(0)
	v_and_b32_e32 v38, 0xffff, v4
	v_cmp_ne_u16_sdwa vcc, v4, v5 src0_sel:BYTE_0 src1_sel:DWORD
	s_and_saveexec_b64 s[36:37], vcc
	s_cbranch_execz .LBB233_346
; %bb.341:                              ;   in Loop: Header=BB233_13 Depth=1
	v_bfrev_b32_e32 v42, 1
	v_cmp_ne_u16_sdwa vcc, v38, s43 src0_sel:BYTE_0 src1_sel:DWORD
	v_mov_b32_e32 v43, 0
	s_and_saveexec_b64 s[38:39], vcc
	s_cbranch_execz .LBB233_345
; %bb.342:                              ;   in Loop: Header=BB233_13 Depth=1
	v_and_b32_e32 v4, 0x7f, v38
	v_mov_b32_e32 v42, 0x7f800001
	v_cmp_ne_u32_e32 vcc, s44, v4
	v_mov_b32_e32 v43, 0
	s_and_saveexec_b64 s[40:41], vcc
	s_cbranch_execz .LBB233_344
; %bb.343:                              ;   in Loop: Header=BB233_13 Depth=1
	v_accvgpr_write_b32 a42, v50
	v_accvgpr_write_b32 a43, v51
	v_and_b32_e32 v50, 7, v38
	v_lshrrev_b32_e32 v51, 3, v4
	v_cmp_gt_u32_e32 vcc, 8, v4
	v_ffbh_u32_e32 v4, v50
	v_min_u32_e32 v4, 32, v4
	v_subrev_u32_e32 v42, 28, v4
	v_lshlrev_b64 v[42:43], v42, v[38:39]
	v_sub_u32_e32 v4, 29, v4
	v_and_b32_e32 v42, 7, v42
	v_cndmask_b32_e32 v4, v51, v4, vcc
	v_cndmask_b32_e32 v50, v50, v42, vcc
	v_bfrev_b32_e32 v42, 60
	v_lshlrev_b32_e32 v50, 20, v50
	v_and_b32_sdwa v51, sext(v38), s27 dst_sel:DWORD dst_unused:UNUSED_PAD src0_sel:BYTE_0 src1_sel:DWORD
	v_lshl_add_u32 v4, v4, 23, v42
	v_or3_b32 v4, v51, v4, v50
	v_accvgpr_read_b32 v51, a43
	v_accvgpr_read_b32 v50, a42
	v_pk_mov_b32 v[42:43], v[4:5], v[4:5] op_sel:[0,1]
.LBB233_344:                            ;   in Loop: Header=BB233_13 Depth=1
	s_or_b64 exec, exec, s[40:41]
.LBB233_345:                            ;   in Loop: Header=BB233_13 Depth=1
	s_or_b64 exec, exec, s[38:39]
.LBB233_346:                            ;   in Loop: Header=BB233_13 Depth=1
	s_or_b64 exec, exec, s[36:37]
	v_accvgpr_write_b32 a39, v58
	v_cmp_ne_u16_sdwa vcc, v38, v5 src0_sel:BYTE_1 src1_sel:DWORD
	s_and_saveexec_b64 s[36:37], vcc
	s_cbranch_execz .LBB233_352
; %bb.347:                              ;   in Loop: Header=BB233_13 Depth=1
	v_cmp_ne_u16_sdwa vcc, v38, s43 src0_sel:BYTE_1 src1_sel:DWORD
	v_pk_mov_b32 v[34:35], s[26:27], s[26:27] op_sel:[0,1]
	s_and_saveexec_b64 s[38:39], vcc
	s_cbranch_execz .LBB233_351
; %bb.348:                              ;   in Loop: Header=BB233_13 Depth=1
	v_mov_b32_e32 v58, v47
	v_and_b32_sdwa v47, v38, s44 dst_sel:DWORD dst_unused:UNUSED_PAD src0_sel:BYTE_1 src1_sel:DWORD
	s_mov_b32 s34, s26
	v_cmp_ne_u32_e32 vcc, s44, v47
	v_pk_mov_b32 v[34:35], s[34:35], s[34:35] op_sel:[0,1]
	s_and_saveexec_b64 s[40:41], vcc
	s_cbranch_execz .LBB233_350
; %bb.349:                              ;   in Loop: Header=BB233_13 Depth=1
	v_mov_b32_e32 v4, 7
	v_and_b32_sdwa v4, v38, v4 dst_sel:DWORD dst_unused:UNUSED_PAD src0_sel:BYTE_1 src1_sel:DWORD
	v_accvgpr_write_b32 a42, v50
	v_ffbh_u32_e32 v34, v4
	v_accvgpr_write_b32 a43, v51
	v_min_u32_e32 v51, 32, v34
	v_subrev_u32_e32 v34, 28, v51
	v_lshlrev_b64 v[34:35], v34, v[4:5]
	v_lshrrev_b32_e32 v50, 3, v47
	v_cmp_gt_u32_e32 vcc, 8, v47
	v_sub_u32_e32 v35, 29, v51
	v_and_b32_e32 v34, 7, v34
	v_cndmask_b32_e32 v35, v50, v35, vcc
	v_cndmask_b32_e32 v4, v4, v34, vcc
	v_lshlrev_b32_e32 v34, 16, v38
	v_bfrev_b32_e32 v38, 60
	v_lshl_add_u32 v35, v35, 23, v38
	v_accvgpr_read_b32 v51, a43
	v_and_or_b32 v34, v34, s27, v35
	v_lshlrev_b32_e32 v4, 20, v4
	v_accvgpr_read_b32 v50, a42
	v_or_b32_e32 v35, v34, v4
	v_mov_b32_e32 v34, v5
.LBB233_350:                            ;   in Loop: Header=BB233_13 Depth=1
	s_or_b64 exec, exec, s[40:41]
	v_mov_b32_e32 v47, v58
.LBB233_351:                            ;   in Loop: Header=BB233_13 Depth=1
	s_or_b64 exec, exec, s[38:39]
.LBB233_352:                            ;   in Loop: Header=BB233_13 Depth=1
	s_or_b64 exec, exec, s[36:37]
	buffer_load_dword v58, off, s[0:3], s32 offset:224 ; 4-byte Folded Reload
	buffer_load_dword v59, off, s[0:3], s32 offset:228 ; 4-byte Folded Reload
	v_or_b32_e32 v1, v1, v21
	v_or_b32_e32 v0, v0, v20
	;; [unrolled: 1-line block ×8, first 2 shown]
	v_accvgpr_read_b32 v2, a32
	v_accvgpr_read_b32 v3, a33
	v_or_b32_e32 v11, v11, v37
	v_or_b32_e32 v10, v10, v36
	;; [unrolled: 1-line block ×8, first 2 shown]
	v_pk_mul_f32 v[0:1], v[12:13], v[0:1] op_sel_hi:[0,1]
	v_pk_mul_f32 v[6:7], v[12:13], v[6:7] op_sel_hi:[0,1]
	v_pk_mul_f32 v[16:17], v[12:13], v[16:17] op_sel_hi:[0,1]
	s_waitcnt vmcnt(0)
	v_or_b32_e32 v51, v51, v59
	v_or_b32_e32 v50, v50, v58
	;; [unrolled: 1-line block ×4, first 2 shown]
	buffer_load_dword v22, off, s[0:3], s32 offset:452 ; 4-byte Folded Reload
	buffer_load_dword v23, off, s[0:3], s32 offset:456 ; 4-byte Folded Reload
	;; [unrolled: 1-line block ×4, first 2 shown]
	v_pk_mul_f32 v[50:51], v[12:13], v[50:51] op_sel_hi:[0,1]
	s_waitcnt vmcnt(1)
	v_mul_f32_e32 v4, v24, v50
	s_waitcnt vmcnt(0)
	v_mul_f32_e32 v38, v25, v51
	v_pk_mul_f32 v[50:51], v[12:13], v[58:59] op_sel_hi:[0,1]
	v_fmac_f32_e32 v4, v22, v50
	v_fmac_f32_e32 v38, v23, v51
	v_accvgpr_read_b32 v22, a40
	v_accvgpr_read_b32 v24, a62
	v_accvgpr_read_b32 v23, a41
	v_accvgpr_read_b32 v25, a63
	v_or_b32_e32 v51, v23, v25
	v_or_b32_e32 v50, v22, v24
	buffer_load_dword v22, off, s[0:3], s32 offset:240 ; 4-byte Folded Reload
	buffer_load_dword v23, off, s[0:3], s32 offset:244 ; 4-byte Folded Reload
	;; [unrolled: 1-line block ×4, first 2 shown]
	v_pk_mul_f32 v[50:51], v[12:13], v[50:51] op_sel_hi:[0,1]
	s_waitcnt vmcnt(0)
	v_or_b32_e32 v59, v23, v25
	v_or_b32_e32 v58, v22, v24
	buffer_load_dword v22, off, s[0:3], s32 offset:436 ; 4-byte Folded Reload
	buffer_load_dword v23, off, s[0:3], s32 offset:440 ; 4-byte Folded Reload
	;; [unrolled: 1-line block ×4, first 2 shown]
	v_pk_mul_f32 v[58:59], v[12:13], v[58:59] op_sel_hi:[0,1]
	s_waitcnt vmcnt(3)
	v_fmac_f32_e32 v4, v22, v58
	s_waitcnt vmcnt(2)
	v_fmac_f32_e32 v38, v23, v59
	s_waitcnt vmcnt(1)
	v_fmac_f32_e32 v4, v24, v50
	s_waitcnt vmcnt(0)
	v_fmac_f32_e32 v38, v25, v51
	v_accvgpr_read_b32 v22, a46
	v_accvgpr_read_b32 v24, a52
	v_accvgpr_read_b32 v23, a47
	v_accvgpr_read_b32 v25, a53
	v_or_b32_e32 v51, v23, v25
	v_or_b32_e32 v50, v22, v24
	v_accvgpr_read_b32 v22, a44
	v_accvgpr_read_b32 v24, a48
	v_accvgpr_read_b32 v23, a45
	v_accvgpr_read_b32 v25, a49
	v_or_b32_e32 v59, v23, v25
	v_or_b32_e32 v58, v22, v24
	buffer_load_dword v22, off, s[0:3], s32 offset:420 ; 4-byte Folded Reload
	buffer_load_dword v23, off, s[0:3], s32 offset:424 ; 4-byte Folded Reload
	buffer_load_dword v24, off, s[0:3], s32 offset:428 ; 4-byte Folded Reload
	buffer_load_dword v25, off, s[0:3], s32 offset:432 ; 4-byte Folded Reload
	v_pk_mul_f32 v[58:59], v[12:13], v[58:59] op_sel_hi:[0,1]
	v_pk_mul_f32 v[50:51], v[12:13], v[50:51] op_sel_hi:[0,1]
	s_waitcnt vmcnt(3)
	v_fmac_f32_e32 v4, v22, v58
	s_waitcnt vmcnt(2)
	v_fmac_f32_e32 v38, v23, v59
	s_waitcnt vmcnt(1)
	v_fmac_f32_e32 v4, v24, v50
	s_waitcnt vmcnt(0)
	v_fmac_f32_e32 v38, v25, v51
	v_accvgpr_read_b32 v22, a54
	v_accvgpr_read_b32 v24, a30
	v_accvgpr_read_b32 v23, a55
	v_accvgpr_read_b32 v25, a31
	v_or_b32_e32 v51, v23, v25
	v_or_b32_e32 v50, v22, v24
	v_accvgpr_read_b32 v22, a50
	v_accvgpr_read_b32 v24, a56
	v_accvgpr_read_b32 v23, a51
	v_accvgpr_read_b32 v25, a57
	v_or_b32_e32 v59, v23, v25
	v_or_b32_e32 v58, v22, v24
	buffer_load_dword v22, off, s[0:3], s32 offset:404 ; 4-byte Folded Reload
	buffer_load_dword v23, off, s[0:3], s32 offset:408 ; 4-byte Folded Reload
	buffer_load_dword v24, off, s[0:3], s32 offset:412 ; 4-byte Folded Reload
	buffer_load_dword v25, off, s[0:3], s32 offset:416 ; 4-byte Folded Reload
	v_pk_mul_f32 v[58:59], v[12:13], v[58:59] op_sel_hi:[0,1]
	v_pk_mul_f32 v[50:51], v[12:13], v[50:51] op_sel_hi:[0,1]
	s_waitcnt vmcnt(3)
	v_fmac_f32_e32 v4, v22, v58
	s_waitcnt vmcnt(2)
	v_fmac_f32_e32 v38, v23, v59
	s_waitcnt vmcnt(1)
	v_fmac_f32_e32 v4, v24, v50
	s_waitcnt vmcnt(0)
	v_fmac_f32_e32 v38, v25, v51
	v_accvgpr_read_b32 v22, a58
	v_accvgpr_read_b32 v24, a26
	v_accvgpr_read_b32 v23, a59
	v_accvgpr_read_b32 v25, a27
	v_or_b32_e32 v51, v23, v25
	v_or_b32_e32 v50, v22, v24
	v_accvgpr_read_b32 v22, a28
	v_accvgpr_read_b32 v24, a60
	v_accvgpr_read_b32 v23, a29
	v_accvgpr_read_b32 v25, a61
	v_or_b32_e32 v59, v23, v25
	v_or_b32_e32 v58, v22, v24
	buffer_load_dword v22, off, s[0:3], s32 offset:388 ; 4-byte Folded Reload
	buffer_load_dword v23, off, s[0:3], s32 offset:392 ; 4-byte Folded Reload
	buffer_load_dword v24, off, s[0:3], s32 offset:396 ; 4-byte Folded Reload
	buffer_load_dword v25, off, s[0:3], s32 offset:400 ; 4-byte Folded Reload
	v_pk_mul_f32 v[58:59], v[12:13], v[58:59] op_sel_hi:[0,1]
	v_pk_mul_f32 v[50:51], v[12:13], v[50:51] op_sel_hi:[0,1]
	s_waitcnt vmcnt(3)
	v_fmac_f32_e32 v4, v22, v58
	s_waitcnt vmcnt(2)
	v_fmac_f32_e32 v38, v23, v59
	s_waitcnt vmcnt(1)
	v_fmac_f32_e32 v4, v24, v50
	s_waitcnt vmcnt(0)
	v_fmac_f32_e32 v38, v25, v51
	v_accvgpr_read_b32 v23, a17
	v_accvgpr_read_b32 v25, a23
	v_accvgpr_read_b32 v22, a16
	v_accvgpr_read_b32 v24, a22
	v_or_b32_e32 v51, v23, v25
	v_or_b32_e32 v50, v22, v24
	v_accvgpr_read_b32 v22, a24
	v_accvgpr_read_b32 v25, a19
	v_accvgpr_read_b32 v23, a25
	v_accvgpr_read_b32 v24, a18
	v_or_b32_e32 v59, v23, v25
	v_or_b32_e32 v58, v22, v24
	buffer_load_dword v22, off, s[0:3], s32 offset:372 ; 4-byte Folded Reload
	buffer_load_dword v23, off, s[0:3], s32 offset:376 ; 4-byte Folded Reload
	buffer_load_dword v24, off, s[0:3], s32 offset:380 ; 4-byte Folded Reload
	buffer_load_dword v25, off, s[0:3], s32 offset:384 ; 4-byte Folded Reload
	v_pk_mul_f32 v[58:59], v[12:13], v[58:59] op_sel_hi:[0,1]
	v_pk_mul_f32 v[50:51], v[12:13], v[50:51] op_sel_hi:[0,1]
	s_waitcnt vmcnt(3)
	v_fmac_f32_e32 v4, v22, v58
	s_waitcnt vmcnt(2)
	v_fmac_f32_e32 v38, v23, v59
	s_waitcnt vmcnt(1)
	v_fmac_f32_e32 v4, v24, v50
	s_waitcnt vmcnt(0)
	v_fmac_f32_e32 v38, v25, v51
	v_accvgpr_read_b32 v23, a5
	v_accvgpr_read_b32 v25, a3
	v_accvgpr_read_b32 v22, a4
	v_accvgpr_read_b32 v24, a2
	v_or_b32_e32 v51, v23, v25
	v_or_b32_e32 v50, v22, v24
	v_accvgpr_read_b32 v23, a21
	v_accvgpr_read_b32 v25, a7
	v_accvgpr_read_b32 v22, a20
	v_accvgpr_read_b32 v24, a6
	v_or_b32_e32 v59, v23, v25
	v_or_b32_e32 v58, v22, v24
	buffer_load_dword v22, off, s[0:3], s32 offset:356 ; 4-byte Folded Reload
	buffer_load_dword v23, off, s[0:3], s32 offset:360 ; 4-byte Folded Reload
	buffer_load_dword v24, off, s[0:3], s32 offset:364 ; 4-byte Folded Reload
	buffer_load_dword v25, off, s[0:3], s32 offset:368 ; 4-byte Folded Reload
	v_pk_mul_f32 v[58:59], v[12:13], v[58:59] op_sel_hi:[0,1]
	v_pk_mul_f32 v[50:51], v[12:13], v[50:51] op_sel_hi:[0,1]
	s_waitcnt vmcnt(3)
	v_fmac_f32_e32 v4, v22, v58
	s_waitcnt vmcnt(2)
	v_fmac_f32_e32 v38, v23, v59
	s_waitcnt vmcnt(1)
	v_fmac_f32_e32 v4, v24, v50
	s_waitcnt vmcnt(0)
	v_fmac_f32_e32 v38, v25, v51
	v_or_b32_e32 v25, v15, v3
	v_or_b32_e32 v24, v14, v2
	v_accvgpr_read_b32 v2, a14
	v_accvgpr_read_b32 v3, a15
	v_or_b32_e32 v37, v9, v3
	v_or_b32_e32 v36, v8, v2
	v_pk_mul_f32 v[22:23], v[12:13], v[36:37] op_sel_hi:[0,1]
	buffer_load_dword v36, off, s[0:3], s32 offset:488 ; 4-byte Folded Reload
	v_accvgpr_read_b32 v2, a34
	v_accvgpr_read_b32 v3, a35
	v_or_b32_e32 v49, v31, v3
	v_or_b32_e32 v48, v30, v2
	v_accvgpr_read_b32 v2, a8
	v_accvgpr_read_b32 v8, a36
	;; [unrolled: 1-line block ×4, first 2 shown]
	v_or_b32_e32 v31, v3, v9
	v_or_b32_e32 v30, v2, v8
	v_accvgpr_read_b32 v3, a1
	v_accvgpr_read_b32 v8, a10
	v_accvgpr_read_b32 v2, a0
	v_accvgpr_read_b32 v9, a11
	v_or_b32_e32 v51, v3, v9
	v_or_b32_e32 v50, v2, v8
	v_pk_mul_f32 v[2:3], v[12:13], v[20:21] op_sel_hi:[0,1]
	v_pk_mul_f32 v[20:21], v[12:13], v[24:25] op_sel_hi:[0,1]
	v_or_b32_e32 v25, v35, v43
	v_or_b32_e32 v24, v34, v42
	v_pk_mul_f32 v[8:9], v[12:13], v[10:11] op_sel_hi:[0,1]
	v_pk_mul_f32 v[10:11], v[12:13], v[28:29] op_sel_hi:[0,1]
	;; [unrolled: 1-line block ×8, first 2 shown]
	v_accvgpr_read_b32 v58, a39
	s_waitcnt vmcnt(0)
	v_and_b32_e32 v35, 64, v36
	v_xor_b32_e32 v34, 1, v36
	v_add_u32_e32 v35, 64, v35
	v_cmp_lt_i32_e32 vcc, v34, v35
	v_cndmask_b32_e32 v34, v36, v34, vcc
	v_lshlrev_b32_e32 v12, 2, v34
	buffer_load_dword v34, off, s[0:3], s32 offset:340 ; 4-byte Folded Reload
	buffer_load_dword v35, off, s[0:3], s32 offset:344 ; 4-byte Folded Reload
	;; [unrolled: 1-line block ×4, first 2 shown]
	s_waitcnt vmcnt(3)
	v_fmac_f32_e32 v4, v34, v32
	s_waitcnt vmcnt(2)
	v_fmac_f32_e32 v38, v35, v33
	;; [unrolled: 2-line block ×4, first 2 shown]
	buffer_load_dword v30, off, s[0:3], s32 offset:324 ; 4-byte Folded Reload
	buffer_load_dword v31, off, s[0:3], s32 offset:328 ; 4-byte Folded Reload
	buffer_load_dword v32, off, s[0:3], s32 offset:332 ; 4-byte Folded Reload
	buffer_load_dword v33, off, s[0:3], s32 offset:336 ; 4-byte Folded Reload
	s_waitcnt vmcnt(3)
	v_fmac_f32_e32 v4, v30, v28
	s_waitcnt vmcnt(2)
	v_fmac_f32_e32 v38, v31, v29
	buffer_load_dword v28, off, s[0:3], s32 offset:308 ; 4-byte Folded Reload
	buffer_load_dword v29, off, s[0:3], s32 offset:312 ; 4-byte Folded Reload
	buffer_load_dword v30, off, s[0:3], s32 offset:316 ; 4-byte Folded Reload
	buffer_load_dword v31, off, s[0:3], s32 offset:320 ; 4-byte Folded Reload
	s_waitcnt vmcnt(5)
	v_fmac_f32_e32 v4, v32, v22
	s_waitcnt vmcnt(4)
	v_fmac_f32_e32 v38, v33, v23
	;; [unrolled: 2-line block ×6, first 2 shown]
	buffer_load_dword v18, off, s[0:3], s32 offset:292 ; 4-byte Folded Reload
	buffer_load_dword v19, off, s[0:3], s32 offset:296 ; 4-byte Folded Reload
	;; [unrolled: 1-line block ×4, first 2 shown]
	s_waitcnt vmcnt(3)
	v_fmac_f32_e32 v4, v18, v16
	s_waitcnt vmcnt(2)
	v_fmac_f32_e32 v38, v19, v17
	buffer_load_dword v16, off, s[0:3], s32 offset:276 ; 4-byte Folded Reload
	buffer_load_dword v17, off, s[0:3], s32 offset:280 ; 4-byte Folded Reload
	;; [unrolled: 1-line block ×4, first 2 shown]
	s_waitcnt vmcnt(5)
	v_fmac_f32_e32 v4, v20, v14
	s_waitcnt vmcnt(4)
	v_fmac_f32_e32 v38, v21, v15
	;; [unrolled: 2-line block ×5, first 2 shown]
	ds_read2_b64 v[14:17], v58 offset0:25 offset1:26
	s_waitcnt vmcnt(0)
	v_fmac_f32_e32 v38, v19, v9
	buffer_load_dword v8, off, s[0:3], s32 offset:268 ; 4-byte Folded Reload
	buffer_load_dword v9, off, s[0:3], s32 offset:272 ; 4-byte Folded Reload
	s_waitcnt vmcnt(1)
	v_fmac_f32_e32 v4, v8, v6
	s_waitcnt vmcnt(0)
	v_fmac_f32_e32 v38, v9, v7
	ds_read_b64 v[6:7], v58 offset:216
	s_waitcnt lgkmcnt(1)
	v_fmac_f32_e32 v4, v14, v2
	v_fmac_f32_e32 v38, v15, v3
	;; [unrolled: 1-line block ×4, first 2 shown]
	s_waitcnt lgkmcnt(0)
	v_fmac_f32_e32 v4, v6, v24
	v_fmac_f32_e32 v38, v7, v25
	v_add_f32_e32 v0, v4, v38
	ds_bpermute_b32 v1, v12, v0
	s_and_saveexec_b64 s[36:37], s[6:7]
	s_cbranch_execz .LBB233_11
; %bb.353:                              ;   in Loop: Header=BB233_13 Depth=1
	buffer_load_dword v2, off, s[0:3], s32 offset:504 ; 4-byte Folded Reload
	buffer_load_dword v4, off, s[0:3], s32 offset:500 ; 4-byte Folded Reload
	s_load_dword vcc_lo, s[28:29], 0x0
	v_add_u32_e32 v3, v47, v39
	s_waitcnt lgkmcnt(0)
	v_add_f32_e32 v0, v0, v1
	s_waitcnt vmcnt(1)
	v_add_u32_e32 v2, v2, v39
	v_cvt_f32_i32_e32 v2, v2
	s_waitcnt vmcnt(0)
	v_mul_f32_e32 v2, v4, v2
	v_cndmask_b32_e64 v2, 0, v2, s[8:9]
	v_add_u32_e32 v4, vcc_lo, v60
	v_fmac_f32_e32 v2, v0, v13
	v_cmp_lt_i32_e32 vcc, v3, v62
	v_cndmask_b32_e32 v0, 0, v2, vcc
	ds_write_b32 v4, v0
	v_max_f32_e32 v0, v61, v61
	v_max_f32_e32 v0, v0, v2
	v_cndmask_b32_e32 v61, v61, v0, vcc
	s_branch .LBB233_11
.LBB233_354:
	s_or_b64 exec, exec, s[30:31]
	buffer_load_dword v15, off, s[0:3], s32 offset:584 ; 4-byte Folded Reload
	buffer_load_dword v14, off, s[0:3], s32 offset:576 ; 4-byte Folded Reload
	;; [unrolled: 1-line block ×17, first 2 shown]
	v_mbcnt_lo_u32_b32 v4, -1, 0
.LBB233_355:
	s_or_b64 exec, exec, s[24:25]
	v_mbcnt_hi_u32_b32 v2, -1, v4
	v_and_b32_e32 v0, 64, v2
	v_add_u32_e32 v3, 64, v0
	v_xor_b32_e32 v0, 32, v2
	v_cmp_lt_i32_e32 vcc, v0, v3
	v_cndmask_b32_e32 v0, v2, v0, vcc
	v_lshlrev_b32_e32 v0, 2, v0
	s_waitcnt lgkmcnt(0)
	ds_bpermute_b32 v1, v0, v61
	v_xor_b32_e32 v5, 16, v2
	v_max_f32_e32 v4, v61, v61
	v_cmp_lt_i32_e32 vcc, v5, v3
	v_xor_b32_e32 v6, 8, v2
	s_waitcnt lgkmcnt(0)
	v_max_f32_e32 v1, v1, v1
	v_max_f32_e32 v4, v4, v1
	v_cndmask_b32_e32 v1, v2, v5, vcc
	v_lshlrev_b32_e32 v1, 2, v1
	ds_bpermute_b32 v5, v1, v4
	v_cmp_lt_i32_e32 vcc, v6, v3
	v_xor_b32_e32 v7, 4, v2
	s_lshr_b32 s28, s42, 16
	s_waitcnt lgkmcnt(0)
	v_max_f32_e32 v5, v5, v5
	v_max_f32_e32 v5, v4, v5
	v_cndmask_b32_e32 v4, v2, v6, vcc
	v_lshlrev_b32_e32 v4, 2, v4
	ds_bpermute_b32 v6, v4, v5
	v_cmp_lt_i32_e32 vcc, v7, v3
	s_waitcnt lgkmcnt(0)
	v_max_f32_e32 v6, v6, v6
	v_max_f32_e32 v5, v5, v6
	v_cndmask_b32_e32 v6, v2, v7, vcc
	v_lshlrev_b32_e32 v21, 2, v6
	ds_bpermute_b32 v6, v21, v5
	v_xor_b32_e32 v7, 2, v2
	v_cmp_lt_i32_e32 vcc, v7, v3
	s_waitcnt lgkmcnt(0)
	v_max_f32_e32 v6, v6, v6
	v_max_f32_e32 v6, v5, v6
	v_cndmask_b32_e32 v5, v2, v7, vcc
	v_lshlrev_b32_e32 v25, 2, v5
	buffer_load_dword v5, off, s[0:3], s32 offset:468 ; 4-byte Folded Reload
	ds_bpermute_b32 v7, v25, v6
	s_waitcnt vmcnt(0)
	v_and_b32_e32 v28, 63, v5
	v_cmp_eq_u32_e32 vcc, 0, v28
	v_lshlrev_b32_e32 v5, 2, v31
	s_and_saveexec_b64 s[6:7], vcc
	s_cbranch_execz .LBB233_357
; %bb.356:
	s_waitcnt lgkmcnt(0)
	v_max_f32_e32 v7, v7, v7
	v_max_f32_e32 v6, v6, v6
	;; [unrolled: 1-line block ×3, first 2 shown]
	ds_write_b32 v5, v6 offset:448
.LBB233_357:
	s_or_b64 exec, exec, s[6:7]
	v_cmp_gt_u32_e64 s[6:7], 2, v28
	s_waitcnt lgkmcnt(0)
	v_mov_b32_e32 v7, 0xff7fffff
	v_lshlrev_b32_e32 v6, 2, v28
	s_barrier
	s_and_saveexec_b64 s[8:9], s[6:7]
	s_cbranch_execz .LBB233_359
; %bb.358:
	ds_read_b32 v7, v6 offset:448
.LBB233_359:
	s_or_b64 exec, exec, s[8:9]
	v_xor_b32_e32 v8, 1, v2
	v_cmp_lt_i32_e64 s[8:9], v8, v3
	v_cndmask_b32_e64 v3, v2, v8, s[8:9]
	buffer_load_dword v8, off, s[0:3], s32 offset:200 ; 4-byte Folded Reload
	v_lshlrev_b32_e32 v29, 2, v3
	s_waitcnt lgkmcnt(0)
	ds_bpermute_b32 v3, v29, v7
	v_max_f32_e32 v7, v7, v7
	v_lshlrev_b32_e32 v2, 2, v2
	s_waitcnt lgkmcnt(0)
	v_max_f32_e32 v3, v3, v3
	v_max_f32_e32 v3, v7, v3
	s_waitcnt vmcnt(0)
	v_subrev_u32_e32 v8, s19, v8
	v_lshl_add_u32 v9, v8, 5, s23
	v_min_i32_e32 v7, v9, v62
	buffer_load_dword v9, off, s[0:3], s32 offset:468 ; 4-byte Folded Reload
	v_and_b32_e32 v8, 0x100, v2
	ds_bpermute_b32 v2, v8, v3
	v_subrev_u32_e32 v3, s23, v7
	s_waitcnt vmcnt(0)
	v_cmp_lt_i32_e64 s[8:9], v9, v3
	v_mov_b32_e32 v9, 0
	s_and_saveexec_b64 s[24:25], s[8:9]
	s_cbranch_execz .LBB233_363
; %bb.360:
	buffer_load_dword v11, off, s[0:3], s32 offset:468 ; 4-byte Folded Reload
	s_ashr_i32 s21, s20, 31
	s_lshl_b64 s[10:11], s[20:21], 2
	s_getpc_b64 s[26:27]
	s_add_u32 s26, s26, llvm.amdgcn.dynlds.offset.table@rel32@lo+4
	s_addc_u32 s27, s27, llvm.amdgcn.dynlds.offset.table@rel32@hi+12
	s_add_u32 s10, s10, s26
	s_addc_u32 s11, s11, s27
	s_load_dword s10, s[10:11], 0x0
	s_mov_b64 s[26:27], 0
	v_mov_b32_e32 v9, 0
	s_waitcnt vmcnt(0) lgkmcnt(0)
	v_lshl_add_u32 v10, v11, 2, s10
.LBB233_361:                            ; =>This Inner Loop Header: Depth=1
	ds_read_b32 v12, v10
	v_add_u32_e32 v11, 0x80, v11
	v_cmp_ge_i32_e64 s[10:11], v11, v3
	s_or_b64 s[26:27], s[10:11], s[26:27]
	s_waitcnt lgkmcnt(0)
	v_sub_f32_e32 v12, v12, v2
	v_mul_f32_e32 v12, 0x3fb8aa3b, v12
	v_exp_f32_e32 v12, v12
	ds_write_b32 v10, v12
	v_add_f32_e32 v9, v9, v12
	v_add_u32_e32 v10, 0x200, v10
	s_andn2_b64 exec, exec, s[26:27]
	s_cbranch_execnz .LBB233_361
; %bb.362:
	s_or_b64 exec, exec, s[26:27]
.LBB233_363:
	s_or_b64 exec, exec, s[24:25]
	ds_bpermute_b32 v0, v0, v9
	s_waitcnt lgkmcnt(0)
	v_add_f32_e32 v0, v9, v0
	ds_bpermute_b32 v1, v1, v0
	s_waitcnt lgkmcnt(0)
	v_add_f32_e32 v0, v0, v1
	;; [unrolled: 3-line block ×6, first 2 shown]
	s_and_saveexec_b64 s[10:11], vcc
	s_cbranch_execz .LBB233_365
; %bb.364:
	ds_write_b32 v5, v0 offset:456
.LBB233_365:
	s_or_b64 exec, exec, s[10:11]
	s_waitcnt lgkmcnt(0)
	s_barrier
	s_and_saveexec_b64 s[10:11], s[6:7]
	s_cbranch_execz .LBB233_367
; %bb.366:
	ds_read_b32 v0, v6 offset:456
.LBB233_367:
	s_or_b64 exec, exec, s[10:11]
	s_waitcnt lgkmcnt(0)
	ds_bpermute_b32 v1, v29, v0
	s_waitcnt lgkmcnt(0)
	v_add_f32_e32 v0, v0, v1
	ds_bpermute_b32 v4, v8, v0
	s_and_saveexec_b64 s[6:7], s[8:9]
	s_cbranch_execz .LBB233_380
; %bb.368:
	s_waitcnt lgkmcnt(0)
	v_add_f32_e32 v0, 0x358637bd, v4
	v_div_scale_f32 v1, s[8:9], v0, v0, 1.0
	v_rcp_f32_e32 v5, v1
	v_div_scale_f32 v6, vcc, 1.0, v0, 1.0
	s_movk_i32 s8, 0x7f
	v_fma_f32 v8, -v1, v5, 1.0
	v_fmac_f32_e32 v5, v8, v5
	v_mul_f32_e32 v8, v6, v5
	v_fma_f32 v9, -v1, v8, v6
	v_fmac_f32_e32 v8, v9, v5
	v_fma_f32 v1, -v1, v8, v6
	buffer_load_dword v6, off, s[0:3], s32 offset:468 ; 4-byte Folded Reload
	v_div_fmas_f32 v1, v1, v5, v8
	v_div_fixup_f32 v0, v1, v0, 1.0
	s_mov_b64 s[10:11], -1
	s_waitcnt vmcnt(0)
	v_xad_u32 v1, v6, -1, v7
	v_subrev_u32_e32 v5, s23, v1
	v_cmp_lt_u32_e32 vcc, s8, v5
	v_mov_b32_e32 v1, v6
	s_and_saveexec_b64 s[8:9], vcc
	s_cbranch_execz .LBB233_377
; %bb.369:
	v_lshrrev_b32_e32 v5, 7, v5
	v_add_u32_e32 v7, -1, v5
	v_lshrrev_b32_e32 v6, 1, v7
	v_mov_b32_e32 v1, v0
	v_add_u32_e32 v6, 1, v6
	v_cmp_lt_u32_e32 vcc, 13, v7
	v_mov_b32_e32 v9, 0
	s_and_saveexec_b64 s[10:11], vcc
	s_cbranch_execz .LBB233_373
; %bb.370:
	buffer_load_dword v8, off, s[0:3], s32 offset:468 ; 4-byte Folded Reload
	s_ashr_i32 s21, s20, 31
	s_lshl_b64 s[24:25], s[20:21], 2
	s_getpc_b64 s[26:27]
	s_add_u32 s26, s26, llvm.amdgcn.dynlds.offset.table@rel32@lo+4
	s_addc_u32 s27, s27, llvm.amdgcn.dynlds.offset.table@rel32@hi+12
	s_add_u32 s24, s24, s26
	s_addc_u32 s25, s25, s27
	s_load_dword s21, s[24:25], 0x0
	v_and_b32_e32 v7, -8, v6
	s_mov_b32 s19, 0
	s_mov_b64 s[24:25], 0
	s_waitcnt vmcnt(0) lgkmcnt(0)
	v_lshl_add_u32 v8, v8, 2, s21
.LBB233_371:                            ; =>This Inner Loop Header: Depth=1
	ds_read2st64_b32 v[10:11], v8 offset1:2
	ds_read2st64_b32 v[12:13], v8 offset0:4 offset1:6
	ds_read2st64_b32 v[18:19], v8 offset0:8 offset1:10
	;; [unrolled: 1-line block ×3, first 2 shown]
	v_add_u32_e32 v7, -8, v7
	s_waitcnt lgkmcnt(3)
	v_pk_mul_f32 v[10:11], v[0:1], v[10:11]
	s_waitcnt lgkmcnt(2)
	v_pk_mul_f32 v[12:13], v[0:1], v[12:13]
	ds_write2st64_b32 v8, v10, v11 offset1:2
	ds_write2st64_b32 v8, v12, v13 offset0:4 offset1:6
	ds_read2st64_b32 v[12:13], v8 offset0:16 offset1:18
	s_waitcnt lgkmcnt(4)
	v_pk_mul_f32 v[10:11], v[0:1], v[18:19]
	ds_write2st64_b32 v8, v10, v11 offset0:8 offset1:10
	s_waitcnt lgkmcnt(4)
	v_pk_mul_f32 v[10:11], v[0:1], v[16:17]
	ds_write2st64_b32 v8, v10, v11 offset0:12 offset1:14
	ds_read2st64_b32 v[10:11], v8 offset0:20 offset1:22
	s_waitcnt lgkmcnt(3)
	v_pk_mul_f32 v[12:13], v[0:1], v[12:13]
	ds_read2st64_b32 v[16:17], v8 offset0:24 offset1:26
	ds_write2st64_b32 v8, v12, v13 offset0:16 offset1:18
	ds_read2st64_b32 v[12:13], v8 offset0:28 offset1:30
	s_waitcnt lgkmcnt(3)
	v_pk_mul_f32 v[10:11], v[0:1], v[10:11]
	ds_write2st64_b32 v8, v10, v11 offset0:20 offset1:22
	s_waitcnt lgkmcnt(3)
	v_pk_mul_f32 v[10:11], v[0:1], v[16:17]
	ds_write2st64_b32 v8, v10, v11 offset0:24 offset1:26
	s_waitcnt lgkmcnt(2)
	v_pk_mul_f32 v[10:11], v[0:1], v[12:13]
	s_add_i32 s19, s19, 16
	v_cmp_eq_u32_e32 vcc, 0, v7
	ds_write2st64_b32 v8, v10, v11 offset0:28 offset1:30
	v_add_u32_e32 v8, 0x2000, v8
	s_or_b64 s[24:25], vcc, s[24:25]
	v_mov_b32_e32 v9, s19
	s_andn2_b64 exec, exec, s[24:25]
	s_cbranch_execnz .LBB233_371
; %bb.372:
	s_or_b64 exec, exec, s[24:25]
.LBB233_373:
	s_or_b64 exec, exec, s[10:11]
	v_and_b32_e32 v6, 7, v6
	v_cmp_ne_u32_e32 vcc, 0, v6
	s_and_saveexec_b64 s[10:11], vcc
	s_cbranch_execz .LBB233_376
; %bb.374:
	s_ashr_i32 s21, s20, 31
	s_lshl_b64 s[24:25], s[20:21], 2
	s_getpc_b64 s[26:27]
	s_add_u32 s26, s26, llvm.amdgcn.dynlds.offset.table@rel32@lo+4
	s_addc_u32 s27, s27, llvm.amdgcn.dynlds.offset.table@rel32@hi+12
	s_add_u32 s24, s24, s26
	s_addc_u32 s25, s25, s27
	s_load_dword s19, s[24:25], 0x0
	v_lshlrev_b32_e32 v7, 9, v9
	s_mov_b64 s[24:25], 0
	s_waitcnt lgkmcnt(0)
	v_add3_u32 v7, v7, v24, s19
.LBB233_375:                            ; =>This Inner Loop Header: Depth=1
	ds_read2st64_b32 v[8:9], v7 offset1:2
	v_add_u32_e32 v6, -1, v6
	v_cmp_eq_u32_e32 vcc, 0, v6
	s_or_b64 s[24:25], vcc, s[24:25]
	s_waitcnt lgkmcnt(0)
	v_pk_mul_f32 v[8:9], v[0:1], v[8:9]
	ds_write2st64_b32 v7, v8, v9 offset1:2
	v_add_u32_e32 v7, 0x400, v7
	s_andn2_b64 exec, exec, s[24:25]
	s_cbranch_execnz .LBB233_375
.LBB233_376:
	s_or_b64 exec, exec, s[10:11]
	buffer_load_dword v1, off, s[0:3], s32 offset:468 ; 4-byte Folded Reload
	v_add_u32_e32 v5, 1, v5
	v_and_b32_e32 v6, 0x3fffffe, v5
	v_cmp_ne_u32_e32 vcc, v5, v6
	s_orn2_b64 s[10:11], vcc, exec
	s_waitcnt vmcnt(0)
	v_lshl_add_u32 v1, v6, 7, v1
.LBB233_377:
	s_or_b64 exec, exec, s[8:9]
	s_and_b64 exec, exec, s[10:11]
	s_cbranch_execz .LBB233_380
; %bb.378:
	s_ashr_i32 s21, s20, 31
	s_lshl_b64 s[8:9], s[20:21], 2
	s_getpc_b64 s[10:11]
	s_add_u32 s10, s10, llvm.amdgcn.dynlds.offset.table@rel32@lo+4
	s_addc_u32 s11, s11, llvm.amdgcn.dynlds.offset.table@rel32@hi+12
	s_add_u32 s8, s8, s10
	s_addc_u32 s9, s9, s11
	s_load_dword s8, s[8:9], 0x0
	s_waitcnt lgkmcnt(0)
	v_lshl_add_u32 v5, v1, 2, s8
	s_mov_b64 s[8:9], 0
.LBB233_379:                            ; =>This Inner Loop Header: Depth=1
	ds_read_b32 v6, v5
	v_add_u32_e32 v1, 0x80, v1
	v_cmp_ge_i32_e32 vcc, v1, v3
	s_or_b64 s[8:9], vcc, s[8:9]
	s_waitcnt lgkmcnt(0)
	v_mul_f32_e32 v6, v0, v6
	ds_write_b32 v5, v6
	v_add_u32_e32 v5, 0x200, v5
	s_andn2_b64 exec, exec, s[8:9]
	s_cbranch_execnz .LBB233_379
.LBB233_380:
	s_or_b64 exec, exec, s[6:7]
	s_waitcnt lgkmcnt(0)
	s_barrier
	buffer_load_dword v0, off, s[0:3], s32 offset:468 ; 4-byte Folded Reload
	v_cmp_ne_u16_e64 s[6:7], s28, 0
	s_cmp_lg_u64 s[6:7], 0
	s_addc_u32 s19, s13, 0
	s_mul_i32 s6, s19, s22
	s_mul_i32 s6, s6, s15
	s_waitcnt vmcnt(0)
	v_cmp_eq_u32_e32 vcc, 0, v0
	s_and_saveexec_b64 s[8:9], vcc
	s_cbranch_execz .LBB233_382
; %bb.381:
	s_mul_i32 s12, s19, s12
	s_ashr_i32 s7, s6, 31
	s_ashr_i32 s13, s12, 31
	;; [unrolled: 1-line block ×3, first 2 shown]
	s_lshl_b64 s[10:11], s[6:7], 2
	s_lshl_b64 s[12:13], s[12:13], 2
	;; [unrolled: 1-line block ×3, first 2 shown]
	s_add_u32 s7, s22, s12
	s_addc_u32 s12, s23, s13
	s_add_u32 s7, s7, s10
	s_addc_u32 s10, s12, s11
	v_mov_b32_e32 v1, s10
	v_add_co_u32_e32 v0, vcc, s7, v33
	v_addc_co_u32_e32 v1, vcc, v1, v32, vcc
	flat_store_dword v[0:1], v2
	v_mov_b32_e32 v1, s10
	v_add_co_u32_e32 v0, vcc, s7, v27
	v_addc_co_u32_e32 v1, vcc, v1, v26, vcc
	flat_store_dword v[0:1], v4
.LBB233_382:
	s_or_b64 exec, exec, s[8:9]
	buffer_load_dword v0, off, s[0:3], s32 offset:468 ; 4-byte Folded Reload
	s_ashr_i32 s21, s20, 31
	s_lshl_b64 s[8:9], s[20:21], 2
	s_getpc_b64 s[10:11]
	s_add_u32 s10, s10, llvm.amdgcn.dynlds.offset.table@rel32@lo+4
	s_addc_u32 s11, s11, llvm.amdgcn.dynlds.offset.table@rel32@hi+12
	s_add_u32 s8, s8, s10
	s_addc_u32 s9, s9, s11
	s_mov_b32 s12, 0
	v_mov_b32_e32 v4, 0
	v_mov_b32_e32 v5, 0
	;; [unrolled: 1-line block ×14, first 2 shown]
	s_waitcnt vmcnt(0)
	v_and_b32_e32 v26, 7, v0
	s_and_saveexec_b64 s[10:11], s[4:5]
	s_cbranch_execz .LBB233_752
; %bb.383:
	v_max_i32_e32 v51, v30, v38
	v_cvt_f32_u32_e32 v0, v51
	v_sub_u32_e32 v4, 0, v51
	v_and_b32_e32 v1, 28, v24
	v_accvgpr_write_b32 a34, v1
	v_rcp_iflag_f32_e32 v0, v0
	v_add_co_u32_e32 v1, vcc, v22, v23
	v_add_u32_e32 v3, -1, v36
	v_mul_f32_e32 v0, 0x4f7ffffe, v0
	v_cvt_u32_f32_e32 v0, v0
	v_addc_co_u32_e32 v2, vcc, v20, v37, vcc
	v_accvgpr_write_b32 a35, v3
	v_mul_lo_u32 v4, v4, v0
	v_mul_hi_u32 v4, v0, v4
	v_and_b32_e32 v3, 0xfc, v24
	v_add_u32_e32 v0, v0, v4
	v_accvgpr_write_b32 a36, v0
	v_add_co_u32_e32 v0, vcc, v1, v3
	buffer_load_dword v3, off, s[0:3], s32 offset:516 ; 4-byte Folded Reload
	v_addc_co_u32_e32 v1, vcc, 0, v2, vcc
	v_accvgpr_write_b32 a39, v1
	v_accvgpr_write_b32 a38, v0
	v_accvgpr_read_b32 v0, a12
	v_accvgpr_read_b32 v1, a13
	s_load_dword s4, s[8:9], 0x0
	v_lshlrev_b64 v[0:1], 2, v[0:1]
	v_add_co_u32_e32 v0, vcc, v34, v0
	v_addc_co_u32_e32 v1, vcc, v35, v1, vcc
	v_add_co_u32_e32 v14, vcc, v14, v0
	v_lshlrev_b32_e32 v0, 4, v26
	v_addc_co_u32_e32 v15, vcc, v15, v1, vcc
	v_lshl_or_b32 v0, v31, 7, v0
	v_mov_b32_e32 v1, 0
	s_waitcnt lgkmcnt(0)
	v_add_u32_e32 v50, s4, v0
	v_mov_b32_e32 v0, 0
	v_accvgpr_write_b32 a23, v1
	v_accvgpr_write_b32 a22, v0
	v_mov_b32_e32 v1, 0
	v_mov_b32_e32 v0, 0
	v_accvgpr_write_b32 a25, v1
	v_accvgpr_write_b32 a24, v0
	v_mov_b32_e32 v1, 0
	v_mov_b32_e32 v0, 0
	v_accvgpr_write_b32 a27, v1
	v_accvgpr_write_b32 a26, v0
	v_mov_b32_e32 v1, 0
	v_mov_b32_e32 v0, 0
	v_accvgpr_write_b32 a33, v1
	v_accvgpr_write_b32 a18, v29
	;; [unrolled: 1-line block ×5, first 2 shown]
	v_mov_b32_e32 v49, 0
	v_accvgpr_write_b32 a19, v26
	s_mov_b64 s[20:21], 0
	s_movk_i32 s7, 0x80
	s_movk_i32 s15, 0x7f
	s_brev_b32 s13, 1
	s_mov_b32 s23, 0x7f800001
	s_mov_b32 s34, 0xffffff
	v_mov_b32_e32 v53, 0
	v_mov_b32_e32 v52, 0
	;; [unrolled: 1-line block ×6, first 2 shown]
	v_accvgpr_write_b32 a32, v0
	v_accvgpr_write_b32 a1, v51
	s_branch .LBB233_386
.LBB233_384:                            ;   in Loop: Header=BB233_386 Depth=1
	s_or_b64 exec, exec, s[4:5]
	v_mul_f32_e32 v7, v1, v7
	v_mul_f32_e32 v11, v1, v11
	v_fmac_f32_e32 v7, v0, v6
	v_fmac_f32_e32 v11, v0, v10
	v_mul_f32_e32 v10, v1, v13
	v_fmac_f32_e32 v7, v2, v8
	v_fmac_f32_e32 v11, v2, v18
	;; [unrolled: 1-line block ×4, first 2 shown]
	v_accvgpr_read_b32 v8, a22
	v_fmac_f32_e32 v11, v3, v19
	v_fmac_f32_e32 v10, v2, v16
	v_accvgpr_read_b32 v9, a23
	v_fmac_f32_e32 v10, v3, v17
	v_add_f32_e32 v9, v9, v11
	v_mul_f32_e32 v6, v1, v29
	v_add_f32_e32 v8, v8, v10
	v_accvgpr_write_b32 a23, v9
	v_fmac_f32_e32 v6, v0, v28
	v_accvgpr_write_b32 a22, v8
	v_accvgpr_read_b32 v8, a24
	v_fmac_f32_e32 v6, v2, v4
	v_mul_f32_e32 v4, v1, v61
	v_accvgpr_read_b32 v9, a25
	v_fmac_f32_e32 v6, v3, v5
	v_fmac_f32_e32 v4, v0, v60
	v_add_f32_e32 v9, v9, v7
	v_add_f32_e32 v8, v8, v6
	v_fmac_f32_e32 v4, v2, v34
	v_accvgpr_read_b32 v6, a26
	v_fmac_f32_e32 v4, v3, v35
	v_accvgpr_read_b32 v7, a27
	v_add_f32_e32 v7, v7, v4
	v_mul_f32_e32 v4, v1, v57
	v_fmac_f32_e32 v4, v0, v56
	v_fmac_f32_e32 v4, v2, v58
	v_fmac_f32_e32 v4, v3, v59
	v_add_f32_e32 v6, v6, v4
	v_mul_f32_e32 v4, v1, v45
	v_accvgpr_write_b32 a27, v7
	v_fmac_f32_e32 v4, v0, v44
	v_accvgpr_write_b32 a26, v6
	v_fmac_f32_e32 v4, v2, v46
	v_accvgpr_read_b32 v6, a28
	v_fmac_f32_e32 v4, v3, v47
	v_accvgpr_read_b32 v7, a29
	v_add_f32_e32 v7, v7, v4
	v_mul_f32_e32 v4, v1, v41
	v_accvgpr_write_b32 a25, v9
	v_fmac_f32_e32 v4, v0, v40
	v_accvgpr_write_b32 a24, v8
	v_fmac_f32_e32 v4, v2, v42
	v_accvgpr_read_b32 v8, a44
	v_fmac_f32_e32 v4, v3, v43
	v_accvgpr_read_b32 v9, a45
	v_add_f32_e32 v6, v6, v4
	v_mul_f32_e32 v4, v1, v9
	v_fmac_f32_e32 v4, v0, v8
	v_fmac_f32_e32 v4, v2, v54
	v_accvgpr_read_b32 v8, a30
	v_accvgpr_read_b32 v10, a40
	v_fmac_f32_e32 v4, v3, v55
	v_accvgpr_read_b32 v9, a31
	v_accvgpr_read_b32 v11, a41
	v_add_f32_e32 v9, v9, v4
	v_mul_f32_e32 v4, v1, v11
	v_fmac_f32_e32 v4, v0, v10
	v_accvgpr_read_b32 v10, a42
	v_accvgpr_read_b32 v11, a43
	v_fmac_f32_e32 v4, v2, v10
	v_fmac_f32_e32 v4, v3, v11
	v_accvgpr_read_b32 v10, a10
	v_accvgpr_read_b32 v11, a11
	v_add_f32_e32 v8, v8, v4
	v_mul_f32_e32 v4, v1, v11
	v_fmac_f32_e32 v4, v0, v10
	v_accvgpr_read_b32 v10, a14
	v_accvgpr_read_b32 v11, a15
	v_fmac_f32_e32 v4, v2, v10
	v_fmac_f32_e32 v4, v3, v11
	v_accvgpr_read_b32 v10, a32
	v_accvgpr_read_b32 v11, a33
	v_accvgpr_read_b32 v13, a3
	v_add_f32_e32 v11, v11, v4
	v_accvgpr_read_b32 v12, a2
	v_mul_f32_e32 v4, v1, v13
	v_fmac_f32_e32 v4, v0, v12
	v_accvgpr_read_b32 v13, a5
	v_mul_f32_e32 v21, v1, v21
	v_accvgpr_read_b32 v12, a4
	v_mul_f32_e32 v1, v1, v25
	v_fmac_f32_e32 v21, v0, v20
	v_fmac_f32_e32 v4, v2, v12
	;; [unrolled: 1-line block ×7, first 2 shown]
	v_add_f32_e32 v10, v10, v4
	v_accvgpr_write_b32 a33, v11
	v_fmac_f32_e32 v1, v3, v27
	v_add_f32_e32 v52, v52, v21
	v_accvgpr_write_b32 a32, v10
	v_add_f32_e32 v53, v53, v1
.LBB233_385:                            ;   in Loop: Header=BB233_386 Depth=1
	s_or_b64 exec, exec, s[24:25]
	buffer_load_dword v0, off, s[0:3], s32 offset:200 ; 4-byte Folded Reload
	v_accvgpr_read_b32 v2, a12
	v_add_co_u32_e32 v14, vcc, 8, v14
	v_add_u32_e32 v2, 2, v2
	v_addc_co_u32_e32 v15, vcc, 0, v15, vcc
	v_accvgpr_read_b32 v3, a13
	v_add_u32_e32 v3, 64, v3
	v_accvgpr_write_b32 a12, v2
	v_add_u32_e32 v50, 0x100, v50
	s_waitcnt vmcnt(0)
	v_cmp_ge_i32_e32 vcc, v2, v0
	s_or_b64 s[20:21], vcc, s[20:21]
	s_andn2_b64 exec, exec, s[20:21]
	s_cbranch_execz .LBB233_751
.LBB233_386:                            ; =>This Inner Loop Header: Depth=1
	buffer_load_dword v1, off, s[0:3], s32 offset:196 ; 4-byte Folded Reload
	buffer_load_dword v4, off, s[0:3], s32 offset:212 ; 4-byte Folded Reload
	;; [unrolled: 1-line block ×3, first 2 shown]
	s_waitcnt vmcnt(3)
	v_ashrrev_i32_e32 v0, 31, v3
	v_accvgpr_write_b32 a13, v3
	s_waitcnt vmcnt(2)
	v_xor_b32_e32 v0, v0, v1
	v_sub_u32_e32 v1, 0, v3
	v_max_i32_e32 v1, v3, v1
	s_waitcnt vmcnt(0)
	v_mul_hi_u32 v2, v1, v2
	v_mul_lo_u32 v3, v2, v4
	v_sub_u32_e32 v1, v1, v3
	v_add_u32_e32 v3, 1, v2
	v_cmp_ge_u32_e32 vcc, v1, v4
	v_cndmask_b32_e32 v2, v2, v3, vcc
	v_sub_u32_e32 v3, v1, v4
	v_cndmask_b32_e32 v1, v1, v3, vcc
	v_add_u32_e32 v3, 1, v2
	v_cmp_ge_u32_e32 vcc, v1, v4
	v_cndmask_b32_e32 v1, v2, v3, vcc
	buffer_load_dword v2, off, s[0:3], s32 offset:204 ; 4-byte Folded Reload
	buffer_load_dword v3, off, s[0:3], s32 offset:208 ; 4-byte Folded Reload
	v_xor_b32_e32 v1, v1, v0
	v_sub_u32_e32 v0, v1, v0
	v_accvgpr_read_b32 v4, a36
	s_waitcnt vmcnt(1)
	v_add_u32_e32 v1, v0, v2
	s_waitcnt vmcnt(0)
	v_sub_u32_e32 v3, 0, v1
	v_ashrrev_i32_e32 v2, 31, v1
	v_max_i32_e32 v1, v1, v3
	v_mul_hi_u32 v3, v1, v4
	v_mul_lo_u32 v3, v3, v51
	v_sub_u32_e32 v1, v1, v3
	v_sub_u32_e32 v3, v1, v51
	v_cmp_ge_u32_e32 vcc, v1, v51
	v_cndmask_b32_e32 v1, v1, v3, vcc
	v_sub_u32_e32 v3, v1, v51
	v_cmp_ge_u32_e32 vcc, v1, v51
	v_cndmask_b32_e32 v1, v1, v3, vcc
	v_xor_b32_e32 v1, v1, v2
	v_sub_u32_e32 v1, v1, v2
	v_cmp_eq_u32_e32 vcc, 0, v1
	buffer_load_dword v1, off, s[0:3], s32 offset:220 ; 4-byte Folded Reload
	s_waitcnt vmcnt(0)
	v_cmp_gt_i32_e64 s[4:5], v0, v1
	s_or_b64 s[4:5], vcc, s[4:5]
	s_and_saveexec_b64 s[24:25], s[4:5]
	s_cbranch_execz .LBB233_385
; %bb.387:                              ;   in Loop: Header=BB233_386 Depth=1
	flat_load_dword v0, v[14:15]
	buffer_load_dword v2, off, s[0:3], s32 offset:248 ; 4-byte Folded Reload
	buffer_load_dword v3, off, s[0:3], s32 offset:252 ; 4-byte Folded Reload
	v_accvgpr_read_b32 v4, a38
	v_accvgpr_read_b32 v5, a39
	v_accvgpr_write_b32 a31, v9
	v_accvgpr_write_b32 a30, v8
	;; [unrolled: 1-line block ×3, first 2 shown]
	v_pk_mov_b32 v[8:9], 0, 0
	v_accvgpr_write_b32 a28, v6
	v_pk_mov_b32 v[6:7], v[8:9], v[8:9] op_sel:[0,1]
	s_waitcnt vmcnt(0) lgkmcnt(0)
	v_mad_i64_i32 v[24:25], s[4:5], v0, v2, v[4:5]
	flat_load_dword v4, v[24:25]
	buffer_load_dword v0, off, s[0:3], s32 offset:472 ; 4-byte Folded Reload
	buffer_load_dword v1, off, s[0:3], s32 offset:476 ; 4-byte Folded Reload
	s_waitcnt vmcnt(0) lgkmcnt(0)
	v_cmp_ne_u16_sdwa s[26:27], v4, v49 src0_sel:BYTE_0 src1_sel:DWORD
	flat_load_dword v26, v[0:1]
	ds_read_b128 v[0:3], v50
	s_and_saveexec_b64 s[4:5], s[26:27]
	s_cbranch_execz .LBB233_393
; %bb.388:                              ;   in Loop: Header=BB233_386 Depth=1
	v_bfrev_b32_e32 v6, 1
	v_cmp_ne_u16_sdwa s[28:29], v4, s7 src0_sel:BYTE_0 src1_sel:DWORD
	v_mov_b32_e32 v7, 0
	s_and_saveexec_b64 s[26:27], s[28:29]
	s_cbranch_execz .LBB233_392
; %bb.389:                              ;   in Loop: Header=BB233_386 Depth=1
	v_and_b32_e32 v5, 0x7f, v4
	v_mov_b32_e32 v6, 0x7f800001
	v_cmp_ne_u32_e32 vcc, s15, v5
	v_mov_b32_e32 v7, 0
	s_and_saveexec_b64 s[28:29], vcc
	s_cbranch_execz .LBB233_391
; %bb.390:                              ;   in Loop: Header=BB233_386 Depth=1
	v_and_b32_e32 v10, 7, v4
	v_ffbh_u32_e32 v6, v10
	v_min_u32_e32 v12, 32, v6
	v_subrev_u32_e32 v6, 28, v12
	v_lshlrev_b64 v[6:7], v6, v[4:5]
	v_lshrrev_b32_e32 v11, 3, v5
	v_sub_u32_e32 v7, 29, v12
	v_and_b32_e32 v6, 7, v6
	v_cmp_gt_u32_e32 vcc, 8, v5
	v_cndmask_b32_e32 v5, v11, v7, vcc
	v_cndmask_b32_e32 v6, v10, v6, vcc
	v_bfrev_b32_e32 v10, 60
	v_lshlrev_b32_e32 v6, 20, v6
	v_and_b32_sdwa v7, sext(v4), s13 dst_sel:DWORD dst_unused:UNUSED_PAD src0_sel:BYTE_0 src1_sel:DWORD
	v_lshl_add_u32 v5, v5, 23, v10
	v_or3_b32 v48, v7, v5, v6
	v_pk_mov_b32 v[6:7], v[48:49], v[48:49] op_sel:[0,1]
.LBB233_391:                            ;   in Loop: Header=BB233_386 Depth=1
	s_or_b64 exec, exec, s[28:29]
.LBB233_392:                            ;   in Loop: Header=BB233_386 Depth=1
	s_or_b64 exec, exec, s[26:27]
.LBB233_393:                            ;   in Loop: Header=BB233_386 Depth=1
	s_or_b64 exec, exec, s[4:5]
	v_cmp_ne_u16_sdwa s[26:27], v4, v49 src0_sel:BYTE_1 src1_sel:DWORD
	s_and_saveexec_b64 s[4:5], s[26:27]
	s_cbranch_execz .LBB233_399
; %bb.394:                              ;   in Loop: Header=BB233_386 Depth=1
	v_cmp_ne_u16_sdwa s[28:29], v4, s7 src0_sel:BYTE_1 src1_sel:DWORD
	v_pk_mov_b32 v[8:9], s[12:13], s[12:13] op_sel:[0,1]
	s_and_saveexec_b64 s[26:27], s[28:29]
	s_cbranch_execz .LBB233_398
; %bb.395:                              ;   in Loop: Header=BB233_386 Depth=1
	v_and_b32_sdwa v5, v4, s15 dst_sel:DWORD dst_unused:UNUSED_PAD src0_sel:BYTE_1 src1_sel:DWORD
	s_mov_b32 s22, s12
	v_cmp_ne_u32_e32 vcc, s15, v5
	v_pk_mov_b32 v[8:9], s[22:23], s[22:23] op_sel:[0,1]
	s_and_saveexec_b64 s[28:29], vcc
	s_cbranch_execz .LBB233_397
; %bb.396:                              ;   in Loop: Header=BB233_386 Depth=1
	v_mov_b32_e32 v8, 7
	v_and_b32_sdwa v48, v4, v8 dst_sel:DWORD dst_unused:UNUSED_PAD src0_sel:BYTE_1 src1_sel:DWORD
	v_ffbh_u32_e32 v8, v48
	v_min_u32_e32 v11, 32, v8
	v_subrev_u32_e32 v8, 28, v11
	v_lshlrev_b64 v[8:9], v8, v[48:49]
	v_lshrrev_b32_e32 v10, 3, v5
	v_sub_u32_e32 v9, 29, v11
	v_cmp_gt_u32_e32 vcc, 8, v5
	v_and_b32_e32 v8, 7, v8
	v_cndmask_b32_e32 v5, v10, v9, vcc
	v_bfrev_b32_e32 v10, 60
	v_cndmask_b32_e32 v8, v48, v8, vcc
	v_lshlrev_b32_e32 v9, 16, v4
	v_lshl_add_u32 v5, v5, 23, v10
	v_and_or_b32 v5, v9, s13, v5
	v_lshlrev_b32_e32 v8, 20, v8
	v_or_b32_e32 v9, v5, v8
	v_mov_b32_e32 v8, v49
.LBB233_397:                            ;   in Loop: Header=BB233_386 Depth=1
	s_or_b64 exec, exec, s[28:29]
.LBB233_398:                            ;   in Loop: Header=BB233_386 Depth=1
	s_or_b64 exec, exec, s[26:27]
.LBB233_399:                            ;   in Loop: Header=BB233_386 Depth=1
	s_or_b64 exec, exec, s[4:5]
	v_lshrrev_b32_e32 v16, 16, v4
	v_pk_mov_b32 v[12:13], 0, 0
	v_cmp_ne_u16_sdwa s[26:27], v16, v49 src0_sel:BYTE_0 src1_sel:DWORD
	v_pk_mov_b32 v[10:11], v[12:13], v[12:13] op_sel:[0,1]
	s_and_saveexec_b64 s[4:5], s[26:27]
	s_cbranch_execz .LBB233_405
; %bb.400:                              ;   in Loop: Header=BB233_386 Depth=1
	v_bfrev_b32_e32 v10, 1
	v_cmp_ne_u16_sdwa s[28:29], v16, s7 src0_sel:BYTE_0 src1_sel:DWORD
	v_mov_b32_e32 v11, 0
	s_and_saveexec_b64 s[26:27], s[28:29]
	s_cbranch_execz .LBB233_404
; %bb.401:                              ;   in Loop: Header=BB233_386 Depth=1
	v_bfe_u32 v5, v4, 16, 7
	v_mov_b32_e32 v10, 0x7f800001
	v_cmp_ne_u32_e32 vcc, s15, v5
	v_mov_b32_e32 v11, 0
	s_and_saveexec_b64 s[28:29], vcc
	s_cbranch_execz .LBB233_403
; %bb.402:                              ;   in Loop: Header=BB233_386 Depth=1
	v_and_b32_e32 v17, 7, v16
	v_ffbh_u32_e32 v10, v17
	v_min_u32_e32 v19, 32, v10
	v_subrev_u32_e32 v10, 28, v19
	v_lshlrev_b64 v[10:11], v10, v[16:17]
	v_lshrrev_b32_e32 v18, 3, v5
	v_sub_u32_e32 v11, 29, v19
	v_and_b32_e32 v10, 7, v10
	v_cmp_gt_u32_e32 vcc, 8, v5
	v_cndmask_b32_e32 v5, v18, v11, vcc
	v_cndmask_b32_e32 v10, v17, v10, vcc
	v_and_b32_sdwa v11, sext(v16), s13 dst_sel:DWORD dst_unused:UNUSED_PAD src0_sel:BYTE_0 src1_sel:DWORD
	v_bfrev_b32_e32 v16, 60
	v_lshlrev_b32_e32 v10, 20, v10
	v_lshl_add_u32 v5, v5, 23, v16
	v_or3_b32 v48, v11, v5, v10
	v_pk_mov_b32 v[10:11], v[48:49], v[48:49] op_sel:[0,1]
.LBB233_403:                            ;   in Loop: Header=BB233_386 Depth=1
	s_or_b64 exec, exec, s[28:29]
.LBB233_404:                            ;   in Loop: Header=BB233_386 Depth=1
	s_or_b64 exec, exec, s[26:27]
.LBB233_405:                            ;   in Loop: Header=BB233_386 Depth=1
	s_or_b64 exec, exec, s[4:5]
	v_cmp_lt_u32_e32 vcc, s34, v4
	s_and_saveexec_b64 s[4:5], vcc
	s_cbranch_execz .LBB233_411
; %bb.406:                              ;   in Loop: Header=BB233_386 Depth=1
	v_cmp_ne_u32_sdwa s[28:29], v4, s7 src0_sel:BYTE_3 src1_sel:DWORD
	v_pk_mov_b32 v[12:13], s[12:13], s[12:13] op_sel:[0,1]
	s_and_saveexec_b64 s[26:27], s[28:29]
	s_cbranch_execz .LBB233_410
; %bb.407:                              ;   in Loop: Header=BB233_386 Depth=1
	v_bfe_u32 v5, v4, 24, 7
	s_mov_b32 s22, s12
	v_cmp_ne_u32_e32 vcc, s15, v5
	v_pk_mov_b32 v[12:13], s[22:23], s[22:23] op_sel:[0,1]
	s_and_saveexec_b64 s[28:29], vcc
	s_cbranch_execz .LBB233_409
; %bb.408:                              ;   in Loop: Header=BB233_386 Depth=1
	v_mov_b32_e32 v12, 7
	v_and_b32_sdwa v48, v4, v12 dst_sel:DWORD dst_unused:UNUSED_PAD src0_sel:BYTE_3 src1_sel:DWORD
	v_ffbh_u32_e32 v12, v48
	v_min_u32_e32 v17, 32, v12
	v_subrev_u32_e32 v12, 28, v17
	v_lshlrev_b64 v[12:13], v12, v[48:49]
	v_lshrrev_b32_e32 v16, 3, v5
	v_sub_u32_e32 v13, 29, v17
	v_cmp_gt_u32_e32 vcc, 8, v5
	v_cndmask_b32_e32 v5, v16, v13, vcc
	v_mov_b32_e32 v13, 24
	v_and_b32_e32 v12, 7, v12
	v_lshlrev_b32_sdwa v4, v13, v4 dst_sel:DWORD dst_unused:UNUSED_PAD src0_sel:DWORD src1_sel:BYTE_3
	v_bfrev_b32_e32 v13, 60
	v_cndmask_b32_e32 v12, v48, v12, vcc
	v_lshl_add_u32 v5, v5, 23, v13
	v_and_or_b32 v4, v4, s13, v5
	v_lshlrev_b32_e32 v5, 20, v12
	v_or_b32_e32 v13, v4, v5
	v_mov_b32_e32 v12, v49
.LBB233_409:                            ;   in Loop: Header=BB233_386 Depth=1
	s_or_b64 exec, exec, s[28:29]
.LBB233_410:                            ;   in Loop: Header=BB233_386 Depth=1
	s_or_b64 exec, exec, s[26:27]
.LBB233_411:                            ;   in Loop: Header=BB233_386 Depth=1
	s_or_b64 exec, exec, s[4:5]
	v_accvgpr_read_b32 v4, a13
	v_accvgpr_read_b32 v5, a34
	v_add_u32_e32 v16, v5, v4
	v_accvgpr_read_b32 v4, a12
	v_accvgpr_read_b32 v5, a35
	v_cmp_eq_u32_e32 vcc, v5, v4
	v_or_b32_e32 v5, v9, v7
	v_or_b32_e32 v4, v8, v6
	s_waitcnt vmcnt(0) lgkmcnt(0)
	v_pk_mul_f32 v[4:5], v[26:27], v[4:5] op_sel_hi:[0,1]
	v_accvgpr_write_b32 a2, v4
	v_accvgpr_write_b32 a3, v5
	v_or_b32_e32 v5, v13, v11
	v_or_b32_e32 v4, v12, v10
	v_pk_mul_f32 v[4:5], v[26:27], v[4:5] op_sel_hi:[0,1]
	v_accvgpr_write_b32 a4, v4
	v_accvgpr_write_b32 a5, v5
	v_add_u32_e32 v4, 1, v16
	v_accvgpr_write_b32 a9, v4
	v_add_u32_e32 v4, 2, v16
	;; [unrolled: 2-line block ×3, first 2 shown]
	v_accvgpr_write_b32 a6, v16
	v_accvgpr_write_b32 a7, v4
	s_and_saveexec_b64 s[26:27], vcc
	s_cbranch_execz .LBB233_413
; %bb.412:                              ;   in Loop: Header=BB233_386 Depth=1
	v_accvgpr_read_b32 v4, a6
	v_cmp_lt_i32_e64 s[4:5], v4, v62
	v_accvgpr_read_b32 v5, a3
	v_accvgpr_read_b32 v4, a2
	v_accvgpr_read_b32 v6, a9
	v_cndmask_b32_e64 v4, 0, v4, s[4:5]
	v_cmp_lt_i32_e64 s[4:5], v6, v62
	v_cndmask_b32_e64 v5, 0, v5, s[4:5]
	v_accvgpr_write_b32 a2, v4
	v_accvgpr_write_b32 a3, v5
	v_accvgpr_read_b32 v4, a8
	v_cmp_lt_i32_e64 s[4:5], v4, v62
	v_accvgpr_read_b32 v4, a4
	v_accvgpr_read_b32 v6, a7
	;; [unrolled: 1-line block ×3, first 2 shown]
	v_cndmask_b32_e64 v4, 0, v4, s[4:5]
	v_cmp_lt_i32_e64 s[4:5], v6, v62
	v_cndmask_b32_e64 v5, 0, v5, s[4:5]
	v_accvgpr_write_b32 a4, v4
	v_accvgpr_write_b32 a5, v5
.LBB233_413:                            ;   in Loop: Header=BB233_386 Depth=1
	s_or_b64 exec, exec, s[26:27]
	flat_load_dword v4, v[24:25] offset:256
	v_pk_mov_b32 v[8:9], 0, 0
	v_pk_mov_b32 v[6:7], v[8:9], v[8:9] op_sel:[0,1]
	s_waitcnt vmcnt(0) lgkmcnt(0)
	v_cmp_ne_u16_sdwa s[4:5], v4, v49 src0_sel:BYTE_0 src1_sel:DWORD
	s_and_saveexec_b64 s[26:27], s[4:5]
	s_cbranch_execz .LBB233_419
; %bb.414:                              ;   in Loop: Header=BB233_386 Depth=1
	v_bfrev_b32_e32 v6, 1
	v_cmp_ne_u16_sdwa s[4:5], v4, s7 src0_sel:BYTE_0 src1_sel:DWORD
	v_mov_b32_e32 v7, 0
	s_and_saveexec_b64 s[28:29], s[4:5]
	s_cbranch_execz .LBB233_418
; %bb.415:                              ;   in Loop: Header=BB233_386 Depth=1
	v_and_b32_e32 v5, 0x7f, v4
	v_mov_b32_e32 v6, 0x7f800001
	v_cmp_ne_u32_e64 s[4:5], s15, v5
	v_mov_b32_e32 v7, 0
	s_and_saveexec_b64 s[30:31], s[4:5]
	s_cbranch_execz .LBB233_417
; %bb.416:                              ;   in Loop: Header=BB233_386 Depth=1
	v_and_b32_e32 v10, 7, v4
	v_ffbh_u32_e32 v6, v10
	v_min_u32_e32 v12, 32, v6
	v_subrev_u32_e32 v6, 28, v12
	v_lshlrev_b64 v[6:7], v6, v[4:5]
	v_lshrrev_b32_e32 v11, 3, v5
	v_sub_u32_e32 v7, 29, v12
	v_and_b32_e32 v6, 7, v6
	v_cmp_gt_u32_e64 s[4:5], 8, v5
	v_cndmask_b32_e64 v5, v11, v7, s[4:5]
	v_cndmask_b32_e64 v6, v10, v6, s[4:5]
	v_bfrev_b32_e32 v10, 60
	v_lshlrev_b32_e32 v6, 20, v6
	v_and_b32_sdwa v7, sext(v4), s13 dst_sel:DWORD dst_unused:UNUSED_PAD src0_sel:BYTE_0 src1_sel:DWORD
	v_lshl_add_u32 v5, v5, 23, v10
	v_or3_b32 v48, v7, v5, v6
	v_pk_mov_b32 v[6:7], v[48:49], v[48:49] op_sel:[0,1]
.LBB233_417:                            ;   in Loop: Header=BB233_386 Depth=1
	s_or_b64 exec, exec, s[30:31]
.LBB233_418:                            ;   in Loop: Header=BB233_386 Depth=1
	s_or_b64 exec, exec, s[28:29]
.LBB233_419:                            ;   in Loop: Header=BB233_386 Depth=1
	s_or_b64 exec, exec, s[26:27]
	v_cmp_ne_u16_sdwa s[4:5], v4, v49 src0_sel:BYTE_1 src1_sel:DWORD
	s_and_saveexec_b64 s[26:27], s[4:5]
	s_cbranch_execz .LBB233_425
; %bb.420:                              ;   in Loop: Header=BB233_386 Depth=1
	v_cmp_ne_u16_sdwa s[4:5], v4, s7 src0_sel:BYTE_1 src1_sel:DWORD
	v_pk_mov_b32 v[8:9], s[12:13], s[12:13] op_sel:[0,1]
	s_and_saveexec_b64 s[28:29], s[4:5]
	s_cbranch_execz .LBB233_424
; %bb.421:                              ;   in Loop: Header=BB233_386 Depth=1
	v_and_b32_sdwa v5, v4, s15 dst_sel:DWORD dst_unused:UNUSED_PAD src0_sel:BYTE_1 src1_sel:DWORD
	s_mov_b32 s22, s12
	v_cmp_ne_u32_e64 s[4:5], s15, v5
	v_pk_mov_b32 v[8:9], s[22:23], s[22:23] op_sel:[0,1]
	s_and_saveexec_b64 s[30:31], s[4:5]
	s_cbranch_execz .LBB233_423
; %bb.422:                              ;   in Loop: Header=BB233_386 Depth=1
	v_mov_b32_e32 v8, 7
	v_and_b32_sdwa v48, v4, v8 dst_sel:DWORD dst_unused:UNUSED_PAD src0_sel:BYTE_1 src1_sel:DWORD
	v_ffbh_u32_e32 v8, v48
	v_min_u32_e32 v11, 32, v8
	v_subrev_u32_e32 v8, 28, v11
	v_lshlrev_b64 v[8:9], v8, v[48:49]
	v_lshrrev_b32_e32 v10, 3, v5
	v_sub_u32_e32 v9, 29, v11
	v_cmp_gt_u32_e64 s[4:5], 8, v5
	v_and_b32_e32 v8, 7, v8
	v_cndmask_b32_e64 v5, v10, v9, s[4:5]
	v_bfrev_b32_e32 v10, 60
	v_cndmask_b32_e64 v8, v48, v8, s[4:5]
	v_lshlrev_b32_e32 v9, 16, v4
	v_lshl_add_u32 v5, v5, 23, v10
	v_and_or_b32 v5, v9, s13, v5
	v_lshlrev_b32_e32 v8, 20, v8
	v_or_b32_e32 v9, v5, v8
	v_mov_b32_e32 v8, v49
.LBB233_423:                            ;   in Loop: Header=BB233_386 Depth=1
	s_or_b64 exec, exec, s[30:31]
.LBB233_424:                            ;   in Loop: Header=BB233_386 Depth=1
	s_or_b64 exec, exec, s[28:29]
.LBB233_425:                            ;   in Loop: Header=BB233_386 Depth=1
	s_or_b64 exec, exec, s[26:27]
	v_lshrrev_b32_e32 v16, 16, v4
	v_pk_mov_b32 v[12:13], 0, 0
	v_cmp_ne_u16_sdwa s[4:5], v16, v49 src0_sel:BYTE_0 src1_sel:DWORD
	v_pk_mov_b32 v[10:11], v[12:13], v[12:13] op_sel:[0,1]
	s_and_saveexec_b64 s[26:27], s[4:5]
	s_cbranch_execz .LBB233_431
; %bb.426:                              ;   in Loop: Header=BB233_386 Depth=1
	v_bfrev_b32_e32 v10, 1
	v_cmp_ne_u16_sdwa s[4:5], v16, s7 src0_sel:BYTE_0 src1_sel:DWORD
	v_mov_b32_e32 v11, 0
	s_and_saveexec_b64 s[28:29], s[4:5]
	s_cbranch_execz .LBB233_430
; %bb.427:                              ;   in Loop: Header=BB233_386 Depth=1
	v_bfe_u32 v5, v4, 16, 7
	v_mov_b32_e32 v10, 0x7f800001
	v_cmp_ne_u32_e64 s[4:5], s15, v5
	v_mov_b32_e32 v11, 0
	s_and_saveexec_b64 s[30:31], s[4:5]
	s_cbranch_execz .LBB233_429
; %bb.428:                              ;   in Loop: Header=BB233_386 Depth=1
	v_and_b32_e32 v17, 7, v16
	v_ffbh_u32_e32 v10, v17
	v_min_u32_e32 v19, 32, v10
	v_subrev_u32_e32 v10, 28, v19
	v_lshlrev_b64 v[10:11], v10, v[16:17]
	v_lshrrev_b32_e32 v18, 3, v5
	v_sub_u32_e32 v11, 29, v19
	v_and_b32_e32 v10, 7, v10
	v_cmp_gt_u32_e64 s[4:5], 8, v5
	v_cndmask_b32_e64 v5, v18, v11, s[4:5]
	v_cndmask_b32_e64 v10, v17, v10, s[4:5]
	v_and_b32_sdwa v11, sext(v16), s13 dst_sel:DWORD dst_unused:UNUSED_PAD src0_sel:BYTE_0 src1_sel:DWORD
	v_bfrev_b32_e32 v16, 60
	v_lshlrev_b32_e32 v10, 20, v10
	v_lshl_add_u32 v5, v5, 23, v16
	v_or3_b32 v48, v11, v5, v10
	v_pk_mov_b32 v[10:11], v[48:49], v[48:49] op_sel:[0,1]
.LBB233_429:                            ;   in Loop: Header=BB233_386 Depth=1
	s_or_b64 exec, exec, s[30:31]
.LBB233_430:                            ;   in Loop: Header=BB233_386 Depth=1
	s_or_b64 exec, exec, s[28:29]
.LBB233_431:                            ;   in Loop: Header=BB233_386 Depth=1
	s_or_b64 exec, exec, s[26:27]
	v_cmp_lt_u32_e64 s[4:5], s34, v4
	s_and_saveexec_b64 s[26:27], s[4:5]
	s_cbranch_execz .LBB233_437
; %bb.432:                              ;   in Loop: Header=BB233_386 Depth=1
	v_cmp_ne_u32_sdwa s[4:5], v4, s7 src0_sel:BYTE_3 src1_sel:DWORD
	v_pk_mov_b32 v[12:13], s[12:13], s[12:13] op_sel:[0,1]
	s_and_saveexec_b64 s[28:29], s[4:5]
	s_cbranch_execz .LBB233_436
; %bb.433:                              ;   in Loop: Header=BB233_386 Depth=1
	v_bfe_u32 v5, v4, 24, 7
	s_mov_b32 s22, s12
	v_cmp_ne_u32_e64 s[4:5], s15, v5
	v_pk_mov_b32 v[12:13], s[22:23], s[22:23] op_sel:[0,1]
	s_and_saveexec_b64 s[30:31], s[4:5]
	s_cbranch_execz .LBB233_435
; %bb.434:                              ;   in Loop: Header=BB233_386 Depth=1
	v_mov_b32_e32 v12, 7
	v_and_b32_sdwa v48, v4, v12 dst_sel:DWORD dst_unused:UNUSED_PAD src0_sel:BYTE_3 src1_sel:DWORD
	v_ffbh_u32_e32 v12, v48
	v_min_u32_e32 v17, 32, v12
	v_subrev_u32_e32 v12, 28, v17
	v_lshlrev_b64 v[12:13], v12, v[48:49]
	v_lshrrev_b32_e32 v16, 3, v5
	v_sub_u32_e32 v13, 29, v17
	v_cmp_gt_u32_e64 s[4:5], 8, v5
	v_cndmask_b32_e64 v5, v16, v13, s[4:5]
	v_mov_b32_e32 v13, 24
	v_and_b32_e32 v12, 7, v12
	v_lshlrev_b32_sdwa v4, v13, v4 dst_sel:DWORD dst_unused:UNUSED_PAD src0_sel:DWORD src1_sel:BYTE_3
	v_bfrev_b32_e32 v13, 60
	v_cndmask_b32_e64 v12, v48, v12, s[4:5]
	v_lshl_add_u32 v5, v5, 23, v13
	v_and_or_b32 v4, v4, s13, v5
	v_lshlrev_b32_e32 v5, 20, v12
	v_or_b32_e32 v13, v4, v5
	v_mov_b32_e32 v12, v49
.LBB233_435:                            ;   in Loop: Header=BB233_386 Depth=1
	s_or_b64 exec, exec, s[30:31]
.LBB233_436:                            ;   in Loop: Header=BB233_386 Depth=1
	s_or_b64 exec, exec, s[28:29]
.LBB233_437:                            ;   in Loop: Header=BB233_386 Depth=1
	s_or_b64 exec, exec, s[26:27]
	v_mov_b32_e32 v27, v26
	v_or_b32_e32 v5, v9, v7
	v_or_b32_e32 v4, v8, v6
	v_pk_mul_f32 v[4:5], v[26:27], v[4:5]
	v_accvgpr_write_b32 a11, v5
	v_accvgpr_write_b32 a10, v4
	v_or_b32_e32 v5, v13, v11
	v_or_b32_e32 v4, v12, v10
	v_pk_mul_f32 v[4:5], v[26:27], v[4:5]
	v_accvgpr_write_b32 a15, v5
	v_accvgpr_write_b32 a14, v4
	s_and_saveexec_b64 s[26:27], vcc
	s_cbranch_execz .LBB233_439
; %bb.438:                              ;   in Loop: Header=BB233_386 Depth=1
	v_accvgpr_read_b32 v4, a6
	v_cmp_lt_i32_e64 s[4:5], v4, v62
	v_accvgpr_read_b32 v6, a10
	v_accvgpr_read_b32 v4, a9
	;; [unrolled: 1-line block ×3, first 2 shown]
	v_cndmask_b32_e64 v6, 0, v6, s[4:5]
	v_cmp_lt_i32_e64 s[4:5], v4, v62
	v_cndmask_b32_e64 v7, 0, v7, s[4:5]
	v_accvgpr_write_b32 a11, v7
	v_accvgpr_read_b32 v4, a8
	v_accvgpr_write_b32 a10, v6
	v_cmp_lt_i32_e64 s[4:5], v4, v62
	v_accvgpr_read_b32 v6, a14
	v_accvgpr_read_b32 v4, a7
	;; [unrolled: 1-line block ×3, first 2 shown]
	v_cndmask_b32_e64 v6, 0, v6, s[4:5]
	v_cmp_lt_i32_e64 s[4:5], v4, v62
	v_cndmask_b32_e64 v7, 0, v7, s[4:5]
	v_accvgpr_write_b32 a15, v7
	v_accvgpr_write_b32 a14, v6
.LBB233_439:                            ;   in Loop: Header=BB233_386 Depth=1
	s_or_b64 exec, exec, s[26:27]
	flat_load_dword v4, v[24:25] offset:512
	v_pk_mov_b32 v[8:9], 0, 0
	v_pk_mov_b32 v[6:7], v[8:9], v[8:9] op_sel:[0,1]
	s_waitcnt vmcnt(0) lgkmcnt(0)
	v_cmp_ne_u16_sdwa s[4:5], v4, v49 src0_sel:BYTE_0 src1_sel:DWORD
	s_and_saveexec_b64 s[26:27], s[4:5]
	s_cbranch_execz .LBB233_445
; %bb.440:                              ;   in Loop: Header=BB233_386 Depth=1
	v_bfrev_b32_e32 v6, 1
	v_cmp_ne_u16_sdwa s[4:5], v4, s7 src0_sel:BYTE_0 src1_sel:DWORD
	v_mov_b32_e32 v7, 0
	s_and_saveexec_b64 s[28:29], s[4:5]
	s_cbranch_execz .LBB233_444
; %bb.441:                              ;   in Loop: Header=BB233_386 Depth=1
	v_and_b32_e32 v5, 0x7f, v4
	v_mov_b32_e32 v6, 0x7f800001
	v_cmp_ne_u32_e64 s[4:5], s15, v5
	v_mov_b32_e32 v7, 0
	s_and_saveexec_b64 s[30:31], s[4:5]
	s_cbranch_execz .LBB233_443
; %bb.442:                              ;   in Loop: Header=BB233_386 Depth=1
	v_and_b32_e32 v10, 7, v4
	v_ffbh_u32_e32 v6, v10
	v_min_u32_e32 v12, 32, v6
	v_subrev_u32_e32 v6, 28, v12
	v_lshlrev_b64 v[6:7], v6, v[4:5]
	v_lshrrev_b32_e32 v11, 3, v5
	v_sub_u32_e32 v7, 29, v12
	v_and_b32_e32 v6, 7, v6
	v_cmp_gt_u32_e64 s[4:5], 8, v5
	v_cndmask_b32_e64 v5, v11, v7, s[4:5]
	v_cndmask_b32_e64 v6, v10, v6, s[4:5]
	v_bfrev_b32_e32 v10, 60
	v_lshlrev_b32_e32 v6, 20, v6
	v_and_b32_sdwa v7, sext(v4), s13 dst_sel:DWORD dst_unused:UNUSED_PAD src0_sel:BYTE_0 src1_sel:DWORD
	v_lshl_add_u32 v5, v5, 23, v10
	v_or3_b32 v48, v7, v5, v6
	v_pk_mov_b32 v[6:7], v[48:49], v[48:49] op_sel:[0,1]
.LBB233_443:                            ;   in Loop: Header=BB233_386 Depth=1
	s_or_b64 exec, exec, s[30:31]
.LBB233_444:                            ;   in Loop: Header=BB233_386 Depth=1
	s_or_b64 exec, exec, s[28:29]
.LBB233_445:                            ;   in Loop: Header=BB233_386 Depth=1
	s_or_b64 exec, exec, s[26:27]
	v_cmp_ne_u16_sdwa s[4:5], v4, v49 src0_sel:BYTE_1 src1_sel:DWORD
	s_and_saveexec_b64 s[26:27], s[4:5]
	s_cbranch_execz .LBB233_451
; %bb.446:                              ;   in Loop: Header=BB233_386 Depth=1
	v_cmp_ne_u16_sdwa s[4:5], v4, s7 src0_sel:BYTE_1 src1_sel:DWORD
	v_pk_mov_b32 v[8:9], s[12:13], s[12:13] op_sel:[0,1]
	s_and_saveexec_b64 s[28:29], s[4:5]
	s_cbranch_execz .LBB233_450
; %bb.447:                              ;   in Loop: Header=BB233_386 Depth=1
	v_and_b32_sdwa v5, v4, s15 dst_sel:DWORD dst_unused:UNUSED_PAD src0_sel:BYTE_1 src1_sel:DWORD
	s_mov_b32 s22, s12
	v_cmp_ne_u32_e64 s[4:5], s15, v5
	v_pk_mov_b32 v[8:9], s[22:23], s[22:23] op_sel:[0,1]
	s_and_saveexec_b64 s[30:31], s[4:5]
	s_cbranch_execz .LBB233_449
; %bb.448:                              ;   in Loop: Header=BB233_386 Depth=1
	v_mov_b32_e32 v8, 7
	v_and_b32_sdwa v48, v4, v8 dst_sel:DWORD dst_unused:UNUSED_PAD src0_sel:BYTE_1 src1_sel:DWORD
	v_ffbh_u32_e32 v8, v48
	v_min_u32_e32 v11, 32, v8
	v_subrev_u32_e32 v8, 28, v11
	v_lshlrev_b64 v[8:9], v8, v[48:49]
	v_lshrrev_b32_e32 v10, 3, v5
	v_sub_u32_e32 v9, 29, v11
	v_cmp_gt_u32_e64 s[4:5], 8, v5
	v_and_b32_e32 v8, 7, v8
	v_cndmask_b32_e64 v5, v10, v9, s[4:5]
	v_bfrev_b32_e32 v10, 60
	v_cndmask_b32_e64 v8, v48, v8, s[4:5]
	v_lshlrev_b32_e32 v9, 16, v4
	v_lshl_add_u32 v5, v5, 23, v10
	v_and_or_b32 v5, v9, s13, v5
	v_lshlrev_b32_e32 v8, 20, v8
	v_or_b32_e32 v9, v5, v8
	v_mov_b32_e32 v8, v49
.LBB233_449:                            ;   in Loop: Header=BB233_386 Depth=1
	s_or_b64 exec, exec, s[30:31]
.LBB233_450:                            ;   in Loop: Header=BB233_386 Depth=1
	s_or_b64 exec, exec, s[28:29]
.LBB233_451:                            ;   in Loop: Header=BB233_386 Depth=1
	s_or_b64 exec, exec, s[26:27]
	v_lshrrev_b32_e32 v16, 16, v4
	v_pk_mov_b32 v[12:13], 0, 0
	v_cmp_ne_u16_sdwa s[4:5], v16, v49 src0_sel:BYTE_0 src1_sel:DWORD
	v_pk_mov_b32 v[10:11], v[12:13], v[12:13] op_sel:[0,1]
	s_and_saveexec_b64 s[26:27], s[4:5]
	s_cbranch_execz .LBB233_457
; %bb.452:                              ;   in Loop: Header=BB233_386 Depth=1
	v_bfrev_b32_e32 v10, 1
	v_cmp_ne_u16_sdwa s[4:5], v16, s7 src0_sel:BYTE_0 src1_sel:DWORD
	v_mov_b32_e32 v11, 0
	s_and_saveexec_b64 s[28:29], s[4:5]
	s_cbranch_execz .LBB233_456
; %bb.453:                              ;   in Loop: Header=BB233_386 Depth=1
	v_bfe_u32 v5, v4, 16, 7
	v_mov_b32_e32 v10, 0x7f800001
	v_cmp_ne_u32_e64 s[4:5], s15, v5
	v_mov_b32_e32 v11, 0
	s_and_saveexec_b64 s[30:31], s[4:5]
	s_cbranch_execz .LBB233_455
; %bb.454:                              ;   in Loop: Header=BB233_386 Depth=1
	v_and_b32_e32 v17, 7, v16
	v_ffbh_u32_e32 v10, v17
	v_min_u32_e32 v19, 32, v10
	v_subrev_u32_e32 v10, 28, v19
	v_lshlrev_b64 v[10:11], v10, v[16:17]
	v_lshrrev_b32_e32 v18, 3, v5
	v_sub_u32_e32 v11, 29, v19
	v_and_b32_e32 v10, 7, v10
	v_cmp_gt_u32_e64 s[4:5], 8, v5
	v_cndmask_b32_e64 v5, v18, v11, s[4:5]
	v_cndmask_b32_e64 v10, v17, v10, s[4:5]
	v_and_b32_sdwa v11, sext(v16), s13 dst_sel:DWORD dst_unused:UNUSED_PAD src0_sel:BYTE_0 src1_sel:DWORD
	v_bfrev_b32_e32 v16, 60
	v_lshlrev_b32_e32 v10, 20, v10
	v_lshl_add_u32 v5, v5, 23, v16
	v_or3_b32 v48, v11, v5, v10
	v_pk_mov_b32 v[10:11], v[48:49], v[48:49] op_sel:[0,1]
.LBB233_455:                            ;   in Loop: Header=BB233_386 Depth=1
	s_or_b64 exec, exec, s[30:31]
.LBB233_456:                            ;   in Loop: Header=BB233_386 Depth=1
	s_or_b64 exec, exec, s[28:29]
.LBB233_457:                            ;   in Loop: Header=BB233_386 Depth=1
	s_or_b64 exec, exec, s[26:27]
	v_cmp_lt_u32_e64 s[4:5], s34, v4
	s_and_saveexec_b64 s[26:27], s[4:5]
	s_cbranch_execz .LBB233_463
; %bb.458:                              ;   in Loop: Header=BB233_386 Depth=1
	v_cmp_ne_u32_sdwa s[4:5], v4, s7 src0_sel:BYTE_3 src1_sel:DWORD
	v_pk_mov_b32 v[12:13], s[12:13], s[12:13] op_sel:[0,1]
	s_and_saveexec_b64 s[28:29], s[4:5]
	s_cbranch_execz .LBB233_462
; %bb.459:                              ;   in Loop: Header=BB233_386 Depth=1
	v_bfe_u32 v5, v4, 24, 7
	s_mov_b32 s22, s12
	v_cmp_ne_u32_e64 s[4:5], s15, v5
	v_pk_mov_b32 v[12:13], s[22:23], s[22:23] op_sel:[0,1]
	s_and_saveexec_b64 s[30:31], s[4:5]
	s_cbranch_execz .LBB233_461
; %bb.460:                              ;   in Loop: Header=BB233_386 Depth=1
	v_mov_b32_e32 v12, 7
	v_and_b32_sdwa v48, v4, v12 dst_sel:DWORD dst_unused:UNUSED_PAD src0_sel:BYTE_3 src1_sel:DWORD
	v_ffbh_u32_e32 v12, v48
	v_min_u32_e32 v17, 32, v12
	v_subrev_u32_e32 v12, 28, v17
	v_lshlrev_b64 v[12:13], v12, v[48:49]
	v_lshrrev_b32_e32 v16, 3, v5
	v_sub_u32_e32 v13, 29, v17
	v_cmp_gt_u32_e64 s[4:5], 8, v5
	v_cndmask_b32_e64 v5, v16, v13, s[4:5]
	v_mov_b32_e32 v13, 24
	v_and_b32_e32 v12, 7, v12
	v_lshlrev_b32_sdwa v4, v13, v4 dst_sel:DWORD dst_unused:UNUSED_PAD src0_sel:DWORD src1_sel:BYTE_3
	v_bfrev_b32_e32 v13, 60
	v_cndmask_b32_e64 v12, v48, v12, s[4:5]
	v_lshl_add_u32 v5, v5, 23, v13
	v_and_or_b32 v4, v4, s13, v5
	v_lshlrev_b32_e32 v5, 20, v12
	v_or_b32_e32 v13, v4, v5
	v_mov_b32_e32 v12, v49
.LBB233_461:                            ;   in Loop: Header=BB233_386 Depth=1
	s_or_b64 exec, exec, s[30:31]
.LBB233_462:                            ;   in Loop: Header=BB233_386 Depth=1
	s_or_b64 exec, exec, s[28:29]
.LBB233_463:                            ;   in Loop: Header=BB233_386 Depth=1
	s_or_b64 exec, exec, s[26:27]
	v_or_b32_e32 v5, v9, v7
	v_or_b32_e32 v4, v8, v6
	v_pk_mul_f32 v[4:5], v[26:27], v[4:5]
	v_accvgpr_write_b32 a41, v5
	v_accvgpr_write_b32 a40, v4
	v_or_b32_e32 v5, v13, v11
	v_or_b32_e32 v4, v12, v10
	v_pk_mul_f32 v[4:5], v[26:27], v[4:5]
	v_accvgpr_write_b32 a43, v5
	v_accvgpr_write_b32 a42, v4
	s_and_saveexec_b64 s[26:27], vcc
	s_cbranch_execz .LBB233_465
; %bb.464:                              ;   in Loop: Header=BB233_386 Depth=1
	v_accvgpr_read_b32 v4, a6
	v_cmp_lt_i32_e64 s[4:5], v4, v62
	v_accvgpr_read_b32 v6, a40
	v_accvgpr_read_b32 v4, a9
	;; [unrolled: 1-line block ×3, first 2 shown]
	v_cndmask_b32_e64 v6, 0, v6, s[4:5]
	v_cmp_lt_i32_e64 s[4:5], v4, v62
	v_cndmask_b32_e64 v7, 0, v7, s[4:5]
	v_accvgpr_write_b32 a41, v7
	v_accvgpr_read_b32 v4, a8
	v_accvgpr_write_b32 a40, v6
	v_cmp_lt_i32_e64 s[4:5], v4, v62
	v_accvgpr_read_b32 v6, a42
	v_accvgpr_read_b32 v4, a7
	;; [unrolled: 1-line block ×3, first 2 shown]
	v_cndmask_b32_e64 v6, 0, v6, s[4:5]
	v_cmp_lt_i32_e64 s[4:5], v4, v62
	v_cndmask_b32_e64 v7, 0, v7, s[4:5]
	v_accvgpr_write_b32 a43, v7
	v_accvgpr_write_b32 a42, v6
.LBB233_465:                            ;   in Loop: Header=BB233_386 Depth=1
	s_or_b64 exec, exec, s[26:27]
	flat_load_dword v4, v[24:25] offset:768
	v_pk_mov_b32 v[8:9], 0, 0
	v_pk_mov_b32 v[6:7], v[8:9], v[8:9] op_sel:[0,1]
	s_waitcnt vmcnt(0) lgkmcnt(0)
	v_cmp_ne_u16_sdwa s[4:5], v4, v49 src0_sel:BYTE_0 src1_sel:DWORD
	s_and_saveexec_b64 s[26:27], s[4:5]
	s_cbranch_execz .LBB233_471
; %bb.466:                              ;   in Loop: Header=BB233_386 Depth=1
	v_bfrev_b32_e32 v6, 1
	v_cmp_ne_u16_sdwa s[4:5], v4, s7 src0_sel:BYTE_0 src1_sel:DWORD
	v_mov_b32_e32 v7, 0
	s_and_saveexec_b64 s[28:29], s[4:5]
	s_cbranch_execz .LBB233_470
; %bb.467:                              ;   in Loop: Header=BB233_386 Depth=1
	v_and_b32_e32 v5, 0x7f, v4
	v_mov_b32_e32 v6, 0x7f800001
	v_cmp_ne_u32_e64 s[4:5], s15, v5
	v_mov_b32_e32 v7, 0
	s_and_saveexec_b64 s[30:31], s[4:5]
	s_cbranch_execz .LBB233_469
; %bb.468:                              ;   in Loop: Header=BB233_386 Depth=1
	v_and_b32_e32 v10, 7, v4
	v_ffbh_u32_e32 v6, v10
	v_min_u32_e32 v12, 32, v6
	v_subrev_u32_e32 v6, 28, v12
	v_lshlrev_b64 v[6:7], v6, v[4:5]
	v_lshrrev_b32_e32 v11, 3, v5
	v_sub_u32_e32 v7, 29, v12
	v_and_b32_e32 v6, 7, v6
	v_cmp_gt_u32_e64 s[4:5], 8, v5
	v_cndmask_b32_e64 v5, v11, v7, s[4:5]
	v_cndmask_b32_e64 v6, v10, v6, s[4:5]
	v_bfrev_b32_e32 v10, 60
	v_lshlrev_b32_e32 v6, 20, v6
	v_and_b32_sdwa v7, sext(v4), s13 dst_sel:DWORD dst_unused:UNUSED_PAD src0_sel:BYTE_0 src1_sel:DWORD
	v_lshl_add_u32 v5, v5, 23, v10
	v_or3_b32 v48, v7, v5, v6
	v_pk_mov_b32 v[6:7], v[48:49], v[48:49] op_sel:[0,1]
.LBB233_469:                            ;   in Loop: Header=BB233_386 Depth=1
	s_or_b64 exec, exec, s[30:31]
.LBB233_470:                            ;   in Loop: Header=BB233_386 Depth=1
	s_or_b64 exec, exec, s[28:29]
.LBB233_471:                            ;   in Loop: Header=BB233_386 Depth=1
	s_or_b64 exec, exec, s[26:27]
	v_cmp_ne_u16_sdwa s[4:5], v4, v49 src0_sel:BYTE_1 src1_sel:DWORD
	s_and_saveexec_b64 s[26:27], s[4:5]
	s_cbranch_execz .LBB233_477
; %bb.472:                              ;   in Loop: Header=BB233_386 Depth=1
	v_cmp_ne_u16_sdwa s[4:5], v4, s7 src0_sel:BYTE_1 src1_sel:DWORD
	v_pk_mov_b32 v[8:9], s[12:13], s[12:13] op_sel:[0,1]
	s_and_saveexec_b64 s[28:29], s[4:5]
	s_cbranch_execz .LBB233_476
; %bb.473:                              ;   in Loop: Header=BB233_386 Depth=1
	v_and_b32_sdwa v5, v4, s15 dst_sel:DWORD dst_unused:UNUSED_PAD src0_sel:BYTE_1 src1_sel:DWORD
	s_mov_b32 s22, s12
	v_cmp_ne_u32_e64 s[4:5], s15, v5
	v_pk_mov_b32 v[8:9], s[22:23], s[22:23] op_sel:[0,1]
	s_and_saveexec_b64 s[30:31], s[4:5]
	s_cbranch_execz .LBB233_475
; %bb.474:                              ;   in Loop: Header=BB233_386 Depth=1
	v_mov_b32_e32 v8, 7
	v_and_b32_sdwa v48, v4, v8 dst_sel:DWORD dst_unused:UNUSED_PAD src0_sel:BYTE_1 src1_sel:DWORD
	v_ffbh_u32_e32 v8, v48
	v_min_u32_e32 v11, 32, v8
	v_subrev_u32_e32 v8, 28, v11
	v_lshlrev_b64 v[8:9], v8, v[48:49]
	v_lshrrev_b32_e32 v10, 3, v5
	v_sub_u32_e32 v9, 29, v11
	v_cmp_gt_u32_e64 s[4:5], 8, v5
	v_and_b32_e32 v8, 7, v8
	v_cndmask_b32_e64 v5, v10, v9, s[4:5]
	v_bfrev_b32_e32 v10, 60
	v_cndmask_b32_e64 v8, v48, v8, s[4:5]
	v_lshlrev_b32_e32 v9, 16, v4
	v_lshl_add_u32 v5, v5, 23, v10
	v_and_or_b32 v5, v9, s13, v5
	v_lshlrev_b32_e32 v8, 20, v8
	v_or_b32_e32 v9, v5, v8
	v_mov_b32_e32 v8, v49
.LBB233_475:                            ;   in Loop: Header=BB233_386 Depth=1
	s_or_b64 exec, exec, s[30:31]
.LBB233_476:                            ;   in Loop: Header=BB233_386 Depth=1
	s_or_b64 exec, exec, s[28:29]
.LBB233_477:                            ;   in Loop: Header=BB233_386 Depth=1
	s_or_b64 exec, exec, s[26:27]
	v_lshrrev_b32_e32 v16, 16, v4
	v_pk_mov_b32 v[12:13], 0, 0
	v_cmp_ne_u16_sdwa s[4:5], v16, v49 src0_sel:BYTE_0 src1_sel:DWORD
	v_pk_mov_b32 v[10:11], v[12:13], v[12:13] op_sel:[0,1]
	s_and_saveexec_b64 s[26:27], s[4:5]
	s_cbranch_execz .LBB233_483
; %bb.478:                              ;   in Loop: Header=BB233_386 Depth=1
	v_bfrev_b32_e32 v10, 1
	v_cmp_ne_u16_sdwa s[4:5], v16, s7 src0_sel:BYTE_0 src1_sel:DWORD
	v_mov_b32_e32 v11, 0
	s_and_saveexec_b64 s[28:29], s[4:5]
	s_cbranch_execz .LBB233_482
; %bb.479:                              ;   in Loop: Header=BB233_386 Depth=1
	v_bfe_u32 v5, v4, 16, 7
	v_mov_b32_e32 v10, 0x7f800001
	v_cmp_ne_u32_e64 s[4:5], s15, v5
	v_mov_b32_e32 v11, 0
	s_and_saveexec_b64 s[30:31], s[4:5]
	s_cbranch_execz .LBB233_481
; %bb.480:                              ;   in Loop: Header=BB233_386 Depth=1
	v_and_b32_e32 v17, 7, v16
	v_ffbh_u32_e32 v10, v17
	v_min_u32_e32 v19, 32, v10
	v_subrev_u32_e32 v10, 28, v19
	v_lshlrev_b64 v[10:11], v10, v[16:17]
	v_lshrrev_b32_e32 v18, 3, v5
	v_sub_u32_e32 v11, 29, v19
	v_and_b32_e32 v10, 7, v10
	v_cmp_gt_u32_e64 s[4:5], 8, v5
	v_cndmask_b32_e64 v5, v18, v11, s[4:5]
	v_cndmask_b32_e64 v10, v17, v10, s[4:5]
	v_and_b32_sdwa v11, sext(v16), s13 dst_sel:DWORD dst_unused:UNUSED_PAD src0_sel:BYTE_0 src1_sel:DWORD
	v_bfrev_b32_e32 v16, 60
	v_lshlrev_b32_e32 v10, 20, v10
	v_lshl_add_u32 v5, v5, 23, v16
	v_or3_b32 v48, v11, v5, v10
	v_pk_mov_b32 v[10:11], v[48:49], v[48:49] op_sel:[0,1]
.LBB233_481:                            ;   in Loop: Header=BB233_386 Depth=1
	s_or_b64 exec, exec, s[30:31]
.LBB233_482:                            ;   in Loop: Header=BB233_386 Depth=1
	s_or_b64 exec, exec, s[28:29]
.LBB233_483:                            ;   in Loop: Header=BB233_386 Depth=1
	s_or_b64 exec, exec, s[26:27]
	v_cmp_lt_u32_e64 s[4:5], s34, v4
	s_and_saveexec_b64 s[26:27], s[4:5]
	s_cbranch_execz .LBB233_489
; %bb.484:                              ;   in Loop: Header=BB233_386 Depth=1
	v_cmp_ne_u32_sdwa s[4:5], v4, s7 src0_sel:BYTE_3 src1_sel:DWORD
	v_pk_mov_b32 v[12:13], s[12:13], s[12:13] op_sel:[0,1]
	s_and_saveexec_b64 s[28:29], s[4:5]
	s_cbranch_execz .LBB233_488
; %bb.485:                              ;   in Loop: Header=BB233_386 Depth=1
	v_bfe_u32 v5, v4, 24, 7
	s_mov_b32 s22, s12
	v_cmp_ne_u32_e64 s[4:5], s15, v5
	v_pk_mov_b32 v[12:13], s[22:23], s[22:23] op_sel:[0,1]
	s_and_saveexec_b64 s[30:31], s[4:5]
	s_cbranch_execz .LBB233_487
; %bb.486:                              ;   in Loop: Header=BB233_386 Depth=1
	v_mov_b32_e32 v12, 7
	v_and_b32_sdwa v48, v4, v12 dst_sel:DWORD dst_unused:UNUSED_PAD src0_sel:BYTE_3 src1_sel:DWORD
	v_ffbh_u32_e32 v12, v48
	v_min_u32_e32 v17, 32, v12
	v_subrev_u32_e32 v12, 28, v17
	v_lshlrev_b64 v[12:13], v12, v[48:49]
	v_lshrrev_b32_e32 v16, 3, v5
	v_sub_u32_e32 v13, 29, v17
	v_cmp_gt_u32_e64 s[4:5], 8, v5
	v_cndmask_b32_e64 v5, v16, v13, s[4:5]
	v_mov_b32_e32 v13, 24
	v_and_b32_e32 v12, 7, v12
	v_lshlrev_b32_sdwa v4, v13, v4 dst_sel:DWORD dst_unused:UNUSED_PAD src0_sel:DWORD src1_sel:BYTE_3
	v_bfrev_b32_e32 v13, 60
	v_cndmask_b32_e64 v12, v48, v12, s[4:5]
	v_lshl_add_u32 v5, v5, 23, v13
	v_and_or_b32 v4, v4, s13, v5
	v_lshlrev_b32_e32 v5, 20, v12
	v_or_b32_e32 v13, v4, v5
	v_mov_b32_e32 v12, v49
.LBB233_487:                            ;   in Loop: Header=BB233_386 Depth=1
	s_or_b64 exec, exec, s[30:31]
.LBB233_488:                            ;   in Loop: Header=BB233_386 Depth=1
	s_or_b64 exec, exec, s[28:29]
.LBB233_489:                            ;   in Loop: Header=BB233_386 Depth=1
	s_or_b64 exec, exec, s[26:27]
	v_or_b32_e32 v5, v9, v7
	v_or_b32_e32 v4, v8, v6
	v_pk_mul_f32 v[4:5], v[26:27], v[4:5]
	v_accvgpr_write_b32 a45, v5
	v_accvgpr_write_b32 a44, v4
	v_or_b32_e32 v5, v13, v11
	v_or_b32_e32 v4, v12, v10
	v_pk_mul_f32 v[54:55], v[26:27], v[4:5]
	s_and_saveexec_b64 s[26:27], vcc
	s_cbranch_execz .LBB233_491
; %bb.490:                              ;   in Loop: Header=BB233_386 Depth=1
	v_accvgpr_read_b32 v4, a6
	v_cmp_lt_i32_e64 s[4:5], v4, v62
	v_accvgpr_read_b32 v6, a44
	v_accvgpr_read_b32 v4, a9
	;; [unrolled: 1-line block ×3, first 2 shown]
	v_cndmask_b32_e64 v6, 0, v6, s[4:5]
	v_cmp_lt_i32_e64 s[4:5], v4, v62
	v_accvgpr_read_b32 v4, a8
	v_cndmask_b32_e64 v7, 0, v7, s[4:5]
	v_cmp_lt_i32_e64 s[4:5], v4, v62
	v_accvgpr_read_b32 v4, a7
	v_accvgpr_write_b32 a45, v7
	v_cndmask_b32_e64 v54, 0, v54, s[4:5]
	v_cmp_lt_i32_e64 s[4:5], v4, v62
	v_accvgpr_write_b32 a44, v6
	v_cndmask_b32_e64 v55, 0, v55, s[4:5]
.LBB233_491:                            ;   in Loop: Header=BB233_386 Depth=1
	s_or_b64 exec, exec, s[26:27]
	flat_load_dword v4, v[24:25] offset:1024
	v_pk_mov_b32 v[8:9], 0, 0
	v_pk_mov_b32 v[6:7], v[8:9], v[8:9] op_sel:[0,1]
	s_waitcnt vmcnt(0) lgkmcnt(0)
	v_cmp_ne_u16_sdwa s[4:5], v4, v49 src0_sel:BYTE_0 src1_sel:DWORD
	s_and_saveexec_b64 s[26:27], s[4:5]
	s_cbranch_execz .LBB233_497
; %bb.492:                              ;   in Loop: Header=BB233_386 Depth=1
	v_bfrev_b32_e32 v6, 1
	v_cmp_ne_u16_sdwa s[4:5], v4, s7 src0_sel:BYTE_0 src1_sel:DWORD
	v_mov_b32_e32 v7, 0
	s_and_saveexec_b64 s[28:29], s[4:5]
	s_cbranch_execz .LBB233_496
; %bb.493:                              ;   in Loop: Header=BB233_386 Depth=1
	v_and_b32_e32 v5, 0x7f, v4
	v_mov_b32_e32 v6, 0x7f800001
	v_cmp_ne_u32_e64 s[4:5], s15, v5
	v_mov_b32_e32 v7, 0
	s_and_saveexec_b64 s[30:31], s[4:5]
	s_cbranch_execz .LBB233_495
; %bb.494:                              ;   in Loop: Header=BB233_386 Depth=1
	v_and_b32_e32 v10, 7, v4
	v_ffbh_u32_e32 v6, v10
	v_min_u32_e32 v12, 32, v6
	v_subrev_u32_e32 v6, 28, v12
	v_lshlrev_b64 v[6:7], v6, v[4:5]
	v_lshrrev_b32_e32 v11, 3, v5
	v_sub_u32_e32 v7, 29, v12
	v_and_b32_e32 v6, 7, v6
	v_cmp_gt_u32_e64 s[4:5], 8, v5
	v_cndmask_b32_e64 v5, v11, v7, s[4:5]
	v_cndmask_b32_e64 v6, v10, v6, s[4:5]
	v_bfrev_b32_e32 v10, 60
	v_lshlrev_b32_e32 v6, 20, v6
	v_and_b32_sdwa v7, sext(v4), s13 dst_sel:DWORD dst_unused:UNUSED_PAD src0_sel:BYTE_0 src1_sel:DWORD
	v_lshl_add_u32 v5, v5, 23, v10
	v_or3_b32 v48, v7, v5, v6
	v_pk_mov_b32 v[6:7], v[48:49], v[48:49] op_sel:[0,1]
.LBB233_495:                            ;   in Loop: Header=BB233_386 Depth=1
	s_or_b64 exec, exec, s[30:31]
.LBB233_496:                            ;   in Loop: Header=BB233_386 Depth=1
	s_or_b64 exec, exec, s[28:29]
.LBB233_497:                            ;   in Loop: Header=BB233_386 Depth=1
	s_or_b64 exec, exec, s[26:27]
	v_cmp_ne_u16_sdwa s[4:5], v4, v49 src0_sel:BYTE_1 src1_sel:DWORD
	s_and_saveexec_b64 s[26:27], s[4:5]
	s_cbranch_execz .LBB233_503
; %bb.498:                              ;   in Loop: Header=BB233_386 Depth=1
	v_cmp_ne_u16_sdwa s[4:5], v4, s7 src0_sel:BYTE_1 src1_sel:DWORD
	v_pk_mov_b32 v[8:9], s[12:13], s[12:13] op_sel:[0,1]
	s_and_saveexec_b64 s[28:29], s[4:5]
	s_cbranch_execz .LBB233_502
; %bb.499:                              ;   in Loop: Header=BB233_386 Depth=1
	v_and_b32_sdwa v5, v4, s15 dst_sel:DWORD dst_unused:UNUSED_PAD src0_sel:BYTE_1 src1_sel:DWORD
	s_mov_b32 s22, s12
	v_cmp_ne_u32_e64 s[4:5], s15, v5
	v_pk_mov_b32 v[8:9], s[22:23], s[22:23] op_sel:[0,1]
	s_and_saveexec_b64 s[30:31], s[4:5]
	s_cbranch_execz .LBB233_501
; %bb.500:                              ;   in Loop: Header=BB233_386 Depth=1
	v_mov_b32_e32 v8, 7
	v_and_b32_sdwa v48, v4, v8 dst_sel:DWORD dst_unused:UNUSED_PAD src0_sel:BYTE_1 src1_sel:DWORD
	v_ffbh_u32_e32 v8, v48
	v_min_u32_e32 v11, 32, v8
	v_subrev_u32_e32 v8, 28, v11
	v_lshlrev_b64 v[8:9], v8, v[48:49]
	v_lshrrev_b32_e32 v10, 3, v5
	v_sub_u32_e32 v9, 29, v11
	v_cmp_gt_u32_e64 s[4:5], 8, v5
	v_and_b32_e32 v8, 7, v8
	v_cndmask_b32_e64 v5, v10, v9, s[4:5]
	v_bfrev_b32_e32 v10, 60
	v_cndmask_b32_e64 v8, v48, v8, s[4:5]
	v_lshlrev_b32_e32 v9, 16, v4
	v_lshl_add_u32 v5, v5, 23, v10
	v_and_or_b32 v5, v9, s13, v5
	v_lshlrev_b32_e32 v8, 20, v8
	v_or_b32_e32 v9, v5, v8
	v_mov_b32_e32 v8, v49
.LBB233_501:                            ;   in Loop: Header=BB233_386 Depth=1
	s_or_b64 exec, exec, s[30:31]
.LBB233_502:                            ;   in Loop: Header=BB233_386 Depth=1
	s_or_b64 exec, exec, s[28:29]
.LBB233_503:                            ;   in Loop: Header=BB233_386 Depth=1
	s_or_b64 exec, exec, s[26:27]
	v_lshrrev_b32_e32 v16, 16, v4
	v_pk_mov_b32 v[12:13], 0, 0
	v_cmp_ne_u16_sdwa s[4:5], v16, v49 src0_sel:BYTE_0 src1_sel:DWORD
	v_pk_mov_b32 v[10:11], v[12:13], v[12:13] op_sel:[0,1]
	s_and_saveexec_b64 s[26:27], s[4:5]
	s_cbranch_execz .LBB233_509
; %bb.504:                              ;   in Loop: Header=BB233_386 Depth=1
	v_bfrev_b32_e32 v10, 1
	v_cmp_ne_u16_sdwa s[4:5], v16, s7 src0_sel:BYTE_0 src1_sel:DWORD
	v_mov_b32_e32 v11, 0
	s_and_saveexec_b64 s[28:29], s[4:5]
	s_cbranch_execz .LBB233_508
; %bb.505:                              ;   in Loop: Header=BB233_386 Depth=1
	v_bfe_u32 v5, v4, 16, 7
	v_mov_b32_e32 v10, 0x7f800001
	v_cmp_ne_u32_e64 s[4:5], s15, v5
	v_mov_b32_e32 v11, 0
	s_and_saveexec_b64 s[30:31], s[4:5]
	s_cbranch_execz .LBB233_507
; %bb.506:                              ;   in Loop: Header=BB233_386 Depth=1
	v_and_b32_e32 v17, 7, v16
	v_ffbh_u32_e32 v10, v17
	v_min_u32_e32 v19, 32, v10
	v_subrev_u32_e32 v10, 28, v19
	v_lshlrev_b64 v[10:11], v10, v[16:17]
	v_lshrrev_b32_e32 v18, 3, v5
	v_sub_u32_e32 v11, 29, v19
	v_and_b32_e32 v10, 7, v10
	v_cmp_gt_u32_e64 s[4:5], 8, v5
	v_cndmask_b32_e64 v5, v18, v11, s[4:5]
	v_cndmask_b32_e64 v10, v17, v10, s[4:5]
	v_and_b32_sdwa v11, sext(v16), s13 dst_sel:DWORD dst_unused:UNUSED_PAD src0_sel:BYTE_0 src1_sel:DWORD
	v_bfrev_b32_e32 v16, 60
	v_lshlrev_b32_e32 v10, 20, v10
	v_lshl_add_u32 v5, v5, 23, v16
	v_or3_b32 v48, v11, v5, v10
	v_pk_mov_b32 v[10:11], v[48:49], v[48:49] op_sel:[0,1]
.LBB233_507:                            ;   in Loop: Header=BB233_386 Depth=1
	s_or_b64 exec, exec, s[30:31]
.LBB233_508:                            ;   in Loop: Header=BB233_386 Depth=1
	s_or_b64 exec, exec, s[28:29]
.LBB233_509:                            ;   in Loop: Header=BB233_386 Depth=1
	s_or_b64 exec, exec, s[26:27]
	v_cmp_lt_u32_e64 s[4:5], s34, v4
	s_and_saveexec_b64 s[26:27], s[4:5]
	s_cbranch_execz .LBB233_515
; %bb.510:                              ;   in Loop: Header=BB233_386 Depth=1
	v_cmp_ne_u32_sdwa s[4:5], v4, s7 src0_sel:BYTE_3 src1_sel:DWORD
	v_pk_mov_b32 v[12:13], s[12:13], s[12:13] op_sel:[0,1]
	s_and_saveexec_b64 s[28:29], s[4:5]
	s_cbranch_execz .LBB233_514
; %bb.511:                              ;   in Loop: Header=BB233_386 Depth=1
	v_bfe_u32 v5, v4, 24, 7
	s_mov_b32 s22, s12
	v_cmp_ne_u32_e64 s[4:5], s15, v5
	v_pk_mov_b32 v[12:13], s[22:23], s[22:23] op_sel:[0,1]
	s_and_saveexec_b64 s[30:31], s[4:5]
	s_cbranch_execz .LBB233_513
; %bb.512:                              ;   in Loop: Header=BB233_386 Depth=1
	v_mov_b32_e32 v12, 7
	v_and_b32_sdwa v48, v4, v12 dst_sel:DWORD dst_unused:UNUSED_PAD src0_sel:BYTE_3 src1_sel:DWORD
	v_ffbh_u32_e32 v12, v48
	v_min_u32_e32 v17, 32, v12
	v_subrev_u32_e32 v12, 28, v17
	v_lshlrev_b64 v[12:13], v12, v[48:49]
	v_lshrrev_b32_e32 v16, 3, v5
	v_sub_u32_e32 v13, 29, v17
	v_cmp_gt_u32_e64 s[4:5], 8, v5
	v_cndmask_b32_e64 v5, v16, v13, s[4:5]
	v_mov_b32_e32 v13, 24
	v_and_b32_e32 v12, 7, v12
	v_lshlrev_b32_sdwa v4, v13, v4 dst_sel:DWORD dst_unused:UNUSED_PAD src0_sel:DWORD src1_sel:BYTE_3
	v_bfrev_b32_e32 v13, 60
	v_cndmask_b32_e64 v12, v48, v12, s[4:5]
	v_lshl_add_u32 v5, v5, 23, v13
	v_and_or_b32 v4, v4, s13, v5
	v_lshlrev_b32_e32 v5, 20, v12
	v_or_b32_e32 v13, v4, v5
	v_mov_b32_e32 v12, v49
.LBB233_513:                            ;   in Loop: Header=BB233_386 Depth=1
	s_or_b64 exec, exec, s[30:31]
.LBB233_514:                            ;   in Loop: Header=BB233_386 Depth=1
	s_or_b64 exec, exec, s[28:29]
.LBB233_515:                            ;   in Loop: Header=BB233_386 Depth=1
	s_or_b64 exec, exec, s[26:27]
	v_or_b32_e32 v5, v9, v7
	v_or_b32_e32 v4, v8, v6
	v_pk_mul_f32 v[40:41], v[26:27], v[4:5]
	v_or_b32_e32 v5, v13, v11
	v_or_b32_e32 v4, v12, v10
	v_pk_mul_f32 v[42:43], v[26:27], v[4:5]
	s_and_saveexec_b64 s[26:27], vcc
	s_cbranch_execz .LBB233_517
; %bb.516:                              ;   in Loop: Header=BB233_386 Depth=1
	v_accvgpr_read_b32 v4, a6
	v_cmp_lt_i32_e64 s[4:5], v4, v62
	v_accvgpr_read_b32 v4, a9
	v_cndmask_b32_e64 v40, 0, v40, s[4:5]
	v_cmp_lt_i32_e64 s[4:5], v4, v62
	v_accvgpr_read_b32 v4, a8
	v_cndmask_b32_e64 v41, 0, v41, s[4:5]
	v_cmp_lt_i32_e64 s[4:5], v4, v62
	v_accvgpr_read_b32 v4, a7
	v_cndmask_b32_e64 v42, 0, v42, s[4:5]
	v_cmp_lt_i32_e64 s[4:5], v4, v62
	v_cndmask_b32_e64 v43, 0, v43, s[4:5]
.LBB233_517:                            ;   in Loop: Header=BB233_386 Depth=1
	s_or_b64 exec, exec, s[26:27]
	flat_load_dword v4, v[24:25] offset:1280
	v_pk_mov_b32 v[8:9], 0, 0
	v_pk_mov_b32 v[6:7], v[8:9], v[8:9] op_sel:[0,1]
	s_waitcnt vmcnt(0) lgkmcnt(0)
	v_cmp_ne_u16_sdwa s[4:5], v4, v49 src0_sel:BYTE_0 src1_sel:DWORD
	s_and_saveexec_b64 s[26:27], s[4:5]
	s_cbranch_execz .LBB233_523
; %bb.518:                              ;   in Loop: Header=BB233_386 Depth=1
	v_bfrev_b32_e32 v6, 1
	v_cmp_ne_u16_sdwa s[4:5], v4, s7 src0_sel:BYTE_0 src1_sel:DWORD
	v_mov_b32_e32 v7, 0
	s_and_saveexec_b64 s[28:29], s[4:5]
	s_cbranch_execz .LBB233_522
; %bb.519:                              ;   in Loop: Header=BB233_386 Depth=1
	v_and_b32_e32 v5, 0x7f, v4
	v_mov_b32_e32 v6, 0x7f800001
	v_cmp_ne_u32_e64 s[4:5], s15, v5
	v_mov_b32_e32 v7, 0
	s_and_saveexec_b64 s[30:31], s[4:5]
	s_cbranch_execz .LBB233_521
; %bb.520:                              ;   in Loop: Header=BB233_386 Depth=1
	v_and_b32_e32 v10, 7, v4
	v_ffbh_u32_e32 v6, v10
	v_min_u32_e32 v12, 32, v6
	v_subrev_u32_e32 v6, 28, v12
	v_lshlrev_b64 v[6:7], v6, v[4:5]
	v_lshrrev_b32_e32 v11, 3, v5
	v_sub_u32_e32 v7, 29, v12
	v_and_b32_e32 v6, 7, v6
	v_cmp_gt_u32_e64 s[4:5], 8, v5
	v_cndmask_b32_e64 v5, v11, v7, s[4:5]
	v_cndmask_b32_e64 v6, v10, v6, s[4:5]
	v_bfrev_b32_e32 v10, 60
	v_lshlrev_b32_e32 v6, 20, v6
	v_and_b32_sdwa v7, sext(v4), s13 dst_sel:DWORD dst_unused:UNUSED_PAD src0_sel:BYTE_0 src1_sel:DWORD
	v_lshl_add_u32 v5, v5, 23, v10
	v_or3_b32 v48, v7, v5, v6
	v_pk_mov_b32 v[6:7], v[48:49], v[48:49] op_sel:[0,1]
.LBB233_521:                            ;   in Loop: Header=BB233_386 Depth=1
	s_or_b64 exec, exec, s[30:31]
.LBB233_522:                            ;   in Loop: Header=BB233_386 Depth=1
	s_or_b64 exec, exec, s[28:29]
.LBB233_523:                            ;   in Loop: Header=BB233_386 Depth=1
	s_or_b64 exec, exec, s[26:27]
	v_cmp_ne_u16_sdwa s[4:5], v4, v49 src0_sel:BYTE_1 src1_sel:DWORD
	s_and_saveexec_b64 s[26:27], s[4:5]
	s_cbranch_execz .LBB233_529
; %bb.524:                              ;   in Loop: Header=BB233_386 Depth=1
	v_cmp_ne_u16_sdwa s[4:5], v4, s7 src0_sel:BYTE_1 src1_sel:DWORD
	v_pk_mov_b32 v[8:9], s[12:13], s[12:13] op_sel:[0,1]
	s_and_saveexec_b64 s[28:29], s[4:5]
	s_cbranch_execz .LBB233_528
; %bb.525:                              ;   in Loop: Header=BB233_386 Depth=1
	v_and_b32_sdwa v5, v4, s15 dst_sel:DWORD dst_unused:UNUSED_PAD src0_sel:BYTE_1 src1_sel:DWORD
	s_mov_b32 s22, s12
	v_cmp_ne_u32_e64 s[4:5], s15, v5
	v_pk_mov_b32 v[8:9], s[22:23], s[22:23] op_sel:[0,1]
	s_and_saveexec_b64 s[30:31], s[4:5]
	s_cbranch_execz .LBB233_527
; %bb.526:                              ;   in Loop: Header=BB233_386 Depth=1
	v_mov_b32_e32 v8, 7
	v_and_b32_sdwa v48, v4, v8 dst_sel:DWORD dst_unused:UNUSED_PAD src0_sel:BYTE_1 src1_sel:DWORD
	v_ffbh_u32_e32 v8, v48
	v_min_u32_e32 v11, 32, v8
	v_subrev_u32_e32 v8, 28, v11
	v_lshlrev_b64 v[8:9], v8, v[48:49]
	v_lshrrev_b32_e32 v10, 3, v5
	v_sub_u32_e32 v9, 29, v11
	v_cmp_gt_u32_e64 s[4:5], 8, v5
	v_and_b32_e32 v8, 7, v8
	v_cndmask_b32_e64 v5, v10, v9, s[4:5]
	v_bfrev_b32_e32 v10, 60
	v_cndmask_b32_e64 v8, v48, v8, s[4:5]
	v_lshlrev_b32_e32 v9, 16, v4
	v_lshl_add_u32 v5, v5, 23, v10
	v_and_or_b32 v5, v9, s13, v5
	v_lshlrev_b32_e32 v8, 20, v8
	v_or_b32_e32 v9, v5, v8
	v_mov_b32_e32 v8, v49
.LBB233_527:                            ;   in Loop: Header=BB233_386 Depth=1
	s_or_b64 exec, exec, s[30:31]
.LBB233_528:                            ;   in Loop: Header=BB233_386 Depth=1
	s_or_b64 exec, exec, s[28:29]
.LBB233_529:                            ;   in Loop: Header=BB233_386 Depth=1
	s_or_b64 exec, exec, s[26:27]
	v_lshrrev_b32_e32 v16, 16, v4
	v_pk_mov_b32 v[12:13], 0, 0
	v_cmp_ne_u16_sdwa s[4:5], v16, v49 src0_sel:BYTE_0 src1_sel:DWORD
	v_pk_mov_b32 v[10:11], v[12:13], v[12:13] op_sel:[0,1]
	s_and_saveexec_b64 s[26:27], s[4:5]
	s_cbranch_execz .LBB233_535
; %bb.530:                              ;   in Loop: Header=BB233_386 Depth=1
	v_bfrev_b32_e32 v10, 1
	v_cmp_ne_u16_sdwa s[4:5], v16, s7 src0_sel:BYTE_0 src1_sel:DWORD
	v_mov_b32_e32 v11, 0
	s_and_saveexec_b64 s[28:29], s[4:5]
	s_cbranch_execz .LBB233_534
; %bb.531:                              ;   in Loop: Header=BB233_386 Depth=1
	v_bfe_u32 v5, v4, 16, 7
	v_mov_b32_e32 v10, 0x7f800001
	v_cmp_ne_u32_e64 s[4:5], s15, v5
	v_mov_b32_e32 v11, 0
	s_and_saveexec_b64 s[30:31], s[4:5]
	s_cbranch_execz .LBB233_533
; %bb.532:                              ;   in Loop: Header=BB233_386 Depth=1
	v_and_b32_e32 v17, 7, v16
	v_ffbh_u32_e32 v10, v17
	v_min_u32_e32 v19, 32, v10
	v_subrev_u32_e32 v10, 28, v19
	v_lshlrev_b64 v[10:11], v10, v[16:17]
	v_lshrrev_b32_e32 v18, 3, v5
	v_sub_u32_e32 v11, 29, v19
	v_and_b32_e32 v10, 7, v10
	v_cmp_gt_u32_e64 s[4:5], 8, v5
	v_cndmask_b32_e64 v5, v18, v11, s[4:5]
	v_cndmask_b32_e64 v10, v17, v10, s[4:5]
	v_and_b32_sdwa v11, sext(v16), s13 dst_sel:DWORD dst_unused:UNUSED_PAD src0_sel:BYTE_0 src1_sel:DWORD
	v_bfrev_b32_e32 v16, 60
	v_lshlrev_b32_e32 v10, 20, v10
	v_lshl_add_u32 v5, v5, 23, v16
	v_or3_b32 v48, v11, v5, v10
	v_pk_mov_b32 v[10:11], v[48:49], v[48:49] op_sel:[0,1]
.LBB233_533:                            ;   in Loop: Header=BB233_386 Depth=1
	s_or_b64 exec, exec, s[30:31]
.LBB233_534:                            ;   in Loop: Header=BB233_386 Depth=1
	s_or_b64 exec, exec, s[28:29]
.LBB233_535:                            ;   in Loop: Header=BB233_386 Depth=1
	s_or_b64 exec, exec, s[26:27]
	v_cmp_lt_u32_e64 s[4:5], s34, v4
	s_and_saveexec_b64 s[26:27], s[4:5]
	s_cbranch_execz .LBB233_541
; %bb.536:                              ;   in Loop: Header=BB233_386 Depth=1
	v_cmp_ne_u32_sdwa s[4:5], v4, s7 src0_sel:BYTE_3 src1_sel:DWORD
	v_pk_mov_b32 v[12:13], s[12:13], s[12:13] op_sel:[0,1]
	s_and_saveexec_b64 s[28:29], s[4:5]
	s_cbranch_execz .LBB233_540
; %bb.537:                              ;   in Loop: Header=BB233_386 Depth=1
	v_bfe_u32 v5, v4, 24, 7
	s_mov_b32 s22, s12
	v_cmp_ne_u32_e64 s[4:5], s15, v5
	v_pk_mov_b32 v[12:13], s[22:23], s[22:23] op_sel:[0,1]
	s_and_saveexec_b64 s[30:31], s[4:5]
	s_cbranch_execz .LBB233_539
; %bb.538:                              ;   in Loop: Header=BB233_386 Depth=1
	v_mov_b32_e32 v12, 7
	v_and_b32_sdwa v48, v4, v12 dst_sel:DWORD dst_unused:UNUSED_PAD src0_sel:BYTE_3 src1_sel:DWORD
	v_ffbh_u32_e32 v12, v48
	v_min_u32_e32 v17, 32, v12
	v_subrev_u32_e32 v12, 28, v17
	v_lshlrev_b64 v[12:13], v12, v[48:49]
	v_lshrrev_b32_e32 v16, 3, v5
	v_sub_u32_e32 v13, 29, v17
	v_cmp_gt_u32_e64 s[4:5], 8, v5
	v_cndmask_b32_e64 v5, v16, v13, s[4:5]
	v_mov_b32_e32 v13, 24
	v_and_b32_e32 v12, 7, v12
	v_lshlrev_b32_sdwa v4, v13, v4 dst_sel:DWORD dst_unused:UNUSED_PAD src0_sel:DWORD src1_sel:BYTE_3
	v_bfrev_b32_e32 v13, 60
	v_cndmask_b32_e64 v12, v48, v12, s[4:5]
	v_lshl_add_u32 v5, v5, 23, v13
	v_and_or_b32 v4, v4, s13, v5
	v_lshlrev_b32_e32 v5, 20, v12
	v_or_b32_e32 v13, v4, v5
	v_mov_b32_e32 v12, v49
.LBB233_539:                            ;   in Loop: Header=BB233_386 Depth=1
	s_or_b64 exec, exec, s[30:31]
.LBB233_540:                            ;   in Loop: Header=BB233_386 Depth=1
	s_or_b64 exec, exec, s[28:29]
.LBB233_541:                            ;   in Loop: Header=BB233_386 Depth=1
	s_or_b64 exec, exec, s[26:27]
	v_or_b32_e32 v5, v9, v7
	v_or_b32_e32 v4, v8, v6
	v_pk_mul_f32 v[44:45], v[26:27], v[4:5]
	v_or_b32_e32 v5, v13, v11
	v_or_b32_e32 v4, v12, v10
	v_pk_mul_f32 v[46:47], v[26:27], v[4:5]
	s_and_saveexec_b64 s[26:27], vcc
	s_cbranch_execz .LBB233_543
; %bb.542:                              ;   in Loop: Header=BB233_386 Depth=1
	v_accvgpr_read_b32 v4, a6
	v_cmp_lt_i32_e64 s[4:5], v4, v62
	v_accvgpr_read_b32 v4, a9
	v_cndmask_b32_e64 v44, 0, v44, s[4:5]
	v_cmp_lt_i32_e64 s[4:5], v4, v62
	v_accvgpr_read_b32 v4, a8
	v_cndmask_b32_e64 v45, 0, v45, s[4:5]
	;; [unrolled: 3-line block ×3, first 2 shown]
	v_cmp_lt_i32_e64 s[4:5], v4, v62
	v_cndmask_b32_e64 v47, 0, v47, s[4:5]
.LBB233_543:                            ;   in Loop: Header=BB233_386 Depth=1
	s_or_b64 exec, exec, s[26:27]
	flat_load_dword v4, v[24:25] offset:1536
	v_pk_mov_b32 v[8:9], 0, 0
	v_pk_mov_b32 v[6:7], v[8:9], v[8:9] op_sel:[0,1]
	s_waitcnt vmcnt(0) lgkmcnt(0)
	v_cmp_ne_u16_sdwa s[4:5], v4, v49 src0_sel:BYTE_0 src1_sel:DWORD
	s_and_saveexec_b64 s[26:27], s[4:5]
	s_cbranch_execz .LBB233_549
; %bb.544:                              ;   in Loop: Header=BB233_386 Depth=1
	v_bfrev_b32_e32 v6, 1
	v_cmp_ne_u16_sdwa s[4:5], v4, s7 src0_sel:BYTE_0 src1_sel:DWORD
	v_mov_b32_e32 v7, 0
	s_and_saveexec_b64 s[28:29], s[4:5]
	s_cbranch_execz .LBB233_548
; %bb.545:                              ;   in Loop: Header=BB233_386 Depth=1
	v_and_b32_e32 v5, 0x7f, v4
	v_mov_b32_e32 v6, 0x7f800001
	v_cmp_ne_u32_e64 s[4:5], s15, v5
	v_mov_b32_e32 v7, 0
	s_and_saveexec_b64 s[30:31], s[4:5]
	s_cbranch_execz .LBB233_547
; %bb.546:                              ;   in Loop: Header=BB233_386 Depth=1
	v_and_b32_e32 v10, 7, v4
	v_ffbh_u32_e32 v6, v10
	v_min_u32_e32 v12, 32, v6
	v_subrev_u32_e32 v6, 28, v12
	v_lshlrev_b64 v[6:7], v6, v[4:5]
	v_lshrrev_b32_e32 v11, 3, v5
	v_sub_u32_e32 v7, 29, v12
	v_and_b32_e32 v6, 7, v6
	v_cmp_gt_u32_e64 s[4:5], 8, v5
	v_cndmask_b32_e64 v5, v11, v7, s[4:5]
	v_cndmask_b32_e64 v6, v10, v6, s[4:5]
	v_bfrev_b32_e32 v10, 60
	v_lshlrev_b32_e32 v6, 20, v6
	v_and_b32_sdwa v7, sext(v4), s13 dst_sel:DWORD dst_unused:UNUSED_PAD src0_sel:BYTE_0 src1_sel:DWORD
	v_lshl_add_u32 v5, v5, 23, v10
	v_or3_b32 v48, v7, v5, v6
	v_pk_mov_b32 v[6:7], v[48:49], v[48:49] op_sel:[0,1]
.LBB233_547:                            ;   in Loop: Header=BB233_386 Depth=1
	s_or_b64 exec, exec, s[30:31]
.LBB233_548:                            ;   in Loop: Header=BB233_386 Depth=1
	s_or_b64 exec, exec, s[28:29]
.LBB233_549:                            ;   in Loop: Header=BB233_386 Depth=1
	s_or_b64 exec, exec, s[26:27]
	v_cmp_ne_u16_sdwa s[4:5], v4, v49 src0_sel:BYTE_1 src1_sel:DWORD
	s_and_saveexec_b64 s[26:27], s[4:5]
	s_cbranch_execz .LBB233_555
; %bb.550:                              ;   in Loop: Header=BB233_386 Depth=1
	v_cmp_ne_u16_sdwa s[4:5], v4, s7 src0_sel:BYTE_1 src1_sel:DWORD
	v_pk_mov_b32 v[8:9], s[12:13], s[12:13] op_sel:[0,1]
	s_and_saveexec_b64 s[28:29], s[4:5]
	s_cbranch_execz .LBB233_554
; %bb.551:                              ;   in Loop: Header=BB233_386 Depth=1
	v_and_b32_sdwa v5, v4, s15 dst_sel:DWORD dst_unused:UNUSED_PAD src0_sel:BYTE_1 src1_sel:DWORD
	s_mov_b32 s22, s12
	v_cmp_ne_u32_e64 s[4:5], s15, v5
	v_pk_mov_b32 v[8:9], s[22:23], s[22:23] op_sel:[0,1]
	s_and_saveexec_b64 s[30:31], s[4:5]
	s_cbranch_execz .LBB233_553
; %bb.552:                              ;   in Loop: Header=BB233_386 Depth=1
	v_mov_b32_e32 v8, 7
	v_and_b32_sdwa v48, v4, v8 dst_sel:DWORD dst_unused:UNUSED_PAD src0_sel:BYTE_1 src1_sel:DWORD
	v_ffbh_u32_e32 v8, v48
	v_min_u32_e32 v11, 32, v8
	v_subrev_u32_e32 v8, 28, v11
	v_lshlrev_b64 v[8:9], v8, v[48:49]
	v_lshrrev_b32_e32 v10, 3, v5
	v_sub_u32_e32 v9, 29, v11
	v_cmp_gt_u32_e64 s[4:5], 8, v5
	v_and_b32_e32 v8, 7, v8
	v_cndmask_b32_e64 v5, v10, v9, s[4:5]
	v_bfrev_b32_e32 v10, 60
	v_cndmask_b32_e64 v8, v48, v8, s[4:5]
	v_lshlrev_b32_e32 v9, 16, v4
	v_lshl_add_u32 v5, v5, 23, v10
	v_and_or_b32 v5, v9, s13, v5
	v_lshlrev_b32_e32 v8, 20, v8
	v_or_b32_e32 v9, v5, v8
	v_mov_b32_e32 v8, v49
.LBB233_553:                            ;   in Loop: Header=BB233_386 Depth=1
	s_or_b64 exec, exec, s[30:31]
.LBB233_554:                            ;   in Loop: Header=BB233_386 Depth=1
	s_or_b64 exec, exec, s[28:29]
.LBB233_555:                            ;   in Loop: Header=BB233_386 Depth=1
	s_or_b64 exec, exec, s[26:27]
	v_lshrrev_b32_e32 v16, 16, v4
	v_pk_mov_b32 v[12:13], 0, 0
	v_cmp_ne_u16_sdwa s[4:5], v16, v49 src0_sel:BYTE_0 src1_sel:DWORD
	v_pk_mov_b32 v[10:11], v[12:13], v[12:13] op_sel:[0,1]
	s_and_saveexec_b64 s[26:27], s[4:5]
	s_cbranch_execz .LBB233_561
; %bb.556:                              ;   in Loop: Header=BB233_386 Depth=1
	v_bfrev_b32_e32 v10, 1
	v_cmp_ne_u16_sdwa s[4:5], v16, s7 src0_sel:BYTE_0 src1_sel:DWORD
	v_mov_b32_e32 v11, 0
	s_and_saveexec_b64 s[28:29], s[4:5]
	s_cbranch_execz .LBB233_560
; %bb.557:                              ;   in Loop: Header=BB233_386 Depth=1
	v_bfe_u32 v5, v4, 16, 7
	v_mov_b32_e32 v10, 0x7f800001
	v_cmp_ne_u32_e64 s[4:5], s15, v5
	v_mov_b32_e32 v11, 0
	s_and_saveexec_b64 s[30:31], s[4:5]
	s_cbranch_execz .LBB233_559
; %bb.558:                              ;   in Loop: Header=BB233_386 Depth=1
	v_and_b32_e32 v17, 7, v16
	v_ffbh_u32_e32 v10, v17
	v_min_u32_e32 v19, 32, v10
	v_subrev_u32_e32 v10, 28, v19
	v_lshlrev_b64 v[10:11], v10, v[16:17]
	v_lshrrev_b32_e32 v18, 3, v5
	v_sub_u32_e32 v11, 29, v19
	v_and_b32_e32 v10, 7, v10
	v_cmp_gt_u32_e64 s[4:5], 8, v5
	v_cndmask_b32_e64 v5, v18, v11, s[4:5]
	v_cndmask_b32_e64 v10, v17, v10, s[4:5]
	v_and_b32_sdwa v11, sext(v16), s13 dst_sel:DWORD dst_unused:UNUSED_PAD src0_sel:BYTE_0 src1_sel:DWORD
	v_bfrev_b32_e32 v16, 60
	v_lshlrev_b32_e32 v10, 20, v10
	v_lshl_add_u32 v5, v5, 23, v16
	v_or3_b32 v48, v11, v5, v10
	v_pk_mov_b32 v[10:11], v[48:49], v[48:49] op_sel:[0,1]
.LBB233_559:                            ;   in Loop: Header=BB233_386 Depth=1
	s_or_b64 exec, exec, s[30:31]
.LBB233_560:                            ;   in Loop: Header=BB233_386 Depth=1
	s_or_b64 exec, exec, s[28:29]
.LBB233_561:                            ;   in Loop: Header=BB233_386 Depth=1
	s_or_b64 exec, exec, s[26:27]
	v_cmp_lt_u32_e64 s[4:5], s34, v4
	s_and_saveexec_b64 s[26:27], s[4:5]
	s_cbranch_execz .LBB233_567
; %bb.562:                              ;   in Loop: Header=BB233_386 Depth=1
	v_cmp_ne_u32_sdwa s[4:5], v4, s7 src0_sel:BYTE_3 src1_sel:DWORD
	v_pk_mov_b32 v[12:13], s[12:13], s[12:13] op_sel:[0,1]
	s_and_saveexec_b64 s[28:29], s[4:5]
	s_cbranch_execz .LBB233_566
; %bb.563:                              ;   in Loop: Header=BB233_386 Depth=1
	v_bfe_u32 v5, v4, 24, 7
	s_mov_b32 s22, s12
	v_cmp_ne_u32_e64 s[4:5], s15, v5
	v_pk_mov_b32 v[12:13], s[22:23], s[22:23] op_sel:[0,1]
	s_and_saveexec_b64 s[30:31], s[4:5]
	s_cbranch_execz .LBB233_565
; %bb.564:                              ;   in Loop: Header=BB233_386 Depth=1
	v_mov_b32_e32 v12, 7
	v_and_b32_sdwa v48, v4, v12 dst_sel:DWORD dst_unused:UNUSED_PAD src0_sel:BYTE_3 src1_sel:DWORD
	v_ffbh_u32_e32 v12, v48
	v_min_u32_e32 v17, 32, v12
	v_subrev_u32_e32 v12, 28, v17
	v_lshlrev_b64 v[12:13], v12, v[48:49]
	v_lshrrev_b32_e32 v16, 3, v5
	v_sub_u32_e32 v13, 29, v17
	v_cmp_gt_u32_e64 s[4:5], 8, v5
	v_cndmask_b32_e64 v5, v16, v13, s[4:5]
	v_mov_b32_e32 v13, 24
	v_and_b32_e32 v12, 7, v12
	v_lshlrev_b32_sdwa v4, v13, v4 dst_sel:DWORD dst_unused:UNUSED_PAD src0_sel:DWORD src1_sel:BYTE_3
	v_bfrev_b32_e32 v13, 60
	v_cndmask_b32_e64 v12, v48, v12, s[4:5]
	v_lshl_add_u32 v5, v5, 23, v13
	v_and_or_b32 v4, v4, s13, v5
	v_lshlrev_b32_e32 v5, 20, v12
	v_or_b32_e32 v13, v4, v5
	v_mov_b32_e32 v12, v49
.LBB233_565:                            ;   in Loop: Header=BB233_386 Depth=1
	s_or_b64 exec, exec, s[30:31]
.LBB233_566:                            ;   in Loop: Header=BB233_386 Depth=1
	s_or_b64 exec, exec, s[28:29]
.LBB233_567:                            ;   in Loop: Header=BB233_386 Depth=1
	s_or_b64 exec, exec, s[26:27]
	v_or_b32_e32 v5, v9, v7
	v_or_b32_e32 v4, v8, v6
	v_pk_mul_f32 v[56:57], v[26:27], v[4:5]
	v_or_b32_e32 v5, v13, v11
	v_or_b32_e32 v4, v12, v10
	v_pk_mul_f32 v[58:59], v[26:27], v[4:5]
	s_and_saveexec_b64 s[26:27], vcc
	s_cbranch_execz .LBB233_569
; %bb.568:                              ;   in Loop: Header=BB233_386 Depth=1
	v_accvgpr_read_b32 v4, a6
	v_cmp_lt_i32_e64 s[4:5], v4, v62
	v_accvgpr_read_b32 v4, a9
	v_cndmask_b32_e64 v56, 0, v56, s[4:5]
	v_cmp_lt_i32_e64 s[4:5], v4, v62
	v_accvgpr_read_b32 v4, a8
	v_cndmask_b32_e64 v57, 0, v57, s[4:5]
	;; [unrolled: 3-line block ×3, first 2 shown]
	v_cmp_lt_i32_e64 s[4:5], v4, v62
	v_cndmask_b32_e64 v59, 0, v59, s[4:5]
.LBB233_569:                            ;   in Loop: Header=BB233_386 Depth=1
	s_or_b64 exec, exec, s[26:27]
	flat_load_dword v4, v[24:25] offset:1792
	v_pk_mov_b32 v[8:9], 0, 0
	v_pk_mov_b32 v[6:7], v[8:9], v[8:9] op_sel:[0,1]
	s_waitcnt vmcnt(0) lgkmcnt(0)
	v_cmp_ne_u16_sdwa s[4:5], v4, v49 src0_sel:BYTE_0 src1_sel:DWORD
	s_and_saveexec_b64 s[26:27], s[4:5]
	s_cbranch_execz .LBB233_575
; %bb.570:                              ;   in Loop: Header=BB233_386 Depth=1
	v_bfrev_b32_e32 v6, 1
	v_cmp_ne_u16_sdwa s[4:5], v4, s7 src0_sel:BYTE_0 src1_sel:DWORD
	v_mov_b32_e32 v7, 0
	s_and_saveexec_b64 s[28:29], s[4:5]
	s_cbranch_execz .LBB233_574
; %bb.571:                              ;   in Loop: Header=BB233_386 Depth=1
	v_and_b32_e32 v5, 0x7f, v4
	v_mov_b32_e32 v6, 0x7f800001
	v_cmp_ne_u32_e64 s[4:5], s15, v5
	v_mov_b32_e32 v7, 0
	s_and_saveexec_b64 s[30:31], s[4:5]
	s_cbranch_execz .LBB233_573
; %bb.572:                              ;   in Loop: Header=BB233_386 Depth=1
	v_and_b32_e32 v10, 7, v4
	v_ffbh_u32_e32 v6, v10
	v_min_u32_e32 v12, 32, v6
	v_subrev_u32_e32 v6, 28, v12
	v_lshlrev_b64 v[6:7], v6, v[4:5]
	v_lshrrev_b32_e32 v11, 3, v5
	v_sub_u32_e32 v7, 29, v12
	v_and_b32_e32 v6, 7, v6
	v_cmp_gt_u32_e64 s[4:5], 8, v5
	v_cndmask_b32_e64 v5, v11, v7, s[4:5]
	v_cndmask_b32_e64 v6, v10, v6, s[4:5]
	v_bfrev_b32_e32 v10, 60
	v_lshlrev_b32_e32 v6, 20, v6
	v_and_b32_sdwa v7, sext(v4), s13 dst_sel:DWORD dst_unused:UNUSED_PAD src0_sel:BYTE_0 src1_sel:DWORD
	v_lshl_add_u32 v5, v5, 23, v10
	v_or3_b32 v48, v7, v5, v6
	v_pk_mov_b32 v[6:7], v[48:49], v[48:49] op_sel:[0,1]
.LBB233_573:                            ;   in Loop: Header=BB233_386 Depth=1
	s_or_b64 exec, exec, s[30:31]
.LBB233_574:                            ;   in Loop: Header=BB233_386 Depth=1
	s_or_b64 exec, exec, s[28:29]
.LBB233_575:                            ;   in Loop: Header=BB233_386 Depth=1
	s_or_b64 exec, exec, s[26:27]
	v_cmp_ne_u16_sdwa s[4:5], v4, v49 src0_sel:BYTE_1 src1_sel:DWORD
	s_and_saveexec_b64 s[26:27], s[4:5]
	s_cbranch_execz .LBB233_581
; %bb.576:                              ;   in Loop: Header=BB233_386 Depth=1
	v_cmp_ne_u16_sdwa s[4:5], v4, s7 src0_sel:BYTE_1 src1_sel:DWORD
	v_pk_mov_b32 v[8:9], s[12:13], s[12:13] op_sel:[0,1]
	s_and_saveexec_b64 s[28:29], s[4:5]
	s_cbranch_execz .LBB233_580
; %bb.577:                              ;   in Loop: Header=BB233_386 Depth=1
	v_and_b32_sdwa v5, v4, s15 dst_sel:DWORD dst_unused:UNUSED_PAD src0_sel:BYTE_1 src1_sel:DWORD
	s_mov_b32 s22, s12
	v_cmp_ne_u32_e64 s[4:5], s15, v5
	v_pk_mov_b32 v[8:9], s[22:23], s[22:23] op_sel:[0,1]
	s_and_saveexec_b64 s[30:31], s[4:5]
	s_cbranch_execz .LBB233_579
; %bb.578:                              ;   in Loop: Header=BB233_386 Depth=1
	v_mov_b32_e32 v8, 7
	v_and_b32_sdwa v48, v4, v8 dst_sel:DWORD dst_unused:UNUSED_PAD src0_sel:BYTE_1 src1_sel:DWORD
	v_ffbh_u32_e32 v8, v48
	v_min_u32_e32 v11, 32, v8
	v_subrev_u32_e32 v8, 28, v11
	v_lshlrev_b64 v[8:9], v8, v[48:49]
	v_lshrrev_b32_e32 v10, 3, v5
	v_sub_u32_e32 v9, 29, v11
	v_cmp_gt_u32_e64 s[4:5], 8, v5
	v_and_b32_e32 v8, 7, v8
	v_cndmask_b32_e64 v5, v10, v9, s[4:5]
	v_bfrev_b32_e32 v10, 60
	v_cndmask_b32_e64 v8, v48, v8, s[4:5]
	v_lshlrev_b32_e32 v9, 16, v4
	v_lshl_add_u32 v5, v5, 23, v10
	v_and_or_b32 v5, v9, s13, v5
	v_lshlrev_b32_e32 v8, 20, v8
	v_or_b32_e32 v9, v5, v8
	v_mov_b32_e32 v8, v49
.LBB233_579:                            ;   in Loop: Header=BB233_386 Depth=1
	s_or_b64 exec, exec, s[30:31]
.LBB233_580:                            ;   in Loop: Header=BB233_386 Depth=1
	s_or_b64 exec, exec, s[28:29]
.LBB233_581:                            ;   in Loop: Header=BB233_386 Depth=1
	s_or_b64 exec, exec, s[26:27]
	v_lshrrev_b32_e32 v16, 16, v4
	v_pk_mov_b32 v[12:13], 0, 0
	v_cmp_ne_u16_sdwa s[4:5], v16, v49 src0_sel:BYTE_0 src1_sel:DWORD
	v_pk_mov_b32 v[10:11], v[12:13], v[12:13] op_sel:[0,1]
	s_and_saveexec_b64 s[26:27], s[4:5]
	s_cbranch_execz .LBB233_587
; %bb.582:                              ;   in Loop: Header=BB233_386 Depth=1
	v_bfrev_b32_e32 v10, 1
	v_cmp_ne_u16_sdwa s[4:5], v16, s7 src0_sel:BYTE_0 src1_sel:DWORD
	v_mov_b32_e32 v11, 0
	s_and_saveexec_b64 s[28:29], s[4:5]
	s_cbranch_execz .LBB233_586
; %bb.583:                              ;   in Loop: Header=BB233_386 Depth=1
	v_bfe_u32 v5, v4, 16, 7
	v_mov_b32_e32 v10, 0x7f800001
	v_cmp_ne_u32_e64 s[4:5], s15, v5
	v_mov_b32_e32 v11, 0
	s_and_saveexec_b64 s[30:31], s[4:5]
	s_cbranch_execz .LBB233_585
; %bb.584:                              ;   in Loop: Header=BB233_386 Depth=1
	v_and_b32_e32 v17, 7, v16
	v_ffbh_u32_e32 v10, v17
	v_min_u32_e32 v19, 32, v10
	v_subrev_u32_e32 v10, 28, v19
	v_lshlrev_b64 v[10:11], v10, v[16:17]
	v_lshrrev_b32_e32 v18, 3, v5
	v_sub_u32_e32 v11, 29, v19
	v_and_b32_e32 v10, 7, v10
	v_cmp_gt_u32_e64 s[4:5], 8, v5
	v_cndmask_b32_e64 v5, v18, v11, s[4:5]
	v_cndmask_b32_e64 v10, v17, v10, s[4:5]
	v_and_b32_sdwa v11, sext(v16), s13 dst_sel:DWORD dst_unused:UNUSED_PAD src0_sel:BYTE_0 src1_sel:DWORD
	v_bfrev_b32_e32 v16, 60
	v_lshlrev_b32_e32 v10, 20, v10
	v_lshl_add_u32 v5, v5, 23, v16
	v_or3_b32 v48, v11, v5, v10
	v_pk_mov_b32 v[10:11], v[48:49], v[48:49] op_sel:[0,1]
.LBB233_585:                            ;   in Loop: Header=BB233_386 Depth=1
	s_or_b64 exec, exec, s[30:31]
.LBB233_586:                            ;   in Loop: Header=BB233_386 Depth=1
	s_or_b64 exec, exec, s[28:29]
.LBB233_587:                            ;   in Loop: Header=BB233_386 Depth=1
	s_or_b64 exec, exec, s[26:27]
	v_cmp_lt_u32_e64 s[4:5], s34, v4
	s_and_saveexec_b64 s[26:27], s[4:5]
	s_cbranch_execz .LBB233_593
; %bb.588:                              ;   in Loop: Header=BB233_386 Depth=1
	v_cmp_ne_u32_sdwa s[4:5], v4, s7 src0_sel:BYTE_3 src1_sel:DWORD
	v_pk_mov_b32 v[12:13], s[12:13], s[12:13] op_sel:[0,1]
	s_and_saveexec_b64 s[28:29], s[4:5]
	s_cbranch_execz .LBB233_592
; %bb.589:                              ;   in Loop: Header=BB233_386 Depth=1
	v_bfe_u32 v5, v4, 24, 7
	s_mov_b32 s22, s12
	v_cmp_ne_u32_e64 s[4:5], s15, v5
	v_pk_mov_b32 v[12:13], s[22:23], s[22:23] op_sel:[0,1]
	s_and_saveexec_b64 s[30:31], s[4:5]
	s_cbranch_execz .LBB233_591
; %bb.590:                              ;   in Loop: Header=BB233_386 Depth=1
	v_mov_b32_e32 v12, 7
	v_and_b32_sdwa v48, v4, v12 dst_sel:DWORD dst_unused:UNUSED_PAD src0_sel:BYTE_3 src1_sel:DWORD
	v_ffbh_u32_e32 v12, v48
	v_min_u32_e32 v17, 32, v12
	v_subrev_u32_e32 v12, 28, v17
	v_lshlrev_b64 v[12:13], v12, v[48:49]
	v_lshrrev_b32_e32 v16, 3, v5
	v_sub_u32_e32 v13, 29, v17
	v_cmp_gt_u32_e64 s[4:5], 8, v5
	v_cndmask_b32_e64 v5, v16, v13, s[4:5]
	v_mov_b32_e32 v13, 24
	v_and_b32_e32 v12, 7, v12
	v_lshlrev_b32_sdwa v4, v13, v4 dst_sel:DWORD dst_unused:UNUSED_PAD src0_sel:DWORD src1_sel:BYTE_3
	v_bfrev_b32_e32 v13, 60
	v_cndmask_b32_e64 v12, v48, v12, s[4:5]
	v_lshl_add_u32 v5, v5, 23, v13
	v_and_or_b32 v4, v4, s13, v5
	v_lshlrev_b32_e32 v5, 20, v12
	v_or_b32_e32 v13, v4, v5
	v_mov_b32_e32 v12, v49
.LBB233_591:                            ;   in Loop: Header=BB233_386 Depth=1
	s_or_b64 exec, exec, s[30:31]
.LBB233_592:                            ;   in Loop: Header=BB233_386 Depth=1
	s_or_b64 exec, exec, s[28:29]
.LBB233_593:                            ;   in Loop: Header=BB233_386 Depth=1
	s_or_b64 exec, exec, s[26:27]
	v_or_b32_e32 v5, v9, v7
	v_or_b32_e32 v4, v8, v6
	v_pk_mul_f32 v[60:61], v[26:27], v[4:5]
	v_or_b32_e32 v5, v13, v11
	v_or_b32_e32 v4, v12, v10
	v_pk_mul_f32 v[34:35], v[26:27], v[4:5]
	s_and_saveexec_b64 s[26:27], vcc
	s_cbranch_execz .LBB233_595
; %bb.594:                              ;   in Loop: Header=BB233_386 Depth=1
	v_accvgpr_read_b32 v4, a6
	v_cmp_lt_i32_e64 s[4:5], v4, v62
	v_accvgpr_read_b32 v4, a9
	v_cndmask_b32_e64 v60, 0, v60, s[4:5]
	v_cmp_lt_i32_e64 s[4:5], v4, v62
	v_accvgpr_read_b32 v4, a8
	v_cndmask_b32_e64 v61, 0, v61, s[4:5]
	;; [unrolled: 3-line block ×3, first 2 shown]
	v_cmp_lt_i32_e64 s[4:5], v4, v62
	v_cndmask_b32_e64 v35, 0, v35, s[4:5]
.LBB233_595:                            ;   in Loop: Header=BB233_386 Depth=1
	s_or_b64 exec, exec, s[26:27]
	flat_load_dword v4, v[24:25] offset:2048
	v_pk_mov_b32 v[8:9], 0, 0
	v_pk_mov_b32 v[6:7], v[8:9], v[8:9] op_sel:[0,1]
	s_waitcnt vmcnt(0) lgkmcnt(0)
	v_cmp_ne_u16_sdwa s[4:5], v4, v49 src0_sel:BYTE_0 src1_sel:DWORD
	s_and_saveexec_b64 s[26:27], s[4:5]
	s_cbranch_execz .LBB233_601
; %bb.596:                              ;   in Loop: Header=BB233_386 Depth=1
	v_bfrev_b32_e32 v6, 1
	v_cmp_ne_u16_sdwa s[4:5], v4, s7 src0_sel:BYTE_0 src1_sel:DWORD
	v_mov_b32_e32 v7, 0
	s_and_saveexec_b64 s[28:29], s[4:5]
	s_cbranch_execz .LBB233_600
; %bb.597:                              ;   in Loop: Header=BB233_386 Depth=1
	v_and_b32_e32 v5, 0x7f, v4
	v_mov_b32_e32 v6, 0x7f800001
	v_cmp_ne_u32_e64 s[4:5], s15, v5
	v_mov_b32_e32 v7, 0
	s_and_saveexec_b64 s[30:31], s[4:5]
	s_cbranch_execz .LBB233_599
; %bb.598:                              ;   in Loop: Header=BB233_386 Depth=1
	v_and_b32_e32 v10, 7, v4
	v_ffbh_u32_e32 v6, v10
	v_min_u32_e32 v12, 32, v6
	v_subrev_u32_e32 v6, 28, v12
	v_lshlrev_b64 v[6:7], v6, v[4:5]
	v_lshrrev_b32_e32 v11, 3, v5
	v_sub_u32_e32 v7, 29, v12
	v_and_b32_e32 v6, 7, v6
	v_cmp_gt_u32_e64 s[4:5], 8, v5
	v_cndmask_b32_e64 v5, v11, v7, s[4:5]
	v_cndmask_b32_e64 v6, v10, v6, s[4:5]
	v_bfrev_b32_e32 v10, 60
	v_lshlrev_b32_e32 v6, 20, v6
	v_and_b32_sdwa v7, sext(v4), s13 dst_sel:DWORD dst_unused:UNUSED_PAD src0_sel:BYTE_0 src1_sel:DWORD
	v_lshl_add_u32 v5, v5, 23, v10
	v_or3_b32 v48, v7, v5, v6
	v_pk_mov_b32 v[6:7], v[48:49], v[48:49] op_sel:[0,1]
.LBB233_599:                            ;   in Loop: Header=BB233_386 Depth=1
	s_or_b64 exec, exec, s[30:31]
.LBB233_600:                            ;   in Loop: Header=BB233_386 Depth=1
	s_or_b64 exec, exec, s[28:29]
.LBB233_601:                            ;   in Loop: Header=BB233_386 Depth=1
	s_or_b64 exec, exec, s[26:27]
	v_cmp_ne_u16_sdwa s[4:5], v4, v49 src0_sel:BYTE_1 src1_sel:DWORD
	s_and_saveexec_b64 s[26:27], s[4:5]
	s_cbranch_execz .LBB233_607
; %bb.602:                              ;   in Loop: Header=BB233_386 Depth=1
	v_cmp_ne_u16_sdwa s[4:5], v4, s7 src0_sel:BYTE_1 src1_sel:DWORD
	v_pk_mov_b32 v[8:9], s[12:13], s[12:13] op_sel:[0,1]
	s_and_saveexec_b64 s[28:29], s[4:5]
	s_cbranch_execz .LBB233_606
; %bb.603:                              ;   in Loop: Header=BB233_386 Depth=1
	v_and_b32_sdwa v5, v4, s15 dst_sel:DWORD dst_unused:UNUSED_PAD src0_sel:BYTE_1 src1_sel:DWORD
	s_mov_b32 s22, s12
	v_cmp_ne_u32_e64 s[4:5], s15, v5
	v_pk_mov_b32 v[8:9], s[22:23], s[22:23] op_sel:[0,1]
	s_and_saveexec_b64 s[30:31], s[4:5]
	s_cbranch_execz .LBB233_605
; %bb.604:                              ;   in Loop: Header=BB233_386 Depth=1
	v_mov_b32_e32 v8, 7
	v_and_b32_sdwa v48, v4, v8 dst_sel:DWORD dst_unused:UNUSED_PAD src0_sel:BYTE_1 src1_sel:DWORD
	v_ffbh_u32_e32 v8, v48
	v_min_u32_e32 v11, 32, v8
	v_subrev_u32_e32 v8, 28, v11
	v_lshlrev_b64 v[8:9], v8, v[48:49]
	v_lshrrev_b32_e32 v10, 3, v5
	v_sub_u32_e32 v9, 29, v11
	v_cmp_gt_u32_e64 s[4:5], 8, v5
	v_and_b32_e32 v8, 7, v8
	v_cndmask_b32_e64 v5, v10, v9, s[4:5]
	v_bfrev_b32_e32 v10, 60
	v_cndmask_b32_e64 v8, v48, v8, s[4:5]
	v_lshlrev_b32_e32 v9, 16, v4
	v_lshl_add_u32 v5, v5, 23, v10
	v_and_or_b32 v5, v9, s13, v5
	v_lshlrev_b32_e32 v8, 20, v8
	v_or_b32_e32 v9, v5, v8
	v_mov_b32_e32 v8, v49
.LBB233_605:                            ;   in Loop: Header=BB233_386 Depth=1
	s_or_b64 exec, exec, s[30:31]
.LBB233_606:                            ;   in Loop: Header=BB233_386 Depth=1
	s_or_b64 exec, exec, s[28:29]
.LBB233_607:                            ;   in Loop: Header=BB233_386 Depth=1
	s_or_b64 exec, exec, s[26:27]
	v_lshrrev_b32_e32 v16, 16, v4
	v_pk_mov_b32 v[12:13], 0, 0
	v_cmp_ne_u16_sdwa s[4:5], v16, v49 src0_sel:BYTE_0 src1_sel:DWORD
	v_pk_mov_b32 v[10:11], v[12:13], v[12:13] op_sel:[0,1]
	s_and_saveexec_b64 s[26:27], s[4:5]
	s_cbranch_execz .LBB233_613
; %bb.608:                              ;   in Loop: Header=BB233_386 Depth=1
	v_bfrev_b32_e32 v10, 1
	v_cmp_ne_u16_sdwa s[4:5], v16, s7 src0_sel:BYTE_0 src1_sel:DWORD
	v_mov_b32_e32 v11, 0
	s_and_saveexec_b64 s[28:29], s[4:5]
	s_cbranch_execz .LBB233_612
; %bb.609:                              ;   in Loop: Header=BB233_386 Depth=1
	v_bfe_u32 v5, v4, 16, 7
	v_mov_b32_e32 v10, 0x7f800001
	v_cmp_ne_u32_e64 s[4:5], s15, v5
	v_mov_b32_e32 v11, 0
	s_and_saveexec_b64 s[30:31], s[4:5]
	s_cbranch_execz .LBB233_611
; %bb.610:                              ;   in Loop: Header=BB233_386 Depth=1
	v_and_b32_e32 v17, 7, v16
	v_ffbh_u32_e32 v10, v17
	v_min_u32_e32 v19, 32, v10
	v_subrev_u32_e32 v10, 28, v19
	v_lshlrev_b64 v[10:11], v10, v[16:17]
	v_lshrrev_b32_e32 v18, 3, v5
	v_sub_u32_e32 v11, 29, v19
	v_and_b32_e32 v10, 7, v10
	v_cmp_gt_u32_e64 s[4:5], 8, v5
	v_cndmask_b32_e64 v5, v18, v11, s[4:5]
	v_cndmask_b32_e64 v10, v17, v10, s[4:5]
	v_and_b32_sdwa v11, sext(v16), s13 dst_sel:DWORD dst_unused:UNUSED_PAD src0_sel:BYTE_0 src1_sel:DWORD
	v_bfrev_b32_e32 v16, 60
	v_lshlrev_b32_e32 v10, 20, v10
	v_lshl_add_u32 v5, v5, 23, v16
	v_or3_b32 v48, v11, v5, v10
	v_pk_mov_b32 v[10:11], v[48:49], v[48:49] op_sel:[0,1]
.LBB233_611:                            ;   in Loop: Header=BB233_386 Depth=1
	s_or_b64 exec, exec, s[30:31]
.LBB233_612:                            ;   in Loop: Header=BB233_386 Depth=1
	s_or_b64 exec, exec, s[28:29]
.LBB233_613:                            ;   in Loop: Header=BB233_386 Depth=1
	s_or_b64 exec, exec, s[26:27]
	v_cmp_lt_u32_e64 s[4:5], s34, v4
	s_and_saveexec_b64 s[26:27], s[4:5]
	s_cbranch_execz .LBB233_619
; %bb.614:                              ;   in Loop: Header=BB233_386 Depth=1
	v_cmp_ne_u32_sdwa s[4:5], v4, s7 src0_sel:BYTE_3 src1_sel:DWORD
	v_pk_mov_b32 v[12:13], s[12:13], s[12:13] op_sel:[0,1]
	s_and_saveexec_b64 s[28:29], s[4:5]
	s_cbranch_execz .LBB233_618
; %bb.615:                              ;   in Loop: Header=BB233_386 Depth=1
	v_bfe_u32 v5, v4, 24, 7
	s_mov_b32 s22, s12
	v_cmp_ne_u32_e64 s[4:5], s15, v5
	v_pk_mov_b32 v[12:13], s[22:23], s[22:23] op_sel:[0,1]
	s_and_saveexec_b64 s[30:31], s[4:5]
	s_cbranch_execz .LBB233_617
; %bb.616:                              ;   in Loop: Header=BB233_386 Depth=1
	v_mov_b32_e32 v12, 7
	v_and_b32_sdwa v48, v4, v12 dst_sel:DWORD dst_unused:UNUSED_PAD src0_sel:BYTE_3 src1_sel:DWORD
	v_ffbh_u32_e32 v12, v48
	v_min_u32_e32 v17, 32, v12
	v_subrev_u32_e32 v12, 28, v17
	v_lshlrev_b64 v[12:13], v12, v[48:49]
	v_lshrrev_b32_e32 v16, 3, v5
	v_sub_u32_e32 v13, 29, v17
	v_cmp_gt_u32_e64 s[4:5], 8, v5
	v_cndmask_b32_e64 v5, v16, v13, s[4:5]
	v_mov_b32_e32 v13, 24
	v_and_b32_e32 v12, 7, v12
	v_lshlrev_b32_sdwa v4, v13, v4 dst_sel:DWORD dst_unused:UNUSED_PAD src0_sel:DWORD src1_sel:BYTE_3
	v_bfrev_b32_e32 v13, 60
	v_cndmask_b32_e64 v12, v48, v12, s[4:5]
	v_lshl_add_u32 v5, v5, 23, v13
	v_and_or_b32 v4, v4, s13, v5
	v_lshlrev_b32_e32 v5, 20, v12
	v_or_b32_e32 v13, v4, v5
	v_mov_b32_e32 v12, v49
.LBB233_617:                            ;   in Loop: Header=BB233_386 Depth=1
	s_or_b64 exec, exec, s[30:31]
.LBB233_618:                            ;   in Loop: Header=BB233_386 Depth=1
	s_or_b64 exec, exec, s[28:29]
.LBB233_619:                            ;   in Loop: Header=BB233_386 Depth=1
	s_or_b64 exec, exec, s[26:27]
	v_or_b32_e32 v5, v9, v7
	v_or_b32_e32 v4, v8, v6
	v_pk_mul_f32 v[28:29], v[26:27], v[4:5]
	v_or_b32_e32 v5, v13, v11
	v_or_b32_e32 v4, v12, v10
	v_pk_mul_f32 v[4:5], v[26:27], v[4:5]
	s_and_saveexec_b64 s[26:27], vcc
	s_cbranch_execz .LBB233_621
; %bb.620:                              ;   in Loop: Header=BB233_386 Depth=1
	v_accvgpr_read_b32 v6, a6
	v_cmp_lt_i32_e64 s[4:5], v6, v62
	v_accvgpr_read_b32 v6, a9
	v_cndmask_b32_e64 v28, 0, v28, s[4:5]
	v_cmp_lt_i32_e64 s[4:5], v6, v62
	v_accvgpr_read_b32 v6, a8
	v_cndmask_b32_e64 v29, 0, v29, s[4:5]
	;; [unrolled: 3-line block ×3, first 2 shown]
	v_cmp_lt_i32_e64 s[4:5], v6, v62
	v_cndmask_b32_e64 v5, 0, v5, s[4:5]
.LBB233_621:                            ;   in Loop: Header=BB233_386 Depth=1
	s_or_b64 exec, exec, s[26:27]
	flat_load_dword v6, v[24:25] offset:2304
	v_pk_mov_b32 v[10:11], 0, 0
	v_pk_mov_b32 v[8:9], v[10:11], v[10:11] op_sel:[0,1]
	s_waitcnt vmcnt(0) lgkmcnt(0)
	v_cmp_ne_u16_sdwa s[4:5], v6, v49 src0_sel:BYTE_0 src1_sel:DWORD
	s_and_saveexec_b64 s[26:27], s[4:5]
	s_cbranch_execz .LBB233_627
; %bb.622:                              ;   in Loop: Header=BB233_386 Depth=1
	v_bfrev_b32_e32 v8, 1
	v_cmp_ne_u16_sdwa s[4:5], v6, s7 src0_sel:BYTE_0 src1_sel:DWORD
	v_mov_b32_e32 v9, 0
	s_and_saveexec_b64 s[28:29], s[4:5]
	s_cbranch_execz .LBB233_626
; %bb.623:                              ;   in Loop: Header=BB233_386 Depth=1
	v_and_b32_e32 v7, 0x7f, v6
	v_mov_b32_e32 v8, 0x7f800001
	v_cmp_ne_u32_e64 s[4:5], s15, v7
	v_mov_b32_e32 v9, 0
	s_and_saveexec_b64 s[30:31], s[4:5]
	s_cbranch_execz .LBB233_625
; %bb.624:                              ;   in Loop: Header=BB233_386 Depth=1
	v_and_b32_e32 v12, 7, v6
	v_ffbh_u32_e32 v8, v12
	v_min_u32_e32 v16, 32, v8
	v_subrev_u32_e32 v8, 28, v16
	v_lshlrev_b64 v[8:9], v8, v[6:7]
	v_lshrrev_b32_e32 v13, 3, v7
	v_sub_u32_e32 v9, 29, v16
	v_and_b32_e32 v8, 7, v8
	v_cmp_gt_u32_e64 s[4:5], 8, v7
	v_cndmask_b32_e64 v7, v13, v9, s[4:5]
	v_cndmask_b32_e64 v8, v12, v8, s[4:5]
	v_bfrev_b32_e32 v12, 60
	v_lshlrev_b32_e32 v8, 20, v8
	v_and_b32_sdwa v9, sext(v6), s13 dst_sel:DWORD dst_unused:UNUSED_PAD src0_sel:BYTE_0 src1_sel:DWORD
	v_lshl_add_u32 v7, v7, 23, v12
	v_or3_b32 v48, v9, v7, v8
	v_pk_mov_b32 v[8:9], v[48:49], v[48:49] op_sel:[0,1]
.LBB233_625:                            ;   in Loop: Header=BB233_386 Depth=1
	s_or_b64 exec, exec, s[30:31]
.LBB233_626:                            ;   in Loop: Header=BB233_386 Depth=1
	s_or_b64 exec, exec, s[28:29]
.LBB233_627:                            ;   in Loop: Header=BB233_386 Depth=1
	s_or_b64 exec, exec, s[26:27]
	v_cmp_ne_u16_sdwa s[4:5], v6, v49 src0_sel:BYTE_1 src1_sel:DWORD
	s_and_saveexec_b64 s[26:27], s[4:5]
	s_cbranch_execz .LBB233_633
; %bb.628:                              ;   in Loop: Header=BB233_386 Depth=1
	v_cmp_ne_u16_sdwa s[4:5], v6, s7 src0_sel:BYTE_1 src1_sel:DWORD
	v_pk_mov_b32 v[10:11], s[12:13], s[12:13] op_sel:[0,1]
	s_and_saveexec_b64 s[28:29], s[4:5]
	s_cbranch_execz .LBB233_632
; %bb.629:                              ;   in Loop: Header=BB233_386 Depth=1
	v_and_b32_sdwa v7, v6, s15 dst_sel:DWORD dst_unused:UNUSED_PAD src0_sel:BYTE_1 src1_sel:DWORD
	s_mov_b32 s22, s12
	v_cmp_ne_u32_e64 s[4:5], s15, v7
	v_pk_mov_b32 v[10:11], s[22:23], s[22:23] op_sel:[0,1]
	s_and_saveexec_b64 s[30:31], s[4:5]
	s_cbranch_execz .LBB233_631
; %bb.630:                              ;   in Loop: Header=BB233_386 Depth=1
	v_mov_b32_e32 v10, 7
	v_and_b32_sdwa v48, v6, v10 dst_sel:DWORD dst_unused:UNUSED_PAD src0_sel:BYTE_1 src1_sel:DWORD
	v_ffbh_u32_e32 v10, v48
	v_min_u32_e32 v13, 32, v10
	v_subrev_u32_e32 v10, 28, v13
	v_lshlrev_b64 v[10:11], v10, v[48:49]
	v_lshrrev_b32_e32 v12, 3, v7
	v_sub_u32_e32 v11, 29, v13
	v_cmp_gt_u32_e64 s[4:5], 8, v7
	v_and_b32_e32 v10, 7, v10
	v_cndmask_b32_e64 v7, v12, v11, s[4:5]
	v_bfrev_b32_e32 v12, 60
	v_cndmask_b32_e64 v10, v48, v10, s[4:5]
	v_lshlrev_b32_e32 v11, 16, v6
	v_lshl_add_u32 v7, v7, 23, v12
	v_and_or_b32 v7, v11, s13, v7
	v_lshlrev_b32_e32 v10, 20, v10
	v_or_b32_e32 v11, v7, v10
	v_mov_b32_e32 v10, v49
.LBB233_631:                            ;   in Loop: Header=BB233_386 Depth=1
	s_or_b64 exec, exec, s[30:31]
.LBB233_632:                            ;   in Loop: Header=BB233_386 Depth=1
	s_or_b64 exec, exec, s[28:29]
.LBB233_633:                            ;   in Loop: Header=BB233_386 Depth=1
	s_or_b64 exec, exec, s[26:27]
	v_lshrrev_b32_e32 v18, 16, v6
	v_pk_mov_b32 v[16:17], 0, 0
	v_cmp_ne_u16_sdwa s[4:5], v18, v49 src0_sel:BYTE_0 src1_sel:DWORD
	v_pk_mov_b32 v[12:13], v[16:17], v[16:17] op_sel:[0,1]
	s_and_saveexec_b64 s[26:27], s[4:5]
	s_cbranch_execz .LBB233_639
; %bb.634:                              ;   in Loop: Header=BB233_386 Depth=1
	v_bfrev_b32_e32 v12, 1
	v_cmp_ne_u16_sdwa s[4:5], v18, s7 src0_sel:BYTE_0 src1_sel:DWORD
	v_mov_b32_e32 v13, 0
	s_and_saveexec_b64 s[28:29], s[4:5]
	s_cbranch_execz .LBB233_638
; %bb.635:                              ;   in Loop: Header=BB233_386 Depth=1
	v_bfe_u32 v7, v6, 16, 7
	v_mov_b32_e32 v12, 0x7f800001
	v_cmp_ne_u32_e64 s[4:5], s15, v7
	v_mov_b32_e32 v13, 0
	s_and_saveexec_b64 s[30:31], s[4:5]
	s_cbranch_execz .LBB233_637
; %bb.636:                              ;   in Loop: Header=BB233_386 Depth=1
	v_and_b32_e32 v19, 7, v18
	v_ffbh_u32_e32 v12, v19
	v_min_u32_e32 v21, 32, v12
	v_subrev_u32_e32 v12, 28, v21
	v_lshlrev_b64 v[12:13], v12, v[18:19]
	v_lshrrev_b32_e32 v20, 3, v7
	v_sub_u32_e32 v13, 29, v21
	v_and_b32_e32 v12, 7, v12
	v_cmp_gt_u32_e64 s[4:5], 8, v7
	v_cndmask_b32_e64 v7, v20, v13, s[4:5]
	v_cndmask_b32_e64 v12, v19, v12, s[4:5]
	v_and_b32_sdwa v13, sext(v18), s13 dst_sel:DWORD dst_unused:UNUSED_PAD src0_sel:BYTE_0 src1_sel:DWORD
	v_bfrev_b32_e32 v18, 60
	v_lshlrev_b32_e32 v12, 20, v12
	v_lshl_add_u32 v7, v7, 23, v18
	v_or3_b32 v48, v13, v7, v12
	v_pk_mov_b32 v[12:13], v[48:49], v[48:49] op_sel:[0,1]
.LBB233_637:                            ;   in Loop: Header=BB233_386 Depth=1
	s_or_b64 exec, exec, s[30:31]
.LBB233_638:                            ;   in Loop: Header=BB233_386 Depth=1
	s_or_b64 exec, exec, s[28:29]
.LBB233_639:                            ;   in Loop: Header=BB233_386 Depth=1
	s_or_b64 exec, exec, s[26:27]
	v_cmp_lt_u32_e64 s[4:5], s34, v6
	s_and_saveexec_b64 s[26:27], s[4:5]
	s_cbranch_execz .LBB233_645
; %bb.640:                              ;   in Loop: Header=BB233_386 Depth=1
	v_cmp_ne_u32_sdwa s[4:5], v6, s7 src0_sel:BYTE_3 src1_sel:DWORD
	v_pk_mov_b32 v[16:17], s[12:13], s[12:13] op_sel:[0,1]
	s_and_saveexec_b64 s[28:29], s[4:5]
	s_cbranch_execz .LBB233_644
; %bb.641:                              ;   in Loop: Header=BB233_386 Depth=1
	v_bfe_u32 v7, v6, 24, 7
	s_mov_b32 s22, s12
	v_cmp_ne_u32_e64 s[4:5], s15, v7
	v_pk_mov_b32 v[16:17], s[22:23], s[22:23] op_sel:[0,1]
	s_and_saveexec_b64 s[30:31], s[4:5]
	s_cbranch_execz .LBB233_643
; %bb.642:                              ;   in Loop: Header=BB233_386 Depth=1
	v_mov_b32_e32 v16, 7
	v_and_b32_sdwa v48, v6, v16 dst_sel:DWORD dst_unused:UNUSED_PAD src0_sel:BYTE_3 src1_sel:DWORD
	v_ffbh_u32_e32 v16, v48
	v_min_u32_e32 v19, 32, v16
	v_subrev_u32_e32 v16, 28, v19
	v_lshlrev_b64 v[16:17], v16, v[48:49]
	v_lshrrev_b32_e32 v18, 3, v7
	v_sub_u32_e32 v17, 29, v19
	v_cmp_gt_u32_e64 s[4:5], 8, v7
	v_cndmask_b32_e64 v7, v18, v17, s[4:5]
	v_mov_b32_e32 v17, 24
	v_and_b32_e32 v16, 7, v16
	v_lshlrev_b32_sdwa v6, v17, v6 dst_sel:DWORD dst_unused:UNUSED_PAD src0_sel:DWORD src1_sel:BYTE_3
	v_bfrev_b32_e32 v17, 60
	v_cndmask_b32_e64 v16, v48, v16, s[4:5]
	v_lshl_add_u32 v7, v7, 23, v17
	v_and_or_b32 v6, v6, s13, v7
	v_lshlrev_b32_e32 v7, 20, v16
	v_or_b32_e32 v17, v6, v7
	v_mov_b32_e32 v16, v49
.LBB233_643:                            ;   in Loop: Header=BB233_386 Depth=1
	s_or_b64 exec, exec, s[30:31]
.LBB233_644:                            ;   in Loop: Header=BB233_386 Depth=1
	s_or_b64 exec, exec, s[28:29]
.LBB233_645:                            ;   in Loop: Header=BB233_386 Depth=1
	s_or_b64 exec, exec, s[26:27]
	v_or_b32_e32 v7, v11, v9
	v_or_b32_e32 v6, v10, v8
	;; [unrolled: 1-line block ×4, first 2 shown]
	v_pk_mul_f32 v[6:7], v[26:27], v[6:7]
	v_pk_mul_f32 v[8:9], v[26:27], v[8:9]
	s_and_saveexec_b64 s[26:27], vcc
	s_cbranch_execz .LBB233_647
; %bb.646:                              ;   in Loop: Header=BB233_386 Depth=1
	v_accvgpr_read_b32 v10, a6
	v_cmp_lt_i32_e64 s[4:5], v10, v62
	v_accvgpr_read_b32 v10, a9
	v_cndmask_b32_e64 v6, 0, v6, s[4:5]
	v_cmp_lt_i32_e64 s[4:5], v10, v62
	v_accvgpr_read_b32 v10, a8
	v_cndmask_b32_e64 v7, 0, v7, s[4:5]
	;; [unrolled: 3-line block ×3, first 2 shown]
	v_cmp_lt_i32_e64 s[4:5], v10, v62
	v_cndmask_b32_e64 v9, 0, v9, s[4:5]
.LBB233_647:                            ;   in Loop: Header=BB233_386 Depth=1
	s_or_b64 exec, exec, s[26:27]
	flat_load_dword v10, v[24:25] offset:2560
	v_pk_mov_b32 v[16:17], 0, 0
	v_pk_mov_b32 v[12:13], v[16:17], v[16:17] op_sel:[0,1]
	s_waitcnt vmcnt(0) lgkmcnt(0)
	v_cmp_ne_u16_sdwa s[4:5], v10, v49 src0_sel:BYTE_0 src1_sel:DWORD
	s_and_saveexec_b64 s[26:27], s[4:5]
	s_cbranch_execz .LBB233_653
; %bb.648:                              ;   in Loop: Header=BB233_386 Depth=1
	v_bfrev_b32_e32 v12, 1
	v_cmp_ne_u16_sdwa s[4:5], v10, s7 src0_sel:BYTE_0 src1_sel:DWORD
	v_mov_b32_e32 v13, 0
	s_and_saveexec_b64 s[28:29], s[4:5]
	s_cbranch_execz .LBB233_652
; %bb.649:                              ;   in Loop: Header=BB233_386 Depth=1
	v_and_b32_e32 v11, 0x7f, v10
	v_mov_b32_e32 v12, 0x7f800001
	v_cmp_ne_u32_e64 s[4:5], s15, v11
	v_mov_b32_e32 v13, 0
	s_and_saveexec_b64 s[30:31], s[4:5]
	s_cbranch_execz .LBB233_651
; %bb.650:                              ;   in Loop: Header=BB233_386 Depth=1
	v_and_b32_e32 v18, 7, v10
	v_ffbh_u32_e32 v12, v18
	v_min_u32_e32 v20, 32, v12
	v_subrev_u32_e32 v12, 28, v20
	v_lshlrev_b64 v[12:13], v12, v[10:11]
	v_lshrrev_b32_e32 v19, 3, v11
	v_sub_u32_e32 v13, 29, v20
	v_and_b32_e32 v12, 7, v12
	v_cmp_gt_u32_e64 s[4:5], 8, v11
	v_cndmask_b32_e64 v11, v19, v13, s[4:5]
	v_cndmask_b32_e64 v12, v18, v12, s[4:5]
	v_bfrev_b32_e32 v18, 60
	v_lshlrev_b32_e32 v12, 20, v12
	v_and_b32_sdwa v13, sext(v10), s13 dst_sel:DWORD dst_unused:UNUSED_PAD src0_sel:BYTE_0 src1_sel:DWORD
	v_lshl_add_u32 v11, v11, 23, v18
	v_or3_b32 v48, v13, v11, v12
	v_pk_mov_b32 v[12:13], v[48:49], v[48:49] op_sel:[0,1]
.LBB233_651:                            ;   in Loop: Header=BB233_386 Depth=1
	s_or_b64 exec, exec, s[30:31]
.LBB233_652:                            ;   in Loop: Header=BB233_386 Depth=1
	s_or_b64 exec, exec, s[28:29]
.LBB233_653:                            ;   in Loop: Header=BB233_386 Depth=1
	s_or_b64 exec, exec, s[26:27]
	v_cmp_ne_u16_sdwa s[4:5], v10, v49 src0_sel:BYTE_1 src1_sel:DWORD
	s_and_saveexec_b64 s[26:27], s[4:5]
	s_cbranch_execz .LBB233_659
; %bb.654:                              ;   in Loop: Header=BB233_386 Depth=1
	v_cmp_ne_u16_sdwa s[4:5], v10, s7 src0_sel:BYTE_1 src1_sel:DWORD
	v_pk_mov_b32 v[16:17], s[12:13], s[12:13] op_sel:[0,1]
	s_and_saveexec_b64 s[28:29], s[4:5]
	s_cbranch_execz .LBB233_658
; %bb.655:                              ;   in Loop: Header=BB233_386 Depth=1
	v_and_b32_sdwa v11, v10, s15 dst_sel:DWORD dst_unused:UNUSED_PAD src0_sel:BYTE_1 src1_sel:DWORD
	s_mov_b32 s22, s12
	v_cmp_ne_u32_e64 s[4:5], s15, v11
	v_pk_mov_b32 v[16:17], s[22:23], s[22:23] op_sel:[0,1]
	s_and_saveexec_b64 s[30:31], s[4:5]
	s_cbranch_execz .LBB233_657
; %bb.656:                              ;   in Loop: Header=BB233_386 Depth=1
	v_mov_b32_e32 v16, 7
	v_and_b32_sdwa v48, v10, v16 dst_sel:DWORD dst_unused:UNUSED_PAD src0_sel:BYTE_1 src1_sel:DWORD
	v_ffbh_u32_e32 v16, v48
	v_min_u32_e32 v19, 32, v16
	v_subrev_u32_e32 v16, 28, v19
	v_lshlrev_b64 v[16:17], v16, v[48:49]
	v_lshrrev_b32_e32 v18, 3, v11
	v_sub_u32_e32 v17, 29, v19
	v_cmp_gt_u32_e64 s[4:5], 8, v11
	v_and_b32_e32 v16, 7, v16
	v_cndmask_b32_e64 v11, v18, v17, s[4:5]
	v_bfrev_b32_e32 v18, 60
	v_cndmask_b32_e64 v16, v48, v16, s[4:5]
	v_lshlrev_b32_e32 v17, 16, v10
	v_lshl_add_u32 v11, v11, 23, v18
	v_and_or_b32 v11, v17, s13, v11
	v_lshlrev_b32_e32 v16, 20, v16
	v_or_b32_e32 v17, v11, v16
	v_mov_b32_e32 v16, v49
.LBB233_657:                            ;   in Loop: Header=BB233_386 Depth=1
	s_or_b64 exec, exec, s[30:31]
.LBB233_658:                            ;   in Loop: Header=BB233_386 Depth=1
	s_or_b64 exec, exec, s[28:29]
.LBB233_659:                            ;   in Loop: Header=BB233_386 Depth=1
	s_or_b64 exec, exec, s[26:27]
	v_lshrrev_b32_e32 v22, 16, v10
	v_pk_mov_b32 v[20:21], 0, 0
	v_cmp_ne_u16_sdwa s[4:5], v22, v49 src0_sel:BYTE_0 src1_sel:DWORD
	v_pk_mov_b32 v[18:19], v[20:21], v[20:21] op_sel:[0,1]
	s_and_saveexec_b64 s[26:27], s[4:5]
	s_cbranch_execz .LBB233_665
; %bb.660:                              ;   in Loop: Header=BB233_386 Depth=1
	v_bfrev_b32_e32 v18, 1
	v_cmp_ne_u16_sdwa s[4:5], v22, s7 src0_sel:BYTE_0 src1_sel:DWORD
	v_mov_b32_e32 v19, 0
	s_and_saveexec_b64 s[28:29], s[4:5]
	s_cbranch_execz .LBB233_664
; %bb.661:                              ;   in Loop: Header=BB233_386 Depth=1
	v_bfe_u32 v11, v10, 16, 7
	v_mov_b32_e32 v18, 0x7f800001
	v_cmp_ne_u32_e64 s[4:5], s15, v11
	v_mov_b32_e32 v19, 0
	s_and_saveexec_b64 s[30:31], s[4:5]
	s_cbranch_execz .LBB233_663
; %bb.662:                              ;   in Loop: Header=BB233_386 Depth=1
	v_and_b32_e32 v23, 7, v22
	v_ffbh_u32_e32 v18, v23
	v_min_u32_e32 v31, 32, v18
	v_subrev_u32_e32 v18, 28, v31
	v_lshlrev_b64 v[18:19], v18, v[22:23]
	v_lshrrev_b32_e32 v30, 3, v11
	v_sub_u32_e32 v19, 29, v31
	v_and_b32_e32 v18, 7, v18
	v_cmp_gt_u32_e64 s[4:5], 8, v11
	v_cndmask_b32_e64 v11, v30, v19, s[4:5]
	v_cndmask_b32_e64 v18, v23, v18, s[4:5]
	v_and_b32_sdwa v19, sext(v22), s13 dst_sel:DWORD dst_unused:UNUSED_PAD src0_sel:BYTE_0 src1_sel:DWORD
	v_bfrev_b32_e32 v22, 60
	v_lshlrev_b32_e32 v18, 20, v18
	v_lshl_add_u32 v11, v11, 23, v22
	v_or3_b32 v48, v19, v11, v18
	v_pk_mov_b32 v[18:19], v[48:49], v[48:49] op_sel:[0,1]
.LBB233_663:                            ;   in Loop: Header=BB233_386 Depth=1
	s_or_b64 exec, exec, s[30:31]
.LBB233_664:                            ;   in Loop: Header=BB233_386 Depth=1
	s_or_b64 exec, exec, s[28:29]
.LBB233_665:                            ;   in Loop: Header=BB233_386 Depth=1
	s_or_b64 exec, exec, s[26:27]
	v_cmp_lt_u32_e64 s[4:5], s34, v10
	s_and_saveexec_b64 s[26:27], s[4:5]
	s_cbranch_execz .LBB233_671
; %bb.666:                              ;   in Loop: Header=BB233_386 Depth=1
	v_cmp_ne_u32_sdwa s[4:5], v10, s7 src0_sel:BYTE_3 src1_sel:DWORD
	v_pk_mov_b32 v[20:21], s[12:13], s[12:13] op_sel:[0,1]
	s_and_saveexec_b64 s[28:29], s[4:5]
	s_cbranch_execz .LBB233_670
; %bb.667:                              ;   in Loop: Header=BB233_386 Depth=1
	v_bfe_u32 v11, v10, 24, 7
	s_mov_b32 s22, s12
	v_cmp_ne_u32_e64 s[4:5], s15, v11
	v_pk_mov_b32 v[20:21], s[22:23], s[22:23] op_sel:[0,1]
	s_and_saveexec_b64 s[30:31], s[4:5]
	s_cbranch_execz .LBB233_669
; %bb.668:                              ;   in Loop: Header=BB233_386 Depth=1
	v_mov_b32_e32 v20, 7
	v_and_b32_sdwa v48, v10, v20 dst_sel:DWORD dst_unused:UNUSED_PAD src0_sel:BYTE_3 src1_sel:DWORD
	v_ffbh_u32_e32 v20, v48
	v_min_u32_e32 v23, 32, v20
	v_subrev_u32_e32 v20, 28, v23
	v_lshlrev_b64 v[20:21], v20, v[48:49]
	v_lshrrev_b32_e32 v22, 3, v11
	v_sub_u32_e32 v21, 29, v23
	v_cmp_gt_u32_e64 s[4:5], 8, v11
	v_cndmask_b32_e64 v11, v22, v21, s[4:5]
	v_mov_b32_e32 v21, 24
	v_and_b32_e32 v20, 7, v20
	v_lshlrev_b32_sdwa v10, v21, v10 dst_sel:DWORD dst_unused:UNUSED_PAD src0_sel:DWORD src1_sel:BYTE_3
	v_bfrev_b32_e32 v21, 60
	v_cndmask_b32_e64 v20, v48, v20, s[4:5]
	v_lshl_add_u32 v11, v11, 23, v21
	v_and_or_b32 v10, v10, s13, v11
	v_lshlrev_b32_e32 v11, 20, v20
	v_or_b32_e32 v21, v10, v11
	v_mov_b32_e32 v20, v49
.LBB233_669:                            ;   in Loop: Header=BB233_386 Depth=1
	s_or_b64 exec, exec, s[30:31]
.LBB233_670:                            ;   in Loop: Header=BB233_386 Depth=1
	s_or_b64 exec, exec, s[28:29]
.LBB233_671:                            ;   in Loop: Header=BB233_386 Depth=1
	s_or_b64 exec, exec, s[26:27]
	v_or_b32_e32 v11, v17, v13
	v_or_b32_e32 v10, v16, v12
	v_pk_mul_f32 v[12:13], v[26:27], v[10:11]
	v_or_b32_e32 v11, v21, v19
	v_or_b32_e32 v10, v20, v18
	v_pk_mul_f32 v[16:17], v[26:27], v[10:11]
	s_and_saveexec_b64 s[26:27], vcc
	s_cbranch_execz .LBB233_673
; %bb.672:                              ;   in Loop: Header=BB233_386 Depth=1
	v_accvgpr_read_b32 v10, a6
	v_cmp_lt_i32_e64 s[4:5], v10, v62
	v_accvgpr_read_b32 v10, a9
	v_cndmask_b32_e64 v12, 0, v12, s[4:5]
	v_cmp_lt_i32_e64 s[4:5], v10, v62
	v_accvgpr_read_b32 v10, a8
	v_cndmask_b32_e64 v13, 0, v13, s[4:5]
	;; [unrolled: 3-line block ×3, first 2 shown]
	v_cmp_lt_i32_e64 s[4:5], v10, v62
	v_cndmask_b32_e64 v17, 0, v17, s[4:5]
.LBB233_673:                            ;   in Loop: Header=BB233_386 Depth=1
	s_or_b64 exec, exec, s[26:27]
	flat_load_dword v10, v[24:25] offset:2816
	v_pk_mov_b32 v[20:21], 0, 0
	v_pk_mov_b32 v[18:19], v[20:21], v[20:21] op_sel:[0,1]
	s_waitcnt vmcnt(0) lgkmcnt(0)
	v_cmp_ne_u16_sdwa s[4:5], v10, v49 src0_sel:BYTE_0 src1_sel:DWORD
	s_and_saveexec_b64 s[26:27], s[4:5]
	s_cbranch_execz .LBB233_679
; %bb.674:                              ;   in Loop: Header=BB233_386 Depth=1
	v_bfrev_b32_e32 v18, 1
	v_cmp_ne_u16_sdwa s[4:5], v10, s7 src0_sel:BYTE_0 src1_sel:DWORD
	v_mov_b32_e32 v19, 0
	s_and_saveexec_b64 s[28:29], s[4:5]
	s_cbranch_execz .LBB233_678
; %bb.675:                              ;   in Loop: Header=BB233_386 Depth=1
	v_and_b32_e32 v11, 0x7f, v10
	v_mov_b32_e32 v18, 0x7f800001
	v_cmp_ne_u32_e64 s[4:5], s15, v11
	v_mov_b32_e32 v19, 0
	s_and_saveexec_b64 s[30:31], s[4:5]
	s_cbranch_execz .LBB233_677
; %bb.676:                              ;   in Loop: Header=BB233_386 Depth=1
	v_and_b32_e32 v22, 7, v10
	v_ffbh_u32_e32 v18, v22
	v_min_u32_e32 v30, 32, v18
	v_subrev_u32_e32 v18, 28, v30
	v_lshlrev_b64 v[18:19], v18, v[10:11]
	v_lshrrev_b32_e32 v23, 3, v11
	v_sub_u32_e32 v19, 29, v30
	v_and_b32_e32 v18, 7, v18
	v_cmp_gt_u32_e64 s[4:5], 8, v11
	v_cndmask_b32_e64 v11, v23, v19, s[4:5]
	v_cndmask_b32_e64 v18, v22, v18, s[4:5]
	v_bfrev_b32_e32 v22, 60
	v_lshlrev_b32_e32 v18, 20, v18
	v_and_b32_sdwa v19, sext(v10), s13 dst_sel:DWORD dst_unused:UNUSED_PAD src0_sel:BYTE_0 src1_sel:DWORD
	v_lshl_add_u32 v11, v11, 23, v22
	v_or3_b32 v48, v19, v11, v18
	v_pk_mov_b32 v[18:19], v[48:49], v[48:49] op_sel:[0,1]
.LBB233_677:                            ;   in Loop: Header=BB233_386 Depth=1
	s_or_b64 exec, exec, s[30:31]
.LBB233_678:                            ;   in Loop: Header=BB233_386 Depth=1
	s_or_b64 exec, exec, s[28:29]
.LBB233_679:                            ;   in Loop: Header=BB233_386 Depth=1
	s_or_b64 exec, exec, s[26:27]
	v_cmp_ne_u16_sdwa s[4:5], v10, v49 src0_sel:BYTE_1 src1_sel:DWORD
	s_and_saveexec_b64 s[26:27], s[4:5]
	s_cbranch_execz .LBB233_685
; %bb.680:                              ;   in Loop: Header=BB233_386 Depth=1
	v_cmp_ne_u16_sdwa s[4:5], v10, s7 src0_sel:BYTE_1 src1_sel:DWORD
	v_pk_mov_b32 v[20:21], s[12:13], s[12:13] op_sel:[0,1]
	s_and_saveexec_b64 s[28:29], s[4:5]
	s_cbranch_execz .LBB233_684
; %bb.681:                              ;   in Loop: Header=BB233_386 Depth=1
	v_and_b32_sdwa v11, v10, s15 dst_sel:DWORD dst_unused:UNUSED_PAD src0_sel:BYTE_1 src1_sel:DWORD
	s_mov_b32 s22, s12
	v_cmp_ne_u32_e64 s[4:5], s15, v11
	v_pk_mov_b32 v[20:21], s[22:23], s[22:23] op_sel:[0,1]
	s_and_saveexec_b64 s[30:31], s[4:5]
	s_cbranch_execz .LBB233_683
; %bb.682:                              ;   in Loop: Header=BB233_386 Depth=1
	v_mov_b32_e32 v20, 7
	v_and_b32_sdwa v48, v10, v20 dst_sel:DWORD dst_unused:UNUSED_PAD src0_sel:BYTE_1 src1_sel:DWORD
	v_ffbh_u32_e32 v20, v48
	v_min_u32_e32 v23, 32, v20
	v_subrev_u32_e32 v20, 28, v23
	v_lshlrev_b64 v[20:21], v20, v[48:49]
	v_lshrrev_b32_e32 v22, 3, v11
	v_sub_u32_e32 v21, 29, v23
	v_cmp_gt_u32_e64 s[4:5], 8, v11
	v_and_b32_e32 v20, 7, v20
	v_cndmask_b32_e64 v11, v22, v21, s[4:5]
	v_bfrev_b32_e32 v22, 60
	v_cndmask_b32_e64 v20, v48, v20, s[4:5]
	v_lshlrev_b32_e32 v21, 16, v10
	v_lshl_add_u32 v11, v11, 23, v22
	v_and_or_b32 v11, v21, s13, v11
	v_lshlrev_b32_e32 v20, 20, v20
	v_or_b32_e32 v21, v11, v20
	v_mov_b32_e32 v20, v49
.LBB233_683:                            ;   in Loop: Header=BB233_386 Depth=1
	s_or_b64 exec, exec, s[30:31]
.LBB233_684:                            ;   in Loop: Header=BB233_386 Depth=1
	s_or_b64 exec, exec, s[28:29]
.LBB233_685:                            ;   in Loop: Header=BB233_386 Depth=1
	s_or_b64 exec, exec, s[26:27]
	v_lshrrev_b32_e32 v32, 16, v10
	v_pk_mov_b32 v[22:23], 0, 0
	v_cmp_ne_u16_sdwa s[4:5], v32, v49 src0_sel:BYTE_0 src1_sel:DWORD
	v_pk_mov_b32 v[30:31], v[22:23], v[22:23] op_sel:[0,1]
	s_and_saveexec_b64 s[26:27], s[4:5]
	s_cbranch_execz .LBB233_691
; %bb.686:                              ;   in Loop: Header=BB233_386 Depth=1
	v_bfrev_b32_e32 v30, 1
	v_cmp_ne_u16_sdwa s[4:5], v32, s7 src0_sel:BYTE_0 src1_sel:DWORD
	v_mov_b32_e32 v31, 0
	s_and_saveexec_b64 s[28:29], s[4:5]
	s_cbranch_execz .LBB233_690
; %bb.687:                              ;   in Loop: Header=BB233_386 Depth=1
	v_bfe_u32 v11, v10, 16, 7
	v_mov_b32_e32 v30, 0x7f800001
	v_cmp_ne_u32_e64 s[4:5], s15, v11
	v_mov_b32_e32 v31, 0
	s_and_saveexec_b64 s[30:31], s[4:5]
	s_cbranch_execz .LBB233_689
; %bb.688:                              ;   in Loop: Header=BB233_386 Depth=1
	v_and_b32_e32 v33, 7, v32
	v_ffbh_u32_e32 v30, v33
	v_min_u32_e32 v37, 32, v30
	v_subrev_u32_e32 v30, 28, v37
	v_lshlrev_b64 v[30:31], v30, v[32:33]
	v_lshrrev_b32_e32 v36, 3, v11
	v_sub_u32_e32 v31, 29, v37
	v_and_b32_e32 v30, 7, v30
	v_cmp_gt_u32_e64 s[4:5], 8, v11
	v_cndmask_b32_e64 v11, v36, v31, s[4:5]
	v_cndmask_b32_e64 v30, v33, v30, s[4:5]
	v_and_b32_sdwa v31, sext(v32), s13 dst_sel:DWORD dst_unused:UNUSED_PAD src0_sel:BYTE_0 src1_sel:DWORD
	v_bfrev_b32_e32 v32, 60
	v_lshlrev_b32_e32 v30, 20, v30
	v_lshl_add_u32 v11, v11, 23, v32
	v_or3_b32 v48, v31, v11, v30
	v_pk_mov_b32 v[30:31], v[48:49], v[48:49] op_sel:[0,1]
.LBB233_689:                            ;   in Loop: Header=BB233_386 Depth=1
	s_or_b64 exec, exec, s[30:31]
.LBB233_690:                            ;   in Loop: Header=BB233_386 Depth=1
	s_or_b64 exec, exec, s[28:29]
.LBB233_691:                            ;   in Loop: Header=BB233_386 Depth=1
	s_or_b64 exec, exec, s[26:27]
	v_cmp_lt_u32_e64 s[4:5], s34, v10
	s_and_saveexec_b64 s[26:27], s[4:5]
	s_cbranch_execz .LBB233_697
; %bb.692:                              ;   in Loop: Header=BB233_386 Depth=1
	v_cmp_ne_u32_sdwa s[4:5], v10, s7 src0_sel:BYTE_3 src1_sel:DWORD
	v_pk_mov_b32 v[22:23], s[12:13], s[12:13] op_sel:[0,1]
	s_and_saveexec_b64 s[28:29], s[4:5]
	s_cbranch_execz .LBB233_696
; %bb.693:                              ;   in Loop: Header=BB233_386 Depth=1
	v_bfe_u32 v11, v10, 24, 7
	s_mov_b32 s22, s12
	v_cmp_ne_u32_e64 s[4:5], s15, v11
	v_pk_mov_b32 v[22:23], s[22:23], s[22:23] op_sel:[0,1]
	s_and_saveexec_b64 s[30:31], s[4:5]
	s_cbranch_execz .LBB233_695
; %bb.694:                              ;   in Loop: Header=BB233_386 Depth=1
	v_mov_b32_e32 v22, 7
	v_and_b32_sdwa v48, v10, v22 dst_sel:DWORD dst_unused:UNUSED_PAD src0_sel:BYTE_3 src1_sel:DWORD
	v_ffbh_u32_e32 v22, v48
	v_min_u32_e32 v33, 32, v22
	v_subrev_u32_e32 v22, 28, v33
	v_lshlrev_b64 v[22:23], v22, v[48:49]
	v_lshrrev_b32_e32 v32, 3, v11
	v_sub_u32_e32 v23, 29, v33
	v_cmp_gt_u32_e64 s[4:5], 8, v11
	v_cndmask_b32_e64 v11, v32, v23, s[4:5]
	v_mov_b32_e32 v23, 24
	v_and_b32_e32 v22, 7, v22
	v_lshlrev_b32_sdwa v10, v23, v10 dst_sel:DWORD dst_unused:UNUSED_PAD src0_sel:DWORD src1_sel:BYTE_3
	v_bfrev_b32_e32 v23, 60
	v_cndmask_b32_e64 v22, v48, v22, s[4:5]
	v_lshl_add_u32 v11, v11, 23, v23
	v_and_or_b32 v10, v10, s13, v11
	v_lshlrev_b32_e32 v11, 20, v22
	v_or_b32_e32 v23, v10, v11
	v_mov_b32_e32 v22, v49
.LBB233_695:                            ;   in Loop: Header=BB233_386 Depth=1
	s_or_b64 exec, exec, s[30:31]
.LBB233_696:                            ;   in Loop: Header=BB233_386 Depth=1
	s_or_b64 exec, exec, s[28:29]
.LBB233_697:                            ;   in Loop: Header=BB233_386 Depth=1
	s_or_b64 exec, exec, s[26:27]
	v_or_b32_e32 v11, v21, v19
	v_or_b32_e32 v10, v20, v18
	;; [unrolled: 1-line block ×4, first 2 shown]
	v_pk_mul_f32 v[10:11], v[26:27], v[10:11]
	v_pk_mul_f32 v[18:19], v[26:27], v[18:19]
	s_and_saveexec_b64 s[26:27], vcc
	s_cbranch_execz .LBB233_699
; %bb.698:                              ;   in Loop: Header=BB233_386 Depth=1
	v_accvgpr_read_b32 v20, a6
	v_cmp_lt_i32_e64 s[4:5], v20, v62
	v_accvgpr_read_b32 v20, a9
	v_cndmask_b32_e64 v10, 0, v10, s[4:5]
	v_cmp_lt_i32_e64 s[4:5], v20, v62
	v_accvgpr_read_b32 v20, a8
	v_cndmask_b32_e64 v11, 0, v11, s[4:5]
	;; [unrolled: 3-line block ×3, first 2 shown]
	v_cmp_lt_i32_e64 s[4:5], v20, v62
	v_cndmask_b32_e64 v19, 0, v19, s[4:5]
.LBB233_699:                            ;   in Loop: Header=BB233_386 Depth=1
	s_or_b64 exec, exec, s[26:27]
	flat_load_dword v20, v[24:25] offset:3072
	v_pk_mov_b32 v[30:31], 0, 0
	v_pk_mov_b32 v[32:33], v[30:31], v[30:31] op_sel:[0,1]
	s_waitcnt vmcnt(0) lgkmcnt(0)
	v_cmp_ne_u16_sdwa s[4:5], v20, v49 src0_sel:BYTE_0 src1_sel:DWORD
	s_and_saveexec_b64 s[26:27], s[4:5]
	s_cbranch_execz .LBB233_705
; %bb.700:                              ;   in Loop: Header=BB233_386 Depth=1
	v_bfrev_b32_e32 v32, 1
	v_cmp_ne_u16_sdwa s[4:5], v20, s7 src0_sel:BYTE_0 src1_sel:DWORD
	v_mov_b32_e32 v33, 0
	s_and_saveexec_b64 s[28:29], s[4:5]
	s_cbranch_execz .LBB233_704
; %bb.701:                              ;   in Loop: Header=BB233_386 Depth=1
	v_and_b32_e32 v21, 0x7f, v20
	v_mov_b32_e32 v32, 0x7f800001
	v_cmp_ne_u32_e64 s[4:5], s15, v21
	v_mov_b32_e32 v33, 0
	s_and_saveexec_b64 s[30:31], s[4:5]
	s_cbranch_execz .LBB233_703
; %bb.702:                              ;   in Loop: Header=BB233_386 Depth=1
	v_and_b32_e32 v32, 7, v20
	v_ffbh_u32_e32 v22, v32
	v_min_u32_e32 v36, 32, v22
	v_subrev_u32_e32 v22, 28, v36
	v_lshlrev_b64 v[22:23], v22, v[20:21]
	v_lshrrev_b32_e32 v33, 3, v21
	v_sub_u32_e32 v23, 29, v36
	v_and_b32_e32 v22, 7, v22
	v_cmp_gt_u32_e64 s[4:5], 8, v21
	v_cndmask_b32_e64 v21, v33, v23, s[4:5]
	v_cndmask_b32_e64 v22, v32, v22, s[4:5]
	v_bfrev_b32_e32 v32, 60
	v_lshlrev_b32_e32 v22, 20, v22
	v_and_b32_sdwa v23, sext(v20), s13 dst_sel:DWORD dst_unused:UNUSED_PAD src0_sel:BYTE_0 src1_sel:DWORD
	v_lshl_add_u32 v21, v21, 23, v32
	v_or3_b32 v48, v23, v21, v22
	v_pk_mov_b32 v[32:33], v[48:49], v[48:49] op_sel:[0,1]
.LBB233_703:                            ;   in Loop: Header=BB233_386 Depth=1
	s_or_b64 exec, exec, s[30:31]
.LBB233_704:                            ;   in Loop: Header=BB233_386 Depth=1
	s_or_b64 exec, exec, s[28:29]
.LBB233_705:                            ;   in Loop: Header=BB233_386 Depth=1
	s_or_b64 exec, exec, s[26:27]
	v_cmp_ne_u16_sdwa s[4:5], v20, v49 src0_sel:BYTE_1 src1_sel:DWORD
	s_and_saveexec_b64 s[26:27], s[4:5]
	s_cbranch_execz .LBB233_711
; %bb.706:                              ;   in Loop: Header=BB233_386 Depth=1
	v_cmp_ne_u16_sdwa s[4:5], v20, s7 src0_sel:BYTE_1 src1_sel:DWORD
	v_pk_mov_b32 v[30:31], s[12:13], s[12:13] op_sel:[0,1]
	s_and_saveexec_b64 s[28:29], s[4:5]
	s_cbranch_execz .LBB233_710
; %bb.707:                              ;   in Loop: Header=BB233_386 Depth=1
	v_and_b32_sdwa v21, v20, s15 dst_sel:DWORD dst_unused:UNUSED_PAD src0_sel:BYTE_1 src1_sel:DWORD
	s_mov_b32 s22, s12
	v_cmp_ne_u32_e64 s[4:5], s15, v21
	v_pk_mov_b32 v[30:31], s[22:23], s[22:23] op_sel:[0,1]
	s_and_saveexec_b64 s[30:31], s[4:5]
	s_cbranch_execz .LBB233_709
; %bb.708:                              ;   in Loop: Header=BB233_386 Depth=1
	v_mov_b32_e32 v22, 7
	v_and_b32_sdwa v48, v20, v22 dst_sel:DWORD dst_unused:UNUSED_PAD src0_sel:BYTE_1 src1_sel:DWORD
	v_ffbh_u32_e32 v22, v48
	v_min_u32_e32 v31, 32, v22
	v_subrev_u32_e32 v22, 28, v31
	v_lshlrev_b64 v[22:23], v22, v[48:49]
	v_lshrrev_b32_e32 v30, 3, v21
	v_sub_u32_e32 v23, 29, v31
	v_cmp_gt_u32_e64 s[4:5], 8, v21
	v_and_b32_e32 v22, 7, v22
	v_cndmask_b32_e64 v21, v30, v23, s[4:5]
	v_bfrev_b32_e32 v30, 60
	v_cndmask_b32_e64 v22, v48, v22, s[4:5]
	v_lshlrev_b32_e32 v23, 16, v20
	v_lshl_add_u32 v21, v21, 23, v30
	v_and_or_b32 v21, v23, s13, v21
	v_lshlrev_b32_e32 v22, 20, v22
	v_or_b32_e32 v31, v21, v22
	v_mov_b32_e32 v30, v49
.LBB233_709:                            ;   in Loop: Header=BB233_386 Depth=1
	s_or_b64 exec, exec, s[30:31]
.LBB233_710:                            ;   in Loop: Header=BB233_386 Depth=1
	s_or_b64 exec, exec, s[28:29]
.LBB233_711:                            ;   in Loop: Header=BB233_386 Depth=1
	s_or_b64 exec, exec, s[26:27]
	v_lshrrev_b32_e32 v38, 16, v20
	v_pk_mov_b32 v[22:23], 0, 0
	v_cmp_ne_u16_sdwa s[4:5], v38, v49 src0_sel:BYTE_0 src1_sel:DWORD
	v_pk_mov_b32 v[36:37], v[22:23], v[22:23] op_sel:[0,1]
	s_and_saveexec_b64 s[26:27], s[4:5]
	s_cbranch_execz .LBB233_717
; %bb.712:                              ;   in Loop: Header=BB233_386 Depth=1
	v_bfrev_b32_e32 v36, 1
	v_cmp_ne_u16_sdwa s[4:5], v38, s7 src0_sel:BYTE_0 src1_sel:DWORD
	v_mov_b32_e32 v37, 0
	s_and_saveexec_b64 s[28:29], s[4:5]
	s_cbranch_execz .LBB233_716
; %bb.713:                              ;   in Loop: Header=BB233_386 Depth=1
	v_bfe_u32 v21, v20, 16, 7
	v_mov_b32_e32 v36, 0x7f800001
	v_cmp_ne_u32_e64 s[4:5], s15, v21
	v_mov_b32_e32 v37, 0
	s_and_saveexec_b64 s[30:31], s[4:5]
	s_cbranch_execz .LBB233_715
; %bb.714:                              ;   in Loop: Header=BB233_386 Depth=1
	v_and_b32_e32 v39, 7, v38
	v_ffbh_u32_e32 v36, v39
	v_min_u32_e32 v51, 32, v36
	v_subrev_u32_e32 v36, 28, v51
	v_lshlrev_b64 v[36:37], v36, v[38:39]
	v_lshrrev_b32_e32 v48, 3, v21
	v_sub_u32_e32 v37, 29, v51
	v_and_b32_e32 v36, 7, v36
	v_cmp_gt_u32_e64 s[4:5], 8, v21
	v_cndmask_b32_e64 v21, v48, v37, s[4:5]
	v_cndmask_b32_e64 v36, v39, v36, s[4:5]
	v_and_b32_sdwa v37, sext(v38), s13 dst_sel:DWORD dst_unused:UNUSED_PAD src0_sel:BYTE_0 src1_sel:DWORD
	v_bfrev_b32_e32 v38, 60
	v_lshlrev_b32_e32 v36, 20, v36
	v_lshl_add_u32 v21, v21, 23, v38
	v_or3_b32 v48, v37, v21, v36
	v_accvgpr_read_b32 v51, a1
	v_pk_mov_b32 v[36:37], v[48:49], v[48:49] op_sel:[0,1]
.LBB233_715:                            ;   in Loop: Header=BB233_386 Depth=1
	s_or_b64 exec, exec, s[30:31]
.LBB233_716:                            ;   in Loop: Header=BB233_386 Depth=1
	s_or_b64 exec, exec, s[28:29]
.LBB233_717:                            ;   in Loop: Header=BB233_386 Depth=1
	s_or_b64 exec, exec, s[26:27]
	v_cmp_lt_u32_e64 s[4:5], s34, v20
	s_and_saveexec_b64 s[26:27], s[4:5]
	s_cbranch_execz .LBB233_723
; %bb.718:                              ;   in Loop: Header=BB233_386 Depth=1
	v_cmp_ne_u32_sdwa s[4:5], v20, s7 src0_sel:BYTE_3 src1_sel:DWORD
	v_pk_mov_b32 v[22:23], s[12:13], s[12:13] op_sel:[0,1]
	s_and_saveexec_b64 s[28:29], s[4:5]
	s_cbranch_execz .LBB233_722
; %bb.719:                              ;   in Loop: Header=BB233_386 Depth=1
	v_bfe_u32 v21, v20, 24, 7
	s_mov_b32 s22, s12
	v_cmp_ne_u32_e64 s[4:5], s15, v21
	v_pk_mov_b32 v[22:23], s[22:23], s[22:23] op_sel:[0,1]
	s_and_saveexec_b64 s[30:31], s[4:5]
	s_cbranch_execz .LBB233_721
; %bb.720:                              ;   in Loop: Header=BB233_386 Depth=1
	v_mov_b32_e32 v22, 7
	v_and_b32_sdwa v48, v20, v22 dst_sel:DWORD dst_unused:UNUSED_PAD src0_sel:BYTE_3 src1_sel:DWORD
	v_ffbh_u32_e32 v22, v48
	v_min_u32_e32 v39, 32, v22
	v_subrev_u32_e32 v22, 28, v39
	v_lshlrev_b64 v[22:23], v22, v[48:49]
	v_lshrrev_b32_e32 v38, 3, v21
	v_sub_u32_e32 v23, 29, v39
	v_cmp_gt_u32_e64 s[4:5], 8, v21
	v_cndmask_b32_e64 v21, v38, v23, s[4:5]
	v_mov_b32_e32 v23, 24
	v_and_b32_e32 v22, 7, v22
	v_lshlrev_b32_sdwa v20, v23, v20 dst_sel:DWORD dst_unused:UNUSED_PAD src0_sel:DWORD src1_sel:BYTE_3
	v_bfrev_b32_e32 v23, 60
	v_cndmask_b32_e64 v22, v48, v22, s[4:5]
	v_lshl_add_u32 v21, v21, 23, v23
	v_and_or_b32 v20, v20, s13, v21
	v_lshlrev_b32_e32 v21, 20, v22
	v_or_b32_e32 v23, v20, v21
	v_mov_b32_e32 v22, v49
.LBB233_721:                            ;   in Loop: Header=BB233_386 Depth=1
	s_or_b64 exec, exec, s[30:31]
.LBB233_722:                            ;   in Loop: Header=BB233_386 Depth=1
	s_or_b64 exec, exec, s[28:29]
.LBB233_723:                            ;   in Loop: Header=BB233_386 Depth=1
	s_or_b64 exec, exec, s[26:27]
	v_or_b32_e32 v21, v31, v33
	v_or_b32_e32 v20, v30, v32
	;; [unrolled: 1-line block ×4, first 2 shown]
	v_pk_mul_f32 v[20:21], v[26:27], v[20:21]
	v_pk_mul_f32 v[30:31], v[26:27], v[22:23]
	s_and_saveexec_b64 s[26:27], vcc
	s_cbranch_execz .LBB233_725
; %bb.724:                              ;   in Loop: Header=BB233_386 Depth=1
	v_accvgpr_read_b32 v22, a6
	v_cmp_lt_i32_e64 s[4:5], v22, v62
	v_accvgpr_read_b32 v22, a9
	v_cndmask_b32_e64 v20, 0, v20, s[4:5]
	v_cmp_lt_i32_e64 s[4:5], v22, v62
	v_accvgpr_read_b32 v22, a8
	v_cndmask_b32_e64 v21, 0, v21, s[4:5]
	;; [unrolled: 3-line block ×3, first 2 shown]
	v_cmp_lt_i32_e64 s[4:5], v22, v62
	v_cndmask_b32_e64 v31, 0, v31, s[4:5]
.LBB233_725:                            ;   in Loop: Header=BB233_386 Depth=1
	s_or_b64 exec, exec, s[26:27]
	flat_load_dword v24, v[24:25] offset:3328
	v_pk_mov_b32 v[32:33], 0, 0
	v_pk_mov_b32 v[36:37], v[32:33], v[32:33] op_sel:[0,1]
	s_waitcnt vmcnt(0) lgkmcnt(0)
	v_cmp_ne_u16_sdwa s[4:5], v24, v49 src0_sel:BYTE_0 src1_sel:DWORD
	s_and_saveexec_b64 s[26:27], s[4:5]
	s_cbranch_execz .LBB233_731
; %bb.726:                              ;   in Loop: Header=BB233_386 Depth=1
	v_bfrev_b32_e32 v36, 1
	v_cmp_ne_u16_sdwa s[4:5], v24, s7 src0_sel:BYTE_0 src1_sel:DWORD
	v_mov_b32_e32 v37, 0
	s_and_saveexec_b64 s[28:29], s[4:5]
	s_cbranch_execz .LBB233_730
; %bb.727:                              ;   in Loop: Header=BB233_386 Depth=1
	v_and_b32_e32 v22, 0x7f, v24
	v_mov_b32_e32 v36, 0x7f800001
	v_cmp_ne_u32_e64 s[4:5], s15, v22
	v_mov_b32_e32 v37, 0
	s_and_saveexec_b64 s[30:31], s[4:5]
	s_cbranch_execz .LBB233_729
; %bb.728:                              ;   in Loop: Header=BB233_386 Depth=1
	v_and_b32_e32 v23, 7, v24
	v_ffbh_u32_e32 v36, v23
	v_min_u32_e32 v38, 32, v36
	v_lshrrev_b32_e32 v25, 3, v22
	v_subrev_u32_e32 v36, 28, v38
	v_lshlrev_b64 v[36:37], v36, v[24:25]
	v_sub_u32_e32 v37, 29, v38
	v_and_b32_e32 v36, 7, v36
	v_cmp_gt_u32_e64 s[4:5], 8, v22
	v_cndmask_b32_e64 v22, v25, v37, s[4:5]
	v_cndmask_b32_e64 v23, v23, v36, s[4:5]
	v_bfrev_b32_e32 v36, 60
	v_lshlrev_b32_e32 v23, 20, v23
	v_and_b32_sdwa v25, sext(v24), s13 dst_sel:DWORD dst_unused:UNUSED_PAD src0_sel:BYTE_0 src1_sel:DWORD
	v_lshl_add_u32 v22, v22, 23, v36
	v_or3_b32 v48, v25, v22, v23
	v_pk_mov_b32 v[36:37], v[48:49], v[48:49] op_sel:[0,1]
.LBB233_729:                            ;   in Loop: Header=BB233_386 Depth=1
	s_or_b64 exec, exec, s[30:31]
.LBB233_730:                            ;   in Loop: Header=BB233_386 Depth=1
	s_or_b64 exec, exec, s[28:29]
.LBB233_731:                            ;   in Loop: Header=BB233_386 Depth=1
	s_or_b64 exec, exec, s[26:27]
	v_cmp_ne_u16_sdwa s[4:5], v24, v49 src0_sel:BYTE_1 src1_sel:DWORD
	s_and_saveexec_b64 s[26:27], s[4:5]
	s_cbranch_execz .LBB233_737
; %bb.732:                              ;   in Loop: Header=BB233_386 Depth=1
	v_cmp_ne_u16_sdwa s[4:5], v24, s7 src0_sel:BYTE_1 src1_sel:DWORD
	v_pk_mov_b32 v[32:33], s[12:13], s[12:13] op_sel:[0,1]
	s_and_saveexec_b64 s[28:29], s[4:5]
	s_cbranch_execz .LBB233_736
; %bb.733:                              ;   in Loop: Header=BB233_386 Depth=1
	v_and_b32_sdwa v22, v24, s15 dst_sel:DWORD dst_unused:UNUSED_PAD src0_sel:BYTE_1 src1_sel:DWORD
	s_mov_b32 s22, s12
	v_cmp_ne_u32_e64 s[4:5], s15, v22
	v_pk_mov_b32 v[32:33], s[22:23], s[22:23] op_sel:[0,1]
	s_and_saveexec_b64 s[30:31], s[4:5]
	s_cbranch_execz .LBB233_735
; %bb.734:                              ;   in Loop: Header=BB233_386 Depth=1
	v_mov_b32_e32 v23, 7
	v_and_b32_sdwa v48, v24, v23 dst_sel:DWORD dst_unused:UNUSED_PAD src0_sel:BYTE_1 src1_sel:DWORD
	v_ffbh_u32_e32 v25, v48
	v_min_u32_e32 v25, 32, v25
	v_subrev_u32_e32 v32, 28, v25
	v_lshlrev_b64 v[32:33], v32, v[48:49]
	v_lshrrev_b32_e32 v23, 3, v22
	v_sub_u32_e32 v25, 29, v25
	v_and_b32_e32 v32, 7, v32
	v_cmp_gt_u32_e64 s[4:5], 8, v22
	v_cndmask_b32_e64 v22, v23, v25, s[4:5]
	v_cndmask_b32_e64 v23, v48, v32, s[4:5]
	v_bfrev_b32_e32 v32, 60
	v_lshlrev_b32_e32 v25, 16, v24
	v_lshl_add_u32 v22, v22, 23, v32
	v_and_or_b32 v22, v25, s13, v22
	v_lshlrev_b32_e32 v23, 20, v23
	v_or_b32_e32 v33, v22, v23
	v_mov_b32_e32 v32, v49
.LBB233_735:                            ;   in Loop: Header=BB233_386 Depth=1
	s_or_b64 exec, exec, s[30:31]
.LBB233_736:                            ;   in Loop: Header=BB233_386 Depth=1
	s_or_b64 exec, exec, s[28:29]
.LBB233_737:                            ;   in Loop: Header=BB233_386 Depth=1
	s_or_b64 exec, exec, s[26:27]
	v_lshrrev_b32_e32 v48, 16, v24
	v_pk_mov_b32 v[22:23], 0, 0
	v_cmp_ne_u16_sdwa s[4:5], v48, v49 src0_sel:BYTE_0 src1_sel:DWORD
	v_pk_mov_b32 v[38:39], v[22:23], v[22:23] op_sel:[0,1]
	s_and_saveexec_b64 s[26:27], s[4:5]
	s_cbranch_execz .LBB233_743
; %bb.738:                              ;   in Loop: Header=BB233_386 Depth=1
	v_bfrev_b32_e32 v38, 1
	v_cmp_ne_u16_sdwa s[4:5], v48, s7 src0_sel:BYTE_0 src1_sel:DWORD
	v_mov_b32_e32 v39, 0
	s_and_saveexec_b64 s[28:29], s[4:5]
	s_cbranch_execz .LBB233_742
; %bb.739:                              ;   in Loop: Header=BB233_386 Depth=1
	v_bfe_u32 v25, v24, 16, 7
	v_mov_b32_e32 v38, 0x7f800001
	v_cmp_ne_u32_e64 s[4:5], s15, v25
	v_mov_b32_e32 v39, 0
	s_and_saveexec_b64 s[30:31], s[4:5]
	s_cbranch_execz .LBB233_741
; %bb.740:                              ;   in Loop: Header=BB233_386 Depth=1
	v_and_b32_e32 v51, 7, v48
	v_accvgpr_write_b32 a20, v52
	v_ffbh_u32_e32 v38, v51
	v_accvgpr_write_b32 a21, v53
	v_min_u32_e32 v53, 32, v38
	v_subrev_u32_e32 v38, 28, v53
	v_lshlrev_b64 v[38:39], v38, v[48:49]
	v_lshrrev_b32_e32 v52, 3, v25
	v_sub_u32_e32 v39, 29, v53
	v_and_b32_e32 v38, 7, v38
	v_cmp_gt_u32_e64 s[4:5], 8, v25
	v_cndmask_b32_e64 v25, v52, v39, s[4:5]
	v_cndmask_b32_e64 v38, v51, v38, s[4:5]
	v_and_b32_sdwa v39, sext(v48), s13 dst_sel:DWORD dst_unused:UNUSED_PAD src0_sel:BYTE_0 src1_sel:DWORD
	v_bfrev_b32_e32 v48, 60
	v_lshlrev_b32_e32 v38, 20, v38
	v_lshl_add_u32 v25, v25, 23, v48
	v_accvgpr_read_b32 v53, a21
	v_or3_b32 v48, v39, v25, v38
	v_accvgpr_read_b32 v52, a20
	v_accvgpr_read_b32 v51, a1
	v_pk_mov_b32 v[38:39], v[48:49], v[48:49] op_sel:[0,1]
.LBB233_741:                            ;   in Loop: Header=BB233_386 Depth=1
	s_or_b64 exec, exec, s[30:31]
.LBB233_742:                            ;   in Loop: Header=BB233_386 Depth=1
	s_or_b64 exec, exec, s[28:29]
.LBB233_743:                            ;   in Loop: Header=BB233_386 Depth=1
	s_or_b64 exec, exec, s[26:27]
	v_cmp_lt_u32_e64 s[4:5], s34, v24
	s_and_saveexec_b64 s[26:27], s[4:5]
	s_cbranch_execz .LBB233_749
; %bb.744:                              ;   in Loop: Header=BB233_386 Depth=1
	v_cmp_ne_u32_sdwa s[4:5], v24, s7 src0_sel:BYTE_3 src1_sel:DWORD
	v_pk_mov_b32 v[22:23], s[12:13], s[12:13] op_sel:[0,1]
	s_and_saveexec_b64 s[28:29], s[4:5]
	s_cbranch_execz .LBB233_748
; %bb.745:                              ;   in Loop: Header=BB233_386 Depth=1
	v_bfe_u32 v25, v24, 24, 7
	s_mov_b32 s22, s12
	v_cmp_ne_u32_e64 s[4:5], s15, v25
	v_pk_mov_b32 v[22:23], s[22:23], s[22:23] op_sel:[0,1]
	s_and_saveexec_b64 s[30:31], s[4:5]
	s_cbranch_execz .LBB233_747
; %bb.746:                              ;   in Loop: Header=BB233_386 Depth=1
	v_mov_b32_e32 v22, 7
	v_and_b32_sdwa v48, v24, v22 dst_sel:DWORD dst_unused:UNUSED_PAD src0_sel:BYTE_3 src1_sel:DWORD
	v_ffbh_u32_e32 v22, v48
	v_accvgpr_write_b32 a20, v52
	v_accvgpr_write_b32 a21, v53
	v_min_u32_e32 v52, 32, v22
	v_subrev_u32_e32 v22, 28, v52
	v_lshlrev_b64 v[22:23], v22, v[48:49]
	v_lshrrev_b32_e32 v51, 3, v25
	v_sub_u32_e32 v23, 29, v52
	v_cmp_gt_u32_e64 s[4:5], 8, v25
	v_mov_b32_e32 v25, 24
	v_and_b32_e32 v22, 7, v22
	v_cndmask_b32_e64 v23, v51, v23, s[4:5]
	v_lshlrev_b32_sdwa v24, v25, v24 dst_sel:DWORD dst_unused:UNUSED_PAD src0_sel:DWORD src1_sel:BYTE_3
	v_bfrev_b32_e32 v25, 60
	v_cndmask_b32_e64 v22, v48, v22, s[4:5]
	v_lshl_add_u32 v23, v23, 23, v25
	v_accvgpr_read_b32 v53, a21
	v_and_or_b32 v23, v24, s13, v23
	v_lshlrev_b32_e32 v22, 20, v22
	v_accvgpr_read_b32 v52, a20
	v_accvgpr_read_b32 v51, a1
	v_or_b32_e32 v23, v23, v22
	v_mov_b32_e32 v22, v49
.LBB233_747:                            ;   in Loop: Header=BB233_386 Depth=1
	s_or_b64 exec, exec, s[30:31]
.LBB233_748:                            ;   in Loop: Header=BB233_386 Depth=1
	s_or_b64 exec, exec, s[28:29]
.LBB233_749:                            ;   in Loop: Header=BB233_386 Depth=1
	s_or_b64 exec, exec, s[26:27]
	v_or_b32_e32 v25, v33, v37
	v_or_b32_e32 v24, v32, v36
	;; [unrolled: 1-line block ×4, first 2 shown]
	v_pk_mul_f32 v[24:25], v[26:27], v[24:25]
	v_pk_mul_f32 v[26:27], v[26:27], v[22:23]
	s_and_saveexec_b64 s[4:5], vcc
	s_cbranch_execz .LBB233_384
; %bb.750:                              ;   in Loop: Header=BB233_386 Depth=1
	v_accvgpr_read_b32 v22, a6
	v_cmp_lt_i32_e32 vcc, v22, v62
	v_accvgpr_read_b32 v22, a9
	v_cndmask_b32_e32 v24, 0, v24, vcc
	v_cmp_lt_i32_e32 vcc, v22, v62
	v_accvgpr_read_b32 v22, a8
	v_cndmask_b32_e32 v25, 0, v25, vcc
	;; [unrolled: 3-line block ×3, first 2 shown]
	v_cmp_lt_i32_e32 vcc, v22, v62
	v_cndmask_b32_e32 v27, 0, v27, vcc
	s_branch .LBB233_384
.LBB233_751:
	s_or_b64 exec, exec, s[20:21]
	v_accvgpr_read_b32 v18, a22
	v_accvgpr_read_b32 v16, a24
	;; [unrolled: 1-line block ×13, first 2 shown]
.LBB233_752:
	s_or_b64 exec, exec, s[10:11]
	ds_bpermute_b32 v0, v21, v4
	ds_bpermute_b32 v1, v21, v5
	;; [unrolled: 1-line block ×4, first 2 shown]
	v_pk_mov_b32 v[12:13], v[6:7], v[6:7] op_sel:[0,1]
	ds_bpermute_b32 v6, v21, v12
	s_waitcnt lgkmcnt(0)
	v_pk_add_f32 v[0:1], v[4:5], v[0:1]
	ds_bpermute_b32 v4, v25, v0
	v_pk_add_f32 v[2:3], v[8:9], v[2:3]
	ds_bpermute_b32 v5, v25, v1
	ds_bpermute_b32 v8, v25, v2
	;; [unrolled: 1-line block ×4, first 2 shown]
	s_waitcnt lgkmcnt(0)
	v_pk_add_f32 v[0:1], v[0:1], v[4:5]
	ds_bpermute_b32 v4, v29, v0
	v_pk_add_f32 v[8:9], v[2:3], v[8:9]
	ds_bpermute_b32 v5, v29, v1
	ds_bpermute_b32 v10, v29, v8
	;; [unrolled: 1-line block ×3, first 2 shown]
	v_pk_add_f32 v[6:7], v[12:13], v[6:7]
	ds_bpermute_b32 v12, v25, v6
	s_waitcnt lgkmcnt(3)
	v_pk_add_f32 v[2:3], v[0:1], v[4:5]
	ds_bpermute_b32 v13, v25, v7
	s_waitcnt lgkmcnt(2)
	v_pk_add_f32 v[0:1], v[8:9], v[10:11]
	ds_bpermute_b32 v10, v21, v16
	ds_bpermute_b32 v11, v21, v17
	s_barrier
	s_waitcnt lgkmcnt(2)
	v_pk_add_f32 v[4:5], v[6:7], v[12:13]
	ds_bpermute_b32 v6, v29, v4
	ds_bpermute_b32 v7, v29, v5
	s_waitcnt lgkmcnt(2)
	v_pk_add_f32 v[10:11], v[16:17], v[10:11]
	ds_bpermute_b32 v14, v25, v10
	ds_bpermute_b32 v15, v25, v11
	;; [unrolled: 1-line block ×4, first 2 shown]
	s_waitcnt lgkmcnt(0)
	ds_bpermute_b32 v8, v21, v32
	v_pk_add_f32 v[14:15], v[10:11], v[14:15]
	ds_bpermute_b32 v9, v21, v33
	v_pk_add_f32 v[10:11], v[18:19], v[16:17]
	ds_bpermute_b32 v16, v25, v10
	ds_bpermute_b32 v17, v25, v11
	;; [unrolled: 1-line block ×3, first 2 shown]
	s_waitcnt lgkmcnt(3)
	v_pk_add_f32 v[8:9], v[32:33], v[8:9]
	ds_bpermute_b32 v12, v25, v8
	ds_bpermute_b32 v13, v25, v9
	s_waitcnt lgkmcnt(3)
	v_pk_add_f32 v[16:17], v[10:11], v[16:17]
	ds_bpermute_b32 v22, v29, v16
	ds_bpermute_b32 v23, v29, v17
	v_pk_add_f32 v[10:11], v[4:5], v[6:7]
	ds_bpermute_b32 v21, v21, v53
	s_waitcnt lgkmcnt(3)
	v_pk_add_f32 v[8:9], v[8:9], v[12:13]
	ds_bpermute_b32 v12, v29, v8
	s_waitcnt lgkmcnt(2)
	v_pk_add_f32 v[4:5], v[16:17], v[22:23]
	buffer_load_dword v16, off, s[0:3], s32 offset:468 ; 4-byte Folded Reload
	s_waitcnt lgkmcnt(1)
	v_pk_add_f32 v[20:21], v[52:53], v[20:21]
	ds_bpermute_b32 v13, v29, v9
	ds_bpermute_b32 v24, v25, v20
	;; [unrolled: 1-line block ×5, first 2 shown]
	s_waitcnt lgkmcnt(4)
	v_pk_add_f32 v[8:9], v[8:9], v[12:13]
	s_waitcnt lgkmcnt(2)
	v_pk_add_f32 v[12:13], v[20:21], v[24:25]
	;; [unrolled: 2-line block ×3, first 2 shown]
	ds_bpermute_b32 v14, v29, v12
	ds_bpermute_b32 v15, v29, v13
	s_waitcnt vmcnt(0)
	v_and_b32_e32 v16, 0x3c7, v16
	v_cmp_ne_u32_e32 vcc, 64, v16
	s_and_saveexec_b64 s[4:5], vcc
	s_xor_b64 s[4:5], exec, s[4:5]
; %bb.753:
                                        ; implicit-def: $vgpr28
; %bb.754:
	s_or_saveexec_b64 s[4:5], s[4:5]
	s_waitcnt lgkmcnt(0)
	v_pk_add_f32 v[12:13], v[12:13], v[14:15]
	s_xor_b64 exec, exec, s[4:5]
	s_cbranch_execz .LBB233_756
; %bb.755:
	s_load_dword s7, s[8:9], 0x0
	v_lshrrev_b32_e32 v14, 1, v28
	s_waitcnt lgkmcnt(0)
	v_add_u32_e32 v14, s7, v14
	ds_write2_b32 v14, v2, v3 offset1:8
	ds_write2_b32 v14, v0, v1 offset0:16 offset1:24
	ds_write2_b32 v14, v10, v11 offset0:32 offset1:40
	;; [unrolled: 1-line block ×6, first 2 shown]
.LBB233_756:
	s_or_b64 exec, exec, s[4:5]
	s_waitcnt lgkmcnt(0)
	s_barrier
	buffer_load_dword v14, off, s[0:3], s32 offset:468 ; 4-byte Folded Reload
	s_waitcnt vmcnt(0)
	v_cmp_gt_u32_e32 vcc, 64, v14
	s_and_saveexec_b64 s[4:5], vcc
	s_cbranch_execz .LBB233_773
; %bb.757:
	buffer_load_dword v14, off, s[0:3], s32 offset:468 ; 4-byte Folded Reload
	v_cmp_eq_u32_e32 vcc, 0, v26
	s_waitcnt vmcnt(0)
	v_lshrrev_b32_e32 v14, 3, v14
	s_and_saveexec_b64 s[10:11], vcc
	s_cbranch_execnz .LBB233_776
; %bb.758:
	s_or_b64 exec, exec, s[10:11]
	s_and_saveexec_b64 s[10:11], vcc
	s_cbranch_execnz .LBB233_777
.LBB233_759:
	s_or_b64 exec, exec, s[10:11]
	s_and_saveexec_b64 s[10:11], vcc
	s_cbranch_execnz .LBB233_778
.LBB233_760:
	s_or_b64 exec, exec, s[10:11]
	s_and_saveexec_b64 s[10:11], vcc
	s_cbranch_execnz .LBB233_779
.LBB233_761:
	s_or_b64 exec, exec, s[10:11]
	s_and_saveexec_b64 s[10:11], vcc
	s_cbranch_execnz .LBB233_780
.LBB233_762:
	s_or_b64 exec, exec, s[10:11]
	s_and_saveexec_b64 s[10:11], vcc
	s_cbranch_execnz .LBB233_781
.LBB233_763:
	s_or_b64 exec, exec, s[10:11]
	s_and_saveexec_b64 s[10:11], vcc
	s_cbranch_execnz .LBB233_782
.LBB233_764:
	s_or_b64 exec, exec, s[10:11]
	s_and_saveexec_b64 s[10:11], vcc
	s_cbranch_execnz .LBB233_783
.LBB233_765:
	s_or_b64 exec, exec, s[10:11]
	s_and_saveexec_b64 s[10:11], vcc
	s_cbranch_execnz .LBB233_784
.LBB233_766:
	s_or_b64 exec, exec, s[10:11]
	s_and_saveexec_b64 s[10:11], vcc
	s_cbranch_execnz .LBB233_785
.LBB233_767:
	s_or_b64 exec, exec, s[10:11]
	s_and_saveexec_b64 s[10:11], vcc
	s_cbranch_execnz .LBB233_786
.LBB233_768:
	s_or_b64 exec, exec, s[10:11]
	s_and_saveexec_b64 s[10:11], vcc
	s_cbranch_execnz .LBB233_787
.LBB233_769:
	s_or_b64 exec, exec, s[10:11]
	s_and_saveexec_b64 s[10:11], vcc
	s_cbranch_execnz .LBB233_788
.LBB233_770:
	s_or_b64 exec, exec, s[10:11]
	s_and_saveexec_b64 s[10:11], vcc
	s_cbranch_execz .LBB233_772
.LBB233_771:
	s_load_dword s7, s[8:9], 0x0
	s_waitcnt lgkmcnt(0)
	v_lshl_add_u32 v14, v14, 2, s7
	ds_read_b32 v14, v14 offset:416
	s_waitcnt lgkmcnt(0)
	v_add_f32_e32 v13, v14, v13
.LBB233_772:
	s_or_b64 exec, exec, s[10:11]
.LBB233_773:
	s_or_b64 exec, exec, s[4:5]
	v_cmp_eq_u32_e32 vcc, 0, v16
	s_barrier
	s_and_b64 exec, exec, vcc
	s_cbranch_execz .LBB233_775
; %bb.774:
	buffer_load_dword v15, off, s[0:3], s32 offset:508 ; 4-byte Folded Reload
	buffer_load_dword v16, off, s[0:3], s32 offset:512 ; 4-byte Folded Reload
	s_mul_i32 s4, s6, 0x70
	s_mul_i32 s6, s18, s19
	;; [unrolled: 1-line block ×3, first 2 shown]
	s_ashr_i32 s5, s4, 31
	s_ashr_i32 s7, s6, 31
	;; [unrolled: 1-line block ×3, first 2 shown]
	s_lshl_b64 s[4:5], s[4:5], 2
	s_lshl_b64 s[6:7], s[6:7], 2
	;; [unrolled: 1-line block ×3, first 2 shown]
	s_add_u32 s6, s8, s6
	s_addc_u32 s7, s9, s7
	s_add_u32 s4, s6, s4
	s_addc_u32 s5, s7, s5
	v_mov_b32_e32 v14, s5
	s_waitcnt vmcnt(1)
	v_add_co_u32_e32 v15, vcc, s4, v15
	s_waitcnt vmcnt(0)
	v_addc_co_u32_e32 v16, vcc, v14, v16, vcc
	buffer_load_dword v14, off, s[0:3], s32 offset:468 ; 4-byte Folded Reload
	s_waitcnt vmcnt(0)
	v_lshrrev_b32_e32 v14, 1, v14
	v_add_co_u32_e32 v14, vcc, v15, v14
	v_addc_co_u32_e32 v15, vcc, 0, v16, vcc
	flat_store_dword v[14:15], v2
	flat_store_dword v[14:15], v3 offset:32
	flat_store_dword v[14:15], v0 offset:64
	;; [unrolled: 1-line block ×13, first 2 shown]
.LBB233_775:
	s_or_b64 exec, exec, s[16:17]
	buffer_load_dword a63, off, s[0:3], s32 offset:8 ; 4-byte Folded Reload
	buffer_load_dword a62, off, s[0:3], s32 offset:12 ; 4-byte Folded Reload
	;; [unrolled: 1-line block ×47, first 2 shown]
	v_readlane_b32 s30, v63, 11
	v_readlane_b32 s31, v63, 12
	;; [unrolled: 1-line block ×13, first 2 shown]
	s_or_saveexec_b64 s[4:5], -1
	buffer_load_dword v63, off, s[0:3], s32 offset:588 ; 4-byte Folded Reload
	s_mov_b64 exec, s[4:5]
	s_waitcnt vmcnt(0) lgkmcnt(0)
	s_setpc_b64 s[30:31]
.LBB233_776:
	s_load_dword s7, s[8:9], 0x0
	s_waitcnt lgkmcnt(0)
	v_lshl_add_u32 v15, v14, 2, s7
	ds_read_b32 v15, v15
	s_waitcnt lgkmcnt(0)
	v_add_f32_e32 v2, v15, v2
	s_or_b64 exec, exec, s[10:11]
	s_and_saveexec_b64 s[10:11], vcc
	s_cbranch_execz .LBB233_759
.LBB233_777:
	s_load_dword s7, s[8:9], 0x0
	s_waitcnt lgkmcnt(0)
	v_lshl_add_u32 v15, v14, 2, s7
	ds_read_b32 v15, v15 offset:32
	s_waitcnt lgkmcnt(0)
	v_add_f32_e32 v3, v15, v3
	s_or_b64 exec, exec, s[10:11]
	s_and_saveexec_b64 s[10:11], vcc
	s_cbranch_execz .LBB233_760
.LBB233_778:
	s_load_dword s7, s[8:9], 0x0
	s_waitcnt lgkmcnt(0)
	v_lshl_add_u32 v15, v14, 2, s7
	ds_read_b32 v15, v15 offset:64
	s_waitcnt lgkmcnt(0)
	v_add_f32_e32 v0, v15, v0
	s_or_b64 exec, exec, s[10:11]
	s_and_saveexec_b64 s[10:11], vcc
	s_cbranch_execz .LBB233_761
.LBB233_779:
	s_load_dword s7, s[8:9], 0x0
	s_waitcnt lgkmcnt(0)
	v_lshl_add_u32 v15, v14, 2, s7
	ds_read_b32 v15, v15 offset:96
	s_waitcnt lgkmcnt(0)
	v_add_f32_e32 v1, v15, v1
	s_or_b64 exec, exec, s[10:11]
	s_and_saveexec_b64 s[10:11], vcc
	s_cbranch_execz .LBB233_762
.LBB233_780:
	s_load_dword s7, s[8:9], 0x0
	s_waitcnt lgkmcnt(0)
	v_lshl_add_u32 v15, v14, 2, s7
	ds_read_b32 v15, v15 offset:128
	s_waitcnt lgkmcnt(0)
	v_add_f32_e32 v10, v15, v10
	s_or_b64 exec, exec, s[10:11]
	s_and_saveexec_b64 s[10:11], vcc
	s_cbranch_execz .LBB233_763
.LBB233_781:
	s_load_dword s7, s[8:9], 0x0
	s_waitcnt lgkmcnt(0)
	v_lshl_add_u32 v15, v14, 2, s7
	ds_read_b32 v15, v15 offset:160
	s_waitcnt lgkmcnt(0)
	v_add_f32_e32 v11, v15, v11
	s_or_b64 exec, exec, s[10:11]
	s_and_saveexec_b64 s[10:11], vcc
	s_cbranch_execz .LBB233_764
.LBB233_782:
	s_load_dword s7, s[8:9], 0x0
	s_waitcnt lgkmcnt(0)
	v_lshl_add_u32 v15, v14, 2, s7
	ds_read_b32 v15, v15 offset:192
	s_waitcnt lgkmcnt(0)
	v_add_f32_e32 v8, v15, v8
	s_or_b64 exec, exec, s[10:11]
	s_and_saveexec_b64 s[10:11], vcc
	s_cbranch_execz .LBB233_765
.LBB233_783:
	s_load_dword s7, s[8:9], 0x0
	s_waitcnt lgkmcnt(0)
	v_lshl_add_u32 v15, v14, 2, s7
	ds_read_b32 v15, v15 offset:224
	s_waitcnt lgkmcnt(0)
	v_add_f32_e32 v9, v15, v9
	s_or_b64 exec, exec, s[10:11]
	s_and_saveexec_b64 s[10:11], vcc
	s_cbranch_execz .LBB233_766
.LBB233_784:
	s_load_dword s7, s[8:9], 0x0
	s_waitcnt lgkmcnt(0)
	v_lshl_add_u32 v15, v14, 2, s7
	ds_read_b32 v15, v15 offset:256
	s_waitcnt lgkmcnt(0)
	v_add_f32_e32 v6, v15, v6
	s_or_b64 exec, exec, s[10:11]
	s_and_saveexec_b64 s[10:11], vcc
	s_cbranch_execz .LBB233_767
.LBB233_785:
	s_load_dword s7, s[8:9], 0x0
	s_waitcnt lgkmcnt(0)
	v_lshl_add_u32 v15, v14, 2, s7
	ds_read_b32 v15, v15 offset:288
	s_waitcnt lgkmcnt(0)
	v_add_f32_e32 v7, v15, v7
	s_or_b64 exec, exec, s[10:11]
	s_and_saveexec_b64 s[10:11], vcc
	s_cbranch_execz .LBB233_768
.LBB233_786:
	s_load_dword s7, s[8:9], 0x0
	s_waitcnt lgkmcnt(0)
	v_lshl_add_u32 v15, v14, 2, s7
	ds_read_b32 v15, v15 offset:320
	s_waitcnt lgkmcnt(0)
	v_add_f32_e32 v4, v15, v4
	s_or_b64 exec, exec, s[10:11]
	s_and_saveexec_b64 s[10:11], vcc
	s_cbranch_execz .LBB233_769
.LBB233_787:
	s_load_dword s7, s[8:9], 0x0
	s_waitcnt lgkmcnt(0)
	v_lshl_add_u32 v15, v14, 2, s7
	ds_read_b32 v15, v15 offset:352
	s_waitcnt lgkmcnt(0)
	v_add_f32_e32 v5, v15, v5
	s_or_b64 exec, exec, s[10:11]
	s_and_saveexec_b64 s[10:11], vcc
	s_cbranch_execz .LBB233_770
.LBB233_788:
	s_load_dword s7, s[8:9], 0x0
	s_waitcnt lgkmcnt(0)
	v_lshl_add_u32 v15, v14, 2, s7
	ds_read_b32 v15, v15 offset:384
	s_waitcnt lgkmcnt(0)
	v_add_f32_e32 v12, v15, v12
	s_or_b64 exec, exec, s[10:11]
	s_and_saveexec_b64 s[10:11], vcc
	s_cbranch_execnz .LBB233_771
	s_branch .LBB233_772
.Lfunc_end233:
	.size	_ZN4vllm22paged_attention_kernelIfhLi112ELi32ELi128ELNS_18Fp8KVCacheDataTypeE1ELb1ELi512EEEvPfS2_PT_PKS3_PKT0_S9_ifPKiSB_iPKfiiiSD_SD_iiiii, .Lfunc_end233-_ZN4vllm22paged_attention_kernelIfhLi112ELi32ELi128ELNS_18Fp8KVCacheDataTypeE1ELb1ELi512EEEvPfS2_PT_PKS3_PKT0_S9_ifPKiSB_iPKfiiiSD_SD_iiiii
                                        ; -- End function
	.section	.AMDGPU.csdata,"",@progbits
; Function info:
; codeLenInByte = 37516
; NumSgprs: 49
; NumVgprs: 64
; NumAgprs: 64
; TotalNumVgprs: 128
; ScratchSize: 596
; MemoryBound: 0
	.section	.text._ZN4vllm25paged_attention_v2_kernelIfhLi112ELi32ELi128ELNS_18Fp8KVCacheDataTypeE1ELb1ELi512EEEvPfS2_PT_PKS3_PKT0_S9_ifPKiSB_iPKfiiiSD_SD_iiiii,"axG",@progbits,_ZN4vllm25paged_attention_v2_kernelIfhLi112ELi32ELi128ELNS_18Fp8KVCacheDataTypeE1ELb1ELi512EEEvPfS2_PT_PKS3_PKT0_S9_ifPKiSB_iPKfiiiSD_SD_iiiii,comdat
	.protected	_ZN4vllm25paged_attention_v2_kernelIfhLi112ELi32ELi128ELNS_18Fp8KVCacheDataTypeE1ELb1ELi512EEEvPfS2_PT_PKS3_PKT0_S9_ifPKiSB_iPKfiiiSD_SD_iiiii ; -- Begin function _ZN4vllm25paged_attention_v2_kernelIfhLi112ELi32ELi128ELNS_18Fp8KVCacheDataTypeE1ELb1ELi512EEEvPfS2_PT_PKS3_PKT0_S9_ifPKiSB_iPKfiiiSD_SD_iiiii
	.globl	_ZN4vllm25paged_attention_v2_kernelIfhLi112ELi32ELi128ELNS_18Fp8KVCacheDataTypeE1ELb1ELi512EEEvPfS2_PT_PKS3_PKT0_S9_ifPKiSB_iPKfiiiSD_SD_iiiii
	.p2align	8
	.type	_ZN4vllm25paged_attention_v2_kernelIfhLi112ELi32ELi128ELNS_18Fp8KVCacheDataTypeE1ELb1ELi512EEEvPfS2_PT_PKS3_PKT0_S9_ifPKiSB_iPKfiiiSD_SD_iiiii,@function
_ZN4vllm25paged_attention_v2_kernelIfhLi112ELi32ELi128ELNS_18Fp8KVCacheDataTypeE1ELb1ELi512EEEvPfS2_PT_PKS3_PKT0_S9_ifPKiSB_iPKfiiiSD_SD_iiiii: ; @_ZN4vllm25paged_attention_v2_kernelIfhLi112ELi32ELi128ELNS_18Fp8KVCacheDataTypeE1ELb1ELi512EEEvPfS2_PT_PKS3_PKT0_S9_ifPKiSB_iPKfiiiSD_SD_iiiii
; %bb.0:
	s_add_u32 flat_scratch_lo, s6, s11
	s_addc_u32 flat_scratch_hi, s7, 0
	s_add_u32 s0, s0, s11
	s_mov_b32 s12, s8
	s_load_dwordx8 s[24:31], s[4:5], 0x0
	s_load_dwordx8 s[16:23], s[4:5], 0x20
	s_load_dwordx2 s[6:7], s[4:5], 0x40
	s_load_dwordx4 s[44:47], s[4:5], 0x78
	s_load_dwordx2 s[34:35], s[4:5], 0x50
	s_load_dword s11, s[4:5], 0x48
	s_load_dword s8, s[4:5], 0x88
	s_load_dwordx8 s[36:43], s[4:5], 0x58
	s_mov_b32 s32, 0
	s_addc_u32 s1, s1, 0
	s_waitcnt lgkmcnt(0)
	v_mov_b32_e32 v1, s47
	buffer_store_dword v1, off, s[0:3], s32
	v_mov_b32_e32 v1, s8
	s_add_u32 s8, s4, 0x90
	s_mov_b32 s13, s9
	buffer_store_dword v1, off, s[0:3], s32 offset:4
	s_addc_u32 s9, s5, 0
	s_mov_b32 s14, s10
	s_mov_b32 s15, 29
	v_mov_b32_e32 v31, v0
	v_mov_b32_e32 v0, s24
	v_mov_b32_e32 v1, s25
	v_mov_b32_e32 v2, s26
	v_mov_b32_e32 v3, s27
	v_mov_b32_e32 v4, s28
	v_mov_b32_e32 v5, s29
	v_mov_b32_e32 v6, s30
	v_mov_b32_e32 v7, s31
	v_mov_b32_e32 v8, s16
	v_mov_b32_e32 v9, s17
	v_mov_b32_e32 v10, s18
	v_mov_b32_e32 v11, s19
	v_mov_b32_e32 v12, s20
	v_mov_b32_e32 v13, s21
	v_mov_b32_e32 v14, s22
	v_mov_b32_e32 v15, s23
	v_mov_b32_e32 v16, s6
	v_mov_b32_e32 v17, s7
	v_mov_b32_e32 v18, s11
	v_mov_b32_e32 v19, s34
	v_mov_b32_e32 v20, s35
	v_mov_b32_e32 v21, s36
	v_mov_b32_e32 v22, s37
	v_mov_b32_e32 v23, s38
	v_mov_b32_e32 v24, s40
	v_mov_b32_e32 v25, s41
	v_mov_b32_e32 v26, s42
	v_mov_b32_e32 v27, s43
	v_mov_b32_e32 v28, s44
	v_mov_b32_e32 v29, s45
	v_mov_b32_e32 v30, s46
	s_getpc_b64 s[4:5]
	s_add_u32 s4, s4, _ZN4vllm22paged_attention_kernelIfhLi112ELi32ELi128ELNS_18Fp8KVCacheDataTypeE1ELb1ELi512EEEvPfS2_PT_PKS3_PKT0_S9_ifPKiSB_iPKfiiiSD_SD_iiiii@rel32@lo+4
	s_addc_u32 s5, s5, _ZN4vllm22paged_attention_kernelIfhLi112ELi32ELi128ELNS_18Fp8KVCacheDataTypeE1ELb1ELi512EEEvPfS2_PT_PKS3_PKT0_S9_ifPKiSB_iPKfiiiSD_SD_iiiii@rel32@hi+12
	s_swappc_b64 s[30:31], s[4:5]
	s_endpgm
	.section	.rodata,"a",@progbits
	.p2align	6, 0x0
	.amdhsa_kernel _ZN4vllm25paged_attention_v2_kernelIfhLi112ELi32ELi128ELNS_18Fp8KVCacheDataTypeE1ELb1ELi512EEEvPfS2_PT_PKS3_PKT0_S9_ifPKiSB_iPKfiiiSD_SD_iiiii
		.amdhsa_group_segment_fixed_size 464
		.amdhsa_private_segment_fixed_size 596
		.amdhsa_kernarg_size 400
		.amdhsa_user_sgpr_count 8
		.amdhsa_user_sgpr_private_segment_buffer 1
		.amdhsa_user_sgpr_dispatch_ptr 0
		.amdhsa_user_sgpr_queue_ptr 0
		.amdhsa_user_sgpr_kernarg_segment_ptr 1
		.amdhsa_user_sgpr_dispatch_id 0
		.amdhsa_user_sgpr_flat_scratch_init 1
		.amdhsa_user_sgpr_kernarg_preload_length 0
		.amdhsa_user_sgpr_kernarg_preload_offset 0
		.amdhsa_user_sgpr_private_segment_size 0
		.amdhsa_uses_dynamic_stack 0
		.amdhsa_system_sgpr_private_segment_wavefront_offset 1
		.amdhsa_system_sgpr_workgroup_id_x 1
		.amdhsa_system_sgpr_workgroup_id_y 1
		.amdhsa_system_sgpr_workgroup_id_z 1
		.amdhsa_system_sgpr_workgroup_info 0
		.amdhsa_system_vgpr_workitem_id 0
		.amdhsa_next_free_vgpr 128
		.amdhsa_next_free_sgpr 48
		.amdhsa_accum_offset 64
		.amdhsa_reserve_vcc 1
		.amdhsa_reserve_flat_scratch 1
		.amdhsa_float_round_mode_32 0
		.amdhsa_float_round_mode_16_64 0
		.amdhsa_float_denorm_mode_32 3
		.amdhsa_float_denorm_mode_16_64 3
		.amdhsa_dx10_clamp 1
		.amdhsa_ieee_mode 1
		.amdhsa_fp16_overflow 0
		.amdhsa_tg_split 0
		.amdhsa_exception_fp_ieee_invalid_op 0
		.amdhsa_exception_fp_denorm_src 0
		.amdhsa_exception_fp_ieee_div_zero 0
		.amdhsa_exception_fp_ieee_overflow 0
		.amdhsa_exception_fp_ieee_underflow 0
		.amdhsa_exception_fp_ieee_inexact 0
		.amdhsa_exception_int_div_zero 0
	.end_amdhsa_kernel
	.section	.text._ZN4vllm25paged_attention_v2_kernelIfhLi112ELi32ELi128ELNS_18Fp8KVCacheDataTypeE1ELb1ELi512EEEvPfS2_PT_PKS3_PKT0_S9_ifPKiSB_iPKfiiiSD_SD_iiiii,"axG",@progbits,_ZN4vllm25paged_attention_v2_kernelIfhLi112ELi32ELi128ELNS_18Fp8KVCacheDataTypeE1ELb1ELi512EEEvPfS2_PT_PKS3_PKT0_S9_ifPKiSB_iPKfiiiSD_SD_iiiii,comdat
.Lfunc_end234:
	.size	_ZN4vllm25paged_attention_v2_kernelIfhLi112ELi32ELi128ELNS_18Fp8KVCacheDataTypeE1ELb1ELi512EEEvPfS2_PT_PKS3_PKT0_S9_ifPKiSB_iPKfiiiSD_SD_iiiii, .Lfunc_end234-_ZN4vllm25paged_attention_v2_kernelIfhLi112ELi32ELi128ELNS_18Fp8KVCacheDataTypeE1ELb1ELi512EEEvPfS2_PT_PKS3_PKT0_S9_ifPKiSB_iPKfiiiSD_SD_iiiii
                                        ; -- End function
	.section	.AMDGPU.csdata,"",@progbits
; Kernel info:
; codeLenInByte = 296
; NumSgprs: 54
; NumVgprs: 64
; NumAgprs: 64
; TotalNumVgprs: 128
; ScratchSize: 596
; MemoryBound: 0
; FloatMode: 240
; IeeeMode: 1
; LDSByteSize: 464 bytes/workgroup (compile time only)
; SGPRBlocks: 6
; VGPRBlocks: 15
; NumSGPRsForWavesPerEU: 54
; NumVGPRsForWavesPerEU: 128
; AccumOffset: 64
; Occupancy: 4
; WaveLimiterHint : 1
; COMPUTE_PGM_RSRC2:SCRATCH_EN: 1
; COMPUTE_PGM_RSRC2:USER_SGPR: 8
; COMPUTE_PGM_RSRC2:TRAP_HANDLER: 0
; COMPUTE_PGM_RSRC2:TGID_X_EN: 1
; COMPUTE_PGM_RSRC2:TGID_Y_EN: 1
; COMPUTE_PGM_RSRC2:TGID_Z_EN: 1
; COMPUTE_PGM_RSRC2:TIDIG_COMP_CNT: 0
; COMPUTE_PGM_RSRC3_GFX90A:ACCUM_OFFSET: 15
; COMPUTE_PGM_RSRC3_GFX90A:TG_SPLIT: 0
	.text
	.p2align	2                               ; -- Begin function _ZN4vllm22paged_attention_kernelIfhLi120ELi32ELi128ELNS_18Fp8KVCacheDataTypeE1ELb1ELi512EEEvPfS2_PT_PKS3_PKT0_S9_ifPKiSB_iPKfiiiSD_SD_iiiii
	.type	_ZN4vllm22paged_attention_kernelIfhLi120ELi32ELi128ELNS_18Fp8KVCacheDataTypeE1ELb1ELi512EEEvPfS2_PT_PKS3_PKT0_S9_ifPKiSB_iPKfiiiSD_SD_iiiii,@function
_ZN4vllm22paged_attention_kernelIfhLi120ELi32ELi128ELNS_18Fp8KVCacheDataTypeE1ELb1ELi512EEEvPfS2_PT_PKS3_PKT0_S9_ifPKiSB_iPKfiiiSD_SD_iiiii: ; @_ZN4vllm22paged_attention_kernelIfhLi120ELi32ELi128ELNS_18Fp8KVCacheDataTypeE1ELb1ELi512EEEvPfS2_PT_PKS3_PKT0_S9_ifPKiSB_iPKfiiiSD_SD_iiiii
; %bb.0:
	s_waitcnt vmcnt(0) expcnt(0) lgkmcnt(0)
	s_or_saveexec_b64 s[4:5], -1
	buffer_store_dword v63, off, s[0:3], s32 offset:624 ; 4-byte Folded Spill
	s_mov_b64 exec, s[4:5]
	buffer_store_dword v40, off, s[0:3], s32 offset:192 ; 4-byte Folded Spill
	buffer_store_dword v41, off, s[0:3], s32 offset:188 ; 4-byte Folded Spill
	;; [unrolled: 1-line block ×47, first 2 shown]
	v_writelane_b32 v63, s34, 0
	v_writelane_b32 v63, s35, 1
	;; [unrolled: 1-line block ×13, first 2 shown]
	s_mov_b32 s22, s13
	s_ashr_i32 s23, s13, 31
	s_lshl_b64 s[4:5], s[22:23], 2
	v_mov_b32_e32 v34, v1
	v_mov_b32_e32 v35, v0
	;; [unrolled: 1-line block ×3, first 2 shown]
	v_add_co_u32_e32 v0, vcc, s4, v16
	buffer_store_dword v24, off, s[0:3], s32 offset:488 ; 4-byte Folded Spill
	s_nop 0
	buffer_store_dword v25, off, s[0:3], s32 offset:492 ; 4-byte Folded Spill
	buffer_store_dword v22, off, s[0:3], s32 offset:268 ; 4-byte Folded Spill
	s_nop 0
	buffer_store_dword v23, off, s[0:3], s32 offset:272 ; 4-byte Folded Spill
	v_addc_co_u32_e32 v1, vcc, v17, v1, vcc
	buffer_store_dword v13, off, s[0:3], s32 offset:520 ; 4-byte Folded Spill
	flat_load_dword v62, v[0:1]
	v_mov_b32_e32 v33, v5
	v_mov_b32_e32 v32, v4
	buffer_load_dword v4, off, s[0:3], s32 offset:4
	buffer_load_dword v5, off, s[0:3], s32
	s_lshl_b32 s23, s14, 9
	v_mov_b32_e32 v25, v20
	v_mov_b32_e32 v24, v19
	;; [unrolled: 1-line block ×6, first 2 shown]
	s_waitcnt vmcnt(0) lgkmcnt(0)
	v_cmp_lt_i32_e32 vcc, s23, v62
	s_and_saveexec_b64 s[16:17], vcc
	s_cbranch_execz .LBB235_826
; %bb.1:
	v_sub_u32_e32 v0, 0, v12
	v_max_i32_e32 v0, v12, v0
	v_cvt_f32_u32_e32 v1, v0
	s_load_dword s4, s[8:9], 0x10
	s_load_dword s6, s[8:9], 0x0
	v_sub_u32_e32 v3, 0, v0
	s_mov_b32 s20, s15
	v_rcp_iflag_f32_e32 v1, v1
	s_waitcnt lgkmcnt(0)
	s_lshr_b32 s4, s4, 16
	s_cmp_lg_u32 s4, 0
	s_cselect_b64 s[4:5], -1, 0
	v_mul_f32_e32 v1, 0x4f7ffffe, v1
	v_cvt_u32_f32_e32 v1, v1
	s_cmp_lg_u64 s[4:5], 0
	s_addc_u32 s15, s6, 0
	s_abs_i32 s4, s15
	v_mul_lo_u32 v3, v3, v1
	v_mul_hi_u32 v3, v1, v3
	v_add_u32_e32 v1, v1, v3
	v_mul_hi_u32 v1, s4, v1
	v_mul_lo_u32 v3, v1, v0
	v_sub_u32_e32 v3, s4, v3
	v_add_u32_e32 v10, 1, v1
	v_cmp_ge_u32_e32 vcc, v3, v0
	v_cndmask_b32_e32 v1, v1, v10, vcc
	v_sub_u32_e32 v10, v3, v0
	v_cndmask_b32_e32 v3, v3, v10, vcc
	v_xor_b32_e32 v2, s15, v12
	v_add_u32_e32 v10, 1, v1
	v_cmp_ge_u32_e32 vcc, v3, v0
	v_ashrrev_i32_e32 v2, 31, v2
	v_cndmask_b32_e32 v0, v1, v10, vcc
	v_xor_b32_e32 v0, v0, v2
	v_sub_u32_e32 v3, v0, v2
	v_sub_u32_e32 v0, 0, v3
	v_max_i32_e32 v2, v3, v0
	v_cvt_f32_u32_e32 v0, v2
	v_sub_u32_e32 v1, 0, v2
	s_abs_i32 s6, s12
	v_cmp_ne_u64_e32 vcc, 0, v[24:25]
	v_rcp_iflag_f32_e32 v0, v0
	v_mul_f32_e32 v0, 0x4f7ffffe, v0
	v_cvt_u32_f32_e32 v0, v0
	v_mul_lo_u32 v1, v1, v0
	v_mul_hi_u32 v1, v0, v1
	v_add_u32_e32 v0, v0, v1
	v_mad_u64_u32 v[0:1], s[4:5], s6, v0, 0
	v_mov_b32_e32 v0, 0
	buffer_store_dword v0, off, s[0:3], s32 offset:516 ; 4-byte Folded Spill
	s_and_saveexec_b64 s[4:5], vcc
	s_cbranch_execz .LBB235_3
; %bb.2:
	s_ashr_i32 s13, s12, 31
	s_lshl_b64 s[10:11], s[12:13], 2
	v_mov_b32_e32 v0, s11
	v_add_co_u32_e32 v10, vcc, s10, v24
	v_addc_co_u32_e32 v11, vcc, v25, v0, vcc
	flat_load_dword v0, v[10:11]
	s_waitcnt vmcnt(0) lgkmcnt(0)
	buffer_store_dword v0, off, s[0:3], s32 offset:516 ; 4-byte Folded Spill
.LBB235_3:
	s_or_b64 exec, exec, s[4:5]
	v_and_b32_e32 v24, 0x3ff, v31
	s_ashr_i32 s7, s12, 31
	v_ashrrev_i32_e32 v0, 31, v3
	v_and_b32_e32 v10, 1, v24
	s_mul_i32 s18, s12, 0x78
	v_cmp_gt_u32_e32 vcc, 60, v24
	v_lshlrev_b32_e32 v31, 2, v24
	s_and_saveexec_b64 s[4:5], vcc
	s_cbranch_execz .LBB235_5
; %bb.4:
	v_mul_lo_u32 v16, s22, v21
	v_ashrrev_i32_e32 v17, 31, v16
	v_lshlrev_b64 v[16:17], 2, v[16:17]
	v_add_co_u32_e32 v3, vcc, v6, v16
	s_ashr_i32 s19, s18, 31
	v_addc_co_u32_e32 v6, vcc, v7, v17, vcc
	s_lshl_b64 s[10:11], s[18:19], 2
	v_mov_b32_e32 v7, s11
	v_add_co_u32_e32 v3, vcc, s10, v3
	v_addc_co_u32_e32 v7, vcc, v6, v7, vcc
	v_lshlrev_b32_e32 v6, 3, v24
	v_add_co_u32_e32 v6, vcc, v3, v6
	v_addc_co_u32_e32 v7, vcc, 0, v7, vcc
	flat_load_dwordx2 v[6:7], v[6:7]
	v_and_b32_e32 v3, 0xff8, v31
	s_movk_i32 s10, 0xf0
	v_mad_u32_u24 v3, v10, s10, v3
	s_waitcnt vmcnt(0) lgkmcnt(0)
	ds_write_b64 v3, v[6:7]
.LBB235_5:
	s_or_b64 exec, exec, s[4:5]
	v_mul_lo_u32 v3, v1, v2
	v_sub_u32_e32 v3, s6, v3
	v_add_u32_e32 v6, 1, v1
	v_cmp_ge_u32_e32 vcc, v3, v2
	v_cndmask_b32_e32 v1, v1, v6, vcc
	v_sub_u32_e32 v6, v3, v2
	v_cndmask_b32_e32 v3, v3, v6, vcc
	v_cmp_ge_u32_e32 vcc, v3, v2
	v_sub_u32_e32 v2, 0, v5
	v_max_i32_e32 v41, v5, v2
	v_cvt_f32_u32_e32 v2, v41
	v_add_u32_e32 v6, 1, v1
	v_xor_b32_e32 v0, s7, v0
	v_cndmask_b32_e32 v1, v1, v6, vcc
	v_xor_b32_e32 v1, v1, v0
	v_sub_u32_e32 v0, v1, v0
	v_rcp_iflag_f32_e32 v1, v2
	v_sub_u32_e32 v3, 0, v41
	v_add_u32_e32 v6, -1, v62
	s_waitcnt lgkmcnt(0)
	v_mul_f32_e32 v1, 0x4f7ffffe, v1
	v_cvt_u32_f32_e32 v2, v1
	v_sub_u32_e32 v1, 0, v6
	v_max_i32_e32 v1, v6, v1
	s_barrier
	v_mul_lo_u32 v3, v3, v2
	v_mul_hi_u32 v3, v2, v3
	v_add_u32_e32 v2, v2, v3
	buffer_store_dword v2, off, s[0:3], s32 offset:212 ; 4-byte Folded Spill
	v_mad_u64_u32 v[2:3], s[4:5], v1, v2, 0
	v_cmp_gt_i32_e32 vcc, 0, v4
                                        ; implicit-def: $vgpr2
	buffer_store_dword v2, off, s[0:3], s32 offset:200 ; 4-byte Folded Spill
	s_nop 0
	buffer_store_dword v3, off, s[0:3], s32 offset:204 ; 4-byte Folded Spill
	s_and_saveexec_b64 s[4:5], vcc
	s_xor_b64 s[4:5], exec, s[4:5]
	s_cbranch_execz .LBB235_7
; %bb.6:
	v_mad_u64_u32 v[12:13], s[6:7], v28, v12, v[0:1]
	v_mul_lo_u32 v2, v12, v4
	v_sub_u32_e32 v2, 1, v2
	buffer_store_dword v2, off, s[0:3], s32 offset:200 ; 4-byte Folded Spill
	s_nop 0
	buffer_store_dword v3, off, s[0:3], s32 offset:204 ; 4-byte Folded Spill
                                        ; implicit-def: $vgpr28
                                        ; implicit-def: $vgpr4
.LBB235_7:
	s_or_saveexec_b64 s[4:5], s[4:5]
	v_ashrrev_i32_e32 v2, 31, v6
	v_ashrrev_i32_e32 v5, 31, v5
	buffer_store_dword v5, off, s[0:3], s32 offset:196 ; 4-byte Folded Spill
	s_xor_b64 exec, exec, s[4:5]
	s_cbranch_execz .LBB235_9
; %bb.8:
	v_mul_lo_u32 v5, s15, v28
	v_add_u32_e32 v5, s12, v5
	v_mad_u64_u32 v[4:5], s[6:7], v5, v4, 1
	buffer_store_dword v4, off, s[0:3], s32 offset:200 ; 4-byte Folded Spill
	s_nop 0
	buffer_store_dword v5, off, s[0:3], s32 offset:204 ; 4-byte Folded Spill
.LBB235_9:
	s_or_b64 exec, exec, s[4:5]
	s_load_dword s42, s[8:9], 0x14
	s_load_dword s13, s[8:9], 0x8
	buffer_load_dword v6, off, s[0:3], s32 offset:196 ; 4-byte Folded Reload
	v_mul_lo_u32 v4, s22, v18
	s_lshl_b32 s19, s14, 4
	v_lshrrev_b32_e32 v13, 6, v24
	v_ashrrev_i32_e32 v5, 31, v4
	s_add_i32 s4, s19, 16
	v_mul_lo_u32 v39, v0, v23
	v_mov_b32_e32 v11, 0xff7fffff
	v_ashrrev_i32_e32 v48, 31, v39
	v_sub_u32_e32 v49, 0, v30
	v_lshl_add_u32 v40, v13, 5, s23
	s_waitcnt vmcnt(0)
	v_xor_b32_e32 v2, v2, v6
	v_mul_lo_u32 v6, v3, v41
	v_sub_u32_e32 v1, v1, v6
	v_add_u32_e32 v6, 1, v3
	v_cmp_ge_u32_e32 vcc, v1, v41
	v_cndmask_b32_e32 v3, v3, v6, vcc
	v_sub_u32_e32 v6, v1, v41
	v_cndmask_b32_e32 v1, v1, v6, vcc
	v_add_u32_e32 v6, 1, v3
	v_cmp_ge_u32_e32 vcc, v1, v41
	v_cndmask_b32_e32 v1, v3, v6, vcc
	v_xor_b32_e32 v1, v1, v2
	v_sub_u32_e32 v1, v1, v2
	v_add_u32_e32 v2, 31, v62
	v_ashrrev_i32_e32 v3, 31, v2
	v_lshrrev_b32_e32 v3, 27, v3
	v_add_u32_e32 v2, v2, v3
	v_ashrrev_i32_e32 v38, 5, v2
	v_or_b32_e32 v6, s19, v13
	v_sub_u32_e32 v1, v1, v29
	v_min_i32_e32 v2, s4, v38
	buffer_store_dword v1, off, s[0:3], s32 offset:216 ; 4-byte Folded Spill
	v_ashrrev_i32_e32 v7, 31, v6
	v_lshlrev_b64 v[0:1], 2, v[4:5]
	buffer_store_dword v2, off, s[0:3], s32 offset:208 ; 4-byte Folded Spill
	v_accvgpr_write_b32 a13, v7
	buffer_store_dword v0, off, s[0:3], s32 offset:540 ; 4-byte Folded Spill
	s_nop 0
	buffer_store_dword v1, off, s[0:3], s32 offset:544 ; 4-byte Folded Spill
	v_cmp_lt_i32_e64 s[4:5], v6, v2
	v_accvgpr_write_b32 a12, v6
	v_mbcnt_lo_u32_b32 v0, -1, 0
	s_mov_b64 s[24:25], exec
	s_and_b64 s[6:7], s[24:25], s[4:5]
	buffer_store_dword v26, off, s[0:3], s32 offset:532 ; 4-byte Folded Spill
	s_nop 0
	buffer_store_dword v27, off, s[0:3], s32 offset:536 ; 4-byte Folded Spill
	s_mov_b64 exec, s[6:7]
	s_cbranch_execz .LBB235_379
; %bb.10:
	v_bfe_u32 v11, v24, 1, 5
	v_mov_b32_e32 v4, v0
	v_add_co_u32_e32 v0, vcc, v8, v39
	v_addc_co_u32_e32 v1, vcc, v9, v48, vcc
	v_lshlrev_b32_e32 v2, 4, v11
	v_add_co_u32_e32 v0, vcc, v0, v2
	v_addc_co_u32_e32 v1, vcc, 0, v1, vcc
	buffer_store_dword v38, off, s[0:3], s32 offset:560 ; 4-byte Folded Spill
	buffer_store_dword v31, off, s[0:3], s32 offset:548 ; 4-byte Folded Spill
	;; [unrolled: 1-line block ×15, first 2 shown]
	s_nop 0
	buffer_store_dword v1, off, s[0:3], s32 offset:512 ; 4-byte Folded Spill
	buffer_store_dword v30, off, s[0:3], s32 offset:608 ; 4-byte Folded Spill
	;; [unrolled: 1-line block ×3, first 2 shown]
	buffer_load_dword v1, off, s[0:3], s32 offset:516 ; 4-byte Folded Reload
	v_lshlrev_b32_e32 v0, 1, v10
	v_max_i32_e32 v2, v30, v49
	v_accvgpr_write_b32 a40, v0
	v_cvt_f32_u32_e32 v0, v2
	s_ashr_i32 s21, s20, 31
	s_lshl_b64 s[10:11], s[20:21], 2
	s_getpc_b64 s[28:29]
	s_add_u32 s28, s28, llvm.amdgcn.dynlds.offset.table@rel32@lo+4
	s_addc_u32 s29, s29, llvm.amdgcn.dynlds.offset.table@rel32@hi+12
	v_rcp_iflag_f32_e32 v0, v0
	s_add_u32 s28, s10, s28
	s_addc_u32 s29, s11, s29
	s_load_dword s21, s[28:29], 0x0
	v_mul_f32_e32 v0, 0x4f7ffffe, v0
	v_cvt_u32_f32_e32 v0, v0
	buffer_store_dword v2, off, s[0:3], s32 offset:284 ; 4-byte Folded Spill
	v_lshl_add_u32 v53, v13, 5, s23
	s_mov_b32 s26, 0
	s_brev_b32 s27, 1
	v_cmp_eq_u32_e64 s[6:7], 0, v10
	v_mov_b32_e32 v5, 0
	v_mul_u32_u24_e32 v31, 0xf0, v10
	s_mov_b64 s[30:31], 0
	s_movk_i32 s43, 0x80
	s_movk_i32 s44, 0x7f
	s_mov_b32 s35, 0x7f800001
	s_waitcnt vmcnt(1)
	v_cmp_neq_f32_e64 s[8:9], 0, v1
	v_sub_u32_e32 v1, 0, v2
	v_mul_lo_u32 v1, v1, v0
	v_mul_hi_u32 v1, v0, v1
	v_add_u32_e32 v0, v0, v1
	buffer_store_dword v0, off, s[0:3], s32 offset:276 ; 4-byte Folded Spill
	s_nop 0
	buffer_store_dword v1, off, s[0:3], s32 offset:280 ; 4-byte Folded Spill
	buffer_load_dword v6, off, s[0:3], s32 offset:540 ; 4-byte Folded Reload
	buffer_load_dword v7, off, s[0:3], s32 offset:544 ; 4-byte Folded Reload
	v_accvgpr_read_b32 v2, a12
	v_accvgpr_read_b32 v3, a13
	v_lshlrev_b64 v[0:1], 2, v[2:3]
	buffer_store_dword v13, off, s[0:3], s32 offset:576 ; 4-byte Folded Spill
	v_mov_b32_e32 v40, v2
	buffer_store_dword v14, off, s[0:3], s32 offset:616 ; 4-byte Folded Spill
	buffer_store_dword v15, off, s[0:3], s32 offset:620 ; 4-byte Folded Spill
	buffer_store_dword v11, off, s[0:3], s32 offset:524 ; 4-byte Folded Spill
	buffer_store_dword v41, off, s[0:3], s32 offset:504 ; 4-byte Folded Spill
	s_waitcnt vmcnt(6)
	v_add_co_u32_e32 v0, vcc, v6, v0
	s_waitcnt vmcnt(5)
	v_addc_co_u32_e32 v1, vcc, v7, v1, vcc
	v_add_co_u32_e32 v26, vcc, v14, v0
	v_lshlrev_b32_e32 v0, 2, v11
	v_lshl_or_b32 v13, v13, 7, v0
	v_sub_u32_e32 v0, v11, v62
	v_add_u32_e32 v0, 1, v0
	buffer_store_dword v0, off, s[0:3], s32 offset:528 ; 4-byte Folded Spill
	v_mbcnt_hi_u32_b32 v0, -1, v4
	v_addc_co_u32_e32 v27, vcc, v15, v1, vcc
	buffer_store_dword v0, off, s[0:3], s32 offset:500 ; 4-byte Folded Spill
	v_mov_b32_e32 v0, 0xff7fffff
	buffer_store_dword v0, off, s[0:3], s32 offset:496 ; 4-byte Folded Spill
	s_branch .LBB235_13
.LBB235_11:                             ;   in Loop: Header=BB235_13 Depth=1
	s_or_b64 exec, exec, s[36:37]
.LBB235_12:                             ;   in Loop: Header=BB235_13 Depth=1
	s_or_b64 exec, exec, s[10:11]
	buffer_load_dword v0, off, s[0:3], s32 offset:208 ; 4-byte Folded Reload
	v_add_co_u32_e32 v26, vcc, 8, v26
	v_add_u32_e32 v40, 2, v40
	v_addc_co_u32_e32 v27, vcc, 0, v27, vcc
	v_add_u32_e32 v53, 64, v53
	v_add_u32_e32 v13, 0x100, v13
	s_waitcnt vmcnt(0)
	v_cmp_ge_i32_e32 vcc, v40, v0
	s_or_b64 s[30:31], vcc, s[30:31]
	s_andn2_b64 exec, exec, s[30:31]
	s_cbranch_execz .LBB235_378
.LBB235_13:                             ; =>This Inner Loop Header: Depth=1
	s_waitcnt lgkmcnt(0)
	buffer_load_dword v1, off, s[0:3], s32 offset:196 ; 4-byte Folded Reload
	buffer_load_dword v2, off, s[0:3], s32 offset:212 ; 4-byte Folded Reload
	v_ashrrev_i32_e32 v0, 31, v53
	s_waitcnt vmcnt(1)
	v_xor_b32_e32 v0, v0, v1
	v_sub_u32_e32 v1, 0, v53
	v_max_i32_e32 v1, v53, v1
	s_waitcnt vmcnt(0)
	v_mul_hi_u32 v2, v1, v2
	v_mul_lo_u32 v3, v2, v41
	v_sub_u32_e32 v1, v1, v3
	v_add_u32_e32 v3, 1, v2
	v_cmp_ge_u32_e32 vcc, v1, v41
	v_cndmask_b32_e32 v2, v2, v3, vcc
	v_sub_u32_e32 v3, v1, v41
	v_cndmask_b32_e32 v1, v1, v3, vcc
	v_add_u32_e32 v3, 1, v2
	v_cmp_ge_u32_e32 vcc, v1, v41
	v_cndmask_b32_e32 v1, v2, v3, vcc
	buffer_load_dword v2, off, s[0:3], s32 offset:200 ; 4-byte Folded Reload
	buffer_load_dword v3, off, s[0:3], s32 offset:204 ; 4-byte Folded Reload
	;; [unrolled: 1-line block ×5, first 2 shown]
	v_xor_b32_e32 v1, v1, v0
	v_sub_u32_e32 v0, v1, v0
	s_waitcnt vmcnt(4)
	v_add_u32_e32 v1, v0, v2
	s_waitcnt vmcnt(3)
	v_sub_u32_e32 v3, 0, v1
	v_ashrrev_i32_e32 v2, 31, v1
	v_max_i32_e32 v1, v1, v3
	s_waitcnt vmcnt(2)
	v_mul_hi_u32 v3, v1, v6
	s_waitcnt vmcnt(0)
	v_mul_lo_u32 v3, v3, v4
	v_sub_u32_e32 v1, v1, v3
	v_sub_u32_e32 v3, v1, v4
	v_cmp_ge_u32_e32 vcc, v1, v4
	v_cndmask_b32_e32 v1, v1, v3, vcc
	v_sub_u32_e32 v3, v1, v4
	v_cmp_ge_u32_e32 vcc, v1, v4
	v_cndmask_b32_e32 v1, v1, v3, vcc
	v_xor_b32_e32 v1, v1, v2
	v_sub_u32_e32 v1, v1, v2
	v_cmp_ne_u32_e32 vcc, 0, v1
	buffer_load_dword v1, off, s[0:3], s32 offset:216 ; 4-byte Folded Reload
	s_waitcnt vmcnt(0)
	v_cmp_le_i32_e64 s[10:11], v0, v1
	s_and_b64 s[10:11], vcc, s[10:11]
	s_and_b64 s[36:37], s[6:7], s[10:11]
	s_and_saveexec_b64 vcc, s[36:37]
	s_cbranch_execz .LBB235_15
; %bb.14:                               ;   in Loop: Header=BB235_13 Depth=1
	s_waitcnt lgkmcnt(0)
	v_add_u32_e32 v0, s21, v13
	v_mov_b32_e32 v1, 0xff7fffff
	ds_write_b32 v0, v1
.LBB235_15:                             ;   in Loop: Header=BB235_13 Depth=1
	s_or_b64 exec, exec, vcc
	s_xor_b64 vcc, s[10:11], -1
	s_and_saveexec_b64 s[10:11], vcc
	s_cbranch_execz .LBB235_12
; %bb.16:                               ;   in Loop: Header=BB235_13 Depth=1
	flat_load_dword v0, v[26:27]
	buffer_load_dword v2, off, s[0:3], s32 offset:268 ; 4-byte Folded Reload
	buffer_load_dword v3, off, s[0:3], s32 offset:272 ; 4-byte Folded Reload
	;; [unrolled: 1-line block ×4, first 2 shown]
	v_pk_mov_b32 v[18:19], 0, 0
	v_pk_mov_b32 v[16:17], v[18:19], v[18:19] op_sel:[0,1]
	s_waitcnt vmcnt(0) lgkmcnt(0)
	v_mad_i64_i32 v[0:1], vcc, v0, v2, v[6:7]
	v_accvgpr_read_b32 v2, a40
	v_add_co_u32_e32 v24, vcc, v0, v2
	v_addc_co_u32_e32 v25, vcc, 0, v1, vcc
	flat_load_ushort v1, v[24:25]
	buffer_load_dword v2, off, s[0:3], s32 offset:488 ; 4-byte Folded Reload
	buffer_load_dword v3, off, s[0:3], s32 offset:492 ; 4-byte Folded Reload
	ds_read_b128 v[6:9], v31
	s_waitcnt vmcnt(0) lgkmcnt(0)
	v_and_b32_e32 v0, 0xffff, v1
	flat_load_dword v12, v[2:3]
	s_nop 0
	buffer_store_dword v6, off, s[0:3], s32 offset:472 ; 4-byte Folded Spill
	s_nop 0
	buffer_store_dword v7, off, s[0:3], s32 offset:476 ; 4-byte Folded Spill
	buffer_store_dword v8, off, s[0:3], s32 offset:480 ; 4-byte Folded Spill
	buffer_store_dword v9, off, s[0:3], s32 offset:484 ; 4-byte Folded Spill
	ds_read_b128 v[6:9], v31 offset:16
	s_waitcnt lgkmcnt(0)
	buffer_store_dword v6, off, s[0:3], s32 offset:456 ; 4-byte Folded Spill
	s_nop 0
	buffer_store_dword v7, off, s[0:3], s32 offset:460 ; 4-byte Folded Spill
	buffer_store_dword v8, off, s[0:3], s32 offset:464 ; 4-byte Folded Spill
	buffer_store_dword v9, off, s[0:3], s32 offset:468 ; 4-byte Folded Spill
	ds_read_b128 v[6:9], v31 offset:32
	s_waitcnt lgkmcnt(0)
	;; [unrolled: 7-line block ×7, first 2 shown]
	buffer_store_dword v6, off, s[0:3], s32 offset:360 ; 4-byte Folded Spill
	s_nop 0
	buffer_store_dword v7, off, s[0:3], s32 offset:364 ; 4-byte Folded Spill
	buffer_store_dword v8, off, s[0:3], s32 offset:368 ; 4-byte Folded Spill
	buffer_store_dword v9, off, s[0:3], s32 offset:372 ; 4-byte Folded Spill
	ds_read_b64 v[2:3], v31 offset:192
	s_waitcnt lgkmcnt(0)
	buffer_store_dword v2, off, s[0:3], s32 offset:288 ; 4-byte Folded Spill
	s_nop 0
	buffer_store_dword v3, off, s[0:3], s32 offset:292 ; 4-byte Folded Spill
	ds_read_b128 v[6:9], v31 offset:128
	s_waitcnt lgkmcnt(0)
	buffer_store_dword v6, off, s[0:3], s32 offset:344 ; 4-byte Folded Spill
	s_nop 0
	buffer_store_dword v7, off, s[0:3], s32 offset:348 ; 4-byte Folded Spill
	buffer_store_dword v8, off, s[0:3], s32 offset:352 ; 4-byte Folded Spill
	buffer_store_dword v9, off, s[0:3], s32 offset:356 ; 4-byte Folded Spill
	ds_read_b128 v[6:9], v31 offset:144
	s_waitcnt lgkmcnt(0)
	buffer_store_dword v6, off, s[0:3], s32 offset:328 ; 4-byte Folded Spill
	s_nop 0
	buffer_store_dword v7, off, s[0:3], s32 offset:332 ; 4-byte Folded Spill
	buffer_store_dword v8, off, s[0:3], s32 offset:336 ; 4-byte Folded Spill
	;; [unrolled: 7-line block ×3, first 2 shown]
	buffer_store_dword v9, off, s[0:3], s32 offset:324 ; 4-byte Folded Spill
	ds_read_b128 v[6:9], v31 offset:176
	v_cmp_ne_u16_sdwa vcc, v1, v5 src0_sel:BYTE_0 src1_sel:DWORD
	s_waitcnt lgkmcnt(0)
	buffer_store_dword v6, off, s[0:3], s32 offset:296 ; 4-byte Folded Spill
	s_nop 0
	buffer_store_dword v7, off, s[0:3], s32 offset:300 ; 4-byte Folded Spill
	buffer_store_dword v8, off, s[0:3], s32 offset:304 ; 4-byte Folded Spill
	;; [unrolled: 1-line block ×3, first 2 shown]
	s_and_saveexec_b64 s[36:37], vcc
	s_cbranch_execz .LBB235_22
; %bb.17:                               ;   in Loop: Header=BB235_13 Depth=1
	v_bfrev_b32_e32 v16, 1
	v_cmp_ne_u16_sdwa vcc, v0, s43 src0_sel:BYTE_0 src1_sel:DWORD
	v_mov_b32_e32 v17, 0
	s_and_saveexec_b64 s[38:39], vcc
	s_cbranch_execz .LBB235_21
; %bb.18:                               ;   in Loop: Header=BB235_13 Depth=1
	v_and_b32_e32 v1, 0x7f, v0
	v_mov_b32_e32 v16, 0x7f800001
	v_cmp_ne_u32_e32 vcc, s44, v1
	v_mov_b32_e32 v17, 0
	s_and_saveexec_b64 s[40:41], vcc
	s_cbranch_execz .LBB235_20
; %bb.19:                               ;   in Loop: Header=BB235_13 Depth=1
	v_and_b32_e32 v4, 7, v0
	v_ffbh_u32_e32 v2, v4
	v_min_u32_e32 v7, 32, v2
	v_subrev_u32_e32 v2, 28, v7
	v_lshlrev_b64 v[2:3], v2, v[0:1]
	v_lshrrev_b32_e32 v6, 3, v1
	v_sub_u32_e32 v3, 29, v7
	v_and_b32_e32 v2, 7, v2
	v_cmp_gt_u32_e32 vcc, 8, v1
	v_cndmask_b32_e32 v1, v6, v3, vcc
	v_cndmask_b32_e32 v2, v4, v2, vcc
	v_bfrev_b32_e32 v4, 60
	v_lshlrev_b32_e32 v2, 20, v2
	v_and_b32_sdwa v3, sext(v0), s27 dst_sel:DWORD dst_unused:UNUSED_PAD src0_sel:BYTE_0 src1_sel:DWORD
	v_lshl_add_u32 v1, v1, 23, v4
	v_or3_b32 v4, v3, v1, v2
	v_pk_mov_b32 v[16:17], v[4:5], v[4:5] op_sel:[0,1]
.LBB235_20:                             ;   in Loop: Header=BB235_13 Depth=1
	s_or_b64 exec, exec, s[40:41]
.LBB235_21:                             ;   in Loop: Header=BB235_13 Depth=1
	s_or_b64 exec, exec, s[38:39]
.LBB235_22:                             ;   in Loop: Header=BB235_13 Depth=1
	s_or_b64 exec, exec, s[36:37]
	v_cmp_ne_u16_sdwa vcc, v0, v5 src0_sel:BYTE_1 src1_sel:DWORD
	s_and_saveexec_b64 s[36:37], vcc
	s_cbranch_execz .LBB235_28
; %bb.23:                               ;   in Loop: Header=BB235_13 Depth=1
	v_cmp_ne_u16_sdwa vcc, v0, s43 src0_sel:BYTE_1 src1_sel:DWORD
	v_pk_mov_b32 v[18:19], s[26:27], s[26:27] op_sel:[0,1]
	s_and_saveexec_b64 s[38:39], vcc
	s_cbranch_execz .LBB235_27
; %bb.24:                               ;   in Loop: Header=BB235_13 Depth=1
	v_and_b32_sdwa v1, v0, s44 dst_sel:DWORD dst_unused:UNUSED_PAD src0_sel:BYTE_1 src1_sel:DWORD
	s_mov_b32 s34, s26
	v_cmp_ne_u32_e32 vcc, s44, v1
	v_pk_mov_b32 v[18:19], s[34:35], s[34:35] op_sel:[0,1]
	s_and_saveexec_b64 s[40:41], vcc
	s_cbranch_execz .LBB235_26
; %bb.25:                               ;   in Loop: Header=BB235_13 Depth=1
	v_mov_b32_e32 v2, 7
	v_and_b32_sdwa v4, v0, v2 dst_sel:DWORD dst_unused:UNUSED_PAD src0_sel:BYTE_1 src1_sel:DWORD
	v_ffbh_u32_e32 v2, v4
	v_min_u32_e32 v7, 32, v2
	v_subrev_u32_e32 v2, 28, v7
	v_lshlrev_b64 v[2:3], v2, v[4:5]
	v_lshrrev_b32_e32 v6, 3, v1
	v_sub_u32_e32 v3, 29, v7
	v_cmp_gt_u32_e32 vcc, 8, v1
	v_and_b32_e32 v2, 7, v2
	v_cndmask_b32_e32 v1, v6, v3, vcc
	v_bfrev_b32_e32 v3, 60
	v_cndmask_b32_e32 v2, v4, v2, vcc
	v_lshlrev_b32_e32 v0, 16, v0
	v_lshl_add_u32 v1, v1, 23, v3
	v_and_or_b32 v0, v0, s27, v1
	v_lshlrev_b32_e32 v1, 20, v2
	v_or_b32_e32 v19, v0, v1
	v_mov_b32_e32 v18, v5
.LBB235_26:                             ;   in Loop: Header=BB235_13 Depth=1
	s_or_b64 exec, exec, s[40:41]
.LBB235_27:                             ;   in Loop: Header=BB235_13 Depth=1
	s_or_b64 exec, exec, s[38:39]
.LBB235_28:                             ;   in Loop: Header=BB235_13 Depth=1
	s_or_b64 exec, exec, s[36:37]
	flat_load_ushort v1, v[24:25] offset:4
	v_pk_mov_b32 v[2:3], 0, 0
	buffer_store_dword v2, off, s[0:3], s32 offset:228 ; 4-byte Folded Spill
	s_nop 0
	buffer_store_dword v3, off, s[0:3], s32 offset:232 ; 4-byte Folded Spill
	buffer_store_dword v2, off, s[0:3], s32 offset:220 ; 4-byte Folded Spill
	s_nop 0
	buffer_store_dword v3, off, s[0:3], s32 offset:224 ; 4-byte Folded Spill
	s_waitcnt vmcnt(0) lgkmcnt(0)
	v_and_b32_e32 v0, 0xffff, v1
	v_cmp_ne_u16_sdwa vcc, v1, v5 src0_sel:BYTE_0 src1_sel:DWORD
	s_and_saveexec_b64 s[36:37], vcc
	s_cbranch_execz .LBB235_34
; %bb.29:                               ;   in Loop: Header=BB235_13 Depth=1
	v_bfrev_b32_e32 v2, 1
	v_cmp_ne_u16_sdwa vcc, v0, s43 src0_sel:BYTE_0 src1_sel:DWORD
	v_mov_b32_e32 v3, 0
	buffer_store_dword v2, off, s[0:3], s32 offset:220 ; 4-byte Folded Spill
	s_nop 0
	buffer_store_dword v3, off, s[0:3], s32 offset:224 ; 4-byte Folded Spill
	s_and_saveexec_b64 s[38:39], vcc
	s_cbranch_execz .LBB235_33
; %bb.30:                               ;   in Loop: Header=BB235_13 Depth=1
	v_and_b32_e32 v1, 0x7f, v0
	v_mov_b32_e32 v2, 0x7f800001
	v_cmp_ne_u32_e32 vcc, s44, v1
	v_mov_b32_e32 v3, 0
	buffer_store_dword v2, off, s[0:3], s32 offset:220 ; 4-byte Folded Spill
	s_nop 0
	buffer_store_dword v3, off, s[0:3], s32 offset:224 ; 4-byte Folded Spill
	s_and_saveexec_b64 s[40:41], vcc
	s_cbranch_execz .LBB235_32
; %bb.31:                               ;   in Loop: Header=BB235_13 Depth=1
	v_and_b32_e32 v4, 7, v0
	v_ffbh_u32_e32 v2, v4
	v_min_u32_e32 v7, 32, v2
	v_subrev_u32_e32 v2, 28, v7
	v_lshlrev_b64 v[2:3], v2, v[0:1]
	v_lshrrev_b32_e32 v6, 3, v1
	v_sub_u32_e32 v3, 29, v7
	v_and_b32_e32 v2, 7, v2
	v_cmp_gt_u32_e32 vcc, 8, v1
	v_cndmask_b32_e32 v1, v6, v3, vcc
	v_cndmask_b32_e32 v2, v4, v2, vcc
	v_bfrev_b32_e32 v4, 60
	v_lshlrev_b32_e32 v2, 20, v2
	v_and_b32_sdwa v3, sext(v0), s27 dst_sel:DWORD dst_unused:UNUSED_PAD src0_sel:BYTE_0 src1_sel:DWORD
	v_lshl_add_u32 v1, v1, 23, v4
	v_or3_b32 v4, v3, v1, v2
	buffer_store_dword v4, off, s[0:3], s32 offset:220 ; 4-byte Folded Spill
	s_nop 0
	buffer_store_dword v5, off, s[0:3], s32 offset:224 ; 4-byte Folded Spill
.LBB235_32:                             ;   in Loop: Header=BB235_13 Depth=1
	s_or_b64 exec, exec, s[40:41]
.LBB235_33:                             ;   in Loop: Header=BB235_13 Depth=1
	s_or_b64 exec, exec, s[38:39]
.LBB235_34:                             ;   in Loop: Header=BB235_13 Depth=1
	s_or_b64 exec, exec, s[36:37]
	v_cmp_ne_u16_sdwa vcc, v0, v5 src0_sel:BYTE_1 src1_sel:DWORD
	s_and_saveexec_b64 s[36:37], vcc
	s_cbranch_execz .LBB235_40
; %bb.35:                               ;   in Loop: Header=BB235_13 Depth=1
	v_cmp_ne_u16_sdwa vcc, v0, s43 src0_sel:BYTE_1 src1_sel:DWORD
	v_pk_mov_b32 v[2:3], s[26:27], s[26:27] op_sel:[0,1]
	buffer_store_dword v2, off, s[0:3], s32 offset:228 ; 4-byte Folded Spill
	s_nop 0
	buffer_store_dword v3, off, s[0:3], s32 offset:232 ; 4-byte Folded Spill
	s_and_saveexec_b64 s[38:39], vcc
	s_cbranch_execz .LBB235_39
; %bb.36:                               ;   in Loop: Header=BB235_13 Depth=1
	v_and_b32_sdwa v1, v0, s44 dst_sel:DWORD dst_unused:UNUSED_PAD src0_sel:BYTE_1 src1_sel:DWORD
	s_mov_b32 s34, s26
	v_cmp_ne_u32_e32 vcc, s44, v1
	v_pk_mov_b32 v[2:3], s[34:35], s[34:35] op_sel:[0,1]
	buffer_store_dword v2, off, s[0:3], s32 offset:228 ; 4-byte Folded Spill
	s_nop 0
	buffer_store_dword v3, off, s[0:3], s32 offset:232 ; 4-byte Folded Spill
	s_and_saveexec_b64 s[40:41], vcc
	s_cbranch_execz .LBB235_38
; %bb.37:                               ;   in Loop: Header=BB235_13 Depth=1
	v_mov_b32_e32 v2, 7
	v_and_b32_sdwa v4, v0, v2 dst_sel:DWORD dst_unused:UNUSED_PAD src0_sel:BYTE_1 src1_sel:DWORD
	v_ffbh_u32_e32 v2, v4
	v_min_u32_e32 v7, 32, v2
	v_subrev_u32_e32 v2, 28, v7
	v_lshlrev_b64 v[2:3], v2, v[4:5]
	v_lshrrev_b32_e32 v6, 3, v1
	v_sub_u32_e32 v3, 29, v7
	v_cmp_gt_u32_e32 vcc, 8, v1
	v_and_b32_e32 v2, 7, v2
	v_cndmask_b32_e32 v1, v6, v3, vcc
	v_bfrev_b32_e32 v3, 60
	v_cndmask_b32_e32 v2, v4, v2, vcc
	v_lshlrev_b32_e32 v0, 16, v0
	v_lshl_add_u32 v1, v1, 23, v3
	v_and_or_b32 v0, v0, s27, v1
	v_lshlrev_b32_e32 v1, 20, v2
	v_or_b32_e32 v1, v0, v1
	v_mov_b32_e32 v0, v5
	buffer_store_dword v0, off, s[0:3], s32 offset:228 ; 4-byte Folded Spill
	s_nop 0
	buffer_store_dword v1, off, s[0:3], s32 offset:232 ; 4-byte Folded Spill
.LBB235_38:                             ;   in Loop: Header=BB235_13 Depth=1
	s_or_b64 exec, exec, s[40:41]
.LBB235_39:                             ;   in Loop: Header=BB235_13 Depth=1
	s_or_b64 exec, exec, s[38:39]
.LBB235_40:                             ;   in Loop: Header=BB235_13 Depth=1
	s_or_b64 exec, exec, s[36:37]
	flat_load_ushort v1, v[24:25] offset:8
	v_pk_mov_b32 v[2:3], 0, 0
	buffer_store_dword v2, off, s[0:3], s32 offset:244 ; 4-byte Folded Spill
	s_nop 0
	buffer_store_dword v3, off, s[0:3], s32 offset:248 ; 4-byte Folded Spill
	buffer_store_dword v2, off, s[0:3], s32 offset:236 ; 4-byte Folded Spill
	s_nop 0
	buffer_store_dword v3, off, s[0:3], s32 offset:240 ; 4-byte Folded Spill
	s_waitcnt vmcnt(0) lgkmcnt(0)
	v_and_b32_e32 v0, 0xffff, v1
	v_cmp_ne_u16_sdwa vcc, v1, v5 src0_sel:BYTE_0 src1_sel:DWORD
	s_and_saveexec_b64 s[36:37], vcc
	s_cbranch_execz .LBB235_46
; %bb.41:                               ;   in Loop: Header=BB235_13 Depth=1
	v_bfrev_b32_e32 v2, 1
	v_cmp_ne_u16_sdwa vcc, v0, s43 src0_sel:BYTE_0 src1_sel:DWORD
	v_mov_b32_e32 v3, 0
	buffer_store_dword v2, off, s[0:3], s32 offset:236 ; 4-byte Folded Spill
	s_nop 0
	buffer_store_dword v3, off, s[0:3], s32 offset:240 ; 4-byte Folded Spill
	s_and_saveexec_b64 s[38:39], vcc
	s_cbranch_execz .LBB235_45
; %bb.42:                               ;   in Loop: Header=BB235_13 Depth=1
	v_and_b32_e32 v1, 0x7f, v0
	v_mov_b32_e32 v2, 0x7f800001
	v_cmp_ne_u32_e32 vcc, s44, v1
	v_mov_b32_e32 v3, 0
	buffer_store_dword v2, off, s[0:3], s32 offset:236 ; 4-byte Folded Spill
	s_nop 0
	buffer_store_dword v3, off, s[0:3], s32 offset:240 ; 4-byte Folded Spill
	s_and_saveexec_b64 s[40:41], vcc
	s_cbranch_execz .LBB235_44
; %bb.43:                               ;   in Loop: Header=BB235_13 Depth=1
	v_and_b32_e32 v4, 7, v0
	v_ffbh_u32_e32 v2, v4
	v_min_u32_e32 v7, 32, v2
	v_subrev_u32_e32 v2, 28, v7
	v_lshlrev_b64 v[2:3], v2, v[0:1]
	v_lshrrev_b32_e32 v6, 3, v1
	v_sub_u32_e32 v3, 29, v7
	v_and_b32_e32 v2, 7, v2
	v_cmp_gt_u32_e32 vcc, 8, v1
	v_cndmask_b32_e32 v1, v6, v3, vcc
	v_cndmask_b32_e32 v2, v4, v2, vcc
	v_bfrev_b32_e32 v4, 60
	v_lshlrev_b32_e32 v2, 20, v2
	v_and_b32_sdwa v3, sext(v0), s27 dst_sel:DWORD dst_unused:UNUSED_PAD src0_sel:BYTE_0 src1_sel:DWORD
	v_lshl_add_u32 v1, v1, 23, v4
	v_or3_b32 v4, v3, v1, v2
	buffer_store_dword v4, off, s[0:3], s32 offset:236 ; 4-byte Folded Spill
	s_nop 0
	buffer_store_dword v5, off, s[0:3], s32 offset:240 ; 4-byte Folded Spill
.LBB235_44:                             ;   in Loop: Header=BB235_13 Depth=1
	s_or_b64 exec, exec, s[40:41]
.LBB235_45:                             ;   in Loop: Header=BB235_13 Depth=1
	s_or_b64 exec, exec, s[38:39]
.LBB235_46:                             ;   in Loop: Header=BB235_13 Depth=1
	s_or_b64 exec, exec, s[36:37]
	v_cmp_ne_u16_sdwa vcc, v0, v5 src0_sel:BYTE_1 src1_sel:DWORD
	s_and_saveexec_b64 s[36:37], vcc
	s_cbranch_execz .LBB235_52
; %bb.47:                               ;   in Loop: Header=BB235_13 Depth=1
	v_cmp_ne_u16_sdwa vcc, v0, s43 src0_sel:BYTE_1 src1_sel:DWORD
	v_pk_mov_b32 v[2:3], s[26:27], s[26:27] op_sel:[0,1]
	buffer_store_dword v2, off, s[0:3], s32 offset:244 ; 4-byte Folded Spill
	s_nop 0
	buffer_store_dword v3, off, s[0:3], s32 offset:248 ; 4-byte Folded Spill
	s_and_saveexec_b64 s[38:39], vcc
	s_cbranch_execz .LBB235_51
; %bb.48:                               ;   in Loop: Header=BB235_13 Depth=1
	v_and_b32_sdwa v1, v0, s44 dst_sel:DWORD dst_unused:UNUSED_PAD src0_sel:BYTE_1 src1_sel:DWORD
	s_mov_b32 s34, s26
	v_cmp_ne_u32_e32 vcc, s44, v1
	v_pk_mov_b32 v[2:3], s[34:35], s[34:35] op_sel:[0,1]
	buffer_store_dword v2, off, s[0:3], s32 offset:244 ; 4-byte Folded Spill
	s_nop 0
	buffer_store_dword v3, off, s[0:3], s32 offset:248 ; 4-byte Folded Spill
	s_and_saveexec_b64 s[40:41], vcc
	s_cbranch_execz .LBB235_50
; %bb.49:                               ;   in Loop: Header=BB235_13 Depth=1
	v_mov_b32_e32 v2, 7
	v_and_b32_sdwa v4, v0, v2 dst_sel:DWORD dst_unused:UNUSED_PAD src0_sel:BYTE_1 src1_sel:DWORD
	v_ffbh_u32_e32 v2, v4
	v_min_u32_e32 v7, 32, v2
	v_subrev_u32_e32 v2, 28, v7
	v_lshlrev_b64 v[2:3], v2, v[4:5]
	v_lshrrev_b32_e32 v6, 3, v1
	v_sub_u32_e32 v3, 29, v7
	v_cmp_gt_u32_e32 vcc, 8, v1
	v_and_b32_e32 v2, 7, v2
	v_cndmask_b32_e32 v1, v6, v3, vcc
	v_bfrev_b32_e32 v3, 60
	v_cndmask_b32_e32 v2, v4, v2, vcc
	v_lshlrev_b32_e32 v0, 16, v0
	v_lshl_add_u32 v1, v1, 23, v3
	v_and_or_b32 v0, v0, s27, v1
	v_lshlrev_b32_e32 v1, 20, v2
	v_or_b32_e32 v1, v0, v1
	v_mov_b32_e32 v0, v5
	buffer_store_dword v0, off, s[0:3], s32 offset:244 ; 4-byte Folded Spill
	s_nop 0
	buffer_store_dword v1, off, s[0:3], s32 offset:248 ; 4-byte Folded Spill
.LBB235_50:                             ;   in Loop: Header=BB235_13 Depth=1
	s_or_b64 exec, exec, s[40:41]
.LBB235_51:                             ;   in Loop: Header=BB235_13 Depth=1
	s_or_b64 exec, exec, s[38:39]
.LBB235_52:                             ;   in Loop: Header=BB235_13 Depth=1
	s_or_b64 exec, exec, s[36:37]
	flat_load_ushort v1, v[24:25] offset:12
	v_pk_mov_b32 v[2:3], 0, 0
	buffer_store_dword v2, off, s[0:3], s32 offset:260 ; 4-byte Folded Spill
	s_nop 0
	buffer_store_dword v3, off, s[0:3], s32 offset:264 ; 4-byte Folded Spill
	buffer_store_dword v2, off, s[0:3], s32 offset:252 ; 4-byte Folded Spill
	s_nop 0
	buffer_store_dword v3, off, s[0:3], s32 offset:256 ; 4-byte Folded Spill
	s_waitcnt vmcnt(0) lgkmcnt(0)
	v_and_b32_e32 v0, 0xffff, v1
	v_cmp_ne_u16_sdwa vcc, v1, v5 src0_sel:BYTE_0 src1_sel:DWORD
	s_and_saveexec_b64 s[36:37], vcc
	s_cbranch_execz .LBB235_58
; %bb.53:                               ;   in Loop: Header=BB235_13 Depth=1
	v_bfrev_b32_e32 v2, 1
	v_cmp_ne_u16_sdwa vcc, v0, s43 src0_sel:BYTE_0 src1_sel:DWORD
	v_mov_b32_e32 v3, 0
	buffer_store_dword v2, off, s[0:3], s32 offset:252 ; 4-byte Folded Spill
	s_nop 0
	buffer_store_dword v3, off, s[0:3], s32 offset:256 ; 4-byte Folded Spill
	s_and_saveexec_b64 s[38:39], vcc
	s_cbranch_execz .LBB235_57
; %bb.54:                               ;   in Loop: Header=BB235_13 Depth=1
	v_and_b32_e32 v1, 0x7f, v0
	v_mov_b32_e32 v2, 0x7f800001
	v_cmp_ne_u32_e32 vcc, s44, v1
	v_mov_b32_e32 v3, 0
	buffer_store_dword v2, off, s[0:3], s32 offset:252 ; 4-byte Folded Spill
	s_nop 0
	buffer_store_dword v3, off, s[0:3], s32 offset:256 ; 4-byte Folded Spill
	s_and_saveexec_b64 s[40:41], vcc
	s_cbranch_execz .LBB235_56
; %bb.55:                               ;   in Loop: Header=BB235_13 Depth=1
	v_and_b32_e32 v4, 7, v0
	v_lshrrev_b32_e32 v6, 3, v1
	v_cmp_gt_u32_e32 vcc, 8, v1
	v_ffbh_u32_e32 v1, v4
	v_min_u32_e32 v1, 32, v1
	v_subrev_u32_e32 v2, 28, v1
	v_lshlrev_b64 v[2:3], v2, v[0:1]
	v_sub_u32_e32 v1, 29, v1
	v_and_b32_e32 v2, 7, v2
	v_cndmask_b32_e32 v1, v6, v1, vcc
	v_cndmask_b32_e32 v2, v4, v2, vcc
	v_bfrev_b32_e32 v4, 60
	v_lshlrev_b32_e32 v2, 20, v2
	v_and_b32_sdwa v3, sext(v0), s27 dst_sel:DWORD dst_unused:UNUSED_PAD src0_sel:BYTE_0 src1_sel:DWORD
	v_lshl_add_u32 v1, v1, 23, v4
	v_or3_b32 v4, v3, v1, v2
	buffer_store_dword v4, off, s[0:3], s32 offset:252 ; 4-byte Folded Spill
	s_nop 0
	buffer_store_dword v5, off, s[0:3], s32 offset:256 ; 4-byte Folded Spill
.LBB235_56:                             ;   in Loop: Header=BB235_13 Depth=1
	s_or_b64 exec, exec, s[40:41]
.LBB235_57:                             ;   in Loop: Header=BB235_13 Depth=1
	s_or_b64 exec, exec, s[38:39]
.LBB235_58:                             ;   in Loop: Header=BB235_13 Depth=1
	s_or_b64 exec, exec, s[36:37]
	v_cmp_ne_u16_sdwa vcc, v0, v5 src0_sel:BYTE_1 src1_sel:DWORD
	s_and_saveexec_b64 s[36:37], vcc
	s_cbranch_execz .LBB235_64
; %bb.59:                               ;   in Loop: Header=BB235_13 Depth=1
	v_cmp_ne_u16_sdwa vcc, v0, s43 src0_sel:BYTE_1 src1_sel:DWORD
	v_pk_mov_b32 v[2:3], s[26:27], s[26:27] op_sel:[0,1]
	buffer_store_dword v2, off, s[0:3], s32 offset:260 ; 4-byte Folded Spill
	s_nop 0
	buffer_store_dword v3, off, s[0:3], s32 offset:264 ; 4-byte Folded Spill
	s_and_saveexec_b64 s[38:39], vcc
	s_cbranch_execz .LBB235_63
; %bb.60:                               ;   in Loop: Header=BB235_13 Depth=1
	v_and_b32_sdwa v1, v0, s44 dst_sel:DWORD dst_unused:UNUSED_PAD src0_sel:BYTE_1 src1_sel:DWORD
	s_mov_b32 s34, s26
	v_cmp_ne_u32_e32 vcc, s44, v1
	v_pk_mov_b32 v[2:3], s[34:35], s[34:35] op_sel:[0,1]
	buffer_store_dword v2, off, s[0:3], s32 offset:260 ; 4-byte Folded Spill
	s_nop 0
	buffer_store_dword v3, off, s[0:3], s32 offset:264 ; 4-byte Folded Spill
	s_and_saveexec_b64 s[40:41], vcc
	s_cbranch_execz .LBB235_62
; %bb.61:                               ;   in Loop: Header=BB235_13 Depth=1
	v_mov_b32_e32 v2, 7
	v_and_b32_sdwa v4, v0, v2 dst_sel:DWORD dst_unused:UNUSED_PAD src0_sel:BYTE_1 src1_sel:DWORD
	v_lshrrev_b32_e32 v6, 3, v1
	v_cmp_gt_u32_e32 vcc, 8, v1
	v_ffbh_u32_e32 v1, v4
	v_min_u32_e32 v1, 32, v1
	v_subrev_u32_e32 v2, 28, v1
	v_lshlrev_b64 v[2:3], v2, v[4:5]
	v_sub_u32_e32 v1, 29, v1
	v_and_b32_e32 v2, 7, v2
	v_cndmask_b32_e32 v1, v6, v1, vcc
	v_bfrev_b32_e32 v3, 60
	v_cndmask_b32_e32 v2, v4, v2, vcc
	v_lshlrev_b32_e32 v0, 16, v0
	v_lshl_add_u32 v1, v1, 23, v3
	v_and_or_b32 v0, v0, s27, v1
	v_lshlrev_b32_e32 v1, 20, v2
	v_or_b32_e32 v1, v0, v1
	v_mov_b32_e32 v0, v5
	buffer_store_dword v0, off, s[0:3], s32 offset:260 ; 4-byte Folded Spill
	s_nop 0
	buffer_store_dword v1, off, s[0:3], s32 offset:264 ; 4-byte Folded Spill
.LBB235_62:                             ;   in Loop: Header=BB235_13 Depth=1
	s_or_b64 exec, exec, s[40:41]
.LBB235_63:                             ;   in Loop: Header=BB235_13 Depth=1
	s_or_b64 exec, exec, s[38:39]
.LBB235_64:                             ;   in Loop: Header=BB235_13 Depth=1
	s_or_b64 exec, exec, s[36:37]
	flat_load_ushort v1, v[24:25] offset:512
	v_pk_mov_b32 v[2:3], 0, 0
	v_accvgpr_write_b32 a47, v3
	v_accvgpr_write_b32 a51, v3
	;; [unrolled: 1-line block ×4, first 2 shown]
	s_waitcnt vmcnt(0) lgkmcnt(0)
	v_and_b32_e32 v0, 0xffff, v1
	v_cmp_ne_u16_sdwa vcc, v1, v5 src0_sel:BYTE_0 src1_sel:DWORD
	s_and_saveexec_b64 s[36:37], vcc
	s_cbranch_execz .LBB235_70
; %bb.65:                               ;   in Loop: Header=BB235_13 Depth=1
	v_bfrev_b32_e32 v2, 1
	v_mov_b32_e32 v3, 0
	v_accvgpr_write_b32 a51, v3
	v_cmp_ne_u16_sdwa vcc, v0, s43 src0_sel:BYTE_0 src1_sel:DWORD
	v_accvgpr_write_b32 a50, v2
	s_and_saveexec_b64 s[38:39], vcc
	s_cbranch_execz .LBB235_69
; %bb.66:                               ;   in Loop: Header=BB235_13 Depth=1
	v_mov_b32_e32 v2, 0x7f800001
	v_mov_b32_e32 v3, 0
	v_and_b32_e32 v1, 0x7f, v0
	v_accvgpr_write_b32 a51, v3
	v_cmp_ne_u32_e32 vcc, s44, v1
	v_accvgpr_write_b32 a50, v2
	s_and_saveexec_b64 s[40:41], vcc
	s_cbranch_execz .LBB235_68
; %bb.67:                               ;   in Loop: Header=BB235_13 Depth=1
	v_and_b32_e32 v4, 7, v0
	v_lshrrev_b32_e32 v6, 3, v1
	v_cmp_gt_u32_e32 vcc, 8, v1
	v_ffbh_u32_e32 v1, v4
	v_min_u32_e32 v1, 32, v1
	v_subrev_u32_e32 v2, 28, v1
	v_lshlrev_b64 v[2:3], v2, v[0:1]
	v_sub_u32_e32 v1, 29, v1
	v_and_b32_e32 v2, 7, v2
	v_cndmask_b32_e32 v1, v6, v1, vcc
	v_cndmask_b32_e32 v2, v4, v2, vcc
	v_bfrev_b32_e32 v4, 60
	v_lshlrev_b32_e32 v2, 20, v2
	v_and_b32_sdwa v3, sext(v0), s27 dst_sel:DWORD dst_unused:UNUSED_PAD src0_sel:BYTE_0 src1_sel:DWORD
	v_lshl_add_u32 v1, v1, 23, v4
	v_or3_b32 v4, v3, v1, v2
	v_accvgpr_write_b32 a51, v5
	v_accvgpr_write_b32 a50, v4
.LBB235_68:                             ;   in Loop: Header=BB235_13 Depth=1
	s_or_b64 exec, exec, s[40:41]
.LBB235_69:                             ;   in Loop: Header=BB235_13 Depth=1
	s_or_b64 exec, exec, s[38:39]
.LBB235_70:                             ;   in Loop: Header=BB235_13 Depth=1
	s_or_b64 exec, exec, s[36:37]
	v_cmp_ne_u16_sdwa vcc, v0, v5 src0_sel:BYTE_1 src1_sel:DWORD
	s_and_saveexec_b64 s[36:37], vcc
	s_cbranch_execz .LBB235_76
; %bb.71:                               ;   in Loop: Header=BB235_13 Depth=1
	v_accvgpr_write_b32 a47, s27
	v_cmp_ne_u16_sdwa vcc, v0, s43 src0_sel:BYTE_1 src1_sel:DWORD
	v_accvgpr_write_b32 a46, s26
	s_and_saveexec_b64 s[38:39], vcc
	s_cbranch_execz .LBB235_75
; %bb.72:                               ;   in Loop: Header=BB235_13 Depth=1
	v_and_b32_sdwa v1, v0, s44 dst_sel:DWORD dst_unused:UNUSED_PAD src0_sel:BYTE_1 src1_sel:DWORD
	s_mov_b32 s34, s26
	v_accvgpr_write_b32 a47, s35
	v_cmp_ne_u32_e32 vcc, s44, v1
	v_accvgpr_write_b32 a46, s34
	s_and_saveexec_b64 s[40:41], vcc
	s_cbranch_execz .LBB235_74
; %bb.73:                               ;   in Loop: Header=BB235_13 Depth=1
	v_mov_b32_e32 v2, 7
	v_and_b32_sdwa v4, v0, v2 dst_sel:DWORD dst_unused:UNUSED_PAD src0_sel:BYTE_1 src1_sel:DWORD
	v_lshrrev_b32_e32 v6, 3, v1
	v_cmp_gt_u32_e32 vcc, 8, v1
	v_ffbh_u32_e32 v1, v4
	v_min_u32_e32 v1, 32, v1
	v_subrev_u32_e32 v2, 28, v1
	v_lshlrev_b64 v[2:3], v2, v[4:5]
	v_sub_u32_e32 v1, 29, v1
	v_and_b32_e32 v2, 7, v2
	v_cndmask_b32_e32 v1, v6, v1, vcc
	v_bfrev_b32_e32 v3, 60
	v_cndmask_b32_e32 v2, v4, v2, vcc
	v_lshlrev_b32_e32 v0, 16, v0
	v_lshl_add_u32 v1, v1, 23, v3
	v_and_or_b32 v0, v0, s27, v1
	v_lshlrev_b32_e32 v1, 20, v2
	v_or_b32_e32 v1, v0, v1
	v_mov_b32_e32 v0, v5
	v_accvgpr_write_b32 a47, v1
	v_accvgpr_write_b32 a46, v0
.LBB235_74:                             ;   in Loop: Header=BB235_13 Depth=1
	s_or_b64 exec, exec, s[40:41]
.LBB235_75:                             ;   in Loop: Header=BB235_13 Depth=1
	s_or_b64 exec, exec, s[38:39]
.LBB235_76:                             ;   in Loop: Header=BB235_13 Depth=1
	s_or_b64 exec, exec, s[36:37]
	flat_load_ushort v1, v[24:25] offset:516
	v_pk_mov_b32 v[2:3], 0, 0
	v_accvgpr_write_b32 a49, v3
	v_accvgpr_write_b32 a55, v3
	;; [unrolled: 1-line block ×4, first 2 shown]
	s_waitcnt vmcnt(0) lgkmcnt(0)
	v_and_b32_e32 v0, 0xffff, v1
	v_cmp_ne_u16_sdwa vcc, v1, v5 src0_sel:BYTE_0 src1_sel:DWORD
	s_and_saveexec_b64 s[36:37], vcc
	s_cbranch_execz .LBB235_82
; %bb.77:                               ;   in Loop: Header=BB235_13 Depth=1
	v_bfrev_b32_e32 v2, 1
	v_mov_b32_e32 v3, 0
	v_accvgpr_write_b32 a55, v3
	v_cmp_ne_u16_sdwa vcc, v0, s43 src0_sel:BYTE_0 src1_sel:DWORD
	v_accvgpr_write_b32 a54, v2
	s_and_saveexec_b64 s[38:39], vcc
	s_cbranch_execz .LBB235_81
; %bb.78:                               ;   in Loop: Header=BB235_13 Depth=1
	v_mov_b32_e32 v2, 0x7f800001
	v_mov_b32_e32 v3, 0
	v_and_b32_e32 v1, 0x7f, v0
	v_accvgpr_write_b32 a55, v3
	v_cmp_ne_u32_e32 vcc, s44, v1
	v_accvgpr_write_b32 a54, v2
	s_and_saveexec_b64 s[40:41], vcc
	s_cbranch_execz .LBB235_80
; %bb.79:                               ;   in Loop: Header=BB235_13 Depth=1
	v_and_b32_e32 v4, 7, v0
	v_lshrrev_b32_e32 v6, 3, v1
	v_cmp_gt_u32_e32 vcc, 8, v1
	v_ffbh_u32_e32 v1, v4
	v_min_u32_e32 v1, 32, v1
	v_subrev_u32_e32 v2, 28, v1
	v_lshlrev_b64 v[2:3], v2, v[0:1]
	v_sub_u32_e32 v1, 29, v1
	v_and_b32_e32 v2, 7, v2
	v_cndmask_b32_e32 v1, v6, v1, vcc
	v_cndmask_b32_e32 v2, v4, v2, vcc
	v_bfrev_b32_e32 v4, 60
	v_lshlrev_b32_e32 v2, 20, v2
	v_and_b32_sdwa v3, sext(v0), s27 dst_sel:DWORD dst_unused:UNUSED_PAD src0_sel:BYTE_0 src1_sel:DWORD
	v_lshl_add_u32 v1, v1, 23, v4
	v_or3_b32 v4, v3, v1, v2
	v_accvgpr_write_b32 a55, v5
	v_accvgpr_write_b32 a54, v4
.LBB235_80:                             ;   in Loop: Header=BB235_13 Depth=1
	s_or_b64 exec, exec, s[40:41]
.LBB235_81:                             ;   in Loop: Header=BB235_13 Depth=1
	s_or_b64 exec, exec, s[38:39]
.LBB235_82:                             ;   in Loop: Header=BB235_13 Depth=1
	s_or_b64 exec, exec, s[36:37]
	v_cmp_ne_u16_sdwa vcc, v0, v5 src0_sel:BYTE_1 src1_sel:DWORD
	s_and_saveexec_b64 s[36:37], vcc
	s_cbranch_execz .LBB235_88
; %bb.83:                               ;   in Loop: Header=BB235_13 Depth=1
	v_accvgpr_write_b32 a49, s27
	v_cmp_ne_u16_sdwa vcc, v0, s43 src0_sel:BYTE_1 src1_sel:DWORD
	v_accvgpr_write_b32 a48, s26
	s_and_saveexec_b64 s[38:39], vcc
	s_cbranch_execz .LBB235_87
; %bb.84:                               ;   in Loop: Header=BB235_13 Depth=1
	v_and_b32_sdwa v1, v0, s44 dst_sel:DWORD dst_unused:UNUSED_PAD src0_sel:BYTE_1 src1_sel:DWORD
	s_mov_b32 s34, s26
	v_accvgpr_write_b32 a49, s35
	v_cmp_ne_u32_e32 vcc, s44, v1
	v_accvgpr_write_b32 a48, s34
	s_and_saveexec_b64 s[40:41], vcc
	s_cbranch_execz .LBB235_86
; %bb.85:                               ;   in Loop: Header=BB235_13 Depth=1
	v_mov_b32_e32 v2, 7
	v_and_b32_sdwa v4, v0, v2 dst_sel:DWORD dst_unused:UNUSED_PAD src0_sel:BYTE_1 src1_sel:DWORD
	v_lshrrev_b32_e32 v6, 3, v1
	v_cmp_gt_u32_e32 vcc, 8, v1
	v_ffbh_u32_e32 v1, v4
	v_min_u32_e32 v1, 32, v1
	v_subrev_u32_e32 v2, 28, v1
	v_lshlrev_b64 v[2:3], v2, v[4:5]
	v_sub_u32_e32 v1, 29, v1
	v_and_b32_e32 v2, 7, v2
	v_cndmask_b32_e32 v1, v6, v1, vcc
	v_bfrev_b32_e32 v3, 60
	v_cndmask_b32_e32 v2, v4, v2, vcc
	v_lshlrev_b32_e32 v0, 16, v0
	v_lshl_add_u32 v1, v1, 23, v3
	v_and_or_b32 v0, v0, s27, v1
	v_lshlrev_b32_e32 v1, 20, v2
	v_or_b32_e32 v1, v0, v1
	v_mov_b32_e32 v0, v5
	v_accvgpr_write_b32 a49, v1
	v_accvgpr_write_b32 a48, v0
.LBB235_86:                             ;   in Loop: Header=BB235_13 Depth=1
	s_or_b64 exec, exec, s[40:41]
.LBB235_87:                             ;   in Loop: Header=BB235_13 Depth=1
	s_or_b64 exec, exec, s[38:39]
.LBB235_88:                             ;   in Loop: Header=BB235_13 Depth=1
	s_or_b64 exec, exec, s[36:37]
	v_add_co_u32_e32 v0, vcc, 0x200, v24
	v_addc_co_u32_e32 v1, vcc, 0, v25, vcc
	flat_load_ushort v3, v[0:1] offset:8
	v_pk_mov_b32 v[6:7], 0, 0
	v_accvgpr_write_b32 a53, v7
	v_accvgpr_write_b32 a59, v7
	v_accvgpr_write_b32 a52, v6
	v_accvgpr_write_b32 a58, v6
	s_waitcnt vmcnt(0) lgkmcnt(0)
	v_and_b32_e32 v2, 0xffff, v3
	v_cmp_ne_u16_sdwa vcc, v3, v5 src0_sel:BYTE_0 src1_sel:DWORD
	s_and_saveexec_b64 s[36:37], vcc
	s_cbranch_execz .LBB235_94
; %bb.89:                               ;   in Loop: Header=BB235_13 Depth=1
	v_bfrev_b32_e32 v6, 1
	v_mov_b32_e32 v7, 0
	v_accvgpr_write_b32 a59, v7
	v_cmp_ne_u16_sdwa vcc, v2, s43 src0_sel:BYTE_0 src1_sel:DWORD
	v_accvgpr_write_b32 a58, v6
	s_and_saveexec_b64 s[38:39], vcc
	s_cbranch_execz .LBB235_93
; %bb.90:                               ;   in Loop: Header=BB235_13 Depth=1
	v_mov_b32_e32 v6, 0x7f800001
	v_mov_b32_e32 v7, 0
	v_and_b32_e32 v3, 0x7f, v2
	v_accvgpr_write_b32 a59, v7
	v_cmp_ne_u32_e32 vcc, s44, v3
	v_accvgpr_write_b32 a58, v6
	s_and_saveexec_b64 s[40:41], vcc
	s_cbranch_execz .LBB235_92
; %bb.91:                               ;   in Loop: Header=BB235_13 Depth=1
	v_and_b32_e32 v4, 7, v2
	v_lshrrev_b32_e32 v8, 3, v3
	v_cmp_gt_u32_e32 vcc, 8, v3
	v_ffbh_u32_e32 v3, v4
	v_min_u32_e32 v3, 32, v3
	v_subrev_u32_e32 v6, 28, v3
	v_lshlrev_b64 v[6:7], v6, v[2:3]
	v_sub_u32_e32 v3, 29, v3
	v_and_b32_e32 v6, 7, v6
	v_cndmask_b32_e32 v3, v8, v3, vcc
	v_cndmask_b32_e32 v4, v4, v6, vcc
	v_bfrev_b32_e32 v7, 60
	v_lshlrev_b32_e32 v4, 20, v4
	v_and_b32_sdwa v6, sext(v2), s27 dst_sel:DWORD dst_unused:UNUSED_PAD src0_sel:BYTE_0 src1_sel:DWORD
	v_lshl_add_u32 v3, v3, 23, v7
	v_or3_b32 v4, v6, v3, v4
	v_accvgpr_write_b32 a59, v5
	v_accvgpr_write_b32 a58, v4
.LBB235_92:                             ;   in Loop: Header=BB235_13 Depth=1
	s_or_b64 exec, exec, s[40:41]
.LBB235_93:                             ;   in Loop: Header=BB235_13 Depth=1
	s_or_b64 exec, exec, s[38:39]
.LBB235_94:                             ;   in Loop: Header=BB235_13 Depth=1
	s_or_b64 exec, exec, s[36:37]
	v_cmp_ne_u16_sdwa vcc, v2, v5 src0_sel:BYTE_1 src1_sel:DWORD
	s_and_saveexec_b64 s[36:37], vcc
	s_cbranch_execz .LBB235_100
; %bb.95:                               ;   in Loop: Header=BB235_13 Depth=1
	v_accvgpr_write_b32 a53, s27
	v_cmp_ne_u16_sdwa vcc, v2, s43 src0_sel:BYTE_1 src1_sel:DWORD
	v_accvgpr_write_b32 a52, s26
	s_and_saveexec_b64 s[38:39], vcc
	s_cbranch_execz .LBB235_99
; %bb.96:                               ;   in Loop: Header=BB235_13 Depth=1
	v_and_b32_sdwa v3, v2, s44 dst_sel:DWORD dst_unused:UNUSED_PAD src0_sel:BYTE_1 src1_sel:DWORD
	s_mov_b32 s34, s26
	v_accvgpr_write_b32 a53, s35
	v_cmp_ne_u32_e32 vcc, s44, v3
	v_accvgpr_write_b32 a52, s34
	s_and_saveexec_b64 s[40:41], vcc
	s_cbranch_execz .LBB235_98
; %bb.97:                               ;   in Loop: Header=BB235_13 Depth=1
	v_mov_b32_e32 v4, 7
	v_and_b32_sdwa v4, v2, v4 dst_sel:DWORD dst_unused:UNUSED_PAD src0_sel:BYTE_1 src1_sel:DWORD
	v_lshrrev_b32_e32 v8, 3, v3
	v_cmp_gt_u32_e32 vcc, 8, v3
	v_ffbh_u32_e32 v3, v4
	v_min_u32_e32 v3, 32, v3
	v_subrev_u32_e32 v6, 28, v3
	v_lshlrev_b64 v[6:7], v6, v[4:5]
	v_sub_u32_e32 v3, 29, v3
	v_and_b32_e32 v6, 7, v6
	v_cndmask_b32_e32 v3, v8, v3, vcc
	v_cndmask_b32_e32 v4, v4, v6, vcc
	v_bfrev_b32_e32 v6, 60
	v_lshlrev_b32_e32 v2, 16, v2
	v_lshl_add_u32 v3, v3, 23, v6
	v_and_or_b32 v2, v2, s27, v3
	v_lshlrev_b32_e32 v3, 20, v4
	v_or_b32_e32 v3, v2, v3
	v_mov_b32_e32 v2, v5
	v_accvgpr_write_b32 a53, v3
	v_accvgpr_write_b32 a52, v2
.LBB235_98:                             ;   in Loop: Header=BB235_13 Depth=1
	s_or_b64 exec, exec, s[40:41]
.LBB235_99:                             ;   in Loop: Header=BB235_13 Depth=1
	s_or_b64 exec, exec, s[38:39]
.LBB235_100:                            ;   in Loop: Header=BB235_13 Depth=1
	s_or_b64 exec, exec, s[36:37]
	flat_load_ushort v1, v[0:1] offset:12
	v_pk_mov_b32 v[2:3], 0, 0
	v_accvgpr_write_b32 a57, v3
	v_accvgpr_write_b32 a63, v3
	;; [unrolled: 1-line block ×4, first 2 shown]
	s_waitcnt vmcnt(0) lgkmcnt(0)
	v_and_b32_e32 v0, 0xffff, v1
	v_cmp_ne_u16_sdwa vcc, v1, v5 src0_sel:BYTE_0 src1_sel:DWORD
	s_and_saveexec_b64 s[36:37], vcc
	s_cbranch_execz .LBB235_106
; %bb.101:                              ;   in Loop: Header=BB235_13 Depth=1
	v_bfrev_b32_e32 v2, 1
	v_mov_b32_e32 v3, 0
	v_accvgpr_write_b32 a63, v3
	v_cmp_ne_u16_sdwa vcc, v0, s43 src0_sel:BYTE_0 src1_sel:DWORD
	v_accvgpr_write_b32 a62, v2
	s_and_saveexec_b64 s[38:39], vcc
	s_cbranch_execz .LBB235_105
; %bb.102:                              ;   in Loop: Header=BB235_13 Depth=1
	v_mov_b32_e32 v2, 0x7f800001
	v_mov_b32_e32 v3, 0
	v_and_b32_e32 v1, 0x7f, v0
	v_accvgpr_write_b32 a63, v3
	v_cmp_ne_u32_e32 vcc, s44, v1
	v_accvgpr_write_b32 a62, v2
	s_and_saveexec_b64 s[40:41], vcc
	s_cbranch_execz .LBB235_104
; %bb.103:                              ;   in Loop: Header=BB235_13 Depth=1
	v_and_b32_e32 v4, 7, v0
	v_lshrrev_b32_e32 v6, 3, v1
	v_cmp_gt_u32_e32 vcc, 8, v1
	v_ffbh_u32_e32 v1, v4
	v_min_u32_e32 v1, 32, v1
	v_subrev_u32_e32 v2, 28, v1
	v_lshlrev_b64 v[2:3], v2, v[0:1]
	v_sub_u32_e32 v1, 29, v1
	v_and_b32_e32 v2, 7, v2
	v_cndmask_b32_e32 v1, v6, v1, vcc
	v_cndmask_b32_e32 v2, v4, v2, vcc
	v_bfrev_b32_e32 v4, 60
	v_lshlrev_b32_e32 v2, 20, v2
	v_and_b32_sdwa v3, sext(v0), s27 dst_sel:DWORD dst_unused:UNUSED_PAD src0_sel:BYTE_0 src1_sel:DWORD
	v_lshl_add_u32 v1, v1, 23, v4
	v_or3_b32 v4, v3, v1, v2
	v_accvgpr_write_b32 a63, v5
	v_accvgpr_write_b32 a62, v4
.LBB235_104:                            ;   in Loop: Header=BB235_13 Depth=1
	s_or_b64 exec, exec, s[40:41]
.LBB235_105:                            ;   in Loop: Header=BB235_13 Depth=1
	s_or_b64 exec, exec, s[38:39]
.LBB235_106:                            ;   in Loop: Header=BB235_13 Depth=1
	s_or_b64 exec, exec, s[36:37]
	v_cmp_ne_u16_sdwa vcc, v0, v5 src0_sel:BYTE_1 src1_sel:DWORD
	s_and_saveexec_b64 s[36:37], vcc
	s_cbranch_execz .LBB235_112
; %bb.107:                              ;   in Loop: Header=BB235_13 Depth=1
	v_accvgpr_write_b32 a57, s27
	v_cmp_ne_u16_sdwa vcc, v0, s43 src0_sel:BYTE_1 src1_sel:DWORD
	v_accvgpr_write_b32 a56, s26
	s_and_saveexec_b64 s[38:39], vcc
	s_cbranch_execz .LBB235_111
; %bb.108:                              ;   in Loop: Header=BB235_13 Depth=1
	v_and_b32_sdwa v1, v0, s44 dst_sel:DWORD dst_unused:UNUSED_PAD src0_sel:BYTE_1 src1_sel:DWORD
	s_mov_b32 s34, s26
	v_accvgpr_write_b32 a57, s35
	v_cmp_ne_u32_e32 vcc, s44, v1
	v_accvgpr_write_b32 a56, s34
	s_and_saveexec_b64 s[40:41], vcc
	s_cbranch_execz .LBB235_110
; %bb.109:                              ;   in Loop: Header=BB235_13 Depth=1
	v_mov_b32_e32 v2, 7
	v_and_b32_sdwa v4, v0, v2 dst_sel:DWORD dst_unused:UNUSED_PAD src0_sel:BYTE_1 src1_sel:DWORD
	v_lshrrev_b32_e32 v6, 3, v1
	v_cmp_gt_u32_e32 vcc, 8, v1
	v_ffbh_u32_e32 v1, v4
	v_min_u32_e32 v1, 32, v1
	v_subrev_u32_e32 v2, 28, v1
	v_lshlrev_b64 v[2:3], v2, v[4:5]
	v_sub_u32_e32 v1, 29, v1
	v_and_b32_e32 v2, 7, v2
	v_cndmask_b32_e32 v1, v6, v1, vcc
	v_bfrev_b32_e32 v3, 60
	v_cndmask_b32_e32 v2, v4, v2, vcc
	v_lshlrev_b32_e32 v0, 16, v0
	v_lshl_add_u32 v1, v1, 23, v3
	v_and_or_b32 v0, v0, s27, v1
	v_lshlrev_b32_e32 v1, 20, v2
	v_or_b32_e32 v1, v0, v1
	v_mov_b32_e32 v0, v5
	v_accvgpr_write_b32 a57, v1
	v_accvgpr_write_b32 a56, v0
.LBB235_110:                            ;   in Loop: Header=BB235_13 Depth=1
	s_or_b64 exec, exec, s[40:41]
.LBB235_111:                            ;   in Loop: Header=BB235_13 Depth=1
	s_or_b64 exec, exec, s[38:39]
.LBB235_112:                            ;   in Loop: Header=BB235_13 Depth=1
	s_or_b64 exec, exec, s[36:37]
	flat_load_ushort v1, v[24:25] offset:1024
	v_pk_mov_b32 v[2:3], 0, 0
	v_accvgpr_write_b32 a61, v3
	v_accvgpr_write_b32 a31, v3
	v_accvgpr_write_b32 a60, v2
	v_accvgpr_write_b32 a30, v2
	s_waitcnt vmcnt(0) lgkmcnt(0)
	v_and_b32_e32 v0, 0xffff, v1
	v_cmp_ne_u16_sdwa vcc, v1, v5 src0_sel:BYTE_0 src1_sel:DWORD
	s_and_saveexec_b64 s[36:37], vcc
	s_cbranch_execz .LBB235_118
; %bb.113:                              ;   in Loop: Header=BB235_13 Depth=1
	v_bfrev_b32_e32 v2, 1
	v_mov_b32_e32 v3, 0
	v_accvgpr_write_b32 a31, v3
	v_cmp_ne_u16_sdwa vcc, v0, s43 src0_sel:BYTE_0 src1_sel:DWORD
	v_accvgpr_write_b32 a30, v2
	s_and_saveexec_b64 s[38:39], vcc
	s_cbranch_execz .LBB235_117
; %bb.114:                              ;   in Loop: Header=BB235_13 Depth=1
	v_mov_b32_e32 v2, 0x7f800001
	v_mov_b32_e32 v3, 0
	v_and_b32_e32 v1, 0x7f, v0
	v_accvgpr_write_b32 a31, v3
	v_cmp_ne_u32_e32 vcc, s44, v1
	v_accvgpr_write_b32 a30, v2
	s_and_saveexec_b64 s[40:41], vcc
	s_cbranch_execz .LBB235_116
; %bb.115:                              ;   in Loop: Header=BB235_13 Depth=1
	v_and_b32_e32 v4, 7, v0
	v_lshrrev_b32_e32 v6, 3, v1
	v_cmp_gt_u32_e32 vcc, 8, v1
	v_ffbh_u32_e32 v1, v4
	v_min_u32_e32 v1, 32, v1
	v_subrev_u32_e32 v2, 28, v1
	v_lshlrev_b64 v[2:3], v2, v[0:1]
	v_sub_u32_e32 v1, 29, v1
	v_and_b32_e32 v2, 7, v2
	v_cndmask_b32_e32 v1, v6, v1, vcc
	v_cndmask_b32_e32 v2, v4, v2, vcc
	v_bfrev_b32_e32 v4, 60
	v_lshlrev_b32_e32 v2, 20, v2
	v_and_b32_sdwa v3, sext(v0), s27 dst_sel:DWORD dst_unused:UNUSED_PAD src0_sel:BYTE_0 src1_sel:DWORD
	v_lshl_add_u32 v1, v1, 23, v4
	v_or3_b32 v4, v3, v1, v2
	v_accvgpr_write_b32 a31, v5
	v_accvgpr_write_b32 a30, v4
.LBB235_116:                            ;   in Loop: Header=BB235_13 Depth=1
	s_or_b64 exec, exec, s[40:41]
.LBB235_117:                            ;   in Loop: Header=BB235_13 Depth=1
	s_or_b64 exec, exec, s[38:39]
.LBB235_118:                            ;   in Loop: Header=BB235_13 Depth=1
	s_or_b64 exec, exec, s[36:37]
	v_cmp_ne_u16_sdwa vcc, v0, v5 src0_sel:BYTE_1 src1_sel:DWORD
	s_and_saveexec_b64 s[36:37], vcc
	s_cbranch_execz .LBB235_124
; %bb.119:                              ;   in Loop: Header=BB235_13 Depth=1
	v_accvgpr_write_b32 a61, s27
	v_cmp_ne_u16_sdwa vcc, v0, s43 src0_sel:BYTE_1 src1_sel:DWORD
	v_accvgpr_write_b32 a60, s26
	s_and_saveexec_b64 s[38:39], vcc
	s_cbranch_execz .LBB235_123
; %bb.120:                              ;   in Loop: Header=BB235_13 Depth=1
	v_and_b32_sdwa v1, v0, s44 dst_sel:DWORD dst_unused:UNUSED_PAD src0_sel:BYTE_1 src1_sel:DWORD
	s_mov_b32 s34, s26
	v_accvgpr_write_b32 a61, s35
	v_cmp_ne_u32_e32 vcc, s44, v1
	v_accvgpr_write_b32 a60, s34
	s_and_saveexec_b64 s[40:41], vcc
	s_cbranch_execz .LBB235_122
; %bb.121:                              ;   in Loop: Header=BB235_13 Depth=1
	v_mov_b32_e32 v2, 7
	v_and_b32_sdwa v4, v0, v2 dst_sel:DWORD dst_unused:UNUSED_PAD src0_sel:BYTE_1 src1_sel:DWORD
	v_lshrrev_b32_e32 v6, 3, v1
	v_cmp_gt_u32_e32 vcc, 8, v1
	v_ffbh_u32_e32 v1, v4
	v_min_u32_e32 v1, 32, v1
	v_subrev_u32_e32 v2, 28, v1
	v_lshlrev_b64 v[2:3], v2, v[4:5]
	v_sub_u32_e32 v1, 29, v1
	v_and_b32_e32 v2, 7, v2
	v_cndmask_b32_e32 v1, v6, v1, vcc
	v_bfrev_b32_e32 v3, 60
	v_cndmask_b32_e32 v2, v4, v2, vcc
	v_lshlrev_b32_e32 v0, 16, v0
	v_lshl_add_u32 v1, v1, 23, v3
	v_and_or_b32 v0, v0, s27, v1
	v_lshlrev_b32_e32 v1, 20, v2
	v_or_b32_e32 v1, v0, v1
	v_mov_b32_e32 v0, v5
	v_accvgpr_write_b32 a61, v1
	v_accvgpr_write_b32 a60, v0
.LBB235_122:                            ;   in Loop: Header=BB235_13 Depth=1
	s_or_b64 exec, exec, s[40:41]
.LBB235_123:                            ;   in Loop: Header=BB235_13 Depth=1
	s_or_b64 exec, exec, s[38:39]
.LBB235_124:                            ;   in Loop: Header=BB235_13 Depth=1
	s_or_b64 exec, exec, s[36:37]
	flat_load_ushort v1, v[24:25] offset:1028
	v_pk_mov_b32 v[2:3], 0, 0
	v_accvgpr_write_b32 a29, v3
	v_accvgpr_write_b32 a27, v3
	;; [unrolled: 1-line block ×4, first 2 shown]
	s_waitcnt vmcnt(0) lgkmcnt(0)
	v_and_b32_e32 v0, 0xffff, v1
	v_cmp_ne_u16_sdwa vcc, v1, v5 src0_sel:BYTE_0 src1_sel:DWORD
	s_and_saveexec_b64 s[36:37], vcc
	s_cbranch_execz .LBB235_130
; %bb.125:                              ;   in Loop: Header=BB235_13 Depth=1
	v_bfrev_b32_e32 v2, 1
	v_mov_b32_e32 v3, 0
	v_accvgpr_write_b32 a27, v3
	v_cmp_ne_u16_sdwa vcc, v0, s43 src0_sel:BYTE_0 src1_sel:DWORD
	v_accvgpr_write_b32 a26, v2
	s_and_saveexec_b64 s[38:39], vcc
	s_cbranch_execz .LBB235_129
; %bb.126:                              ;   in Loop: Header=BB235_13 Depth=1
	v_mov_b32_e32 v2, 0x7f800001
	v_mov_b32_e32 v3, 0
	v_and_b32_e32 v1, 0x7f, v0
	v_accvgpr_write_b32 a27, v3
	v_cmp_ne_u32_e32 vcc, s44, v1
	v_accvgpr_write_b32 a26, v2
	s_and_saveexec_b64 s[40:41], vcc
	s_cbranch_execz .LBB235_128
; %bb.127:                              ;   in Loop: Header=BB235_13 Depth=1
	v_and_b32_e32 v4, 7, v0
	v_lshrrev_b32_e32 v6, 3, v1
	v_cmp_gt_u32_e32 vcc, 8, v1
	v_ffbh_u32_e32 v1, v4
	v_min_u32_e32 v1, 32, v1
	v_subrev_u32_e32 v2, 28, v1
	v_lshlrev_b64 v[2:3], v2, v[0:1]
	v_sub_u32_e32 v1, 29, v1
	v_and_b32_e32 v2, 7, v2
	v_cndmask_b32_e32 v1, v6, v1, vcc
	v_cndmask_b32_e32 v2, v4, v2, vcc
	v_bfrev_b32_e32 v4, 60
	v_lshlrev_b32_e32 v2, 20, v2
	v_and_b32_sdwa v3, sext(v0), s27 dst_sel:DWORD dst_unused:UNUSED_PAD src0_sel:BYTE_0 src1_sel:DWORD
	v_lshl_add_u32 v1, v1, 23, v4
	v_or3_b32 v4, v3, v1, v2
	v_accvgpr_write_b32 a27, v5
	v_accvgpr_write_b32 a26, v4
.LBB235_128:                            ;   in Loop: Header=BB235_13 Depth=1
	s_or_b64 exec, exec, s[40:41]
.LBB235_129:                            ;   in Loop: Header=BB235_13 Depth=1
	s_or_b64 exec, exec, s[38:39]
.LBB235_130:                            ;   in Loop: Header=BB235_13 Depth=1
	s_or_b64 exec, exec, s[36:37]
	v_cmp_ne_u16_sdwa vcc, v0, v5 src0_sel:BYTE_1 src1_sel:DWORD
	s_and_saveexec_b64 s[36:37], vcc
	s_cbranch_execz .LBB235_136
; %bb.131:                              ;   in Loop: Header=BB235_13 Depth=1
	v_accvgpr_write_b32 a29, s27
	v_cmp_ne_u16_sdwa vcc, v0, s43 src0_sel:BYTE_1 src1_sel:DWORD
	v_accvgpr_write_b32 a28, s26
	s_and_saveexec_b64 s[38:39], vcc
	s_cbranch_execz .LBB235_135
; %bb.132:                              ;   in Loop: Header=BB235_13 Depth=1
	s_mov_b32 s34, s26
	v_and_b32_sdwa v1, v0, s44 dst_sel:DWORD dst_unused:UNUSED_PAD src0_sel:BYTE_1 src1_sel:DWORD
	v_accvgpr_write_b32 a28, s34
	v_cmp_ne_u32_e32 vcc, s44, v1
	v_accvgpr_write_b32 a29, s35
	s_and_saveexec_b64 s[40:41], vcc
	s_cbranch_execz .LBB235_134
; %bb.133:                              ;   in Loop: Header=BB235_13 Depth=1
	v_mov_b32_e32 v2, 7
	v_and_b32_sdwa v4, v0, v2 dst_sel:DWORD dst_unused:UNUSED_PAD src0_sel:BYTE_1 src1_sel:DWORD
	v_lshrrev_b32_e32 v6, 3, v1
	v_cmp_gt_u32_e32 vcc, 8, v1
	v_ffbh_u32_e32 v1, v4
	v_min_u32_e32 v1, 32, v1
	v_subrev_u32_e32 v2, 28, v1
	v_lshlrev_b64 v[2:3], v2, v[4:5]
	v_sub_u32_e32 v1, 29, v1
	v_and_b32_e32 v2, 7, v2
	v_cndmask_b32_e32 v1, v6, v1, vcc
	v_bfrev_b32_e32 v3, 60
	v_cndmask_b32_e32 v2, v4, v2, vcc
	v_lshlrev_b32_e32 v0, 16, v0
	v_lshl_add_u32 v1, v1, 23, v3
	v_and_or_b32 v0, v0, s27, v1
	v_lshlrev_b32_e32 v1, 20, v2
	v_or_b32_e32 v1, v0, v1
	v_mov_b32_e32 v0, v5
	v_accvgpr_write_b32 a29, v1
	v_accvgpr_write_b32 a28, v0
.LBB235_134:                            ;   in Loop: Header=BB235_13 Depth=1
	s_or_b64 exec, exec, s[40:41]
.LBB235_135:                            ;   in Loop: Header=BB235_13 Depth=1
	s_or_b64 exec, exec, s[38:39]
.LBB235_136:                            ;   in Loop: Header=BB235_13 Depth=1
	s_or_b64 exec, exec, s[36:37]
	v_add_co_u32_e32 v0, vcc, 0x400, v24
	v_addc_co_u32_e32 v1, vcc, 0, v25, vcc
	flat_load_ushort v3, v[0:1] offset:8
	v_pk_mov_b32 v[6:7], 0, 0
	v_accvgpr_write_b32 a25, v7
	v_accvgpr_write_b32 a19, v7
	;; [unrolled: 1-line block ×4, first 2 shown]
	s_waitcnt vmcnt(0) lgkmcnt(0)
	v_and_b32_e32 v2, 0xffff, v3
	v_cmp_ne_u16_sdwa vcc, v3, v5 src0_sel:BYTE_0 src1_sel:DWORD
	s_and_saveexec_b64 s[36:37], vcc
	s_cbranch_execz .LBB235_142
; %bb.137:                              ;   in Loop: Header=BB235_13 Depth=1
	v_bfrev_b32_e32 v6, 1
	v_mov_b32_e32 v7, 0
	v_accvgpr_write_b32 a19, v7
	v_cmp_ne_u16_sdwa vcc, v2, s43 src0_sel:BYTE_0 src1_sel:DWORD
	v_accvgpr_write_b32 a18, v6
	s_and_saveexec_b64 s[38:39], vcc
	s_cbranch_execz .LBB235_141
; %bb.138:                              ;   in Loop: Header=BB235_13 Depth=1
	v_mov_b32_e32 v6, 0x7f800001
	v_mov_b32_e32 v7, 0
	v_and_b32_e32 v3, 0x7f, v2
	v_accvgpr_write_b32 a19, v7
	v_cmp_ne_u32_e32 vcc, s44, v3
	v_accvgpr_write_b32 a18, v6
	s_and_saveexec_b64 s[40:41], vcc
	s_cbranch_execz .LBB235_140
; %bb.139:                              ;   in Loop: Header=BB235_13 Depth=1
	v_and_b32_e32 v4, 7, v2
	v_lshrrev_b32_e32 v8, 3, v3
	v_cmp_gt_u32_e32 vcc, 8, v3
	v_ffbh_u32_e32 v3, v4
	v_min_u32_e32 v3, 32, v3
	v_subrev_u32_e32 v6, 28, v3
	v_lshlrev_b64 v[6:7], v6, v[2:3]
	v_sub_u32_e32 v3, 29, v3
	v_and_b32_e32 v6, 7, v6
	v_cndmask_b32_e32 v3, v8, v3, vcc
	v_cndmask_b32_e32 v4, v4, v6, vcc
	v_bfrev_b32_e32 v7, 60
	v_lshlrev_b32_e32 v4, 20, v4
	v_and_b32_sdwa v6, sext(v2), s27 dst_sel:DWORD dst_unused:UNUSED_PAD src0_sel:BYTE_0 src1_sel:DWORD
	v_lshl_add_u32 v3, v3, 23, v7
	v_or3_b32 v4, v6, v3, v4
	v_accvgpr_write_b32 a19, v5
	v_accvgpr_write_b32 a18, v4
.LBB235_140:                            ;   in Loop: Header=BB235_13 Depth=1
	s_or_b64 exec, exec, s[40:41]
.LBB235_141:                            ;   in Loop: Header=BB235_13 Depth=1
	s_or_b64 exec, exec, s[38:39]
.LBB235_142:                            ;   in Loop: Header=BB235_13 Depth=1
	s_or_b64 exec, exec, s[36:37]
	v_cmp_ne_u16_sdwa vcc, v2, v5 src0_sel:BYTE_1 src1_sel:DWORD
	s_and_saveexec_b64 s[36:37], vcc
	s_cbranch_execz .LBB235_148
; %bb.143:                              ;   in Loop: Header=BB235_13 Depth=1
	v_accvgpr_write_b32 a24, s26
	v_cmp_ne_u16_sdwa vcc, v2, s43 src0_sel:BYTE_1 src1_sel:DWORD
	v_accvgpr_write_b32 a25, s27
	s_and_saveexec_b64 s[38:39], vcc
	s_cbranch_execz .LBB235_147
; %bb.144:                              ;   in Loop: Header=BB235_13 Depth=1
	s_mov_b32 s34, s26
	v_and_b32_sdwa v3, v2, s44 dst_sel:DWORD dst_unused:UNUSED_PAD src0_sel:BYTE_1 src1_sel:DWORD
	v_accvgpr_write_b32 a24, s34
	v_cmp_ne_u32_e32 vcc, s44, v3
	v_accvgpr_write_b32 a25, s35
	s_and_saveexec_b64 s[40:41], vcc
	s_cbranch_execz .LBB235_146
; %bb.145:                              ;   in Loop: Header=BB235_13 Depth=1
	v_mov_b32_e32 v4, 7
	v_and_b32_sdwa v4, v2, v4 dst_sel:DWORD dst_unused:UNUSED_PAD src0_sel:BYTE_1 src1_sel:DWORD
	v_lshrrev_b32_e32 v8, 3, v3
	v_cmp_gt_u32_e32 vcc, 8, v3
	v_ffbh_u32_e32 v3, v4
	v_min_u32_e32 v3, 32, v3
	v_subrev_u32_e32 v6, 28, v3
	v_lshlrev_b64 v[6:7], v6, v[4:5]
	v_sub_u32_e32 v3, 29, v3
	v_and_b32_e32 v6, 7, v6
	v_cndmask_b32_e32 v3, v8, v3, vcc
	v_cndmask_b32_e32 v4, v4, v6, vcc
	v_bfrev_b32_e32 v6, 60
	v_lshlrev_b32_e32 v2, 16, v2
	v_lshl_add_u32 v3, v3, 23, v6
	v_and_or_b32 v2, v2, s27, v3
	v_lshlrev_b32_e32 v3, 20, v4
	v_or_b32_e32 v3, v2, v3
	v_mov_b32_e32 v2, v5
	v_accvgpr_write_b32 a25, v3
	v_accvgpr_write_b32 a24, v2
.LBB235_146:                            ;   in Loop: Header=BB235_13 Depth=1
	s_or_b64 exec, exec, s[40:41]
.LBB235_147:                            ;   in Loop: Header=BB235_13 Depth=1
	s_or_b64 exec, exec, s[38:39]
.LBB235_148:                            ;   in Loop: Header=BB235_13 Depth=1
	s_or_b64 exec, exec, s[36:37]
	flat_load_ushort v1, v[0:1] offset:12
	v_pk_mov_b32 v[2:3], 0, 0
	v_accvgpr_write_b32 a17, v3
	v_accvgpr_write_b32 a23, v3
	;; [unrolled: 1-line block ×4, first 2 shown]
	s_waitcnt vmcnt(0) lgkmcnt(0)
	v_and_b32_e32 v0, 0xffff, v1
	v_cmp_ne_u16_sdwa vcc, v1, v5 src0_sel:BYTE_0 src1_sel:DWORD
	s_and_saveexec_b64 s[36:37], vcc
	s_cbranch_execz .LBB235_154
; %bb.149:                              ;   in Loop: Header=BB235_13 Depth=1
	v_bfrev_b32_e32 v2, 1
	v_mov_b32_e32 v3, 0
	v_accvgpr_write_b32 a23, v3
	v_cmp_ne_u16_sdwa vcc, v0, s43 src0_sel:BYTE_0 src1_sel:DWORD
	v_accvgpr_write_b32 a22, v2
	s_and_saveexec_b64 s[38:39], vcc
	s_cbranch_execz .LBB235_153
; %bb.150:                              ;   in Loop: Header=BB235_13 Depth=1
	v_mov_b32_e32 v2, 0x7f800001
	v_mov_b32_e32 v3, 0
	v_and_b32_e32 v1, 0x7f, v0
	v_accvgpr_write_b32 a23, v3
	v_cmp_ne_u32_e32 vcc, s44, v1
	v_accvgpr_write_b32 a22, v2
	s_and_saveexec_b64 s[40:41], vcc
	s_cbranch_execz .LBB235_152
; %bb.151:                              ;   in Loop: Header=BB235_13 Depth=1
	v_and_b32_e32 v4, 7, v0
	v_lshrrev_b32_e32 v6, 3, v1
	v_cmp_gt_u32_e32 vcc, 8, v1
	v_ffbh_u32_e32 v1, v4
	v_min_u32_e32 v1, 32, v1
	v_subrev_u32_e32 v2, 28, v1
	v_lshlrev_b64 v[2:3], v2, v[0:1]
	v_sub_u32_e32 v1, 29, v1
	v_and_b32_e32 v2, 7, v2
	v_cndmask_b32_e32 v1, v6, v1, vcc
	v_cndmask_b32_e32 v2, v4, v2, vcc
	v_bfrev_b32_e32 v4, 60
	v_lshlrev_b32_e32 v2, 20, v2
	v_and_b32_sdwa v3, sext(v0), s27 dst_sel:DWORD dst_unused:UNUSED_PAD src0_sel:BYTE_0 src1_sel:DWORD
	v_lshl_add_u32 v1, v1, 23, v4
	v_or3_b32 v4, v3, v1, v2
	v_accvgpr_write_b32 a23, v5
	v_accvgpr_write_b32 a22, v4
.LBB235_152:                            ;   in Loop: Header=BB235_13 Depth=1
	s_or_b64 exec, exec, s[40:41]
.LBB235_153:                            ;   in Loop: Header=BB235_13 Depth=1
	s_or_b64 exec, exec, s[38:39]
.LBB235_154:                            ;   in Loop: Header=BB235_13 Depth=1
	s_or_b64 exec, exec, s[36:37]
	v_cmp_ne_u16_sdwa vcc, v0, v5 src0_sel:BYTE_1 src1_sel:DWORD
	s_and_saveexec_b64 s[36:37], vcc
	s_cbranch_execz .LBB235_160
; %bb.155:                              ;   in Loop: Header=BB235_13 Depth=1
	v_accvgpr_write_b32 a16, s26
	v_cmp_ne_u16_sdwa vcc, v0, s43 src0_sel:BYTE_1 src1_sel:DWORD
	v_accvgpr_write_b32 a17, s27
	s_and_saveexec_b64 s[38:39], vcc
	s_cbranch_execz .LBB235_159
; %bb.156:                              ;   in Loop: Header=BB235_13 Depth=1
	s_mov_b32 s34, s26
	v_and_b32_sdwa v1, v0, s44 dst_sel:DWORD dst_unused:UNUSED_PAD src0_sel:BYTE_1 src1_sel:DWORD
	v_accvgpr_write_b32 a16, s34
	v_cmp_ne_u32_e32 vcc, s44, v1
	v_accvgpr_write_b32 a17, s35
	s_and_saveexec_b64 s[40:41], vcc
	s_cbranch_execz .LBB235_158
; %bb.157:                              ;   in Loop: Header=BB235_13 Depth=1
	v_mov_b32_e32 v2, 7
	v_and_b32_sdwa v4, v0, v2 dst_sel:DWORD dst_unused:UNUSED_PAD src0_sel:BYTE_1 src1_sel:DWORD
	v_lshrrev_b32_e32 v6, 3, v1
	v_cmp_gt_u32_e32 vcc, 8, v1
	v_ffbh_u32_e32 v1, v4
	v_min_u32_e32 v1, 32, v1
	v_subrev_u32_e32 v2, 28, v1
	v_lshlrev_b64 v[2:3], v2, v[4:5]
	v_sub_u32_e32 v1, 29, v1
	v_and_b32_e32 v2, 7, v2
	v_cndmask_b32_e32 v1, v6, v1, vcc
	v_bfrev_b32_e32 v3, 60
	v_cndmask_b32_e32 v2, v4, v2, vcc
	v_lshlrev_b32_e32 v0, 16, v0
	v_lshl_add_u32 v1, v1, 23, v3
	v_and_or_b32 v0, v0, s27, v1
	v_lshlrev_b32_e32 v1, 20, v2
	v_or_b32_e32 v1, v0, v1
	v_mov_b32_e32 v0, v5
	v_accvgpr_write_b32 a17, v1
	v_accvgpr_write_b32 a16, v0
.LBB235_158:                            ;   in Loop: Header=BB235_13 Depth=1
	s_or_b64 exec, exec, s[40:41]
.LBB235_159:                            ;   in Loop: Header=BB235_13 Depth=1
	s_or_b64 exec, exec, s[38:39]
.LBB235_160:                            ;   in Loop: Header=BB235_13 Depth=1
	s_or_b64 exec, exec, s[36:37]
	flat_load_ushort v1, v[24:25] offset:1536
	v_pk_mov_b32 v[2:3], 0, 0
	v_accvgpr_write_b32 a21, v3
	v_accvgpr_write_b32 a7, v3
	;; [unrolled: 1-line block ×4, first 2 shown]
	s_waitcnt vmcnt(0) lgkmcnt(0)
	v_and_b32_e32 v0, 0xffff, v1
	v_cmp_ne_u16_sdwa vcc, v1, v5 src0_sel:BYTE_0 src1_sel:DWORD
	s_and_saveexec_b64 s[36:37], vcc
	s_cbranch_execz .LBB235_166
; %bb.161:                              ;   in Loop: Header=BB235_13 Depth=1
	v_bfrev_b32_e32 v2, 1
	v_mov_b32_e32 v3, 0
	v_accvgpr_write_b32 a7, v3
	v_cmp_ne_u16_sdwa vcc, v0, s43 src0_sel:BYTE_0 src1_sel:DWORD
	v_accvgpr_write_b32 a6, v2
	s_and_saveexec_b64 s[38:39], vcc
	s_cbranch_execz .LBB235_165
; %bb.162:                              ;   in Loop: Header=BB235_13 Depth=1
	v_mov_b32_e32 v2, 0x7f800001
	v_mov_b32_e32 v3, 0
	v_and_b32_e32 v1, 0x7f, v0
	v_accvgpr_write_b32 a7, v3
	v_cmp_ne_u32_e32 vcc, s44, v1
	v_accvgpr_write_b32 a6, v2
	s_and_saveexec_b64 s[40:41], vcc
	s_cbranch_execz .LBB235_164
; %bb.163:                              ;   in Loop: Header=BB235_13 Depth=1
	v_and_b32_e32 v4, 7, v0
	v_lshrrev_b32_e32 v6, 3, v1
	v_cmp_gt_u32_e32 vcc, 8, v1
	v_ffbh_u32_e32 v1, v4
	v_min_u32_e32 v1, 32, v1
	v_subrev_u32_e32 v2, 28, v1
	v_lshlrev_b64 v[2:3], v2, v[0:1]
	v_sub_u32_e32 v1, 29, v1
	v_and_b32_e32 v2, 7, v2
	v_cndmask_b32_e32 v1, v6, v1, vcc
	v_cndmask_b32_e32 v2, v4, v2, vcc
	v_bfrev_b32_e32 v4, 60
	v_lshlrev_b32_e32 v2, 20, v2
	v_and_b32_sdwa v3, sext(v0), s27 dst_sel:DWORD dst_unused:UNUSED_PAD src0_sel:BYTE_0 src1_sel:DWORD
	v_lshl_add_u32 v1, v1, 23, v4
	v_or3_b32 v4, v3, v1, v2
	v_accvgpr_write_b32 a7, v5
	v_accvgpr_write_b32 a6, v4
.LBB235_164:                            ;   in Loop: Header=BB235_13 Depth=1
	s_or_b64 exec, exec, s[40:41]
.LBB235_165:                            ;   in Loop: Header=BB235_13 Depth=1
	s_or_b64 exec, exec, s[38:39]
.LBB235_166:                            ;   in Loop: Header=BB235_13 Depth=1
	s_or_b64 exec, exec, s[36:37]
	v_cmp_ne_u16_sdwa vcc, v0, v5 src0_sel:BYTE_1 src1_sel:DWORD
	s_and_saveexec_b64 s[36:37], vcc
	s_cbranch_execz .LBB235_172
; %bb.167:                              ;   in Loop: Header=BB235_13 Depth=1
	v_accvgpr_write_b32 a20, s26
	v_cmp_ne_u16_sdwa vcc, v0, s43 src0_sel:BYTE_1 src1_sel:DWORD
	v_accvgpr_write_b32 a21, s27
	s_and_saveexec_b64 s[38:39], vcc
	s_cbranch_execz .LBB235_171
; %bb.168:                              ;   in Loop: Header=BB235_13 Depth=1
	s_mov_b32 s34, s26
	v_and_b32_sdwa v1, v0, s44 dst_sel:DWORD dst_unused:UNUSED_PAD src0_sel:BYTE_1 src1_sel:DWORD
	v_accvgpr_write_b32 a20, s34
	v_cmp_ne_u32_e32 vcc, s44, v1
	v_accvgpr_write_b32 a21, s35
	s_and_saveexec_b64 s[40:41], vcc
	s_cbranch_execz .LBB235_170
; %bb.169:                              ;   in Loop: Header=BB235_13 Depth=1
	v_mov_b32_e32 v2, 7
	v_and_b32_sdwa v4, v0, v2 dst_sel:DWORD dst_unused:UNUSED_PAD src0_sel:BYTE_1 src1_sel:DWORD
	v_lshrrev_b32_e32 v6, 3, v1
	v_cmp_gt_u32_e32 vcc, 8, v1
	v_ffbh_u32_e32 v1, v4
	v_min_u32_e32 v1, 32, v1
	v_subrev_u32_e32 v2, 28, v1
	v_lshlrev_b64 v[2:3], v2, v[4:5]
	v_sub_u32_e32 v1, 29, v1
	v_and_b32_e32 v2, 7, v2
	v_cndmask_b32_e32 v1, v6, v1, vcc
	v_bfrev_b32_e32 v3, 60
	v_cndmask_b32_e32 v2, v4, v2, vcc
	v_lshlrev_b32_e32 v0, 16, v0
	v_lshl_add_u32 v1, v1, 23, v3
	v_and_or_b32 v0, v0, s27, v1
	v_lshlrev_b32_e32 v1, 20, v2
	v_or_b32_e32 v1, v0, v1
	v_mov_b32_e32 v0, v5
	v_accvgpr_write_b32 a21, v1
	v_accvgpr_write_b32 a20, v0
.LBB235_170:                            ;   in Loop: Header=BB235_13 Depth=1
	s_or_b64 exec, exec, s[40:41]
.LBB235_171:                            ;   in Loop: Header=BB235_13 Depth=1
	s_or_b64 exec, exec, s[38:39]
.LBB235_172:                            ;   in Loop: Header=BB235_13 Depth=1
	s_or_b64 exec, exec, s[36:37]
	flat_load_ushort v1, v[24:25] offset:1540
	v_pk_mov_b32 v[2:3], 0, 0
	v_accvgpr_write_b32 a5, v3
	v_accvgpr_write_b32 a2, v2
	;; [unrolled: 1-line block ×4, first 2 shown]
	s_waitcnt vmcnt(0) lgkmcnt(0)
	v_and_b32_e32 v0, 0xffff, v1
	v_cmp_ne_u16_sdwa vcc, v1, v5 src0_sel:BYTE_0 src1_sel:DWORD
	s_and_saveexec_b64 s[36:37], vcc
	s_cbranch_execz .LBB235_178
; %bb.173:                              ;   in Loop: Header=BB235_13 Depth=1
	v_bfrev_b32_e32 v2, 1
	v_mov_b32_e32 v3, 0
	v_accvgpr_write_b32 a2, v2
	v_cmp_ne_u16_sdwa vcc, v0, s43 src0_sel:BYTE_0 src1_sel:DWORD
	v_accvgpr_write_b32 a3, v3
	s_and_saveexec_b64 s[38:39], vcc
	s_cbranch_execz .LBB235_177
; %bb.174:                              ;   in Loop: Header=BB235_13 Depth=1
	v_mov_b32_e32 v2, 0x7f800001
	v_and_b32_e32 v1, 0x7f, v0
	v_mov_b32_e32 v3, 0
	v_accvgpr_write_b32 a2, v2
	v_cmp_ne_u32_e32 vcc, s44, v1
	v_accvgpr_write_b32 a3, v3
	s_and_saveexec_b64 s[40:41], vcc
	s_cbranch_execz .LBB235_176
; %bb.175:                              ;   in Loop: Header=BB235_13 Depth=1
	v_and_b32_e32 v4, 7, v0
	v_lshrrev_b32_e32 v6, 3, v1
	v_cmp_gt_u32_e32 vcc, 8, v1
	v_ffbh_u32_e32 v1, v4
	v_min_u32_e32 v1, 32, v1
	v_subrev_u32_e32 v2, 28, v1
	v_lshlrev_b64 v[2:3], v2, v[0:1]
	v_sub_u32_e32 v1, 29, v1
	v_and_b32_e32 v2, 7, v2
	v_cndmask_b32_e32 v1, v6, v1, vcc
	v_cndmask_b32_e32 v2, v4, v2, vcc
	v_bfrev_b32_e32 v4, 60
	v_lshlrev_b32_e32 v2, 20, v2
	v_and_b32_sdwa v3, sext(v0), s27 dst_sel:DWORD dst_unused:UNUSED_PAD src0_sel:BYTE_0 src1_sel:DWORD
	v_lshl_add_u32 v1, v1, 23, v4
	v_or3_b32 v4, v3, v1, v2
	v_accvgpr_write_b32 a2, v4
	v_accvgpr_write_b32 a3, v5
.LBB235_176:                            ;   in Loop: Header=BB235_13 Depth=1
	s_or_b64 exec, exec, s[40:41]
.LBB235_177:                            ;   in Loop: Header=BB235_13 Depth=1
	s_or_b64 exec, exec, s[38:39]
.LBB235_178:                            ;   in Loop: Header=BB235_13 Depth=1
	s_or_b64 exec, exec, s[36:37]
	v_cmp_ne_u16_sdwa vcc, v0, v5 src0_sel:BYTE_1 src1_sel:DWORD
	s_and_saveexec_b64 s[36:37], vcc
	s_cbranch_execz .LBB235_184
; %bb.179:                              ;   in Loop: Header=BB235_13 Depth=1
	v_accvgpr_write_b32 a4, s26
	v_cmp_ne_u16_sdwa vcc, v0, s43 src0_sel:BYTE_1 src1_sel:DWORD
	v_accvgpr_write_b32 a5, s27
	s_and_saveexec_b64 s[38:39], vcc
	s_cbranch_execz .LBB235_183
; %bb.180:                              ;   in Loop: Header=BB235_13 Depth=1
	s_mov_b32 s34, s26
	v_and_b32_sdwa v1, v0, s44 dst_sel:DWORD dst_unused:UNUSED_PAD src0_sel:BYTE_1 src1_sel:DWORD
	v_accvgpr_write_b32 a4, s34
	v_cmp_ne_u32_e32 vcc, s44, v1
	v_accvgpr_write_b32 a5, s35
	s_and_saveexec_b64 s[40:41], vcc
	s_cbranch_execz .LBB235_182
; %bb.181:                              ;   in Loop: Header=BB235_13 Depth=1
	v_mov_b32_e32 v2, 7
	v_and_b32_sdwa v4, v0, v2 dst_sel:DWORD dst_unused:UNUSED_PAD src0_sel:BYTE_1 src1_sel:DWORD
	v_lshrrev_b32_e32 v6, 3, v1
	v_cmp_gt_u32_e32 vcc, 8, v1
	v_ffbh_u32_e32 v1, v4
	v_min_u32_e32 v1, 32, v1
	v_subrev_u32_e32 v2, 28, v1
	v_lshlrev_b64 v[2:3], v2, v[4:5]
	v_sub_u32_e32 v1, 29, v1
	v_and_b32_e32 v2, 7, v2
	v_cndmask_b32_e32 v1, v6, v1, vcc
	v_bfrev_b32_e32 v3, 60
	v_cndmask_b32_e32 v2, v4, v2, vcc
	v_lshlrev_b32_e32 v0, 16, v0
	v_lshl_add_u32 v1, v1, 23, v3
	v_and_or_b32 v0, v0, s27, v1
	v_lshlrev_b32_e32 v1, 20, v2
	v_or_b32_e32 v1, v0, v1
	v_mov_b32_e32 v0, v5
	v_accvgpr_write_b32 a5, v1
	v_accvgpr_write_b32 a4, v0
.LBB235_182:                            ;   in Loop: Header=BB235_13 Depth=1
	s_or_b64 exec, exec, s[40:41]
.LBB235_183:                            ;   in Loop: Header=BB235_13 Depth=1
	s_or_b64 exec, exec, s[38:39]
.LBB235_184:                            ;   in Loop: Header=BB235_13 Depth=1
	s_or_b64 exec, exec, s[36:37]
	v_add_co_u32_e32 v0, vcc, 0x600, v24
	v_addc_co_u32_e32 v1, vcc, 0, v25, vcc
	flat_load_ushort v3, v[0:1] offset:8
	v_pk_mov_b32 v[6:7], 0, 0
	v_accvgpr_write_b32 a0, v6
	v_accvgpr_write_b32 a11, v7
	;; [unrolled: 1-line block ×4, first 2 shown]
	s_waitcnt vmcnt(0) lgkmcnt(0)
	v_and_b32_e32 v2, 0xffff, v3
	v_cmp_ne_u16_sdwa vcc, v3, v5 src0_sel:BYTE_0 src1_sel:DWORD
	s_and_saveexec_b64 s[36:37], vcc
	s_cbranch_execz .LBB235_190
; %bb.185:                              ;   in Loop: Header=BB235_13 Depth=1
	v_bfrev_b32_e32 v6, 1
	v_mov_b32_e32 v7, 0
	v_accvgpr_write_b32 a11, v7
	v_cmp_ne_u16_sdwa vcc, v2, s43 src0_sel:BYTE_0 src1_sel:DWORD
	v_accvgpr_write_b32 a10, v6
	s_and_saveexec_b64 s[38:39], vcc
	s_cbranch_execz .LBB235_189
; %bb.186:                              ;   in Loop: Header=BB235_13 Depth=1
	v_mov_b32_e32 v6, 0x7f800001
	v_mov_b32_e32 v7, 0
	v_and_b32_e32 v3, 0x7f, v2
	v_accvgpr_write_b32 a11, v7
	v_cmp_ne_u32_e32 vcc, s44, v3
	v_accvgpr_write_b32 a10, v6
	s_and_saveexec_b64 s[40:41], vcc
	s_cbranch_execz .LBB235_188
; %bb.187:                              ;   in Loop: Header=BB235_13 Depth=1
	v_and_b32_e32 v4, 7, v2
	v_lshrrev_b32_e32 v8, 3, v3
	v_cmp_gt_u32_e32 vcc, 8, v3
	v_ffbh_u32_e32 v3, v4
	v_min_u32_e32 v3, 32, v3
	v_subrev_u32_e32 v6, 28, v3
	v_lshlrev_b64 v[6:7], v6, v[2:3]
	v_sub_u32_e32 v3, 29, v3
	v_and_b32_e32 v6, 7, v6
	v_cndmask_b32_e32 v3, v8, v3, vcc
	v_cndmask_b32_e32 v4, v4, v6, vcc
	v_bfrev_b32_e32 v7, 60
	v_lshlrev_b32_e32 v4, 20, v4
	v_and_b32_sdwa v6, sext(v2), s27 dst_sel:DWORD dst_unused:UNUSED_PAD src0_sel:BYTE_0 src1_sel:DWORD
	v_lshl_add_u32 v3, v3, 23, v7
	v_or3_b32 v4, v6, v3, v4
	v_accvgpr_write_b32 a11, v5
	v_accvgpr_write_b32 a10, v4
.LBB235_188:                            ;   in Loop: Header=BB235_13 Depth=1
	s_or_b64 exec, exec, s[40:41]
.LBB235_189:                            ;   in Loop: Header=BB235_13 Depth=1
	s_or_b64 exec, exec, s[38:39]
.LBB235_190:                            ;   in Loop: Header=BB235_13 Depth=1
	s_or_b64 exec, exec, s[36:37]
	v_cmp_ne_u16_sdwa vcc, v2, v5 src0_sel:BYTE_1 src1_sel:DWORD
	s_and_saveexec_b64 s[36:37], vcc
	s_cbranch_execz .LBB235_196
; %bb.191:                              ;   in Loop: Header=BB235_13 Depth=1
	v_accvgpr_write_b32 a0, s26
	v_cmp_ne_u16_sdwa vcc, v2, s43 src0_sel:BYTE_1 src1_sel:DWORD
	v_accvgpr_write_b32 a1, s27
	s_and_saveexec_b64 s[38:39], vcc
	s_cbranch_execz .LBB235_195
; %bb.192:                              ;   in Loop: Header=BB235_13 Depth=1
	s_mov_b32 s34, s26
	v_and_b32_sdwa v3, v2, s44 dst_sel:DWORD dst_unused:UNUSED_PAD src0_sel:BYTE_1 src1_sel:DWORD
	v_accvgpr_write_b32 a0, s34
	v_cmp_ne_u32_e32 vcc, s44, v3
	v_accvgpr_write_b32 a1, s35
	s_and_saveexec_b64 s[40:41], vcc
	s_cbranch_execz .LBB235_194
; %bb.193:                              ;   in Loop: Header=BB235_13 Depth=1
	v_mov_b32_e32 v4, 7
	v_and_b32_sdwa v4, v2, v4 dst_sel:DWORD dst_unused:UNUSED_PAD src0_sel:BYTE_1 src1_sel:DWORD
	v_lshrrev_b32_e32 v8, 3, v3
	v_cmp_gt_u32_e32 vcc, 8, v3
	v_ffbh_u32_e32 v3, v4
	v_min_u32_e32 v3, 32, v3
	v_subrev_u32_e32 v6, 28, v3
	v_lshlrev_b64 v[6:7], v6, v[4:5]
	v_sub_u32_e32 v3, 29, v3
	v_and_b32_e32 v6, 7, v6
	v_cndmask_b32_e32 v3, v8, v3, vcc
	v_cndmask_b32_e32 v4, v4, v6, vcc
	v_bfrev_b32_e32 v6, 60
	v_lshlrev_b32_e32 v2, 16, v2
	v_lshl_add_u32 v3, v3, 23, v6
	v_and_or_b32 v2, v2, s27, v3
	v_lshlrev_b32_e32 v3, 20, v4
	v_or_b32_e32 v3, v2, v3
	v_mov_b32_e32 v2, v5
	v_accvgpr_write_b32 a0, v2
	v_accvgpr_write_b32 a1, v3
.LBB235_194:                            ;   in Loop: Header=BB235_13 Depth=1
	s_or_b64 exec, exec, s[40:41]
.LBB235_195:                            ;   in Loop: Header=BB235_13 Depth=1
	s_or_b64 exec, exec, s[38:39]
.LBB235_196:                            ;   in Loop: Header=BB235_13 Depth=1
	s_or_b64 exec, exec, s[36:37]
	flat_load_ushort v1, v[0:1] offset:12
	v_pk_mov_b32 v[2:3], 0, 0
	v_accvgpr_write_b32 a9, v3
	v_accvgpr_write_b32 a37, v3
	;; [unrolled: 1-line block ×4, first 2 shown]
	s_waitcnt vmcnt(0) lgkmcnt(0)
	v_and_b32_e32 v0, 0xffff, v1
	v_cmp_ne_u16_sdwa vcc, v1, v5 src0_sel:BYTE_0 src1_sel:DWORD
	s_and_saveexec_b64 s[36:37], vcc
	s_cbranch_execz .LBB235_202
; %bb.197:                              ;   in Loop: Header=BB235_13 Depth=1
	v_bfrev_b32_e32 v2, 1
	v_mov_b32_e32 v3, 0
	v_accvgpr_write_b32 a37, v3
	v_cmp_ne_u16_sdwa vcc, v0, s43 src0_sel:BYTE_0 src1_sel:DWORD
	v_accvgpr_write_b32 a36, v2
	s_and_saveexec_b64 s[38:39], vcc
	s_cbranch_execz .LBB235_201
; %bb.198:                              ;   in Loop: Header=BB235_13 Depth=1
	v_mov_b32_e32 v2, 0x7f800001
	v_mov_b32_e32 v3, 0
	v_and_b32_e32 v1, 0x7f, v0
	v_accvgpr_write_b32 a37, v3
	v_cmp_ne_u32_e32 vcc, s44, v1
	v_accvgpr_write_b32 a36, v2
	s_and_saveexec_b64 s[40:41], vcc
	s_cbranch_execz .LBB235_200
; %bb.199:                              ;   in Loop: Header=BB235_13 Depth=1
	v_and_b32_e32 v4, 7, v0
	v_lshrrev_b32_e32 v6, 3, v1
	v_cmp_gt_u32_e32 vcc, 8, v1
	v_ffbh_u32_e32 v1, v4
	v_min_u32_e32 v1, 32, v1
	v_subrev_u32_e32 v2, 28, v1
	v_lshlrev_b64 v[2:3], v2, v[0:1]
	v_sub_u32_e32 v1, 29, v1
	v_and_b32_e32 v2, 7, v2
	v_cndmask_b32_e32 v1, v6, v1, vcc
	v_cndmask_b32_e32 v2, v4, v2, vcc
	v_bfrev_b32_e32 v4, 60
	v_lshlrev_b32_e32 v2, 20, v2
	v_and_b32_sdwa v3, sext(v0), s27 dst_sel:DWORD dst_unused:UNUSED_PAD src0_sel:BYTE_0 src1_sel:DWORD
	v_lshl_add_u32 v1, v1, 23, v4
	v_or3_b32 v4, v3, v1, v2
	v_accvgpr_write_b32 a37, v5
	v_accvgpr_write_b32 a36, v4
.LBB235_200:                            ;   in Loop: Header=BB235_13 Depth=1
	s_or_b64 exec, exec, s[40:41]
.LBB235_201:                            ;   in Loop: Header=BB235_13 Depth=1
	s_or_b64 exec, exec, s[38:39]
.LBB235_202:                            ;   in Loop: Header=BB235_13 Depth=1
	s_or_b64 exec, exec, s[36:37]
	v_cmp_ne_u16_sdwa vcc, v0, v5 src0_sel:BYTE_1 src1_sel:DWORD
	s_and_saveexec_b64 s[36:37], vcc
	s_cbranch_execz .LBB235_208
; %bb.203:                              ;   in Loop: Header=BB235_13 Depth=1
	v_accvgpr_write_b32 a8, s26
	v_cmp_ne_u16_sdwa vcc, v0, s43 src0_sel:BYTE_1 src1_sel:DWORD
	v_accvgpr_write_b32 a9, s27
	s_and_saveexec_b64 s[38:39], vcc
	s_cbranch_execz .LBB235_207
; %bb.204:                              ;   in Loop: Header=BB235_13 Depth=1
	s_mov_b32 s34, s26
	v_and_b32_sdwa v1, v0, s44 dst_sel:DWORD dst_unused:UNUSED_PAD src0_sel:BYTE_1 src1_sel:DWORD
	v_accvgpr_write_b32 a8, s34
	v_cmp_ne_u32_e32 vcc, s44, v1
	v_accvgpr_write_b32 a9, s35
	s_and_saveexec_b64 s[40:41], vcc
	s_cbranch_execz .LBB235_206
; %bb.205:                              ;   in Loop: Header=BB235_13 Depth=1
	v_mov_b32_e32 v2, 7
	v_and_b32_sdwa v4, v0, v2 dst_sel:DWORD dst_unused:UNUSED_PAD src0_sel:BYTE_1 src1_sel:DWORD
	v_lshrrev_b32_e32 v6, 3, v1
	v_cmp_gt_u32_e32 vcc, 8, v1
	v_ffbh_u32_e32 v1, v4
	v_min_u32_e32 v1, 32, v1
	v_subrev_u32_e32 v2, 28, v1
	v_lshlrev_b64 v[2:3], v2, v[4:5]
	v_sub_u32_e32 v1, 29, v1
	v_and_b32_e32 v2, 7, v2
	v_cndmask_b32_e32 v1, v6, v1, vcc
	v_bfrev_b32_e32 v3, 60
	v_cndmask_b32_e32 v2, v4, v2, vcc
	v_lshlrev_b32_e32 v0, 16, v0
	v_lshl_add_u32 v1, v1, 23, v3
	v_and_or_b32 v0, v0, s27, v1
	v_lshlrev_b32_e32 v1, 20, v2
	v_or_b32_e32 v1, v0, v1
	v_mov_b32_e32 v0, v5
	v_accvgpr_write_b32 a9, v1
	v_accvgpr_write_b32 a8, v0
.LBB235_206:                            ;   in Loop: Header=BB235_13 Depth=1
	s_or_b64 exec, exec, s[40:41]
.LBB235_207:                            ;   in Loop: Header=BB235_13 Depth=1
	s_or_b64 exec, exec, s[38:39]
.LBB235_208:                            ;   in Loop: Header=BB235_13 Depth=1
	s_or_b64 exec, exec, s[36:37]
	flat_load_ushort v1, v[24:25] offset:2048
	v_pk_mov_b32 v[2:3], 0, 0
	v_accvgpr_write_b32 a35, v3
	v_accvgpr_write_b32 a45, v3
	;; [unrolled: 1-line block ×4, first 2 shown]
	s_waitcnt vmcnt(0) lgkmcnt(0)
	v_and_b32_e32 v0, 0xffff, v1
	v_cmp_ne_u16_sdwa vcc, v1, v5 src0_sel:BYTE_0 src1_sel:DWORD
	s_and_saveexec_b64 s[36:37], vcc
	s_cbranch_execz .LBB235_214
; %bb.209:                              ;   in Loop: Header=BB235_13 Depth=1
	v_bfrev_b32_e32 v2, 1
	v_mov_b32_e32 v3, 0
	v_accvgpr_write_b32 a45, v3
	v_cmp_ne_u16_sdwa vcc, v0, s43 src0_sel:BYTE_0 src1_sel:DWORD
	v_accvgpr_write_b32 a44, v2
	s_and_saveexec_b64 s[38:39], vcc
	s_cbranch_execz .LBB235_213
; %bb.210:                              ;   in Loop: Header=BB235_13 Depth=1
	v_mov_b32_e32 v2, 0x7f800001
	v_mov_b32_e32 v3, 0
	v_and_b32_e32 v1, 0x7f, v0
	v_accvgpr_write_b32 a45, v3
	v_cmp_ne_u32_e32 vcc, s44, v1
	v_accvgpr_write_b32 a44, v2
	s_and_saveexec_b64 s[40:41], vcc
	s_cbranch_execz .LBB235_212
; %bb.211:                              ;   in Loop: Header=BB235_13 Depth=1
	v_and_b32_e32 v4, 7, v0
	v_lshrrev_b32_e32 v6, 3, v1
	v_cmp_gt_u32_e32 vcc, 8, v1
	v_ffbh_u32_e32 v1, v4
	v_min_u32_e32 v1, 32, v1
	v_subrev_u32_e32 v2, 28, v1
	v_lshlrev_b64 v[2:3], v2, v[0:1]
	v_sub_u32_e32 v1, 29, v1
	v_and_b32_e32 v2, 7, v2
	v_cndmask_b32_e32 v1, v6, v1, vcc
	v_cndmask_b32_e32 v2, v4, v2, vcc
	v_bfrev_b32_e32 v4, 60
	v_lshlrev_b32_e32 v2, 20, v2
	v_and_b32_sdwa v3, sext(v0), s27 dst_sel:DWORD dst_unused:UNUSED_PAD src0_sel:BYTE_0 src1_sel:DWORD
	v_lshl_add_u32 v1, v1, 23, v4
	v_or3_b32 v4, v3, v1, v2
	v_accvgpr_write_b32 a45, v5
	v_accvgpr_write_b32 a44, v4
.LBB235_212:                            ;   in Loop: Header=BB235_13 Depth=1
	s_or_b64 exec, exec, s[40:41]
.LBB235_213:                            ;   in Loop: Header=BB235_13 Depth=1
	s_or_b64 exec, exec, s[38:39]
.LBB235_214:                            ;   in Loop: Header=BB235_13 Depth=1
	s_or_b64 exec, exec, s[36:37]
	v_cmp_ne_u16_sdwa vcc, v0, v5 src0_sel:BYTE_1 src1_sel:DWORD
	s_and_saveexec_b64 s[36:37], vcc
	s_cbranch_execz .LBB235_220
; %bb.215:                              ;   in Loop: Header=BB235_13 Depth=1
	v_accvgpr_write_b32 a35, s27
	v_cmp_ne_u16_sdwa vcc, v0, s43 src0_sel:BYTE_1 src1_sel:DWORD
	v_accvgpr_write_b32 a34, s26
	s_and_saveexec_b64 s[38:39], vcc
	s_cbranch_execz .LBB235_219
; %bb.216:                              ;   in Loop: Header=BB235_13 Depth=1
	s_mov_b32 s34, s26
	v_and_b32_sdwa v1, v0, s44 dst_sel:DWORD dst_unused:UNUSED_PAD src0_sel:BYTE_1 src1_sel:DWORD
	v_accvgpr_write_b32 a34, s34
	v_cmp_ne_u32_e32 vcc, s44, v1
	v_accvgpr_write_b32 a35, s35
	s_and_saveexec_b64 s[40:41], vcc
	s_cbranch_execz .LBB235_218
; %bb.217:                              ;   in Loop: Header=BB235_13 Depth=1
	v_mov_b32_e32 v2, 7
	v_and_b32_sdwa v4, v0, v2 dst_sel:DWORD dst_unused:UNUSED_PAD src0_sel:BYTE_1 src1_sel:DWORD
	v_lshrrev_b32_e32 v6, 3, v1
	v_cmp_gt_u32_e32 vcc, 8, v1
	v_ffbh_u32_e32 v1, v4
	v_min_u32_e32 v1, 32, v1
	v_subrev_u32_e32 v2, 28, v1
	v_lshlrev_b64 v[2:3], v2, v[4:5]
	v_sub_u32_e32 v1, 29, v1
	v_and_b32_e32 v2, 7, v2
	v_cndmask_b32_e32 v1, v6, v1, vcc
	v_bfrev_b32_e32 v3, 60
	v_cndmask_b32_e32 v2, v4, v2, vcc
	v_lshlrev_b32_e32 v0, 16, v0
	v_lshl_add_u32 v1, v1, 23, v3
	v_and_or_b32 v0, v0, s27, v1
	v_lshlrev_b32_e32 v1, 20, v2
	v_or_b32_e32 v1, v0, v1
	v_mov_b32_e32 v0, v5
	v_accvgpr_write_b32 a35, v1
	v_accvgpr_write_b32 a34, v0
.LBB235_218:                            ;   in Loop: Header=BB235_13 Depth=1
	s_or_b64 exec, exec, s[40:41]
.LBB235_219:                            ;   in Loop: Header=BB235_13 Depth=1
	s_or_b64 exec, exec, s[38:39]
.LBB235_220:                            ;   in Loop: Header=BB235_13 Depth=1
	s_or_b64 exec, exec, s[36:37]
	flat_load_ushort v1, v[24:25] offset:2052
	v_pk_mov_b32 v[2:3], 0, 0
	v_accvgpr_write_b32 a15, v3
	v_accvgpr_write_b32 a33, v3
	;; [unrolled: 1-line block ×4, first 2 shown]
	s_waitcnt vmcnt(0) lgkmcnt(0)
	v_and_b32_e32 v0, 0xffff, v1
	v_cmp_ne_u16_sdwa vcc, v1, v5 src0_sel:BYTE_0 src1_sel:DWORD
	s_and_saveexec_b64 s[36:37], vcc
	s_cbranch_execz .LBB235_226
; %bb.221:                              ;   in Loop: Header=BB235_13 Depth=1
	v_bfrev_b32_e32 v2, 1
	v_mov_b32_e32 v3, 0
	v_accvgpr_write_b32 a33, v3
	v_cmp_ne_u16_sdwa vcc, v0, s43 src0_sel:BYTE_0 src1_sel:DWORD
	v_accvgpr_write_b32 a32, v2
	s_and_saveexec_b64 s[38:39], vcc
	s_cbranch_execz .LBB235_225
; %bb.222:                              ;   in Loop: Header=BB235_13 Depth=1
	v_mov_b32_e32 v2, 0x7f800001
	v_mov_b32_e32 v3, 0
	v_and_b32_e32 v1, 0x7f, v0
	v_accvgpr_write_b32 a33, v3
	v_cmp_ne_u32_e32 vcc, s44, v1
	v_accvgpr_write_b32 a32, v2
	s_and_saveexec_b64 s[40:41], vcc
	s_cbranch_execz .LBB235_224
; %bb.223:                              ;   in Loop: Header=BB235_13 Depth=1
	v_and_b32_e32 v4, 7, v0
	v_lshrrev_b32_e32 v6, 3, v1
	v_cmp_gt_u32_e32 vcc, 8, v1
	v_ffbh_u32_e32 v1, v4
	v_min_u32_e32 v1, 32, v1
	v_subrev_u32_e32 v2, 28, v1
	v_lshlrev_b64 v[2:3], v2, v[0:1]
	v_sub_u32_e32 v1, 29, v1
	v_and_b32_e32 v2, 7, v2
	v_cndmask_b32_e32 v1, v6, v1, vcc
	v_cndmask_b32_e32 v2, v4, v2, vcc
	v_bfrev_b32_e32 v4, 60
	v_lshlrev_b32_e32 v2, 20, v2
	v_and_b32_sdwa v3, sext(v0), s27 dst_sel:DWORD dst_unused:UNUSED_PAD src0_sel:BYTE_0 src1_sel:DWORD
	v_lshl_add_u32 v1, v1, 23, v4
	v_or3_b32 v4, v3, v1, v2
	v_accvgpr_write_b32 a33, v5
	v_accvgpr_write_b32 a32, v4
.LBB235_224:                            ;   in Loop: Header=BB235_13 Depth=1
	s_or_b64 exec, exec, s[40:41]
.LBB235_225:                            ;   in Loop: Header=BB235_13 Depth=1
	s_or_b64 exec, exec, s[38:39]
.LBB235_226:                            ;   in Loop: Header=BB235_13 Depth=1
	s_or_b64 exec, exec, s[36:37]
	v_cmp_ne_u16_sdwa vcc, v0, v5 src0_sel:BYTE_1 src1_sel:DWORD
	s_and_saveexec_b64 s[36:37], vcc
	s_cbranch_execz .LBB235_232
; %bb.227:                              ;   in Loop: Header=BB235_13 Depth=1
	v_accvgpr_write_b32 a14, s26
	v_cmp_ne_u16_sdwa vcc, v0, s43 src0_sel:BYTE_1 src1_sel:DWORD
	v_accvgpr_write_b32 a15, s27
	s_and_saveexec_b64 s[38:39], vcc
	s_cbranch_execz .LBB235_231
; %bb.228:                              ;   in Loop: Header=BB235_13 Depth=1
	s_mov_b32 s34, s26
	v_and_b32_sdwa v1, v0, s44 dst_sel:DWORD dst_unused:UNUSED_PAD src0_sel:BYTE_1 src1_sel:DWORD
	v_accvgpr_write_b32 a14, s34
	v_cmp_ne_u32_e32 vcc, s44, v1
	v_accvgpr_write_b32 a15, s35
	s_and_saveexec_b64 s[40:41], vcc
	s_cbranch_execz .LBB235_230
; %bb.229:                              ;   in Loop: Header=BB235_13 Depth=1
	v_mov_b32_e32 v2, 7
	v_and_b32_sdwa v4, v0, v2 dst_sel:DWORD dst_unused:UNUSED_PAD src0_sel:BYTE_1 src1_sel:DWORD
	v_lshrrev_b32_e32 v6, 3, v1
	v_cmp_gt_u32_e32 vcc, 8, v1
	v_ffbh_u32_e32 v1, v4
	v_min_u32_e32 v1, 32, v1
	v_subrev_u32_e32 v2, 28, v1
	v_lshlrev_b64 v[2:3], v2, v[4:5]
	v_sub_u32_e32 v1, 29, v1
	v_and_b32_e32 v2, 7, v2
	v_cndmask_b32_e32 v1, v6, v1, vcc
	v_bfrev_b32_e32 v3, 60
	v_cndmask_b32_e32 v2, v4, v2, vcc
	v_lshlrev_b32_e32 v0, 16, v0
	v_lshl_add_u32 v1, v1, 23, v3
	v_and_or_b32 v0, v0, s27, v1
	v_lshlrev_b32_e32 v1, 20, v2
	v_or_b32_e32 v1, v0, v1
	v_mov_b32_e32 v0, v5
	v_accvgpr_write_b32 a15, v1
	v_accvgpr_write_b32 a14, v0
.LBB235_230:                            ;   in Loop: Header=BB235_13 Depth=1
	s_or_b64 exec, exec, s[40:41]
.LBB235_231:                            ;   in Loop: Header=BB235_13 Depth=1
	s_or_b64 exec, exec, s[38:39]
.LBB235_232:                            ;   in Loop: Header=BB235_13 Depth=1
	s_or_b64 exec, exec, s[36:37]
	v_add_co_u32_e32 v0, vcc, 0x800, v24
	v_addc_co_u32_e32 v1, vcc, 0, v25, vcc
	flat_load_ushort v3, v[0:1] offset:8
	v_pk_mov_b32 v[14:15], 0, 0
	v_accvgpr_write_b32 a39, v15
	v_accvgpr_write_b32 a38, v14
	s_waitcnt vmcnt(0) lgkmcnt(0)
	v_and_b32_e32 v2, 0xffff, v3
	v_cmp_ne_u16_sdwa vcc, v3, v5 src0_sel:BYTE_0 src1_sel:DWORD
	s_and_saveexec_b64 s[36:37], vcc
	s_cbranch_execz .LBB235_238
; %bb.233:                              ;   in Loop: Header=BB235_13 Depth=1
	v_bfrev_b32_e32 v6, 1
	v_mov_b32_e32 v7, 0
	v_accvgpr_write_b32 a39, v7
	v_cmp_ne_u16_sdwa vcc, v2, s43 src0_sel:BYTE_0 src1_sel:DWORD
	v_accvgpr_write_b32 a38, v6
	s_and_saveexec_b64 s[38:39], vcc
	s_cbranch_execz .LBB235_237
; %bb.234:                              ;   in Loop: Header=BB235_13 Depth=1
	v_mov_b32_e32 v6, 0x7f800001
	v_mov_b32_e32 v7, 0
	v_and_b32_e32 v3, 0x7f, v2
	v_accvgpr_write_b32 a39, v7
	v_cmp_ne_u32_e32 vcc, s44, v3
	v_accvgpr_write_b32 a38, v6
	s_and_saveexec_b64 s[40:41], vcc
	s_cbranch_execz .LBB235_236
; %bb.235:                              ;   in Loop: Header=BB235_13 Depth=1
	v_and_b32_e32 v4, 7, v2
	v_lshrrev_b32_e32 v8, 3, v3
	v_cmp_gt_u32_e32 vcc, 8, v3
	v_ffbh_u32_e32 v3, v4
	v_min_u32_e32 v3, 32, v3
	v_subrev_u32_e32 v6, 28, v3
	v_lshlrev_b64 v[6:7], v6, v[2:3]
	v_sub_u32_e32 v3, 29, v3
	v_and_b32_e32 v6, 7, v6
	v_cndmask_b32_e32 v3, v8, v3, vcc
	v_cndmask_b32_e32 v4, v4, v6, vcc
	v_bfrev_b32_e32 v7, 60
	v_lshlrev_b32_e32 v4, 20, v4
	v_and_b32_sdwa v6, sext(v2), s27 dst_sel:DWORD dst_unused:UNUSED_PAD src0_sel:BYTE_0 src1_sel:DWORD
	v_lshl_add_u32 v3, v3, 23, v7
	v_or3_b32 v4, v6, v3, v4
	v_accvgpr_write_b32 a39, v5
	v_accvgpr_write_b32 a38, v4
.LBB235_236:                            ;   in Loop: Header=BB235_13 Depth=1
	s_or_b64 exec, exec, s[40:41]
.LBB235_237:                            ;   in Loop: Header=BB235_13 Depth=1
	s_or_b64 exec, exec, s[38:39]
.LBB235_238:                            ;   in Loop: Header=BB235_13 Depth=1
	s_or_b64 exec, exec, s[36:37]
	v_cmp_ne_u16_sdwa vcc, v2, v5 src0_sel:BYTE_1 src1_sel:DWORD
	s_and_saveexec_b64 s[36:37], vcc
	s_cbranch_execz .LBB235_244
; %bb.239:                              ;   in Loop: Header=BB235_13 Depth=1
	v_cmp_ne_u16_sdwa vcc, v2, s43 src0_sel:BYTE_1 src1_sel:DWORD
	v_pk_mov_b32 v[14:15], s[26:27], s[26:27] op_sel:[0,1]
	s_and_saveexec_b64 s[38:39], vcc
	s_cbranch_execz .LBB235_243
; %bb.240:                              ;   in Loop: Header=BB235_13 Depth=1
	v_and_b32_sdwa v3, v2, s44 dst_sel:DWORD dst_unused:UNUSED_PAD src0_sel:BYTE_1 src1_sel:DWORD
	s_mov_b32 s34, s26
	v_cmp_ne_u32_e32 vcc, s44, v3
	v_pk_mov_b32 v[14:15], s[34:35], s[34:35] op_sel:[0,1]
	s_and_saveexec_b64 s[40:41], vcc
	s_cbranch_execz .LBB235_242
; %bb.241:                              ;   in Loop: Header=BB235_13 Depth=1
	v_mov_b32_e32 v4, 7
	v_and_b32_sdwa v4, v2, v4 dst_sel:DWORD dst_unused:UNUSED_PAD src0_sel:BYTE_1 src1_sel:DWORD
	v_lshrrev_b32_e32 v8, 3, v3
	v_cmp_gt_u32_e32 vcc, 8, v3
	v_ffbh_u32_e32 v3, v4
	v_min_u32_e32 v3, 32, v3
	v_subrev_u32_e32 v6, 28, v3
	v_lshlrev_b64 v[6:7], v6, v[4:5]
	v_sub_u32_e32 v3, 29, v3
	v_and_b32_e32 v6, 7, v6
	v_cndmask_b32_e32 v3, v8, v3, vcc
	v_cndmask_b32_e32 v4, v4, v6, vcc
	v_bfrev_b32_e32 v6, 60
	v_lshlrev_b32_e32 v2, 16, v2
	v_lshl_add_u32 v3, v3, 23, v6
	v_and_or_b32 v2, v2, s27, v3
	v_lshlrev_b32_e32 v3, 20, v4
	v_or_b32_e32 v15, v2, v3
	v_mov_b32_e32 v14, v5
.LBB235_242:                            ;   in Loop: Header=BB235_13 Depth=1
	s_or_b64 exec, exec, s[40:41]
.LBB235_243:                            ;   in Loop: Header=BB235_13 Depth=1
	s_or_b64 exec, exec, s[38:39]
.LBB235_244:                            ;   in Loop: Header=BB235_13 Depth=1
	s_or_b64 exec, exec, s[36:37]
	flat_load_ushort v3, v[0:1] offset:12
	v_pk_mov_b32 v[0:1], 0, 0
	v_accvgpr_write_b32 a43, v1
	v_accvgpr_write_b32 a42, v0
	s_waitcnt vmcnt(0) lgkmcnt(0)
	v_and_b32_e32 v2, 0xffff, v3
	v_cmp_ne_u16_sdwa vcc, v3, v5 src0_sel:BYTE_0 src1_sel:DWORD
	s_and_saveexec_b64 s[36:37], vcc
	s_cbranch_execz .LBB235_250
; %bb.245:                              ;   in Loop: Header=BB235_13 Depth=1
	v_bfrev_b32_e32 v6, 1
	v_mov_b32_e32 v7, 0
	v_accvgpr_write_b32 a43, v7
	v_cmp_ne_u16_sdwa vcc, v2, s43 src0_sel:BYTE_0 src1_sel:DWORD
	v_accvgpr_write_b32 a42, v6
	s_and_saveexec_b64 s[38:39], vcc
	s_cbranch_execz .LBB235_249
; %bb.246:                              ;   in Loop: Header=BB235_13 Depth=1
	v_mov_b32_e32 v6, 0x7f800001
	v_mov_b32_e32 v7, 0
	v_and_b32_e32 v3, 0x7f, v2
	v_accvgpr_write_b32 a43, v7
	v_cmp_ne_u32_e32 vcc, s44, v3
	v_accvgpr_write_b32 a42, v6
	s_and_saveexec_b64 s[40:41], vcc
	s_cbranch_execz .LBB235_248
; %bb.247:                              ;   in Loop: Header=BB235_13 Depth=1
	v_and_b32_e32 v4, 7, v2
	v_lshrrev_b32_e32 v8, 3, v3
	v_cmp_gt_u32_e32 vcc, 8, v3
	v_ffbh_u32_e32 v3, v4
	v_min_u32_e32 v3, 32, v3
	v_subrev_u32_e32 v6, 28, v3
	v_lshlrev_b64 v[6:7], v6, v[2:3]
	v_sub_u32_e32 v3, 29, v3
	v_and_b32_e32 v6, 7, v6
	v_cndmask_b32_e32 v3, v8, v3, vcc
	v_cndmask_b32_e32 v4, v4, v6, vcc
	v_bfrev_b32_e32 v7, 60
	v_lshlrev_b32_e32 v4, 20, v4
	v_and_b32_sdwa v6, sext(v2), s27 dst_sel:DWORD dst_unused:UNUSED_PAD src0_sel:BYTE_0 src1_sel:DWORD
	v_lshl_add_u32 v3, v3, 23, v7
	v_or3_b32 v4, v6, v3, v4
	v_accvgpr_write_b32 a43, v5
	v_accvgpr_write_b32 a42, v4
.LBB235_248:                            ;   in Loop: Header=BB235_13 Depth=1
	s_or_b64 exec, exec, s[40:41]
.LBB235_249:                            ;   in Loop: Header=BB235_13 Depth=1
	s_or_b64 exec, exec, s[38:39]
.LBB235_250:                            ;   in Loop: Header=BB235_13 Depth=1
	s_or_b64 exec, exec, s[36:37]
	v_cmp_ne_u16_sdwa vcc, v2, v5 src0_sel:BYTE_1 src1_sel:DWORD
	s_and_saveexec_b64 s[36:37], vcc
	s_cbranch_execz .LBB235_256
; %bb.251:                              ;   in Loop: Header=BB235_13 Depth=1
	v_cmp_ne_u16_sdwa vcc, v2, s43 src0_sel:BYTE_1 src1_sel:DWORD
	v_pk_mov_b32 v[0:1], s[26:27], s[26:27] op_sel:[0,1]
	s_and_saveexec_b64 s[38:39], vcc
	s_cbranch_execz .LBB235_255
; %bb.252:                              ;   in Loop: Header=BB235_13 Depth=1
	v_and_b32_sdwa v3, v2, s44 dst_sel:DWORD dst_unused:UNUSED_PAD src0_sel:BYTE_1 src1_sel:DWORD
	s_mov_b32 s34, s26
	v_cmp_ne_u32_e32 vcc, s44, v3
	v_pk_mov_b32 v[0:1], s[34:35], s[34:35] op_sel:[0,1]
	s_and_saveexec_b64 s[40:41], vcc
	s_cbranch_execz .LBB235_254
; %bb.253:                              ;   in Loop: Header=BB235_13 Depth=1
	v_mov_b32_e32 v0, 7
	v_and_b32_sdwa v4, v2, v0 dst_sel:DWORD dst_unused:UNUSED_PAD src0_sel:BYTE_1 src1_sel:DWORD
	v_ffbh_u32_e32 v0, v4
	v_lshrrev_b32_e32 v6, 3, v3
	v_cmp_gt_u32_e32 vcc, 8, v3
	v_min_u32_e32 v3, 32, v0
	v_subrev_u32_e32 v0, 28, v3
	v_lshlrev_b64 v[0:1], v0, v[4:5]
	v_sub_u32_e32 v1, 29, v3
	v_and_b32_e32 v0, 7, v0
	v_cndmask_b32_e32 v1, v6, v1, vcc
	v_bfrev_b32_e32 v3, 60
	v_cndmask_b32_e32 v0, v4, v0, vcc
	v_lshlrev_b32_e32 v2, 16, v2
	v_lshl_add_u32 v1, v1, 23, v3
	v_and_or_b32 v1, v2, s27, v1
	v_lshlrev_b32_e32 v0, 20, v0
	v_or_b32_e32 v1, v1, v0
	v_mov_b32_e32 v0, v5
.LBB235_254:                            ;   in Loop: Header=BB235_13 Depth=1
	s_or_b64 exec, exec, s[40:41]
.LBB235_255:                            ;   in Loop: Header=BB235_13 Depth=1
	s_or_b64 exec, exec, s[38:39]
.LBB235_256:                            ;   in Loop: Header=BB235_13 Depth=1
	s_or_b64 exec, exec, s[36:37]
	flat_load_ushort v4, v[24:25] offset:2560
	v_pk_mov_b32 v[2:3], 0, 0
	v_pk_mov_b32 v[22:23], v[2:3], v[2:3] op_sel:[0,1]
	s_waitcnt vmcnt(0) lgkmcnt(0)
	v_and_b32_e32 v6, 0xffff, v4
	v_cmp_ne_u16_sdwa vcc, v4, v5 src0_sel:BYTE_0 src1_sel:DWORD
	s_and_saveexec_b64 s[36:37], vcc
	s_cbranch_execz .LBB235_262
; %bb.257:                              ;   in Loop: Header=BB235_13 Depth=1
	v_bfrev_b32_e32 v22, 1
	v_cmp_ne_u16_sdwa vcc, v6, s43 src0_sel:BYTE_0 src1_sel:DWORD
	v_mov_b32_e32 v23, 0
	s_and_saveexec_b64 s[38:39], vcc
	s_cbranch_execz .LBB235_261
; %bb.258:                              ;   in Loop: Header=BB235_13 Depth=1
	v_and_b32_e32 v4, 0x7f, v6
	v_mov_b32_e32 v22, 0x7f800001
	v_cmp_ne_u32_e32 vcc, s44, v4
	v_mov_b32_e32 v23, 0
	s_and_saveexec_b64 s[40:41], vcc
	s_cbranch_execz .LBB235_260
; %bb.259:                              ;   in Loop: Header=BB235_13 Depth=1
	v_and_b32_e32 v7, 7, v6
	v_lshrrev_b32_e32 v8, 3, v4
	v_cmp_gt_u32_e32 vcc, 8, v4
	v_ffbh_u32_e32 v4, v7
	v_min_u32_e32 v4, 32, v4
	v_subrev_u32_e32 v9, 28, v4
	v_lshlrev_b64 v[10:11], v9, v[6:7]
	v_sub_u32_e32 v4, 29, v4
	v_and_b32_e32 v9, 7, v10
	v_cndmask_b32_e32 v4, v8, v4, vcc
	v_cndmask_b32_e32 v7, v7, v9, vcc
	v_bfrev_b32_e32 v9, 60
	v_lshlrev_b32_e32 v7, 20, v7
	v_and_b32_sdwa v8, sext(v6), s27 dst_sel:DWORD dst_unused:UNUSED_PAD src0_sel:BYTE_0 src1_sel:DWORD
	v_lshl_add_u32 v4, v4, 23, v9
	v_or3_b32 v4, v8, v4, v7
	v_pk_mov_b32 v[22:23], v[4:5], v[4:5] op_sel:[0,1]
.LBB235_260:                            ;   in Loop: Header=BB235_13 Depth=1
	s_or_b64 exec, exec, s[40:41]
.LBB235_261:                            ;   in Loop: Header=BB235_13 Depth=1
	s_or_b64 exec, exec, s[38:39]
.LBB235_262:                            ;   in Loop: Header=BB235_13 Depth=1
	s_or_b64 exec, exec, s[36:37]
	v_cmp_ne_u16_sdwa vcc, v6, v5 src0_sel:BYTE_1 src1_sel:DWORD
	s_and_saveexec_b64 s[36:37], vcc
	s_cbranch_execz .LBB235_268
; %bb.263:                              ;   in Loop: Header=BB235_13 Depth=1
	v_cmp_ne_u16_sdwa vcc, v6, s43 src0_sel:BYTE_1 src1_sel:DWORD
	v_pk_mov_b32 v[2:3], s[26:27], s[26:27] op_sel:[0,1]
	s_and_saveexec_b64 s[38:39], vcc
	s_cbranch_execz .LBB235_267
; %bb.264:                              ;   in Loop: Header=BB235_13 Depth=1
	v_and_b32_sdwa v7, v6, s44 dst_sel:DWORD dst_unused:UNUSED_PAD src0_sel:BYTE_1 src1_sel:DWORD
	s_mov_b32 s34, s26
	v_cmp_ne_u32_e32 vcc, s44, v7
	v_pk_mov_b32 v[2:3], s[34:35], s[34:35] op_sel:[0,1]
	s_and_saveexec_b64 s[40:41], vcc
	s_cbranch_execz .LBB235_266
; %bb.265:                              ;   in Loop: Header=BB235_13 Depth=1
	v_mov_b32_e32 v2, 7
	v_and_b32_sdwa v4, v6, v2 dst_sel:DWORD dst_unused:UNUSED_PAD src0_sel:BYTE_1 src1_sel:DWORD
	v_ffbh_u32_e32 v2, v4
	v_lshrrev_b32_e32 v8, 3, v7
	v_cmp_gt_u32_e32 vcc, 8, v7
	v_min_u32_e32 v7, 32, v2
	v_subrev_u32_e32 v2, 28, v7
	v_lshlrev_b64 v[2:3], v2, v[4:5]
	v_sub_u32_e32 v3, 29, v7
	v_and_b32_e32 v2, 7, v2
	v_cndmask_b32_e32 v3, v8, v3, vcc
	v_cndmask_b32_e32 v2, v4, v2, vcc
	v_lshlrev_b32_e32 v4, 16, v6
	v_bfrev_b32_e32 v6, 60
	v_lshl_add_u32 v3, v3, 23, v6
	v_and_or_b32 v3, v4, s27, v3
	v_lshlrev_b32_e32 v2, 20, v2
	v_or_b32_e32 v3, v3, v2
	v_mov_b32_e32 v2, v5
.LBB235_266:                            ;   in Loop: Header=BB235_13 Depth=1
	s_or_b64 exec, exec, s[40:41]
.LBB235_267:                            ;   in Loop: Header=BB235_13 Depth=1
	s_or_b64 exec, exec, s[38:39]
.LBB235_268:                            ;   in Loop: Header=BB235_13 Depth=1
	s_or_b64 exec, exec, s[36:37]
	flat_load_ushort v4, v[24:25] offset:2564
	v_pk_mov_b32 v[44:45], 0, 0
	v_pk_mov_b32 v[50:51], v[44:45], v[44:45] op_sel:[0,1]
	s_waitcnt vmcnt(0) lgkmcnt(0)
	v_and_b32_e32 v6, 0xffff, v4
	v_cmp_ne_u16_sdwa vcc, v4, v5 src0_sel:BYTE_0 src1_sel:DWORD
	s_and_saveexec_b64 s[36:37], vcc
	s_cbranch_execz .LBB235_274
; %bb.269:                              ;   in Loop: Header=BB235_13 Depth=1
	v_bfrev_b32_e32 v50, 1
	v_cmp_ne_u16_sdwa vcc, v6, s43 src0_sel:BYTE_0 src1_sel:DWORD
	v_mov_b32_e32 v51, 0
	s_and_saveexec_b64 s[38:39], vcc
	s_cbranch_execz .LBB235_273
; %bb.270:                              ;   in Loop: Header=BB235_13 Depth=1
	v_and_b32_e32 v4, 0x7f, v6
	v_mov_b32_e32 v50, 0x7f800001
	v_cmp_ne_u32_e32 vcc, s44, v4
	v_mov_b32_e32 v51, 0
	s_and_saveexec_b64 s[40:41], vcc
	s_cbranch_execz .LBB235_272
; %bb.271:                              ;   in Loop: Header=BB235_13 Depth=1
	v_and_b32_e32 v7, 7, v6
	v_lshrrev_b32_e32 v8, 3, v4
	v_cmp_gt_u32_e32 vcc, 8, v4
	v_ffbh_u32_e32 v4, v7
	v_min_u32_e32 v4, 32, v4
	v_subrev_u32_e32 v9, 28, v4
	v_lshlrev_b64 v[10:11], v9, v[6:7]
	v_sub_u32_e32 v4, 29, v4
	v_and_b32_e32 v9, 7, v10
	v_cndmask_b32_e32 v4, v8, v4, vcc
	v_cndmask_b32_e32 v7, v7, v9, vcc
	v_bfrev_b32_e32 v9, 60
	v_lshlrev_b32_e32 v7, 20, v7
	v_and_b32_sdwa v8, sext(v6), s27 dst_sel:DWORD dst_unused:UNUSED_PAD src0_sel:BYTE_0 src1_sel:DWORD
	v_lshl_add_u32 v4, v4, 23, v9
	v_or3_b32 v4, v8, v4, v7
	v_pk_mov_b32 v[50:51], v[4:5], v[4:5] op_sel:[0,1]
.LBB235_272:                            ;   in Loop: Header=BB235_13 Depth=1
	s_or_b64 exec, exec, s[40:41]
.LBB235_273:                            ;   in Loop: Header=BB235_13 Depth=1
	s_or_b64 exec, exec, s[38:39]
.LBB235_274:                            ;   in Loop: Header=BB235_13 Depth=1
	s_or_b64 exec, exec, s[36:37]
	v_cmp_ne_u16_sdwa vcc, v6, v5 src0_sel:BYTE_1 src1_sel:DWORD
	s_and_saveexec_b64 s[36:37], vcc
	s_cbranch_execz .LBB235_280
; %bb.275:                              ;   in Loop: Header=BB235_13 Depth=1
	v_cmp_ne_u16_sdwa vcc, v6, s43 src0_sel:BYTE_1 src1_sel:DWORD
	v_pk_mov_b32 v[44:45], s[26:27], s[26:27] op_sel:[0,1]
	s_and_saveexec_b64 s[38:39], vcc
	s_cbranch_execz .LBB235_279
; %bb.276:                              ;   in Loop: Header=BB235_13 Depth=1
	v_and_b32_sdwa v7, v6, s44 dst_sel:DWORD dst_unused:UNUSED_PAD src0_sel:BYTE_1 src1_sel:DWORD
	s_mov_b32 s34, s26
	v_cmp_ne_u32_e32 vcc, s44, v7
	v_pk_mov_b32 v[44:45], s[34:35], s[34:35] op_sel:[0,1]
	s_and_saveexec_b64 s[40:41], vcc
	s_cbranch_execz .LBB235_278
; %bb.277:                              ;   in Loop: Header=BB235_13 Depth=1
	v_mov_b32_e32 v4, 7
	v_and_b32_sdwa v4, v6, v4 dst_sel:DWORD dst_unused:UNUSED_PAD src0_sel:BYTE_1 src1_sel:DWORD
	v_lshrrev_b32_e32 v8, 3, v7
	v_cmp_gt_u32_e32 vcc, 8, v7
	v_ffbh_u32_e32 v7, v4
	v_min_u32_e32 v7, 32, v7
	v_subrev_u32_e32 v9, 28, v7
	v_lshlrev_b64 v[10:11], v9, v[4:5]
	v_sub_u32_e32 v7, 29, v7
	v_and_b32_e32 v9, 7, v10
	v_cndmask_b32_e32 v7, v8, v7, vcc
	v_bfrev_b32_e32 v8, 60
	v_cndmask_b32_e32 v4, v4, v9, vcc
	v_lshlrev_b32_e32 v6, 16, v6
	v_lshl_add_u32 v7, v7, 23, v8
	v_and_or_b32 v6, v6, s27, v7
	v_lshlrev_b32_e32 v4, 20, v4
	v_or_b32_e32 v45, v6, v4
	v_mov_b32_e32 v44, v5
.LBB235_278:                            ;   in Loop: Header=BB235_13 Depth=1
	s_or_b64 exec, exec, s[40:41]
.LBB235_279:                            ;   in Loop: Header=BB235_13 Depth=1
	s_or_b64 exec, exec, s[38:39]
.LBB235_280:                            ;   in Loop: Header=BB235_13 Depth=1
	s_or_b64 exec, exec, s[36:37]
	v_add_co_u32_e32 v6, vcc, 0xa00, v24
	v_addc_co_u32_e32 v7, vcc, 0, v25, vcc
	flat_load_ushort v4, v[6:7] offset:8
	v_pk_mov_b32 v[56:57], 0, 0
	v_pk_mov_b32 v[32:33], v[56:57], v[56:57] op_sel:[0,1]
	s_waitcnt vmcnt(0) lgkmcnt(0)
	v_and_b32_e32 v10, 0xffff, v4
	v_cmp_ne_u16_sdwa vcc, v4, v5 src0_sel:BYTE_0 src1_sel:DWORD
	s_and_saveexec_b64 s[36:37], vcc
	s_cbranch_execz .LBB235_286
; %bb.281:                              ;   in Loop: Header=BB235_13 Depth=1
	v_bfrev_b32_e32 v32, 1
	v_cmp_ne_u16_sdwa vcc, v10, s43 src0_sel:BYTE_0 src1_sel:DWORD
	v_mov_b32_e32 v33, 0
	s_and_saveexec_b64 s[38:39], vcc
	s_cbranch_execz .LBB235_285
; %bb.282:                              ;   in Loop: Header=BB235_13 Depth=1
	v_and_b32_e32 v4, 0x7f, v10
	v_mov_b32_e32 v32, 0x7f800001
	v_cmp_ne_u32_e32 vcc, s44, v4
	v_mov_b32_e32 v33, 0
	s_and_saveexec_b64 s[40:41], vcc
	s_cbranch_execz .LBB235_284
; %bb.283:                              ;   in Loop: Header=BB235_13 Depth=1
	v_and_b32_e32 v8, 7, v10
	v_lshrrev_b32_e32 v9, 3, v4
	v_cmp_gt_u32_e32 vcc, 8, v4
	v_ffbh_u32_e32 v4, v8
	v_min_u32_e32 v4, 32, v4
	v_subrev_u32_e32 v11, 28, v4
	v_lshlrev_b64 v[20:21], v11, v[10:11]
	v_sub_u32_e32 v4, 29, v4
	v_and_b32_e32 v11, 7, v20
	v_cndmask_b32_e32 v4, v9, v4, vcc
	v_cndmask_b32_e32 v8, v8, v11, vcc
	v_bfrev_b32_e32 v11, 60
	v_lshlrev_b32_e32 v8, 20, v8
	v_and_b32_sdwa v9, sext(v10), s27 dst_sel:DWORD dst_unused:UNUSED_PAD src0_sel:BYTE_0 src1_sel:DWORD
	v_lshl_add_u32 v4, v4, 23, v11
	v_or3_b32 v4, v9, v4, v8
	v_pk_mov_b32 v[32:33], v[4:5], v[4:5] op_sel:[0,1]
.LBB235_284:                            ;   in Loop: Header=BB235_13 Depth=1
	s_or_b64 exec, exec, s[40:41]
.LBB235_285:                            ;   in Loop: Header=BB235_13 Depth=1
	s_or_b64 exec, exec, s[38:39]
.LBB235_286:                            ;   in Loop: Header=BB235_13 Depth=1
	s_or_b64 exec, exec, s[36:37]
	v_cmp_ne_u16_sdwa vcc, v10, v5 src0_sel:BYTE_1 src1_sel:DWORD
	s_and_saveexec_b64 s[36:37], vcc
	s_cbranch_execz .LBB235_292
; %bb.287:                              ;   in Loop: Header=BB235_13 Depth=1
	v_cmp_ne_u16_sdwa vcc, v10, s43 src0_sel:BYTE_1 src1_sel:DWORD
	v_pk_mov_b32 v[56:57], s[26:27], s[26:27] op_sel:[0,1]
	s_and_saveexec_b64 s[38:39], vcc
	s_cbranch_execz .LBB235_291
; %bb.288:                              ;   in Loop: Header=BB235_13 Depth=1
	v_and_b32_sdwa v11, v10, s44 dst_sel:DWORD dst_unused:UNUSED_PAD src0_sel:BYTE_1 src1_sel:DWORD
	s_mov_b32 s34, s26
	v_cmp_ne_u32_e32 vcc, s44, v11
	v_pk_mov_b32 v[56:57], s[34:35], s[34:35] op_sel:[0,1]
	s_and_saveexec_b64 s[40:41], vcc
	s_cbranch_execz .LBB235_290
; %bb.289:                              ;   in Loop: Header=BB235_13 Depth=1
	v_mov_b32_e32 v4, 7
	v_and_b32_sdwa v4, v10, v4 dst_sel:DWORD dst_unused:UNUSED_PAD src0_sel:BYTE_1 src1_sel:DWORD
	v_ffbh_u32_e32 v9, v4
	v_min_u32_e32 v9, 32, v9
	v_lshrrev_b32_e32 v8, 3, v11
	v_cmp_gt_u32_e32 vcc, 8, v11
	v_subrev_u32_e32 v11, 28, v9
	v_lshlrev_b64 v[20:21], v11, v[4:5]
	v_sub_u32_e32 v9, 29, v9
	v_and_b32_e32 v11, 7, v20
	v_cndmask_b32_e32 v8, v8, v9, vcc
	v_lshlrev_b32_e32 v9, 16, v10
	v_bfrev_b32_e32 v10, 60
	v_cndmask_b32_e32 v4, v4, v11, vcc
	v_lshl_add_u32 v8, v8, 23, v10
	v_and_or_b32 v8, v9, s27, v8
	v_lshlrev_b32_e32 v4, 20, v4
	v_or_b32_e32 v57, v8, v4
	v_mov_b32_e32 v56, v5
.LBB235_290:                            ;   in Loop: Header=BB235_13 Depth=1
	s_or_b64 exec, exec, s[40:41]
.LBB235_291:                            ;   in Loop: Header=BB235_13 Depth=1
	s_or_b64 exec, exec, s[38:39]
.LBB235_292:                            ;   in Loop: Header=BB235_13 Depth=1
	s_or_b64 exec, exec, s[36:37]
	flat_load_ushort v4, v[6:7] offset:12
	v_pk_mov_b32 v[6:7], 0, 0
	v_pk_mov_b32 v[10:11], v[6:7], v[6:7] op_sel:[0,1]
	s_waitcnt vmcnt(0) lgkmcnt(0)
	v_and_b32_e32 v20, 0xffff, v4
	v_cmp_ne_u16_sdwa vcc, v4, v5 src0_sel:BYTE_0 src1_sel:DWORD
	s_and_saveexec_b64 s[36:37], vcc
	s_cbranch_execz .LBB235_298
; %bb.293:                              ;   in Loop: Header=BB235_13 Depth=1
	v_bfrev_b32_e32 v10, 1
	v_cmp_ne_u16_sdwa vcc, v20, s43 src0_sel:BYTE_0 src1_sel:DWORD
	v_mov_b32_e32 v11, 0
	s_and_saveexec_b64 s[38:39], vcc
	s_cbranch_execz .LBB235_297
; %bb.294:                              ;   in Loop: Header=BB235_13 Depth=1
	v_and_b32_e32 v4, 0x7f, v20
	v_mov_b32_e32 v10, 0x7f800001
	v_cmp_ne_u32_e32 vcc, s44, v4
	v_mov_b32_e32 v11, 0
	s_and_saveexec_b64 s[40:41], vcc
	s_cbranch_execz .LBB235_296
; %bb.295:                              ;   in Loop: Header=BB235_13 Depth=1
	v_and_b32_e32 v8, 7, v20
	v_lshrrev_b32_e32 v9, 3, v4
	v_cmp_gt_u32_e32 vcc, 8, v4
	v_ffbh_u32_e32 v4, v8
	v_min_u32_e32 v4, 32, v4
	v_subrev_u32_e32 v10, 28, v4
	v_lshlrev_b64 v[10:11], v10, v[20:21]
	v_sub_u32_e32 v4, 29, v4
	v_and_b32_e32 v10, 7, v10
	v_cndmask_b32_e32 v4, v9, v4, vcc
	v_cndmask_b32_e32 v8, v8, v10, vcc
	v_bfrev_b32_e32 v10, 60
	v_lshlrev_b32_e32 v8, 20, v8
	v_and_b32_sdwa v9, sext(v20), s27 dst_sel:DWORD dst_unused:UNUSED_PAD src0_sel:BYTE_0 src1_sel:DWORD
	v_lshl_add_u32 v4, v4, 23, v10
	v_or3_b32 v4, v9, v4, v8
	v_pk_mov_b32 v[10:11], v[4:5], v[4:5] op_sel:[0,1]
.LBB235_296:                            ;   in Loop: Header=BB235_13 Depth=1
	s_or_b64 exec, exec, s[40:41]
.LBB235_297:                            ;   in Loop: Header=BB235_13 Depth=1
	s_or_b64 exec, exec, s[38:39]
.LBB235_298:                            ;   in Loop: Header=BB235_13 Depth=1
	s_or_b64 exec, exec, s[36:37]
	v_cmp_ne_u16_sdwa vcc, v20, v5 src0_sel:BYTE_1 src1_sel:DWORD
	s_and_saveexec_b64 s[36:37], vcc
	s_cbranch_execz .LBB235_304
; %bb.299:                              ;   in Loop: Header=BB235_13 Depth=1
	v_cmp_ne_u16_sdwa vcc, v20, s43 src0_sel:BYTE_1 src1_sel:DWORD
	v_pk_mov_b32 v[6:7], s[26:27], s[26:27] op_sel:[0,1]
	s_and_saveexec_b64 s[38:39], vcc
	s_cbranch_execz .LBB235_303
; %bb.300:                              ;   in Loop: Header=BB235_13 Depth=1
	v_and_b32_sdwa v21, v20, s44 dst_sel:DWORD dst_unused:UNUSED_PAD src0_sel:BYTE_1 src1_sel:DWORD
	s_mov_b32 s34, s26
	v_cmp_ne_u32_e32 vcc, s44, v21
	v_pk_mov_b32 v[6:7], s[34:35], s[34:35] op_sel:[0,1]
	s_and_saveexec_b64 s[40:41], vcc
	s_cbranch_execz .LBB235_302
; %bb.301:                              ;   in Loop: Header=BB235_13 Depth=1
	v_mov_b32_e32 v4, 7
	v_and_b32_sdwa v4, v20, v4 dst_sel:DWORD dst_unused:UNUSED_PAD src0_sel:BYTE_1 src1_sel:DWORD
	v_ffbh_u32_e32 v6, v4
	v_min_u32_e32 v9, 32, v6
	v_subrev_u32_e32 v6, 28, v9
	v_lshlrev_b64 v[6:7], v6, v[4:5]
	v_lshrrev_b32_e32 v8, 3, v21
	v_cmp_gt_u32_e32 vcc, 8, v21
	v_sub_u32_e32 v7, 29, v9
	v_and_b32_e32 v6, 7, v6
	v_cndmask_b32_e32 v7, v8, v7, vcc
	v_bfrev_b32_e32 v8, 60
	v_cndmask_b32_e32 v4, v4, v6, vcc
	v_lshlrev_b32_e32 v6, 16, v20
	v_lshl_add_u32 v7, v7, 23, v8
	v_and_or_b32 v6, v6, s27, v7
	v_lshlrev_b32_e32 v4, 20, v4
	v_or_b32_e32 v7, v6, v4
	v_mov_b32_e32 v6, v5
.LBB235_302:                            ;   in Loop: Header=BB235_13 Depth=1
	s_or_b64 exec, exec, s[40:41]
.LBB235_303:                            ;   in Loop: Header=BB235_13 Depth=1
	s_or_b64 exec, exec, s[38:39]
.LBB235_304:                            ;   in Loop: Header=BB235_13 Depth=1
	s_or_b64 exec, exec, s[36:37]
	flat_load_ushort v4, v[24:25] offset:3072
	v_pk_mov_b32 v[36:37], 0, 0
	v_pk_mov_b32 v[28:29], v[36:37], v[36:37] op_sel:[0,1]
	s_waitcnt vmcnt(0) lgkmcnt(0)
	v_and_b32_e32 v20, 0xffff, v4
	v_cmp_ne_u16_sdwa vcc, v4, v5 src0_sel:BYTE_0 src1_sel:DWORD
	s_and_saveexec_b64 s[36:37], vcc
	s_cbranch_execz .LBB235_310
; %bb.305:                              ;   in Loop: Header=BB235_13 Depth=1
	v_bfrev_b32_e32 v28, 1
	v_cmp_ne_u16_sdwa vcc, v20, s43 src0_sel:BYTE_0 src1_sel:DWORD
	v_mov_b32_e32 v29, 0
	s_and_saveexec_b64 s[38:39], vcc
	s_cbranch_execz .LBB235_309
; %bb.306:                              ;   in Loop: Header=BB235_13 Depth=1
	v_and_b32_e32 v4, 0x7f, v20
	v_mov_b32_e32 v28, 0x7f800001
	v_cmp_ne_u32_e32 vcc, s44, v4
	v_mov_b32_e32 v29, 0
	s_and_saveexec_b64 s[40:41], vcc
	s_cbranch_execz .LBB235_308
; %bb.307:                              ;   in Loop: Header=BB235_13 Depth=1
	v_and_b32_e32 v8, 7, v20
	v_lshrrev_b32_e32 v9, 3, v4
	v_cmp_gt_u32_e32 vcc, 8, v4
	v_ffbh_u32_e32 v4, v8
	v_min_u32_e32 v4, 32, v4
	v_subrev_u32_e32 v21, 28, v4
	v_lshlrev_b64 v[28:29], v21, v[20:21]
	v_sub_u32_e32 v4, 29, v4
	v_and_b32_e32 v21, 7, v28
	v_cndmask_b32_e32 v4, v9, v4, vcc
	v_cndmask_b32_e32 v8, v8, v21, vcc
	v_bfrev_b32_e32 v21, 60
	v_lshlrev_b32_e32 v8, 20, v8
	v_and_b32_sdwa v9, sext(v20), s27 dst_sel:DWORD dst_unused:UNUSED_PAD src0_sel:BYTE_0 src1_sel:DWORD
	v_lshl_add_u32 v4, v4, 23, v21
	v_or3_b32 v4, v9, v4, v8
	v_pk_mov_b32 v[28:29], v[4:5], v[4:5] op_sel:[0,1]
.LBB235_308:                            ;   in Loop: Header=BB235_13 Depth=1
	s_or_b64 exec, exec, s[40:41]
.LBB235_309:                            ;   in Loop: Header=BB235_13 Depth=1
	s_or_b64 exec, exec, s[38:39]
.LBB235_310:                            ;   in Loop: Header=BB235_13 Depth=1
	s_or_b64 exec, exec, s[36:37]
	v_cmp_ne_u16_sdwa vcc, v20, v5 src0_sel:BYTE_1 src1_sel:DWORD
	s_and_saveexec_b64 s[36:37], vcc
	s_cbranch_execz .LBB235_316
; %bb.311:                              ;   in Loop: Header=BB235_13 Depth=1
	v_cmp_ne_u16_sdwa vcc, v20, s43 src0_sel:BYTE_1 src1_sel:DWORD
	v_pk_mov_b32 v[36:37], s[26:27], s[26:27] op_sel:[0,1]
	s_and_saveexec_b64 s[38:39], vcc
	s_cbranch_execz .LBB235_315
; %bb.312:                              ;   in Loop: Header=BB235_13 Depth=1
	v_and_b32_sdwa v21, v20, s44 dst_sel:DWORD dst_unused:UNUSED_PAD src0_sel:BYTE_1 src1_sel:DWORD
	s_mov_b32 s34, s26
	v_cmp_ne_u32_e32 vcc, s44, v21
	v_pk_mov_b32 v[36:37], s[34:35], s[34:35] op_sel:[0,1]
	s_and_saveexec_b64 s[40:41], vcc
	s_cbranch_execz .LBB235_314
; %bb.313:                              ;   in Loop: Header=BB235_13 Depth=1
	v_mov_b32_e32 v4, 7
	v_and_b32_sdwa v4, v20, v4 dst_sel:DWORD dst_unused:UNUSED_PAD src0_sel:BYTE_1 src1_sel:DWORD
	v_ffbh_u32_e32 v9, v4
	v_min_u32_e32 v9, 32, v9
	v_lshrrev_b32_e32 v8, 3, v21
	v_cmp_gt_u32_e32 vcc, 8, v21
	v_subrev_u32_e32 v21, 28, v9
	v_lshlrev_b64 v[34:35], v21, v[4:5]
	v_sub_u32_e32 v9, 29, v9
	v_and_b32_e32 v21, 7, v34
	v_cndmask_b32_e32 v8, v8, v9, vcc
	v_lshlrev_b32_e32 v9, 16, v20
	v_bfrev_b32_e32 v20, 60
	v_cndmask_b32_e32 v4, v4, v21, vcc
	v_lshl_add_u32 v8, v8, 23, v20
	v_and_or_b32 v8, v9, s27, v8
	v_lshlrev_b32_e32 v4, 20, v4
	v_or_b32_e32 v37, v8, v4
	v_mov_b32_e32 v36, v5
.LBB235_314:                            ;   in Loop: Header=BB235_13 Depth=1
	s_or_b64 exec, exec, s[40:41]
.LBB235_315:                            ;   in Loop: Header=BB235_13 Depth=1
	s_or_b64 exec, exec, s[38:39]
.LBB235_316:                            ;   in Loop: Header=BB235_13 Depth=1
	s_or_b64 exec, exec, s[36:37]
	flat_load_ushort v4, v[24:25] offset:3076
	v_pk_mov_b32 v[48:49], 0, 0
	v_pk_mov_b32 v[20:21], v[48:49], v[48:49] op_sel:[0,1]
	s_waitcnt vmcnt(0) lgkmcnt(0)
	v_and_b32_e32 v34, 0xffff, v4
	v_cmp_ne_u16_sdwa vcc, v4, v5 src0_sel:BYTE_0 src1_sel:DWORD
	s_and_saveexec_b64 s[36:37], vcc
	s_cbranch_execz .LBB235_322
; %bb.317:                              ;   in Loop: Header=BB235_13 Depth=1
	v_bfrev_b32_e32 v20, 1
	v_cmp_ne_u16_sdwa vcc, v34, s43 src0_sel:BYTE_0 src1_sel:DWORD
	v_mov_b32_e32 v21, 0
	s_and_saveexec_b64 s[38:39], vcc
	s_cbranch_execz .LBB235_321
; %bb.318:                              ;   in Loop: Header=BB235_13 Depth=1
	v_and_b32_e32 v4, 0x7f, v34
	v_mov_b32_e32 v20, 0x7f800001
	v_cmp_ne_u32_e32 vcc, s44, v4
	v_mov_b32_e32 v21, 0
	s_and_saveexec_b64 s[40:41], vcc
	s_cbranch_execz .LBB235_320
; %bb.319:                              ;   in Loop: Header=BB235_13 Depth=1
	v_and_b32_e32 v8, 7, v34
	v_lshrrev_b32_e32 v9, 3, v4
	v_cmp_gt_u32_e32 vcc, 8, v4
	v_ffbh_u32_e32 v4, v8
	v_min_u32_e32 v4, 32, v4
	v_subrev_u32_e32 v20, 28, v4
	v_lshlrev_b64 v[20:21], v20, v[34:35]
	v_sub_u32_e32 v4, 29, v4
	v_and_b32_e32 v20, 7, v20
	v_cndmask_b32_e32 v4, v9, v4, vcc
	v_cndmask_b32_e32 v8, v8, v20, vcc
	v_bfrev_b32_e32 v20, 60
	v_lshlrev_b32_e32 v8, 20, v8
	v_and_b32_sdwa v9, sext(v34), s27 dst_sel:DWORD dst_unused:UNUSED_PAD src0_sel:BYTE_0 src1_sel:DWORD
	v_lshl_add_u32 v4, v4, 23, v20
	v_or3_b32 v4, v9, v4, v8
	v_pk_mov_b32 v[20:21], v[4:5], v[4:5] op_sel:[0,1]
.LBB235_320:                            ;   in Loop: Header=BB235_13 Depth=1
	s_or_b64 exec, exec, s[40:41]
.LBB235_321:                            ;   in Loop: Header=BB235_13 Depth=1
	s_or_b64 exec, exec, s[38:39]
.LBB235_322:                            ;   in Loop: Header=BB235_13 Depth=1
	s_or_b64 exec, exec, s[36:37]
	v_cmp_ne_u16_sdwa vcc, v34, v5 src0_sel:BYTE_1 src1_sel:DWORD
	s_and_saveexec_b64 s[36:37], vcc
	s_cbranch_execz .LBB235_328
; %bb.323:                              ;   in Loop: Header=BB235_13 Depth=1
	v_cmp_ne_u16_sdwa vcc, v34, s43 src0_sel:BYTE_1 src1_sel:DWORD
	v_pk_mov_b32 v[48:49], s[26:27], s[26:27] op_sel:[0,1]
	s_and_saveexec_b64 s[38:39], vcc
	s_cbranch_execz .LBB235_327
; %bb.324:                              ;   in Loop: Header=BB235_13 Depth=1
	v_and_b32_sdwa v35, v34, s44 dst_sel:DWORD dst_unused:UNUSED_PAD src0_sel:BYTE_1 src1_sel:DWORD
	s_mov_b32 s34, s26
	v_cmp_ne_u32_e32 vcc, s44, v35
	v_pk_mov_b32 v[48:49], s[34:35], s[34:35] op_sel:[0,1]
	s_and_saveexec_b64 s[40:41], vcc
	s_cbranch_execz .LBB235_326
; %bb.325:                              ;   in Loop: Header=BB235_13 Depth=1
	v_mov_b32_e32 v4, 7
	v_and_b32_sdwa v4, v34, v4 dst_sel:DWORD dst_unused:UNUSED_PAD src0_sel:BYTE_1 src1_sel:DWORD
	v_ffbh_u32_e32 v9, v4
	v_min_u32_e32 v9, 32, v9
	v_subrev_u32_e32 v30, 28, v9
	v_lshlrev_b64 v[38:39], v30, v[4:5]
	v_lshrrev_b32_e32 v8, 3, v35
	v_cmp_gt_u32_e32 vcc, 8, v35
	v_sub_u32_e32 v9, 29, v9
	v_and_b32_e32 v30, 7, v38
	v_cndmask_b32_e32 v8, v8, v9, vcc
	v_cndmask_b32_e32 v4, v4, v30, vcc
	v_bfrev_b32_e32 v30, 60
	v_lshlrev_b32_e32 v9, 16, v34
	v_lshl_add_u32 v8, v8, 23, v30
	v_and_or_b32 v8, v9, s27, v8
	v_lshlrev_b32_e32 v4, 20, v4
	v_or_b32_e32 v49, v8, v4
	v_mov_b32_e32 v48, v5
.LBB235_326:                            ;   in Loop: Header=BB235_13 Depth=1
	s_or_b64 exec, exec, s[40:41]
.LBB235_327:                            ;   in Loop: Header=BB235_13 Depth=1
	s_or_b64 exec, exec, s[38:39]
.LBB235_328:                            ;   in Loop: Header=BB235_13 Depth=1
	s_or_b64 exec, exec, s[36:37]
	v_add_co_u32_e32 v38, vcc, 0xc00, v24
	v_addc_co_u32_e32 v39, vcc, 0, v25, vcc
	flat_load_ushort v4, v[38:39] offset:8
	v_pk_mov_b32 v[34:35], 0, 0
	v_pk_mov_b32 v[54:55], v[34:35], v[34:35] op_sel:[0,1]
	s_waitcnt vmcnt(0) lgkmcnt(0)
	v_and_b32_e32 v52, 0xffff, v4
	v_cmp_ne_u16_sdwa vcc, v4, v5 src0_sel:BYTE_0 src1_sel:DWORD
	s_and_saveexec_b64 s[36:37], vcc
	s_cbranch_execz .LBB235_334
; %bb.329:                              ;   in Loop: Header=BB235_13 Depth=1
	v_bfrev_b32_e32 v54, 1
	v_cmp_ne_u16_sdwa vcc, v52, s43 src0_sel:BYTE_0 src1_sel:DWORD
	v_mov_b32_e32 v55, 0
	s_and_saveexec_b64 s[38:39], vcc
	s_cbranch_execz .LBB235_333
; %bb.330:                              ;   in Loop: Header=BB235_13 Depth=1
	v_and_b32_e32 v4, 0x7f, v52
	v_mov_b32_e32 v54, 0x7f800001
	v_cmp_ne_u32_e32 vcc, s44, v4
	v_mov_b32_e32 v55, 0
	s_and_saveexec_b64 s[40:41], vcc
	s_cbranch_execz .LBB235_332
; %bb.331:                              ;   in Loop: Header=BB235_13 Depth=1
	v_and_b32_e32 v8, 7, v52
	v_lshrrev_b32_e32 v9, 3, v4
	v_cmp_gt_u32_e32 vcc, 8, v4
	v_ffbh_u32_e32 v4, v8
	v_min_u32_e32 v4, 32, v4
	v_subrev_u32_e32 v30, 28, v4
	v_lshlrev_b64 v[54:55], v30, v[52:53]
	v_sub_u32_e32 v4, 29, v4
	v_and_b32_e32 v30, 7, v54
	v_cndmask_b32_e32 v4, v9, v4, vcc
	v_cndmask_b32_e32 v8, v8, v30, vcc
	v_bfrev_b32_e32 v30, 60
	v_lshlrev_b32_e32 v8, 20, v8
	v_and_b32_sdwa v9, sext(v52), s27 dst_sel:DWORD dst_unused:UNUSED_PAD src0_sel:BYTE_0 src1_sel:DWORD
	v_lshl_add_u32 v4, v4, 23, v30
	v_or3_b32 v4, v9, v4, v8
	v_pk_mov_b32 v[54:55], v[4:5], v[4:5] op_sel:[0,1]
.LBB235_332:                            ;   in Loop: Header=BB235_13 Depth=1
	s_or_b64 exec, exec, s[40:41]
.LBB235_333:                            ;   in Loop: Header=BB235_13 Depth=1
	s_or_b64 exec, exec, s[38:39]
.LBB235_334:                            ;   in Loop: Header=BB235_13 Depth=1
	s_or_b64 exec, exec, s[36:37]
	v_cmp_ne_u16_sdwa vcc, v52, v5 src0_sel:BYTE_1 src1_sel:DWORD
	s_and_saveexec_b64 s[36:37], vcc
	s_cbranch_execz .LBB235_340
; %bb.335:                              ;   in Loop: Header=BB235_13 Depth=1
	v_cmp_ne_u16_sdwa vcc, v52, s43 src0_sel:BYTE_1 src1_sel:DWORD
	v_pk_mov_b32 v[34:35], s[26:27], s[26:27] op_sel:[0,1]
	s_and_saveexec_b64 s[38:39], vcc
	s_cbranch_execz .LBB235_339
; %bb.336:                              ;   in Loop: Header=BB235_13 Depth=1
	v_and_b32_sdwa v41, v52, s44 dst_sel:DWORD dst_unused:UNUSED_PAD src0_sel:BYTE_1 src1_sel:DWORD
	s_mov_b32 s34, s26
	v_cmp_ne_u32_e32 vcc, s44, v41
	v_pk_mov_b32 v[34:35], s[34:35], s[34:35] op_sel:[0,1]
	s_and_saveexec_b64 s[40:41], vcc
	s_cbranch_execz .LBB235_338
; %bb.337:                              ;   in Loop: Header=BB235_13 Depth=1
	v_mov_b32_e32 v4, 7
	v_and_b32_sdwa v4, v52, v4 dst_sel:DWORD dst_unused:UNUSED_PAD src0_sel:BYTE_1 src1_sel:DWORD
	v_ffbh_u32_e32 v9, v4
	v_min_u32_e32 v9, 32, v9
	v_subrev_u32_e32 v30, 28, v9
	v_lshlrev_b64 v[34:35], v30, v[4:5]
	v_lshrrev_b32_e32 v8, 3, v41
	v_cmp_gt_u32_e32 vcc, 8, v41
	v_sub_u32_e32 v9, 29, v9
	v_and_b32_e32 v30, 7, v34
	v_cndmask_b32_e32 v8, v8, v9, vcc
	v_cndmask_b32_e32 v4, v4, v30, vcc
	v_bfrev_b32_e32 v30, 60
	v_lshlrev_b32_e32 v9, 16, v52
	v_lshl_add_u32 v8, v8, 23, v30
	v_and_or_b32 v8, v9, s27, v8
	v_lshlrev_b32_e32 v4, 20, v4
	v_or_b32_e32 v35, v8, v4
	v_mov_b32_e32 v34, v5
.LBB235_338:                            ;   in Loop: Header=BB235_13 Depth=1
	s_or_b64 exec, exec, s[40:41]
	buffer_load_dword v41, off, s[0:3], s32 offset:504 ; 4-byte Folded Reload
.LBB235_339:                            ;   in Loop: Header=BB235_13 Depth=1
	s_or_b64 exec, exec, s[38:39]
.LBB235_340:                            ;   in Loop: Header=BB235_13 Depth=1
	s_or_b64 exec, exec, s[36:37]
	flat_load_ushort v4, v[38:39] offset:12
	v_pk_mov_b32 v[38:39], 0, 0
	v_pk_mov_b32 v[42:43], v[38:39], v[38:39] op_sel:[0,1]
	s_waitcnt vmcnt(0) lgkmcnt(0)
	v_and_b32_e32 v52, 0xffff, v4
	v_cmp_ne_u16_sdwa vcc, v4, v5 src0_sel:BYTE_0 src1_sel:DWORD
	s_and_saveexec_b64 s[36:37], vcc
	s_cbranch_execz .LBB235_346
; %bb.341:                              ;   in Loop: Header=BB235_13 Depth=1
	v_bfrev_b32_e32 v42, 1
	v_cmp_ne_u16_sdwa vcc, v52, s43 src0_sel:BYTE_0 src1_sel:DWORD
	v_mov_b32_e32 v43, 0
	s_and_saveexec_b64 s[38:39], vcc
	s_cbranch_execz .LBB235_345
; %bb.342:                              ;   in Loop: Header=BB235_13 Depth=1
	v_and_b32_e32 v4, 0x7f, v52
	v_mov_b32_e32 v42, 0x7f800001
	v_cmp_ne_u32_e32 vcc, s44, v4
	v_mov_b32_e32 v43, 0
	s_and_saveexec_b64 s[40:41], vcc
	s_cbranch_execz .LBB235_344
; %bb.343:                              ;   in Loop: Header=BB235_13 Depth=1
	v_and_b32_e32 v8, 7, v52
	v_lshrrev_b32_e32 v9, 3, v4
	v_cmp_gt_u32_e32 vcc, 8, v4
	v_ffbh_u32_e32 v4, v8
	v_min_u32_e32 v4, 32, v4
	v_subrev_u32_e32 v30, 28, v4
	v_lshlrev_b64 v[42:43], v30, v[52:53]
	v_sub_u32_e32 v4, 29, v4
	v_and_b32_e32 v30, 7, v42
	v_cndmask_b32_e32 v4, v9, v4, vcc
	v_cndmask_b32_e32 v8, v8, v30, vcc
	v_bfrev_b32_e32 v30, 60
	v_lshlrev_b32_e32 v8, 20, v8
	v_and_b32_sdwa v9, sext(v52), s27 dst_sel:DWORD dst_unused:UNUSED_PAD src0_sel:BYTE_0 src1_sel:DWORD
	v_lshl_add_u32 v4, v4, 23, v30
	v_or3_b32 v4, v9, v4, v8
	v_pk_mov_b32 v[42:43], v[4:5], v[4:5] op_sel:[0,1]
.LBB235_344:                            ;   in Loop: Header=BB235_13 Depth=1
	s_or_b64 exec, exec, s[40:41]
.LBB235_345:                            ;   in Loop: Header=BB235_13 Depth=1
	s_or_b64 exec, exec, s[38:39]
.LBB235_346:                            ;   in Loop: Header=BB235_13 Depth=1
	s_or_b64 exec, exec, s[36:37]
	v_cmp_ne_u16_sdwa vcc, v52, v5 src0_sel:BYTE_1 src1_sel:DWORD
	s_and_saveexec_b64 s[36:37], vcc
	s_cbranch_execz .LBB235_352
; %bb.347:                              ;   in Loop: Header=BB235_13 Depth=1
	v_cmp_ne_u16_sdwa vcc, v52, s43 src0_sel:BYTE_1 src1_sel:DWORD
	v_pk_mov_b32 v[38:39], s[26:27], s[26:27] op_sel:[0,1]
	s_and_saveexec_b64 s[38:39], vcc
	s_cbranch_execz .LBB235_351
; %bb.348:                              ;   in Loop: Header=BB235_13 Depth=1
	v_and_b32_sdwa v41, v52, s44 dst_sel:DWORD dst_unused:UNUSED_PAD src0_sel:BYTE_1 src1_sel:DWORD
	s_mov_b32 s34, s26
	v_cmp_ne_u32_e32 vcc, s44, v41
	v_pk_mov_b32 v[38:39], s[34:35], s[34:35] op_sel:[0,1]
	s_and_saveexec_b64 s[40:41], vcc
	s_cbranch_execz .LBB235_350
; %bb.349:                              ;   in Loop: Header=BB235_13 Depth=1
	v_mov_b32_e32 v4, 7
	v_and_b32_sdwa v4, v52, v4 dst_sel:DWORD dst_unused:UNUSED_PAD src0_sel:BYTE_1 src1_sel:DWORD
	v_ffbh_u32_e32 v9, v4
	v_min_u32_e32 v9, 32, v9
	v_subrev_u32_e32 v30, 28, v9
	v_lshlrev_b64 v[38:39], v30, v[4:5]
	v_lshrrev_b32_e32 v8, 3, v41
	v_cmp_gt_u32_e32 vcc, 8, v41
	v_sub_u32_e32 v9, 29, v9
	v_and_b32_e32 v30, 7, v38
	v_cndmask_b32_e32 v8, v8, v9, vcc
	v_cndmask_b32_e32 v4, v4, v30, vcc
	v_bfrev_b32_e32 v30, 60
	v_lshlrev_b32_e32 v9, 16, v52
	v_lshl_add_u32 v8, v8, 23, v30
	v_and_or_b32 v8, v9, s27, v8
	v_lshlrev_b32_e32 v4, 20, v4
	v_or_b32_e32 v39, v8, v4
	v_mov_b32_e32 v38, v5
.LBB235_350:                            ;   in Loop: Header=BB235_13 Depth=1
	s_or_b64 exec, exec, s[40:41]
	buffer_load_dword v41, off, s[0:3], s32 offset:504 ; 4-byte Folded Reload
.LBB235_351:                            ;   in Loop: Header=BB235_13 Depth=1
	s_or_b64 exec, exec, s[38:39]
.LBB235_352:                            ;   in Loop: Header=BB235_13 Depth=1
	s_or_b64 exec, exec, s[36:37]
	flat_load_ushort v4, v[24:25] offset:3584
	v_pk_mov_b32 v[60:61], 0, 0
	v_pk_mov_b32 v[46:47], v[60:61], v[60:61] op_sel:[0,1]
	s_waitcnt vmcnt(0) lgkmcnt(0)
	v_and_b32_e32 v52, 0xffff, v4
	v_cmp_ne_u16_sdwa vcc, v4, v5 src0_sel:BYTE_0 src1_sel:DWORD
	s_and_saveexec_b64 s[36:37], vcc
	s_cbranch_execz .LBB235_358
; %bb.353:                              ;   in Loop: Header=BB235_13 Depth=1
	v_bfrev_b32_e32 v46, 1
	v_cmp_ne_u16_sdwa vcc, v52, s43 src0_sel:BYTE_0 src1_sel:DWORD
	v_mov_b32_e32 v47, 0
	s_and_saveexec_b64 s[38:39], vcc
	s_cbranch_execz .LBB235_357
; %bb.354:                              ;   in Loop: Header=BB235_13 Depth=1
	v_and_b32_e32 v4, 0x7f, v52
	v_mov_b32_e32 v46, 0x7f800001
	v_cmp_ne_u32_e32 vcc, s44, v4
	v_mov_b32_e32 v47, 0
	s_and_saveexec_b64 s[40:41], vcc
	s_cbranch_execz .LBB235_356
; %bb.355:                              ;   in Loop: Header=BB235_13 Depth=1
	v_and_b32_e32 v8, 7, v52
	v_lshrrev_b32_e32 v9, 3, v4
	v_cmp_gt_u32_e32 vcc, 8, v4
	v_ffbh_u32_e32 v4, v8
	v_min_u32_e32 v4, 32, v4
	v_subrev_u32_e32 v30, 28, v4
	v_lshlrev_b64 v[46:47], v30, v[52:53]
	v_sub_u32_e32 v4, 29, v4
	v_and_b32_e32 v30, 7, v46
	v_cndmask_b32_e32 v4, v9, v4, vcc
	v_cndmask_b32_e32 v8, v8, v30, vcc
	v_bfrev_b32_e32 v30, 60
	v_lshlrev_b32_e32 v8, 20, v8
	v_and_b32_sdwa v9, sext(v52), s27 dst_sel:DWORD dst_unused:UNUSED_PAD src0_sel:BYTE_0 src1_sel:DWORD
	v_lshl_add_u32 v4, v4, 23, v30
	v_or3_b32 v4, v9, v4, v8
	v_pk_mov_b32 v[46:47], v[4:5], v[4:5] op_sel:[0,1]
.LBB235_356:                            ;   in Loop: Header=BB235_13 Depth=1
	s_or_b64 exec, exec, s[40:41]
.LBB235_357:                            ;   in Loop: Header=BB235_13 Depth=1
	s_or_b64 exec, exec, s[38:39]
.LBB235_358:                            ;   in Loop: Header=BB235_13 Depth=1
	s_or_b64 exec, exec, s[36:37]
	v_cmp_ne_u16_sdwa vcc, v52, v5 src0_sel:BYTE_1 src1_sel:DWORD
	s_and_saveexec_b64 s[36:37], vcc
	s_cbranch_execz .LBB235_364
; %bb.359:                              ;   in Loop: Header=BB235_13 Depth=1
	v_cmp_ne_u16_sdwa vcc, v52, s43 src0_sel:BYTE_1 src1_sel:DWORD
	v_pk_mov_b32 v[60:61], s[26:27], s[26:27] op_sel:[0,1]
	s_and_saveexec_b64 s[38:39], vcc
	s_cbranch_execz .LBB235_363
; %bb.360:                              ;   in Loop: Header=BB235_13 Depth=1
	v_and_b32_sdwa v41, v52, s44 dst_sel:DWORD dst_unused:UNUSED_PAD src0_sel:BYTE_1 src1_sel:DWORD
	s_mov_b32 s34, s26
	v_cmp_ne_u32_e32 vcc, s44, v41
	v_pk_mov_b32 v[60:61], s[34:35], s[34:35] op_sel:[0,1]
	s_and_saveexec_b64 s[40:41], vcc
	s_cbranch_execz .LBB235_362
; %bb.361:                              ;   in Loop: Header=BB235_13 Depth=1
	v_mov_b32_e32 v4, 7
	v_and_b32_sdwa v4, v52, v4 dst_sel:DWORD dst_unused:UNUSED_PAD src0_sel:BYTE_1 src1_sel:DWORD
	v_ffbh_u32_e32 v9, v4
	v_min_u32_e32 v9, 32, v9
	v_subrev_u32_e32 v30, 28, v9
	v_lshlrev_b64 v[58:59], v30, v[4:5]
	v_lshrrev_b32_e32 v8, 3, v41
	v_cmp_gt_u32_e32 vcc, 8, v41
	v_sub_u32_e32 v9, 29, v9
	v_and_b32_e32 v30, 7, v58
	v_cndmask_b32_e32 v8, v8, v9, vcc
	v_cndmask_b32_e32 v4, v4, v30, vcc
	v_bfrev_b32_e32 v30, 60
	v_lshlrev_b32_e32 v9, 16, v52
	v_lshl_add_u32 v8, v8, 23, v30
	v_and_or_b32 v8, v9, s27, v8
	v_lshlrev_b32_e32 v4, 20, v4
	v_or_b32_e32 v61, v8, v4
	v_mov_b32_e32 v60, v5
.LBB235_362:                            ;   in Loop: Header=BB235_13 Depth=1
	s_or_b64 exec, exec, s[40:41]
	buffer_load_dword v41, off, s[0:3], s32 offset:504 ; 4-byte Folded Reload
.LBB235_363:                            ;   in Loop: Header=BB235_13 Depth=1
	s_or_b64 exec, exec, s[38:39]
.LBB235_364:                            ;   in Loop: Header=BB235_13 Depth=1
	s_or_b64 exec, exec, s[36:37]
	flat_load_ushort v4, v[24:25] offset:3588
	v_pk_mov_b32 v[24:25], 0, 0
	v_pk_mov_b32 v[58:59], v[24:25], v[24:25] op_sel:[0,1]
	s_waitcnt vmcnt(0) lgkmcnt(0)
	v_and_b32_e32 v52, 0xffff, v4
	v_cmp_ne_u16_sdwa vcc, v4, v5 src0_sel:BYTE_0 src1_sel:DWORD
	s_and_saveexec_b64 s[36:37], vcc
	s_cbranch_execz .LBB235_370
; %bb.365:                              ;   in Loop: Header=BB235_13 Depth=1
	v_bfrev_b32_e32 v58, 1
	v_cmp_ne_u16_sdwa vcc, v52, s43 src0_sel:BYTE_0 src1_sel:DWORD
	v_mov_b32_e32 v59, 0
	s_and_saveexec_b64 s[38:39], vcc
	s_cbranch_execz .LBB235_369
; %bb.366:                              ;   in Loop: Header=BB235_13 Depth=1
	v_and_b32_e32 v4, 0x7f, v52
	v_mov_b32_e32 v58, 0x7f800001
	v_cmp_ne_u32_e32 vcc, s44, v4
	v_mov_b32_e32 v59, 0
	s_and_saveexec_b64 s[40:41], vcc
	s_cbranch_execz .LBB235_368
; %bb.367:                              ;   in Loop: Header=BB235_13 Depth=1
	v_and_b32_e32 v8, 7, v52
	v_lshrrev_b32_e32 v9, 3, v4
	v_cmp_gt_u32_e32 vcc, 8, v4
	v_ffbh_u32_e32 v4, v8
	v_min_u32_e32 v4, 32, v4
	v_subrev_u32_e32 v30, 28, v4
	v_lshlrev_b64 v[58:59], v30, v[52:53]
	v_sub_u32_e32 v4, 29, v4
	v_and_b32_e32 v30, 7, v58
	v_cndmask_b32_e32 v4, v9, v4, vcc
	v_cndmask_b32_e32 v8, v8, v30, vcc
	v_bfrev_b32_e32 v30, 60
	v_lshlrev_b32_e32 v8, 20, v8
	v_and_b32_sdwa v9, sext(v52), s27 dst_sel:DWORD dst_unused:UNUSED_PAD src0_sel:BYTE_0 src1_sel:DWORD
	v_lshl_add_u32 v4, v4, 23, v30
	v_or3_b32 v4, v9, v4, v8
	v_pk_mov_b32 v[58:59], v[4:5], v[4:5] op_sel:[0,1]
.LBB235_368:                            ;   in Loop: Header=BB235_13 Depth=1
	s_or_b64 exec, exec, s[40:41]
.LBB235_369:                            ;   in Loop: Header=BB235_13 Depth=1
	s_or_b64 exec, exec, s[38:39]
.LBB235_370:                            ;   in Loop: Header=BB235_13 Depth=1
	s_or_b64 exec, exec, s[36:37]
	v_accvgpr_write_b32 a41, v31
	v_cmp_ne_u16_sdwa vcc, v52, v5 src0_sel:BYTE_1 src1_sel:DWORD
	s_and_saveexec_b64 s[36:37], vcc
	s_cbranch_execz .LBB235_376
; %bb.371:                              ;   in Loop: Header=BB235_13 Depth=1
	v_cmp_ne_u16_sdwa vcc, v52, s43 src0_sel:BYTE_1 src1_sel:DWORD
	v_pk_mov_b32 v[24:25], s[26:27], s[26:27] op_sel:[0,1]
	s_and_saveexec_b64 s[38:39], vcc
	s_cbranch_execz .LBB235_375
; %bb.372:                              ;   in Loop: Header=BB235_13 Depth=1
	v_and_b32_sdwa v41, v52, s44 dst_sel:DWORD dst_unused:UNUSED_PAD src0_sel:BYTE_1 src1_sel:DWORD
	s_mov_b32 s34, s26
	v_cmp_ne_u32_e32 vcc, s44, v41
	v_pk_mov_b32 v[24:25], s[34:35], s[34:35] op_sel:[0,1]
	s_and_saveexec_b64 s[40:41], vcc
	s_cbranch_execz .LBB235_374
; %bb.373:                              ;   in Loop: Header=BB235_13 Depth=1
	v_mov_b32_e32 v4, 7
	v_and_b32_sdwa v4, v52, v4 dst_sel:DWORD dst_unused:UNUSED_PAD src0_sel:BYTE_1 src1_sel:DWORD
	v_ffbh_u32_e32 v9, v4
	v_min_u32_e32 v9, 32, v9
	v_subrev_u32_e32 v24, 28, v9
	v_lshlrev_b64 v[24:25], v24, v[4:5]
	v_lshrrev_b32_e32 v8, 3, v41
	v_cmp_gt_u32_e32 vcc, 8, v41
	v_sub_u32_e32 v9, 29, v9
	v_and_b32_e32 v24, 7, v24
	v_cndmask_b32_e32 v8, v8, v9, vcc
	v_cndmask_b32_e32 v4, v4, v24, vcc
	v_bfrev_b32_e32 v24, 60
	v_lshlrev_b32_e32 v9, 16, v52
	v_lshl_add_u32 v8, v8, 23, v24
	v_and_or_b32 v8, v9, s27, v8
	v_lshlrev_b32_e32 v4, 20, v4
	v_or_b32_e32 v25, v8, v4
	v_mov_b32_e32 v24, v5
.LBB235_374:                            ;   in Loop: Header=BB235_13 Depth=1
	s_or_b64 exec, exec, s[40:41]
	buffer_load_dword v41, off, s[0:3], s32 offset:504 ; 4-byte Folded Reload
.LBB235_375:                            ;   in Loop: Header=BB235_13 Depth=1
	s_or_b64 exec, exec, s[38:39]
.LBB235_376:                            ;   in Loop: Header=BB235_13 Depth=1
	s_or_b64 exec, exec, s[36:37]
	buffer_load_dword v8, off, s[0:3], s32 offset:228 ; 4-byte Folded Reload
	buffer_load_dword v9, off, s[0:3], s32 offset:232 ; 4-byte Folded Reload
	;; [unrolled: 1-line block ×4, first 2 shown]
	v_or_b32_e32 v21, v49, v21
	v_or_b32_e32 v20, v48, v20
	v_or_b32_e32 v35, v35, v55
	v_or_b32_e32 v34, v34, v54
	v_or_b32_e32 v29, v37, v29
	v_or_b32_e32 v28, v36, v28
	v_or_b32_e32 v37, v45, v51
	v_or_b32_e32 v36, v44, v50
	v_or_b32_e32 v33, v57, v33
	v_or_b32_e32 v32, v56, v32
	v_or_b32_e32 v57, v25, v59
	v_or_b32_e32 v56, v24, v58
	v_or_b32_e32 v11, v7, v11
	v_or_b32_e32 v10, v6, v10
	v_pk_mul_f32 v[6:7], v[12:13], v[34:35] op_sel_hi:[0,1]
	s_waitcnt vmcnt(0)
	v_or_b32_e32 v31, v9, v31
	v_or_b32_e32 v30, v8, v30
	;; [unrolled: 1-line block ×4, first 2 shown]
	buffer_load_dword v16, off, s[0:3], s32 offset:472 ; 4-byte Folded Reload
	buffer_load_dword v17, off, s[0:3], s32 offset:476 ; 4-byte Folded Reload
	;; [unrolled: 1-line block ×4, first 2 shown]
	v_pk_mul_f32 v[30:31], v[12:13], v[30:31] op_sel_hi:[0,1]
	v_pk_mul_f32 v[8:9], v[12:13], v[8:9] op_sel_hi:[0,1]
	s_waitcnt vmcnt(1)
	v_mul_f32_e32 v4, v18, v30
	s_waitcnt vmcnt(0)
	v_mul_f32_e32 v52, v19, v31
	v_fmac_f32_e32 v4, v16, v8
	v_fmac_f32_e32 v52, v17, v9
	buffer_load_dword v8, off, s[0:3], s32 offset:260 ; 4-byte Folded Reload
	buffer_load_dword v9, off, s[0:3], s32 offset:264 ; 4-byte Folded Reload
	;; [unrolled: 1-line block ×4, first 2 shown]
	s_waitcnt vmcnt(0)
	v_or_b32_e32 v9, v9, v17
	v_or_b32_e32 v8, v8, v16
	buffer_load_dword v16, off, s[0:3], s32 offset:244 ; 4-byte Folded Reload
	buffer_load_dword v17, off, s[0:3], s32 offset:248 ; 4-byte Folded Reload
	;; [unrolled: 1-line block ×4, first 2 shown]
	v_pk_mul_f32 v[8:9], v[12:13], v[8:9] op_sel_hi:[0,1]
	s_waitcnt vmcnt(0)
	v_or_b32_e32 v31, v17, v19
	v_or_b32_e32 v30, v16, v18
	buffer_load_dword v16, off, s[0:3], s32 offset:456 ; 4-byte Folded Reload
	buffer_load_dword v17, off, s[0:3], s32 offset:460 ; 4-byte Folded Reload
	;; [unrolled: 1-line block ×4, first 2 shown]
	v_pk_mul_f32 v[30:31], v[12:13], v[30:31] op_sel_hi:[0,1]
	s_waitcnt vmcnt(3)
	v_fmac_f32_e32 v4, v16, v30
	s_waitcnt vmcnt(2)
	v_fmac_f32_e32 v52, v17, v31
	s_waitcnt vmcnt(1)
	v_fmac_f32_e32 v4, v18, v8
	s_waitcnt vmcnt(0)
	v_fmac_f32_e32 v52, v19, v9
	v_accvgpr_read_b32 v8, a48
	v_accvgpr_read_b32 v16, a54
	v_accvgpr_read_b32 v9, a49
	v_accvgpr_read_b32 v17, a55
	v_or_b32_e32 v9, v9, v17
	v_or_b32_e32 v8, v8, v16
	v_accvgpr_read_b32 v16, a46
	v_accvgpr_read_b32 v18, a50
	v_accvgpr_read_b32 v17, a47
	v_accvgpr_read_b32 v19, a51
	v_or_b32_e32 v31, v17, v19
	v_or_b32_e32 v30, v16, v18
	buffer_load_dword v16, off, s[0:3], s32 offset:440 ; 4-byte Folded Reload
	buffer_load_dword v17, off, s[0:3], s32 offset:444 ; 4-byte Folded Reload
	buffer_load_dword v18, off, s[0:3], s32 offset:448 ; 4-byte Folded Reload
	buffer_load_dword v19, off, s[0:3], s32 offset:452 ; 4-byte Folded Reload
	v_pk_mul_f32 v[30:31], v[12:13], v[30:31] op_sel_hi:[0,1]
	v_pk_mul_f32 v[8:9], v[12:13], v[8:9] op_sel_hi:[0,1]
	s_waitcnt vmcnt(3)
	v_fmac_f32_e32 v4, v16, v30
	s_waitcnt vmcnt(2)
	v_fmac_f32_e32 v52, v17, v31
	s_waitcnt vmcnt(1)
	v_fmac_f32_e32 v4, v18, v8
	s_waitcnt vmcnt(0)
	v_fmac_f32_e32 v52, v19, v9
	v_accvgpr_read_b32 v8, a56
	v_accvgpr_read_b32 v16, a62
	v_accvgpr_read_b32 v9, a57
	v_accvgpr_read_b32 v17, a63
	v_or_b32_e32 v9, v9, v17
	v_or_b32_e32 v8, v8, v16
	v_accvgpr_read_b32 v16, a52
	v_accvgpr_read_b32 v18, a58
	v_accvgpr_read_b32 v17, a53
	v_accvgpr_read_b32 v19, a59
	v_or_b32_e32 v31, v17, v19
	v_or_b32_e32 v30, v16, v18
	buffer_load_dword v16, off, s[0:3], s32 offset:424 ; 4-byte Folded Reload
	buffer_load_dword v17, off, s[0:3], s32 offset:428 ; 4-byte Folded Reload
	buffer_load_dword v18, off, s[0:3], s32 offset:432 ; 4-byte Folded Reload
	buffer_load_dword v19, off, s[0:3], s32 offset:436 ; 4-byte Folded Reload
	v_pk_mul_f32 v[30:31], v[12:13], v[30:31] op_sel_hi:[0,1]
	;; [unrolled: 26-line block ×5, first 2 shown]
	v_pk_mul_f32 v[8:9], v[12:13], v[8:9] op_sel_hi:[0,1]
	s_waitcnt vmcnt(3)
	v_fmac_f32_e32 v4, v16, v30
	s_waitcnt vmcnt(2)
	v_fmac_f32_e32 v52, v17, v31
	v_or_b32_e32 v31, v39, v43
	v_or_b32_e32 v30, v38, v42
	v_or_b32_e32 v39, v3, v23
	v_or_b32_e32 v38, v2, v22
	v_accvgpr_read_b32 v2, a42
	v_accvgpr_read_b32 v3, a43
	v_or_b32_e32 v49, v1, v3
	v_or_b32_e32 v48, v0, v2
	v_accvgpr_read_b32 v0, a38
	v_accvgpr_read_b32 v1, a39
	v_or_b32_e32 v55, v15, v1
	v_or_b32_e32 v54, v14, v0
	v_accvgpr_read_b32 v0, a14
	v_accvgpr_read_b32 v2, a32
	v_accvgpr_read_b32 v1, a15
	v_accvgpr_read_b32 v3, a33
	v_or_b32_e32 v51, v1, v3
	v_or_b32_e32 v50, v0, v2
	v_accvgpr_read_b32 v0, a34
	v_accvgpr_read_b32 v2, a44
	v_accvgpr_read_b32 v1, a35
	v_accvgpr_read_b32 v3, a45
	v_or_b32_e32 v43, v1, v3
	v_or_b32_e32 v42, v0, v2
	v_accvgpr_read_b32 v0, a8
	v_accvgpr_read_b32 v2, a36
	v_accvgpr_read_b32 v1, a9
	v_accvgpr_read_b32 v3, a37
	v_or_b32_e32 v45, v1, v3
	v_or_b32_e32 v44, v0, v2
	v_accvgpr_read_b32 v0, a0
	v_accvgpr_read_b32 v2, a10
	v_accvgpr_read_b32 v1, a1
	v_accvgpr_read_b32 v3, a11
	s_waitcnt vmcnt(1)
	v_fmac_f32_e32 v4, v18, v8
	s_waitcnt vmcnt(0)
	v_fmac_f32_e32 v52, v19, v9
	v_or_b32_e32 v9, v61, v47
	v_or_b32_e32 v8, v60, v46
	v_or_b32_e32 v47, v1, v3
	v_or_b32_e32 v46, v0, v2
	v_pk_mul_f32 v[2:3], v[12:13], v[30:31] op_sel_hi:[0,1]
	v_pk_mul_f32 v[22:23], v[12:13], v[38:39] op_sel_hi:[0,1]
	;; [unrolled: 1-line block ×4, first 2 shown]
	buffer_load_dword v39, off, s[0:3], s32 offset:500 ; 4-byte Folded Reload
	buffer_load_dword v48, off, s[0:3], s32 offset:360 ; 4-byte Folded Reload
	;; [unrolled: 1-line block ×5, first 2 shown]
	v_pk_mul_f32 v[0:1], v[12:13], v[8:9] op_sel_hi:[0,1]
	v_pk_mul_f32 v[8:9], v[12:13], v[20:21] op_sel_hi:[0,1]
	;; [unrolled: 1-line block ×11, first 2 shown]
	s_waitcnt vmcnt(4)
	v_and_b32_e32 v38, 64, v39
	s_waitcnt vmcnt(3)
	v_fmac_f32_e32 v4, v48, v36
	s_waitcnt vmcnt(2)
	v_fmac_f32_e32 v52, v49, v37
	;; [unrolled: 2-line block ×4, first 2 shown]
	buffer_load_dword v34, off, s[0:3], s32 offset:344 ; 4-byte Folded Reload
	buffer_load_dword v35, off, s[0:3], s32 offset:348 ; 4-byte Folded Reload
	;; [unrolled: 1-line block ×4, first 2 shown]
	v_xor_b32_e32 v12, 1, v39
	v_add_u32_e32 v38, 64, v38
	v_cmp_lt_i32_e32 vcc, v12, v38
	v_cndmask_b32_e32 v12, v39, v12, vcc
	v_lshlrev_b32_e32 v12, 2, v12
	s_waitcnt vmcnt(3)
	v_fmac_f32_e32 v4, v34, v32
	s_waitcnt vmcnt(2)
	v_fmac_f32_e32 v52, v35, v33
	;; [unrolled: 2-line block ×4, first 2 shown]
	buffer_load_dword v30, off, s[0:3], s32 offset:328 ; 4-byte Folded Reload
	buffer_load_dword v31, off, s[0:3], s32 offset:332 ; 4-byte Folded Reload
	;; [unrolled: 1-line block ×4, first 2 shown]
	s_waitcnt vmcnt(3)
	v_fmac_f32_e32 v4, v30, v28
	s_waitcnt vmcnt(2)
	v_fmac_f32_e32 v52, v31, v29
	buffer_load_dword v28, off, s[0:3], s32 offset:312 ; 4-byte Folded Reload
	buffer_load_dword v29, off, s[0:3], s32 offset:316 ; 4-byte Folded Reload
	;; [unrolled: 1-line block ×4, first 2 shown]
	s_waitcnt vmcnt(5)
	v_fmac_f32_e32 v4, v32, v24
	s_waitcnt vmcnt(4)
	v_fmac_f32_e32 v52, v33, v25
	;; [unrolled: 2-line block ×6, first 2 shown]
	buffer_load_dword v20, off, s[0:3], s32 offset:296 ; 4-byte Folded Reload
	buffer_load_dword v21, off, s[0:3], s32 offset:300 ; 4-byte Folded Reload
	;; [unrolled: 1-line block ×4, first 2 shown]
	v_accvgpr_read_b32 v31, a41
	s_waitcnt vmcnt(3)
	v_fmac_f32_e32 v4, v20, v18
	s_waitcnt vmcnt(2)
	v_fmac_f32_e32 v52, v21, v19
	s_waitcnt vmcnt(1)
	v_fmac_f32_e32 v4, v22, v16
	ds_read2_b64 v[18:21], v31 offset0:25 offset1:26
	s_waitcnt vmcnt(0)
	v_fmac_f32_e32 v52, v23, v17
	buffer_load_dword v16, off, s[0:3], s32 offset:288 ; 4-byte Folded Reload
	buffer_load_dword v17, off, s[0:3], s32 offset:292 ; 4-byte Folded Reload
	s_waitcnt vmcnt(1)
	v_fmac_f32_e32 v4, v16, v14
	s_waitcnt vmcnt(0)
	v_fmac_f32_e32 v52, v17, v15
	ds_read2_b64 v[14:17], v31 offset0:27 offset1:28
	s_waitcnt lgkmcnt(1)
	v_fmac_f32_e32 v4, v18, v8
	v_fmac_f32_e32 v52, v19, v9
	;; [unrolled: 1-line block ×4, first 2 shown]
	ds_read_b64 v[6:7], v31 offset:232
	s_waitcnt lgkmcnt(1)
	v_fmac_f32_e32 v4, v14, v2
	v_fmac_f32_e32 v52, v15, v3
	;; [unrolled: 1-line block ×4, first 2 shown]
	s_waitcnt lgkmcnt(0)
	v_fmac_f32_e32 v4, v6, v10
	v_fmac_f32_e32 v52, v7, v11
	v_add_f32_e32 v0, v4, v52
	ds_bpermute_b32 v1, v12, v0
	s_and_saveexec_b64 s[36:37], s[6:7]
	s_cbranch_execz .LBB235_11
; %bb.377:                              ;   in Loop: Header=BB235_13 Depth=1
	buffer_load_dword v2, off, s[0:3], s32 offset:528 ; 4-byte Folded Reload
	buffer_load_dword v4, off, s[0:3], s32 offset:516 ; 4-byte Folded Reload
	s_waitcnt lgkmcnt(0)
	v_add_f32_e32 v0, v0, v1
	buffer_load_dword v1, off, s[0:3], s32 offset:520 ; 4-byte Folded Reload
	buffer_load_dword v3, off, s[0:3], s32 offset:524 ; 4-byte Folded Reload
	s_load_dword vcc_lo, s[28:29], 0x0
	s_waitcnt vmcnt(3)
	v_add_u32_e32 v2, v2, v53
	v_cvt_f32_i32_e32 v2, v2
	s_waitcnt vmcnt(2)
	v_mul_f32_e32 v2, v4, v2
	v_cndmask_b32_e64 v2, 0, v2, s[8:9]
	s_waitcnt vmcnt(1)
	v_fmac_f32_e32 v2, v0, v1
	buffer_load_dword v1, off, s[0:3], s32 offset:496 ; 4-byte Folded Reload
	s_waitcnt vmcnt(1)
	v_add_u32_e32 v3, v3, v53
	s_waitcnt lgkmcnt(0)
	v_add_u32_e32 v4, vcc_lo, v13
	v_cmp_lt_i32_e32 vcc, v3, v62
	v_cndmask_b32_e32 v0, 0, v2, vcc
	ds_write_b32 v4, v0
	s_waitcnt vmcnt(0)
	v_max_f32_e32 v0, v1, v1
	v_max_f32_e32 v0, v0, v2
	v_cndmask_b32_e32 v1, v1, v0, vcc
	buffer_store_dword v1, off, s[0:3], s32 offset:496 ; 4-byte Folded Spill
	s_branch .LBB235_11
.LBB235_378:
	s_or_b64 exec, exec, s[30:31]
	buffer_load_dword v33, off, s[0:3], s32 offset:604 ; 4-byte Folded Reload
	buffer_load_dword v32, off, s[0:3], s32 offset:600 ; 4-byte Folded Reload
	;; [unrolled: 1-line block ×22, first 2 shown]
	v_mbcnt_lo_u32_b32 v0, -1, 0
.LBB235_379:
	s_or_b64 exec, exec, s[24:25]
	v_mbcnt_hi_u32_b32 v2, -1, v0
	v_and_b32_e32 v0, 64, v2
	v_add_u32_e32 v3, 64, v0
	v_xor_b32_e32 v0, 32, v2
	v_cmp_lt_i32_e32 vcc, v0, v3
	v_cndmask_b32_e32 v0, v2, v0, vcc
	v_lshlrev_b32_e32 v0, 2, v0
	s_waitcnt vmcnt(0) lgkmcnt(0)
	ds_bpermute_b32 v1, v0, v11
	v_xor_b32_e32 v5, 16, v2
	v_max_f32_e32 v4, v11, v11
	v_cmp_lt_i32_e32 vcc, v5, v3
	v_xor_b32_e32 v6, 8, v2
	s_waitcnt lgkmcnt(0)
	v_max_f32_e32 v1, v1, v1
	v_max_f32_e32 v4, v4, v1
	v_cndmask_b32_e32 v1, v2, v5, vcc
	v_lshlrev_b32_e32 v1, 2, v1
	ds_bpermute_b32 v5, v1, v4
	v_cmp_lt_i32_e32 vcc, v6, v3
	v_xor_b32_e32 v7, 4, v2
	v_and_b32_e32 v25, 63, v24
	s_lshr_b32 s28, s42, 16
	s_waitcnt lgkmcnt(0)
	v_max_f32_e32 v5, v5, v5
	v_max_f32_e32 v5, v4, v5
	v_cndmask_b32_e32 v4, v2, v6, vcc
	v_lshlrev_b32_e32 v4, 2, v4
	ds_bpermute_b32 v6, v4, v5
	v_cmp_lt_i32_e32 vcc, v7, v3
	s_waitcnt lgkmcnt(0)
	v_max_f32_e32 v6, v6, v6
	v_max_f32_e32 v5, v5, v6
	v_cndmask_b32_e32 v6, v2, v7, vcc
	v_lshlrev_b32_e32 v23, 2, v6
	ds_bpermute_b32 v6, v23, v5
	v_xor_b32_e32 v7, 2, v2
	v_cmp_lt_i32_e32 vcc, v7, v3
	s_waitcnt lgkmcnt(0)
	v_max_f32_e32 v6, v6, v6
	v_max_f32_e32 v6, v5, v6
	v_cndmask_b32_e32 v5, v2, v7, vcc
	v_lshlrev_b32_e32 v28, 2, v5
	ds_bpermute_b32 v7, v28, v6
	v_cmp_eq_u32_e32 vcc, 0, v25
	v_lshlrev_b32_e32 v5, 2, v13
	s_and_saveexec_b64 s[6:7], vcc
	s_cbranch_execz .LBB235_381
; %bb.380:
	s_waitcnt lgkmcnt(0)
	v_max_f32_e32 v7, v7, v7
	v_max_f32_e32 v6, v6, v6
	;; [unrolled: 1-line block ×3, first 2 shown]
	ds_write_b32 v5, v6 offset:480
.LBB235_381:
	s_or_b64 exec, exec, s[6:7]
	v_cmp_gt_u32_e64 s[6:7], 2, v25
	s_waitcnt lgkmcnt(0)
	v_mov_b32_e32 v7, 0xff7fffff
	v_lshlrev_b32_e32 v6, 2, v25
	s_barrier
	s_and_saveexec_b64 s[8:9], s[6:7]
	s_cbranch_execz .LBB235_383
; %bb.382:
	ds_read_b32 v7, v6 offset:480
.LBB235_383:
	s_or_b64 exec, exec, s[8:9]
	v_xor_b32_e32 v8, 1, v2
	v_cmp_lt_i32_e64 s[8:9], v8, v3
	v_cndmask_b32_e64 v3, v2, v8, s[8:9]
	buffer_load_dword v8, off, s[0:3], s32 offset:208 ; 4-byte Folded Reload
	v_lshlrev_b32_e32 v29, 2, v3
	s_waitcnt lgkmcnt(0)
	ds_bpermute_b32 v3, v29, v7
	v_max_f32_e32 v7, v7, v7
	v_lshlrev_b32_e32 v2, 2, v2
	s_waitcnt lgkmcnt(0)
	v_max_f32_e32 v3, v3, v3
	v_max_f32_e32 v3, v7, v3
	s_waitcnt vmcnt(0)
	v_subrev_u32_e32 v8, s19, v8
	v_lshl_add_u32 v9, v8, 5, s23
	v_and_b32_e32 v8, 0x100, v2
	ds_bpermute_b32 v2, v8, v3
	v_min_i32_e32 v7, v9, v62
	v_subrev_u32_e32 v3, s23, v7
	v_cmp_lt_i32_e64 s[8:9], v24, v3
	v_mov_b32_e32 v9, 0
	s_and_saveexec_b64 s[24:25], s[8:9]
	s_cbranch_execz .LBB235_387
; %bb.384:
	s_ashr_i32 s21, s20, 31
	s_lshl_b64 s[10:11], s[20:21], 2
	s_getpc_b64 s[26:27]
	s_add_u32 s26, s26, llvm.amdgcn.dynlds.offset.table@rel32@lo+4
	s_addc_u32 s27, s27, llvm.amdgcn.dynlds.offset.table@rel32@hi+12
	s_add_u32 s10, s10, s26
	s_addc_u32 s11, s11, s27
	s_load_dword s10, s[10:11], 0x0
	s_mov_b64 s[26:27], 0
	v_mov_b32_e32 v9, 0
	v_mov_b32_e32 v11, v24
	s_waitcnt lgkmcnt(0)
	v_lshl_add_u32 v10, v24, 2, s10
.LBB235_385:                            ; =>This Inner Loop Header: Depth=1
	ds_read_b32 v12, v10
	v_add_u32_e32 v11, 0x80, v11
	v_cmp_ge_i32_e64 s[10:11], v11, v3
	s_or_b64 s[26:27], s[10:11], s[26:27]
	s_waitcnt lgkmcnt(0)
	v_sub_f32_e32 v12, v12, v2
	v_mul_f32_e32 v12, 0x3fb8aa3b, v12
	v_exp_f32_e32 v12, v12
	ds_write_b32 v10, v12
	v_add_f32_e32 v9, v9, v12
	v_add_u32_e32 v10, 0x200, v10
	s_andn2_b64 exec, exec, s[26:27]
	s_cbranch_execnz .LBB235_385
; %bb.386:
	s_or_b64 exec, exec, s[26:27]
.LBB235_387:
	s_or_b64 exec, exec, s[24:25]
	ds_bpermute_b32 v0, v0, v9
	s_waitcnt lgkmcnt(0)
	v_add_f32_e32 v0, v9, v0
	ds_bpermute_b32 v1, v1, v0
	s_waitcnt lgkmcnt(0)
	v_add_f32_e32 v0, v0, v1
	;; [unrolled: 3-line block ×6, first 2 shown]
	s_and_saveexec_b64 s[10:11], vcc
	s_cbranch_execz .LBB235_389
; %bb.388:
	ds_write_b32 v5, v0 offset:488
.LBB235_389:
	s_or_b64 exec, exec, s[10:11]
	s_waitcnt lgkmcnt(0)
	s_barrier
	s_and_saveexec_b64 s[10:11], s[6:7]
	s_cbranch_execz .LBB235_391
; %bb.390:
	ds_read_b32 v0, v6 offset:488
.LBB235_391:
	s_or_b64 exec, exec, s[10:11]
	s_waitcnt lgkmcnt(0)
	ds_bpermute_b32 v1, v29, v0
	s_waitcnt lgkmcnt(0)
	v_add_f32_e32 v0, v0, v1
	ds_bpermute_b32 v4, v8, v0
	s_and_saveexec_b64 s[6:7], s[8:9]
	s_cbranch_execz .LBB235_404
; %bb.392:
	s_waitcnt lgkmcnt(0)
	v_add_f32_e32 v0, 0x358637bd, v4
	v_div_scale_f32 v1, s[8:9], v0, v0, 1.0
	v_rcp_f32_e32 v5, v1
	v_div_scale_f32 v6, vcc, 1.0, v0, 1.0
	s_movk_i32 s8, 0x7f
	v_fma_f32 v8, -v1, v5, 1.0
	v_fmac_f32_e32 v5, v8, v5
	v_mul_f32_e32 v8, v6, v5
	v_fma_f32 v9, -v1, v8, v6
	v_fmac_f32_e32 v8, v9, v5
	v_fma_f32 v1, -v1, v8, v6
	v_div_fmas_f32 v1, v1, v5, v8
	v_div_fixup_f32 v0, v1, v0, 1.0
	v_xad_u32 v1, v24, -1, v7
	v_subrev_u32_e32 v5, s23, v1
	v_cmp_lt_u32_e32 vcc, s8, v5
	s_mov_b64 s[10:11], -1
	v_mov_b32_e32 v1, v24
	s_and_saveexec_b64 s[8:9], vcc
	s_cbranch_execz .LBB235_401
; %bb.393:
	v_lshrrev_b32_e32 v5, 7, v5
	v_add_u32_e32 v7, -1, v5
	v_lshrrev_b32_e32 v6, 1, v7
	v_mov_b32_e32 v1, v0
	v_add_u32_e32 v6, 1, v6
	v_cmp_lt_u32_e32 vcc, 13, v7
	v_mov_b32_e32 v9, 0
	s_and_saveexec_b64 s[10:11], vcc
	s_cbranch_execz .LBB235_397
; %bb.394:
	s_ashr_i32 s21, s20, 31
	s_lshl_b64 s[24:25], s[20:21], 2
	s_getpc_b64 s[26:27]
	s_add_u32 s26, s26, llvm.amdgcn.dynlds.offset.table@rel32@lo+4
	s_addc_u32 s27, s27, llvm.amdgcn.dynlds.offset.table@rel32@hi+12
	s_add_u32 s24, s24, s26
	s_addc_u32 s25, s25, s27
	s_load_dword s21, s[24:25], 0x0
	v_mov_b32_e32 v21, v13
	v_and_b32_e32 v7, -8, v6
	s_mov_b32 s19, 0
	s_mov_b64 s[24:25], 0
	s_waitcnt lgkmcnt(0)
	v_lshl_add_u32 v8, v24, 2, s21
.LBB235_395:                            ; =>This Inner Loop Header: Depth=1
	ds_read2st64_b32 v[10:11], v8 offset1:2
	ds_read2st64_b32 v[12:13], v8 offset0:4 offset1:6
	ds_read2st64_b32 v[18:19], v8 offset0:8 offset1:10
	;; [unrolled: 1-line block ×3, first 2 shown]
	v_add_u32_e32 v7, -8, v7
	s_waitcnt lgkmcnt(3)
	v_pk_mul_f32 v[10:11], v[0:1], v[10:11]
	s_waitcnt lgkmcnt(2)
	v_pk_mul_f32 v[12:13], v[0:1], v[12:13]
	ds_write2st64_b32 v8, v10, v11 offset1:2
	ds_write2st64_b32 v8, v12, v13 offset0:4 offset1:6
	ds_read2st64_b32 v[12:13], v8 offset0:16 offset1:18
	s_waitcnt lgkmcnt(4)
	v_pk_mul_f32 v[10:11], v[0:1], v[18:19]
	ds_write2st64_b32 v8, v10, v11 offset0:8 offset1:10
	s_waitcnt lgkmcnt(4)
	v_pk_mul_f32 v[10:11], v[0:1], v[16:17]
	ds_write2st64_b32 v8, v10, v11 offset0:12 offset1:14
	ds_read2st64_b32 v[10:11], v8 offset0:20 offset1:22
	s_waitcnt lgkmcnt(3)
	v_pk_mul_f32 v[12:13], v[0:1], v[12:13]
	ds_read2st64_b32 v[16:17], v8 offset0:24 offset1:26
	ds_write2st64_b32 v8, v12, v13 offset0:16 offset1:18
	ds_read2st64_b32 v[12:13], v8 offset0:28 offset1:30
	s_waitcnt lgkmcnt(3)
	v_pk_mul_f32 v[10:11], v[0:1], v[10:11]
	ds_write2st64_b32 v8, v10, v11 offset0:20 offset1:22
	s_waitcnt lgkmcnt(3)
	v_pk_mul_f32 v[10:11], v[0:1], v[16:17]
	ds_write2st64_b32 v8, v10, v11 offset0:24 offset1:26
	s_waitcnt lgkmcnt(2)
	v_pk_mul_f32 v[10:11], v[0:1], v[12:13]
	s_add_i32 s19, s19, 16
	v_cmp_eq_u32_e32 vcc, 0, v7
	ds_write2st64_b32 v8, v10, v11 offset0:28 offset1:30
	v_add_u32_e32 v8, 0x2000, v8
	s_or_b64 s[24:25], vcc, s[24:25]
	v_mov_b32_e32 v9, s19
	s_andn2_b64 exec, exec, s[24:25]
	s_cbranch_execnz .LBB235_395
; %bb.396:
	s_or_b64 exec, exec, s[24:25]
	v_mov_b32_e32 v13, v21
.LBB235_397:
	s_or_b64 exec, exec, s[10:11]
	v_and_b32_e32 v6, 7, v6
	v_cmp_ne_u32_e32 vcc, 0, v6
	s_and_saveexec_b64 s[10:11], vcc
	s_cbranch_execz .LBB235_400
; %bb.398:
	s_ashr_i32 s21, s20, 31
	s_lshl_b64 s[24:25], s[20:21], 2
	s_getpc_b64 s[26:27]
	s_add_u32 s26, s26, llvm.amdgcn.dynlds.offset.table@rel32@lo+4
	s_addc_u32 s27, s27, llvm.amdgcn.dynlds.offset.table@rel32@hi+12
	s_add_u32 s24, s24, s26
	s_addc_u32 s25, s25, s27
	s_load_dword s19, s[24:25], 0x0
	v_lshlrev_b32_e32 v7, 9, v9
	s_mov_b64 s[24:25], 0
	s_waitcnt lgkmcnt(0)
	v_add3_u32 v7, v7, v31, s19
.LBB235_399:                            ; =>This Inner Loop Header: Depth=1
	ds_read2st64_b32 v[8:9], v7 offset1:2
	v_add_u32_e32 v6, -1, v6
	v_cmp_eq_u32_e32 vcc, 0, v6
	s_or_b64 s[24:25], vcc, s[24:25]
	s_waitcnt lgkmcnt(0)
	v_pk_mul_f32 v[8:9], v[0:1], v[8:9]
	ds_write2st64_b32 v7, v8, v9 offset1:2
	v_add_u32_e32 v7, 0x400, v7
	s_andn2_b64 exec, exec, s[24:25]
	s_cbranch_execnz .LBB235_399
.LBB235_400:
	s_or_b64 exec, exec, s[10:11]
	v_add_u32_e32 v5, 1, v5
	v_and_b32_e32 v6, 0x3fffffe, v5
	v_cmp_ne_u32_e32 vcc, v5, v6
	v_lshl_add_u32 v1, v6, 7, v24
	s_orn2_b64 s[10:11], vcc, exec
.LBB235_401:
	s_or_b64 exec, exec, s[8:9]
	s_and_b64 exec, exec, s[10:11]
	s_cbranch_execz .LBB235_404
; %bb.402:
	s_ashr_i32 s21, s20, 31
	s_lshl_b64 s[8:9], s[20:21], 2
	s_getpc_b64 s[10:11]
	s_add_u32 s10, s10, llvm.amdgcn.dynlds.offset.table@rel32@lo+4
	s_addc_u32 s11, s11, llvm.amdgcn.dynlds.offset.table@rel32@hi+12
	s_add_u32 s8, s8, s10
	s_addc_u32 s9, s9, s11
	s_load_dword s8, s[8:9], 0x0
	s_waitcnt lgkmcnt(0)
	v_lshl_add_u32 v5, v1, 2, s8
	s_mov_b64 s[8:9], 0
.LBB235_403:                            ; =>This Inner Loop Header: Depth=1
	ds_read_b32 v6, v5
	v_add_u32_e32 v1, 0x80, v1
	v_cmp_ge_i32_e32 vcc, v1, v3
	s_or_b64 s[8:9], vcc, s[8:9]
	s_waitcnt lgkmcnt(0)
	v_mul_f32_e32 v6, v0, v6
	ds_write_b32 v5, v6
	v_add_u32_e32 v5, 0x200, v5
	s_andn2_b64 exec, exec, s[8:9]
	s_cbranch_execnz .LBB235_403
.LBB235_404:
	s_or_b64 exec, exec, s[6:7]
	v_cmp_ne_u16_e64 s[6:7], s28, 0
	s_cmp_lg_u64 s[6:7], 0
	s_addc_u32 s19, s13, 0
	s_mul_i32 s6, s19, s22
	v_cmp_eq_u32_e32 vcc, 0, v24
	s_mul_i32 s6, s6, s15
	s_waitcnt lgkmcnt(0)
	s_barrier
	s_and_saveexec_b64 s[8:9], vcc
	s_cbranch_execz .LBB235_406
; %bb.405:
	s_mul_i32 s12, s19, s12
	s_ashr_i32 s7, s6, 31
	s_ashr_i32 s13, s12, 31
	;; [unrolled: 1-line block ×3, first 2 shown]
	s_lshl_b64 s[10:11], s[6:7], 2
	s_lshl_b64 s[12:13], s[12:13], 2
	s_lshl_b64 s[22:23], s[14:15], 2
	s_add_u32 s7, s22, s12
	s_addc_u32 s12, s23, s13
	s_add_u32 s7, s7, s10
	s_addc_u32 s10, s12, s11
	v_mov_b32_e32 v1, s10
	v_add_co_u32_e32 v0, vcc, s7, v37
	v_addc_co_u32_e32 v1, vcc, v1, v36, vcc
	flat_store_dword v[0:1], v2
	v_mov_b32_e32 v1, s10
	v_add_co_u32_e32 v0, vcc, s7, v35
	v_addc_co_u32_e32 v1, vcc, v1, v34, vcc
	flat_store_dword v[0:1], v4
.LBB235_406:
	s_or_b64 exec, exec, s[8:9]
	s_ashr_i32 s21, s20, 31
	s_lshl_b64 s[8:9], s[20:21], 2
	s_getpc_b64 s[10:11]
	s_add_u32 s10, s10, llvm.amdgcn.dynlds.offset.table@rel32@lo+4
	s_addc_u32 s11, s11, llvm.amdgcn.dynlds.offset.table@rel32@hi+12
	s_add_u32 s8, s8, s10
	s_addc_u32 s9, s9, s11
	s_mov_b32 s12, 0
	v_mov_b32_e32 v4, 0
	v_and_b32_e32 v34, 7, v24
	v_mov_b32_e32 v5, 0
	v_mov_b32_e32 v6, 0
	;; [unrolled: 1-line block ×14, first 2 shown]
	s_and_saveexec_b64 s[10:11], s[4:5]
	s_cbranch_execz .LBB235_802
; %bb.407:
	v_max_i32_e32 v4, v30, v49
	v_cvt_f32_u32_e32 v0, v4
	v_accvgpr_write_b32 a32, v4
	v_sub_u32_e32 v4, 0, v4
	v_and_b32_e32 v1, 28, v31
	v_rcp_iflag_f32_e32 v0, v0
	v_accvgpr_write_b32 a33, v1
	v_add_co_u32_e32 v1, vcc, v22, v39
	v_mul_f32_e32 v0, 0x4f7ffffe, v0
	v_cvt_u32_f32_e32 v0, v0
	v_add_u32_e32 v3, -1, v38
	v_addc_co_u32_e32 v2, vcc, v20, v48, vcc
	v_mul_lo_u32 v4, v4, v0
	v_mul_hi_u32 v4, v0, v4
	v_accvgpr_write_b32 a34, v3
	v_and_b32_e32 v3, 0xfc, v31
	v_add_u32_e32 v0, v0, v4
	v_accvgpr_write_b32 a36, v0
	v_add_co_u32_e32 v0, vcc, v1, v3
	s_load_dword s4, s[8:9], 0x0
	v_addc_co_u32_e32 v1, vcc, 0, v2, vcc
	buffer_load_dword v2, off, s[0:3], s32 offset:540 ; 4-byte Folded Reload
	buffer_load_dword v3, off, s[0:3], s32 offset:544 ; 4-byte Folded Reload
	v_accvgpr_write_b32 a39, v1
	v_accvgpr_write_b32 a38, v0
	v_accvgpr_read_b32 v0, a12
	v_accvgpr_read_b32 v1, a13
	v_lshlrev_b64 v[0:1], 2, v[0:1]
	v_accvgpr_write_b32 a16, v29
	v_accvgpr_write_b32 a8, v28
	;; [unrolled: 1-line block ×7, first 2 shown]
	v_mov_b32_e32 v53, 0
	v_accvgpr_write_b32 a13, v34
	s_mov_b64 s[20:21], 0
	s_movk_i32 s7, 0x80
	s_movk_i32 s15, 0x7f
	s_brev_b32 s13, 1
	s_mov_b32 s23, 0x7f800001
	s_mov_b32 s34, 0xffffff
	v_mov_b32_e32 v55, 0
	v_mov_b32_e32 v9, 0
	;; [unrolled: 1-line block ×5, first 2 shown]
	s_waitcnt vmcnt(0)
	v_add_co_u32_e32 v0, vcc, v2, v0
	v_addc_co_u32_e32 v1, vcc, v3, v1, vcc
	v_add_co_u32_e32 v42, vcc, v14, v0
	v_lshlrev_b32_e32 v0, 4, v34
	v_addc_co_u32_e32 v43, vcc, v15, v1, vcc
	v_lshl_or_b32 v0, v13, 7, v0
	v_mov_b32_e32 v1, 0
	s_waitcnt lgkmcnt(0)
	v_add_u32_e32 v54, s4, v0
	v_mov_b32_e32 v0, 0
	v_accvgpr_write_b32 a19, v1
	v_accvgpr_write_b32 a18, v0
	v_mov_b32_e32 v1, 0
	v_mov_b32_e32 v0, 0
	v_accvgpr_write_b32 a21, v1
	v_accvgpr_write_b32 a20, v0
	v_mov_b32_e32 v1, 0
	;; [unrolled: 4-line block ×4, first 2 shown]
	v_mov_b32_e32 v0, 0
	v_accvgpr_write_b32 a31, v1
	v_accvgpr_write_b32 a30, v0
	s_branch .LBB235_410
.LBB235_408:                            ;   in Loop: Header=BB235_410 Depth=1
	s_or_b64 exec, exec, s[4:5]
	v_mul_f32_e32 v7, v1, v7
	v_mul_f32_e32 v22, v1, v33
	v_fmac_f32_e32 v7, v0, v6
	v_fmac_f32_e32 v22, v0, v32
	v_mul_f32_e32 v21, v1, v21
	v_fmac_f32_e32 v7, v2, v8
	v_fmac_f32_e32 v22, v2, v36
	v_fmac_f32_e32 v21, v0, v20
	v_fmac_f32_e32 v7, v3, v9
	v_accvgpr_read_b32 v8, a18
	v_fmac_f32_e32 v22, v3, v37
	v_fmac_f32_e32 v21, v2, v30
	v_accvgpr_read_b32 v9, a19
	v_fmac_f32_e32 v21, v3, v31
	v_mul_f32_e32 v11, v1, v11
	v_add_f32_e32 v9, v9, v22
	v_fmac_f32_e32 v11, v0, v10
	v_mul_f32_e32 v10, v1, v13
	v_add_f32_e32 v8, v8, v21
	v_accvgpr_write_b32 a19, v9
	v_fmac_f32_e32 v11, v2, v18
	v_fmac_f32_e32 v10, v0, v12
	v_accvgpr_write_b32 a18, v8
	v_accvgpr_read_b32 v8, a20
	v_fmac_f32_e32 v11, v3, v19
	v_fmac_f32_e32 v10, v2, v16
	v_accvgpr_read_b32 v9, a21
	v_fmac_f32_e32 v10, v3, v17
	v_add_f32_e32 v9, v9, v11
	v_mul_f32_e32 v6, v1, v35
	v_add_f32_e32 v8, v8, v10
	v_accvgpr_write_b32 a21, v9
	v_fmac_f32_e32 v6, v0, v34
	v_accvgpr_write_b32 a20, v8
	v_accvgpr_read_b32 v8, a22
	v_fmac_f32_e32 v6, v2, v4
	v_mul_f32_e32 v4, v1, v61
	v_accvgpr_read_b32 v9, a23
	v_fmac_f32_e32 v6, v3, v5
	v_fmac_f32_e32 v4, v0, v60
	v_add_f32_e32 v9, v9, v7
	v_add_f32_e32 v8, v8, v6
	v_fmac_f32_e32 v4, v2, v14
	v_accvgpr_read_b32 v6, a24
	v_fmac_f32_e32 v4, v3, v15
	v_accvgpr_read_b32 v7, a25
	v_add_f32_e32 v7, v7, v4
	v_mul_f32_e32 v4, v1, v57
	v_fmac_f32_e32 v4, v0, v56
	v_fmac_f32_e32 v4, v2, v58
	;; [unrolled: 1-line block ×3, first 2 shown]
	v_add_f32_e32 v6, v6, v4
	v_mul_f32_e32 v4, v1, v45
	v_accvgpr_write_b32 a23, v9
	v_accvgpr_write_b32 a25, v7
	v_fmac_f32_e32 v4, v0, v44
	v_accvgpr_write_b32 a22, v8
	v_accvgpr_write_b32 a24, v6
	v_fmac_f32_e32 v4, v2, v46
	v_accvgpr_read_b32 v8, a26
	v_accvgpr_read_b32 v6, a50
	v_fmac_f32_e32 v4, v3, v47
	v_accvgpr_read_b32 v9, a27
	v_accvgpr_read_b32 v7, a51
	v_add_f32_e32 v9, v9, v4
	v_mul_f32_e32 v4, v1, v7
	v_fmac_f32_e32 v4, v0, v6
	v_accvgpr_read_b32 v6, a52
	v_accvgpr_read_b32 v7, a53
	v_fmac_f32_e32 v4, v2, v6
	v_fmac_f32_e32 v4, v3, v7
	v_accvgpr_read_b32 v6, a46
	v_accvgpr_read_b32 v7, a47
	v_add_f32_e32 v8, v8, v4
	v_mul_f32_e32 v4, v1, v7
	v_fmac_f32_e32 v4, v0, v6
	v_accvgpr_read_b32 v6, a48
	v_accvgpr_read_b32 v7, a49
	v_fmac_f32_e32 v4, v2, v6
	v_fmac_f32_e32 v4, v3, v7
	v_accvgpr_read_b32 v6, a28
	v_accvgpr_read_b32 v10, a14
	;; [unrolled: 1-line block ×4, first 2 shown]
	v_add_f32_e32 v7, v7, v4
	v_mul_f32_e32 v4, v1, v11
	v_fmac_f32_e32 v4, v0, v10
	v_accvgpr_read_b32 v10, a44
	v_accvgpr_read_b32 v11, a45
	v_fmac_f32_e32 v4, v2, v10
	v_fmac_f32_e32 v4, v3, v11
	v_accvgpr_read_b32 v10, a40
	v_accvgpr_read_b32 v11, a41
	v_add_f32_e32 v6, v6, v4
	v_mul_f32_e32 v4, v1, v11
	v_fmac_f32_e32 v4, v0, v10
	v_accvgpr_read_b32 v10, a42
	v_accvgpr_read_b32 v11, a43
	v_fmac_f32_e32 v4, v2, v10
	v_fmac_f32_e32 v4, v3, v11
	v_accvgpr_read_b32 v10, a30
	v_accvgpr_read_b32 v11, a31
	;; [unrolled: 1-line block ×3, first 2 shown]
	v_add_f32_e32 v11, v11, v4
	v_accvgpr_read_b32 v12, a4
	v_mul_f32_e32 v4, v1, v13
	v_fmac_f32_e32 v4, v0, v12
	v_accvgpr_read_b32 v13, a7
	v_accvgpr_read_b32 v12, a6
	v_mul_f32_e32 v1, v1, v25
	v_fmac_f32_e32 v4, v2, v12
	v_fmac_f32_e32 v1, v0, v24
	;; [unrolled: 1-line block ×4, first 2 shown]
	v_add_f32_e32 v10, v10, v4
	v_accvgpr_write_b32 a31, v11
	v_fmac_f32_e32 v1, v3, v29
	v_accvgpr_write_b32 a30, v10
	v_add_f32_e32 v55, v55, v1
.LBB235_409:                            ;   in Loop: Header=BB235_410 Depth=1
	s_or_b64 exec, exec, s[24:25]
	buffer_load_dword v0, off, s[0:3], s32 offset:208 ; 4-byte Folded Reload
	v_accvgpr_read_b32 v2, a12
	v_add_co_u32_e32 v42, vcc, 8, v42
	v_add_u32_e32 v2, 2, v2
	v_addc_co_u32_e32 v43, vcc, 0, v43, vcc
	v_add_u32_e32 v40, 64, v40
	v_accvgpr_write_b32 a12, v2
	v_add_u32_e32 v54, 0x100, v54
	s_waitcnt vmcnt(0)
	v_cmp_ge_i32_e32 vcc, v2, v0
	s_or_b64 s[20:21], vcc, s[20:21]
	s_andn2_b64 exec, exec, s[20:21]
	s_cbranch_execz .LBB235_801
.LBB235_410:                            ; =>This Inner Loop Header: Depth=1
	buffer_load_dword v1, off, s[0:3], s32 offset:196 ; 4-byte Folded Reload
	buffer_load_dword v2, off, s[0:3], s32 offset:212 ; 4-byte Folded Reload
	v_ashrrev_i32_e32 v0, 31, v40
	v_accvgpr_read_b32 v4, a36
	s_waitcnt vmcnt(1)
	v_xor_b32_e32 v0, v0, v1
	v_sub_u32_e32 v1, 0, v40
	v_max_i32_e32 v1, v40, v1
	s_waitcnt vmcnt(0)
	v_mul_hi_u32 v2, v1, v2
	v_mul_lo_u32 v3, v2, v41
	v_sub_u32_e32 v1, v1, v3
	v_add_u32_e32 v3, 1, v2
	v_cmp_ge_u32_e32 vcc, v1, v41
	v_cndmask_b32_e32 v2, v2, v3, vcc
	v_sub_u32_e32 v3, v1, v41
	v_cndmask_b32_e32 v1, v1, v3, vcc
	v_add_u32_e32 v3, 1, v2
	v_cmp_ge_u32_e32 vcc, v1, v41
	v_cndmask_b32_e32 v1, v2, v3, vcc
	buffer_load_dword v2, off, s[0:3], s32 offset:200 ; 4-byte Folded Reload
	buffer_load_dword v3, off, s[0:3], s32 offset:204 ; 4-byte Folded Reload
	v_xor_b32_e32 v1, v1, v0
	v_sub_u32_e32 v0, v1, v0
	s_waitcnt vmcnt(1)
	v_add_u32_e32 v1, v0, v2
	s_waitcnt vmcnt(0)
	v_sub_u32_e32 v3, 0, v1
	v_ashrrev_i32_e32 v2, 31, v1
	v_max_i32_e32 v1, v1, v3
	v_mul_hi_u32 v3, v1, v4
	v_accvgpr_read_b32 v4, a32
	v_mul_lo_u32 v3, v3, v4
	v_sub_u32_e32 v1, v1, v3
	v_sub_u32_e32 v3, v1, v4
	v_cmp_ge_u32_e32 vcc, v1, v4
	v_cndmask_b32_e32 v1, v1, v3, vcc
	v_sub_u32_e32 v3, v1, v4
	v_cmp_ge_u32_e32 vcc, v1, v4
	v_cndmask_b32_e32 v1, v1, v3, vcc
	v_xor_b32_e32 v1, v1, v2
	v_sub_u32_e32 v1, v1, v2
	v_cmp_eq_u32_e32 vcc, 0, v1
	buffer_load_dword v1, off, s[0:3], s32 offset:216 ; 4-byte Folded Reload
	s_waitcnt vmcnt(0)
	v_cmp_gt_i32_e64 s[4:5], v0, v1
	s_or_b64 s[4:5], vcc, s[4:5]
	s_and_saveexec_b64 s[24:25], s[4:5]
	s_cbranch_execz .LBB235_409
; %bb.411:                              ;   in Loop: Header=BB235_410 Depth=1
	flat_load_dword v0, v[42:43]
	buffer_load_dword v2, off, s[0:3], s32 offset:268 ; 4-byte Folded Reload
	buffer_load_dword v3, off, s[0:3], s32 offset:272 ; 4-byte Folded Reload
	v_accvgpr_read_b32 v4, a38
	v_accvgpr_read_b32 v5, a39
	v_accvgpr_write_b32 a27, v9
	v_accvgpr_write_b32 a29, v7
	;; [unrolled: 1-line block ×3, first 2 shown]
	v_pk_mov_b32 v[8:9], 0, 0
	v_accvgpr_write_b32 a28, v6
	v_pk_mov_b32 v[6:7], v[8:9], v[8:9] op_sel:[0,1]
	s_waitcnt vmcnt(0) lgkmcnt(0)
	v_mad_i64_i32 v[24:25], s[4:5], v0, v2, v[4:5]
	flat_load_dword v4, v[24:25]
	flat_load_dword v28, v[26:27]
	ds_read_b128 v[0:3], v54
	s_waitcnt vmcnt(0) lgkmcnt(0)
	v_cmp_ne_u16_sdwa s[26:27], v4, v53 src0_sel:BYTE_0 src1_sel:DWORD
	s_and_saveexec_b64 s[4:5], s[26:27]
	s_cbranch_execz .LBB235_417
; %bb.412:                              ;   in Loop: Header=BB235_410 Depth=1
	v_bfrev_b32_e32 v6, 1
	v_cmp_ne_u16_sdwa s[28:29], v4, s7 src0_sel:BYTE_0 src1_sel:DWORD
	v_mov_b32_e32 v7, 0
	s_and_saveexec_b64 s[26:27], s[28:29]
	s_cbranch_execz .LBB235_416
; %bb.413:                              ;   in Loop: Header=BB235_410 Depth=1
	v_and_b32_e32 v5, 0x7f, v4
	v_mov_b32_e32 v6, 0x7f800001
	v_cmp_ne_u32_e32 vcc, s15, v5
	v_mov_b32_e32 v7, 0
	s_and_saveexec_b64 s[28:29], vcc
	s_cbranch_execz .LBB235_415
; %bb.414:                              ;   in Loop: Header=BB235_410 Depth=1
	v_and_b32_e32 v10, 7, v4
	v_ffbh_u32_e32 v6, v10
	v_min_u32_e32 v12, 32, v6
	v_subrev_u32_e32 v6, 28, v12
	v_lshlrev_b64 v[6:7], v6, v[4:5]
	v_lshrrev_b32_e32 v11, 3, v5
	v_sub_u32_e32 v7, 29, v12
	v_and_b32_e32 v6, 7, v6
	v_cmp_gt_u32_e32 vcc, 8, v5
	v_cndmask_b32_e32 v5, v11, v7, vcc
	v_cndmask_b32_e32 v6, v10, v6, vcc
	v_bfrev_b32_e32 v10, 60
	v_lshlrev_b32_e32 v6, 20, v6
	v_and_b32_sdwa v7, sext(v4), s13 dst_sel:DWORD dst_unused:UNUSED_PAD src0_sel:BYTE_0 src1_sel:DWORD
	v_lshl_add_u32 v5, v5, 23, v10
	v_or3_b32 v52, v7, v5, v6
	v_pk_mov_b32 v[6:7], v[52:53], v[52:53] op_sel:[0,1]
.LBB235_415:                            ;   in Loop: Header=BB235_410 Depth=1
	s_or_b64 exec, exec, s[28:29]
.LBB235_416:                            ;   in Loop: Header=BB235_410 Depth=1
	s_or_b64 exec, exec, s[26:27]
.LBB235_417:                            ;   in Loop: Header=BB235_410 Depth=1
	s_or_b64 exec, exec, s[4:5]
	v_cmp_ne_u16_sdwa s[26:27], v4, v53 src0_sel:BYTE_1 src1_sel:DWORD
	s_and_saveexec_b64 s[4:5], s[26:27]
	s_cbranch_execz .LBB235_423
; %bb.418:                              ;   in Loop: Header=BB235_410 Depth=1
	v_cmp_ne_u16_sdwa s[28:29], v4, s7 src0_sel:BYTE_1 src1_sel:DWORD
	v_pk_mov_b32 v[8:9], s[12:13], s[12:13] op_sel:[0,1]
	s_and_saveexec_b64 s[26:27], s[28:29]
	s_cbranch_execz .LBB235_422
; %bb.419:                              ;   in Loop: Header=BB235_410 Depth=1
	v_and_b32_sdwa v5, v4, s15 dst_sel:DWORD dst_unused:UNUSED_PAD src0_sel:BYTE_1 src1_sel:DWORD
	s_mov_b32 s22, s12
	v_cmp_ne_u32_e32 vcc, s15, v5
	v_pk_mov_b32 v[8:9], s[22:23], s[22:23] op_sel:[0,1]
	s_and_saveexec_b64 s[28:29], vcc
	s_cbranch_execz .LBB235_421
; %bb.420:                              ;   in Loop: Header=BB235_410 Depth=1
	v_mov_b32_e32 v8, 7
	v_and_b32_sdwa v52, v4, v8 dst_sel:DWORD dst_unused:UNUSED_PAD src0_sel:BYTE_1 src1_sel:DWORD
	v_ffbh_u32_e32 v8, v52
	v_min_u32_e32 v11, 32, v8
	v_subrev_u32_e32 v8, 28, v11
	v_lshlrev_b64 v[8:9], v8, v[52:53]
	v_lshrrev_b32_e32 v10, 3, v5
	v_sub_u32_e32 v9, 29, v11
	v_cmp_gt_u32_e32 vcc, 8, v5
	v_and_b32_e32 v8, 7, v8
	v_cndmask_b32_e32 v5, v10, v9, vcc
	v_bfrev_b32_e32 v10, 60
	v_cndmask_b32_e32 v8, v52, v8, vcc
	v_lshlrev_b32_e32 v9, 16, v4
	v_lshl_add_u32 v5, v5, 23, v10
	v_and_or_b32 v5, v9, s13, v5
	v_lshlrev_b32_e32 v8, 20, v8
	v_or_b32_e32 v9, v5, v8
	v_mov_b32_e32 v8, v53
.LBB235_421:                            ;   in Loop: Header=BB235_410 Depth=1
	s_or_b64 exec, exec, s[28:29]
.LBB235_422:                            ;   in Loop: Header=BB235_410 Depth=1
	s_or_b64 exec, exec, s[26:27]
.LBB235_423:                            ;   in Loop: Header=BB235_410 Depth=1
	s_or_b64 exec, exec, s[4:5]
	v_lshrrev_b32_e32 v14, 16, v4
	v_pk_mov_b32 v[12:13], 0, 0
	v_cmp_ne_u16_sdwa s[26:27], v14, v53 src0_sel:BYTE_0 src1_sel:DWORD
	v_pk_mov_b32 v[10:11], v[12:13], v[12:13] op_sel:[0,1]
	s_and_saveexec_b64 s[4:5], s[26:27]
	s_cbranch_execz .LBB235_429
; %bb.424:                              ;   in Loop: Header=BB235_410 Depth=1
	v_bfrev_b32_e32 v10, 1
	v_cmp_ne_u16_sdwa s[28:29], v14, s7 src0_sel:BYTE_0 src1_sel:DWORD
	v_mov_b32_e32 v11, 0
	s_and_saveexec_b64 s[26:27], s[28:29]
	s_cbranch_execz .LBB235_428
; %bb.425:                              ;   in Loop: Header=BB235_410 Depth=1
	v_bfe_u32 v5, v4, 16, 7
	v_mov_b32_e32 v10, 0x7f800001
	v_cmp_ne_u32_e32 vcc, s15, v5
	v_mov_b32_e32 v11, 0
	s_and_saveexec_b64 s[28:29], vcc
	s_cbranch_execz .LBB235_427
; %bb.426:                              ;   in Loop: Header=BB235_410 Depth=1
	v_and_b32_e32 v15, 7, v14
	v_ffbh_u32_e32 v10, v15
	v_min_u32_e32 v17, 32, v10
	v_subrev_u32_e32 v10, 28, v17
	v_lshlrev_b64 v[10:11], v10, v[14:15]
	v_lshrrev_b32_e32 v16, 3, v5
	v_sub_u32_e32 v11, 29, v17
	v_and_b32_e32 v10, 7, v10
	v_cmp_gt_u32_e32 vcc, 8, v5
	v_cndmask_b32_e32 v5, v16, v11, vcc
	v_cndmask_b32_e32 v10, v15, v10, vcc
	v_and_b32_sdwa v11, sext(v14), s13 dst_sel:DWORD dst_unused:UNUSED_PAD src0_sel:BYTE_0 src1_sel:DWORD
	v_bfrev_b32_e32 v14, 60
	v_lshlrev_b32_e32 v10, 20, v10
	v_lshl_add_u32 v5, v5, 23, v14
	v_or3_b32 v52, v11, v5, v10
	v_pk_mov_b32 v[10:11], v[52:53], v[52:53] op_sel:[0,1]
.LBB235_427:                            ;   in Loop: Header=BB235_410 Depth=1
	s_or_b64 exec, exec, s[28:29]
.LBB235_428:                            ;   in Loop: Header=BB235_410 Depth=1
	s_or_b64 exec, exec, s[26:27]
.LBB235_429:                            ;   in Loop: Header=BB235_410 Depth=1
	s_or_b64 exec, exec, s[4:5]
	v_cmp_lt_u32_e32 vcc, s34, v4
	s_and_saveexec_b64 s[4:5], vcc
	s_cbranch_execz .LBB235_435
; %bb.430:                              ;   in Loop: Header=BB235_410 Depth=1
	v_cmp_ne_u32_sdwa s[28:29], v4, s7 src0_sel:BYTE_3 src1_sel:DWORD
	v_pk_mov_b32 v[12:13], s[12:13], s[12:13] op_sel:[0,1]
	s_and_saveexec_b64 s[26:27], s[28:29]
	s_cbranch_execz .LBB235_434
; %bb.431:                              ;   in Loop: Header=BB235_410 Depth=1
	v_bfe_u32 v5, v4, 24, 7
	s_mov_b32 s22, s12
	v_cmp_ne_u32_e32 vcc, s15, v5
	v_pk_mov_b32 v[12:13], s[22:23], s[22:23] op_sel:[0,1]
	s_and_saveexec_b64 s[28:29], vcc
	s_cbranch_execz .LBB235_433
; %bb.432:                              ;   in Loop: Header=BB235_410 Depth=1
	v_mov_b32_e32 v12, 7
	v_and_b32_sdwa v52, v4, v12 dst_sel:DWORD dst_unused:UNUSED_PAD src0_sel:BYTE_3 src1_sel:DWORD
	v_ffbh_u32_e32 v12, v52
	v_min_u32_e32 v15, 32, v12
	v_subrev_u32_e32 v12, 28, v15
	v_lshlrev_b64 v[12:13], v12, v[52:53]
	v_lshrrev_b32_e32 v14, 3, v5
	v_sub_u32_e32 v13, 29, v15
	v_cmp_gt_u32_e32 vcc, 8, v5
	v_cndmask_b32_e32 v5, v14, v13, vcc
	v_mov_b32_e32 v13, 24
	v_and_b32_e32 v12, 7, v12
	v_lshlrev_b32_sdwa v4, v13, v4 dst_sel:DWORD dst_unused:UNUSED_PAD src0_sel:DWORD src1_sel:BYTE_3
	v_bfrev_b32_e32 v13, 60
	v_cndmask_b32_e32 v12, v52, v12, vcc
	v_lshl_add_u32 v5, v5, 23, v13
	v_and_or_b32 v4, v4, s13, v5
	v_lshlrev_b32_e32 v5, 20, v12
	v_or_b32_e32 v13, v4, v5
	v_mov_b32_e32 v12, v53
.LBB235_433:                            ;   in Loop: Header=BB235_410 Depth=1
	s_or_b64 exec, exec, s[28:29]
.LBB235_434:                            ;   in Loop: Header=BB235_410 Depth=1
	s_or_b64 exec, exec, s[26:27]
.LBB235_435:                            ;   in Loop: Header=BB235_410 Depth=1
	s_or_b64 exec, exec, s[4:5]
	v_accvgpr_read_b32 v4, a33
	v_add_u32_e32 v14, v4, v40
	v_accvgpr_read_b32 v4, a12
	v_accvgpr_read_b32 v5, a34
	v_cmp_eq_u32_e32 vcc, v5, v4
	v_or_b32_e32 v5, v9, v7
	v_or_b32_e32 v4, v8, v6
	v_pk_mul_f32 v[4:5], v[28:29], v[4:5] op_sel_hi:[0,1]
	v_accvgpr_write_b32 a4, v4
	v_accvgpr_write_b32 a5, v5
	v_or_b32_e32 v5, v13, v11
	v_or_b32_e32 v4, v12, v10
	v_pk_mul_f32 v[4:5], v[28:29], v[4:5] op_sel_hi:[0,1]
	v_accvgpr_write_b32 a7, v5
	v_accvgpr_write_b32 a6, v4
	v_add_u32_e32 v4, 1, v14
	v_accvgpr_write_b32 a37, v4
	v_add_u32_e32 v4, 2, v14
	v_accvgpr_write_b32 a35, v4
	v_add_u32_e32 v4, 3, v14
	v_accvgpr_write_b32 a10, v14
	v_accvgpr_write_b32 a11, v4
	s_and_saveexec_b64 s[26:27], vcc
	s_cbranch_execz .LBB235_437
; %bb.436:                              ;   in Loop: Header=BB235_410 Depth=1
	v_accvgpr_read_b32 v4, a10
	v_cmp_lt_i32_e64 s[4:5], v4, v62
	v_accvgpr_read_b32 v4, a4
	v_accvgpr_read_b32 v6, a37
	;; [unrolled: 1-line block ×3, first 2 shown]
	v_cndmask_b32_e64 v4, 0, v4, s[4:5]
	v_cmp_lt_i32_e64 s[4:5], v6, v62
	v_cndmask_b32_e64 v5, 0, v5, s[4:5]
	v_accvgpr_write_b32 a4, v4
	v_accvgpr_write_b32 a5, v5
	v_accvgpr_read_b32 v4, a35
	v_cmp_lt_i32_e64 s[4:5], v4, v62
	v_accvgpr_read_b32 v4, a6
	v_accvgpr_read_b32 v6, a11
	;; [unrolled: 1-line block ×3, first 2 shown]
	v_cndmask_b32_e64 v4, 0, v4, s[4:5]
	v_cmp_lt_i32_e64 s[4:5], v6, v62
	v_cndmask_b32_e64 v5, 0, v5, s[4:5]
	v_accvgpr_write_b32 a7, v5
	v_accvgpr_write_b32 a6, v4
.LBB235_437:                            ;   in Loop: Header=BB235_410 Depth=1
	s_or_b64 exec, exec, s[26:27]
	flat_load_dword v4, v[24:25] offset:256
	v_pk_mov_b32 v[8:9], 0, 0
	v_pk_mov_b32 v[6:7], v[8:9], v[8:9] op_sel:[0,1]
	s_waitcnt vmcnt(0) lgkmcnt(0)
	v_cmp_ne_u16_sdwa s[4:5], v4, v53 src0_sel:BYTE_0 src1_sel:DWORD
	s_and_saveexec_b64 s[26:27], s[4:5]
	s_cbranch_execz .LBB235_443
; %bb.438:                              ;   in Loop: Header=BB235_410 Depth=1
	v_bfrev_b32_e32 v6, 1
	v_cmp_ne_u16_sdwa s[4:5], v4, s7 src0_sel:BYTE_0 src1_sel:DWORD
	v_mov_b32_e32 v7, 0
	s_and_saveexec_b64 s[28:29], s[4:5]
	s_cbranch_execz .LBB235_442
; %bb.439:                              ;   in Loop: Header=BB235_410 Depth=1
	v_and_b32_e32 v5, 0x7f, v4
	v_mov_b32_e32 v6, 0x7f800001
	v_cmp_ne_u32_e64 s[4:5], s15, v5
	v_mov_b32_e32 v7, 0
	s_and_saveexec_b64 s[30:31], s[4:5]
	s_cbranch_execz .LBB235_441
; %bb.440:                              ;   in Loop: Header=BB235_410 Depth=1
	v_and_b32_e32 v10, 7, v4
	v_ffbh_u32_e32 v6, v10
	v_min_u32_e32 v12, 32, v6
	v_subrev_u32_e32 v6, 28, v12
	v_lshlrev_b64 v[6:7], v6, v[4:5]
	v_lshrrev_b32_e32 v11, 3, v5
	v_sub_u32_e32 v7, 29, v12
	v_and_b32_e32 v6, 7, v6
	v_cmp_gt_u32_e64 s[4:5], 8, v5
	v_cndmask_b32_e64 v5, v11, v7, s[4:5]
	v_cndmask_b32_e64 v6, v10, v6, s[4:5]
	v_bfrev_b32_e32 v10, 60
	v_lshlrev_b32_e32 v6, 20, v6
	v_and_b32_sdwa v7, sext(v4), s13 dst_sel:DWORD dst_unused:UNUSED_PAD src0_sel:BYTE_0 src1_sel:DWORD
	v_lshl_add_u32 v5, v5, 23, v10
	v_or3_b32 v52, v7, v5, v6
	v_pk_mov_b32 v[6:7], v[52:53], v[52:53] op_sel:[0,1]
.LBB235_441:                            ;   in Loop: Header=BB235_410 Depth=1
	s_or_b64 exec, exec, s[30:31]
.LBB235_442:                            ;   in Loop: Header=BB235_410 Depth=1
	s_or_b64 exec, exec, s[28:29]
.LBB235_443:                            ;   in Loop: Header=BB235_410 Depth=1
	s_or_b64 exec, exec, s[26:27]
	v_cmp_ne_u16_sdwa s[4:5], v4, v53 src0_sel:BYTE_1 src1_sel:DWORD
	s_and_saveexec_b64 s[26:27], s[4:5]
	s_cbranch_execz .LBB235_449
; %bb.444:                              ;   in Loop: Header=BB235_410 Depth=1
	v_cmp_ne_u16_sdwa s[4:5], v4, s7 src0_sel:BYTE_1 src1_sel:DWORD
	v_pk_mov_b32 v[8:9], s[12:13], s[12:13] op_sel:[0,1]
	s_and_saveexec_b64 s[28:29], s[4:5]
	s_cbranch_execz .LBB235_448
; %bb.445:                              ;   in Loop: Header=BB235_410 Depth=1
	v_and_b32_sdwa v5, v4, s15 dst_sel:DWORD dst_unused:UNUSED_PAD src0_sel:BYTE_1 src1_sel:DWORD
	s_mov_b32 s22, s12
	v_cmp_ne_u32_e64 s[4:5], s15, v5
	v_pk_mov_b32 v[8:9], s[22:23], s[22:23] op_sel:[0,1]
	s_and_saveexec_b64 s[30:31], s[4:5]
	s_cbranch_execz .LBB235_447
; %bb.446:                              ;   in Loop: Header=BB235_410 Depth=1
	v_mov_b32_e32 v8, 7
	v_and_b32_sdwa v52, v4, v8 dst_sel:DWORD dst_unused:UNUSED_PAD src0_sel:BYTE_1 src1_sel:DWORD
	v_ffbh_u32_e32 v8, v52
	v_min_u32_e32 v11, 32, v8
	v_subrev_u32_e32 v8, 28, v11
	v_lshlrev_b64 v[8:9], v8, v[52:53]
	v_lshrrev_b32_e32 v10, 3, v5
	v_sub_u32_e32 v9, 29, v11
	v_cmp_gt_u32_e64 s[4:5], 8, v5
	v_and_b32_e32 v8, 7, v8
	v_cndmask_b32_e64 v5, v10, v9, s[4:5]
	v_bfrev_b32_e32 v10, 60
	v_cndmask_b32_e64 v8, v52, v8, s[4:5]
	v_lshlrev_b32_e32 v9, 16, v4
	v_lshl_add_u32 v5, v5, 23, v10
	v_and_or_b32 v5, v9, s13, v5
	v_lshlrev_b32_e32 v8, 20, v8
	v_or_b32_e32 v9, v5, v8
	v_mov_b32_e32 v8, v53
.LBB235_447:                            ;   in Loop: Header=BB235_410 Depth=1
	s_or_b64 exec, exec, s[30:31]
.LBB235_448:                            ;   in Loop: Header=BB235_410 Depth=1
	s_or_b64 exec, exec, s[28:29]
.LBB235_449:                            ;   in Loop: Header=BB235_410 Depth=1
	s_or_b64 exec, exec, s[26:27]
	v_lshrrev_b32_e32 v14, 16, v4
	v_pk_mov_b32 v[12:13], 0, 0
	v_cmp_ne_u16_sdwa s[4:5], v14, v53 src0_sel:BYTE_0 src1_sel:DWORD
	v_pk_mov_b32 v[10:11], v[12:13], v[12:13] op_sel:[0,1]
	s_and_saveexec_b64 s[26:27], s[4:5]
	s_cbranch_execz .LBB235_455
; %bb.450:                              ;   in Loop: Header=BB235_410 Depth=1
	v_bfrev_b32_e32 v10, 1
	v_cmp_ne_u16_sdwa s[4:5], v14, s7 src0_sel:BYTE_0 src1_sel:DWORD
	v_mov_b32_e32 v11, 0
	s_and_saveexec_b64 s[28:29], s[4:5]
	s_cbranch_execz .LBB235_454
; %bb.451:                              ;   in Loop: Header=BB235_410 Depth=1
	v_bfe_u32 v5, v4, 16, 7
	v_mov_b32_e32 v10, 0x7f800001
	v_cmp_ne_u32_e64 s[4:5], s15, v5
	v_mov_b32_e32 v11, 0
	s_and_saveexec_b64 s[30:31], s[4:5]
	s_cbranch_execz .LBB235_453
; %bb.452:                              ;   in Loop: Header=BB235_410 Depth=1
	v_and_b32_e32 v15, 7, v14
	v_ffbh_u32_e32 v10, v15
	v_min_u32_e32 v17, 32, v10
	v_subrev_u32_e32 v10, 28, v17
	v_lshlrev_b64 v[10:11], v10, v[14:15]
	v_lshrrev_b32_e32 v16, 3, v5
	v_sub_u32_e32 v11, 29, v17
	v_and_b32_e32 v10, 7, v10
	v_cmp_gt_u32_e64 s[4:5], 8, v5
	v_cndmask_b32_e64 v5, v16, v11, s[4:5]
	v_cndmask_b32_e64 v10, v15, v10, s[4:5]
	v_and_b32_sdwa v11, sext(v14), s13 dst_sel:DWORD dst_unused:UNUSED_PAD src0_sel:BYTE_0 src1_sel:DWORD
	v_bfrev_b32_e32 v14, 60
	v_lshlrev_b32_e32 v10, 20, v10
	v_lshl_add_u32 v5, v5, 23, v14
	v_or3_b32 v52, v11, v5, v10
	v_pk_mov_b32 v[10:11], v[52:53], v[52:53] op_sel:[0,1]
.LBB235_453:                            ;   in Loop: Header=BB235_410 Depth=1
	s_or_b64 exec, exec, s[30:31]
.LBB235_454:                            ;   in Loop: Header=BB235_410 Depth=1
	s_or_b64 exec, exec, s[28:29]
.LBB235_455:                            ;   in Loop: Header=BB235_410 Depth=1
	s_or_b64 exec, exec, s[26:27]
	v_cmp_lt_u32_e64 s[4:5], s34, v4
	s_and_saveexec_b64 s[26:27], s[4:5]
	s_cbranch_execz .LBB235_461
; %bb.456:                              ;   in Loop: Header=BB235_410 Depth=1
	v_cmp_ne_u32_sdwa s[4:5], v4, s7 src0_sel:BYTE_3 src1_sel:DWORD
	v_pk_mov_b32 v[12:13], s[12:13], s[12:13] op_sel:[0,1]
	s_and_saveexec_b64 s[28:29], s[4:5]
	s_cbranch_execz .LBB235_460
; %bb.457:                              ;   in Loop: Header=BB235_410 Depth=1
	v_bfe_u32 v5, v4, 24, 7
	s_mov_b32 s22, s12
	v_cmp_ne_u32_e64 s[4:5], s15, v5
	v_pk_mov_b32 v[12:13], s[22:23], s[22:23] op_sel:[0,1]
	s_and_saveexec_b64 s[30:31], s[4:5]
	s_cbranch_execz .LBB235_459
; %bb.458:                              ;   in Loop: Header=BB235_410 Depth=1
	v_mov_b32_e32 v12, 7
	v_and_b32_sdwa v52, v4, v12 dst_sel:DWORD dst_unused:UNUSED_PAD src0_sel:BYTE_3 src1_sel:DWORD
	v_ffbh_u32_e32 v12, v52
	v_min_u32_e32 v15, 32, v12
	v_subrev_u32_e32 v12, 28, v15
	v_lshlrev_b64 v[12:13], v12, v[52:53]
	v_lshrrev_b32_e32 v14, 3, v5
	v_sub_u32_e32 v13, 29, v15
	v_cmp_gt_u32_e64 s[4:5], 8, v5
	v_cndmask_b32_e64 v5, v14, v13, s[4:5]
	v_mov_b32_e32 v13, 24
	v_and_b32_e32 v12, 7, v12
	v_lshlrev_b32_sdwa v4, v13, v4 dst_sel:DWORD dst_unused:UNUSED_PAD src0_sel:DWORD src1_sel:BYTE_3
	v_bfrev_b32_e32 v13, 60
	v_cndmask_b32_e64 v12, v52, v12, s[4:5]
	v_lshl_add_u32 v5, v5, 23, v13
	v_and_or_b32 v4, v4, s13, v5
	v_lshlrev_b32_e32 v5, 20, v12
	v_or_b32_e32 v13, v4, v5
	v_mov_b32_e32 v12, v53
.LBB235_459:                            ;   in Loop: Header=BB235_410 Depth=1
	s_or_b64 exec, exec, s[30:31]
.LBB235_460:                            ;   in Loop: Header=BB235_410 Depth=1
	s_or_b64 exec, exec, s[28:29]
.LBB235_461:                            ;   in Loop: Header=BB235_410 Depth=1
	s_or_b64 exec, exec, s[26:27]
	v_mov_b32_e32 v29, v28
	v_or_b32_e32 v5, v9, v7
	v_or_b32_e32 v4, v8, v6
	v_pk_mul_f32 v[4:5], v[28:29], v[4:5]
	v_accvgpr_write_b32 a41, v5
	v_accvgpr_write_b32 a40, v4
	v_or_b32_e32 v5, v13, v11
	v_or_b32_e32 v4, v12, v10
	v_pk_mul_f32 v[4:5], v[28:29], v[4:5]
	v_accvgpr_write_b32 a43, v5
	v_accvgpr_write_b32 a42, v4
	s_and_saveexec_b64 s[26:27], vcc
	s_cbranch_execz .LBB235_463
; %bb.462:                              ;   in Loop: Header=BB235_410 Depth=1
	v_accvgpr_read_b32 v4, a10
	v_cmp_lt_i32_e64 s[4:5], v4, v62
	v_accvgpr_read_b32 v6, a40
	v_accvgpr_read_b32 v4, a37
	;; [unrolled: 1-line block ×3, first 2 shown]
	v_cndmask_b32_e64 v6, 0, v6, s[4:5]
	v_cmp_lt_i32_e64 s[4:5], v4, v62
	v_cndmask_b32_e64 v7, 0, v7, s[4:5]
	v_accvgpr_write_b32 a41, v7
	v_accvgpr_read_b32 v4, a35
	v_accvgpr_write_b32 a40, v6
	v_cmp_lt_i32_e64 s[4:5], v4, v62
	v_accvgpr_read_b32 v6, a42
	v_accvgpr_read_b32 v4, a11
	;; [unrolled: 1-line block ×3, first 2 shown]
	v_cndmask_b32_e64 v6, 0, v6, s[4:5]
	v_cmp_lt_i32_e64 s[4:5], v4, v62
	v_cndmask_b32_e64 v7, 0, v7, s[4:5]
	v_accvgpr_write_b32 a43, v7
	v_accvgpr_write_b32 a42, v6
.LBB235_463:                            ;   in Loop: Header=BB235_410 Depth=1
	s_or_b64 exec, exec, s[26:27]
	flat_load_dword v4, v[24:25] offset:512
	v_pk_mov_b32 v[8:9], 0, 0
	v_pk_mov_b32 v[6:7], v[8:9], v[8:9] op_sel:[0,1]
	s_waitcnt vmcnt(0) lgkmcnt(0)
	v_cmp_ne_u16_sdwa s[4:5], v4, v53 src0_sel:BYTE_0 src1_sel:DWORD
	s_and_saveexec_b64 s[26:27], s[4:5]
	s_cbranch_execz .LBB235_469
; %bb.464:                              ;   in Loop: Header=BB235_410 Depth=1
	v_bfrev_b32_e32 v6, 1
	v_cmp_ne_u16_sdwa s[4:5], v4, s7 src0_sel:BYTE_0 src1_sel:DWORD
	v_mov_b32_e32 v7, 0
	s_and_saveexec_b64 s[28:29], s[4:5]
	s_cbranch_execz .LBB235_468
; %bb.465:                              ;   in Loop: Header=BB235_410 Depth=1
	v_and_b32_e32 v5, 0x7f, v4
	v_mov_b32_e32 v6, 0x7f800001
	v_cmp_ne_u32_e64 s[4:5], s15, v5
	v_mov_b32_e32 v7, 0
	s_and_saveexec_b64 s[30:31], s[4:5]
	s_cbranch_execz .LBB235_467
; %bb.466:                              ;   in Loop: Header=BB235_410 Depth=1
	v_and_b32_e32 v10, 7, v4
	v_ffbh_u32_e32 v6, v10
	v_min_u32_e32 v12, 32, v6
	v_subrev_u32_e32 v6, 28, v12
	v_lshlrev_b64 v[6:7], v6, v[4:5]
	v_lshrrev_b32_e32 v11, 3, v5
	v_sub_u32_e32 v7, 29, v12
	v_and_b32_e32 v6, 7, v6
	v_cmp_gt_u32_e64 s[4:5], 8, v5
	v_cndmask_b32_e64 v5, v11, v7, s[4:5]
	v_cndmask_b32_e64 v6, v10, v6, s[4:5]
	v_bfrev_b32_e32 v10, 60
	v_lshlrev_b32_e32 v6, 20, v6
	v_and_b32_sdwa v7, sext(v4), s13 dst_sel:DWORD dst_unused:UNUSED_PAD src0_sel:BYTE_0 src1_sel:DWORD
	v_lshl_add_u32 v5, v5, 23, v10
	v_or3_b32 v52, v7, v5, v6
	v_pk_mov_b32 v[6:7], v[52:53], v[52:53] op_sel:[0,1]
.LBB235_467:                            ;   in Loop: Header=BB235_410 Depth=1
	s_or_b64 exec, exec, s[30:31]
.LBB235_468:                            ;   in Loop: Header=BB235_410 Depth=1
	s_or_b64 exec, exec, s[28:29]
.LBB235_469:                            ;   in Loop: Header=BB235_410 Depth=1
	s_or_b64 exec, exec, s[26:27]
	v_cmp_ne_u16_sdwa s[4:5], v4, v53 src0_sel:BYTE_1 src1_sel:DWORD
	s_and_saveexec_b64 s[26:27], s[4:5]
	s_cbranch_execz .LBB235_475
; %bb.470:                              ;   in Loop: Header=BB235_410 Depth=1
	v_cmp_ne_u16_sdwa s[4:5], v4, s7 src0_sel:BYTE_1 src1_sel:DWORD
	v_pk_mov_b32 v[8:9], s[12:13], s[12:13] op_sel:[0,1]
	s_and_saveexec_b64 s[28:29], s[4:5]
	s_cbranch_execz .LBB235_474
; %bb.471:                              ;   in Loop: Header=BB235_410 Depth=1
	v_and_b32_sdwa v5, v4, s15 dst_sel:DWORD dst_unused:UNUSED_PAD src0_sel:BYTE_1 src1_sel:DWORD
	s_mov_b32 s22, s12
	v_cmp_ne_u32_e64 s[4:5], s15, v5
	v_pk_mov_b32 v[8:9], s[22:23], s[22:23] op_sel:[0,1]
	s_and_saveexec_b64 s[30:31], s[4:5]
	s_cbranch_execz .LBB235_473
; %bb.472:                              ;   in Loop: Header=BB235_410 Depth=1
	v_mov_b32_e32 v8, 7
	v_and_b32_sdwa v52, v4, v8 dst_sel:DWORD dst_unused:UNUSED_PAD src0_sel:BYTE_1 src1_sel:DWORD
	v_ffbh_u32_e32 v8, v52
	v_min_u32_e32 v11, 32, v8
	v_subrev_u32_e32 v8, 28, v11
	v_lshlrev_b64 v[8:9], v8, v[52:53]
	v_lshrrev_b32_e32 v10, 3, v5
	v_sub_u32_e32 v9, 29, v11
	v_cmp_gt_u32_e64 s[4:5], 8, v5
	v_and_b32_e32 v8, 7, v8
	v_cndmask_b32_e64 v5, v10, v9, s[4:5]
	v_bfrev_b32_e32 v10, 60
	v_cndmask_b32_e64 v8, v52, v8, s[4:5]
	v_lshlrev_b32_e32 v9, 16, v4
	v_lshl_add_u32 v5, v5, 23, v10
	v_and_or_b32 v5, v9, s13, v5
	v_lshlrev_b32_e32 v8, 20, v8
	v_or_b32_e32 v9, v5, v8
	v_mov_b32_e32 v8, v53
.LBB235_473:                            ;   in Loop: Header=BB235_410 Depth=1
	s_or_b64 exec, exec, s[30:31]
.LBB235_474:                            ;   in Loop: Header=BB235_410 Depth=1
	s_or_b64 exec, exec, s[28:29]
.LBB235_475:                            ;   in Loop: Header=BB235_410 Depth=1
	s_or_b64 exec, exec, s[26:27]
	v_lshrrev_b32_e32 v14, 16, v4
	v_pk_mov_b32 v[12:13], 0, 0
	v_cmp_ne_u16_sdwa s[4:5], v14, v53 src0_sel:BYTE_0 src1_sel:DWORD
	v_pk_mov_b32 v[10:11], v[12:13], v[12:13] op_sel:[0,1]
	s_and_saveexec_b64 s[26:27], s[4:5]
	s_cbranch_execz .LBB235_481
; %bb.476:                              ;   in Loop: Header=BB235_410 Depth=1
	v_bfrev_b32_e32 v10, 1
	v_cmp_ne_u16_sdwa s[4:5], v14, s7 src0_sel:BYTE_0 src1_sel:DWORD
	v_mov_b32_e32 v11, 0
	s_and_saveexec_b64 s[28:29], s[4:5]
	s_cbranch_execz .LBB235_480
; %bb.477:                              ;   in Loop: Header=BB235_410 Depth=1
	v_bfe_u32 v5, v4, 16, 7
	v_mov_b32_e32 v10, 0x7f800001
	v_cmp_ne_u32_e64 s[4:5], s15, v5
	v_mov_b32_e32 v11, 0
	s_and_saveexec_b64 s[30:31], s[4:5]
	s_cbranch_execz .LBB235_479
; %bb.478:                              ;   in Loop: Header=BB235_410 Depth=1
	v_and_b32_e32 v15, 7, v14
	v_ffbh_u32_e32 v10, v15
	v_min_u32_e32 v17, 32, v10
	v_subrev_u32_e32 v10, 28, v17
	v_lshlrev_b64 v[10:11], v10, v[14:15]
	v_lshrrev_b32_e32 v16, 3, v5
	v_sub_u32_e32 v11, 29, v17
	v_and_b32_e32 v10, 7, v10
	v_cmp_gt_u32_e64 s[4:5], 8, v5
	v_cndmask_b32_e64 v5, v16, v11, s[4:5]
	v_cndmask_b32_e64 v10, v15, v10, s[4:5]
	v_and_b32_sdwa v11, sext(v14), s13 dst_sel:DWORD dst_unused:UNUSED_PAD src0_sel:BYTE_0 src1_sel:DWORD
	v_bfrev_b32_e32 v14, 60
	v_lshlrev_b32_e32 v10, 20, v10
	v_lshl_add_u32 v5, v5, 23, v14
	v_or3_b32 v52, v11, v5, v10
	v_pk_mov_b32 v[10:11], v[52:53], v[52:53] op_sel:[0,1]
.LBB235_479:                            ;   in Loop: Header=BB235_410 Depth=1
	s_or_b64 exec, exec, s[30:31]
.LBB235_480:                            ;   in Loop: Header=BB235_410 Depth=1
	s_or_b64 exec, exec, s[28:29]
.LBB235_481:                            ;   in Loop: Header=BB235_410 Depth=1
	s_or_b64 exec, exec, s[26:27]
	v_cmp_lt_u32_e64 s[4:5], s34, v4
	s_and_saveexec_b64 s[26:27], s[4:5]
	s_cbranch_execz .LBB235_487
; %bb.482:                              ;   in Loop: Header=BB235_410 Depth=1
	v_cmp_ne_u32_sdwa s[4:5], v4, s7 src0_sel:BYTE_3 src1_sel:DWORD
	v_pk_mov_b32 v[12:13], s[12:13], s[12:13] op_sel:[0,1]
	s_and_saveexec_b64 s[28:29], s[4:5]
	s_cbranch_execz .LBB235_486
; %bb.483:                              ;   in Loop: Header=BB235_410 Depth=1
	v_bfe_u32 v5, v4, 24, 7
	s_mov_b32 s22, s12
	v_cmp_ne_u32_e64 s[4:5], s15, v5
	v_pk_mov_b32 v[12:13], s[22:23], s[22:23] op_sel:[0,1]
	s_and_saveexec_b64 s[30:31], s[4:5]
	s_cbranch_execz .LBB235_485
; %bb.484:                              ;   in Loop: Header=BB235_410 Depth=1
	v_mov_b32_e32 v12, 7
	v_and_b32_sdwa v52, v4, v12 dst_sel:DWORD dst_unused:UNUSED_PAD src0_sel:BYTE_3 src1_sel:DWORD
	v_ffbh_u32_e32 v12, v52
	v_min_u32_e32 v15, 32, v12
	v_subrev_u32_e32 v12, 28, v15
	v_lshlrev_b64 v[12:13], v12, v[52:53]
	v_lshrrev_b32_e32 v14, 3, v5
	v_sub_u32_e32 v13, 29, v15
	v_cmp_gt_u32_e64 s[4:5], 8, v5
	v_cndmask_b32_e64 v5, v14, v13, s[4:5]
	v_mov_b32_e32 v13, 24
	v_and_b32_e32 v12, 7, v12
	v_lshlrev_b32_sdwa v4, v13, v4 dst_sel:DWORD dst_unused:UNUSED_PAD src0_sel:DWORD src1_sel:BYTE_3
	v_bfrev_b32_e32 v13, 60
	v_cndmask_b32_e64 v12, v52, v12, s[4:5]
	v_lshl_add_u32 v5, v5, 23, v13
	v_and_or_b32 v4, v4, s13, v5
	v_lshlrev_b32_e32 v5, 20, v12
	v_or_b32_e32 v13, v4, v5
	v_mov_b32_e32 v12, v53
.LBB235_485:                            ;   in Loop: Header=BB235_410 Depth=1
	s_or_b64 exec, exec, s[30:31]
.LBB235_486:                            ;   in Loop: Header=BB235_410 Depth=1
	s_or_b64 exec, exec, s[28:29]
.LBB235_487:                            ;   in Loop: Header=BB235_410 Depth=1
	s_or_b64 exec, exec, s[26:27]
	v_or_b32_e32 v5, v9, v7
	v_or_b32_e32 v4, v8, v6
	v_pk_mul_f32 v[4:5], v[28:29], v[4:5]
	v_accvgpr_write_b32 a15, v5
	v_accvgpr_write_b32 a14, v4
	v_or_b32_e32 v5, v13, v11
	v_or_b32_e32 v4, v12, v10
	v_pk_mul_f32 v[4:5], v[28:29], v[4:5]
	v_accvgpr_write_b32 a45, v5
	v_accvgpr_write_b32 a44, v4
	s_and_saveexec_b64 s[26:27], vcc
	s_cbranch_execz .LBB235_489
; %bb.488:                              ;   in Loop: Header=BB235_410 Depth=1
	v_accvgpr_read_b32 v4, a10
	v_cmp_lt_i32_e64 s[4:5], v4, v62
	v_accvgpr_read_b32 v6, a14
	v_accvgpr_read_b32 v4, a37
	;; [unrolled: 1-line block ×3, first 2 shown]
	v_cndmask_b32_e64 v6, 0, v6, s[4:5]
	v_cmp_lt_i32_e64 s[4:5], v4, v62
	v_cndmask_b32_e64 v7, 0, v7, s[4:5]
	v_accvgpr_write_b32 a15, v7
	v_accvgpr_read_b32 v4, a35
	v_accvgpr_write_b32 a14, v6
	v_cmp_lt_i32_e64 s[4:5], v4, v62
	v_accvgpr_read_b32 v6, a44
	v_accvgpr_read_b32 v4, a11
	;; [unrolled: 1-line block ×3, first 2 shown]
	v_cndmask_b32_e64 v6, 0, v6, s[4:5]
	v_cmp_lt_i32_e64 s[4:5], v4, v62
	v_cndmask_b32_e64 v7, 0, v7, s[4:5]
	v_accvgpr_write_b32 a45, v7
	v_accvgpr_write_b32 a44, v6
.LBB235_489:                            ;   in Loop: Header=BB235_410 Depth=1
	s_or_b64 exec, exec, s[26:27]
	flat_load_dword v4, v[24:25] offset:768
	v_pk_mov_b32 v[8:9], 0, 0
	v_pk_mov_b32 v[6:7], v[8:9], v[8:9] op_sel:[0,1]
	s_waitcnt vmcnt(0) lgkmcnt(0)
	v_cmp_ne_u16_sdwa s[4:5], v4, v53 src0_sel:BYTE_0 src1_sel:DWORD
	s_and_saveexec_b64 s[26:27], s[4:5]
	s_cbranch_execz .LBB235_495
; %bb.490:                              ;   in Loop: Header=BB235_410 Depth=1
	v_bfrev_b32_e32 v6, 1
	v_cmp_ne_u16_sdwa s[4:5], v4, s7 src0_sel:BYTE_0 src1_sel:DWORD
	v_mov_b32_e32 v7, 0
	s_and_saveexec_b64 s[28:29], s[4:5]
	s_cbranch_execz .LBB235_494
; %bb.491:                              ;   in Loop: Header=BB235_410 Depth=1
	v_and_b32_e32 v5, 0x7f, v4
	v_mov_b32_e32 v6, 0x7f800001
	v_cmp_ne_u32_e64 s[4:5], s15, v5
	v_mov_b32_e32 v7, 0
	s_and_saveexec_b64 s[30:31], s[4:5]
	s_cbranch_execz .LBB235_493
; %bb.492:                              ;   in Loop: Header=BB235_410 Depth=1
	v_and_b32_e32 v10, 7, v4
	v_ffbh_u32_e32 v6, v10
	v_min_u32_e32 v12, 32, v6
	v_subrev_u32_e32 v6, 28, v12
	v_lshlrev_b64 v[6:7], v6, v[4:5]
	v_lshrrev_b32_e32 v11, 3, v5
	v_sub_u32_e32 v7, 29, v12
	v_and_b32_e32 v6, 7, v6
	v_cmp_gt_u32_e64 s[4:5], 8, v5
	v_cndmask_b32_e64 v5, v11, v7, s[4:5]
	v_cndmask_b32_e64 v6, v10, v6, s[4:5]
	v_bfrev_b32_e32 v10, 60
	v_lshlrev_b32_e32 v6, 20, v6
	v_and_b32_sdwa v7, sext(v4), s13 dst_sel:DWORD dst_unused:UNUSED_PAD src0_sel:BYTE_0 src1_sel:DWORD
	v_lshl_add_u32 v5, v5, 23, v10
	v_or3_b32 v52, v7, v5, v6
	v_pk_mov_b32 v[6:7], v[52:53], v[52:53] op_sel:[0,1]
.LBB235_493:                            ;   in Loop: Header=BB235_410 Depth=1
	s_or_b64 exec, exec, s[30:31]
.LBB235_494:                            ;   in Loop: Header=BB235_410 Depth=1
	s_or_b64 exec, exec, s[28:29]
.LBB235_495:                            ;   in Loop: Header=BB235_410 Depth=1
	s_or_b64 exec, exec, s[26:27]
	v_cmp_ne_u16_sdwa s[4:5], v4, v53 src0_sel:BYTE_1 src1_sel:DWORD
	s_and_saveexec_b64 s[26:27], s[4:5]
	s_cbranch_execz .LBB235_501
; %bb.496:                              ;   in Loop: Header=BB235_410 Depth=1
	v_cmp_ne_u16_sdwa s[4:5], v4, s7 src0_sel:BYTE_1 src1_sel:DWORD
	v_pk_mov_b32 v[8:9], s[12:13], s[12:13] op_sel:[0,1]
	s_and_saveexec_b64 s[28:29], s[4:5]
	s_cbranch_execz .LBB235_500
; %bb.497:                              ;   in Loop: Header=BB235_410 Depth=1
	v_and_b32_sdwa v5, v4, s15 dst_sel:DWORD dst_unused:UNUSED_PAD src0_sel:BYTE_1 src1_sel:DWORD
	s_mov_b32 s22, s12
	v_cmp_ne_u32_e64 s[4:5], s15, v5
	v_pk_mov_b32 v[8:9], s[22:23], s[22:23] op_sel:[0,1]
	s_and_saveexec_b64 s[30:31], s[4:5]
	s_cbranch_execz .LBB235_499
; %bb.498:                              ;   in Loop: Header=BB235_410 Depth=1
	v_mov_b32_e32 v8, 7
	v_and_b32_sdwa v52, v4, v8 dst_sel:DWORD dst_unused:UNUSED_PAD src0_sel:BYTE_1 src1_sel:DWORD
	v_ffbh_u32_e32 v8, v52
	v_min_u32_e32 v11, 32, v8
	v_subrev_u32_e32 v8, 28, v11
	v_lshlrev_b64 v[8:9], v8, v[52:53]
	v_lshrrev_b32_e32 v10, 3, v5
	v_sub_u32_e32 v9, 29, v11
	v_cmp_gt_u32_e64 s[4:5], 8, v5
	v_and_b32_e32 v8, 7, v8
	v_cndmask_b32_e64 v5, v10, v9, s[4:5]
	v_bfrev_b32_e32 v10, 60
	v_cndmask_b32_e64 v8, v52, v8, s[4:5]
	v_lshlrev_b32_e32 v9, 16, v4
	v_lshl_add_u32 v5, v5, 23, v10
	v_and_or_b32 v5, v9, s13, v5
	v_lshlrev_b32_e32 v8, 20, v8
	v_or_b32_e32 v9, v5, v8
	v_mov_b32_e32 v8, v53
.LBB235_499:                            ;   in Loop: Header=BB235_410 Depth=1
	s_or_b64 exec, exec, s[30:31]
.LBB235_500:                            ;   in Loop: Header=BB235_410 Depth=1
	s_or_b64 exec, exec, s[28:29]
.LBB235_501:                            ;   in Loop: Header=BB235_410 Depth=1
	s_or_b64 exec, exec, s[26:27]
	v_lshrrev_b32_e32 v14, 16, v4
	v_pk_mov_b32 v[12:13], 0, 0
	v_cmp_ne_u16_sdwa s[4:5], v14, v53 src0_sel:BYTE_0 src1_sel:DWORD
	v_pk_mov_b32 v[10:11], v[12:13], v[12:13] op_sel:[0,1]
	s_and_saveexec_b64 s[26:27], s[4:5]
	s_cbranch_execz .LBB235_507
; %bb.502:                              ;   in Loop: Header=BB235_410 Depth=1
	v_bfrev_b32_e32 v10, 1
	v_cmp_ne_u16_sdwa s[4:5], v14, s7 src0_sel:BYTE_0 src1_sel:DWORD
	v_mov_b32_e32 v11, 0
	s_and_saveexec_b64 s[28:29], s[4:5]
	s_cbranch_execz .LBB235_506
; %bb.503:                              ;   in Loop: Header=BB235_410 Depth=1
	v_bfe_u32 v5, v4, 16, 7
	v_mov_b32_e32 v10, 0x7f800001
	v_cmp_ne_u32_e64 s[4:5], s15, v5
	v_mov_b32_e32 v11, 0
	s_and_saveexec_b64 s[30:31], s[4:5]
	s_cbranch_execz .LBB235_505
; %bb.504:                              ;   in Loop: Header=BB235_410 Depth=1
	v_and_b32_e32 v15, 7, v14
	v_ffbh_u32_e32 v10, v15
	v_min_u32_e32 v17, 32, v10
	v_subrev_u32_e32 v10, 28, v17
	v_lshlrev_b64 v[10:11], v10, v[14:15]
	v_lshrrev_b32_e32 v16, 3, v5
	v_sub_u32_e32 v11, 29, v17
	v_and_b32_e32 v10, 7, v10
	v_cmp_gt_u32_e64 s[4:5], 8, v5
	v_cndmask_b32_e64 v5, v16, v11, s[4:5]
	v_cndmask_b32_e64 v10, v15, v10, s[4:5]
	v_and_b32_sdwa v11, sext(v14), s13 dst_sel:DWORD dst_unused:UNUSED_PAD src0_sel:BYTE_0 src1_sel:DWORD
	v_bfrev_b32_e32 v14, 60
	v_lshlrev_b32_e32 v10, 20, v10
	v_lshl_add_u32 v5, v5, 23, v14
	v_or3_b32 v52, v11, v5, v10
	v_pk_mov_b32 v[10:11], v[52:53], v[52:53] op_sel:[0,1]
.LBB235_505:                            ;   in Loop: Header=BB235_410 Depth=1
	s_or_b64 exec, exec, s[30:31]
.LBB235_506:                            ;   in Loop: Header=BB235_410 Depth=1
	s_or_b64 exec, exec, s[28:29]
.LBB235_507:                            ;   in Loop: Header=BB235_410 Depth=1
	s_or_b64 exec, exec, s[26:27]
	v_cmp_lt_u32_e64 s[4:5], s34, v4
	s_and_saveexec_b64 s[26:27], s[4:5]
	s_cbranch_execz .LBB235_513
; %bb.508:                              ;   in Loop: Header=BB235_410 Depth=1
	v_cmp_ne_u32_sdwa s[4:5], v4, s7 src0_sel:BYTE_3 src1_sel:DWORD
	v_pk_mov_b32 v[12:13], s[12:13], s[12:13] op_sel:[0,1]
	s_and_saveexec_b64 s[28:29], s[4:5]
	s_cbranch_execz .LBB235_512
; %bb.509:                              ;   in Loop: Header=BB235_410 Depth=1
	v_bfe_u32 v5, v4, 24, 7
	s_mov_b32 s22, s12
	v_cmp_ne_u32_e64 s[4:5], s15, v5
	v_pk_mov_b32 v[12:13], s[22:23], s[22:23] op_sel:[0,1]
	s_and_saveexec_b64 s[30:31], s[4:5]
	s_cbranch_execz .LBB235_511
; %bb.510:                              ;   in Loop: Header=BB235_410 Depth=1
	v_mov_b32_e32 v12, 7
	v_and_b32_sdwa v52, v4, v12 dst_sel:DWORD dst_unused:UNUSED_PAD src0_sel:BYTE_3 src1_sel:DWORD
	v_ffbh_u32_e32 v12, v52
	v_min_u32_e32 v15, 32, v12
	v_subrev_u32_e32 v12, 28, v15
	v_lshlrev_b64 v[12:13], v12, v[52:53]
	v_lshrrev_b32_e32 v14, 3, v5
	v_sub_u32_e32 v13, 29, v15
	v_cmp_gt_u32_e64 s[4:5], 8, v5
	v_cndmask_b32_e64 v5, v14, v13, s[4:5]
	v_mov_b32_e32 v13, 24
	v_and_b32_e32 v12, 7, v12
	v_lshlrev_b32_sdwa v4, v13, v4 dst_sel:DWORD dst_unused:UNUSED_PAD src0_sel:DWORD src1_sel:BYTE_3
	v_bfrev_b32_e32 v13, 60
	v_cndmask_b32_e64 v12, v52, v12, s[4:5]
	v_lshl_add_u32 v5, v5, 23, v13
	v_and_or_b32 v4, v4, s13, v5
	v_lshlrev_b32_e32 v5, 20, v12
	v_or_b32_e32 v13, v4, v5
	v_mov_b32_e32 v12, v53
.LBB235_511:                            ;   in Loop: Header=BB235_410 Depth=1
	s_or_b64 exec, exec, s[30:31]
.LBB235_512:                            ;   in Loop: Header=BB235_410 Depth=1
	s_or_b64 exec, exec, s[28:29]
.LBB235_513:                            ;   in Loop: Header=BB235_410 Depth=1
	s_or_b64 exec, exec, s[26:27]
	v_or_b32_e32 v5, v9, v7
	v_or_b32_e32 v4, v8, v6
	v_pk_mul_f32 v[4:5], v[28:29], v[4:5]
	v_accvgpr_write_b32 a47, v5
	v_accvgpr_write_b32 a46, v4
	v_or_b32_e32 v5, v13, v11
	v_or_b32_e32 v4, v12, v10
	v_pk_mul_f32 v[4:5], v[28:29], v[4:5]
	v_accvgpr_write_b32 a49, v5
	v_accvgpr_write_b32 a48, v4
	s_and_saveexec_b64 s[26:27], vcc
	s_cbranch_execz .LBB235_515
; %bb.514:                              ;   in Loop: Header=BB235_410 Depth=1
	v_accvgpr_read_b32 v4, a10
	v_cmp_lt_i32_e64 s[4:5], v4, v62
	v_accvgpr_read_b32 v6, a46
	v_accvgpr_read_b32 v4, a37
	;; [unrolled: 1-line block ×3, first 2 shown]
	v_cndmask_b32_e64 v6, 0, v6, s[4:5]
	v_cmp_lt_i32_e64 s[4:5], v4, v62
	v_cndmask_b32_e64 v7, 0, v7, s[4:5]
	v_accvgpr_write_b32 a47, v7
	v_accvgpr_read_b32 v4, a35
	v_accvgpr_write_b32 a46, v6
	v_cmp_lt_i32_e64 s[4:5], v4, v62
	v_accvgpr_read_b32 v6, a48
	v_accvgpr_read_b32 v4, a11
	v_accvgpr_read_b32 v7, a49
	v_cndmask_b32_e64 v6, 0, v6, s[4:5]
	v_cmp_lt_i32_e64 s[4:5], v4, v62
	v_cndmask_b32_e64 v7, 0, v7, s[4:5]
	v_accvgpr_write_b32 a49, v7
	v_accvgpr_write_b32 a48, v6
.LBB235_515:                            ;   in Loop: Header=BB235_410 Depth=1
	s_or_b64 exec, exec, s[26:27]
	flat_load_dword v4, v[24:25] offset:1024
	v_pk_mov_b32 v[8:9], 0, 0
	v_pk_mov_b32 v[6:7], v[8:9], v[8:9] op_sel:[0,1]
	s_waitcnt vmcnt(0) lgkmcnt(0)
	v_cmp_ne_u16_sdwa s[4:5], v4, v53 src0_sel:BYTE_0 src1_sel:DWORD
	s_and_saveexec_b64 s[26:27], s[4:5]
	s_cbranch_execz .LBB235_521
; %bb.516:                              ;   in Loop: Header=BB235_410 Depth=1
	v_bfrev_b32_e32 v6, 1
	v_cmp_ne_u16_sdwa s[4:5], v4, s7 src0_sel:BYTE_0 src1_sel:DWORD
	v_mov_b32_e32 v7, 0
	s_and_saveexec_b64 s[28:29], s[4:5]
	s_cbranch_execz .LBB235_520
; %bb.517:                              ;   in Loop: Header=BB235_410 Depth=1
	v_and_b32_e32 v5, 0x7f, v4
	v_mov_b32_e32 v6, 0x7f800001
	v_cmp_ne_u32_e64 s[4:5], s15, v5
	v_mov_b32_e32 v7, 0
	s_and_saveexec_b64 s[30:31], s[4:5]
	s_cbranch_execz .LBB235_519
; %bb.518:                              ;   in Loop: Header=BB235_410 Depth=1
	v_and_b32_e32 v10, 7, v4
	v_ffbh_u32_e32 v6, v10
	v_min_u32_e32 v12, 32, v6
	v_subrev_u32_e32 v6, 28, v12
	v_lshlrev_b64 v[6:7], v6, v[4:5]
	v_lshrrev_b32_e32 v11, 3, v5
	v_sub_u32_e32 v7, 29, v12
	v_and_b32_e32 v6, 7, v6
	v_cmp_gt_u32_e64 s[4:5], 8, v5
	v_cndmask_b32_e64 v5, v11, v7, s[4:5]
	v_cndmask_b32_e64 v6, v10, v6, s[4:5]
	v_bfrev_b32_e32 v10, 60
	v_lshlrev_b32_e32 v6, 20, v6
	v_and_b32_sdwa v7, sext(v4), s13 dst_sel:DWORD dst_unused:UNUSED_PAD src0_sel:BYTE_0 src1_sel:DWORD
	v_lshl_add_u32 v5, v5, 23, v10
	v_or3_b32 v52, v7, v5, v6
	v_pk_mov_b32 v[6:7], v[52:53], v[52:53] op_sel:[0,1]
.LBB235_519:                            ;   in Loop: Header=BB235_410 Depth=1
	s_or_b64 exec, exec, s[30:31]
.LBB235_520:                            ;   in Loop: Header=BB235_410 Depth=1
	s_or_b64 exec, exec, s[28:29]
.LBB235_521:                            ;   in Loop: Header=BB235_410 Depth=1
	s_or_b64 exec, exec, s[26:27]
	v_cmp_ne_u16_sdwa s[4:5], v4, v53 src0_sel:BYTE_1 src1_sel:DWORD
	s_and_saveexec_b64 s[26:27], s[4:5]
	s_cbranch_execz .LBB235_527
; %bb.522:                              ;   in Loop: Header=BB235_410 Depth=1
	v_cmp_ne_u16_sdwa s[4:5], v4, s7 src0_sel:BYTE_1 src1_sel:DWORD
	v_pk_mov_b32 v[8:9], s[12:13], s[12:13] op_sel:[0,1]
	s_and_saveexec_b64 s[28:29], s[4:5]
	s_cbranch_execz .LBB235_526
; %bb.523:                              ;   in Loop: Header=BB235_410 Depth=1
	v_and_b32_sdwa v5, v4, s15 dst_sel:DWORD dst_unused:UNUSED_PAD src0_sel:BYTE_1 src1_sel:DWORD
	s_mov_b32 s22, s12
	v_cmp_ne_u32_e64 s[4:5], s15, v5
	v_pk_mov_b32 v[8:9], s[22:23], s[22:23] op_sel:[0,1]
	s_and_saveexec_b64 s[30:31], s[4:5]
	s_cbranch_execz .LBB235_525
; %bb.524:                              ;   in Loop: Header=BB235_410 Depth=1
	v_mov_b32_e32 v8, 7
	v_and_b32_sdwa v52, v4, v8 dst_sel:DWORD dst_unused:UNUSED_PAD src0_sel:BYTE_1 src1_sel:DWORD
	v_ffbh_u32_e32 v8, v52
	v_min_u32_e32 v11, 32, v8
	v_subrev_u32_e32 v8, 28, v11
	v_lshlrev_b64 v[8:9], v8, v[52:53]
	v_lshrrev_b32_e32 v10, 3, v5
	v_sub_u32_e32 v9, 29, v11
	v_cmp_gt_u32_e64 s[4:5], 8, v5
	v_and_b32_e32 v8, 7, v8
	v_cndmask_b32_e64 v5, v10, v9, s[4:5]
	v_bfrev_b32_e32 v10, 60
	v_cndmask_b32_e64 v8, v52, v8, s[4:5]
	v_lshlrev_b32_e32 v9, 16, v4
	v_lshl_add_u32 v5, v5, 23, v10
	v_and_or_b32 v5, v9, s13, v5
	v_lshlrev_b32_e32 v8, 20, v8
	v_or_b32_e32 v9, v5, v8
	v_mov_b32_e32 v8, v53
.LBB235_525:                            ;   in Loop: Header=BB235_410 Depth=1
	s_or_b64 exec, exec, s[30:31]
.LBB235_526:                            ;   in Loop: Header=BB235_410 Depth=1
	s_or_b64 exec, exec, s[28:29]
.LBB235_527:                            ;   in Loop: Header=BB235_410 Depth=1
	s_or_b64 exec, exec, s[26:27]
	v_lshrrev_b32_e32 v14, 16, v4
	v_pk_mov_b32 v[12:13], 0, 0
	v_cmp_ne_u16_sdwa s[4:5], v14, v53 src0_sel:BYTE_0 src1_sel:DWORD
	v_pk_mov_b32 v[10:11], v[12:13], v[12:13] op_sel:[0,1]
	s_and_saveexec_b64 s[26:27], s[4:5]
	s_cbranch_execz .LBB235_533
; %bb.528:                              ;   in Loop: Header=BB235_410 Depth=1
	v_bfrev_b32_e32 v10, 1
	v_cmp_ne_u16_sdwa s[4:5], v14, s7 src0_sel:BYTE_0 src1_sel:DWORD
	v_mov_b32_e32 v11, 0
	s_and_saveexec_b64 s[28:29], s[4:5]
	s_cbranch_execz .LBB235_532
; %bb.529:                              ;   in Loop: Header=BB235_410 Depth=1
	v_bfe_u32 v5, v4, 16, 7
	v_mov_b32_e32 v10, 0x7f800001
	v_cmp_ne_u32_e64 s[4:5], s15, v5
	v_mov_b32_e32 v11, 0
	s_and_saveexec_b64 s[30:31], s[4:5]
	s_cbranch_execz .LBB235_531
; %bb.530:                              ;   in Loop: Header=BB235_410 Depth=1
	v_and_b32_e32 v15, 7, v14
	v_ffbh_u32_e32 v10, v15
	v_min_u32_e32 v17, 32, v10
	v_subrev_u32_e32 v10, 28, v17
	v_lshlrev_b64 v[10:11], v10, v[14:15]
	v_lshrrev_b32_e32 v16, 3, v5
	v_sub_u32_e32 v11, 29, v17
	v_and_b32_e32 v10, 7, v10
	v_cmp_gt_u32_e64 s[4:5], 8, v5
	v_cndmask_b32_e64 v5, v16, v11, s[4:5]
	v_cndmask_b32_e64 v10, v15, v10, s[4:5]
	v_and_b32_sdwa v11, sext(v14), s13 dst_sel:DWORD dst_unused:UNUSED_PAD src0_sel:BYTE_0 src1_sel:DWORD
	v_bfrev_b32_e32 v14, 60
	v_lshlrev_b32_e32 v10, 20, v10
	v_lshl_add_u32 v5, v5, 23, v14
	v_or3_b32 v52, v11, v5, v10
	v_pk_mov_b32 v[10:11], v[52:53], v[52:53] op_sel:[0,1]
.LBB235_531:                            ;   in Loop: Header=BB235_410 Depth=1
	s_or_b64 exec, exec, s[30:31]
.LBB235_532:                            ;   in Loop: Header=BB235_410 Depth=1
	s_or_b64 exec, exec, s[28:29]
.LBB235_533:                            ;   in Loop: Header=BB235_410 Depth=1
	s_or_b64 exec, exec, s[26:27]
	v_cmp_lt_u32_e64 s[4:5], s34, v4
	s_and_saveexec_b64 s[26:27], s[4:5]
	s_cbranch_execz .LBB235_539
; %bb.534:                              ;   in Loop: Header=BB235_410 Depth=1
	v_cmp_ne_u32_sdwa s[4:5], v4, s7 src0_sel:BYTE_3 src1_sel:DWORD
	v_pk_mov_b32 v[12:13], s[12:13], s[12:13] op_sel:[0,1]
	s_and_saveexec_b64 s[28:29], s[4:5]
	s_cbranch_execz .LBB235_538
; %bb.535:                              ;   in Loop: Header=BB235_410 Depth=1
	v_bfe_u32 v5, v4, 24, 7
	s_mov_b32 s22, s12
	v_cmp_ne_u32_e64 s[4:5], s15, v5
	v_pk_mov_b32 v[12:13], s[22:23], s[22:23] op_sel:[0,1]
	s_and_saveexec_b64 s[30:31], s[4:5]
	s_cbranch_execz .LBB235_537
; %bb.536:                              ;   in Loop: Header=BB235_410 Depth=1
	v_mov_b32_e32 v12, 7
	v_and_b32_sdwa v52, v4, v12 dst_sel:DWORD dst_unused:UNUSED_PAD src0_sel:BYTE_3 src1_sel:DWORD
	v_ffbh_u32_e32 v12, v52
	v_min_u32_e32 v15, 32, v12
	v_subrev_u32_e32 v12, 28, v15
	v_lshlrev_b64 v[12:13], v12, v[52:53]
	v_lshrrev_b32_e32 v14, 3, v5
	v_sub_u32_e32 v13, 29, v15
	v_cmp_gt_u32_e64 s[4:5], 8, v5
	v_cndmask_b32_e64 v5, v14, v13, s[4:5]
	v_mov_b32_e32 v13, 24
	v_and_b32_e32 v12, 7, v12
	v_lshlrev_b32_sdwa v4, v13, v4 dst_sel:DWORD dst_unused:UNUSED_PAD src0_sel:DWORD src1_sel:BYTE_3
	v_bfrev_b32_e32 v13, 60
	v_cndmask_b32_e64 v12, v52, v12, s[4:5]
	v_lshl_add_u32 v5, v5, 23, v13
	v_and_or_b32 v4, v4, s13, v5
	v_lshlrev_b32_e32 v5, 20, v12
	v_or_b32_e32 v13, v4, v5
	v_mov_b32_e32 v12, v53
.LBB235_537:                            ;   in Loop: Header=BB235_410 Depth=1
	s_or_b64 exec, exec, s[30:31]
.LBB235_538:                            ;   in Loop: Header=BB235_410 Depth=1
	s_or_b64 exec, exec, s[28:29]
.LBB235_539:                            ;   in Loop: Header=BB235_410 Depth=1
	s_or_b64 exec, exec, s[26:27]
	v_or_b32_e32 v5, v9, v7
	v_or_b32_e32 v4, v8, v6
	v_pk_mul_f32 v[4:5], v[28:29], v[4:5]
	v_accvgpr_write_b32 a51, v5
	v_accvgpr_write_b32 a50, v4
	v_or_b32_e32 v5, v13, v11
	v_or_b32_e32 v4, v12, v10
	v_pk_mul_f32 v[4:5], v[28:29], v[4:5]
	v_accvgpr_write_b32 a53, v5
	v_accvgpr_write_b32 a52, v4
	s_and_saveexec_b64 s[26:27], vcc
	s_cbranch_execz .LBB235_541
; %bb.540:                              ;   in Loop: Header=BB235_410 Depth=1
	v_accvgpr_read_b32 v4, a10
	v_cmp_lt_i32_e64 s[4:5], v4, v62
	v_accvgpr_read_b32 v6, a50
	v_accvgpr_read_b32 v4, a37
	;; [unrolled: 1-line block ×3, first 2 shown]
	v_cndmask_b32_e64 v6, 0, v6, s[4:5]
	v_cmp_lt_i32_e64 s[4:5], v4, v62
	v_cndmask_b32_e64 v7, 0, v7, s[4:5]
	v_accvgpr_write_b32 a51, v7
	v_accvgpr_read_b32 v4, a35
	v_accvgpr_write_b32 a50, v6
	v_cmp_lt_i32_e64 s[4:5], v4, v62
	v_accvgpr_read_b32 v6, a52
	v_accvgpr_read_b32 v4, a11
	;; [unrolled: 1-line block ×3, first 2 shown]
	v_cndmask_b32_e64 v6, 0, v6, s[4:5]
	v_cmp_lt_i32_e64 s[4:5], v4, v62
	v_cndmask_b32_e64 v7, 0, v7, s[4:5]
	v_accvgpr_write_b32 a53, v7
	v_accvgpr_write_b32 a52, v6
.LBB235_541:                            ;   in Loop: Header=BB235_410 Depth=1
	s_or_b64 exec, exec, s[26:27]
	flat_load_dword v4, v[24:25] offset:1280
	v_pk_mov_b32 v[8:9], 0, 0
	v_pk_mov_b32 v[6:7], v[8:9], v[8:9] op_sel:[0,1]
	s_waitcnt vmcnt(0) lgkmcnt(0)
	v_cmp_ne_u16_sdwa s[4:5], v4, v53 src0_sel:BYTE_0 src1_sel:DWORD
	s_and_saveexec_b64 s[26:27], s[4:5]
	s_cbranch_execz .LBB235_547
; %bb.542:                              ;   in Loop: Header=BB235_410 Depth=1
	v_bfrev_b32_e32 v6, 1
	v_cmp_ne_u16_sdwa s[4:5], v4, s7 src0_sel:BYTE_0 src1_sel:DWORD
	v_mov_b32_e32 v7, 0
	s_and_saveexec_b64 s[28:29], s[4:5]
	s_cbranch_execz .LBB235_546
; %bb.543:                              ;   in Loop: Header=BB235_410 Depth=1
	v_and_b32_e32 v5, 0x7f, v4
	v_mov_b32_e32 v6, 0x7f800001
	v_cmp_ne_u32_e64 s[4:5], s15, v5
	v_mov_b32_e32 v7, 0
	s_and_saveexec_b64 s[30:31], s[4:5]
	s_cbranch_execz .LBB235_545
; %bb.544:                              ;   in Loop: Header=BB235_410 Depth=1
	v_and_b32_e32 v10, 7, v4
	v_ffbh_u32_e32 v6, v10
	v_min_u32_e32 v12, 32, v6
	v_subrev_u32_e32 v6, 28, v12
	v_lshlrev_b64 v[6:7], v6, v[4:5]
	v_lshrrev_b32_e32 v11, 3, v5
	v_sub_u32_e32 v7, 29, v12
	v_and_b32_e32 v6, 7, v6
	v_cmp_gt_u32_e64 s[4:5], 8, v5
	v_cndmask_b32_e64 v5, v11, v7, s[4:5]
	v_cndmask_b32_e64 v6, v10, v6, s[4:5]
	v_bfrev_b32_e32 v10, 60
	v_lshlrev_b32_e32 v6, 20, v6
	v_and_b32_sdwa v7, sext(v4), s13 dst_sel:DWORD dst_unused:UNUSED_PAD src0_sel:BYTE_0 src1_sel:DWORD
	v_lshl_add_u32 v5, v5, 23, v10
	v_or3_b32 v52, v7, v5, v6
	v_pk_mov_b32 v[6:7], v[52:53], v[52:53] op_sel:[0,1]
.LBB235_545:                            ;   in Loop: Header=BB235_410 Depth=1
	s_or_b64 exec, exec, s[30:31]
.LBB235_546:                            ;   in Loop: Header=BB235_410 Depth=1
	s_or_b64 exec, exec, s[28:29]
.LBB235_547:                            ;   in Loop: Header=BB235_410 Depth=1
	s_or_b64 exec, exec, s[26:27]
	v_cmp_ne_u16_sdwa s[4:5], v4, v53 src0_sel:BYTE_1 src1_sel:DWORD
	s_and_saveexec_b64 s[26:27], s[4:5]
	s_cbranch_execz .LBB235_553
; %bb.548:                              ;   in Loop: Header=BB235_410 Depth=1
	v_cmp_ne_u16_sdwa s[4:5], v4, s7 src0_sel:BYTE_1 src1_sel:DWORD
	v_pk_mov_b32 v[8:9], s[12:13], s[12:13] op_sel:[0,1]
	s_and_saveexec_b64 s[28:29], s[4:5]
	s_cbranch_execz .LBB235_552
; %bb.549:                              ;   in Loop: Header=BB235_410 Depth=1
	v_and_b32_sdwa v5, v4, s15 dst_sel:DWORD dst_unused:UNUSED_PAD src0_sel:BYTE_1 src1_sel:DWORD
	s_mov_b32 s22, s12
	v_cmp_ne_u32_e64 s[4:5], s15, v5
	v_pk_mov_b32 v[8:9], s[22:23], s[22:23] op_sel:[0,1]
	s_and_saveexec_b64 s[30:31], s[4:5]
	s_cbranch_execz .LBB235_551
; %bb.550:                              ;   in Loop: Header=BB235_410 Depth=1
	v_mov_b32_e32 v8, 7
	v_and_b32_sdwa v52, v4, v8 dst_sel:DWORD dst_unused:UNUSED_PAD src0_sel:BYTE_1 src1_sel:DWORD
	v_ffbh_u32_e32 v8, v52
	v_min_u32_e32 v11, 32, v8
	v_subrev_u32_e32 v8, 28, v11
	v_lshlrev_b64 v[8:9], v8, v[52:53]
	v_lshrrev_b32_e32 v10, 3, v5
	v_sub_u32_e32 v9, 29, v11
	v_cmp_gt_u32_e64 s[4:5], 8, v5
	v_and_b32_e32 v8, 7, v8
	v_cndmask_b32_e64 v5, v10, v9, s[4:5]
	v_bfrev_b32_e32 v10, 60
	v_cndmask_b32_e64 v8, v52, v8, s[4:5]
	v_lshlrev_b32_e32 v9, 16, v4
	v_lshl_add_u32 v5, v5, 23, v10
	v_and_or_b32 v5, v9, s13, v5
	v_lshlrev_b32_e32 v8, 20, v8
	v_or_b32_e32 v9, v5, v8
	v_mov_b32_e32 v8, v53
.LBB235_551:                            ;   in Loop: Header=BB235_410 Depth=1
	s_or_b64 exec, exec, s[30:31]
.LBB235_552:                            ;   in Loop: Header=BB235_410 Depth=1
	s_or_b64 exec, exec, s[28:29]
.LBB235_553:                            ;   in Loop: Header=BB235_410 Depth=1
	s_or_b64 exec, exec, s[26:27]
	v_lshrrev_b32_e32 v14, 16, v4
	v_pk_mov_b32 v[12:13], 0, 0
	v_cmp_ne_u16_sdwa s[4:5], v14, v53 src0_sel:BYTE_0 src1_sel:DWORD
	v_pk_mov_b32 v[10:11], v[12:13], v[12:13] op_sel:[0,1]
	s_and_saveexec_b64 s[26:27], s[4:5]
	s_cbranch_execz .LBB235_559
; %bb.554:                              ;   in Loop: Header=BB235_410 Depth=1
	v_bfrev_b32_e32 v10, 1
	v_cmp_ne_u16_sdwa s[4:5], v14, s7 src0_sel:BYTE_0 src1_sel:DWORD
	v_mov_b32_e32 v11, 0
	s_and_saveexec_b64 s[28:29], s[4:5]
	s_cbranch_execz .LBB235_558
; %bb.555:                              ;   in Loop: Header=BB235_410 Depth=1
	v_bfe_u32 v5, v4, 16, 7
	v_mov_b32_e32 v10, 0x7f800001
	v_cmp_ne_u32_e64 s[4:5], s15, v5
	v_mov_b32_e32 v11, 0
	s_and_saveexec_b64 s[30:31], s[4:5]
	s_cbranch_execz .LBB235_557
; %bb.556:                              ;   in Loop: Header=BB235_410 Depth=1
	v_and_b32_e32 v15, 7, v14
	v_ffbh_u32_e32 v10, v15
	v_min_u32_e32 v17, 32, v10
	v_subrev_u32_e32 v10, 28, v17
	v_lshlrev_b64 v[10:11], v10, v[14:15]
	v_lshrrev_b32_e32 v16, 3, v5
	v_sub_u32_e32 v11, 29, v17
	v_and_b32_e32 v10, 7, v10
	v_cmp_gt_u32_e64 s[4:5], 8, v5
	v_cndmask_b32_e64 v5, v16, v11, s[4:5]
	v_cndmask_b32_e64 v10, v15, v10, s[4:5]
	v_and_b32_sdwa v11, sext(v14), s13 dst_sel:DWORD dst_unused:UNUSED_PAD src0_sel:BYTE_0 src1_sel:DWORD
	v_bfrev_b32_e32 v14, 60
	v_lshlrev_b32_e32 v10, 20, v10
	v_lshl_add_u32 v5, v5, 23, v14
	v_or3_b32 v52, v11, v5, v10
	v_pk_mov_b32 v[10:11], v[52:53], v[52:53] op_sel:[0,1]
.LBB235_557:                            ;   in Loop: Header=BB235_410 Depth=1
	s_or_b64 exec, exec, s[30:31]
.LBB235_558:                            ;   in Loop: Header=BB235_410 Depth=1
	s_or_b64 exec, exec, s[28:29]
.LBB235_559:                            ;   in Loop: Header=BB235_410 Depth=1
	s_or_b64 exec, exec, s[26:27]
	v_cmp_lt_u32_e64 s[4:5], s34, v4
	s_and_saveexec_b64 s[26:27], s[4:5]
	s_cbranch_execz .LBB235_565
; %bb.560:                              ;   in Loop: Header=BB235_410 Depth=1
	v_cmp_ne_u32_sdwa s[4:5], v4, s7 src0_sel:BYTE_3 src1_sel:DWORD
	v_pk_mov_b32 v[12:13], s[12:13], s[12:13] op_sel:[0,1]
	s_and_saveexec_b64 s[28:29], s[4:5]
	s_cbranch_execz .LBB235_564
; %bb.561:                              ;   in Loop: Header=BB235_410 Depth=1
	v_bfe_u32 v5, v4, 24, 7
	s_mov_b32 s22, s12
	v_cmp_ne_u32_e64 s[4:5], s15, v5
	v_pk_mov_b32 v[12:13], s[22:23], s[22:23] op_sel:[0,1]
	s_and_saveexec_b64 s[30:31], s[4:5]
	s_cbranch_execz .LBB235_563
; %bb.562:                              ;   in Loop: Header=BB235_410 Depth=1
	v_mov_b32_e32 v12, 7
	v_and_b32_sdwa v52, v4, v12 dst_sel:DWORD dst_unused:UNUSED_PAD src0_sel:BYTE_3 src1_sel:DWORD
	v_ffbh_u32_e32 v12, v52
	v_min_u32_e32 v15, 32, v12
	v_subrev_u32_e32 v12, 28, v15
	v_lshlrev_b64 v[12:13], v12, v[52:53]
	v_lshrrev_b32_e32 v14, 3, v5
	v_sub_u32_e32 v13, 29, v15
	v_cmp_gt_u32_e64 s[4:5], 8, v5
	v_cndmask_b32_e64 v5, v14, v13, s[4:5]
	v_mov_b32_e32 v13, 24
	v_and_b32_e32 v12, 7, v12
	v_lshlrev_b32_sdwa v4, v13, v4 dst_sel:DWORD dst_unused:UNUSED_PAD src0_sel:DWORD src1_sel:BYTE_3
	v_bfrev_b32_e32 v13, 60
	v_cndmask_b32_e64 v12, v52, v12, s[4:5]
	v_lshl_add_u32 v5, v5, 23, v13
	v_and_or_b32 v4, v4, s13, v5
	v_lshlrev_b32_e32 v5, 20, v12
	v_or_b32_e32 v13, v4, v5
	v_mov_b32_e32 v12, v53
.LBB235_563:                            ;   in Loop: Header=BB235_410 Depth=1
	s_or_b64 exec, exec, s[30:31]
.LBB235_564:                            ;   in Loop: Header=BB235_410 Depth=1
	s_or_b64 exec, exec, s[28:29]
.LBB235_565:                            ;   in Loop: Header=BB235_410 Depth=1
	s_or_b64 exec, exec, s[26:27]
	v_or_b32_e32 v5, v9, v7
	v_or_b32_e32 v4, v8, v6
	v_pk_mul_f32 v[44:45], v[28:29], v[4:5]
	v_or_b32_e32 v5, v13, v11
	v_or_b32_e32 v4, v12, v10
	v_pk_mul_f32 v[46:47], v[28:29], v[4:5]
	s_and_saveexec_b64 s[26:27], vcc
	s_cbranch_execz .LBB235_567
; %bb.566:                              ;   in Loop: Header=BB235_410 Depth=1
	v_accvgpr_read_b32 v4, a10
	v_cmp_lt_i32_e64 s[4:5], v4, v62
	v_accvgpr_read_b32 v4, a37
	v_cndmask_b32_e64 v44, 0, v44, s[4:5]
	v_cmp_lt_i32_e64 s[4:5], v4, v62
	v_accvgpr_read_b32 v4, a35
	v_cndmask_b32_e64 v45, 0, v45, s[4:5]
	v_cmp_lt_i32_e64 s[4:5], v4, v62
	v_accvgpr_read_b32 v4, a11
	v_cndmask_b32_e64 v46, 0, v46, s[4:5]
	v_cmp_lt_i32_e64 s[4:5], v4, v62
	v_cndmask_b32_e64 v47, 0, v47, s[4:5]
.LBB235_567:                            ;   in Loop: Header=BB235_410 Depth=1
	s_or_b64 exec, exec, s[26:27]
	flat_load_dword v4, v[24:25] offset:1536
	v_pk_mov_b32 v[8:9], 0, 0
	v_pk_mov_b32 v[6:7], v[8:9], v[8:9] op_sel:[0,1]
	s_waitcnt vmcnt(0) lgkmcnt(0)
	v_cmp_ne_u16_sdwa s[4:5], v4, v53 src0_sel:BYTE_0 src1_sel:DWORD
	s_and_saveexec_b64 s[26:27], s[4:5]
	s_cbranch_execz .LBB235_573
; %bb.568:                              ;   in Loop: Header=BB235_410 Depth=1
	v_bfrev_b32_e32 v6, 1
	v_cmp_ne_u16_sdwa s[4:5], v4, s7 src0_sel:BYTE_0 src1_sel:DWORD
	v_mov_b32_e32 v7, 0
	s_and_saveexec_b64 s[28:29], s[4:5]
	s_cbranch_execz .LBB235_572
; %bb.569:                              ;   in Loop: Header=BB235_410 Depth=1
	v_and_b32_e32 v5, 0x7f, v4
	v_mov_b32_e32 v6, 0x7f800001
	v_cmp_ne_u32_e64 s[4:5], s15, v5
	v_mov_b32_e32 v7, 0
	s_and_saveexec_b64 s[30:31], s[4:5]
	s_cbranch_execz .LBB235_571
; %bb.570:                              ;   in Loop: Header=BB235_410 Depth=1
	v_and_b32_e32 v10, 7, v4
	v_ffbh_u32_e32 v6, v10
	v_min_u32_e32 v12, 32, v6
	v_subrev_u32_e32 v6, 28, v12
	v_lshlrev_b64 v[6:7], v6, v[4:5]
	v_lshrrev_b32_e32 v11, 3, v5
	v_sub_u32_e32 v7, 29, v12
	v_and_b32_e32 v6, 7, v6
	v_cmp_gt_u32_e64 s[4:5], 8, v5
	v_cndmask_b32_e64 v5, v11, v7, s[4:5]
	v_cndmask_b32_e64 v6, v10, v6, s[4:5]
	v_bfrev_b32_e32 v10, 60
	v_lshlrev_b32_e32 v6, 20, v6
	v_and_b32_sdwa v7, sext(v4), s13 dst_sel:DWORD dst_unused:UNUSED_PAD src0_sel:BYTE_0 src1_sel:DWORD
	v_lshl_add_u32 v5, v5, 23, v10
	v_or3_b32 v52, v7, v5, v6
	v_pk_mov_b32 v[6:7], v[52:53], v[52:53] op_sel:[0,1]
.LBB235_571:                            ;   in Loop: Header=BB235_410 Depth=1
	s_or_b64 exec, exec, s[30:31]
.LBB235_572:                            ;   in Loop: Header=BB235_410 Depth=1
	s_or_b64 exec, exec, s[28:29]
.LBB235_573:                            ;   in Loop: Header=BB235_410 Depth=1
	s_or_b64 exec, exec, s[26:27]
	v_cmp_ne_u16_sdwa s[4:5], v4, v53 src0_sel:BYTE_1 src1_sel:DWORD
	s_and_saveexec_b64 s[26:27], s[4:5]
	s_cbranch_execz .LBB235_579
; %bb.574:                              ;   in Loop: Header=BB235_410 Depth=1
	v_cmp_ne_u16_sdwa s[4:5], v4, s7 src0_sel:BYTE_1 src1_sel:DWORD
	v_pk_mov_b32 v[8:9], s[12:13], s[12:13] op_sel:[0,1]
	s_and_saveexec_b64 s[28:29], s[4:5]
	s_cbranch_execz .LBB235_578
; %bb.575:                              ;   in Loop: Header=BB235_410 Depth=1
	v_and_b32_sdwa v5, v4, s15 dst_sel:DWORD dst_unused:UNUSED_PAD src0_sel:BYTE_1 src1_sel:DWORD
	s_mov_b32 s22, s12
	v_cmp_ne_u32_e64 s[4:5], s15, v5
	v_pk_mov_b32 v[8:9], s[22:23], s[22:23] op_sel:[0,1]
	s_and_saveexec_b64 s[30:31], s[4:5]
	s_cbranch_execz .LBB235_577
; %bb.576:                              ;   in Loop: Header=BB235_410 Depth=1
	v_mov_b32_e32 v8, 7
	v_and_b32_sdwa v52, v4, v8 dst_sel:DWORD dst_unused:UNUSED_PAD src0_sel:BYTE_1 src1_sel:DWORD
	v_ffbh_u32_e32 v8, v52
	v_min_u32_e32 v11, 32, v8
	v_subrev_u32_e32 v8, 28, v11
	v_lshlrev_b64 v[8:9], v8, v[52:53]
	v_lshrrev_b32_e32 v10, 3, v5
	v_sub_u32_e32 v9, 29, v11
	v_cmp_gt_u32_e64 s[4:5], 8, v5
	v_and_b32_e32 v8, 7, v8
	v_cndmask_b32_e64 v5, v10, v9, s[4:5]
	v_bfrev_b32_e32 v10, 60
	v_cndmask_b32_e64 v8, v52, v8, s[4:5]
	v_lshlrev_b32_e32 v9, 16, v4
	v_lshl_add_u32 v5, v5, 23, v10
	v_and_or_b32 v5, v9, s13, v5
	v_lshlrev_b32_e32 v8, 20, v8
	v_or_b32_e32 v9, v5, v8
	v_mov_b32_e32 v8, v53
.LBB235_577:                            ;   in Loop: Header=BB235_410 Depth=1
	s_or_b64 exec, exec, s[30:31]
.LBB235_578:                            ;   in Loop: Header=BB235_410 Depth=1
	s_or_b64 exec, exec, s[28:29]
.LBB235_579:                            ;   in Loop: Header=BB235_410 Depth=1
	s_or_b64 exec, exec, s[26:27]
	v_lshrrev_b32_e32 v14, 16, v4
	v_pk_mov_b32 v[12:13], 0, 0
	v_cmp_ne_u16_sdwa s[4:5], v14, v53 src0_sel:BYTE_0 src1_sel:DWORD
	v_pk_mov_b32 v[10:11], v[12:13], v[12:13] op_sel:[0,1]
	s_and_saveexec_b64 s[26:27], s[4:5]
	s_cbranch_execz .LBB235_585
; %bb.580:                              ;   in Loop: Header=BB235_410 Depth=1
	v_bfrev_b32_e32 v10, 1
	v_cmp_ne_u16_sdwa s[4:5], v14, s7 src0_sel:BYTE_0 src1_sel:DWORD
	v_mov_b32_e32 v11, 0
	s_and_saveexec_b64 s[28:29], s[4:5]
	s_cbranch_execz .LBB235_584
; %bb.581:                              ;   in Loop: Header=BB235_410 Depth=1
	v_bfe_u32 v5, v4, 16, 7
	v_mov_b32_e32 v10, 0x7f800001
	v_cmp_ne_u32_e64 s[4:5], s15, v5
	v_mov_b32_e32 v11, 0
	s_and_saveexec_b64 s[30:31], s[4:5]
	s_cbranch_execz .LBB235_583
; %bb.582:                              ;   in Loop: Header=BB235_410 Depth=1
	v_and_b32_e32 v15, 7, v14
	v_ffbh_u32_e32 v10, v15
	v_min_u32_e32 v17, 32, v10
	v_subrev_u32_e32 v10, 28, v17
	v_lshlrev_b64 v[10:11], v10, v[14:15]
	v_lshrrev_b32_e32 v16, 3, v5
	v_sub_u32_e32 v11, 29, v17
	v_and_b32_e32 v10, 7, v10
	v_cmp_gt_u32_e64 s[4:5], 8, v5
	v_cndmask_b32_e64 v5, v16, v11, s[4:5]
	v_cndmask_b32_e64 v10, v15, v10, s[4:5]
	v_and_b32_sdwa v11, sext(v14), s13 dst_sel:DWORD dst_unused:UNUSED_PAD src0_sel:BYTE_0 src1_sel:DWORD
	v_bfrev_b32_e32 v14, 60
	v_lshlrev_b32_e32 v10, 20, v10
	v_lshl_add_u32 v5, v5, 23, v14
	v_or3_b32 v52, v11, v5, v10
	v_pk_mov_b32 v[10:11], v[52:53], v[52:53] op_sel:[0,1]
.LBB235_583:                            ;   in Loop: Header=BB235_410 Depth=1
	s_or_b64 exec, exec, s[30:31]
.LBB235_584:                            ;   in Loop: Header=BB235_410 Depth=1
	s_or_b64 exec, exec, s[28:29]
.LBB235_585:                            ;   in Loop: Header=BB235_410 Depth=1
	s_or_b64 exec, exec, s[26:27]
	v_cmp_lt_u32_e64 s[4:5], s34, v4
	s_and_saveexec_b64 s[26:27], s[4:5]
	s_cbranch_execz .LBB235_591
; %bb.586:                              ;   in Loop: Header=BB235_410 Depth=1
	v_cmp_ne_u32_sdwa s[4:5], v4, s7 src0_sel:BYTE_3 src1_sel:DWORD
	v_pk_mov_b32 v[12:13], s[12:13], s[12:13] op_sel:[0,1]
	s_and_saveexec_b64 s[28:29], s[4:5]
	s_cbranch_execz .LBB235_590
; %bb.587:                              ;   in Loop: Header=BB235_410 Depth=1
	v_bfe_u32 v5, v4, 24, 7
	s_mov_b32 s22, s12
	v_cmp_ne_u32_e64 s[4:5], s15, v5
	v_pk_mov_b32 v[12:13], s[22:23], s[22:23] op_sel:[0,1]
	s_and_saveexec_b64 s[30:31], s[4:5]
	s_cbranch_execz .LBB235_589
; %bb.588:                              ;   in Loop: Header=BB235_410 Depth=1
	v_mov_b32_e32 v12, 7
	v_and_b32_sdwa v52, v4, v12 dst_sel:DWORD dst_unused:UNUSED_PAD src0_sel:BYTE_3 src1_sel:DWORD
	v_ffbh_u32_e32 v12, v52
	v_min_u32_e32 v15, 32, v12
	v_subrev_u32_e32 v12, 28, v15
	v_lshlrev_b64 v[12:13], v12, v[52:53]
	v_lshrrev_b32_e32 v14, 3, v5
	v_sub_u32_e32 v13, 29, v15
	v_cmp_gt_u32_e64 s[4:5], 8, v5
	v_cndmask_b32_e64 v5, v14, v13, s[4:5]
	v_mov_b32_e32 v13, 24
	v_and_b32_e32 v12, 7, v12
	v_lshlrev_b32_sdwa v4, v13, v4 dst_sel:DWORD dst_unused:UNUSED_PAD src0_sel:DWORD src1_sel:BYTE_3
	v_bfrev_b32_e32 v13, 60
	v_cndmask_b32_e64 v12, v52, v12, s[4:5]
	v_lshl_add_u32 v5, v5, 23, v13
	v_and_or_b32 v4, v4, s13, v5
	v_lshlrev_b32_e32 v5, 20, v12
	v_or_b32_e32 v13, v4, v5
	v_mov_b32_e32 v12, v53
.LBB235_589:                            ;   in Loop: Header=BB235_410 Depth=1
	s_or_b64 exec, exec, s[30:31]
.LBB235_590:                            ;   in Loop: Header=BB235_410 Depth=1
	s_or_b64 exec, exec, s[28:29]
.LBB235_591:                            ;   in Loop: Header=BB235_410 Depth=1
	s_or_b64 exec, exec, s[26:27]
	v_or_b32_e32 v5, v9, v7
	v_or_b32_e32 v4, v8, v6
	v_pk_mul_f32 v[56:57], v[28:29], v[4:5]
	v_or_b32_e32 v5, v13, v11
	v_or_b32_e32 v4, v12, v10
	v_pk_mul_f32 v[58:59], v[28:29], v[4:5]
	s_and_saveexec_b64 s[26:27], vcc
	s_cbranch_execz .LBB235_593
; %bb.592:                              ;   in Loop: Header=BB235_410 Depth=1
	v_accvgpr_read_b32 v4, a10
	v_cmp_lt_i32_e64 s[4:5], v4, v62
	v_accvgpr_read_b32 v4, a37
	v_cndmask_b32_e64 v56, 0, v56, s[4:5]
	v_cmp_lt_i32_e64 s[4:5], v4, v62
	v_accvgpr_read_b32 v4, a35
	v_cndmask_b32_e64 v57, 0, v57, s[4:5]
	;; [unrolled: 3-line block ×3, first 2 shown]
	v_cmp_lt_i32_e64 s[4:5], v4, v62
	v_cndmask_b32_e64 v59, 0, v59, s[4:5]
.LBB235_593:                            ;   in Loop: Header=BB235_410 Depth=1
	s_or_b64 exec, exec, s[26:27]
	flat_load_dword v4, v[24:25] offset:1792
	v_pk_mov_b32 v[8:9], 0, 0
	v_pk_mov_b32 v[6:7], v[8:9], v[8:9] op_sel:[0,1]
	s_waitcnt vmcnt(0) lgkmcnt(0)
	v_cmp_ne_u16_sdwa s[4:5], v4, v53 src0_sel:BYTE_0 src1_sel:DWORD
	s_and_saveexec_b64 s[26:27], s[4:5]
	s_cbranch_execz .LBB235_599
; %bb.594:                              ;   in Loop: Header=BB235_410 Depth=1
	v_bfrev_b32_e32 v6, 1
	v_cmp_ne_u16_sdwa s[4:5], v4, s7 src0_sel:BYTE_0 src1_sel:DWORD
	v_mov_b32_e32 v7, 0
	s_and_saveexec_b64 s[28:29], s[4:5]
	s_cbranch_execz .LBB235_598
; %bb.595:                              ;   in Loop: Header=BB235_410 Depth=1
	v_and_b32_e32 v5, 0x7f, v4
	v_mov_b32_e32 v6, 0x7f800001
	v_cmp_ne_u32_e64 s[4:5], s15, v5
	v_mov_b32_e32 v7, 0
	s_and_saveexec_b64 s[30:31], s[4:5]
	s_cbranch_execz .LBB235_597
; %bb.596:                              ;   in Loop: Header=BB235_410 Depth=1
	v_and_b32_e32 v10, 7, v4
	v_ffbh_u32_e32 v6, v10
	v_min_u32_e32 v12, 32, v6
	v_subrev_u32_e32 v6, 28, v12
	v_lshlrev_b64 v[6:7], v6, v[4:5]
	v_lshrrev_b32_e32 v11, 3, v5
	v_sub_u32_e32 v7, 29, v12
	v_and_b32_e32 v6, 7, v6
	v_cmp_gt_u32_e64 s[4:5], 8, v5
	v_cndmask_b32_e64 v5, v11, v7, s[4:5]
	v_cndmask_b32_e64 v6, v10, v6, s[4:5]
	v_bfrev_b32_e32 v10, 60
	v_lshlrev_b32_e32 v6, 20, v6
	v_and_b32_sdwa v7, sext(v4), s13 dst_sel:DWORD dst_unused:UNUSED_PAD src0_sel:BYTE_0 src1_sel:DWORD
	v_lshl_add_u32 v5, v5, 23, v10
	v_or3_b32 v52, v7, v5, v6
	v_pk_mov_b32 v[6:7], v[52:53], v[52:53] op_sel:[0,1]
.LBB235_597:                            ;   in Loop: Header=BB235_410 Depth=1
	s_or_b64 exec, exec, s[30:31]
.LBB235_598:                            ;   in Loop: Header=BB235_410 Depth=1
	s_or_b64 exec, exec, s[28:29]
.LBB235_599:                            ;   in Loop: Header=BB235_410 Depth=1
	s_or_b64 exec, exec, s[26:27]
	v_cmp_ne_u16_sdwa s[4:5], v4, v53 src0_sel:BYTE_1 src1_sel:DWORD
	s_and_saveexec_b64 s[26:27], s[4:5]
	s_cbranch_execz .LBB235_605
; %bb.600:                              ;   in Loop: Header=BB235_410 Depth=1
	v_cmp_ne_u16_sdwa s[4:5], v4, s7 src0_sel:BYTE_1 src1_sel:DWORD
	v_pk_mov_b32 v[8:9], s[12:13], s[12:13] op_sel:[0,1]
	s_and_saveexec_b64 s[28:29], s[4:5]
	s_cbranch_execz .LBB235_604
; %bb.601:                              ;   in Loop: Header=BB235_410 Depth=1
	v_and_b32_sdwa v5, v4, s15 dst_sel:DWORD dst_unused:UNUSED_PAD src0_sel:BYTE_1 src1_sel:DWORD
	s_mov_b32 s22, s12
	v_cmp_ne_u32_e64 s[4:5], s15, v5
	v_pk_mov_b32 v[8:9], s[22:23], s[22:23] op_sel:[0,1]
	s_and_saveexec_b64 s[30:31], s[4:5]
	s_cbranch_execz .LBB235_603
; %bb.602:                              ;   in Loop: Header=BB235_410 Depth=1
	v_mov_b32_e32 v8, 7
	v_and_b32_sdwa v52, v4, v8 dst_sel:DWORD dst_unused:UNUSED_PAD src0_sel:BYTE_1 src1_sel:DWORD
	v_ffbh_u32_e32 v8, v52
	v_min_u32_e32 v11, 32, v8
	v_subrev_u32_e32 v8, 28, v11
	v_lshlrev_b64 v[8:9], v8, v[52:53]
	v_lshrrev_b32_e32 v10, 3, v5
	v_sub_u32_e32 v9, 29, v11
	v_cmp_gt_u32_e64 s[4:5], 8, v5
	v_and_b32_e32 v8, 7, v8
	v_cndmask_b32_e64 v5, v10, v9, s[4:5]
	v_bfrev_b32_e32 v10, 60
	v_cndmask_b32_e64 v8, v52, v8, s[4:5]
	v_lshlrev_b32_e32 v9, 16, v4
	v_lshl_add_u32 v5, v5, 23, v10
	v_and_or_b32 v5, v9, s13, v5
	v_lshlrev_b32_e32 v8, 20, v8
	v_or_b32_e32 v9, v5, v8
	v_mov_b32_e32 v8, v53
.LBB235_603:                            ;   in Loop: Header=BB235_410 Depth=1
	s_or_b64 exec, exec, s[30:31]
.LBB235_604:                            ;   in Loop: Header=BB235_410 Depth=1
	s_or_b64 exec, exec, s[28:29]
.LBB235_605:                            ;   in Loop: Header=BB235_410 Depth=1
	s_or_b64 exec, exec, s[26:27]
	v_lshrrev_b32_e32 v14, 16, v4
	v_pk_mov_b32 v[12:13], 0, 0
	v_cmp_ne_u16_sdwa s[4:5], v14, v53 src0_sel:BYTE_0 src1_sel:DWORD
	v_pk_mov_b32 v[10:11], v[12:13], v[12:13] op_sel:[0,1]
	s_and_saveexec_b64 s[26:27], s[4:5]
	s_cbranch_execz .LBB235_611
; %bb.606:                              ;   in Loop: Header=BB235_410 Depth=1
	v_bfrev_b32_e32 v10, 1
	v_cmp_ne_u16_sdwa s[4:5], v14, s7 src0_sel:BYTE_0 src1_sel:DWORD
	v_mov_b32_e32 v11, 0
	s_and_saveexec_b64 s[28:29], s[4:5]
	s_cbranch_execz .LBB235_610
; %bb.607:                              ;   in Loop: Header=BB235_410 Depth=1
	v_bfe_u32 v5, v4, 16, 7
	v_mov_b32_e32 v10, 0x7f800001
	v_cmp_ne_u32_e64 s[4:5], s15, v5
	v_mov_b32_e32 v11, 0
	s_and_saveexec_b64 s[30:31], s[4:5]
	s_cbranch_execz .LBB235_609
; %bb.608:                              ;   in Loop: Header=BB235_410 Depth=1
	v_and_b32_e32 v15, 7, v14
	v_ffbh_u32_e32 v10, v15
	v_min_u32_e32 v17, 32, v10
	v_subrev_u32_e32 v10, 28, v17
	v_lshlrev_b64 v[10:11], v10, v[14:15]
	v_lshrrev_b32_e32 v16, 3, v5
	v_sub_u32_e32 v11, 29, v17
	v_and_b32_e32 v10, 7, v10
	v_cmp_gt_u32_e64 s[4:5], 8, v5
	v_cndmask_b32_e64 v5, v16, v11, s[4:5]
	v_cndmask_b32_e64 v10, v15, v10, s[4:5]
	v_and_b32_sdwa v11, sext(v14), s13 dst_sel:DWORD dst_unused:UNUSED_PAD src0_sel:BYTE_0 src1_sel:DWORD
	v_bfrev_b32_e32 v14, 60
	v_lshlrev_b32_e32 v10, 20, v10
	v_lshl_add_u32 v5, v5, 23, v14
	v_or3_b32 v52, v11, v5, v10
	v_pk_mov_b32 v[10:11], v[52:53], v[52:53] op_sel:[0,1]
.LBB235_609:                            ;   in Loop: Header=BB235_410 Depth=1
	s_or_b64 exec, exec, s[30:31]
.LBB235_610:                            ;   in Loop: Header=BB235_410 Depth=1
	s_or_b64 exec, exec, s[28:29]
.LBB235_611:                            ;   in Loop: Header=BB235_410 Depth=1
	s_or_b64 exec, exec, s[26:27]
	v_cmp_lt_u32_e64 s[4:5], s34, v4
	s_and_saveexec_b64 s[26:27], s[4:5]
	s_cbranch_execz .LBB235_617
; %bb.612:                              ;   in Loop: Header=BB235_410 Depth=1
	v_cmp_ne_u32_sdwa s[4:5], v4, s7 src0_sel:BYTE_3 src1_sel:DWORD
	v_pk_mov_b32 v[12:13], s[12:13], s[12:13] op_sel:[0,1]
	s_and_saveexec_b64 s[28:29], s[4:5]
	s_cbranch_execz .LBB235_616
; %bb.613:                              ;   in Loop: Header=BB235_410 Depth=1
	v_bfe_u32 v5, v4, 24, 7
	s_mov_b32 s22, s12
	v_cmp_ne_u32_e64 s[4:5], s15, v5
	v_pk_mov_b32 v[12:13], s[22:23], s[22:23] op_sel:[0,1]
	s_and_saveexec_b64 s[30:31], s[4:5]
	s_cbranch_execz .LBB235_615
; %bb.614:                              ;   in Loop: Header=BB235_410 Depth=1
	v_mov_b32_e32 v12, 7
	v_and_b32_sdwa v52, v4, v12 dst_sel:DWORD dst_unused:UNUSED_PAD src0_sel:BYTE_3 src1_sel:DWORD
	v_ffbh_u32_e32 v12, v52
	v_min_u32_e32 v15, 32, v12
	v_subrev_u32_e32 v12, 28, v15
	v_lshlrev_b64 v[12:13], v12, v[52:53]
	v_lshrrev_b32_e32 v14, 3, v5
	v_sub_u32_e32 v13, 29, v15
	v_cmp_gt_u32_e64 s[4:5], 8, v5
	v_cndmask_b32_e64 v5, v14, v13, s[4:5]
	v_mov_b32_e32 v13, 24
	v_and_b32_e32 v12, 7, v12
	v_lshlrev_b32_sdwa v4, v13, v4 dst_sel:DWORD dst_unused:UNUSED_PAD src0_sel:DWORD src1_sel:BYTE_3
	v_bfrev_b32_e32 v13, 60
	v_cndmask_b32_e64 v12, v52, v12, s[4:5]
	v_lshl_add_u32 v5, v5, 23, v13
	v_and_or_b32 v4, v4, s13, v5
	v_lshlrev_b32_e32 v5, 20, v12
	v_or_b32_e32 v13, v4, v5
	v_mov_b32_e32 v12, v53
.LBB235_615:                            ;   in Loop: Header=BB235_410 Depth=1
	s_or_b64 exec, exec, s[30:31]
.LBB235_616:                            ;   in Loop: Header=BB235_410 Depth=1
	s_or_b64 exec, exec, s[28:29]
.LBB235_617:                            ;   in Loop: Header=BB235_410 Depth=1
	s_or_b64 exec, exec, s[26:27]
	v_or_b32_e32 v5, v9, v7
	v_or_b32_e32 v4, v8, v6
	v_pk_mul_f32 v[60:61], v[28:29], v[4:5]
	v_or_b32_e32 v5, v13, v11
	v_or_b32_e32 v4, v12, v10
	v_pk_mul_f32 v[14:15], v[28:29], v[4:5]
	s_and_saveexec_b64 s[26:27], vcc
	s_cbranch_execz .LBB235_619
; %bb.618:                              ;   in Loop: Header=BB235_410 Depth=1
	v_accvgpr_read_b32 v4, a10
	v_cmp_lt_i32_e64 s[4:5], v4, v62
	v_accvgpr_read_b32 v4, a37
	v_cndmask_b32_e64 v60, 0, v60, s[4:5]
	v_cmp_lt_i32_e64 s[4:5], v4, v62
	v_accvgpr_read_b32 v4, a35
	v_cndmask_b32_e64 v61, 0, v61, s[4:5]
	;; [unrolled: 3-line block ×3, first 2 shown]
	v_cmp_lt_i32_e64 s[4:5], v4, v62
	v_cndmask_b32_e64 v15, 0, v15, s[4:5]
.LBB235_619:                            ;   in Loop: Header=BB235_410 Depth=1
	s_or_b64 exec, exec, s[26:27]
	flat_load_dword v4, v[24:25] offset:2048
	v_pk_mov_b32 v[8:9], 0, 0
	v_pk_mov_b32 v[6:7], v[8:9], v[8:9] op_sel:[0,1]
	s_waitcnt vmcnt(0) lgkmcnt(0)
	v_cmp_ne_u16_sdwa s[4:5], v4, v53 src0_sel:BYTE_0 src1_sel:DWORD
	s_and_saveexec_b64 s[26:27], s[4:5]
	s_cbranch_execz .LBB235_625
; %bb.620:                              ;   in Loop: Header=BB235_410 Depth=1
	v_bfrev_b32_e32 v6, 1
	v_cmp_ne_u16_sdwa s[4:5], v4, s7 src0_sel:BYTE_0 src1_sel:DWORD
	v_mov_b32_e32 v7, 0
	s_and_saveexec_b64 s[28:29], s[4:5]
	s_cbranch_execz .LBB235_624
; %bb.621:                              ;   in Loop: Header=BB235_410 Depth=1
	v_and_b32_e32 v5, 0x7f, v4
	v_mov_b32_e32 v6, 0x7f800001
	v_cmp_ne_u32_e64 s[4:5], s15, v5
	v_mov_b32_e32 v7, 0
	s_and_saveexec_b64 s[30:31], s[4:5]
	s_cbranch_execz .LBB235_623
; %bb.622:                              ;   in Loop: Header=BB235_410 Depth=1
	v_and_b32_e32 v10, 7, v4
	v_ffbh_u32_e32 v6, v10
	v_min_u32_e32 v12, 32, v6
	v_subrev_u32_e32 v6, 28, v12
	v_lshlrev_b64 v[6:7], v6, v[4:5]
	v_lshrrev_b32_e32 v11, 3, v5
	v_sub_u32_e32 v7, 29, v12
	v_and_b32_e32 v6, 7, v6
	v_cmp_gt_u32_e64 s[4:5], 8, v5
	v_cndmask_b32_e64 v5, v11, v7, s[4:5]
	v_cndmask_b32_e64 v6, v10, v6, s[4:5]
	v_bfrev_b32_e32 v10, 60
	v_lshlrev_b32_e32 v6, 20, v6
	v_and_b32_sdwa v7, sext(v4), s13 dst_sel:DWORD dst_unused:UNUSED_PAD src0_sel:BYTE_0 src1_sel:DWORD
	v_lshl_add_u32 v5, v5, 23, v10
	v_or3_b32 v52, v7, v5, v6
	v_pk_mov_b32 v[6:7], v[52:53], v[52:53] op_sel:[0,1]
.LBB235_623:                            ;   in Loop: Header=BB235_410 Depth=1
	s_or_b64 exec, exec, s[30:31]
.LBB235_624:                            ;   in Loop: Header=BB235_410 Depth=1
	s_or_b64 exec, exec, s[28:29]
.LBB235_625:                            ;   in Loop: Header=BB235_410 Depth=1
	s_or_b64 exec, exec, s[26:27]
	v_cmp_ne_u16_sdwa s[4:5], v4, v53 src0_sel:BYTE_1 src1_sel:DWORD
	s_and_saveexec_b64 s[26:27], s[4:5]
	s_cbranch_execz .LBB235_631
; %bb.626:                              ;   in Loop: Header=BB235_410 Depth=1
	v_cmp_ne_u16_sdwa s[4:5], v4, s7 src0_sel:BYTE_1 src1_sel:DWORD
	v_pk_mov_b32 v[8:9], s[12:13], s[12:13] op_sel:[0,1]
	s_and_saveexec_b64 s[28:29], s[4:5]
	s_cbranch_execz .LBB235_630
; %bb.627:                              ;   in Loop: Header=BB235_410 Depth=1
	v_and_b32_sdwa v5, v4, s15 dst_sel:DWORD dst_unused:UNUSED_PAD src0_sel:BYTE_1 src1_sel:DWORD
	s_mov_b32 s22, s12
	v_cmp_ne_u32_e64 s[4:5], s15, v5
	v_pk_mov_b32 v[8:9], s[22:23], s[22:23] op_sel:[0,1]
	s_and_saveexec_b64 s[30:31], s[4:5]
	s_cbranch_execz .LBB235_629
; %bb.628:                              ;   in Loop: Header=BB235_410 Depth=1
	v_mov_b32_e32 v8, 7
	v_and_b32_sdwa v52, v4, v8 dst_sel:DWORD dst_unused:UNUSED_PAD src0_sel:BYTE_1 src1_sel:DWORD
	v_ffbh_u32_e32 v8, v52
	v_min_u32_e32 v11, 32, v8
	v_subrev_u32_e32 v8, 28, v11
	v_lshlrev_b64 v[8:9], v8, v[52:53]
	v_lshrrev_b32_e32 v10, 3, v5
	v_sub_u32_e32 v9, 29, v11
	v_cmp_gt_u32_e64 s[4:5], 8, v5
	v_and_b32_e32 v8, 7, v8
	v_cndmask_b32_e64 v5, v10, v9, s[4:5]
	v_bfrev_b32_e32 v10, 60
	v_cndmask_b32_e64 v8, v52, v8, s[4:5]
	v_lshlrev_b32_e32 v9, 16, v4
	v_lshl_add_u32 v5, v5, 23, v10
	v_and_or_b32 v5, v9, s13, v5
	v_lshlrev_b32_e32 v8, 20, v8
	v_or_b32_e32 v9, v5, v8
	v_mov_b32_e32 v8, v53
.LBB235_629:                            ;   in Loop: Header=BB235_410 Depth=1
	s_or_b64 exec, exec, s[30:31]
.LBB235_630:                            ;   in Loop: Header=BB235_410 Depth=1
	s_or_b64 exec, exec, s[28:29]
.LBB235_631:                            ;   in Loop: Header=BB235_410 Depth=1
	s_or_b64 exec, exec, s[26:27]
	v_lshrrev_b32_e32 v16, 16, v4
	v_pk_mov_b32 v[12:13], 0, 0
	v_cmp_ne_u16_sdwa s[4:5], v16, v53 src0_sel:BYTE_0 src1_sel:DWORD
	v_pk_mov_b32 v[10:11], v[12:13], v[12:13] op_sel:[0,1]
	s_and_saveexec_b64 s[26:27], s[4:5]
	s_cbranch_execz .LBB235_637
; %bb.632:                              ;   in Loop: Header=BB235_410 Depth=1
	v_bfrev_b32_e32 v10, 1
	v_cmp_ne_u16_sdwa s[4:5], v16, s7 src0_sel:BYTE_0 src1_sel:DWORD
	v_mov_b32_e32 v11, 0
	s_and_saveexec_b64 s[28:29], s[4:5]
	s_cbranch_execz .LBB235_636
; %bb.633:                              ;   in Loop: Header=BB235_410 Depth=1
	v_bfe_u32 v5, v4, 16, 7
	v_mov_b32_e32 v10, 0x7f800001
	v_cmp_ne_u32_e64 s[4:5], s15, v5
	v_mov_b32_e32 v11, 0
	s_and_saveexec_b64 s[30:31], s[4:5]
	s_cbranch_execz .LBB235_635
; %bb.634:                              ;   in Loop: Header=BB235_410 Depth=1
	v_and_b32_e32 v17, 7, v16
	v_ffbh_u32_e32 v10, v17
	v_min_u32_e32 v19, 32, v10
	v_subrev_u32_e32 v10, 28, v19
	v_lshlrev_b64 v[10:11], v10, v[16:17]
	v_lshrrev_b32_e32 v18, 3, v5
	v_sub_u32_e32 v11, 29, v19
	v_and_b32_e32 v10, 7, v10
	v_cmp_gt_u32_e64 s[4:5], 8, v5
	v_cndmask_b32_e64 v5, v18, v11, s[4:5]
	v_cndmask_b32_e64 v10, v17, v10, s[4:5]
	v_and_b32_sdwa v11, sext(v16), s13 dst_sel:DWORD dst_unused:UNUSED_PAD src0_sel:BYTE_0 src1_sel:DWORD
	v_bfrev_b32_e32 v16, 60
	v_lshlrev_b32_e32 v10, 20, v10
	v_lshl_add_u32 v5, v5, 23, v16
	v_or3_b32 v52, v11, v5, v10
	v_pk_mov_b32 v[10:11], v[52:53], v[52:53] op_sel:[0,1]
.LBB235_635:                            ;   in Loop: Header=BB235_410 Depth=1
	s_or_b64 exec, exec, s[30:31]
.LBB235_636:                            ;   in Loop: Header=BB235_410 Depth=1
	s_or_b64 exec, exec, s[28:29]
.LBB235_637:                            ;   in Loop: Header=BB235_410 Depth=1
	s_or_b64 exec, exec, s[26:27]
	v_cmp_lt_u32_e64 s[4:5], s34, v4
	s_and_saveexec_b64 s[26:27], s[4:5]
	s_cbranch_execz .LBB235_643
; %bb.638:                              ;   in Loop: Header=BB235_410 Depth=1
	v_cmp_ne_u32_sdwa s[4:5], v4, s7 src0_sel:BYTE_3 src1_sel:DWORD
	v_pk_mov_b32 v[12:13], s[12:13], s[12:13] op_sel:[0,1]
	s_and_saveexec_b64 s[28:29], s[4:5]
	s_cbranch_execz .LBB235_642
; %bb.639:                              ;   in Loop: Header=BB235_410 Depth=1
	v_bfe_u32 v5, v4, 24, 7
	s_mov_b32 s22, s12
	v_cmp_ne_u32_e64 s[4:5], s15, v5
	v_pk_mov_b32 v[12:13], s[22:23], s[22:23] op_sel:[0,1]
	s_and_saveexec_b64 s[30:31], s[4:5]
	s_cbranch_execz .LBB235_641
; %bb.640:                              ;   in Loop: Header=BB235_410 Depth=1
	v_mov_b32_e32 v12, 7
	v_and_b32_sdwa v52, v4, v12 dst_sel:DWORD dst_unused:UNUSED_PAD src0_sel:BYTE_3 src1_sel:DWORD
	v_ffbh_u32_e32 v12, v52
	v_min_u32_e32 v17, 32, v12
	v_subrev_u32_e32 v12, 28, v17
	v_lshlrev_b64 v[12:13], v12, v[52:53]
	v_lshrrev_b32_e32 v16, 3, v5
	v_sub_u32_e32 v13, 29, v17
	v_cmp_gt_u32_e64 s[4:5], 8, v5
	v_cndmask_b32_e64 v5, v16, v13, s[4:5]
	v_mov_b32_e32 v13, 24
	v_and_b32_e32 v12, 7, v12
	v_lshlrev_b32_sdwa v4, v13, v4 dst_sel:DWORD dst_unused:UNUSED_PAD src0_sel:DWORD src1_sel:BYTE_3
	v_bfrev_b32_e32 v13, 60
	v_cndmask_b32_e64 v12, v52, v12, s[4:5]
	v_lshl_add_u32 v5, v5, 23, v13
	v_and_or_b32 v4, v4, s13, v5
	v_lshlrev_b32_e32 v5, 20, v12
	v_or_b32_e32 v13, v4, v5
	v_mov_b32_e32 v12, v53
.LBB235_641:                            ;   in Loop: Header=BB235_410 Depth=1
	s_or_b64 exec, exec, s[30:31]
.LBB235_642:                            ;   in Loop: Header=BB235_410 Depth=1
	s_or_b64 exec, exec, s[28:29]
.LBB235_643:                            ;   in Loop: Header=BB235_410 Depth=1
	s_or_b64 exec, exec, s[26:27]
	v_or_b32_e32 v5, v9, v7
	v_or_b32_e32 v4, v8, v6
	v_pk_mul_f32 v[34:35], v[28:29], v[4:5]
	v_or_b32_e32 v5, v13, v11
	v_or_b32_e32 v4, v12, v10
	v_pk_mul_f32 v[4:5], v[28:29], v[4:5]
	s_and_saveexec_b64 s[26:27], vcc
	s_cbranch_execz .LBB235_645
; %bb.644:                              ;   in Loop: Header=BB235_410 Depth=1
	v_accvgpr_read_b32 v6, a10
	v_cmp_lt_i32_e64 s[4:5], v6, v62
	v_accvgpr_read_b32 v6, a37
	v_cndmask_b32_e64 v34, 0, v34, s[4:5]
	v_cmp_lt_i32_e64 s[4:5], v6, v62
	v_accvgpr_read_b32 v6, a35
	v_cndmask_b32_e64 v35, 0, v35, s[4:5]
	;; [unrolled: 3-line block ×3, first 2 shown]
	v_cmp_lt_i32_e64 s[4:5], v6, v62
	v_cndmask_b32_e64 v5, 0, v5, s[4:5]
.LBB235_645:                            ;   in Loop: Header=BB235_410 Depth=1
	s_or_b64 exec, exec, s[26:27]
	flat_load_dword v6, v[24:25] offset:2304
	v_pk_mov_b32 v[10:11], 0, 0
	v_pk_mov_b32 v[8:9], v[10:11], v[10:11] op_sel:[0,1]
	s_waitcnt vmcnt(0) lgkmcnt(0)
	v_cmp_ne_u16_sdwa s[4:5], v6, v53 src0_sel:BYTE_0 src1_sel:DWORD
	s_and_saveexec_b64 s[26:27], s[4:5]
	s_cbranch_execz .LBB235_651
; %bb.646:                              ;   in Loop: Header=BB235_410 Depth=1
	v_bfrev_b32_e32 v8, 1
	v_cmp_ne_u16_sdwa s[4:5], v6, s7 src0_sel:BYTE_0 src1_sel:DWORD
	v_mov_b32_e32 v9, 0
	s_and_saveexec_b64 s[28:29], s[4:5]
	s_cbranch_execz .LBB235_650
; %bb.647:                              ;   in Loop: Header=BB235_410 Depth=1
	v_and_b32_e32 v7, 0x7f, v6
	v_mov_b32_e32 v8, 0x7f800001
	v_cmp_ne_u32_e64 s[4:5], s15, v7
	v_mov_b32_e32 v9, 0
	s_and_saveexec_b64 s[30:31], s[4:5]
	s_cbranch_execz .LBB235_649
; %bb.648:                              ;   in Loop: Header=BB235_410 Depth=1
	v_and_b32_e32 v12, 7, v6
	v_ffbh_u32_e32 v8, v12
	v_min_u32_e32 v16, 32, v8
	v_subrev_u32_e32 v8, 28, v16
	v_lshlrev_b64 v[8:9], v8, v[6:7]
	v_lshrrev_b32_e32 v13, 3, v7
	v_sub_u32_e32 v9, 29, v16
	v_and_b32_e32 v8, 7, v8
	v_cmp_gt_u32_e64 s[4:5], 8, v7
	v_cndmask_b32_e64 v7, v13, v9, s[4:5]
	v_cndmask_b32_e64 v8, v12, v8, s[4:5]
	v_bfrev_b32_e32 v12, 60
	v_lshlrev_b32_e32 v8, 20, v8
	v_and_b32_sdwa v9, sext(v6), s13 dst_sel:DWORD dst_unused:UNUSED_PAD src0_sel:BYTE_0 src1_sel:DWORD
	v_lshl_add_u32 v7, v7, 23, v12
	v_or3_b32 v52, v9, v7, v8
	v_pk_mov_b32 v[8:9], v[52:53], v[52:53] op_sel:[0,1]
.LBB235_649:                            ;   in Loop: Header=BB235_410 Depth=1
	s_or_b64 exec, exec, s[30:31]
.LBB235_650:                            ;   in Loop: Header=BB235_410 Depth=1
	s_or_b64 exec, exec, s[28:29]
.LBB235_651:                            ;   in Loop: Header=BB235_410 Depth=1
	s_or_b64 exec, exec, s[26:27]
	v_cmp_ne_u16_sdwa s[4:5], v6, v53 src0_sel:BYTE_1 src1_sel:DWORD
	s_and_saveexec_b64 s[26:27], s[4:5]
	s_cbranch_execz .LBB235_657
; %bb.652:                              ;   in Loop: Header=BB235_410 Depth=1
	v_cmp_ne_u16_sdwa s[4:5], v6, s7 src0_sel:BYTE_1 src1_sel:DWORD
	v_pk_mov_b32 v[10:11], s[12:13], s[12:13] op_sel:[0,1]
	s_and_saveexec_b64 s[28:29], s[4:5]
	s_cbranch_execz .LBB235_656
; %bb.653:                              ;   in Loop: Header=BB235_410 Depth=1
	v_and_b32_sdwa v7, v6, s15 dst_sel:DWORD dst_unused:UNUSED_PAD src0_sel:BYTE_1 src1_sel:DWORD
	s_mov_b32 s22, s12
	v_cmp_ne_u32_e64 s[4:5], s15, v7
	v_pk_mov_b32 v[10:11], s[22:23], s[22:23] op_sel:[0,1]
	s_and_saveexec_b64 s[30:31], s[4:5]
	s_cbranch_execz .LBB235_655
; %bb.654:                              ;   in Loop: Header=BB235_410 Depth=1
	v_mov_b32_e32 v10, 7
	v_and_b32_sdwa v52, v6, v10 dst_sel:DWORD dst_unused:UNUSED_PAD src0_sel:BYTE_1 src1_sel:DWORD
	v_ffbh_u32_e32 v10, v52
	v_min_u32_e32 v13, 32, v10
	v_subrev_u32_e32 v10, 28, v13
	v_lshlrev_b64 v[10:11], v10, v[52:53]
	v_lshrrev_b32_e32 v12, 3, v7
	v_sub_u32_e32 v11, 29, v13
	v_cmp_gt_u32_e64 s[4:5], 8, v7
	v_and_b32_e32 v10, 7, v10
	v_cndmask_b32_e64 v7, v12, v11, s[4:5]
	v_bfrev_b32_e32 v12, 60
	v_cndmask_b32_e64 v10, v52, v10, s[4:5]
	v_lshlrev_b32_e32 v11, 16, v6
	v_lshl_add_u32 v7, v7, 23, v12
	v_and_or_b32 v7, v11, s13, v7
	v_lshlrev_b32_e32 v10, 20, v10
	v_or_b32_e32 v11, v7, v10
	v_mov_b32_e32 v10, v53
.LBB235_655:                            ;   in Loop: Header=BB235_410 Depth=1
	s_or_b64 exec, exec, s[30:31]
.LBB235_656:                            ;   in Loop: Header=BB235_410 Depth=1
	s_or_b64 exec, exec, s[28:29]
.LBB235_657:                            ;   in Loop: Header=BB235_410 Depth=1
	s_or_b64 exec, exec, s[26:27]
	v_lshrrev_b32_e32 v18, 16, v6
	v_pk_mov_b32 v[16:17], 0, 0
	v_cmp_ne_u16_sdwa s[4:5], v18, v53 src0_sel:BYTE_0 src1_sel:DWORD
	v_pk_mov_b32 v[12:13], v[16:17], v[16:17] op_sel:[0,1]
	s_and_saveexec_b64 s[26:27], s[4:5]
	s_cbranch_execz .LBB235_663
; %bb.658:                              ;   in Loop: Header=BB235_410 Depth=1
	v_bfrev_b32_e32 v12, 1
	v_cmp_ne_u16_sdwa s[4:5], v18, s7 src0_sel:BYTE_0 src1_sel:DWORD
	v_mov_b32_e32 v13, 0
	s_and_saveexec_b64 s[28:29], s[4:5]
	s_cbranch_execz .LBB235_662
; %bb.659:                              ;   in Loop: Header=BB235_410 Depth=1
	v_bfe_u32 v7, v6, 16, 7
	v_mov_b32_e32 v12, 0x7f800001
	v_cmp_ne_u32_e64 s[4:5], s15, v7
	v_mov_b32_e32 v13, 0
	s_and_saveexec_b64 s[30:31], s[4:5]
	s_cbranch_execz .LBB235_661
; %bb.660:                              ;   in Loop: Header=BB235_410 Depth=1
	v_and_b32_e32 v19, 7, v18
	v_ffbh_u32_e32 v12, v19
	v_min_u32_e32 v21, 32, v12
	v_subrev_u32_e32 v12, 28, v21
	v_lshlrev_b64 v[12:13], v12, v[18:19]
	v_lshrrev_b32_e32 v20, 3, v7
	v_sub_u32_e32 v13, 29, v21
	v_and_b32_e32 v12, 7, v12
	v_cmp_gt_u32_e64 s[4:5], 8, v7
	v_cndmask_b32_e64 v7, v20, v13, s[4:5]
	v_cndmask_b32_e64 v12, v19, v12, s[4:5]
	v_and_b32_sdwa v13, sext(v18), s13 dst_sel:DWORD dst_unused:UNUSED_PAD src0_sel:BYTE_0 src1_sel:DWORD
	v_bfrev_b32_e32 v18, 60
	v_lshlrev_b32_e32 v12, 20, v12
	v_lshl_add_u32 v7, v7, 23, v18
	v_or3_b32 v52, v13, v7, v12
	v_pk_mov_b32 v[12:13], v[52:53], v[52:53] op_sel:[0,1]
.LBB235_661:                            ;   in Loop: Header=BB235_410 Depth=1
	s_or_b64 exec, exec, s[30:31]
.LBB235_662:                            ;   in Loop: Header=BB235_410 Depth=1
	s_or_b64 exec, exec, s[28:29]
.LBB235_663:                            ;   in Loop: Header=BB235_410 Depth=1
	s_or_b64 exec, exec, s[26:27]
	v_cmp_lt_u32_e64 s[4:5], s34, v6
	s_and_saveexec_b64 s[26:27], s[4:5]
	s_cbranch_execz .LBB235_669
; %bb.664:                              ;   in Loop: Header=BB235_410 Depth=1
	v_cmp_ne_u32_sdwa s[4:5], v6, s7 src0_sel:BYTE_3 src1_sel:DWORD
	v_pk_mov_b32 v[16:17], s[12:13], s[12:13] op_sel:[0,1]
	s_and_saveexec_b64 s[28:29], s[4:5]
	s_cbranch_execz .LBB235_668
; %bb.665:                              ;   in Loop: Header=BB235_410 Depth=1
	v_bfe_u32 v7, v6, 24, 7
	s_mov_b32 s22, s12
	v_cmp_ne_u32_e64 s[4:5], s15, v7
	v_pk_mov_b32 v[16:17], s[22:23], s[22:23] op_sel:[0,1]
	s_and_saveexec_b64 s[30:31], s[4:5]
	s_cbranch_execz .LBB235_667
; %bb.666:                              ;   in Loop: Header=BB235_410 Depth=1
	v_mov_b32_e32 v16, 7
	v_and_b32_sdwa v52, v6, v16 dst_sel:DWORD dst_unused:UNUSED_PAD src0_sel:BYTE_3 src1_sel:DWORD
	v_ffbh_u32_e32 v16, v52
	v_min_u32_e32 v19, 32, v16
	v_subrev_u32_e32 v16, 28, v19
	v_lshlrev_b64 v[16:17], v16, v[52:53]
	v_lshrrev_b32_e32 v18, 3, v7
	v_sub_u32_e32 v17, 29, v19
	v_cmp_gt_u32_e64 s[4:5], 8, v7
	v_cndmask_b32_e64 v7, v18, v17, s[4:5]
	v_mov_b32_e32 v17, 24
	v_and_b32_e32 v16, 7, v16
	v_lshlrev_b32_sdwa v6, v17, v6 dst_sel:DWORD dst_unused:UNUSED_PAD src0_sel:DWORD src1_sel:BYTE_3
	v_bfrev_b32_e32 v17, 60
	v_cndmask_b32_e64 v16, v52, v16, s[4:5]
	v_lshl_add_u32 v7, v7, 23, v17
	v_and_or_b32 v6, v6, s13, v7
	v_lshlrev_b32_e32 v7, 20, v16
	v_or_b32_e32 v17, v6, v7
	v_mov_b32_e32 v16, v53
.LBB235_667:                            ;   in Loop: Header=BB235_410 Depth=1
	s_or_b64 exec, exec, s[30:31]
.LBB235_668:                            ;   in Loop: Header=BB235_410 Depth=1
	s_or_b64 exec, exec, s[28:29]
.LBB235_669:                            ;   in Loop: Header=BB235_410 Depth=1
	s_or_b64 exec, exec, s[26:27]
	v_or_b32_e32 v7, v11, v9
	v_or_b32_e32 v6, v10, v8
	;; [unrolled: 1-line block ×4, first 2 shown]
	v_pk_mul_f32 v[6:7], v[28:29], v[6:7]
	v_pk_mul_f32 v[8:9], v[28:29], v[8:9]
	s_and_saveexec_b64 s[26:27], vcc
	s_cbranch_execz .LBB235_671
; %bb.670:                              ;   in Loop: Header=BB235_410 Depth=1
	v_accvgpr_read_b32 v10, a10
	v_cmp_lt_i32_e64 s[4:5], v10, v62
	v_accvgpr_read_b32 v10, a37
	v_cndmask_b32_e64 v6, 0, v6, s[4:5]
	v_cmp_lt_i32_e64 s[4:5], v10, v62
	v_accvgpr_read_b32 v10, a35
	v_cndmask_b32_e64 v7, 0, v7, s[4:5]
	;; [unrolled: 3-line block ×3, first 2 shown]
	v_cmp_lt_i32_e64 s[4:5], v10, v62
	v_cndmask_b32_e64 v9, 0, v9, s[4:5]
.LBB235_671:                            ;   in Loop: Header=BB235_410 Depth=1
	s_or_b64 exec, exec, s[26:27]
	flat_load_dword v10, v[24:25] offset:2560
	v_pk_mov_b32 v[16:17], 0, 0
	v_pk_mov_b32 v[12:13], v[16:17], v[16:17] op_sel:[0,1]
	s_waitcnt vmcnt(0) lgkmcnt(0)
	v_cmp_ne_u16_sdwa s[4:5], v10, v53 src0_sel:BYTE_0 src1_sel:DWORD
	s_and_saveexec_b64 s[26:27], s[4:5]
	s_cbranch_execz .LBB235_677
; %bb.672:                              ;   in Loop: Header=BB235_410 Depth=1
	v_bfrev_b32_e32 v12, 1
	v_cmp_ne_u16_sdwa s[4:5], v10, s7 src0_sel:BYTE_0 src1_sel:DWORD
	v_mov_b32_e32 v13, 0
	s_and_saveexec_b64 s[28:29], s[4:5]
	s_cbranch_execz .LBB235_676
; %bb.673:                              ;   in Loop: Header=BB235_410 Depth=1
	v_and_b32_e32 v11, 0x7f, v10
	v_mov_b32_e32 v12, 0x7f800001
	v_cmp_ne_u32_e64 s[4:5], s15, v11
	v_mov_b32_e32 v13, 0
	s_and_saveexec_b64 s[30:31], s[4:5]
	s_cbranch_execz .LBB235_675
; %bb.674:                              ;   in Loop: Header=BB235_410 Depth=1
	v_and_b32_e32 v18, 7, v10
	v_ffbh_u32_e32 v12, v18
	v_min_u32_e32 v20, 32, v12
	v_subrev_u32_e32 v12, 28, v20
	v_lshlrev_b64 v[12:13], v12, v[10:11]
	v_lshrrev_b32_e32 v19, 3, v11
	v_sub_u32_e32 v13, 29, v20
	v_and_b32_e32 v12, 7, v12
	v_cmp_gt_u32_e64 s[4:5], 8, v11
	v_cndmask_b32_e64 v11, v19, v13, s[4:5]
	v_cndmask_b32_e64 v12, v18, v12, s[4:5]
	v_bfrev_b32_e32 v18, 60
	v_lshlrev_b32_e32 v12, 20, v12
	v_and_b32_sdwa v13, sext(v10), s13 dst_sel:DWORD dst_unused:UNUSED_PAD src0_sel:BYTE_0 src1_sel:DWORD
	v_lshl_add_u32 v11, v11, 23, v18
	v_or3_b32 v52, v13, v11, v12
	v_pk_mov_b32 v[12:13], v[52:53], v[52:53] op_sel:[0,1]
.LBB235_675:                            ;   in Loop: Header=BB235_410 Depth=1
	s_or_b64 exec, exec, s[30:31]
.LBB235_676:                            ;   in Loop: Header=BB235_410 Depth=1
	s_or_b64 exec, exec, s[28:29]
.LBB235_677:                            ;   in Loop: Header=BB235_410 Depth=1
	s_or_b64 exec, exec, s[26:27]
	v_cmp_ne_u16_sdwa s[4:5], v10, v53 src0_sel:BYTE_1 src1_sel:DWORD
	s_and_saveexec_b64 s[26:27], s[4:5]
	s_cbranch_execz .LBB235_683
; %bb.678:                              ;   in Loop: Header=BB235_410 Depth=1
	v_cmp_ne_u16_sdwa s[4:5], v10, s7 src0_sel:BYTE_1 src1_sel:DWORD
	v_pk_mov_b32 v[16:17], s[12:13], s[12:13] op_sel:[0,1]
	s_and_saveexec_b64 s[28:29], s[4:5]
	s_cbranch_execz .LBB235_682
; %bb.679:                              ;   in Loop: Header=BB235_410 Depth=1
	v_and_b32_sdwa v11, v10, s15 dst_sel:DWORD dst_unused:UNUSED_PAD src0_sel:BYTE_1 src1_sel:DWORD
	s_mov_b32 s22, s12
	v_cmp_ne_u32_e64 s[4:5], s15, v11
	v_pk_mov_b32 v[16:17], s[22:23], s[22:23] op_sel:[0,1]
	s_and_saveexec_b64 s[30:31], s[4:5]
	s_cbranch_execz .LBB235_681
; %bb.680:                              ;   in Loop: Header=BB235_410 Depth=1
	v_mov_b32_e32 v16, 7
	v_and_b32_sdwa v52, v10, v16 dst_sel:DWORD dst_unused:UNUSED_PAD src0_sel:BYTE_1 src1_sel:DWORD
	v_ffbh_u32_e32 v16, v52
	v_min_u32_e32 v19, 32, v16
	v_subrev_u32_e32 v16, 28, v19
	v_lshlrev_b64 v[16:17], v16, v[52:53]
	v_lshrrev_b32_e32 v18, 3, v11
	v_sub_u32_e32 v17, 29, v19
	v_cmp_gt_u32_e64 s[4:5], 8, v11
	v_and_b32_e32 v16, 7, v16
	v_cndmask_b32_e64 v11, v18, v17, s[4:5]
	v_bfrev_b32_e32 v18, 60
	v_cndmask_b32_e64 v16, v52, v16, s[4:5]
	v_lshlrev_b32_e32 v17, 16, v10
	v_lshl_add_u32 v11, v11, 23, v18
	v_and_or_b32 v11, v17, s13, v11
	v_lshlrev_b32_e32 v16, 20, v16
	v_or_b32_e32 v17, v11, v16
	v_mov_b32_e32 v16, v53
.LBB235_681:                            ;   in Loop: Header=BB235_410 Depth=1
	s_or_b64 exec, exec, s[30:31]
.LBB235_682:                            ;   in Loop: Header=BB235_410 Depth=1
	s_or_b64 exec, exec, s[28:29]
.LBB235_683:                            ;   in Loop: Header=BB235_410 Depth=1
	s_or_b64 exec, exec, s[26:27]
	v_lshrrev_b32_e32 v22, 16, v10
	v_pk_mov_b32 v[20:21], 0, 0
	v_cmp_ne_u16_sdwa s[4:5], v22, v53 src0_sel:BYTE_0 src1_sel:DWORD
	v_pk_mov_b32 v[18:19], v[20:21], v[20:21] op_sel:[0,1]
	s_and_saveexec_b64 s[26:27], s[4:5]
	s_cbranch_execz .LBB235_689
; %bb.684:                              ;   in Loop: Header=BB235_410 Depth=1
	v_bfrev_b32_e32 v18, 1
	v_cmp_ne_u16_sdwa s[4:5], v22, s7 src0_sel:BYTE_0 src1_sel:DWORD
	v_mov_b32_e32 v19, 0
	s_and_saveexec_b64 s[28:29], s[4:5]
	s_cbranch_execz .LBB235_688
; %bb.685:                              ;   in Loop: Header=BB235_410 Depth=1
	v_bfe_u32 v11, v10, 16, 7
	v_mov_b32_e32 v18, 0x7f800001
	v_cmp_ne_u32_e64 s[4:5], s15, v11
	v_mov_b32_e32 v19, 0
	s_and_saveexec_b64 s[30:31], s[4:5]
	s_cbranch_execz .LBB235_687
; %bb.686:                              ;   in Loop: Header=BB235_410 Depth=1
	v_and_b32_e32 v23, 7, v22
	v_ffbh_u32_e32 v18, v23
	v_min_u32_e32 v31, 32, v18
	v_subrev_u32_e32 v18, 28, v31
	v_lshlrev_b64 v[18:19], v18, v[22:23]
	v_lshrrev_b32_e32 v30, 3, v11
	v_sub_u32_e32 v19, 29, v31
	v_and_b32_e32 v18, 7, v18
	v_cmp_gt_u32_e64 s[4:5], 8, v11
	v_cndmask_b32_e64 v11, v30, v19, s[4:5]
	v_cndmask_b32_e64 v18, v23, v18, s[4:5]
	v_and_b32_sdwa v19, sext(v22), s13 dst_sel:DWORD dst_unused:UNUSED_PAD src0_sel:BYTE_0 src1_sel:DWORD
	v_bfrev_b32_e32 v22, 60
	v_lshlrev_b32_e32 v18, 20, v18
	v_lshl_add_u32 v11, v11, 23, v22
	v_or3_b32 v52, v19, v11, v18
	v_pk_mov_b32 v[18:19], v[52:53], v[52:53] op_sel:[0,1]
.LBB235_687:                            ;   in Loop: Header=BB235_410 Depth=1
	s_or_b64 exec, exec, s[30:31]
.LBB235_688:                            ;   in Loop: Header=BB235_410 Depth=1
	s_or_b64 exec, exec, s[28:29]
.LBB235_689:                            ;   in Loop: Header=BB235_410 Depth=1
	s_or_b64 exec, exec, s[26:27]
	v_cmp_lt_u32_e64 s[4:5], s34, v10
	s_and_saveexec_b64 s[26:27], s[4:5]
	s_cbranch_execz .LBB235_695
; %bb.690:                              ;   in Loop: Header=BB235_410 Depth=1
	v_cmp_ne_u32_sdwa s[4:5], v10, s7 src0_sel:BYTE_3 src1_sel:DWORD
	v_pk_mov_b32 v[20:21], s[12:13], s[12:13] op_sel:[0,1]
	s_and_saveexec_b64 s[28:29], s[4:5]
	s_cbranch_execz .LBB235_694
; %bb.691:                              ;   in Loop: Header=BB235_410 Depth=1
	v_bfe_u32 v11, v10, 24, 7
	s_mov_b32 s22, s12
	v_cmp_ne_u32_e64 s[4:5], s15, v11
	v_pk_mov_b32 v[20:21], s[22:23], s[22:23] op_sel:[0,1]
	s_and_saveexec_b64 s[30:31], s[4:5]
	s_cbranch_execz .LBB235_693
; %bb.692:                              ;   in Loop: Header=BB235_410 Depth=1
	v_mov_b32_e32 v20, 7
	v_and_b32_sdwa v52, v10, v20 dst_sel:DWORD dst_unused:UNUSED_PAD src0_sel:BYTE_3 src1_sel:DWORD
	v_ffbh_u32_e32 v20, v52
	v_min_u32_e32 v23, 32, v20
	v_subrev_u32_e32 v20, 28, v23
	v_lshlrev_b64 v[20:21], v20, v[52:53]
	v_lshrrev_b32_e32 v22, 3, v11
	v_sub_u32_e32 v21, 29, v23
	v_cmp_gt_u32_e64 s[4:5], 8, v11
	v_cndmask_b32_e64 v11, v22, v21, s[4:5]
	v_mov_b32_e32 v21, 24
	v_and_b32_e32 v20, 7, v20
	v_lshlrev_b32_sdwa v10, v21, v10 dst_sel:DWORD dst_unused:UNUSED_PAD src0_sel:DWORD src1_sel:BYTE_3
	v_bfrev_b32_e32 v21, 60
	v_cndmask_b32_e64 v20, v52, v20, s[4:5]
	v_lshl_add_u32 v11, v11, 23, v21
	v_and_or_b32 v10, v10, s13, v11
	v_lshlrev_b32_e32 v11, 20, v20
	v_or_b32_e32 v21, v10, v11
	v_mov_b32_e32 v20, v53
.LBB235_693:                            ;   in Loop: Header=BB235_410 Depth=1
	s_or_b64 exec, exec, s[30:31]
.LBB235_694:                            ;   in Loop: Header=BB235_410 Depth=1
	s_or_b64 exec, exec, s[28:29]
.LBB235_695:                            ;   in Loop: Header=BB235_410 Depth=1
	s_or_b64 exec, exec, s[26:27]
	v_or_b32_e32 v11, v17, v13
	v_or_b32_e32 v10, v16, v12
	v_pk_mul_f32 v[12:13], v[28:29], v[10:11]
	v_or_b32_e32 v11, v21, v19
	v_or_b32_e32 v10, v20, v18
	v_pk_mul_f32 v[16:17], v[28:29], v[10:11]
	s_and_saveexec_b64 s[26:27], vcc
	s_cbranch_execz .LBB235_697
; %bb.696:                              ;   in Loop: Header=BB235_410 Depth=1
	v_accvgpr_read_b32 v10, a10
	v_cmp_lt_i32_e64 s[4:5], v10, v62
	v_accvgpr_read_b32 v10, a37
	v_cndmask_b32_e64 v12, 0, v12, s[4:5]
	v_cmp_lt_i32_e64 s[4:5], v10, v62
	v_accvgpr_read_b32 v10, a35
	v_cndmask_b32_e64 v13, 0, v13, s[4:5]
	;; [unrolled: 3-line block ×3, first 2 shown]
	v_cmp_lt_i32_e64 s[4:5], v10, v62
	v_cndmask_b32_e64 v17, 0, v17, s[4:5]
.LBB235_697:                            ;   in Loop: Header=BB235_410 Depth=1
	s_or_b64 exec, exec, s[26:27]
	flat_load_dword v10, v[24:25] offset:2816
	v_pk_mov_b32 v[20:21], 0, 0
	v_pk_mov_b32 v[18:19], v[20:21], v[20:21] op_sel:[0,1]
	s_waitcnt vmcnt(0) lgkmcnt(0)
	v_cmp_ne_u16_sdwa s[4:5], v10, v53 src0_sel:BYTE_0 src1_sel:DWORD
	s_and_saveexec_b64 s[26:27], s[4:5]
	s_cbranch_execz .LBB235_703
; %bb.698:                              ;   in Loop: Header=BB235_410 Depth=1
	v_bfrev_b32_e32 v18, 1
	v_cmp_ne_u16_sdwa s[4:5], v10, s7 src0_sel:BYTE_0 src1_sel:DWORD
	v_mov_b32_e32 v19, 0
	s_and_saveexec_b64 s[28:29], s[4:5]
	s_cbranch_execz .LBB235_702
; %bb.699:                              ;   in Loop: Header=BB235_410 Depth=1
	v_and_b32_e32 v11, 0x7f, v10
	v_mov_b32_e32 v18, 0x7f800001
	v_cmp_ne_u32_e64 s[4:5], s15, v11
	v_mov_b32_e32 v19, 0
	s_and_saveexec_b64 s[30:31], s[4:5]
	s_cbranch_execz .LBB235_701
; %bb.700:                              ;   in Loop: Header=BB235_410 Depth=1
	v_and_b32_e32 v22, 7, v10
	v_ffbh_u32_e32 v18, v22
	v_min_u32_e32 v30, 32, v18
	v_subrev_u32_e32 v18, 28, v30
	v_lshlrev_b64 v[18:19], v18, v[10:11]
	v_lshrrev_b32_e32 v23, 3, v11
	v_sub_u32_e32 v19, 29, v30
	v_and_b32_e32 v18, 7, v18
	v_cmp_gt_u32_e64 s[4:5], 8, v11
	v_cndmask_b32_e64 v11, v23, v19, s[4:5]
	v_cndmask_b32_e64 v18, v22, v18, s[4:5]
	v_bfrev_b32_e32 v22, 60
	v_lshlrev_b32_e32 v18, 20, v18
	v_and_b32_sdwa v19, sext(v10), s13 dst_sel:DWORD dst_unused:UNUSED_PAD src0_sel:BYTE_0 src1_sel:DWORD
	v_lshl_add_u32 v11, v11, 23, v22
	v_or3_b32 v52, v19, v11, v18
	v_pk_mov_b32 v[18:19], v[52:53], v[52:53] op_sel:[0,1]
.LBB235_701:                            ;   in Loop: Header=BB235_410 Depth=1
	s_or_b64 exec, exec, s[30:31]
.LBB235_702:                            ;   in Loop: Header=BB235_410 Depth=1
	s_or_b64 exec, exec, s[28:29]
.LBB235_703:                            ;   in Loop: Header=BB235_410 Depth=1
	s_or_b64 exec, exec, s[26:27]
	v_cmp_ne_u16_sdwa s[4:5], v10, v53 src0_sel:BYTE_1 src1_sel:DWORD
	s_and_saveexec_b64 s[26:27], s[4:5]
	s_cbranch_execz .LBB235_709
; %bb.704:                              ;   in Loop: Header=BB235_410 Depth=1
	v_cmp_ne_u16_sdwa s[4:5], v10, s7 src0_sel:BYTE_1 src1_sel:DWORD
	v_pk_mov_b32 v[20:21], s[12:13], s[12:13] op_sel:[0,1]
	s_and_saveexec_b64 s[28:29], s[4:5]
	s_cbranch_execz .LBB235_708
; %bb.705:                              ;   in Loop: Header=BB235_410 Depth=1
	v_and_b32_sdwa v11, v10, s15 dst_sel:DWORD dst_unused:UNUSED_PAD src0_sel:BYTE_1 src1_sel:DWORD
	s_mov_b32 s22, s12
	v_cmp_ne_u32_e64 s[4:5], s15, v11
	v_pk_mov_b32 v[20:21], s[22:23], s[22:23] op_sel:[0,1]
	s_and_saveexec_b64 s[30:31], s[4:5]
	s_cbranch_execz .LBB235_707
; %bb.706:                              ;   in Loop: Header=BB235_410 Depth=1
	v_mov_b32_e32 v20, 7
	v_and_b32_sdwa v52, v10, v20 dst_sel:DWORD dst_unused:UNUSED_PAD src0_sel:BYTE_1 src1_sel:DWORD
	v_ffbh_u32_e32 v20, v52
	v_min_u32_e32 v23, 32, v20
	v_subrev_u32_e32 v20, 28, v23
	v_lshlrev_b64 v[20:21], v20, v[52:53]
	v_lshrrev_b32_e32 v22, 3, v11
	v_sub_u32_e32 v21, 29, v23
	v_cmp_gt_u32_e64 s[4:5], 8, v11
	v_and_b32_e32 v20, 7, v20
	v_cndmask_b32_e64 v11, v22, v21, s[4:5]
	v_bfrev_b32_e32 v22, 60
	v_cndmask_b32_e64 v20, v52, v20, s[4:5]
	v_lshlrev_b32_e32 v21, 16, v10
	v_lshl_add_u32 v11, v11, 23, v22
	v_and_or_b32 v11, v21, s13, v11
	v_lshlrev_b32_e32 v20, 20, v20
	v_or_b32_e32 v21, v11, v20
	v_mov_b32_e32 v20, v53
.LBB235_707:                            ;   in Loop: Header=BB235_410 Depth=1
	s_or_b64 exec, exec, s[30:31]
.LBB235_708:                            ;   in Loop: Header=BB235_410 Depth=1
	s_or_b64 exec, exec, s[28:29]
.LBB235_709:                            ;   in Loop: Header=BB235_410 Depth=1
	s_or_b64 exec, exec, s[26:27]
	v_lshrrev_b32_e32 v32, 16, v10
	v_pk_mov_b32 v[22:23], 0, 0
	v_cmp_ne_u16_sdwa s[4:5], v32, v53 src0_sel:BYTE_0 src1_sel:DWORD
	v_pk_mov_b32 v[30:31], v[22:23], v[22:23] op_sel:[0,1]
	s_and_saveexec_b64 s[26:27], s[4:5]
	s_cbranch_execz .LBB235_715
; %bb.710:                              ;   in Loop: Header=BB235_410 Depth=1
	v_bfrev_b32_e32 v30, 1
	v_cmp_ne_u16_sdwa s[4:5], v32, s7 src0_sel:BYTE_0 src1_sel:DWORD
	v_mov_b32_e32 v31, 0
	s_and_saveexec_b64 s[28:29], s[4:5]
	s_cbranch_execz .LBB235_714
; %bb.711:                              ;   in Loop: Header=BB235_410 Depth=1
	v_bfe_u32 v11, v10, 16, 7
	v_mov_b32_e32 v30, 0x7f800001
	v_cmp_ne_u32_e64 s[4:5], s15, v11
	v_mov_b32_e32 v31, 0
	s_and_saveexec_b64 s[30:31], s[4:5]
	s_cbranch_execz .LBB235_713
; %bb.712:                              ;   in Loop: Header=BB235_410 Depth=1
	v_and_b32_e32 v33, 7, v32
	v_ffbh_u32_e32 v30, v33
	v_min_u32_e32 v37, 32, v30
	v_subrev_u32_e32 v30, 28, v37
	v_lshlrev_b64 v[30:31], v30, v[32:33]
	v_lshrrev_b32_e32 v36, 3, v11
	v_sub_u32_e32 v31, 29, v37
	v_and_b32_e32 v30, 7, v30
	v_cmp_gt_u32_e64 s[4:5], 8, v11
	v_cndmask_b32_e64 v11, v36, v31, s[4:5]
	v_cndmask_b32_e64 v30, v33, v30, s[4:5]
	v_and_b32_sdwa v31, sext(v32), s13 dst_sel:DWORD dst_unused:UNUSED_PAD src0_sel:BYTE_0 src1_sel:DWORD
	v_bfrev_b32_e32 v32, 60
	v_lshlrev_b32_e32 v30, 20, v30
	v_lshl_add_u32 v11, v11, 23, v32
	v_or3_b32 v52, v31, v11, v30
	v_pk_mov_b32 v[30:31], v[52:53], v[52:53] op_sel:[0,1]
.LBB235_713:                            ;   in Loop: Header=BB235_410 Depth=1
	s_or_b64 exec, exec, s[30:31]
.LBB235_714:                            ;   in Loop: Header=BB235_410 Depth=1
	s_or_b64 exec, exec, s[28:29]
.LBB235_715:                            ;   in Loop: Header=BB235_410 Depth=1
	s_or_b64 exec, exec, s[26:27]
	v_cmp_lt_u32_e64 s[4:5], s34, v10
	s_and_saveexec_b64 s[26:27], s[4:5]
	s_cbranch_execz .LBB235_721
; %bb.716:                              ;   in Loop: Header=BB235_410 Depth=1
	v_cmp_ne_u32_sdwa s[4:5], v10, s7 src0_sel:BYTE_3 src1_sel:DWORD
	v_pk_mov_b32 v[22:23], s[12:13], s[12:13] op_sel:[0,1]
	s_and_saveexec_b64 s[28:29], s[4:5]
	s_cbranch_execz .LBB235_720
; %bb.717:                              ;   in Loop: Header=BB235_410 Depth=1
	v_bfe_u32 v11, v10, 24, 7
	s_mov_b32 s22, s12
	v_cmp_ne_u32_e64 s[4:5], s15, v11
	v_pk_mov_b32 v[22:23], s[22:23], s[22:23] op_sel:[0,1]
	s_and_saveexec_b64 s[30:31], s[4:5]
	s_cbranch_execz .LBB235_719
; %bb.718:                              ;   in Loop: Header=BB235_410 Depth=1
	v_mov_b32_e32 v22, 7
	v_and_b32_sdwa v52, v10, v22 dst_sel:DWORD dst_unused:UNUSED_PAD src0_sel:BYTE_3 src1_sel:DWORD
	v_ffbh_u32_e32 v22, v52
	v_min_u32_e32 v33, 32, v22
	v_subrev_u32_e32 v22, 28, v33
	v_lshlrev_b64 v[22:23], v22, v[52:53]
	v_lshrrev_b32_e32 v32, 3, v11
	v_sub_u32_e32 v23, 29, v33
	v_cmp_gt_u32_e64 s[4:5], 8, v11
	v_cndmask_b32_e64 v11, v32, v23, s[4:5]
	v_mov_b32_e32 v23, 24
	v_and_b32_e32 v22, 7, v22
	v_lshlrev_b32_sdwa v10, v23, v10 dst_sel:DWORD dst_unused:UNUSED_PAD src0_sel:DWORD src1_sel:BYTE_3
	v_bfrev_b32_e32 v23, 60
	v_cndmask_b32_e64 v22, v52, v22, s[4:5]
	v_lshl_add_u32 v11, v11, 23, v23
	v_and_or_b32 v10, v10, s13, v11
	v_lshlrev_b32_e32 v11, 20, v22
	v_or_b32_e32 v23, v10, v11
	v_mov_b32_e32 v22, v53
.LBB235_719:                            ;   in Loop: Header=BB235_410 Depth=1
	s_or_b64 exec, exec, s[30:31]
.LBB235_720:                            ;   in Loop: Header=BB235_410 Depth=1
	s_or_b64 exec, exec, s[28:29]
.LBB235_721:                            ;   in Loop: Header=BB235_410 Depth=1
	s_or_b64 exec, exec, s[26:27]
	v_or_b32_e32 v11, v21, v19
	v_or_b32_e32 v10, v20, v18
	v_or_b32_e32 v19, v23, v31
	v_or_b32_e32 v18, v22, v30
	v_pk_mul_f32 v[10:11], v[28:29], v[10:11]
	v_pk_mul_f32 v[18:19], v[28:29], v[18:19]
	s_and_saveexec_b64 s[26:27], vcc
	s_cbranch_execz .LBB235_723
; %bb.722:                              ;   in Loop: Header=BB235_410 Depth=1
	v_accvgpr_read_b32 v20, a10
	v_cmp_lt_i32_e64 s[4:5], v20, v62
	v_accvgpr_read_b32 v20, a37
	v_cndmask_b32_e64 v10, 0, v10, s[4:5]
	v_cmp_lt_i32_e64 s[4:5], v20, v62
	v_accvgpr_read_b32 v20, a35
	v_cndmask_b32_e64 v11, 0, v11, s[4:5]
	;; [unrolled: 3-line block ×3, first 2 shown]
	v_cmp_lt_i32_e64 s[4:5], v20, v62
	v_cndmask_b32_e64 v19, 0, v19, s[4:5]
.LBB235_723:                            ;   in Loop: Header=BB235_410 Depth=1
	s_or_b64 exec, exec, s[26:27]
	flat_load_dword v20, v[24:25] offset:3072
	v_pk_mov_b32 v[32:33], 0, 0
	v_pk_mov_b32 v[30:31], v[32:33], v[32:33] op_sel:[0,1]
	s_waitcnt vmcnt(0) lgkmcnt(0)
	v_cmp_ne_u16_sdwa s[4:5], v20, v53 src0_sel:BYTE_0 src1_sel:DWORD
	s_and_saveexec_b64 s[26:27], s[4:5]
	s_cbranch_execz .LBB235_729
; %bb.724:                              ;   in Loop: Header=BB235_410 Depth=1
	v_bfrev_b32_e32 v30, 1
	v_cmp_ne_u16_sdwa s[4:5], v20, s7 src0_sel:BYTE_0 src1_sel:DWORD
	v_mov_b32_e32 v31, 0
	s_and_saveexec_b64 s[28:29], s[4:5]
	s_cbranch_execz .LBB235_728
; %bb.725:                              ;   in Loop: Header=BB235_410 Depth=1
	v_and_b32_e32 v21, 0x7f, v20
	v_mov_b32_e32 v30, 0x7f800001
	v_cmp_ne_u32_e64 s[4:5], s15, v21
	v_mov_b32_e32 v31, 0
	s_and_saveexec_b64 s[30:31], s[4:5]
	s_cbranch_execz .LBB235_727
; %bb.726:                              ;   in Loop: Header=BB235_410 Depth=1
	v_and_b32_e32 v30, 7, v20
	v_ffbh_u32_e32 v22, v30
	v_min_u32_e32 v36, 32, v22
	v_subrev_u32_e32 v22, 28, v36
	v_lshlrev_b64 v[22:23], v22, v[20:21]
	v_lshrrev_b32_e32 v31, 3, v21
	v_sub_u32_e32 v23, 29, v36
	v_and_b32_e32 v22, 7, v22
	v_cmp_gt_u32_e64 s[4:5], 8, v21
	v_cndmask_b32_e64 v21, v31, v23, s[4:5]
	v_cndmask_b32_e64 v22, v30, v22, s[4:5]
	v_bfrev_b32_e32 v30, 60
	v_lshlrev_b32_e32 v22, 20, v22
	v_and_b32_sdwa v23, sext(v20), s13 dst_sel:DWORD dst_unused:UNUSED_PAD src0_sel:BYTE_0 src1_sel:DWORD
	v_lshl_add_u32 v21, v21, 23, v30
	v_or3_b32 v52, v23, v21, v22
	v_pk_mov_b32 v[30:31], v[52:53], v[52:53] op_sel:[0,1]
.LBB235_727:                            ;   in Loop: Header=BB235_410 Depth=1
	s_or_b64 exec, exec, s[30:31]
.LBB235_728:                            ;   in Loop: Header=BB235_410 Depth=1
	s_or_b64 exec, exec, s[28:29]
.LBB235_729:                            ;   in Loop: Header=BB235_410 Depth=1
	s_or_b64 exec, exec, s[26:27]
	v_cmp_ne_u16_sdwa s[4:5], v20, v53 src0_sel:BYTE_1 src1_sel:DWORD
	s_and_saveexec_b64 s[26:27], s[4:5]
	s_cbranch_execz .LBB235_735
; %bb.730:                              ;   in Loop: Header=BB235_410 Depth=1
	v_cmp_ne_u16_sdwa s[4:5], v20, s7 src0_sel:BYTE_1 src1_sel:DWORD
	v_pk_mov_b32 v[32:33], s[12:13], s[12:13] op_sel:[0,1]
	s_and_saveexec_b64 s[28:29], s[4:5]
	s_cbranch_execz .LBB235_734
; %bb.731:                              ;   in Loop: Header=BB235_410 Depth=1
	v_and_b32_sdwa v21, v20, s15 dst_sel:DWORD dst_unused:UNUSED_PAD src0_sel:BYTE_1 src1_sel:DWORD
	s_mov_b32 s22, s12
	v_cmp_ne_u32_e64 s[4:5], s15, v21
	v_pk_mov_b32 v[32:33], s[22:23], s[22:23] op_sel:[0,1]
	s_and_saveexec_b64 s[30:31], s[4:5]
	s_cbranch_execz .LBB235_733
; %bb.732:                              ;   in Loop: Header=BB235_410 Depth=1
	v_mov_b32_e32 v22, 7
	v_and_b32_sdwa v52, v20, v22 dst_sel:DWORD dst_unused:UNUSED_PAD src0_sel:BYTE_1 src1_sel:DWORD
	v_ffbh_u32_e32 v22, v52
	v_min_u32_e32 v33, 32, v22
	v_subrev_u32_e32 v22, 28, v33
	v_lshlrev_b64 v[22:23], v22, v[52:53]
	v_lshrrev_b32_e32 v32, 3, v21
	v_sub_u32_e32 v23, 29, v33
	v_cmp_gt_u32_e64 s[4:5], 8, v21
	v_and_b32_e32 v22, 7, v22
	v_cndmask_b32_e64 v21, v32, v23, s[4:5]
	v_bfrev_b32_e32 v32, 60
	v_cndmask_b32_e64 v22, v52, v22, s[4:5]
	v_lshlrev_b32_e32 v23, 16, v20
	v_lshl_add_u32 v21, v21, 23, v32
	v_and_or_b32 v21, v23, s13, v21
	v_lshlrev_b32_e32 v22, 20, v22
	v_or_b32_e32 v33, v21, v22
	v_mov_b32_e32 v32, v53
.LBB235_733:                            ;   in Loop: Header=BB235_410 Depth=1
	s_or_b64 exec, exec, s[30:31]
.LBB235_734:                            ;   in Loop: Header=BB235_410 Depth=1
	s_or_b64 exec, exec, s[28:29]
.LBB235_735:                            ;   in Loop: Header=BB235_410 Depth=1
	s_or_b64 exec, exec, s[26:27]
	v_lshrrev_b32_e32 v38, 16, v20
	v_pk_mov_b32 v[22:23], 0, 0
	v_cmp_ne_u16_sdwa s[4:5], v38, v53 src0_sel:BYTE_0 src1_sel:DWORD
	v_pk_mov_b32 v[36:37], v[22:23], v[22:23] op_sel:[0,1]
	s_and_saveexec_b64 s[26:27], s[4:5]
	s_cbranch_execz .LBB235_741
; %bb.736:                              ;   in Loop: Header=BB235_410 Depth=1
	v_bfrev_b32_e32 v36, 1
	v_cmp_ne_u16_sdwa s[4:5], v38, s7 src0_sel:BYTE_0 src1_sel:DWORD
	v_mov_b32_e32 v37, 0
	s_and_saveexec_b64 s[28:29], s[4:5]
	s_cbranch_execz .LBB235_740
; %bb.737:                              ;   in Loop: Header=BB235_410 Depth=1
	v_bfe_u32 v21, v20, 16, 7
	v_mov_b32_e32 v36, 0x7f800001
	v_cmp_ne_u32_e64 s[4:5], s15, v21
	v_mov_b32_e32 v37, 0
	s_and_saveexec_b64 s[30:31], s[4:5]
	s_cbranch_execz .LBB235_739
; %bb.738:                              ;   in Loop: Header=BB235_410 Depth=1
	v_and_b32_e32 v39, 7, v38
	v_ffbh_u32_e32 v36, v39
	v_min_u32_e32 v49, 32, v36
	v_subrev_u32_e32 v36, 28, v49
	v_lshlrev_b64 v[36:37], v36, v[38:39]
	v_lshrrev_b32_e32 v48, 3, v21
	v_sub_u32_e32 v37, 29, v49
	v_and_b32_e32 v36, 7, v36
	v_cmp_gt_u32_e64 s[4:5], 8, v21
	v_cndmask_b32_e64 v21, v48, v37, s[4:5]
	v_cndmask_b32_e64 v36, v39, v36, s[4:5]
	v_and_b32_sdwa v37, sext(v38), s13 dst_sel:DWORD dst_unused:UNUSED_PAD src0_sel:BYTE_0 src1_sel:DWORD
	v_bfrev_b32_e32 v38, 60
	v_lshlrev_b32_e32 v36, 20, v36
	v_lshl_add_u32 v21, v21, 23, v38
	v_or3_b32 v52, v37, v21, v36
	v_pk_mov_b32 v[36:37], v[52:53], v[52:53] op_sel:[0,1]
.LBB235_739:                            ;   in Loop: Header=BB235_410 Depth=1
	s_or_b64 exec, exec, s[30:31]
.LBB235_740:                            ;   in Loop: Header=BB235_410 Depth=1
	s_or_b64 exec, exec, s[28:29]
.LBB235_741:                            ;   in Loop: Header=BB235_410 Depth=1
	s_or_b64 exec, exec, s[26:27]
	v_cmp_lt_u32_e64 s[4:5], s34, v20
	s_and_saveexec_b64 s[26:27], s[4:5]
	s_cbranch_execz .LBB235_747
; %bb.742:                              ;   in Loop: Header=BB235_410 Depth=1
	v_cmp_ne_u32_sdwa s[4:5], v20, s7 src0_sel:BYTE_3 src1_sel:DWORD
	v_pk_mov_b32 v[22:23], s[12:13], s[12:13] op_sel:[0,1]
	s_and_saveexec_b64 s[28:29], s[4:5]
	s_cbranch_execz .LBB235_746
; %bb.743:                              ;   in Loop: Header=BB235_410 Depth=1
	v_bfe_u32 v21, v20, 24, 7
	s_mov_b32 s22, s12
	v_cmp_ne_u32_e64 s[4:5], s15, v21
	v_pk_mov_b32 v[22:23], s[22:23], s[22:23] op_sel:[0,1]
	s_and_saveexec_b64 s[30:31], s[4:5]
	s_cbranch_execz .LBB235_745
; %bb.744:                              ;   in Loop: Header=BB235_410 Depth=1
	v_mov_b32_e32 v22, 7
	v_and_b32_sdwa v52, v20, v22 dst_sel:DWORD dst_unused:UNUSED_PAD src0_sel:BYTE_3 src1_sel:DWORD
	v_ffbh_u32_e32 v22, v52
	v_min_u32_e32 v39, 32, v22
	v_subrev_u32_e32 v22, 28, v39
	v_lshlrev_b64 v[22:23], v22, v[52:53]
	v_lshrrev_b32_e32 v38, 3, v21
	v_sub_u32_e32 v23, 29, v39
	v_cmp_gt_u32_e64 s[4:5], 8, v21
	v_cndmask_b32_e64 v21, v38, v23, s[4:5]
	v_mov_b32_e32 v23, 24
	v_and_b32_e32 v22, 7, v22
	v_lshlrev_b32_sdwa v20, v23, v20 dst_sel:DWORD dst_unused:UNUSED_PAD src0_sel:DWORD src1_sel:BYTE_3
	v_bfrev_b32_e32 v23, 60
	v_cndmask_b32_e64 v22, v52, v22, s[4:5]
	v_lshl_add_u32 v21, v21, 23, v23
	v_and_or_b32 v20, v20, s13, v21
	v_lshlrev_b32_e32 v21, 20, v22
	v_or_b32_e32 v23, v20, v21
	v_mov_b32_e32 v22, v53
.LBB235_745:                            ;   in Loop: Header=BB235_410 Depth=1
	s_or_b64 exec, exec, s[30:31]
.LBB235_746:                            ;   in Loop: Header=BB235_410 Depth=1
	s_or_b64 exec, exec, s[28:29]
.LBB235_747:                            ;   in Loop: Header=BB235_410 Depth=1
	s_or_b64 exec, exec, s[26:27]
	v_or_b32_e32 v21, v33, v31
	v_or_b32_e32 v20, v32, v30
	;; [unrolled: 1-line block ×4, first 2 shown]
	v_pk_mul_f32 v[20:21], v[28:29], v[20:21]
	v_pk_mul_f32 v[30:31], v[28:29], v[22:23]
	s_and_saveexec_b64 s[26:27], vcc
	s_cbranch_execz .LBB235_749
; %bb.748:                              ;   in Loop: Header=BB235_410 Depth=1
	v_accvgpr_read_b32 v22, a10
	v_cmp_lt_i32_e64 s[4:5], v22, v62
	v_accvgpr_read_b32 v22, a37
	v_cndmask_b32_e64 v20, 0, v20, s[4:5]
	v_cmp_lt_i32_e64 s[4:5], v22, v62
	v_accvgpr_read_b32 v22, a35
	v_cndmask_b32_e64 v21, 0, v21, s[4:5]
	;; [unrolled: 3-line block ×3, first 2 shown]
	v_cmp_lt_i32_e64 s[4:5], v22, v62
	v_cndmask_b32_e64 v31, 0, v31, s[4:5]
.LBB235_749:                            ;   in Loop: Header=BB235_410 Depth=1
	s_or_b64 exec, exec, s[26:27]
	flat_load_dword v32, v[24:25] offset:3328
	v_pk_mov_b32 v[38:39], 0, 0
	v_pk_mov_b32 v[36:37], v[38:39], v[38:39] op_sel:[0,1]
	s_waitcnt vmcnt(0) lgkmcnt(0)
	v_cmp_ne_u16_sdwa s[4:5], v32, v53 src0_sel:BYTE_0 src1_sel:DWORD
	s_and_saveexec_b64 s[26:27], s[4:5]
	s_cbranch_execz .LBB235_755
; %bb.750:                              ;   in Loop: Header=BB235_410 Depth=1
	v_bfrev_b32_e32 v36, 1
	v_cmp_ne_u16_sdwa s[4:5], v32, s7 src0_sel:BYTE_0 src1_sel:DWORD
	v_mov_b32_e32 v37, 0
	s_and_saveexec_b64 s[28:29], s[4:5]
	s_cbranch_execz .LBB235_754
; %bb.751:                              ;   in Loop: Header=BB235_410 Depth=1
	v_and_b32_e32 v22, 0x7f, v32
	v_mov_b32_e32 v36, 0x7f800001
	v_cmp_ne_u32_e64 s[4:5], s15, v22
	v_mov_b32_e32 v37, 0
	s_and_saveexec_b64 s[30:31], s[4:5]
	s_cbranch_execz .LBB235_753
; %bb.752:                              ;   in Loop: Header=BB235_410 Depth=1
	v_and_b32_e32 v23, 7, v32
	v_ffbh_u32_e32 v36, v23
	v_min_u32_e32 v48, 32, v36
	v_lshrrev_b32_e32 v33, 3, v22
	v_subrev_u32_e32 v36, 28, v48
	v_lshlrev_b64 v[36:37], v36, v[32:33]
	v_sub_u32_e32 v37, 29, v48
	v_and_b32_e32 v36, 7, v36
	v_cmp_gt_u32_e64 s[4:5], 8, v22
	v_cndmask_b32_e64 v22, v33, v37, s[4:5]
	v_cndmask_b32_e64 v23, v23, v36, s[4:5]
	v_bfrev_b32_e32 v36, 60
	v_lshlrev_b32_e32 v23, 20, v23
	v_and_b32_sdwa v33, sext(v32), s13 dst_sel:DWORD dst_unused:UNUSED_PAD src0_sel:BYTE_0 src1_sel:DWORD
	v_lshl_add_u32 v22, v22, 23, v36
	v_or3_b32 v52, v33, v22, v23
	v_pk_mov_b32 v[36:37], v[52:53], v[52:53] op_sel:[0,1]
.LBB235_753:                            ;   in Loop: Header=BB235_410 Depth=1
	s_or_b64 exec, exec, s[30:31]
.LBB235_754:                            ;   in Loop: Header=BB235_410 Depth=1
	s_or_b64 exec, exec, s[28:29]
.LBB235_755:                            ;   in Loop: Header=BB235_410 Depth=1
	s_or_b64 exec, exec, s[26:27]
	v_cmp_ne_u16_sdwa s[4:5], v32, v53 src0_sel:BYTE_1 src1_sel:DWORD
	s_and_saveexec_b64 s[26:27], s[4:5]
	s_cbranch_execz .LBB235_761
; %bb.756:                              ;   in Loop: Header=BB235_410 Depth=1
	v_cmp_ne_u16_sdwa s[4:5], v32, s7 src0_sel:BYTE_1 src1_sel:DWORD
	v_pk_mov_b32 v[38:39], s[12:13], s[12:13] op_sel:[0,1]
	s_and_saveexec_b64 s[28:29], s[4:5]
	s_cbranch_execz .LBB235_760
; %bb.757:                              ;   in Loop: Header=BB235_410 Depth=1
	v_and_b32_sdwa v22, v32, s15 dst_sel:DWORD dst_unused:UNUSED_PAD src0_sel:BYTE_1 src1_sel:DWORD
	s_mov_b32 s22, s12
	v_cmp_ne_u32_e64 s[4:5], s15, v22
	v_pk_mov_b32 v[38:39], s[22:23], s[22:23] op_sel:[0,1]
	s_and_saveexec_b64 s[30:31], s[4:5]
	s_cbranch_execz .LBB235_759
; %bb.758:                              ;   in Loop: Header=BB235_410 Depth=1
	v_mov_b32_e32 v23, 7
	v_and_b32_sdwa v52, v32, v23 dst_sel:DWORD dst_unused:UNUSED_PAD src0_sel:BYTE_1 src1_sel:DWORD
	v_ffbh_u32_e32 v33, v52
	v_min_u32_e32 v33, 32, v33
	v_subrev_u32_e32 v38, 28, v33
	v_lshlrev_b64 v[38:39], v38, v[52:53]
	v_lshrrev_b32_e32 v23, 3, v22
	v_sub_u32_e32 v33, 29, v33
	v_and_b32_e32 v38, 7, v38
	v_cmp_gt_u32_e64 s[4:5], 8, v22
	v_cndmask_b32_e64 v22, v23, v33, s[4:5]
	v_cndmask_b32_e64 v23, v52, v38, s[4:5]
	v_bfrev_b32_e32 v38, 60
	v_lshlrev_b32_e32 v33, 16, v32
	v_lshl_add_u32 v22, v22, 23, v38
	v_and_or_b32 v22, v33, s13, v22
	v_lshlrev_b32_e32 v23, 20, v23
	v_or_b32_e32 v39, v22, v23
	v_mov_b32_e32 v38, v53
.LBB235_759:                            ;   in Loop: Header=BB235_410 Depth=1
	s_or_b64 exec, exec, s[30:31]
.LBB235_760:                            ;   in Loop: Header=BB235_410 Depth=1
	s_or_b64 exec, exec, s[28:29]
.LBB235_761:                            ;   in Loop: Header=BB235_410 Depth=1
	s_or_b64 exec, exec, s[26:27]
	v_lshrrev_b32_e32 v50, 16, v32
	v_pk_mov_b32 v[22:23], 0, 0
	v_cmp_ne_u16_sdwa s[4:5], v50, v53 src0_sel:BYTE_0 src1_sel:DWORD
	v_pk_mov_b32 v[48:49], v[22:23], v[22:23] op_sel:[0,1]
	s_and_saveexec_b64 s[26:27], s[4:5]
	s_cbranch_execz .LBB235_767
; %bb.762:                              ;   in Loop: Header=BB235_410 Depth=1
	v_bfrev_b32_e32 v48, 1
	v_cmp_ne_u16_sdwa s[4:5], v50, s7 src0_sel:BYTE_0 src1_sel:DWORD
	v_mov_b32_e32 v49, 0
	s_and_saveexec_b64 s[28:29], s[4:5]
	s_cbranch_execz .LBB235_766
; %bb.763:                              ;   in Loop: Header=BB235_410 Depth=1
	v_bfe_u32 v33, v32, 16, 7
	v_mov_b32_e32 v48, 0x7f800001
	v_cmp_ne_u32_e64 s[4:5], s15, v33
	v_mov_b32_e32 v49, 0
	s_and_saveexec_b64 s[30:31], s[4:5]
	s_cbranch_execz .LBB235_765
; %bb.764:                              ;   in Loop: Header=BB235_410 Depth=1
	v_and_b32_e32 v51, 7, v50
	v_ffbh_u32_e32 v48, v51
	v_accvgpr_write_b32 a17, v55
	v_min_u32_e32 v55, 32, v48
	v_subrev_u32_e32 v48, 28, v55
	v_lshlrev_b64 v[48:49], v48, v[50:51]
	v_lshrrev_b32_e32 v52, 3, v33
	v_sub_u32_e32 v49, 29, v55
	v_and_b32_e32 v48, 7, v48
	v_cmp_gt_u32_e64 s[4:5], 8, v33
	v_cndmask_b32_e64 v33, v52, v49, s[4:5]
	v_cndmask_b32_e64 v48, v51, v48, s[4:5]
	v_and_b32_sdwa v49, sext(v50), s13 dst_sel:DWORD dst_unused:UNUSED_PAD src0_sel:BYTE_0 src1_sel:DWORD
	v_bfrev_b32_e32 v50, 60
	v_lshlrev_b32_e32 v48, 20, v48
	v_lshl_add_u32 v33, v33, 23, v50
	v_or3_b32 v52, v49, v33, v48
	v_accvgpr_read_b32 v55, a17
	v_pk_mov_b32 v[48:49], v[52:53], v[52:53] op_sel:[0,1]
.LBB235_765:                            ;   in Loop: Header=BB235_410 Depth=1
	s_or_b64 exec, exec, s[30:31]
.LBB235_766:                            ;   in Loop: Header=BB235_410 Depth=1
	s_or_b64 exec, exec, s[28:29]
.LBB235_767:                            ;   in Loop: Header=BB235_410 Depth=1
	s_or_b64 exec, exec, s[26:27]
	v_cmp_lt_u32_e64 s[4:5], s34, v32
	s_and_saveexec_b64 s[26:27], s[4:5]
	s_cbranch_execz .LBB235_773
; %bb.768:                              ;   in Loop: Header=BB235_410 Depth=1
	v_cmp_ne_u32_sdwa s[4:5], v32, s7 src0_sel:BYTE_3 src1_sel:DWORD
	v_pk_mov_b32 v[22:23], s[12:13], s[12:13] op_sel:[0,1]
	s_and_saveexec_b64 s[28:29], s[4:5]
	s_cbranch_execz .LBB235_772
; %bb.769:                              ;   in Loop: Header=BB235_410 Depth=1
	v_bfe_u32 v33, v32, 24, 7
	s_mov_b32 s22, s12
	v_cmp_ne_u32_e64 s[4:5], s15, v33
	v_pk_mov_b32 v[22:23], s[22:23], s[22:23] op_sel:[0,1]
	s_and_saveexec_b64 s[30:31], s[4:5]
	s_cbranch_execz .LBB235_771
; %bb.770:                              ;   in Loop: Header=BB235_410 Depth=1
	v_mov_b32_e32 v22, 7
	v_and_b32_sdwa v52, v32, v22 dst_sel:DWORD dst_unused:UNUSED_PAD src0_sel:BYTE_3 src1_sel:DWORD
	v_ffbh_u32_e32 v22, v52
	v_min_u32_e32 v51, 32, v22
	v_subrev_u32_e32 v22, 28, v51
	v_lshlrev_b64 v[22:23], v22, v[52:53]
	v_lshrrev_b32_e32 v50, 3, v33
	v_sub_u32_e32 v23, 29, v51
	v_cmp_gt_u32_e64 s[4:5], 8, v33
	v_mov_b32_e32 v33, 24
	v_and_b32_e32 v22, 7, v22
	v_cndmask_b32_e64 v23, v50, v23, s[4:5]
	v_lshlrev_b32_sdwa v32, v33, v32 dst_sel:DWORD dst_unused:UNUSED_PAD src0_sel:DWORD src1_sel:BYTE_3
	v_bfrev_b32_e32 v33, 60
	v_cndmask_b32_e64 v22, v52, v22, s[4:5]
	v_lshl_add_u32 v23, v23, 23, v33
	v_and_or_b32 v23, v32, s13, v23
	v_lshlrev_b32_e32 v22, 20, v22
	v_or_b32_e32 v23, v23, v22
	v_mov_b32_e32 v22, v53
.LBB235_771:                            ;   in Loop: Header=BB235_410 Depth=1
	s_or_b64 exec, exec, s[30:31]
.LBB235_772:                            ;   in Loop: Header=BB235_410 Depth=1
	s_or_b64 exec, exec, s[28:29]
.LBB235_773:                            ;   in Loop: Header=BB235_410 Depth=1
	s_or_b64 exec, exec, s[26:27]
	v_or_b32_e32 v33, v39, v37
	v_or_b32_e32 v32, v38, v36
	;; [unrolled: 1-line block ×4, first 2 shown]
	v_pk_mul_f32 v[32:33], v[28:29], v[32:33]
	v_pk_mul_f32 v[36:37], v[28:29], v[22:23]
	s_and_saveexec_b64 s[26:27], vcc
	s_cbranch_execz .LBB235_775
; %bb.774:                              ;   in Loop: Header=BB235_410 Depth=1
	v_accvgpr_read_b32 v22, a10
	v_cmp_lt_i32_e64 s[4:5], v22, v62
	v_accvgpr_read_b32 v22, a37
	v_cndmask_b32_e64 v32, 0, v32, s[4:5]
	v_cmp_lt_i32_e64 s[4:5], v22, v62
	v_accvgpr_read_b32 v22, a35
	v_cndmask_b32_e64 v33, 0, v33, s[4:5]
	;; [unrolled: 3-line block ×3, first 2 shown]
	v_cmp_lt_i32_e64 s[4:5], v22, v62
	v_cndmask_b32_e64 v37, 0, v37, s[4:5]
.LBB235_775:                            ;   in Loop: Header=BB235_410 Depth=1
	s_or_b64 exec, exec, s[26:27]
	flat_load_dword v24, v[24:25] offset:3584
	v_pk_mov_b32 v[38:39], 0, 0
	v_pk_mov_b32 v[48:49], v[38:39], v[38:39] op_sel:[0,1]
	s_waitcnt vmcnt(0) lgkmcnt(0)
	v_cmp_ne_u16_sdwa s[4:5], v24, v53 src0_sel:BYTE_0 src1_sel:DWORD
	s_and_saveexec_b64 s[26:27], s[4:5]
	s_cbranch_execz .LBB235_781
; %bb.776:                              ;   in Loop: Header=BB235_410 Depth=1
	v_bfrev_b32_e32 v48, 1
	v_cmp_ne_u16_sdwa s[4:5], v24, s7 src0_sel:BYTE_0 src1_sel:DWORD
	v_mov_b32_e32 v49, 0
	s_and_saveexec_b64 s[28:29], s[4:5]
	s_cbranch_execz .LBB235_780
; %bb.777:                              ;   in Loop: Header=BB235_410 Depth=1
	v_and_b32_e32 v22, 0x7f, v24
	v_mov_b32_e32 v48, 0x7f800001
	v_cmp_ne_u32_e64 s[4:5], s15, v22
	v_mov_b32_e32 v49, 0
	s_and_saveexec_b64 s[30:31], s[4:5]
	s_cbranch_execz .LBB235_779
; %bb.778:                              ;   in Loop: Header=BB235_410 Depth=1
	v_and_b32_e32 v23, 7, v24
	v_ffbh_u32_e32 v48, v23
	v_min_u32_e32 v50, 32, v48
	v_lshrrev_b32_e32 v25, 3, v22
	v_subrev_u32_e32 v48, 28, v50
	v_lshlrev_b64 v[48:49], v48, v[24:25]
	v_sub_u32_e32 v49, 29, v50
	v_and_b32_e32 v48, 7, v48
	v_cmp_gt_u32_e64 s[4:5], 8, v22
	v_cndmask_b32_e64 v22, v25, v49, s[4:5]
	v_cndmask_b32_e64 v23, v23, v48, s[4:5]
	v_bfrev_b32_e32 v48, 60
	v_lshlrev_b32_e32 v23, 20, v23
	v_and_b32_sdwa v25, sext(v24), s13 dst_sel:DWORD dst_unused:UNUSED_PAD src0_sel:BYTE_0 src1_sel:DWORD
	v_lshl_add_u32 v22, v22, 23, v48
	v_or3_b32 v52, v25, v22, v23
	v_pk_mov_b32 v[48:49], v[52:53], v[52:53] op_sel:[0,1]
.LBB235_779:                            ;   in Loop: Header=BB235_410 Depth=1
	s_or_b64 exec, exec, s[30:31]
.LBB235_780:                            ;   in Loop: Header=BB235_410 Depth=1
	s_or_b64 exec, exec, s[28:29]
.LBB235_781:                            ;   in Loop: Header=BB235_410 Depth=1
	s_or_b64 exec, exec, s[26:27]
	v_cmp_ne_u16_sdwa s[4:5], v24, v53 src0_sel:BYTE_1 src1_sel:DWORD
	s_and_saveexec_b64 s[26:27], s[4:5]
	s_cbranch_execz .LBB235_787
; %bb.782:                              ;   in Loop: Header=BB235_410 Depth=1
	v_cmp_ne_u16_sdwa s[4:5], v24, s7 src0_sel:BYTE_1 src1_sel:DWORD
	v_pk_mov_b32 v[38:39], s[12:13], s[12:13] op_sel:[0,1]
	s_and_saveexec_b64 s[28:29], s[4:5]
	s_cbranch_execz .LBB235_786
; %bb.783:                              ;   in Loop: Header=BB235_410 Depth=1
	v_and_b32_sdwa v22, v24, s15 dst_sel:DWORD dst_unused:UNUSED_PAD src0_sel:BYTE_1 src1_sel:DWORD
	s_mov_b32 s22, s12
	v_cmp_ne_u32_e64 s[4:5], s15, v22
	v_pk_mov_b32 v[38:39], s[22:23], s[22:23] op_sel:[0,1]
	s_and_saveexec_b64 s[30:31], s[4:5]
	s_cbranch_execz .LBB235_785
; %bb.784:                              ;   in Loop: Header=BB235_410 Depth=1
	v_mov_b32_e32 v23, 7
	v_and_b32_sdwa v52, v24, v23 dst_sel:DWORD dst_unused:UNUSED_PAD src0_sel:BYTE_1 src1_sel:DWORD
	v_ffbh_u32_e32 v25, v52
	v_min_u32_e32 v25, 32, v25
	v_subrev_u32_e32 v38, 28, v25
	v_lshlrev_b64 v[38:39], v38, v[52:53]
	v_lshrrev_b32_e32 v23, 3, v22
	v_sub_u32_e32 v25, 29, v25
	v_and_b32_e32 v38, 7, v38
	v_cmp_gt_u32_e64 s[4:5], 8, v22
	v_cndmask_b32_e64 v22, v23, v25, s[4:5]
	v_cndmask_b32_e64 v23, v52, v38, s[4:5]
	v_bfrev_b32_e32 v38, 60
	v_lshlrev_b32_e32 v25, 16, v24
	v_lshl_add_u32 v22, v22, 23, v38
	v_and_or_b32 v22, v25, s13, v22
	v_lshlrev_b32_e32 v23, 20, v23
	v_or_b32_e32 v39, v22, v23
	v_mov_b32_e32 v38, v53
.LBB235_785:                            ;   in Loop: Header=BB235_410 Depth=1
	s_or_b64 exec, exec, s[30:31]
.LBB235_786:                            ;   in Loop: Header=BB235_410 Depth=1
	s_or_b64 exec, exec, s[28:29]
.LBB235_787:                            ;   in Loop: Header=BB235_410 Depth=1
	s_or_b64 exec, exec, s[26:27]
	v_lshrrev_b32_e32 v52, 16, v24
	v_pk_mov_b32 v[50:51], 0, 0
	v_cmp_ne_u16_sdwa s[4:5], v52, v53 src0_sel:BYTE_0 src1_sel:DWORD
	v_pk_mov_b32 v[22:23], v[50:51], v[50:51] op_sel:[0,1]
	s_and_saveexec_b64 s[26:27], s[4:5]
	s_cbranch_execz .LBB235_793
; %bb.788:                              ;   in Loop: Header=BB235_410 Depth=1
	v_bfrev_b32_e32 v22, 1
	v_cmp_ne_u16_sdwa s[4:5], v52, s7 src0_sel:BYTE_0 src1_sel:DWORD
	v_mov_b32_e32 v23, 0
	s_and_saveexec_b64 s[28:29], s[4:5]
	s_cbranch_execz .LBB235_792
; %bb.789:                              ;   in Loop: Header=BB235_410 Depth=1
	v_bfe_u32 v25, v24, 16, 7
	v_mov_b32_e32 v22, 0x7f800001
	v_cmp_ne_u32_e64 s[4:5], s15, v25
	v_mov_b32_e32 v23, 0
	s_and_saveexec_b64 s[30:31], s[4:5]
	s_cbranch_execz .LBB235_791
; %bb.790:                              ;   in Loop: Header=BB235_410 Depth=1
	v_accvgpr_write_b32 a17, v55
	v_and_b32_e32 v55, 7, v52
	v_ffbh_u32_e32 v22, v55
	v_mov_b32_e32 v26, v40
	v_lshrrev_b32_e32 v40, 3, v25
	v_cmp_gt_u32_e64 s[4:5], 8, v25
	v_min_u32_e32 v25, 32, v22
	v_subrev_u32_e32 v22, 28, v25
	v_lshlrev_b64 v[22:23], v22, v[52:53]
	v_sub_u32_e32 v23, 29, v25
	v_cndmask_b32_e64 v23, v40, v23, s[4:5]
	v_mov_b32_e32 v40, v26
	buffer_load_dword v26, off, s[0:3], s32 offset:532 ; 4-byte Folded Reload
	buffer_load_dword v27, off, s[0:3], s32 offset:536 ; 4-byte Folded Reload
	v_and_b32_e32 v22, 7, v22
	v_cndmask_b32_e64 v22, v55, v22, s[4:5]
	v_and_b32_sdwa v25, sext(v52), s13 dst_sel:DWORD dst_unused:UNUSED_PAD src0_sel:BYTE_0 src1_sel:DWORD
	v_bfrev_b32_e32 v52, 60
	v_lshlrev_b32_e32 v22, 20, v22
	v_lshl_add_u32 v23, v23, 23, v52
	v_or3_b32 v52, v25, v23, v22
	v_accvgpr_read_b32 v55, a17
	v_pk_mov_b32 v[22:23], v[52:53], v[52:53] op_sel:[0,1]
.LBB235_791:                            ;   in Loop: Header=BB235_410 Depth=1
	s_or_b64 exec, exec, s[30:31]
.LBB235_792:                            ;   in Loop: Header=BB235_410 Depth=1
	s_or_b64 exec, exec, s[28:29]
.LBB235_793:                            ;   in Loop: Header=BB235_410 Depth=1
	s_or_b64 exec, exec, s[26:27]
	v_cmp_lt_u32_e64 s[4:5], s34, v24
	s_and_saveexec_b64 s[26:27], s[4:5]
	s_cbranch_execz .LBB235_799
; %bb.794:                              ;   in Loop: Header=BB235_410 Depth=1
	v_cmp_ne_u32_sdwa s[4:5], v24, s7 src0_sel:BYTE_3 src1_sel:DWORD
	v_pk_mov_b32 v[50:51], s[12:13], s[12:13] op_sel:[0,1]
	s_and_saveexec_b64 s[28:29], s[4:5]
	s_cbranch_execz .LBB235_798
; %bb.795:                              ;   in Loop: Header=BB235_410 Depth=1
	v_bfe_u32 v25, v24, 24, 7
	s_mov_b32 s22, s12
	v_cmp_ne_u32_e64 s[4:5], s15, v25
	v_pk_mov_b32 v[50:51], s[22:23], s[22:23] op_sel:[0,1]
	s_and_saveexec_b64 s[30:31], s[4:5]
	s_cbranch_execz .LBB235_797
; %bb.796:                              ;   in Loop: Header=BB235_410 Depth=1
	s_waitcnt vmcnt(1)
	v_mov_b32_e32 v26, 7
	v_and_b32_sdwa v52, v24, v26 dst_sel:DWORD dst_unused:UNUSED_PAD src0_sel:BYTE_3 src1_sel:DWORD
	v_ffbh_u32_e32 v50, v52
	v_mov_b32_e32 v26, v40
	v_min_u32_e32 v40, 32, v50
	v_subrev_u32_e32 v50, 28, v40
	v_lshlrev_b64 v[50:51], v50, v[52:53]
	v_sub_u32_e32 v51, 29, v40
	v_mov_b32_e32 v40, v26
	buffer_load_dword v26, off, s[0:3], s32 offset:532 ; 4-byte Folded Reload
	buffer_load_dword v27, off, s[0:3], s32 offset:536 ; 4-byte Folded Reload
	v_accvgpr_write_b32 a17, v55
	v_lshrrev_b32_e32 v55, 3, v25
	v_cmp_gt_u32_e64 s[4:5], 8, v25
	v_cndmask_b32_e64 v25, v55, v51, s[4:5]
	v_mov_b32_e32 v51, 24
	v_and_b32_e32 v50, 7, v50
	v_lshlrev_b32_sdwa v24, v51, v24 dst_sel:DWORD dst_unused:UNUSED_PAD src0_sel:DWORD src1_sel:BYTE_3
	v_bfrev_b32_e32 v51, 60
	v_cndmask_b32_e64 v50, v52, v50, s[4:5]
	v_lshl_add_u32 v25, v25, 23, v51
	v_and_or_b32 v24, v24, s13, v25
	v_lshlrev_b32_e32 v25, 20, v50
	v_accvgpr_read_b32 v55, a17
	v_or_b32_e32 v51, v24, v25
	v_mov_b32_e32 v50, v53
.LBB235_797:                            ;   in Loop: Header=BB235_410 Depth=1
	s_or_b64 exec, exec, s[30:31]
.LBB235_798:                            ;   in Loop: Header=BB235_410 Depth=1
	s_or_b64 exec, exec, s[28:29]
.LBB235_799:                            ;   in Loop: Header=BB235_410 Depth=1
	s_or_b64 exec, exec, s[26:27]
	v_or_b32_e32 v25, v39, v49
	v_or_b32_e32 v24, v38, v48
	;; [unrolled: 1-line block ×4, first 2 shown]
	v_pk_mul_f32 v[24:25], v[28:29], v[24:25]
	v_pk_mul_f32 v[28:29], v[28:29], v[22:23]
	s_and_saveexec_b64 s[4:5], vcc
	s_cbranch_execz .LBB235_408
; %bb.800:                              ;   in Loop: Header=BB235_410 Depth=1
	v_accvgpr_read_b32 v22, a10
	v_cmp_lt_i32_e32 vcc, v22, v62
	v_accvgpr_read_b32 v22, a37
	v_cndmask_b32_e32 v24, 0, v24, vcc
	v_cmp_lt_i32_e32 vcc, v22, v62
	v_accvgpr_read_b32 v22, a35
	v_cndmask_b32_e32 v25, 0, v25, vcc
	;; [unrolled: 3-line block ×3, first 2 shown]
	v_cmp_lt_i32_e32 vcc, v22, v62
	v_cndmask_b32_e32 v29, 0, v29, vcc
	s_branch .LBB235_408
.LBB235_801:
	s_or_b64 exec, exec, s[20:21]
	v_accvgpr_read_b32 v37, a19
	v_accvgpr_read_b32 v18, a20
	;; [unrolled: 1-line block ×18, first 2 shown]
.LBB235_802:
	s_or_b64 exec, exec, s[10:11]
	ds_bpermute_b32 v2, v23, v6
	ds_bpermute_b32 v3, v23, v7
	v_pk_mov_b32 v[10:11], v[8:9], v[8:9] op_sel:[0,1]
	ds_bpermute_b32 v0, v23, v4
	ds_bpermute_b32 v1, v23, v5
	;; [unrolled: 1-line block ×3, first 2 shown]
	s_waitcnt lgkmcnt(0)
	v_pk_add_f32 v[2:3], v[6:7], v[2:3]
	ds_bpermute_b32 v6, v28, v2
	ds_bpermute_b32 v7, v28, v3
	;; [unrolled: 1-line block ×3, first 2 shown]
	v_pk_add_f32 v[0:1], v[4:5], v[0:1]
	ds_bpermute_b32 v4, v28, v0
	ds_bpermute_b32 v5, v28, v1
	s_waitcnt lgkmcnt(0)
	v_pk_add_f32 v[2:3], v[2:3], v[6:7]
	v_pk_add_f32 v[6:7], v[10:11], v[8:9]
	ds_bpermute_b32 v8, v28, v6
	ds_bpermute_b32 v9, v28, v7
	;; [unrolled: 1-line block ×4, first 2 shown]
	v_pk_add_f32 v[0:1], v[0:1], v[4:5]
	ds_bpermute_b32 v4, v29, v0
	s_waitcnt lgkmcnt(0)
	v_pk_add_f32 v[6:7], v[6:7], v[8:9]
	ds_bpermute_b32 v5, v29, v1
	v_pk_add_f32 v[12:13], v[16:17], v[12:13]
	ds_bpermute_b32 v8, v29, v6
	ds_bpermute_b32 v9, v29, v7
	;; [unrolled: 1-line block ×6, first 2 shown]
	s_waitcnt lgkmcnt(0)
	v_pk_add_f32 v[4:5], v[0:1], v[4:5]
	v_pk_add_f32 v[0:1], v[6:7], v[8:9]
	v_pk_add_f32 v[6:7], v[12:13], v[14:15]
	ds_bpermute_b32 v14, v23, v18
	ds_bpermute_b32 v15, v23, v19
	;; [unrolled: 1-line block ×4, first 2 shown]
	v_pk_add_f32 v[8:9], v[50:51], v[16:17]
	ds_bpermute_b32 v16, v23, v36
	ds_bpermute_b32 v17, v23, v37
	s_waitcnt lgkmcnt(0)
	v_pk_add_f32 v[14:15], v[18:19], v[14:15]
	v_pk_add_f32 v[2:3], v[2:3], v[10:11]
	ds_bpermute_b32 v10, v28, v8
	ds_bpermute_b32 v11, v28, v9
	;; [unrolled: 1-line block ×4, first 2 shown]
	v_pk_add_f32 v[16:17], v[36:37], v[16:17]
	ds_bpermute_b32 v22, v23, v55
	ds_bpermute_b32 v20, v28, v16
	;; [unrolled: 1-line block ×3, first 2 shown]
	s_waitcnt lgkmcnt(0)
	v_pk_add_f32 v[8:9], v[8:9], v[10:11]
	v_pk_add_f32 v[14:15], v[14:15], v[18:19]
	v_add_f32_e32 v22, v55, v22
	ds_bpermute_b32 v10, v29, v8
	ds_bpermute_b32 v11, v29, v9
	;; [unrolled: 1-line block ×4, first 2 shown]
	v_pk_add_f32 v[16:17], v[16:17], v[20:21]
	ds_bpermute_b32 v23, v28, v22
	ds_bpermute_b32 v12, v29, v6
	;; [unrolled: 1-line block ×5, first 2 shown]
	s_waitcnt lgkmcnt(0)
	v_pk_add_f32 v[10:11], v[8:9], v[10:11]
	v_pk_add_f32 v[8:9], v[14:15], v[18:19]
	v_add_f32_e32 v15, v22, v23
	v_pk_add_f32 v[12:13], v[6:7], v[12:13]
	v_pk_add_f32 v[6:7], v[16:17], v[20:21]
	ds_bpermute_b32 v16, v29, v15
	v_and_b32_e32 v14, 0x3c7, v24
	v_cmp_ne_u32_e32 vcc, 64, v14
	s_waitcnt lgkmcnt(0)
	s_barrier
	s_and_saveexec_b64 s[4:5], vcc
	s_xor_b64 s[4:5], exec, s[4:5]
; %bb.803:
                                        ; implicit-def: $vgpr25
; %bb.804:
	s_or_saveexec_b64 s[4:5], s[4:5]
	v_add_f32_e32 v15, v15, v16
	s_xor_b64 exec, exec, s[4:5]
	s_cbranch_execz .LBB235_806
; %bb.805:
	s_load_dword s7, s[8:9], 0x0
	v_lshrrev_b32_e32 v16, 1, v25
	s_waitcnt lgkmcnt(0)
	v_add_u32_e32 v16, s7, v16
	ds_write2_b32 v16, v4, v5 offset1:8
	ds_write2_b32 v16, v2, v3 offset0:16 offset1:24
	ds_write2_b32 v16, v0, v1 offset0:32 offset1:40
	;; [unrolled: 1-line block ×6, first 2 shown]
	ds_write_b32 v16, v15 offset:448
.LBB235_806:
	s_or_b64 exec, exec, s[4:5]
	v_cmp_gt_u32_e32 vcc, 64, v24
	s_waitcnt lgkmcnt(0)
	s_barrier
	s_and_saveexec_b64 s[4:5], vcc
	s_cbranch_execz .LBB235_824
; %bb.807:
	v_cmp_eq_u32_e32 vcc, 0, v34
	v_lshrrev_b32_e32 v16, 3, v24
	s_and_saveexec_b64 s[10:11], vcc
	s_cbranch_execnz .LBB235_827
; %bb.808:
	s_or_b64 exec, exec, s[10:11]
	s_and_saveexec_b64 s[10:11], vcc
	s_cbranch_execnz .LBB235_828
.LBB235_809:
	s_or_b64 exec, exec, s[10:11]
	s_and_saveexec_b64 s[10:11], vcc
	s_cbranch_execnz .LBB235_829
.LBB235_810:
	s_or_b64 exec, exec, s[10:11]
	s_and_saveexec_b64 s[10:11], vcc
	s_cbranch_execnz .LBB235_830
.LBB235_811:
	s_or_b64 exec, exec, s[10:11]
	s_and_saveexec_b64 s[10:11], vcc
	s_cbranch_execnz .LBB235_831
.LBB235_812:
	s_or_b64 exec, exec, s[10:11]
	s_and_saveexec_b64 s[10:11], vcc
	s_cbranch_execnz .LBB235_832
.LBB235_813:
	s_or_b64 exec, exec, s[10:11]
	s_and_saveexec_b64 s[10:11], vcc
	s_cbranch_execnz .LBB235_833
.LBB235_814:
	s_or_b64 exec, exec, s[10:11]
	s_and_saveexec_b64 s[10:11], vcc
	s_cbranch_execnz .LBB235_834
.LBB235_815:
	s_or_b64 exec, exec, s[10:11]
	s_and_saveexec_b64 s[10:11], vcc
	s_cbranch_execnz .LBB235_835
.LBB235_816:
	s_or_b64 exec, exec, s[10:11]
	s_and_saveexec_b64 s[10:11], vcc
	s_cbranch_execnz .LBB235_836
.LBB235_817:
	s_or_b64 exec, exec, s[10:11]
	s_and_saveexec_b64 s[10:11], vcc
	s_cbranch_execnz .LBB235_837
.LBB235_818:
	s_or_b64 exec, exec, s[10:11]
	s_and_saveexec_b64 s[10:11], vcc
	s_cbranch_execnz .LBB235_838
.LBB235_819:
	s_or_b64 exec, exec, s[10:11]
	s_and_saveexec_b64 s[10:11], vcc
	s_cbranch_execnz .LBB235_839
.LBB235_820:
	s_or_b64 exec, exec, s[10:11]
	s_and_saveexec_b64 s[10:11], vcc
	s_cbranch_execnz .LBB235_840
.LBB235_821:
	s_or_b64 exec, exec, s[10:11]
	s_and_saveexec_b64 s[10:11], vcc
	s_cbranch_execz .LBB235_823
.LBB235_822:
	s_load_dword s7, s[8:9], 0x0
	s_waitcnt lgkmcnt(0)
	v_lshl_add_u32 v16, v16, 2, s7
	ds_read_b32 v16, v16 offset:448
	s_waitcnt lgkmcnt(0)
	v_add_f32_e32 v15, v16, v15
.LBB235_823:
	s_or_b64 exec, exec, s[10:11]
.LBB235_824:
	s_or_b64 exec, exec, s[4:5]
	v_cmp_eq_u32_e32 vcc, 0, v14
	s_barrier
	s_and_b64 exec, exec, vcc
	s_cbranch_execz .LBB235_826
; %bb.825:
	s_mul_i32 s4, s6, 0x78
	s_mul_i32 s6, s18, s19
	;; [unrolled: 1-line block ×3, first 2 shown]
	s_ashr_i32 s5, s4, 31
	s_ashr_i32 s7, s6, 31
	;; [unrolled: 1-line block ×3, first 2 shown]
	s_lshl_b64 s[4:5], s[4:5], 2
	s_lshl_b64 s[6:7], s[6:7], 2
	;; [unrolled: 1-line block ×3, first 2 shown]
	s_add_u32 s6, s8, s6
	s_addc_u32 s7, s9, s7
	s_add_u32 s4, s6, s4
	s_addc_u32 s5, s7, s5
	v_mov_b32_e32 v14, s5
	v_add_co_u32_e32 v16, vcc, s4, v32
	v_addc_co_u32_e32 v14, vcc, v14, v33, vcc
	v_lshrrev_b32_e32 v17, 1, v24
	v_add_co_u32_e32 v16, vcc, v16, v17
	v_addc_co_u32_e32 v17, vcc, 0, v14, vcc
	flat_store_dword v[16:17], v4
	flat_store_dword v[16:17], v5 offset:32
	flat_store_dword v[16:17], v2 offset:64
	flat_store_dword v[16:17], v3 offset:96
	flat_store_dword v[16:17], v0 offset:128
	flat_store_dword v[16:17], v1 offset:160
	flat_store_dword v[16:17], v12 offset:192
	flat_store_dword v[16:17], v13 offset:224
	flat_store_dword v[16:17], v10 offset:256
	flat_store_dword v[16:17], v11 offset:288
	flat_store_dword v[16:17], v8 offset:320
	flat_store_dword v[16:17], v9 offset:352
	flat_store_dword v[16:17], v6 offset:384
	flat_store_dword v[16:17], v7 offset:416
	flat_store_dword v[16:17], v15 offset:448
.LBB235_826:
	s_or_b64 exec, exec, s[16:17]
	buffer_load_dword a63, off, s[0:3], s32 offset:8 ; 4-byte Folded Reload
	buffer_load_dword a62, off, s[0:3], s32 offset:12 ; 4-byte Folded Reload
	;; [unrolled: 1-line block ×47, first 2 shown]
	v_readlane_b32 s30, v63, 11
	v_readlane_b32 s31, v63, 12
	;; [unrolled: 1-line block ×13, first 2 shown]
	s_or_saveexec_b64 s[4:5], -1
	buffer_load_dword v63, off, s[0:3], s32 offset:624 ; 4-byte Folded Reload
	s_mov_b64 exec, s[4:5]
	s_waitcnt vmcnt(0) lgkmcnt(0)
	s_setpc_b64 s[30:31]
.LBB235_827:
	s_load_dword s7, s[8:9], 0x0
	s_waitcnt lgkmcnt(0)
	v_lshl_add_u32 v17, v16, 2, s7
	ds_read_b32 v17, v17
	s_waitcnt lgkmcnt(0)
	v_add_f32_e32 v4, v17, v4
	s_or_b64 exec, exec, s[10:11]
	s_and_saveexec_b64 s[10:11], vcc
	s_cbranch_execz .LBB235_809
.LBB235_828:
	s_load_dword s7, s[8:9], 0x0
	s_waitcnt lgkmcnt(0)
	v_lshl_add_u32 v17, v16, 2, s7
	ds_read_b32 v17, v17 offset:32
	s_waitcnt lgkmcnt(0)
	v_add_f32_e32 v5, v17, v5
	s_or_b64 exec, exec, s[10:11]
	s_and_saveexec_b64 s[10:11], vcc
	s_cbranch_execz .LBB235_810
.LBB235_829:
	s_load_dword s7, s[8:9], 0x0
	s_waitcnt lgkmcnt(0)
	v_lshl_add_u32 v17, v16, 2, s7
	ds_read_b32 v17, v17 offset:64
	s_waitcnt lgkmcnt(0)
	v_add_f32_e32 v2, v17, v2
	s_or_b64 exec, exec, s[10:11]
	s_and_saveexec_b64 s[10:11], vcc
	s_cbranch_execz .LBB235_811
.LBB235_830:
	s_load_dword s7, s[8:9], 0x0
	s_waitcnt lgkmcnt(0)
	v_lshl_add_u32 v17, v16, 2, s7
	ds_read_b32 v17, v17 offset:96
	s_waitcnt lgkmcnt(0)
	v_add_f32_e32 v3, v17, v3
	s_or_b64 exec, exec, s[10:11]
	s_and_saveexec_b64 s[10:11], vcc
	s_cbranch_execz .LBB235_812
.LBB235_831:
	s_load_dword s7, s[8:9], 0x0
	s_waitcnt lgkmcnt(0)
	v_lshl_add_u32 v17, v16, 2, s7
	ds_read_b32 v17, v17 offset:128
	s_waitcnt lgkmcnt(0)
	v_add_f32_e32 v0, v17, v0
	s_or_b64 exec, exec, s[10:11]
	s_and_saveexec_b64 s[10:11], vcc
	s_cbranch_execz .LBB235_813
.LBB235_832:
	s_load_dword s7, s[8:9], 0x0
	s_waitcnt lgkmcnt(0)
	v_lshl_add_u32 v17, v16, 2, s7
	ds_read_b32 v17, v17 offset:160
	s_waitcnt lgkmcnt(0)
	v_add_f32_e32 v1, v17, v1
	s_or_b64 exec, exec, s[10:11]
	s_and_saveexec_b64 s[10:11], vcc
	s_cbranch_execz .LBB235_814
.LBB235_833:
	s_load_dword s7, s[8:9], 0x0
	s_waitcnt lgkmcnt(0)
	v_lshl_add_u32 v17, v16, 2, s7
	ds_read_b32 v17, v17 offset:192
	s_waitcnt lgkmcnt(0)
	v_add_f32_e32 v12, v17, v12
	s_or_b64 exec, exec, s[10:11]
	s_and_saveexec_b64 s[10:11], vcc
	s_cbranch_execz .LBB235_815
.LBB235_834:
	s_load_dword s7, s[8:9], 0x0
	s_waitcnt lgkmcnt(0)
	v_lshl_add_u32 v17, v16, 2, s7
	ds_read_b32 v17, v17 offset:224
	s_waitcnt lgkmcnt(0)
	v_add_f32_e32 v13, v17, v13
	s_or_b64 exec, exec, s[10:11]
	s_and_saveexec_b64 s[10:11], vcc
	s_cbranch_execz .LBB235_816
.LBB235_835:
	s_load_dword s7, s[8:9], 0x0
	s_waitcnt lgkmcnt(0)
	v_lshl_add_u32 v17, v16, 2, s7
	ds_read_b32 v17, v17 offset:256
	s_waitcnt lgkmcnt(0)
	v_add_f32_e32 v10, v17, v10
	s_or_b64 exec, exec, s[10:11]
	s_and_saveexec_b64 s[10:11], vcc
	s_cbranch_execz .LBB235_817
.LBB235_836:
	s_load_dword s7, s[8:9], 0x0
	s_waitcnt lgkmcnt(0)
	v_lshl_add_u32 v17, v16, 2, s7
	ds_read_b32 v17, v17 offset:288
	s_waitcnt lgkmcnt(0)
	v_add_f32_e32 v11, v17, v11
	s_or_b64 exec, exec, s[10:11]
	s_and_saveexec_b64 s[10:11], vcc
	s_cbranch_execz .LBB235_818
.LBB235_837:
	s_load_dword s7, s[8:9], 0x0
	s_waitcnt lgkmcnt(0)
	v_lshl_add_u32 v17, v16, 2, s7
	ds_read_b32 v17, v17 offset:320
	s_waitcnt lgkmcnt(0)
	v_add_f32_e32 v8, v17, v8
	s_or_b64 exec, exec, s[10:11]
	s_and_saveexec_b64 s[10:11], vcc
	s_cbranch_execz .LBB235_819
.LBB235_838:
	s_load_dword s7, s[8:9], 0x0
	s_waitcnt lgkmcnt(0)
	v_lshl_add_u32 v17, v16, 2, s7
	ds_read_b32 v17, v17 offset:352
	s_waitcnt lgkmcnt(0)
	v_add_f32_e32 v9, v17, v9
	s_or_b64 exec, exec, s[10:11]
	s_and_saveexec_b64 s[10:11], vcc
	s_cbranch_execz .LBB235_820
.LBB235_839:
	s_load_dword s7, s[8:9], 0x0
	s_waitcnt lgkmcnt(0)
	v_lshl_add_u32 v17, v16, 2, s7
	ds_read_b32 v17, v17 offset:384
	s_waitcnt lgkmcnt(0)
	v_add_f32_e32 v6, v17, v6
	s_or_b64 exec, exec, s[10:11]
	s_and_saveexec_b64 s[10:11], vcc
	s_cbranch_execz .LBB235_821
.LBB235_840:
	s_load_dword s7, s[8:9], 0x0
	s_waitcnt lgkmcnt(0)
	v_lshl_add_u32 v17, v16, 2, s7
	ds_read_b32 v17, v17 offset:416
	s_waitcnt lgkmcnt(0)
	v_add_f32_e32 v7, v17, v7
	s_or_b64 exec, exec, s[10:11]
	s_and_saveexec_b64 s[10:11], vcc
	s_cbranch_execnz .LBB235_822
	s_branch .LBB235_823
.Lfunc_end235:
	.size	_ZN4vllm22paged_attention_kernelIfhLi120ELi32ELi128ELNS_18Fp8KVCacheDataTypeE1ELb1ELi512EEEvPfS2_PT_PKS3_PKT0_S9_ifPKiSB_iPKfiiiSD_SD_iiiii, .Lfunc_end235-_ZN4vllm22paged_attention_kernelIfhLi120ELi32ELi128ELNS_18Fp8KVCacheDataTypeE1ELb1ELi512EEEvPfS2_PT_PKS3_PKT0_S9_ifPKiSB_iPKfiiiSD_SD_iiiii
                                        ; -- End function
	.section	.AMDGPU.csdata,"",@progbits
; Function info:
; codeLenInByte = 39892
; NumSgprs: 49
; NumVgprs: 64
; NumAgprs: 64
; TotalNumVgprs: 128
; ScratchSize: 632
; MemoryBound: 0
	.section	.text._ZN4vllm25paged_attention_v2_kernelIfhLi120ELi32ELi128ELNS_18Fp8KVCacheDataTypeE1ELb1ELi512EEEvPfS2_PT_PKS3_PKT0_S9_ifPKiSB_iPKfiiiSD_SD_iiiii,"axG",@progbits,_ZN4vllm25paged_attention_v2_kernelIfhLi120ELi32ELi128ELNS_18Fp8KVCacheDataTypeE1ELb1ELi512EEEvPfS2_PT_PKS3_PKT0_S9_ifPKiSB_iPKfiiiSD_SD_iiiii,comdat
	.protected	_ZN4vllm25paged_attention_v2_kernelIfhLi120ELi32ELi128ELNS_18Fp8KVCacheDataTypeE1ELb1ELi512EEEvPfS2_PT_PKS3_PKT0_S9_ifPKiSB_iPKfiiiSD_SD_iiiii ; -- Begin function _ZN4vllm25paged_attention_v2_kernelIfhLi120ELi32ELi128ELNS_18Fp8KVCacheDataTypeE1ELb1ELi512EEEvPfS2_PT_PKS3_PKT0_S9_ifPKiSB_iPKfiiiSD_SD_iiiii
	.globl	_ZN4vllm25paged_attention_v2_kernelIfhLi120ELi32ELi128ELNS_18Fp8KVCacheDataTypeE1ELb1ELi512EEEvPfS2_PT_PKS3_PKT0_S9_ifPKiSB_iPKfiiiSD_SD_iiiii
	.p2align	8
	.type	_ZN4vllm25paged_attention_v2_kernelIfhLi120ELi32ELi128ELNS_18Fp8KVCacheDataTypeE1ELb1ELi512EEEvPfS2_PT_PKS3_PKT0_S9_ifPKiSB_iPKfiiiSD_SD_iiiii,@function
_ZN4vllm25paged_attention_v2_kernelIfhLi120ELi32ELi128ELNS_18Fp8KVCacheDataTypeE1ELb1ELi512EEEvPfS2_PT_PKS3_PKT0_S9_ifPKiSB_iPKfiiiSD_SD_iiiii: ; @_ZN4vllm25paged_attention_v2_kernelIfhLi120ELi32ELi128ELNS_18Fp8KVCacheDataTypeE1ELb1ELi512EEEvPfS2_PT_PKS3_PKT0_S9_ifPKiSB_iPKfiiiSD_SD_iiiii
; %bb.0:
	s_add_u32 flat_scratch_lo, s6, s11
	s_addc_u32 flat_scratch_hi, s7, 0
	s_add_u32 s0, s0, s11
	s_mov_b32 s12, s8
	s_load_dwordx8 s[24:31], s[4:5], 0x0
	s_load_dwordx8 s[16:23], s[4:5], 0x20
	s_load_dwordx2 s[6:7], s[4:5], 0x40
	s_load_dwordx4 s[44:47], s[4:5], 0x78
	s_load_dwordx2 s[34:35], s[4:5], 0x50
	s_load_dword s11, s[4:5], 0x48
	s_load_dword s8, s[4:5], 0x88
	s_load_dwordx8 s[36:43], s[4:5], 0x58
	s_mov_b32 s32, 0
	s_addc_u32 s1, s1, 0
	s_waitcnt lgkmcnt(0)
	v_mov_b32_e32 v1, s47
	buffer_store_dword v1, off, s[0:3], s32
	v_mov_b32_e32 v1, s8
	s_add_u32 s8, s4, 0x90
	s_mov_b32 s13, s9
	buffer_store_dword v1, off, s[0:3], s32 offset:4
	s_addc_u32 s9, s5, 0
	s_mov_b32 s14, s10
	s_mov_b32 s15, 31
	v_mov_b32_e32 v31, v0
	v_mov_b32_e32 v0, s24
	;; [unrolled: 1-line block ×32, first 2 shown]
	s_getpc_b64 s[4:5]
	s_add_u32 s4, s4, _ZN4vllm22paged_attention_kernelIfhLi120ELi32ELi128ELNS_18Fp8KVCacheDataTypeE1ELb1ELi512EEEvPfS2_PT_PKS3_PKT0_S9_ifPKiSB_iPKfiiiSD_SD_iiiii@rel32@lo+4
	s_addc_u32 s5, s5, _ZN4vllm22paged_attention_kernelIfhLi120ELi32ELi128ELNS_18Fp8KVCacheDataTypeE1ELb1ELi512EEEvPfS2_PT_PKS3_PKT0_S9_ifPKiSB_iPKfiiiSD_SD_iiiii@rel32@hi+12
	s_swappc_b64 s[30:31], s[4:5]
	s_endpgm
	.section	.rodata,"a",@progbits
	.p2align	6, 0x0
	.amdhsa_kernel _ZN4vllm25paged_attention_v2_kernelIfhLi120ELi32ELi128ELNS_18Fp8KVCacheDataTypeE1ELb1ELi512EEEvPfS2_PT_PKS3_PKT0_S9_ifPKiSB_iPKfiiiSD_SD_iiiii
		.amdhsa_group_segment_fixed_size 496
		.amdhsa_private_segment_fixed_size 632
		.amdhsa_kernarg_size 400
		.amdhsa_user_sgpr_count 8
		.amdhsa_user_sgpr_private_segment_buffer 1
		.amdhsa_user_sgpr_dispatch_ptr 0
		.amdhsa_user_sgpr_queue_ptr 0
		.amdhsa_user_sgpr_kernarg_segment_ptr 1
		.amdhsa_user_sgpr_dispatch_id 0
		.amdhsa_user_sgpr_flat_scratch_init 1
		.amdhsa_user_sgpr_kernarg_preload_length 0
		.amdhsa_user_sgpr_kernarg_preload_offset 0
		.amdhsa_user_sgpr_private_segment_size 0
		.amdhsa_uses_dynamic_stack 0
		.amdhsa_system_sgpr_private_segment_wavefront_offset 1
		.amdhsa_system_sgpr_workgroup_id_x 1
		.amdhsa_system_sgpr_workgroup_id_y 1
		.amdhsa_system_sgpr_workgroup_id_z 1
		.amdhsa_system_sgpr_workgroup_info 0
		.amdhsa_system_vgpr_workitem_id 0
		.amdhsa_next_free_vgpr 128
		.amdhsa_next_free_sgpr 48
		.amdhsa_accum_offset 64
		.amdhsa_reserve_vcc 1
		.amdhsa_reserve_flat_scratch 1
		.amdhsa_float_round_mode_32 0
		.amdhsa_float_round_mode_16_64 0
		.amdhsa_float_denorm_mode_32 3
		.amdhsa_float_denorm_mode_16_64 3
		.amdhsa_dx10_clamp 1
		.amdhsa_ieee_mode 1
		.amdhsa_fp16_overflow 0
		.amdhsa_tg_split 0
		.amdhsa_exception_fp_ieee_invalid_op 0
		.amdhsa_exception_fp_denorm_src 0
		.amdhsa_exception_fp_ieee_div_zero 0
		.amdhsa_exception_fp_ieee_overflow 0
		.amdhsa_exception_fp_ieee_underflow 0
		.amdhsa_exception_fp_ieee_inexact 0
		.amdhsa_exception_int_div_zero 0
	.end_amdhsa_kernel
	.section	.text._ZN4vllm25paged_attention_v2_kernelIfhLi120ELi32ELi128ELNS_18Fp8KVCacheDataTypeE1ELb1ELi512EEEvPfS2_PT_PKS3_PKT0_S9_ifPKiSB_iPKfiiiSD_SD_iiiii,"axG",@progbits,_ZN4vllm25paged_attention_v2_kernelIfhLi120ELi32ELi128ELNS_18Fp8KVCacheDataTypeE1ELb1ELi512EEEvPfS2_PT_PKS3_PKT0_S9_ifPKiSB_iPKfiiiSD_SD_iiiii,comdat
.Lfunc_end236:
	.size	_ZN4vllm25paged_attention_v2_kernelIfhLi120ELi32ELi128ELNS_18Fp8KVCacheDataTypeE1ELb1ELi512EEEvPfS2_PT_PKS3_PKT0_S9_ifPKiSB_iPKfiiiSD_SD_iiiii, .Lfunc_end236-_ZN4vllm25paged_attention_v2_kernelIfhLi120ELi32ELi128ELNS_18Fp8KVCacheDataTypeE1ELb1ELi512EEEvPfS2_PT_PKS3_PKT0_S9_ifPKiSB_iPKfiiiSD_SD_iiiii
                                        ; -- End function
	.section	.AMDGPU.csdata,"",@progbits
; Kernel info:
; codeLenInByte = 296
; NumSgprs: 54
; NumVgprs: 64
; NumAgprs: 64
; TotalNumVgprs: 128
; ScratchSize: 632
; MemoryBound: 0
; FloatMode: 240
; IeeeMode: 1
; LDSByteSize: 496 bytes/workgroup (compile time only)
; SGPRBlocks: 6
; VGPRBlocks: 15
; NumSGPRsForWavesPerEU: 54
; NumVGPRsForWavesPerEU: 128
; AccumOffset: 64
; Occupancy: 4
; WaveLimiterHint : 1
; COMPUTE_PGM_RSRC2:SCRATCH_EN: 1
; COMPUTE_PGM_RSRC2:USER_SGPR: 8
; COMPUTE_PGM_RSRC2:TRAP_HANDLER: 0
; COMPUTE_PGM_RSRC2:TGID_X_EN: 1
; COMPUTE_PGM_RSRC2:TGID_Y_EN: 1
; COMPUTE_PGM_RSRC2:TGID_Z_EN: 1
; COMPUTE_PGM_RSRC2:TIDIG_COMP_CNT: 0
; COMPUTE_PGM_RSRC3_GFX90A:ACCUM_OFFSET: 15
; COMPUTE_PGM_RSRC3_GFX90A:TG_SPLIT: 0
	.text
	.p2align	2                               ; -- Begin function _ZN4vllm22paged_attention_kernelIfhLi128ELi32ELi128ELNS_18Fp8KVCacheDataTypeE1ELb1ELi512EEEvPfS2_PT_PKS3_PKT0_S9_ifPKiSB_iPKfiiiSD_SD_iiiii
	.type	_ZN4vllm22paged_attention_kernelIfhLi128ELi32ELi128ELNS_18Fp8KVCacheDataTypeE1ELb1ELi512EEEvPfS2_PT_PKS3_PKT0_S9_ifPKiSB_iPKfiiiSD_SD_iiiii,@function
_ZN4vllm22paged_attention_kernelIfhLi128ELi32ELi128ELNS_18Fp8KVCacheDataTypeE1ELb1ELi512EEEvPfS2_PT_PKS3_PKT0_S9_ifPKiSB_iPKfiiiSD_SD_iiiii: ; @_ZN4vllm22paged_attention_kernelIfhLi128ELi32ELi128ELNS_18Fp8KVCacheDataTypeE1ELb1ELi512EEEvPfS2_PT_PKS3_PKT0_S9_ifPKiSB_iPKfiiiSD_SD_iiiii
; %bb.0:
	s_waitcnt vmcnt(0) expcnt(0) lgkmcnt(0)
	s_or_saveexec_b64 s[4:5], -1
	buffer_store_dword v63, off, s[0:3], s32 offset:652 ; 4-byte Folded Spill
	s_mov_b64 exec, s[4:5]
	buffer_store_dword v40, off, s[0:3], s32 offset:192 ; 4-byte Folded Spill
	buffer_store_dword v41, off, s[0:3], s32 offset:188 ; 4-byte Folded Spill
	buffer_store_dword v42, off, s[0:3], s32 offset:184 ; 4-byte Folded Spill
	buffer_store_dword v43, off, s[0:3], s32 offset:180 ; 4-byte Folded Spill
	buffer_store_dword v44, off, s[0:3], s32 offset:176 ; 4-byte Folded Spill
	buffer_store_dword v45, off, s[0:3], s32 offset:172 ; 4-byte Folded Spill
	buffer_store_dword v46, off, s[0:3], s32 offset:168 ; 4-byte Folded Spill
	buffer_store_dword v47, off, s[0:3], s32 offset:164 ; 4-byte Folded Spill
	buffer_store_dword v56, off, s[0:3], s32 offset:160 ; 4-byte Folded Spill
	buffer_store_dword v57, off, s[0:3], s32 offset:156 ; 4-byte Folded Spill
	buffer_store_dword v58, off, s[0:3], s32 offset:152 ; 4-byte Folded Spill
	buffer_store_dword v59, off, s[0:3], s32 offset:148 ; 4-byte Folded Spill
	buffer_store_dword v60, off, s[0:3], s32 offset:144 ; 4-byte Folded Spill
	buffer_store_dword v61, off, s[0:3], s32 offset:140 ; 4-byte Folded Spill
	buffer_store_dword v62, off, s[0:3], s32 offset:136 ; 4-byte Folded Spill
	buffer_store_dword a32, off, s[0:3], s32 offset:132 ; 4-byte Folded Spill
	buffer_store_dword a33, off, s[0:3], s32 offset:128 ; 4-byte Folded Spill
	buffer_store_dword a34, off, s[0:3], s32 offset:124 ; 4-byte Folded Spill
	buffer_store_dword a35, off, s[0:3], s32 offset:120 ; 4-byte Folded Spill
	buffer_store_dword a36, off, s[0:3], s32 offset:116 ; 4-byte Folded Spill
	buffer_store_dword a37, off, s[0:3], s32 offset:112 ; 4-byte Folded Spill
	buffer_store_dword a38, off, s[0:3], s32 offset:108 ; 4-byte Folded Spill
	buffer_store_dword a39, off, s[0:3], s32 offset:104 ; 4-byte Folded Spill
	buffer_store_dword a40, off, s[0:3], s32 offset:100 ; 4-byte Folded Spill
	buffer_store_dword a41, off, s[0:3], s32 offset:96 ; 4-byte Folded Spill
	buffer_store_dword a42, off, s[0:3], s32 offset:92 ; 4-byte Folded Spill
	buffer_store_dword a43, off, s[0:3], s32 offset:88 ; 4-byte Folded Spill
	buffer_store_dword a44, off, s[0:3], s32 offset:84 ; 4-byte Folded Spill
	buffer_store_dword a45, off, s[0:3], s32 offset:80 ; 4-byte Folded Spill
	buffer_store_dword a46, off, s[0:3], s32 offset:76 ; 4-byte Folded Spill
	buffer_store_dword a47, off, s[0:3], s32 offset:72 ; 4-byte Folded Spill
	buffer_store_dword a48, off, s[0:3], s32 offset:68 ; 4-byte Folded Spill
	buffer_store_dword a49, off, s[0:3], s32 offset:64 ; 4-byte Folded Spill
	buffer_store_dword a50, off, s[0:3], s32 offset:60 ; 4-byte Folded Spill
	buffer_store_dword a51, off, s[0:3], s32 offset:56 ; 4-byte Folded Spill
	buffer_store_dword a52, off, s[0:3], s32 offset:52 ; 4-byte Folded Spill
	buffer_store_dword a53, off, s[0:3], s32 offset:48 ; 4-byte Folded Spill
	buffer_store_dword a54, off, s[0:3], s32 offset:44 ; 4-byte Folded Spill
	buffer_store_dword a55, off, s[0:3], s32 offset:40 ; 4-byte Folded Spill
	buffer_store_dword a56, off, s[0:3], s32 offset:36 ; 4-byte Folded Spill
	buffer_store_dword a57, off, s[0:3], s32 offset:32 ; 4-byte Folded Spill
	buffer_store_dword a58, off, s[0:3], s32 offset:28 ; 4-byte Folded Spill
	buffer_store_dword a59, off, s[0:3], s32 offset:24 ; 4-byte Folded Spill
	buffer_store_dword a60, off, s[0:3], s32 offset:20 ; 4-byte Folded Spill
	buffer_store_dword a61, off, s[0:3], s32 offset:16 ; 4-byte Folded Spill
	buffer_store_dword a62, off, s[0:3], s32 offset:12 ; 4-byte Folded Spill
	buffer_store_dword a63, off, s[0:3], s32 offset:8 ; 4-byte Folded Spill
	v_writelane_b32 v63, s34, 0
	v_writelane_b32 v63, s35, 1
	;; [unrolled: 1-line block ×15, first 2 shown]
	s_mov_b32 s24, s13
	s_ashr_i32 s25, s13, 31
	buffer_store_dword v26, off, s[0:3], s32 offset:536 ; 4-byte Folded Spill
	s_nop 0
	buffer_store_dword v27, off, s[0:3], s32 offset:540 ; 4-byte Folded Spill
	buffer_store_dword v24, off, s[0:3], s32 offset:544 ; 4-byte Folded Spill
	s_nop 0
	buffer_store_dword v25, off, s[0:3], s32 offset:548 ; 4-byte Folded Spill
	buffer_store_dword v22, off, s[0:3], s32 offset:312 ; 4-byte Folded Spill
	s_nop 0
	buffer_store_dword v23, off, s[0:3], s32 offset:316 ; 4-byte Folded Spill
	s_lshl_b64 s[4:5], s[24:25], 2
	v_mov_b32_e32 v26, v1
	v_mov_b32_e32 v27, v0
	;; [unrolled: 1-line block ×3, first 2 shown]
	v_add_co_u32_e32 v0, vcc, s4, v16
	buffer_store_dword v5, off, s[0:3], s32 offset:576 ; 4-byte Folded Spill
	buffer_store_dword v4, off, s[0:3], s32 offset:572 ; 4-byte Folded Spill
	v_addc_co_u32_e32 v1, vcc, v17, v1, vcc
	flat_load_dword v62, v[0:1]
	buffer_load_dword v4, off, s[0:3], s32 offset:4
	buffer_load_dword v5, off, s[0:3], s32
	s_lshl_b32 s25, s14, 9
	v_mov_b32_e32 v25, v20
	v_mov_b32_e32 v24, v19
	;; [unrolled: 1-line block ×6, first 2 shown]
	s_waitcnt vmcnt(0) lgkmcnt(0)
	v_cmp_lt_i32_e32 vcc, s25, v62
	s_and_saveexec_b64 s[18:19], vcc
	s_cbranch_execz .LBB237_877
; %bb.1:
	v_sub_u32_e32 v0, 0, v12
	v_max_i32_e32 v0, v12, v0
	v_cvt_f32_u32_e32 v1, v0
	s_load_dword s4, s[8:9], 0x10
	s_load_dword s6, s[8:9], 0x0
	v_sub_u32_e32 v3, 0, v0
	s_mov_b32 s22, s15
	v_rcp_iflag_f32_e32 v1, v1
	s_waitcnt lgkmcnt(0)
	s_lshr_b32 s4, s4, 16
	s_cmp_lg_u32 s4, 0
	s_cselect_b64 s[4:5], -1, 0
	v_mul_f32_e32 v1, 0x4f7ffffe, v1
	v_cvt_u32_f32_e32 v1, v1
	s_cmp_lg_u64 s[4:5], 0
	s_addc_u32 s15, s6, 0
	s_abs_i32 s4, s15
	v_mul_lo_u32 v3, v3, v1
	v_mul_hi_u32 v3, v1, v3
	v_add_u32_e32 v1, v1, v3
	v_mul_hi_u32 v1, s4, v1
	v_mul_lo_u32 v3, v1, v0
	v_sub_u32_e32 v3, s4, v3
	v_add_u32_e32 v10, 1, v1
	v_cmp_ge_u32_e32 vcc, v3, v0
	v_cndmask_b32_e32 v1, v1, v10, vcc
	v_sub_u32_e32 v10, v3, v0
	v_cndmask_b32_e32 v3, v3, v10, vcc
	v_xor_b32_e32 v2, s15, v12
	v_add_u32_e32 v10, 1, v1
	v_cmp_ge_u32_e32 vcc, v3, v0
	v_ashrrev_i32_e32 v2, 31, v2
	v_cndmask_b32_e32 v0, v1, v10, vcc
	v_xor_b32_e32 v0, v0, v2
	v_sub_u32_e32 v3, v0, v2
	v_sub_u32_e32 v0, 0, v3
	v_max_i32_e32 v2, v3, v0
	v_cvt_f32_u32_e32 v0, v2
	v_sub_u32_e32 v1, 0, v2
	s_abs_i32 s10, s12
	v_cmp_ne_u64_e32 vcc, 0, v[24:25]
	v_rcp_iflag_f32_e32 v0, v0
	v_mul_f32_e32 v0, 0x4f7ffffe, v0
	v_cvt_u32_f32_e32 v0, v0
	v_mul_lo_u32 v1, v1, v0
	v_mul_hi_u32 v1, v0, v1
	v_add_u32_e32 v0, v0, v1
	v_mad_u64_u32 v[0:1], s[4:5], s10, v0, 0
	v_mov_b32_e32 v0, 0
	buffer_store_dword v0, off, s[0:3], s32 offset:564 ; 4-byte Folded Spill
	s_and_saveexec_b64 s[4:5], vcc
	s_cbranch_execz .LBB237_3
; %bb.2:
	s_ashr_i32 s13, s12, 31
	s_lshl_b64 s[6:7], s[12:13], 2
	v_mov_b32_e32 v0, s7
	v_add_co_u32_e32 v10, vcc, s6, v24
	v_addc_co_u32_e32 v11, vcc, v25, v0, vcc
	flat_load_dword v0, v[10:11]
	s_waitcnt vmcnt(0) lgkmcnt(0)
	buffer_store_dword v0, off, s[0:3], s32 offset:564 ; 4-byte Folded Spill
.LBB237_3:
	s_or_b64 exec, exec, s[4:5]
	v_ashrrev_i32_e32 v0, 31, v3
	v_and_b32_e32 v3, 0x3ff, v31
	s_ashr_i32 s11, s12, 31
	v_and_b32_e32 v10, 1, v3
	s_lshl_b32 s20, s12, 7
	v_cmp_gt_u32_e64 s[4:5], 64, v3
	v_lshlrev_b32_e32 v24, 2, v3
	buffer_store_dword v3, off, s[0:3], s32 offset:532 ; 4-byte Folded Spill
	s_and_saveexec_b64 s[6:7], s[4:5]
	s_cbranch_execz .LBB237_5
; %bb.4:
	v_mul_lo_u32 v16, s24, v21
	v_ashrrev_i32_e32 v17, 31, v16
	v_lshlrev_b64 v[16:17], 2, v[16:17]
	v_add_co_u32_e32 v3, vcc, v6, v16
	s_ashr_i32 s21, s20, 31
	v_addc_co_u32_e32 v6, vcc, v7, v17, vcc
	s_lshl_b64 s[16:17], s[20:21], 2
	v_mov_b32_e32 v7, s17
	v_add_co_u32_e32 v3, vcc, s16, v3
	v_addc_co_u32_e32 v7, vcc, v6, v7, vcc
	buffer_load_dword v6, off, s[0:3], s32 offset:532 ; 4-byte Folded Reload
	s_waitcnt vmcnt(0)
	v_lshlrev_b32_e32 v6, 3, v6
	v_add_co_u32_e32 v6, vcc, v3, v6
	v_addc_co_u32_e32 v7, vcc, 0, v7, vcc
	flat_load_dwordx2 v[6:7], v[6:7]
	v_and_b32_e32 v3, 0xff8, v24
	v_lshl_add_u32 v3, v10, 8, v3
	s_waitcnt vmcnt(0) lgkmcnt(0)
	ds_write_b64 v3, v[6:7]
.LBB237_5:
	s_or_b64 exec, exec, s[6:7]
	v_mul_lo_u32 v3, v1, v2
	v_sub_u32_e32 v3, s10, v3
	v_add_u32_e32 v6, 1, v1
	v_cmp_ge_u32_e32 vcc, v3, v2
	v_cndmask_b32_e32 v1, v1, v6, vcc
	v_sub_u32_e32 v6, v3, v2
	v_cndmask_b32_e32 v3, v3, v6, vcc
	v_cmp_ge_u32_e32 vcc, v3, v2
	v_sub_u32_e32 v2, 0, v5
	v_max_i32_e32 v3, v5, v2
	v_cvt_f32_u32_e32 v2, v3
	v_add_u32_e32 v6, 1, v1
	v_xor_b32_e32 v0, s11, v0
	v_cndmask_b32_e32 v1, v1, v6, vcc
	v_xor_b32_e32 v1, v1, v0
	v_sub_u32_e32 v0, v1, v0
	v_rcp_iflag_f32_e32 v1, v2
	s_waitcnt lgkmcnt(0)
	s_barrier
	v_mul_f32_e32 v1, 0x4f7ffffe, v1
	v_cvt_u32_f32_e32 v2, v1
	buffer_store_dword v3, off, s[0:3], s32 offset:196 ; 4-byte Folded Spill
	v_sub_u32_e32 v3, 0, v3
	v_add_u32_e32 v6, -1, v62
	v_mul_lo_u32 v3, v3, v2
	v_sub_u32_e32 v1, 0, v6
	v_mul_hi_u32 v3, v2, v3
	v_max_i32_e32 v1, v6, v1
	v_add_u32_e32 v2, v2, v3
	buffer_store_dword v2, off, s[0:3], s32 offset:220 ; 4-byte Folded Spill
	v_mad_u64_u32 v[2:3], s[6:7], v1, v2, 0
	v_cmp_gt_i32_e32 vcc, 0, v4
                                        ; implicit-def: $vgpr2
	buffer_store_dword v2, off, s[0:3], s32 offset:204 ; 4-byte Folded Spill
	s_nop 0
	buffer_store_dword v3, off, s[0:3], s32 offset:208 ; 4-byte Folded Spill
	s_and_saveexec_b64 s[6:7], vcc
	s_xor_b64 s[6:7], exec, s[6:7]
	s_cbranch_execz .LBB237_7
; %bb.6:
	v_mad_u64_u32 v[16:17], s[10:11], v28, v12, v[0:1]
	v_mul_lo_u32 v2, v16, v4
	v_sub_u32_e32 v2, 1, v2
	buffer_store_dword v2, off, s[0:3], s32 offset:204 ; 4-byte Folded Spill
	s_nop 0
	buffer_store_dword v3, off, s[0:3], s32 offset:208 ; 4-byte Folded Spill
                                        ; implicit-def: $vgpr28
                                        ; implicit-def: $vgpr4
.LBB237_7:
	s_or_saveexec_b64 s[6:7], s[6:7]
	v_ashrrev_i32_e32 v2, 31, v6
	v_ashrrev_i32_e32 v5, 31, v5
	buffer_store_dword v5, off, s[0:3], s32 offset:200 ; 4-byte Folded Spill
	s_xor_b64 exec, exec, s[6:7]
	s_cbranch_execz .LBB237_9
; %bb.8:
	v_mul_lo_u32 v5, s15, v28
	v_add_u32_e32 v5, s12, v5
	v_mad_u64_u32 v[4:5], s[10:11], v5, v4, 1
	buffer_store_dword v4, off, s[0:3], s32 offset:204 ; 4-byte Folded Spill
	s_nop 0
	buffer_store_dword v5, off, s[0:3], s32 offset:208 ; 4-byte Folded Spill
.LBB237_9:
	s_or_b64 exec, exec, s[6:7]
	s_load_dword s44, s[8:9], 0x14
	s_load_dword s13, s[8:9], 0x8
	buffer_load_dword v6, off, s[0:3], s32 offset:200 ; 4-byte Folded Reload
	buffer_load_dword v7, off, s[0:3], s32 offset:196 ; 4-byte Folded Reload
	s_lshl_b32 s21, s14, 4
	s_add_i32 s6, s21, 16
	v_mul_lo_u32 v4, s24, v18
	v_ashrrev_i32_e32 v5, 31, v4
	v_mul_lo_u32 v23, v0, v23
	v_mov_b32_e32 v59, 0xff7fffff
	v_ashrrev_i32_e32 v36, 31, v23
	v_sub_u32_e32 v37, 0, v30
	v_lshlrev_b64 v[34:35], 2, v[4:5]
	v_mbcnt_lo_u32_b32 v4, -1, 0
	s_waitcnt vmcnt(1)
	v_xor_b32_e32 v2, v2, v6
	s_waitcnt vmcnt(0)
	v_mul_lo_u32 v6, v3, v7
	v_sub_u32_e32 v1, v1, v6
	v_add_u32_e32 v6, 1, v3
	v_cmp_ge_u32_e32 vcc, v1, v7
	v_cndmask_b32_e32 v3, v3, v6, vcc
	v_sub_u32_e32 v6, v1, v7
	v_cndmask_b32_e32 v1, v1, v6, vcc
	v_add_u32_e32 v6, 1, v3
	v_cmp_ge_u32_e32 vcc, v1, v7
	v_cndmask_b32_e32 v1, v3, v6, vcc
	v_xor_b32_e32 v1, v1, v2
	v_sub_u32_e32 v1, v1, v2
	v_add_u32_e32 v2, 31, v62
	v_ashrrev_i32_e32 v3, 31, v2
	v_lshrrev_b32_e32 v3, 27, v3
	v_add_u32_e32 v2, v2, v3
	v_ashrrev_i32_e32 v31, 5, v2
	buffer_load_dword v2, off, s[0:3], s32 offset:532 ; 4-byte Folded Reload
	v_min_i32_e32 v3, s6, v31
	buffer_store_dword v3, off, s[0:3], s32 offset:212 ; 4-byte Folded Spill
	v_sub_u32_e32 v1, v1, v29
	buffer_store_dword v1, off, s[0:3], s32 offset:216 ; 4-byte Folded Spill
	s_waitcnt vmcnt(2)
	v_lshrrev_b32_e32 v25, 6, v2
	v_or_b32_e32 v2, s21, v25
	v_cmp_lt_i32_e64 s[6:7], v2, v3
	v_ashrrev_i32_e32 v3, 31, v2
	v_accvgpr_write_b32 a13, v3
	v_accvgpr_write_b32 a12, v2
	v_lshl_add_u32 v0, v25, 5, s25
	buffer_store_dword v0, off, s[0:3], s32 offset:580 ; 4-byte Folded Spill
	s_and_saveexec_b64 s[26:27], s[6:7]
	s_cbranch_execz .LBB237_403
; %bb.10:
	buffer_store_dword v31, off, s[0:3], s32 offset:588 ; 4-byte Folded Spill
	buffer_store_dword v24, off, s[0:3], s32 offset:584 ; 4-byte Folded Spill
	;; [unrolled: 1-line block ×8, first 2 shown]
	buffer_load_dword v0, off, s[0:3], s32 offset:532 ; 4-byte Folded Reload
	s_ashr_i32 s23, s22, 31
	buffer_store_dword v23, off, s[0:3], s32 offset:612 ; 4-byte Folded Spill
	buffer_store_dword v36, off, s[0:3], s32 offset:592 ; 4-byte Folded Spill
	s_lshl_b64 s[16:17], s[22:23], 2
	s_mov_b32 s28, 0
	s_brev_b32 s29, 1
	v_cmp_eq_u32_e64 s[8:9], 0, v10
	v_mov_b32_e32 v5, 0
	v_lshlrev_b32_e32 v48, 8, v10
	s_mov_b64 s[34:35], 0
	s_movk_i32 s45, 0x80
	s_movk_i32 s46, 0x7f
	s_mov_b32 s37, 0x7f800001
	v_mov_b32_e32 v59, 0xff7fffff
	s_waitcnt vmcnt(2)
	v_bfe_u32 v47, v0, 1, 5
	v_add_co_u32_e32 v0, vcc, v8, v23
	v_addc_co_u32_e32 v1, vcc, v9, v36, vcc
	v_lshlrev_b32_e32 v2, 4, v47
	v_add_co_u32_e32 v0, vcc, v0, v2
	v_addc_co_u32_e32 v1, vcc, 0, v1, vcc
	buffer_store_dword v0, off, s[0:3], s32 offset:556 ; 4-byte Folded Spill
	s_nop 0
	buffer_store_dword v1, off, s[0:3], s32 offset:560 ; 4-byte Folded Spill
	buffer_store_dword v30, off, s[0:3], s32 offset:644 ; 4-byte Folded Spill
	;; [unrolled: 1-line block ×3, first 2 shown]
	buffer_load_dword v2, off, s[0:3], s32 offset:564 ; 4-byte Folded Reload
	v_lshlrev_b32_e32 v0, 1, v10
	v_max_i32_e32 v1, v30, v37
	v_accvgpr_write_b32 a38, v0
	v_cvt_f32_u32_e32 v0, v1
	buffer_store_dword v1, off, s[0:3], s32 offset:328 ; 4-byte Folded Spill
	v_sub_u32_e32 v1, 0, v1
	s_getpc_b64 vcc
	s_add_u32 vcc_lo, vcc_lo, llvm.amdgcn.dynlds.offset.table@rel32@lo+4
	s_addc_u32 vcc_hi, vcc_hi, llvm.amdgcn.dynlds.offset.table@rel32@hi+12
	v_rcp_iflag_f32_e32 v0, v0
	s_add_u32 s30, s16, vcc_lo
	s_addc_u32 s31, s17, vcc_hi
	s_load_dword s23, s[30:31], 0x0
	v_mul_f32_e32 v0, 0x4f7ffffe, v0
	v_cvt_u32_f32_e32 v0, v0
	v_lshl_add_u32 v37, v25, 5, s25
	v_mul_lo_u32 v1, v1, v0
	v_mul_hi_u32 v1, v0, v1
	v_add_u32_e32 v0, v0, v1
	buffer_store_dword v0, off, s[0:3], s32 offset:320 ; 4-byte Folded Spill
	s_nop 0
	buffer_store_dword v1, off, s[0:3], s32 offset:324 ; 4-byte Folded Spill
	s_waitcnt vmcnt(3)
	v_cmp_neq_f32_e64 s[10:11], 0, v2
	v_accvgpr_read_b32 v2, a12
	v_accvgpr_read_b32 v3, a13
	v_lshlrev_b64 v[0:1], 2, v[2:3]
	v_add_co_u32_e32 v0, vcc, v34, v0
	buffer_store_dword v34, off, s[0:3], s32 offset:604 ; 4-byte Folded Spill
	s_nop 0
	buffer_store_dword v35, off, s[0:3], s32 offset:608 ; 4-byte Folded Spill
	v_mov_b32_e32 v46, v2
	buffer_store_dword v14, off, s[0:3], s32 offset:640 ; 4-byte Folded Spill
	buffer_store_dword v15, off, s[0:3], s32 offset:648 ; 4-byte Folded Spill
	buffer_store_dword v25, off, s[0:3], s32 offset:600 ; 4-byte Folded Spill
	v_addc_co_u32_e32 v1, vcc, v35, v1, vcc
	v_add_co_u32_e32 v26, vcc, v14, v0
	v_lshlrev_b32_e32 v0, 2, v47
	v_lshl_or_b32 v58, v25, 7, v0
	v_sub_u32_e32 v0, v47, v62
	v_add_u32_e32 v0, 1, v0
	v_addc_co_u32_e32 v27, vcc, v15, v1, vcc
	buffer_store_dword v0, off, s[0:3], s32 offset:568 ; 4-byte Folded Spill
	v_mbcnt_hi_u32_b32 v0, -1, v4
	buffer_store_dword v0, off, s[0:3], s32 offset:552 ; 4-byte Folded Spill
	s_branch .LBB237_13
.LBB237_11:                             ;   in Loop: Header=BB237_13 Depth=1
	s_or_b64 exec, exec, s[38:39]
.LBB237_12:                             ;   in Loop: Header=BB237_13 Depth=1
	s_or_b64 exec, exec, s[16:17]
	buffer_load_dword v0, off, s[0:3], s32 offset:212 ; 4-byte Folded Reload
	v_add_co_u32_e32 v26, vcc, 8, v26
	v_add_u32_e32 v46, 2, v46
	v_addc_co_u32_e32 v27, vcc, 0, v27, vcc
	v_add_u32_e32 v37, 64, v37
	v_add_u32_e32 v58, 0x100, v58
	s_waitcnt vmcnt(0)
	v_cmp_ge_i32_e32 vcc, v46, v0
	s_or_b64 s[34:35], vcc, s[34:35]
	s_andn2_b64 exec, exec, s[34:35]
	s_cbranch_execz .LBB237_402
.LBB237_13:                             ; =>This Inner Loop Header: Depth=1
	s_waitcnt lgkmcnt(0)
	buffer_load_dword v1, off, s[0:3], s32 offset:200 ; 4-byte Folded Reload
	buffer_load_dword v2, off, s[0:3], s32 offset:220 ; 4-byte Folded Reload
	;; [unrolled: 1-line block ×3, first 2 shown]
	v_ashrrev_i32_e32 v0, 31, v37
	s_waitcnt vmcnt(2)
	v_xor_b32_e32 v0, v0, v1
	v_sub_u32_e32 v1, 0, v37
	v_max_i32_e32 v1, v37, v1
	s_waitcnt vmcnt(1)
	v_mul_hi_u32 v2, v1, v2
	s_waitcnt vmcnt(0)
	v_mul_lo_u32 v3, v2, v4
	v_sub_u32_e32 v1, v1, v3
	v_add_u32_e32 v3, 1, v2
	v_cmp_ge_u32_e32 vcc, v1, v4
	v_cndmask_b32_e32 v2, v2, v3, vcc
	v_sub_u32_e32 v3, v1, v4
	v_cndmask_b32_e32 v1, v1, v3, vcc
	v_add_u32_e32 v3, 1, v2
	v_cmp_ge_u32_e32 vcc, v1, v4
	v_cndmask_b32_e32 v1, v2, v3, vcc
	buffer_load_dword v2, off, s[0:3], s32 offset:204 ; 4-byte Folded Reload
	buffer_load_dword v3, off, s[0:3], s32 offset:208 ; 4-byte Folded Reload
	;; [unrolled: 1-line block ×5, first 2 shown]
	v_xor_b32_e32 v1, v1, v0
	v_sub_u32_e32 v0, v1, v0
	s_waitcnt vmcnt(4)
	v_add_u32_e32 v1, v0, v2
	s_waitcnt vmcnt(3)
	v_sub_u32_e32 v3, 0, v1
	v_ashrrev_i32_e32 v2, 31, v1
	v_max_i32_e32 v1, v1, v3
	s_waitcnt vmcnt(2)
	v_mul_hi_u32 v3, v1, v6
	s_waitcnt vmcnt(0)
	v_mul_lo_u32 v3, v3, v4
	v_sub_u32_e32 v1, v1, v3
	v_sub_u32_e32 v3, v1, v4
	v_cmp_ge_u32_e32 vcc, v1, v4
	v_cndmask_b32_e32 v1, v1, v3, vcc
	v_sub_u32_e32 v3, v1, v4
	v_cmp_ge_u32_e32 vcc, v1, v4
	v_cndmask_b32_e32 v1, v1, v3, vcc
	v_xor_b32_e32 v1, v1, v2
	v_sub_u32_e32 v1, v1, v2
	v_cmp_ne_u32_e32 vcc, 0, v1
	buffer_load_dword v1, off, s[0:3], s32 offset:216 ; 4-byte Folded Reload
	s_waitcnt vmcnt(0)
	v_cmp_le_i32_e64 s[16:17], v0, v1
	s_and_b64 s[16:17], vcc, s[16:17]
	s_and_b64 s[38:39], s[8:9], s[16:17]
	s_and_saveexec_b64 vcc, s[38:39]
	s_cbranch_execz .LBB237_15
; %bb.14:                               ;   in Loop: Header=BB237_13 Depth=1
	s_waitcnt lgkmcnt(0)
	v_add_u32_e32 v0, s23, v58
	v_mov_b32_e32 v1, 0xff7fffff
	ds_write_b32 v0, v1
.LBB237_15:                             ;   in Loop: Header=BB237_13 Depth=1
	s_or_b64 exec, exec, vcc
	s_xor_b64 vcc, s[16:17], -1
	s_and_saveexec_b64 s[16:17], vcc
	s_cbranch_execz .LBB237_12
; %bb.16:                               ;   in Loop: Header=BB237_13 Depth=1
	flat_load_dword v0, v[26:27]
	buffer_load_dword v2, off, s[0:3], s32 offset:312 ; 4-byte Folded Reload
	buffer_load_dword v3, off, s[0:3], s32 offset:316 ; 4-byte Folded Reload
	;; [unrolled: 1-line block ×4, first 2 shown]
	s_waitcnt vmcnt(0) lgkmcnt(0)
	v_mad_i64_i32 v[0:1], vcc, v0, v2, v[6:7]
	v_accvgpr_read_b32 v2, a38
	v_add_co_u32_e32 v2, vcc, v0, v2
	v_addc_co_u32_e32 v3, vcc, 0, v1, vcc
	flat_load_ushort v1, v[2:3]
	buffer_load_dword v6, off, s[0:3], s32 offset:544 ; 4-byte Folded Reload
	buffer_load_dword v7, off, s[0:3], s32 offset:548 ; 4-byte Folded Reload
	s_waitcnt vmcnt(0) lgkmcnt(0)
	v_and_b32_e32 v0, 0xffff, v1
	flat_load_dword v12, v[6:7]
	ds_read_b128 v[6:9], v48
	s_waitcnt lgkmcnt(0)
	buffer_store_dword v6, off, s[0:3], s32 offset:452 ; 4-byte Folded Spill
	s_nop 0
	buffer_store_dword v7, off, s[0:3], s32 offset:456 ; 4-byte Folded Spill
	buffer_store_dword v8, off, s[0:3], s32 offset:460 ; 4-byte Folded Spill
	buffer_store_dword v9, off, s[0:3], s32 offset:464 ; 4-byte Folded Spill
	ds_read_b128 v[6:9], v48 offset:16
	s_waitcnt lgkmcnt(0)
	buffer_store_dword v6, off, s[0:3], s32 offset:436 ; 4-byte Folded Spill
	s_nop 0
	buffer_store_dword v7, off, s[0:3], s32 offset:440 ; 4-byte Folded Spill
	buffer_store_dword v8, off, s[0:3], s32 offset:444 ; 4-byte Folded Spill
	buffer_store_dword v9, off, s[0:3], s32 offset:448 ; 4-byte Folded Spill
	ds_read_b128 v[6:9], v48 offset:32
	;; [unrolled: 7-line block ×7, first 2 shown]
	s_waitcnt lgkmcnt(0)
	buffer_store_dword v6, off, s[0:3], s32 offset:340 ; 4-byte Folded Spill
	s_nop 0
	buffer_store_dword v7, off, s[0:3], s32 offset:344 ; 4-byte Folded Spill
	buffer_store_dword v8, off, s[0:3], s32 offset:348 ; 4-byte Folded Spill
	;; [unrolled: 1-line block ×3, first 2 shown]
	ds_read_b64 v[6:7], v48 offset:192
	s_waitcnt lgkmcnt(0)
	buffer_store_dword v6, off, s[0:3], s32 offset:332 ; 4-byte Folded Spill
	s_nop 0
	buffer_store_dword v7, off, s[0:3], s32 offset:336 ; 4-byte Folded Spill
	v_pk_mov_b32 v[6:7], 0, 0
	buffer_store_dword v6, off, s[0:3], s32 offset:232 ; 4-byte Folded Spill
	s_nop 0
	buffer_store_dword v7, off, s[0:3], s32 offset:236 ; 4-byte Folded Spill
	buffer_store_dword v6, off, s[0:3], s32 offset:224 ; 4-byte Folded Spill
	s_nop 0
	buffer_store_dword v7, off, s[0:3], s32 offset:228 ; 4-byte Folded Spill
	ds_read_b128 v[6:9], v48 offset:128
	s_waitcnt lgkmcnt(0)
	buffer_store_dword v6, off, s[0:3], s32 offset:516 ; 4-byte Folded Spill
	s_nop 0
	buffer_store_dword v7, off, s[0:3], s32 offset:520 ; 4-byte Folded Spill
	buffer_store_dword v8, off, s[0:3], s32 offset:524 ; 4-byte Folded Spill
	buffer_store_dword v9, off, s[0:3], s32 offset:528 ; 4-byte Folded Spill
	ds_read_b128 v[6:9], v48 offset:144
	s_waitcnt lgkmcnt(0)
	buffer_store_dword v6, off, s[0:3], s32 offset:500 ; 4-byte Folded Spill
	s_nop 0
	buffer_store_dword v7, off, s[0:3], s32 offset:504 ; 4-byte Folded Spill
	buffer_store_dword v8, off, s[0:3], s32 offset:508 ; 4-byte Folded Spill
	;; [unrolled: 7-line block ×3, first 2 shown]
	buffer_store_dword v9, off, s[0:3], s32 offset:496 ; 4-byte Folded Spill
	ds_read_b128 v[6:9], v48 offset:176
	v_cmp_ne_u16_sdwa vcc, v1, v5 src0_sel:BYTE_0 src1_sel:DWORD
	s_waitcnt lgkmcnt(0)
	buffer_store_dword v6, off, s[0:3], s32 offset:468 ; 4-byte Folded Spill
	s_nop 0
	buffer_store_dword v7, off, s[0:3], s32 offset:472 ; 4-byte Folded Spill
	buffer_store_dword v8, off, s[0:3], s32 offset:476 ; 4-byte Folded Spill
	;; [unrolled: 1-line block ×3, first 2 shown]
	s_and_saveexec_b64 s[38:39], vcc
	s_cbranch_execz .LBB237_22
; %bb.17:                               ;   in Loop: Header=BB237_13 Depth=1
	v_bfrev_b32_e32 v6, 1
	v_cmp_ne_u16_sdwa vcc, v0, s45 src0_sel:BYTE_0 src1_sel:DWORD
	v_mov_b32_e32 v7, 0
	buffer_store_dword v6, off, s[0:3], s32 offset:224 ; 4-byte Folded Spill
	s_nop 0
	buffer_store_dword v7, off, s[0:3], s32 offset:228 ; 4-byte Folded Spill
	s_and_saveexec_b64 s[40:41], vcc
	s_cbranch_execz .LBB237_21
; %bb.18:                               ;   in Loop: Header=BB237_13 Depth=1
	v_and_b32_e32 v1, 0x7f, v0
	v_mov_b32_e32 v6, 0x7f800001
	v_cmp_ne_u32_e32 vcc, s46, v1
	v_mov_b32_e32 v7, 0
	buffer_store_dword v6, off, s[0:3], s32 offset:224 ; 4-byte Folded Spill
	s_nop 0
	buffer_store_dword v7, off, s[0:3], s32 offset:228 ; 4-byte Folded Spill
	s_and_saveexec_b64 s[42:43], vcc
	s_cbranch_execz .LBB237_20
; %bb.19:                               ;   in Loop: Header=BB237_13 Depth=1
	v_and_b32_e32 v4, 7, v0
	v_ffbh_u32_e32 v6, v4
	v_min_u32_e32 v9, 32, v6
	v_subrev_u32_e32 v6, 28, v9
	v_lshlrev_b64 v[6:7], v6, v[0:1]
	v_lshrrev_b32_e32 v8, 3, v1
	v_sub_u32_e32 v7, 29, v9
	v_and_b32_e32 v6, 7, v6
	v_cmp_gt_u32_e32 vcc, 8, v1
	v_cndmask_b32_e32 v1, v8, v7, vcc
	v_cndmask_b32_e32 v4, v4, v6, vcc
	v_bfrev_b32_e32 v7, 60
	v_lshlrev_b32_e32 v4, 20, v4
	v_and_b32_sdwa v6, sext(v0), s29 dst_sel:DWORD dst_unused:UNUSED_PAD src0_sel:BYTE_0 src1_sel:DWORD
	v_lshl_add_u32 v1, v1, 23, v7
	v_or3_b32 v4, v6, v1, v4
	buffer_store_dword v4, off, s[0:3], s32 offset:224 ; 4-byte Folded Spill
	s_nop 0
	buffer_store_dword v5, off, s[0:3], s32 offset:228 ; 4-byte Folded Spill
.LBB237_20:                             ;   in Loop: Header=BB237_13 Depth=1
	s_or_b64 exec, exec, s[42:43]
.LBB237_21:                             ;   in Loop: Header=BB237_13 Depth=1
	s_or_b64 exec, exec, s[40:41]
.LBB237_22:                             ;   in Loop: Header=BB237_13 Depth=1
	s_or_b64 exec, exec, s[38:39]
	v_cmp_ne_u16_sdwa vcc, v0, v5 src0_sel:BYTE_1 src1_sel:DWORD
	s_and_saveexec_b64 s[38:39], vcc
	s_cbranch_execz .LBB237_28
; %bb.23:                               ;   in Loop: Header=BB237_13 Depth=1
	v_cmp_ne_u16_sdwa vcc, v0, s45 src0_sel:BYTE_1 src1_sel:DWORD
	v_pk_mov_b32 v[6:7], s[28:29], s[28:29] op_sel:[0,1]
	buffer_store_dword v6, off, s[0:3], s32 offset:232 ; 4-byte Folded Spill
	s_nop 0
	buffer_store_dword v7, off, s[0:3], s32 offset:236 ; 4-byte Folded Spill
	s_and_saveexec_b64 s[40:41], vcc
	s_cbranch_execz .LBB237_27
; %bb.24:                               ;   in Loop: Header=BB237_13 Depth=1
	v_and_b32_sdwa v1, v0, s46 dst_sel:DWORD dst_unused:UNUSED_PAD src0_sel:BYTE_1 src1_sel:DWORD
	s_mov_b32 s36, s28
	v_cmp_ne_u32_e32 vcc, s46, v1
	v_pk_mov_b32 v[6:7], s[36:37], s[36:37] op_sel:[0,1]
	buffer_store_dword v6, off, s[0:3], s32 offset:232 ; 4-byte Folded Spill
	s_nop 0
	buffer_store_dword v7, off, s[0:3], s32 offset:236 ; 4-byte Folded Spill
	s_and_saveexec_b64 s[42:43], vcc
	s_cbranch_execz .LBB237_26
; %bb.25:                               ;   in Loop: Header=BB237_13 Depth=1
	v_mov_b32_e32 v4, 7
	v_and_b32_sdwa v4, v0, v4 dst_sel:DWORD dst_unused:UNUSED_PAD src0_sel:BYTE_1 src1_sel:DWORD
	v_ffbh_u32_e32 v6, v4
	v_min_u32_e32 v9, 32, v6
	v_subrev_u32_e32 v6, 28, v9
	v_lshlrev_b64 v[6:7], v6, v[4:5]
	v_lshrrev_b32_e32 v8, 3, v1
	v_sub_u32_e32 v7, 29, v9
	v_and_b32_e32 v6, 7, v6
	v_cmp_gt_u32_e32 vcc, 8, v1
	v_cndmask_b32_e32 v1, v8, v7, vcc
	v_cndmask_b32_e32 v4, v4, v6, vcc
	v_bfrev_b32_e32 v6, 60
	v_lshlrev_b32_e32 v0, 16, v0
	v_lshl_add_u32 v1, v1, 23, v6
	v_and_or_b32 v0, v0, s29, v1
	v_lshlrev_b32_e32 v1, 20, v4
	v_or_b32_e32 v1, v0, v1
	v_mov_b32_e32 v0, v5
	buffer_store_dword v0, off, s[0:3], s32 offset:232 ; 4-byte Folded Spill
	s_nop 0
	buffer_store_dword v1, off, s[0:3], s32 offset:236 ; 4-byte Folded Spill
.LBB237_26:                             ;   in Loop: Header=BB237_13 Depth=1
	s_or_b64 exec, exec, s[42:43]
.LBB237_27:                             ;   in Loop: Header=BB237_13 Depth=1
	s_or_b64 exec, exec, s[40:41]
.LBB237_28:                             ;   in Loop: Header=BB237_13 Depth=1
	s_or_b64 exec, exec, s[38:39]
	flat_load_ushort v1, v[2:3] offset:4
	v_pk_mov_b32 v[16:17], 0, 0
	v_pk_mov_b32 v[18:19], v[16:17], v[16:17] op_sel:[0,1]
	s_waitcnt vmcnt(0) lgkmcnt(0)
	v_and_b32_e32 v0, 0xffff, v1
	v_cmp_ne_u16_sdwa vcc, v1, v5 src0_sel:BYTE_0 src1_sel:DWORD
	s_and_saveexec_b64 s[38:39], vcc
	s_cbranch_execz .LBB237_34
; %bb.29:                               ;   in Loop: Header=BB237_13 Depth=1
	v_bfrev_b32_e32 v18, 1
	v_cmp_ne_u16_sdwa vcc, v0, s45 src0_sel:BYTE_0 src1_sel:DWORD
	v_mov_b32_e32 v19, 0
	s_and_saveexec_b64 s[40:41], vcc
	s_cbranch_execz .LBB237_33
; %bb.30:                               ;   in Loop: Header=BB237_13 Depth=1
	v_and_b32_e32 v1, 0x7f, v0
	v_mov_b32_e32 v18, 0x7f800001
	v_cmp_ne_u32_e32 vcc, s46, v1
	v_mov_b32_e32 v19, 0
	s_and_saveexec_b64 s[42:43], vcc
	s_cbranch_execz .LBB237_32
; %bb.31:                               ;   in Loop: Header=BB237_13 Depth=1
	v_and_b32_e32 v4, 7, v0
	v_ffbh_u32_e32 v6, v4
	v_min_u32_e32 v9, 32, v6
	v_subrev_u32_e32 v6, 28, v9
	v_lshlrev_b64 v[6:7], v6, v[0:1]
	v_lshrrev_b32_e32 v8, 3, v1
	v_sub_u32_e32 v7, 29, v9
	v_and_b32_e32 v6, 7, v6
	v_cmp_gt_u32_e32 vcc, 8, v1
	v_cndmask_b32_e32 v1, v8, v7, vcc
	v_cndmask_b32_e32 v4, v4, v6, vcc
	v_bfrev_b32_e32 v7, 60
	v_lshlrev_b32_e32 v4, 20, v4
	v_and_b32_sdwa v6, sext(v0), s29 dst_sel:DWORD dst_unused:UNUSED_PAD src0_sel:BYTE_0 src1_sel:DWORD
	v_lshl_add_u32 v1, v1, 23, v7
	v_or3_b32 v4, v6, v1, v4
	v_pk_mov_b32 v[18:19], v[4:5], v[4:5] op_sel:[0,1]
.LBB237_32:                             ;   in Loop: Header=BB237_13 Depth=1
	s_or_b64 exec, exec, s[42:43]
.LBB237_33:                             ;   in Loop: Header=BB237_13 Depth=1
	s_or_b64 exec, exec, s[40:41]
.LBB237_34:                             ;   in Loop: Header=BB237_13 Depth=1
	s_or_b64 exec, exec, s[38:39]
	v_cmp_ne_u16_sdwa vcc, v0, v5 src0_sel:BYTE_1 src1_sel:DWORD
	s_and_saveexec_b64 s[38:39], vcc
	s_cbranch_execz .LBB237_40
; %bb.35:                               ;   in Loop: Header=BB237_13 Depth=1
	v_cmp_ne_u16_sdwa vcc, v0, s45 src0_sel:BYTE_1 src1_sel:DWORD
	v_pk_mov_b32 v[16:17], s[28:29], s[28:29] op_sel:[0,1]
	s_and_saveexec_b64 s[40:41], vcc
	s_cbranch_execz .LBB237_39
; %bb.36:                               ;   in Loop: Header=BB237_13 Depth=1
	v_and_b32_sdwa v1, v0, s46 dst_sel:DWORD dst_unused:UNUSED_PAD src0_sel:BYTE_1 src1_sel:DWORD
	s_mov_b32 s36, s28
	v_cmp_ne_u32_e32 vcc, s46, v1
	v_pk_mov_b32 v[16:17], s[36:37], s[36:37] op_sel:[0,1]
	s_and_saveexec_b64 s[42:43], vcc
	s_cbranch_execz .LBB237_38
; %bb.37:                               ;   in Loop: Header=BB237_13 Depth=1
	v_mov_b32_e32 v4, 7
	v_and_b32_sdwa v4, v0, v4 dst_sel:DWORD dst_unused:UNUSED_PAD src0_sel:BYTE_1 src1_sel:DWORD
	v_ffbh_u32_e32 v6, v4
	v_min_u32_e32 v9, 32, v6
	v_subrev_u32_e32 v6, 28, v9
	v_lshlrev_b64 v[6:7], v6, v[4:5]
	v_lshrrev_b32_e32 v8, 3, v1
	v_sub_u32_e32 v7, 29, v9
	v_and_b32_e32 v6, 7, v6
	v_cmp_gt_u32_e32 vcc, 8, v1
	v_cndmask_b32_e32 v1, v8, v7, vcc
	v_cndmask_b32_e32 v4, v4, v6, vcc
	v_bfrev_b32_e32 v6, 60
	v_lshlrev_b32_e32 v0, 16, v0
	v_lshl_add_u32 v1, v1, 23, v6
	v_and_or_b32 v0, v0, s29, v1
	v_lshlrev_b32_e32 v1, 20, v4
	v_or_b32_e32 v17, v0, v1
	v_mov_b32_e32 v16, v5
.LBB237_38:                             ;   in Loop: Header=BB237_13 Depth=1
	s_or_b64 exec, exec, s[42:43]
.LBB237_39:                             ;   in Loop: Header=BB237_13 Depth=1
	s_or_b64 exec, exec, s[40:41]
.LBB237_40:                             ;   in Loop: Header=BB237_13 Depth=1
	s_or_b64 exec, exec, s[38:39]
	flat_load_ushort v1, v[2:3] offset:8
	v_pk_mov_b32 v[6:7], 0, 0
	buffer_store_dword v6, off, s[0:3], s32 offset:248 ; 4-byte Folded Spill
	s_nop 0
	buffer_store_dword v7, off, s[0:3], s32 offset:252 ; 4-byte Folded Spill
	buffer_store_dword v6, off, s[0:3], s32 offset:240 ; 4-byte Folded Spill
	s_nop 0
	buffer_store_dword v7, off, s[0:3], s32 offset:244 ; 4-byte Folded Spill
	s_waitcnt vmcnt(0) lgkmcnt(0)
	v_and_b32_e32 v0, 0xffff, v1
	v_cmp_ne_u16_sdwa vcc, v1, v5 src0_sel:BYTE_0 src1_sel:DWORD
	s_and_saveexec_b64 s[38:39], vcc
	s_cbranch_execz .LBB237_46
; %bb.41:                               ;   in Loop: Header=BB237_13 Depth=1
	v_bfrev_b32_e32 v6, 1
	v_cmp_ne_u16_sdwa vcc, v0, s45 src0_sel:BYTE_0 src1_sel:DWORD
	v_mov_b32_e32 v7, 0
	buffer_store_dword v6, off, s[0:3], s32 offset:240 ; 4-byte Folded Spill
	s_nop 0
	buffer_store_dword v7, off, s[0:3], s32 offset:244 ; 4-byte Folded Spill
	s_and_saveexec_b64 s[40:41], vcc
	s_cbranch_execz .LBB237_45
; %bb.42:                               ;   in Loop: Header=BB237_13 Depth=1
	v_and_b32_e32 v1, 0x7f, v0
	v_mov_b32_e32 v6, 0x7f800001
	v_cmp_ne_u32_e32 vcc, s46, v1
	v_mov_b32_e32 v7, 0
	buffer_store_dword v6, off, s[0:3], s32 offset:240 ; 4-byte Folded Spill
	s_nop 0
	buffer_store_dword v7, off, s[0:3], s32 offset:244 ; 4-byte Folded Spill
	s_and_saveexec_b64 s[42:43], vcc
	s_cbranch_execz .LBB237_44
; %bb.43:                               ;   in Loop: Header=BB237_13 Depth=1
	v_and_b32_e32 v4, 7, v0
	v_ffbh_u32_e32 v6, v4
	v_min_u32_e32 v9, 32, v6
	v_subrev_u32_e32 v6, 28, v9
	v_lshlrev_b64 v[6:7], v6, v[0:1]
	v_lshrrev_b32_e32 v8, 3, v1
	v_sub_u32_e32 v7, 29, v9
	v_and_b32_e32 v6, 7, v6
	v_cmp_gt_u32_e32 vcc, 8, v1
	v_cndmask_b32_e32 v1, v8, v7, vcc
	v_cndmask_b32_e32 v4, v4, v6, vcc
	v_bfrev_b32_e32 v7, 60
	v_lshlrev_b32_e32 v4, 20, v4
	v_and_b32_sdwa v6, sext(v0), s29 dst_sel:DWORD dst_unused:UNUSED_PAD src0_sel:BYTE_0 src1_sel:DWORD
	v_lshl_add_u32 v1, v1, 23, v7
	v_or3_b32 v4, v6, v1, v4
	buffer_store_dword v4, off, s[0:3], s32 offset:240 ; 4-byte Folded Spill
	s_nop 0
	buffer_store_dword v5, off, s[0:3], s32 offset:244 ; 4-byte Folded Spill
.LBB237_44:                             ;   in Loop: Header=BB237_13 Depth=1
	s_or_b64 exec, exec, s[42:43]
.LBB237_45:                             ;   in Loop: Header=BB237_13 Depth=1
	s_or_b64 exec, exec, s[40:41]
.LBB237_46:                             ;   in Loop: Header=BB237_13 Depth=1
	s_or_b64 exec, exec, s[38:39]
	v_cmp_ne_u16_sdwa vcc, v0, v5 src0_sel:BYTE_1 src1_sel:DWORD
	s_and_saveexec_b64 s[38:39], vcc
	s_cbranch_execz .LBB237_52
; %bb.47:                               ;   in Loop: Header=BB237_13 Depth=1
	v_cmp_ne_u16_sdwa vcc, v0, s45 src0_sel:BYTE_1 src1_sel:DWORD
	v_pk_mov_b32 v[6:7], s[28:29], s[28:29] op_sel:[0,1]
	buffer_store_dword v6, off, s[0:3], s32 offset:248 ; 4-byte Folded Spill
	s_nop 0
	buffer_store_dword v7, off, s[0:3], s32 offset:252 ; 4-byte Folded Spill
	s_and_saveexec_b64 s[40:41], vcc
	s_cbranch_execz .LBB237_51
; %bb.48:                               ;   in Loop: Header=BB237_13 Depth=1
	v_and_b32_sdwa v1, v0, s46 dst_sel:DWORD dst_unused:UNUSED_PAD src0_sel:BYTE_1 src1_sel:DWORD
	s_mov_b32 s36, s28
	v_cmp_ne_u32_e32 vcc, s46, v1
	v_pk_mov_b32 v[6:7], s[36:37], s[36:37] op_sel:[0,1]
	buffer_store_dword v6, off, s[0:3], s32 offset:248 ; 4-byte Folded Spill
	s_nop 0
	buffer_store_dword v7, off, s[0:3], s32 offset:252 ; 4-byte Folded Spill
	s_and_saveexec_b64 s[42:43], vcc
	s_cbranch_execz .LBB237_50
; %bb.49:                               ;   in Loop: Header=BB237_13 Depth=1
	v_mov_b32_e32 v4, 7
	v_and_b32_sdwa v4, v0, v4 dst_sel:DWORD dst_unused:UNUSED_PAD src0_sel:BYTE_1 src1_sel:DWORD
	v_ffbh_u32_e32 v6, v4
	v_min_u32_e32 v9, 32, v6
	v_subrev_u32_e32 v6, 28, v9
	v_lshlrev_b64 v[6:7], v6, v[4:5]
	v_lshrrev_b32_e32 v8, 3, v1
	v_sub_u32_e32 v7, 29, v9
	v_and_b32_e32 v6, 7, v6
	v_cmp_gt_u32_e32 vcc, 8, v1
	v_cndmask_b32_e32 v1, v8, v7, vcc
	v_cndmask_b32_e32 v4, v4, v6, vcc
	v_bfrev_b32_e32 v6, 60
	v_lshlrev_b32_e32 v0, 16, v0
	v_lshl_add_u32 v1, v1, 23, v6
	v_and_or_b32 v0, v0, s29, v1
	v_lshlrev_b32_e32 v1, 20, v4
	v_or_b32_e32 v1, v0, v1
	v_mov_b32_e32 v0, v5
	buffer_store_dword v0, off, s[0:3], s32 offset:248 ; 4-byte Folded Spill
	s_nop 0
	buffer_store_dword v1, off, s[0:3], s32 offset:252 ; 4-byte Folded Spill
.LBB237_50:                             ;   in Loop: Header=BB237_13 Depth=1
	s_or_b64 exec, exec, s[42:43]
.LBB237_51:                             ;   in Loop: Header=BB237_13 Depth=1
	s_or_b64 exec, exec, s[40:41]
.LBB237_52:                             ;   in Loop: Header=BB237_13 Depth=1
	s_or_b64 exec, exec, s[38:39]
	flat_load_ushort v1, v[2:3] offset:12
	v_pk_mov_b32 v[6:7], 0, 0
	buffer_store_dword v6, off, s[0:3], s32 offset:264 ; 4-byte Folded Spill
	s_nop 0
	buffer_store_dword v7, off, s[0:3], s32 offset:268 ; 4-byte Folded Spill
	buffer_store_dword v6, off, s[0:3], s32 offset:256 ; 4-byte Folded Spill
	s_nop 0
	buffer_store_dword v7, off, s[0:3], s32 offset:260 ; 4-byte Folded Spill
	s_waitcnt vmcnt(0) lgkmcnt(0)
	v_and_b32_e32 v0, 0xffff, v1
	v_cmp_ne_u16_sdwa vcc, v1, v5 src0_sel:BYTE_0 src1_sel:DWORD
	s_and_saveexec_b64 s[38:39], vcc
	s_cbranch_execz .LBB237_58
; %bb.53:                               ;   in Loop: Header=BB237_13 Depth=1
	v_bfrev_b32_e32 v6, 1
	v_cmp_ne_u16_sdwa vcc, v0, s45 src0_sel:BYTE_0 src1_sel:DWORD
	v_mov_b32_e32 v7, 0
	buffer_store_dword v6, off, s[0:3], s32 offset:256 ; 4-byte Folded Spill
	s_nop 0
	buffer_store_dword v7, off, s[0:3], s32 offset:260 ; 4-byte Folded Spill
	s_and_saveexec_b64 s[40:41], vcc
	s_cbranch_execz .LBB237_57
; %bb.54:                               ;   in Loop: Header=BB237_13 Depth=1
	v_and_b32_e32 v1, 0x7f, v0
	v_mov_b32_e32 v6, 0x7f800001
	v_cmp_ne_u32_e32 vcc, s46, v1
	v_mov_b32_e32 v7, 0
	buffer_store_dword v6, off, s[0:3], s32 offset:256 ; 4-byte Folded Spill
	s_nop 0
	buffer_store_dword v7, off, s[0:3], s32 offset:260 ; 4-byte Folded Spill
	s_and_saveexec_b64 s[42:43], vcc
	s_cbranch_execz .LBB237_56
; %bb.55:                               ;   in Loop: Header=BB237_13 Depth=1
	v_and_b32_e32 v4, 7, v0
	v_lshrrev_b32_e32 v8, 3, v1
	v_cmp_gt_u32_e32 vcc, 8, v1
	v_ffbh_u32_e32 v1, v4
	v_min_u32_e32 v1, 32, v1
	v_subrev_u32_e32 v6, 28, v1
	v_lshlrev_b64 v[6:7], v6, v[0:1]
	v_sub_u32_e32 v1, 29, v1
	v_and_b32_e32 v6, 7, v6
	v_cndmask_b32_e32 v1, v8, v1, vcc
	v_cndmask_b32_e32 v4, v4, v6, vcc
	v_bfrev_b32_e32 v7, 60
	v_lshlrev_b32_e32 v4, 20, v4
	v_and_b32_sdwa v6, sext(v0), s29 dst_sel:DWORD dst_unused:UNUSED_PAD src0_sel:BYTE_0 src1_sel:DWORD
	v_lshl_add_u32 v1, v1, 23, v7
	v_or3_b32 v4, v6, v1, v4
	buffer_store_dword v4, off, s[0:3], s32 offset:256 ; 4-byte Folded Spill
	s_nop 0
	buffer_store_dword v5, off, s[0:3], s32 offset:260 ; 4-byte Folded Spill
.LBB237_56:                             ;   in Loop: Header=BB237_13 Depth=1
	s_or_b64 exec, exec, s[42:43]
.LBB237_57:                             ;   in Loop: Header=BB237_13 Depth=1
	s_or_b64 exec, exec, s[40:41]
.LBB237_58:                             ;   in Loop: Header=BB237_13 Depth=1
	s_or_b64 exec, exec, s[38:39]
	v_cmp_ne_u16_sdwa vcc, v0, v5 src0_sel:BYTE_1 src1_sel:DWORD
	s_and_saveexec_b64 s[38:39], vcc
	s_cbranch_execz .LBB237_64
; %bb.59:                               ;   in Loop: Header=BB237_13 Depth=1
	v_cmp_ne_u16_sdwa vcc, v0, s45 src0_sel:BYTE_1 src1_sel:DWORD
	v_pk_mov_b32 v[6:7], s[28:29], s[28:29] op_sel:[0,1]
	buffer_store_dword v6, off, s[0:3], s32 offset:264 ; 4-byte Folded Spill
	s_nop 0
	buffer_store_dword v7, off, s[0:3], s32 offset:268 ; 4-byte Folded Spill
	s_and_saveexec_b64 s[40:41], vcc
	s_cbranch_execz .LBB237_63
; %bb.60:                               ;   in Loop: Header=BB237_13 Depth=1
	v_and_b32_sdwa v1, v0, s46 dst_sel:DWORD dst_unused:UNUSED_PAD src0_sel:BYTE_1 src1_sel:DWORD
	s_mov_b32 s36, s28
	v_cmp_ne_u32_e32 vcc, s46, v1
	v_pk_mov_b32 v[6:7], s[36:37], s[36:37] op_sel:[0,1]
	buffer_store_dword v6, off, s[0:3], s32 offset:264 ; 4-byte Folded Spill
	s_nop 0
	buffer_store_dword v7, off, s[0:3], s32 offset:268 ; 4-byte Folded Spill
	s_and_saveexec_b64 s[42:43], vcc
	s_cbranch_execz .LBB237_62
; %bb.61:                               ;   in Loop: Header=BB237_13 Depth=1
	v_mov_b32_e32 v4, 7
	v_and_b32_sdwa v4, v0, v4 dst_sel:DWORD dst_unused:UNUSED_PAD src0_sel:BYTE_1 src1_sel:DWORD
	v_lshrrev_b32_e32 v8, 3, v1
	v_cmp_gt_u32_e32 vcc, 8, v1
	v_ffbh_u32_e32 v1, v4
	v_min_u32_e32 v1, 32, v1
	v_subrev_u32_e32 v6, 28, v1
	v_lshlrev_b64 v[6:7], v6, v[4:5]
	v_sub_u32_e32 v1, 29, v1
	v_and_b32_e32 v6, 7, v6
	v_cndmask_b32_e32 v1, v8, v1, vcc
	v_cndmask_b32_e32 v4, v4, v6, vcc
	v_bfrev_b32_e32 v6, 60
	v_lshlrev_b32_e32 v0, 16, v0
	v_lshl_add_u32 v1, v1, 23, v6
	v_and_or_b32 v0, v0, s29, v1
	v_lshlrev_b32_e32 v1, 20, v4
	v_or_b32_e32 v1, v0, v1
	v_mov_b32_e32 v0, v5
	buffer_store_dword v0, off, s[0:3], s32 offset:264 ; 4-byte Folded Spill
	s_nop 0
	buffer_store_dword v1, off, s[0:3], s32 offset:268 ; 4-byte Folded Spill
.LBB237_62:                             ;   in Loop: Header=BB237_13 Depth=1
	s_or_b64 exec, exec, s[42:43]
.LBB237_63:                             ;   in Loop: Header=BB237_13 Depth=1
	s_or_b64 exec, exec, s[40:41]
.LBB237_64:                             ;   in Loop: Header=BB237_13 Depth=1
	s_or_b64 exec, exec, s[38:39]
	flat_load_ushort v1, v[2:3] offset:512
	v_pk_mov_b32 v[6:7], 0, 0
	buffer_store_dword v6, off, s[0:3], s32 offset:280 ; 4-byte Folded Spill
	s_nop 0
	buffer_store_dword v7, off, s[0:3], s32 offset:284 ; 4-byte Folded Spill
	buffer_store_dword v6, off, s[0:3], s32 offset:272 ; 4-byte Folded Spill
	s_nop 0
	buffer_store_dword v7, off, s[0:3], s32 offset:276 ; 4-byte Folded Spill
	s_waitcnt vmcnt(0) lgkmcnt(0)
	v_and_b32_e32 v0, 0xffff, v1
	v_cmp_ne_u16_sdwa vcc, v1, v5 src0_sel:BYTE_0 src1_sel:DWORD
	s_and_saveexec_b64 s[38:39], vcc
	s_cbranch_execz .LBB237_70
; %bb.65:                               ;   in Loop: Header=BB237_13 Depth=1
	v_bfrev_b32_e32 v6, 1
	v_cmp_ne_u16_sdwa vcc, v0, s45 src0_sel:BYTE_0 src1_sel:DWORD
	v_mov_b32_e32 v7, 0
	buffer_store_dword v6, off, s[0:3], s32 offset:272 ; 4-byte Folded Spill
	s_nop 0
	buffer_store_dword v7, off, s[0:3], s32 offset:276 ; 4-byte Folded Spill
	s_and_saveexec_b64 s[40:41], vcc
	s_cbranch_execz .LBB237_69
; %bb.66:                               ;   in Loop: Header=BB237_13 Depth=1
	v_and_b32_e32 v1, 0x7f, v0
	v_mov_b32_e32 v6, 0x7f800001
	v_cmp_ne_u32_e32 vcc, s46, v1
	v_mov_b32_e32 v7, 0
	buffer_store_dword v6, off, s[0:3], s32 offset:272 ; 4-byte Folded Spill
	s_nop 0
	buffer_store_dword v7, off, s[0:3], s32 offset:276 ; 4-byte Folded Spill
	s_and_saveexec_b64 s[42:43], vcc
	s_cbranch_execz .LBB237_68
; %bb.67:                               ;   in Loop: Header=BB237_13 Depth=1
	v_and_b32_e32 v4, 7, v0
	v_lshrrev_b32_e32 v8, 3, v1
	v_cmp_gt_u32_e32 vcc, 8, v1
	v_ffbh_u32_e32 v1, v4
	v_min_u32_e32 v1, 32, v1
	v_subrev_u32_e32 v6, 28, v1
	v_lshlrev_b64 v[6:7], v6, v[0:1]
	v_sub_u32_e32 v1, 29, v1
	v_and_b32_e32 v6, 7, v6
	v_cndmask_b32_e32 v1, v8, v1, vcc
	v_cndmask_b32_e32 v4, v4, v6, vcc
	v_bfrev_b32_e32 v7, 60
	v_lshlrev_b32_e32 v4, 20, v4
	v_and_b32_sdwa v6, sext(v0), s29 dst_sel:DWORD dst_unused:UNUSED_PAD src0_sel:BYTE_0 src1_sel:DWORD
	v_lshl_add_u32 v1, v1, 23, v7
	v_or3_b32 v4, v6, v1, v4
	buffer_store_dword v4, off, s[0:3], s32 offset:272 ; 4-byte Folded Spill
	s_nop 0
	buffer_store_dword v5, off, s[0:3], s32 offset:276 ; 4-byte Folded Spill
.LBB237_68:                             ;   in Loop: Header=BB237_13 Depth=1
	s_or_b64 exec, exec, s[42:43]
.LBB237_69:                             ;   in Loop: Header=BB237_13 Depth=1
	s_or_b64 exec, exec, s[40:41]
.LBB237_70:                             ;   in Loop: Header=BB237_13 Depth=1
	s_or_b64 exec, exec, s[38:39]
	v_cmp_ne_u16_sdwa vcc, v0, v5 src0_sel:BYTE_1 src1_sel:DWORD
	s_and_saveexec_b64 s[38:39], vcc
	s_cbranch_execz .LBB237_76
; %bb.71:                               ;   in Loop: Header=BB237_13 Depth=1
	v_cmp_ne_u16_sdwa vcc, v0, s45 src0_sel:BYTE_1 src1_sel:DWORD
	v_pk_mov_b32 v[6:7], s[28:29], s[28:29] op_sel:[0,1]
	buffer_store_dword v6, off, s[0:3], s32 offset:280 ; 4-byte Folded Spill
	s_nop 0
	buffer_store_dword v7, off, s[0:3], s32 offset:284 ; 4-byte Folded Spill
	s_and_saveexec_b64 s[40:41], vcc
	s_cbranch_execz .LBB237_75
; %bb.72:                               ;   in Loop: Header=BB237_13 Depth=1
	v_and_b32_sdwa v1, v0, s46 dst_sel:DWORD dst_unused:UNUSED_PAD src0_sel:BYTE_1 src1_sel:DWORD
	s_mov_b32 s36, s28
	v_cmp_ne_u32_e32 vcc, s46, v1
	v_pk_mov_b32 v[6:7], s[36:37], s[36:37] op_sel:[0,1]
	buffer_store_dword v6, off, s[0:3], s32 offset:280 ; 4-byte Folded Spill
	s_nop 0
	buffer_store_dword v7, off, s[0:3], s32 offset:284 ; 4-byte Folded Spill
	s_and_saveexec_b64 s[42:43], vcc
	s_cbranch_execz .LBB237_74
; %bb.73:                               ;   in Loop: Header=BB237_13 Depth=1
	v_mov_b32_e32 v4, 7
	v_and_b32_sdwa v4, v0, v4 dst_sel:DWORD dst_unused:UNUSED_PAD src0_sel:BYTE_1 src1_sel:DWORD
	v_lshrrev_b32_e32 v8, 3, v1
	v_cmp_gt_u32_e32 vcc, 8, v1
	v_ffbh_u32_e32 v1, v4
	v_min_u32_e32 v1, 32, v1
	v_subrev_u32_e32 v6, 28, v1
	v_lshlrev_b64 v[6:7], v6, v[4:5]
	v_sub_u32_e32 v1, 29, v1
	v_and_b32_e32 v6, 7, v6
	v_cndmask_b32_e32 v1, v8, v1, vcc
	v_cndmask_b32_e32 v4, v4, v6, vcc
	v_bfrev_b32_e32 v6, 60
	v_lshlrev_b32_e32 v0, 16, v0
	v_lshl_add_u32 v1, v1, 23, v6
	v_and_or_b32 v0, v0, s29, v1
	v_lshlrev_b32_e32 v1, 20, v4
	v_or_b32_e32 v1, v0, v1
	v_mov_b32_e32 v0, v5
	buffer_store_dword v0, off, s[0:3], s32 offset:280 ; 4-byte Folded Spill
	s_nop 0
	buffer_store_dword v1, off, s[0:3], s32 offset:284 ; 4-byte Folded Spill
.LBB237_74:                             ;   in Loop: Header=BB237_13 Depth=1
	s_or_b64 exec, exec, s[42:43]
.LBB237_75:                             ;   in Loop: Header=BB237_13 Depth=1
	s_or_b64 exec, exec, s[40:41]
.LBB237_76:                             ;   in Loop: Header=BB237_13 Depth=1
	s_or_b64 exec, exec, s[38:39]
	flat_load_ushort v1, v[2:3] offset:516
	v_pk_mov_b32 v[6:7], 0, 0
	buffer_store_dword v6, off, s[0:3], s32 offset:296 ; 4-byte Folded Spill
	s_nop 0
	buffer_store_dword v7, off, s[0:3], s32 offset:300 ; 4-byte Folded Spill
	buffer_store_dword v6, off, s[0:3], s32 offset:288 ; 4-byte Folded Spill
	s_nop 0
	buffer_store_dword v7, off, s[0:3], s32 offset:292 ; 4-byte Folded Spill
	s_waitcnt vmcnt(0) lgkmcnt(0)
	v_and_b32_e32 v0, 0xffff, v1
	v_cmp_ne_u16_sdwa vcc, v1, v5 src0_sel:BYTE_0 src1_sel:DWORD
	s_and_saveexec_b64 s[38:39], vcc
	s_cbranch_execz .LBB237_82
; %bb.77:                               ;   in Loop: Header=BB237_13 Depth=1
	v_bfrev_b32_e32 v6, 1
	v_cmp_ne_u16_sdwa vcc, v0, s45 src0_sel:BYTE_0 src1_sel:DWORD
	v_mov_b32_e32 v7, 0
	buffer_store_dword v6, off, s[0:3], s32 offset:288 ; 4-byte Folded Spill
	s_nop 0
	buffer_store_dword v7, off, s[0:3], s32 offset:292 ; 4-byte Folded Spill
	s_and_saveexec_b64 s[40:41], vcc
	s_cbranch_execz .LBB237_81
; %bb.78:                               ;   in Loop: Header=BB237_13 Depth=1
	v_and_b32_e32 v1, 0x7f, v0
	v_mov_b32_e32 v6, 0x7f800001
	v_cmp_ne_u32_e32 vcc, s46, v1
	v_mov_b32_e32 v7, 0
	buffer_store_dword v6, off, s[0:3], s32 offset:288 ; 4-byte Folded Spill
	s_nop 0
	buffer_store_dword v7, off, s[0:3], s32 offset:292 ; 4-byte Folded Spill
	s_and_saveexec_b64 s[42:43], vcc
	s_cbranch_execz .LBB237_80
; %bb.79:                               ;   in Loop: Header=BB237_13 Depth=1
	v_and_b32_e32 v4, 7, v0
	v_lshrrev_b32_e32 v8, 3, v1
	v_cmp_gt_u32_e32 vcc, 8, v1
	v_ffbh_u32_e32 v1, v4
	v_min_u32_e32 v1, 32, v1
	v_subrev_u32_e32 v6, 28, v1
	v_lshlrev_b64 v[6:7], v6, v[0:1]
	v_sub_u32_e32 v1, 29, v1
	v_and_b32_e32 v6, 7, v6
	v_cndmask_b32_e32 v1, v8, v1, vcc
	v_cndmask_b32_e32 v4, v4, v6, vcc
	v_bfrev_b32_e32 v7, 60
	v_lshlrev_b32_e32 v4, 20, v4
	v_and_b32_sdwa v6, sext(v0), s29 dst_sel:DWORD dst_unused:UNUSED_PAD src0_sel:BYTE_0 src1_sel:DWORD
	v_lshl_add_u32 v1, v1, 23, v7
	v_or3_b32 v4, v6, v1, v4
	buffer_store_dword v4, off, s[0:3], s32 offset:288 ; 4-byte Folded Spill
	s_nop 0
	buffer_store_dword v5, off, s[0:3], s32 offset:292 ; 4-byte Folded Spill
.LBB237_80:                             ;   in Loop: Header=BB237_13 Depth=1
	s_or_b64 exec, exec, s[42:43]
.LBB237_81:                             ;   in Loop: Header=BB237_13 Depth=1
	s_or_b64 exec, exec, s[40:41]
.LBB237_82:                             ;   in Loop: Header=BB237_13 Depth=1
	s_or_b64 exec, exec, s[38:39]
	v_cmp_ne_u16_sdwa vcc, v0, v5 src0_sel:BYTE_1 src1_sel:DWORD
	s_and_saveexec_b64 s[38:39], vcc
	s_cbranch_execz .LBB237_88
; %bb.83:                               ;   in Loop: Header=BB237_13 Depth=1
	v_cmp_ne_u16_sdwa vcc, v0, s45 src0_sel:BYTE_1 src1_sel:DWORD
	v_pk_mov_b32 v[6:7], s[28:29], s[28:29] op_sel:[0,1]
	buffer_store_dword v6, off, s[0:3], s32 offset:296 ; 4-byte Folded Spill
	s_nop 0
	buffer_store_dword v7, off, s[0:3], s32 offset:300 ; 4-byte Folded Spill
	s_and_saveexec_b64 s[40:41], vcc
	s_cbranch_execz .LBB237_87
; %bb.84:                               ;   in Loop: Header=BB237_13 Depth=1
	v_and_b32_sdwa v1, v0, s46 dst_sel:DWORD dst_unused:UNUSED_PAD src0_sel:BYTE_1 src1_sel:DWORD
	s_mov_b32 s36, s28
	v_cmp_ne_u32_e32 vcc, s46, v1
	v_pk_mov_b32 v[6:7], s[36:37], s[36:37] op_sel:[0,1]
	buffer_store_dword v6, off, s[0:3], s32 offset:296 ; 4-byte Folded Spill
	s_nop 0
	buffer_store_dword v7, off, s[0:3], s32 offset:300 ; 4-byte Folded Spill
	s_and_saveexec_b64 s[42:43], vcc
	s_cbranch_execz .LBB237_86
; %bb.85:                               ;   in Loop: Header=BB237_13 Depth=1
	v_mov_b32_e32 v4, 7
	v_and_b32_sdwa v4, v0, v4 dst_sel:DWORD dst_unused:UNUSED_PAD src0_sel:BYTE_1 src1_sel:DWORD
	v_lshrrev_b32_e32 v8, 3, v1
	v_cmp_gt_u32_e32 vcc, 8, v1
	v_ffbh_u32_e32 v1, v4
	v_min_u32_e32 v1, 32, v1
	v_subrev_u32_e32 v6, 28, v1
	v_lshlrev_b64 v[6:7], v6, v[4:5]
	v_sub_u32_e32 v1, 29, v1
	v_and_b32_e32 v6, 7, v6
	v_cndmask_b32_e32 v1, v8, v1, vcc
	v_cndmask_b32_e32 v4, v4, v6, vcc
	v_bfrev_b32_e32 v6, 60
	v_lshlrev_b32_e32 v0, 16, v0
	v_lshl_add_u32 v1, v1, 23, v6
	v_and_or_b32 v0, v0, s29, v1
	v_lshlrev_b32_e32 v1, 20, v4
	v_or_b32_e32 v1, v0, v1
	v_mov_b32_e32 v0, v5
	buffer_store_dword v0, off, s[0:3], s32 offset:296 ; 4-byte Folded Spill
	s_nop 0
	buffer_store_dword v1, off, s[0:3], s32 offset:300 ; 4-byte Folded Spill
.LBB237_86:                             ;   in Loop: Header=BB237_13 Depth=1
	s_or_b64 exec, exec, s[42:43]
.LBB237_87:                             ;   in Loop: Header=BB237_13 Depth=1
	s_or_b64 exec, exec, s[40:41]
.LBB237_88:                             ;   in Loop: Header=BB237_13 Depth=1
	s_or_b64 exec, exec, s[38:39]
	v_add_co_u32_e32 v0, vcc, 0x200, v2
	v_addc_co_u32_e32 v1, vcc, 0, v3, vcc
	flat_load_ushort v4, v[0:1] offset:8
	v_pk_mov_b32 v[8:9], 0, 0
	v_accvgpr_write_b32 a21, v9
	v_accvgpr_write_b32 a20, v8
	buffer_store_dword v8, off, s[0:3], s32 offset:304 ; 4-byte Folded Spill
	s_nop 0
	buffer_store_dword v9, off, s[0:3], s32 offset:308 ; 4-byte Folded Spill
	s_waitcnt vmcnt(0) lgkmcnt(0)
	v_and_b32_e32 v6, 0xffff, v4
	v_cmp_ne_u16_sdwa vcc, v4, v5 src0_sel:BYTE_0 src1_sel:DWORD
	s_and_saveexec_b64 s[38:39], vcc
	s_cbranch_execz .LBB237_94
; %bb.89:                               ;   in Loop: Header=BB237_13 Depth=1
	v_bfrev_b32_e32 v8, 1
	v_cmp_ne_u16_sdwa vcc, v6, s45 src0_sel:BYTE_0 src1_sel:DWORD
	v_mov_b32_e32 v9, 0
	buffer_store_dword v8, off, s[0:3], s32 offset:304 ; 4-byte Folded Spill
	s_nop 0
	buffer_store_dword v9, off, s[0:3], s32 offset:308 ; 4-byte Folded Spill
	s_and_saveexec_b64 s[40:41], vcc
	s_cbranch_execz .LBB237_93
; %bb.90:                               ;   in Loop: Header=BB237_13 Depth=1
	v_and_b32_e32 v4, 0x7f, v6
	v_mov_b32_e32 v8, 0x7f800001
	v_cmp_ne_u32_e32 vcc, s46, v4
	v_mov_b32_e32 v9, 0
	buffer_store_dword v8, off, s[0:3], s32 offset:304 ; 4-byte Folded Spill
	s_nop 0
	buffer_store_dword v9, off, s[0:3], s32 offset:308 ; 4-byte Folded Spill
	s_and_saveexec_b64 s[42:43], vcc
	s_cbranch_execz .LBB237_92
; %bb.91:                               ;   in Loop: Header=BB237_13 Depth=1
	v_and_b32_e32 v7, 7, v6
	v_lshrrev_b32_e32 v10, 3, v4
	v_cmp_gt_u32_e32 vcc, 8, v4
	v_ffbh_u32_e32 v4, v7
	v_min_u32_e32 v4, 32, v4
	v_subrev_u32_e32 v8, 28, v4
	v_lshlrev_b64 v[8:9], v8, v[6:7]
	v_sub_u32_e32 v4, 29, v4
	v_and_b32_e32 v8, 7, v8
	v_cndmask_b32_e32 v4, v10, v4, vcc
	v_cndmask_b32_e32 v7, v7, v8, vcc
	v_bfrev_b32_e32 v9, 60
	v_lshlrev_b32_e32 v7, 20, v7
	v_and_b32_sdwa v8, sext(v6), s29 dst_sel:DWORD dst_unused:UNUSED_PAD src0_sel:BYTE_0 src1_sel:DWORD
	v_lshl_add_u32 v4, v4, 23, v9
	v_or3_b32 v4, v8, v4, v7
	buffer_store_dword v4, off, s[0:3], s32 offset:304 ; 4-byte Folded Spill
	s_nop 0
	buffer_store_dword v5, off, s[0:3], s32 offset:308 ; 4-byte Folded Spill
.LBB237_92:                             ;   in Loop: Header=BB237_13 Depth=1
	s_or_b64 exec, exec, s[42:43]
.LBB237_93:                             ;   in Loop: Header=BB237_13 Depth=1
	s_or_b64 exec, exec, s[40:41]
.LBB237_94:                             ;   in Loop: Header=BB237_13 Depth=1
	s_or_b64 exec, exec, s[38:39]
	v_cmp_ne_u16_sdwa vcc, v6, v5 src0_sel:BYTE_1 src1_sel:DWORD
	s_and_saveexec_b64 s[38:39], vcc
	s_cbranch_execz .LBB237_100
; %bb.95:                               ;   in Loop: Header=BB237_13 Depth=1
	v_accvgpr_write_b32 a20, s28
	v_cmp_ne_u16_sdwa vcc, v6, s45 src0_sel:BYTE_1 src1_sel:DWORD
	v_accvgpr_write_b32 a21, s29
	s_and_saveexec_b64 s[40:41], vcc
	s_cbranch_execz .LBB237_99
; %bb.96:                               ;   in Loop: Header=BB237_13 Depth=1
	s_mov_b32 s36, s28
	v_and_b32_sdwa v7, v6, s46 dst_sel:DWORD dst_unused:UNUSED_PAD src0_sel:BYTE_1 src1_sel:DWORD
	v_accvgpr_write_b32 a20, s36
	v_cmp_ne_u32_e32 vcc, s46, v7
	v_accvgpr_write_b32 a21, s37
	s_and_saveexec_b64 s[42:43], vcc
	s_cbranch_execz .LBB237_98
; %bb.97:                               ;   in Loop: Header=BB237_13 Depth=1
	v_mov_b32_e32 v4, 7
	v_and_b32_sdwa v4, v6, v4 dst_sel:DWORD dst_unused:UNUSED_PAD src0_sel:BYTE_1 src1_sel:DWORD
	v_lshrrev_b32_e32 v10, 3, v7
	v_cmp_gt_u32_e32 vcc, 8, v7
	v_ffbh_u32_e32 v7, v4
	v_min_u32_e32 v7, 32, v7
	v_subrev_u32_e32 v8, 28, v7
	v_lshlrev_b64 v[8:9], v8, v[4:5]
	v_sub_u32_e32 v7, 29, v7
	v_and_b32_e32 v8, 7, v8
	v_cndmask_b32_e32 v7, v10, v7, vcc
	v_cndmask_b32_e32 v4, v4, v8, vcc
	v_bfrev_b32_e32 v8, 60
	v_lshlrev_b32_e32 v6, 16, v6
	v_lshl_add_u32 v7, v7, 23, v8
	v_and_or_b32 v6, v6, s29, v7
	v_lshlrev_b32_e32 v4, 20, v4
	v_or_b32_e32 v7, v6, v4
	v_mov_b32_e32 v6, v5
	v_accvgpr_write_b32 a21, v7
	v_accvgpr_write_b32 a20, v6
.LBB237_98:                             ;   in Loop: Header=BB237_13 Depth=1
	s_or_b64 exec, exec, s[42:43]
.LBB237_99:                             ;   in Loop: Header=BB237_13 Depth=1
	s_or_b64 exec, exec, s[40:41]
.LBB237_100:                            ;   in Loop: Header=BB237_13 Depth=1
	s_or_b64 exec, exec, s[38:39]
	flat_load_ushort v1, v[0:1] offset:12
	v_pk_mov_b32 v[6:7], 0, 0
	v_accvgpr_write_b32 a25, v7
	v_accvgpr_write_b32 a2, v6
	;; [unrolled: 1-line block ×4, first 2 shown]
	s_waitcnt vmcnt(0) lgkmcnt(0)
	v_and_b32_e32 v0, 0xffff, v1
	v_cmp_ne_u16_sdwa vcc, v1, v5 src0_sel:BYTE_0 src1_sel:DWORD
	s_and_saveexec_b64 s[38:39], vcc
	s_cbranch_execz .LBB237_106
; %bb.101:                              ;   in Loop: Header=BB237_13 Depth=1
	v_bfrev_b32_e32 v6, 1
	v_mov_b32_e32 v7, 0
	v_accvgpr_write_b32 a2, v6
	v_cmp_ne_u16_sdwa vcc, v0, s45 src0_sel:BYTE_0 src1_sel:DWORD
	v_accvgpr_write_b32 a3, v7
	s_and_saveexec_b64 s[40:41], vcc
	s_cbranch_execz .LBB237_105
; %bb.102:                              ;   in Loop: Header=BB237_13 Depth=1
	v_mov_b32_e32 v6, 0x7f800001
	v_and_b32_e32 v1, 0x7f, v0
	v_mov_b32_e32 v7, 0
	v_accvgpr_write_b32 a2, v6
	v_cmp_ne_u32_e32 vcc, s46, v1
	v_accvgpr_write_b32 a3, v7
	s_and_saveexec_b64 s[42:43], vcc
	s_cbranch_execz .LBB237_104
; %bb.103:                              ;   in Loop: Header=BB237_13 Depth=1
	v_and_b32_e32 v4, 7, v0
	v_lshrrev_b32_e32 v8, 3, v1
	v_cmp_gt_u32_e32 vcc, 8, v1
	v_ffbh_u32_e32 v1, v4
	v_min_u32_e32 v1, 32, v1
	v_subrev_u32_e32 v6, 28, v1
	v_lshlrev_b64 v[6:7], v6, v[0:1]
	v_sub_u32_e32 v1, 29, v1
	v_and_b32_e32 v6, 7, v6
	v_cndmask_b32_e32 v1, v8, v1, vcc
	v_cndmask_b32_e32 v4, v4, v6, vcc
	v_bfrev_b32_e32 v7, 60
	v_lshlrev_b32_e32 v4, 20, v4
	v_and_b32_sdwa v6, sext(v0), s29 dst_sel:DWORD dst_unused:UNUSED_PAD src0_sel:BYTE_0 src1_sel:DWORD
	v_lshl_add_u32 v1, v1, 23, v7
	v_or3_b32 v4, v6, v1, v4
	v_accvgpr_write_b32 a2, v4
	v_accvgpr_write_b32 a3, v5
.LBB237_104:                            ;   in Loop: Header=BB237_13 Depth=1
	s_or_b64 exec, exec, s[42:43]
.LBB237_105:                            ;   in Loop: Header=BB237_13 Depth=1
	s_or_b64 exec, exec, s[40:41]
.LBB237_106:                            ;   in Loop: Header=BB237_13 Depth=1
	s_or_b64 exec, exec, s[38:39]
	v_cmp_ne_u16_sdwa vcc, v0, v5 src0_sel:BYTE_1 src1_sel:DWORD
	s_and_saveexec_b64 s[38:39], vcc
	s_cbranch_execz .LBB237_112
; %bb.107:                              ;   in Loop: Header=BB237_13 Depth=1
	v_accvgpr_write_b32 a24, s28
	v_cmp_ne_u16_sdwa vcc, v0, s45 src0_sel:BYTE_1 src1_sel:DWORD
	v_accvgpr_write_b32 a25, s29
	s_and_saveexec_b64 s[40:41], vcc
	s_cbranch_execz .LBB237_111
; %bb.108:                              ;   in Loop: Header=BB237_13 Depth=1
	s_mov_b32 s36, s28
	v_and_b32_sdwa v1, v0, s46 dst_sel:DWORD dst_unused:UNUSED_PAD src0_sel:BYTE_1 src1_sel:DWORD
	v_accvgpr_write_b32 a24, s36
	v_cmp_ne_u32_e32 vcc, s46, v1
	v_accvgpr_write_b32 a25, s37
	s_and_saveexec_b64 s[42:43], vcc
	s_cbranch_execz .LBB237_110
; %bb.109:                              ;   in Loop: Header=BB237_13 Depth=1
	v_mov_b32_e32 v4, 7
	v_and_b32_sdwa v4, v0, v4 dst_sel:DWORD dst_unused:UNUSED_PAD src0_sel:BYTE_1 src1_sel:DWORD
	v_lshrrev_b32_e32 v8, 3, v1
	v_cmp_gt_u32_e32 vcc, 8, v1
	v_ffbh_u32_e32 v1, v4
	v_min_u32_e32 v1, 32, v1
	v_subrev_u32_e32 v6, 28, v1
	v_lshlrev_b64 v[6:7], v6, v[4:5]
	v_sub_u32_e32 v1, 29, v1
	v_and_b32_e32 v6, 7, v6
	v_cndmask_b32_e32 v1, v8, v1, vcc
	v_cndmask_b32_e32 v4, v4, v6, vcc
	v_bfrev_b32_e32 v6, 60
	v_lshlrev_b32_e32 v0, 16, v0
	v_lshl_add_u32 v1, v1, 23, v6
	v_and_or_b32 v0, v0, s29, v1
	v_lshlrev_b32_e32 v1, 20, v4
	v_or_b32_e32 v1, v0, v1
	v_mov_b32_e32 v0, v5
	v_accvgpr_write_b32 a25, v1
	v_accvgpr_write_b32 a24, v0
.LBB237_110:                            ;   in Loop: Header=BB237_13 Depth=1
	s_or_b64 exec, exec, s[42:43]
.LBB237_111:                            ;   in Loop: Header=BB237_13 Depth=1
	s_or_b64 exec, exec, s[40:41]
.LBB237_112:                            ;   in Loop: Header=BB237_13 Depth=1
	s_or_b64 exec, exec, s[38:39]
	flat_load_ushort v1, v[2:3] offset:1024
	v_pk_mov_b32 v[6:7], 0, 0
	v_accvgpr_write_b32 a0, v6
	v_accvgpr_write_b32 a19, v7
	;; [unrolled: 1-line block ×4, first 2 shown]
	s_waitcnt vmcnt(0) lgkmcnt(0)
	v_and_b32_e32 v0, 0xffff, v1
	v_cmp_ne_u16_sdwa vcc, v1, v5 src0_sel:BYTE_0 src1_sel:DWORD
	s_and_saveexec_b64 s[38:39], vcc
	s_cbranch_execz .LBB237_118
; %bb.113:                              ;   in Loop: Header=BB237_13 Depth=1
	v_bfrev_b32_e32 v6, 1
	v_mov_b32_e32 v7, 0
	v_accvgpr_write_b32 a19, v7
	v_cmp_ne_u16_sdwa vcc, v0, s45 src0_sel:BYTE_0 src1_sel:DWORD
	v_accvgpr_write_b32 a18, v6
	s_and_saveexec_b64 s[40:41], vcc
	s_cbranch_execz .LBB237_117
; %bb.114:                              ;   in Loop: Header=BB237_13 Depth=1
	v_mov_b32_e32 v6, 0x7f800001
	v_mov_b32_e32 v7, 0
	v_and_b32_e32 v1, 0x7f, v0
	v_accvgpr_write_b32 a19, v7
	v_cmp_ne_u32_e32 vcc, s46, v1
	v_accvgpr_write_b32 a18, v6
	s_and_saveexec_b64 s[42:43], vcc
	s_cbranch_execz .LBB237_116
; %bb.115:                              ;   in Loop: Header=BB237_13 Depth=1
	v_and_b32_e32 v4, 7, v0
	v_lshrrev_b32_e32 v8, 3, v1
	v_cmp_gt_u32_e32 vcc, 8, v1
	v_ffbh_u32_e32 v1, v4
	v_min_u32_e32 v1, 32, v1
	v_subrev_u32_e32 v6, 28, v1
	v_lshlrev_b64 v[6:7], v6, v[0:1]
	v_sub_u32_e32 v1, 29, v1
	v_and_b32_e32 v6, 7, v6
	v_cndmask_b32_e32 v1, v8, v1, vcc
	v_cndmask_b32_e32 v4, v4, v6, vcc
	v_bfrev_b32_e32 v7, 60
	v_lshlrev_b32_e32 v4, 20, v4
	v_and_b32_sdwa v6, sext(v0), s29 dst_sel:DWORD dst_unused:UNUSED_PAD src0_sel:BYTE_0 src1_sel:DWORD
	v_lshl_add_u32 v1, v1, 23, v7
	v_or3_b32 v4, v6, v1, v4
	v_accvgpr_write_b32 a19, v5
	v_accvgpr_write_b32 a18, v4
.LBB237_116:                            ;   in Loop: Header=BB237_13 Depth=1
	s_or_b64 exec, exec, s[42:43]
.LBB237_117:                            ;   in Loop: Header=BB237_13 Depth=1
	s_or_b64 exec, exec, s[40:41]
.LBB237_118:                            ;   in Loop: Header=BB237_13 Depth=1
	s_or_b64 exec, exec, s[38:39]
	v_cmp_ne_u16_sdwa vcc, v0, v5 src0_sel:BYTE_1 src1_sel:DWORD
	s_and_saveexec_b64 s[38:39], vcc
	s_cbranch_execz .LBB237_124
; %bb.119:                              ;   in Loop: Header=BB237_13 Depth=1
	v_accvgpr_write_b32 a0, s28
	v_cmp_ne_u16_sdwa vcc, v0, s45 src0_sel:BYTE_1 src1_sel:DWORD
	v_accvgpr_write_b32 a1, s29
	s_and_saveexec_b64 s[40:41], vcc
	s_cbranch_execz .LBB237_123
; %bb.120:                              ;   in Loop: Header=BB237_13 Depth=1
	s_mov_b32 s36, s28
	v_and_b32_sdwa v1, v0, s46 dst_sel:DWORD dst_unused:UNUSED_PAD src0_sel:BYTE_1 src1_sel:DWORD
	v_accvgpr_write_b32 a0, s36
	v_cmp_ne_u32_e32 vcc, s46, v1
	v_accvgpr_write_b32 a1, s37
	s_and_saveexec_b64 s[42:43], vcc
	s_cbranch_execz .LBB237_122
; %bb.121:                              ;   in Loop: Header=BB237_13 Depth=1
	v_mov_b32_e32 v4, 7
	v_and_b32_sdwa v4, v0, v4 dst_sel:DWORD dst_unused:UNUSED_PAD src0_sel:BYTE_1 src1_sel:DWORD
	v_lshrrev_b32_e32 v8, 3, v1
	v_cmp_gt_u32_e32 vcc, 8, v1
	v_ffbh_u32_e32 v1, v4
	v_min_u32_e32 v1, 32, v1
	v_subrev_u32_e32 v6, 28, v1
	v_lshlrev_b64 v[6:7], v6, v[4:5]
	v_sub_u32_e32 v1, 29, v1
	v_and_b32_e32 v6, 7, v6
	v_cndmask_b32_e32 v1, v8, v1, vcc
	v_cndmask_b32_e32 v4, v4, v6, vcc
	v_bfrev_b32_e32 v6, 60
	v_lshlrev_b32_e32 v0, 16, v0
	v_lshl_add_u32 v1, v1, 23, v6
	v_and_or_b32 v0, v0, s29, v1
	v_lshlrev_b32_e32 v1, 20, v4
	v_or_b32_e32 v1, v0, v1
	v_mov_b32_e32 v0, v5
	v_accvgpr_write_b32 a0, v0
	v_accvgpr_write_b32 a1, v1
.LBB237_122:                            ;   in Loop: Header=BB237_13 Depth=1
	s_or_b64 exec, exec, s[42:43]
.LBB237_123:                            ;   in Loop: Header=BB237_13 Depth=1
	s_or_b64 exec, exec, s[40:41]
.LBB237_124:                            ;   in Loop: Header=BB237_13 Depth=1
	s_or_b64 exec, exec, s[38:39]
	flat_load_ushort v1, v[2:3] offset:1028
	v_pk_mov_b32 v[6:7], 0, 0
	v_accvgpr_write_b32 a17, v7
	v_accvgpr_write_b32 a37, v7
	;; [unrolled: 1-line block ×4, first 2 shown]
	s_waitcnt vmcnt(0) lgkmcnt(0)
	v_and_b32_e32 v0, 0xffff, v1
	v_cmp_ne_u16_sdwa vcc, v1, v5 src0_sel:BYTE_0 src1_sel:DWORD
	s_and_saveexec_b64 s[38:39], vcc
	s_cbranch_execz .LBB237_130
; %bb.125:                              ;   in Loop: Header=BB237_13 Depth=1
	v_bfrev_b32_e32 v6, 1
	v_mov_b32_e32 v7, 0
	v_accvgpr_write_b32 a37, v7
	v_cmp_ne_u16_sdwa vcc, v0, s45 src0_sel:BYTE_0 src1_sel:DWORD
	v_accvgpr_write_b32 a36, v6
	s_and_saveexec_b64 s[40:41], vcc
	s_cbranch_execz .LBB237_129
; %bb.126:                              ;   in Loop: Header=BB237_13 Depth=1
	v_mov_b32_e32 v6, 0x7f800001
	v_mov_b32_e32 v7, 0
	v_and_b32_e32 v1, 0x7f, v0
	v_accvgpr_write_b32 a37, v7
	v_cmp_ne_u32_e32 vcc, s46, v1
	v_accvgpr_write_b32 a36, v6
	s_and_saveexec_b64 s[42:43], vcc
	s_cbranch_execz .LBB237_128
; %bb.127:                              ;   in Loop: Header=BB237_13 Depth=1
	v_and_b32_e32 v4, 7, v0
	v_lshrrev_b32_e32 v8, 3, v1
	v_cmp_gt_u32_e32 vcc, 8, v1
	v_ffbh_u32_e32 v1, v4
	v_min_u32_e32 v1, 32, v1
	v_subrev_u32_e32 v6, 28, v1
	v_lshlrev_b64 v[6:7], v6, v[0:1]
	v_sub_u32_e32 v1, 29, v1
	v_and_b32_e32 v6, 7, v6
	v_cndmask_b32_e32 v1, v8, v1, vcc
	v_cndmask_b32_e32 v4, v4, v6, vcc
	v_bfrev_b32_e32 v7, 60
	v_lshlrev_b32_e32 v4, 20, v4
	v_and_b32_sdwa v6, sext(v0), s29 dst_sel:DWORD dst_unused:UNUSED_PAD src0_sel:BYTE_0 src1_sel:DWORD
	v_lshl_add_u32 v1, v1, 23, v7
	v_or3_b32 v4, v6, v1, v4
	v_accvgpr_write_b32 a37, v5
	v_accvgpr_write_b32 a36, v4
.LBB237_128:                            ;   in Loop: Header=BB237_13 Depth=1
	s_or_b64 exec, exec, s[42:43]
.LBB237_129:                            ;   in Loop: Header=BB237_13 Depth=1
	s_or_b64 exec, exec, s[40:41]
.LBB237_130:                            ;   in Loop: Header=BB237_13 Depth=1
	s_or_b64 exec, exec, s[38:39]
	v_cmp_ne_u16_sdwa vcc, v0, v5 src0_sel:BYTE_1 src1_sel:DWORD
	s_and_saveexec_b64 s[38:39], vcc
	s_cbranch_execz .LBB237_136
; %bb.131:                              ;   in Loop: Header=BB237_13 Depth=1
	v_accvgpr_write_b32 a16, s28
	v_cmp_ne_u16_sdwa vcc, v0, s45 src0_sel:BYTE_1 src1_sel:DWORD
	v_accvgpr_write_b32 a17, s29
	s_and_saveexec_b64 s[40:41], vcc
	s_cbranch_execz .LBB237_135
; %bb.132:                              ;   in Loop: Header=BB237_13 Depth=1
	s_mov_b32 s36, s28
	v_and_b32_sdwa v1, v0, s46 dst_sel:DWORD dst_unused:UNUSED_PAD src0_sel:BYTE_1 src1_sel:DWORD
	v_accvgpr_write_b32 a16, s36
	v_cmp_ne_u32_e32 vcc, s46, v1
	v_accvgpr_write_b32 a17, s37
	s_and_saveexec_b64 s[42:43], vcc
	s_cbranch_execz .LBB237_134
; %bb.133:                              ;   in Loop: Header=BB237_13 Depth=1
	v_mov_b32_e32 v4, 7
	v_and_b32_sdwa v4, v0, v4 dst_sel:DWORD dst_unused:UNUSED_PAD src0_sel:BYTE_1 src1_sel:DWORD
	v_lshrrev_b32_e32 v8, 3, v1
	v_cmp_gt_u32_e32 vcc, 8, v1
	v_ffbh_u32_e32 v1, v4
	v_min_u32_e32 v1, 32, v1
	v_subrev_u32_e32 v6, 28, v1
	v_lshlrev_b64 v[6:7], v6, v[4:5]
	v_sub_u32_e32 v1, 29, v1
	v_and_b32_e32 v6, 7, v6
	v_cndmask_b32_e32 v1, v8, v1, vcc
	v_cndmask_b32_e32 v4, v4, v6, vcc
	v_bfrev_b32_e32 v6, 60
	v_lshlrev_b32_e32 v0, 16, v0
	v_lshl_add_u32 v1, v1, 23, v6
	v_and_or_b32 v0, v0, s29, v1
	v_lshlrev_b32_e32 v1, 20, v4
	v_or_b32_e32 v1, v0, v1
	v_mov_b32_e32 v0, v5
	v_accvgpr_write_b32 a17, v1
	v_accvgpr_write_b32 a16, v0
.LBB237_134:                            ;   in Loop: Header=BB237_13 Depth=1
	s_or_b64 exec, exec, s[42:43]
.LBB237_135:                            ;   in Loop: Header=BB237_13 Depth=1
	s_or_b64 exec, exec, s[40:41]
.LBB237_136:                            ;   in Loop: Header=BB237_13 Depth=1
	s_or_b64 exec, exec, s[38:39]
	v_add_co_u32_e32 v0, vcc, 0x400, v2
	v_addc_co_u32_e32 v1, vcc, 0, v3, vcc
	flat_load_ushort v4, v[0:1] offset:8
	v_pk_mov_b32 v[8:9], 0, 0
	v_accvgpr_write_b32 a35, v9
	v_accvgpr_write_b32 a6, v8
	;; [unrolled: 1-line block ×4, first 2 shown]
	s_waitcnt vmcnt(0) lgkmcnt(0)
	v_and_b32_e32 v6, 0xffff, v4
	v_cmp_ne_u16_sdwa vcc, v4, v5 src0_sel:BYTE_0 src1_sel:DWORD
	s_and_saveexec_b64 s[38:39], vcc
	s_cbranch_execz .LBB237_142
; %bb.137:                              ;   in Loop: Header=BB237_13 Depth=1
	v_bfrev_b32_e32 v8, 1
	v_mov_b32_e32 v9, 0
	v_accvgpr_write_b32 a6, v8
	v_cmp_ne_u16_sdwa vcc, v6, s45 src0_sel:BYTE_0 src1_sel:DWORD
	v_accvgpr_write_b32 a7, v9
	s_and_saveexec_b64 s[40:41], vcc
	s_cbranch_execz .LBB237_141
; %bb.138:                              ;   in Loop: Header=BB237_13 Depth=1
	v_mov_b32_e32 v8, 0x7f800001
	v_and_b32_e32 v4, 0x7f, v6
	v_mov_b32_e32 v9, 0
	v_accvgpr_write_b32 a6, v8
	v_cmp_ne_u32_e32 vcc, s46, v4
	v_accvgpr_write_b32 a7, v9
	s_and_saveexec_b64 s[42:43], vcc
	s_cbranch_execz .LBB237_140
; %bb.139:                              ;   in Loop: Header=BB237_13 Depth=1
	v_and_b32_e32 v7, 7, v6
	v_lshrrev_b32_e32 v10, 3, v4
	v_cmp_gt_u32_e32 vcc, 8, v4
	v_ffbh_u32_e32 v4, v7
	v_min_u32_e32 v4, 32, v4
	v_subrev_u32_e32 v8, 28, v4
	v_lshlrev_b64 v[8:9], v8, v[6:7]
	v_sub_u32_e32 v4, 29, v4
	v_and_b32_e32 v8, 7, v8
	v_cndmask_b32_e32 v4, v10, v4, vcc
	v_cndmask_b32_e32 v7, v7, v8, vcc
	v_bfrev_b32_e32 v9, 60
	v_lshlrev_b32_e32 v7, 20, v7
	v_and_b32_sdwa v8, sext(v6), s29 dst_sel:DWORD dst_unused:UNUSED_PAD src0_sel:BYTE_0 src1_sel:DWORD
	v_lshl_add_u32 v4, v4, 23, v9
	v_or3_b32 v4, v8, v4, v7
	v_accvgpr_write_b32 a7, v5
	v_accvgpr_write_b32 a6, v4
.LBB237_140:                            ;   in Loop: Header=BB237_13 Depth=1
	s_or_b64 exec, exec, s[42:43]
.LBB237_141:                            ;   in Loop: Header=BB237_13 Depth=1
	s_or_b64 exec, exec, s[40:41]
.LBB237_142:                            ;   in Loop: Header=BB237_13 Depth=1
	s_or_b64 exec, exec, s[38:39]
	v_cmp_ne_u16_sdwa vcc, v6, v5 src0_sel:BYTE_1 src1_sel:DWORD
	s_and_saveexec_b64 s[38:39], vcc
	s_cbranch_execz .LBB237_148
; %bb.143:                              ;   in Loop: Header=BB237_13 Depth=1
	v_accvgpr_write_b32 a35, s29
	v_cmp_ne_u16_sdwa vcc, v6, s45 src0_sel:BYTE_1 src1_sel:DWORD
	v_accvgpr_write_b32 a34, s28
	s_and_saveexec_b64 s[40:41], vcc
	s_cbranch_execz .LBB237_147
; %bb.144:                              ;   in Loop: Header=BB237_13 Depth=1
	s_mov_b32 s36, s28
	v_and_b32_sdwa v7, v6, s46 dst_sel:DWORD dst_unused:UNUSED_PAD src0_sel:BYTE_1 src1_sel:DWORD
	v_accvgpr_write_b32 a34, s36
	v_cmp_ne_u32_e32 vcc, s46, v7
	v_accvgpr_write_b32 a35, s37
	s_and_saveexec_b64 s[42:43], vcc
	s_cbranch_execz .LBB237_146
; %bb.145:                              ;   in Loop: Header=BB237_13 Depth=1
	v_mov_b32_e32 v4, 7
	v_and_b32_sdwa v4, v6, v4 dst_sel:DWORD dst_unused:UNUSED_PAD src0_sel:BYTE_1 src1_sel:DWORD
	v_lshrrev_b32_e32 v10, 3, v7
	v_cmp_gt_u32_e32 vcc, 8, v7
	v_ffbh_u32_e32 v7, v4
	v_min_u32_e32 v7, 32, v7
	v_subrev_u32_e32 v8, 28, v7
	v_lshlrev_b64 v[8:9], v8, v[4:5]
	v_sub_u32_e32 v7, 29, v7
	v_and_b32_e32 v8, 7, v8
	v_cndmask_b32_e32 v7, v10, v7, vcc
	v_cndmask_b32_e32 v4, v4, v8, vcc
	v_bfrev_b32_e32 v8, 60
	v_lshlrev_b32_e32 v6, 16, v6
	v_lshl_add_u32 v7, v7, 23, v8
	v_and_or_b32 v6, v6, s29, v7
	v_lshlrev_b32_e32 v4, 20, v4
	v_or_b32_e32 v7, v6, v4
	v_mov_b32_e32 v6, v5
	v_accvgpr_write_b32 a35, v7
	v_accvgpr_write_b32 a34, v6
.LBB237_146:                            ;   in Loop: Header=BB237_13 Depth=1
	s_or_b64 exec, exec, s[42:43]
.LBB237_147:                            ;   in Loop: Header=BB237_13 Depth=1
	s_or_b64 exec, exec, s[40:41]
.LBB237_148:                            ;   in Loop: Header=BB237_13 Depth=1
	s_or_b64 exec, exec, s[38:39]
	flat_load_ushort v1, v[0:1] offset:12
	v_pk_mov_b32 v[6:7], 0, 0
	v_accvgpr_write_b32 a4, v6
	v_accvgpr_write_b32 a43, v7
	;; [unrolled: 1-line block ×4, first 2 shown]
	s_waitcnt vmcnt(0) lgkmcnt(0)
	v_and_b32_e32 v0, 0xffff, v1
	v_cmp_ne_u16_sdwa vcc, v1, v5 src0_sel:BYTE_0 src1_sel:DWORD
	s_and_saveexec_b64 s[38:39], vcc
	s_cbranch_execz .LBB237_154
; %bb.149:                              ;   in Loop: Header=BB237_13 Depth=1
	v_bfrev_b32_e32 v6, 1
	v_mov_b32_e32 v7, 0
	v_accvgpr_write_b32 a43, v7
	v_cmp_ne_u16_sdwa vcc, v0, s45 src0_sel:BYTE_0 src1_sel:DWORD
	v_accvgpr_write_b32 a42, v6
	s_and_saveexec_b64 s[40:41], vcc
	s_cbranch_execz .LBB237_153
; %bb.150:                              ;   in Loop: Header=BB237_13 Depth=1
	v_mov_b32_e32 v6, 0x7f800001
	v_mov_b32_e32 v7, 0
	v_and_b32_e32 v1, 0x7f, v0
	v_accvgpr_write_b32 a43, v7
	v_cmp_ne_u32_e32 vcc, s46, v1
	v_accvgpr_write_b32 a42, v6
	s_and_saveexec_b64 s[42:43], vcc
	s_cbranch_execz .LBB237_152
; %bb.151:                              ;   in Loop: Header=BB237_13 Depth=1
	v_and_b32_e32 v4, 7, v0
	v_lshrrev_b32_e32 v8, 3, v1
	v_cmp_gt_u32_e32 vcc, 8, v1
	v_ffbh_u32_e32 v1, v4
	v_min_u32_e32 v1, 32, v1
	v_subrev_u32_e32 v6, 28, v1
	v_lshlrev_b64 v[6:7], v6, v[0:1]
	v_sub_u32_e32 v1, 29, v1
	v_and_b32_e32 v6, 7, v6
	v_cndmask_b32_e32 v1, v8, v1, vcc
	v_cndmask_b32_e32 v4, v4, v6, vcc
	v_bfrev_b32_e32 v7, 60
	v_lshlrev_b32_e32 v4, 20, v4
	v_and_b32_sdwa v6, sext(v0), s29 dst_sel:DWORD dst_unused:UNUSED_PAD src0_sel:BYTE_0 src1_sel:DWORD
	v_lshl_add_u32 v1, v1, 23, v7
	v_or3_b32 v4, v6, v1, v4
	v_accvgpr_write_b32 a43, v5
	v_accvgpr_write_b32 a42, v4
.LBB237_152:                            ;   in Loop: Header=BB237_13 Depth=1
	s_or_b64 exec, exec, s[42:43]
.LBB237_153:                            ;   in Loop: Header=BB237_13 Depth=1
	s_or_b64 exec, exec, s[40:41]
.LBB237_154:                            ;   in Loop: Header=BB237_13 Depth=1
	s_or_b64 exec, exec, s[38:39]
	v_cmp_ne_u16_sdwa vcc, v0, v5 src0_sel:BYTE_1 src1_sel:DWORD
	s_and_saveexec_b64 s[38:39], vcc
	s_cbranch_execz .LBB237_160
; %bb.155:                              ;   in Loop: Header=BB237_13 Depth=1
	v_accvgpr_write_b32 a4, s28
	v_cmp_ne_u16_sdwa vcc, v0, s45 src0_sel:BYTE_1 src1_sel:DWORD
	v_accvgpr_write_b32 a5, s29
	s_and_saveexec_b64 s[40:41], vcc
	s_cbranch_execz .LBB237_159
; %bb.156:                              ;   in Loop: Header=BB237_13 Depth=1
	s_mov_b32 s36, s28
	v_and_b32_sdwa v1, v0, s46 dst_sel:DWORD dst_unused:UNUSED_PAD src0_sel:BYTE_1 src1_sel:DWORD
	v_accvgpr_write_b32 a4, s36
	v_cmp_ne_u32_e32 vcc, s46, v1
	v_accvgpr_write_b32 a5, s37
	s_and_saveexec_b64 s[42:43], vcc
	s_cbranch_execz .LBB237_158
; %bb.157:                              ;   in Loop: Header=BB237_13 Depth=1
	v_mov_b32_e32 v4, 7
	v_and_b32_sdwa v4, v0, v4 dst_sel:DWORD dst_unused:UNUSED_PAD src0_sel:BYTE_1 src1_sel:DWORD
	v_lshrrev_b32_e32 v8, 3, v1
	v_cmp_gt_u32_e32 vcc, 8, v1
	v_ffbh_u32_e32 v1, v4
	v_min_u32_e32 v1, 32, v1
	v_subrev_u32_e32 v6, 28, v1
	v_lshlrev_b64 v[6:7], v6, v[4:5]
	v_sub_u32_e32 v1, 29, v1
	v_and_b32_e32 v6, 7, v6
	v_cndmask_b32_e32 v1, v8, v1, vcc
	v_cndmask_b32_e32 v4, v4, v6, vcc
	v_bfrev_b32_e32 v6, 60
	v_lshlrev_b32_e32 v0, 16, v0
	v_lshl_add_u32 v1, v1, 23, v6
	v_and_or_b32 v0, v0, s29, v1
	v_lshlrev_b32_e32 v1, 20, v4
	v_or_b32_e32 v1, v0, v1
	v_mov_b32_e32 v0, v5
	v_accvgpr_write_b32 a5, v1
	v_accvgpr_write_b32 a4, v0
.LBB237_158:                            ;   in Loop: Header=BB237_13 Depth=1
	s_or_b64 exec, exec, s[42:43]
.LBB237_159:                            ;   in Loop: Header=BB237_13 Depth=1
	s_or_b64 exec, exec, s[40:41]
.LBB237_160:                            ;   in Loop: Header=BB237_13 Depth=1
	s_or_b64 exec, exec, s[38:39]
	flat_load_ushort v1, v[2:3] offset:1536
	v_pk_mov_b32 v[6:7], 0, 0
	v_accvgpr_write_b32 a41, v7
	v_accvgpr_write_b32 a11, v7
	;; [unrolled: 1-line block ×4, first 2 shown]
	s_waitcnt vmcnt(0) lgkmcnt(0)
	v_and_b32_e32 v0, 0xffff, v1
	v_cmp_ne_u16_sdwa vcc, v1, v5 src0_sel:BYTE_0 src1_sel:DWORD
	s_and_saveexec_b64 s[38:39], vcc
	s_cbranch_execz .LBB237_166
; %bb.161:                              ;   in Loop: Header=BB237_13 Depth=1
	v_bfrev_b32_e32 v6, 1
	v_mov_b32_e32 v7, 0
	v_accvgpr_write_b32 a11, v7
	v_cmp_ne_u16_sdwa vcc, v0, s45 src0_sel:BYTE_0 src1_sel:DWORD
	v_accvgpr_write_b32 a10, v6
	s_and_saveexec_b64 s[40:41], vcc
	s_cbranch_execz .LBB237_165
; %bb.162:                              ;   in Loop: Header=BB237_13 Depth=1
	v_mov_b32_e32 v6, 0x7f800001
	v_mov_b32_e32 v7, 0
	v_and_b32_e32 v1, 0x7f, v0
	v_accvgpr_write_b32 a11, v7
	v_cmp_ne_u32_e32 vcc, s46, v1
	v_accvgpr_write_b32 a10, v6
	s_and_saveexec_b64 s[42:43], vcc
	s_cbranch_execz .LBB237_164
; %bb.163:                              ;   in Loop: Header=BB237_13 Depth=1
	v_and_b32_e32 v4, 7, v0
	v_lshrrev_b32_e32 v8, 3, v1
	v_cmp_gt_u32_e32 vcc, 8, v1
	v_ffbh_u32_e32 v1, v4
	v_min_u32_e32 v1, 32, v1
	v_subrev_u32_e32 v6, 28, v1
	v_lshlrev_b64 v[6:7], v6, v[0:1]
	v_sub_u32_e32 v1, 29, v1
	v_and_b32_e32 v6, 7, v6
	v_cndmask_b32_e32 v1, v8, v1, vcc
	v_cndmask_b32_e32 v4, v4, v6, vcc
	v_bfrev_b32_e32 v7, 60
	v_lshlrev_b32_e32 v4, 20, v4
	v_and_b32_sdwa v6, sext(v0), s29 dst_sel:DWORD dst_unused:UNUSED_PAD src0_sel:BYTE_0 src1_sel:DWORD
	v_lshl_add_u32 v1, v1, 23, v7
	v_or3_b32 v4, v6, v1, v4
	v_accvgpr_write_b32 a11, v5
	v_accvgpr_write_b32 a10, v4
.LBB237_164:                            ;   in Loop: Header=BB237_13 Depth=1
	s_or_b64 exec, exec, s[42:43]
.LBB237_165:                            ;   in Loop: Header=BB237_13 Depth=1
	s_or_b64 exec, exec, s[40:41]
.LBB237_166:                            ;   in Loop: Header=BB237_13 Depth=1
	s_or_b64 exec, exec, s[38:39]
	v_cmp_ne_u16_sdwa vcc, v0, v5 src0_sel:BYTE_1 src1_sel:DWORD
	s_and_saveexec_b64 s[38:39], vcc
	s_cbranch_execz .LBB237_172
; %bb.167:                              ;   in Loop: Header=BB237_13 Depth=1
	v_accvgpr_write_b32 a41, s29
	v_cmp_ne_u16_sdwa vcc, v0, s45 src0_sel:BYTE_1 src1_sel:DWORD
	v_accvgpr_write_b32 a40, s28
	s_and_saveexec_b64 s[40:41], vcc
	s_cbranch_execz .LBB237_171
; %bb.168:                              ;   in Loop: Header=BB237_13 Depth=1
	v_and_b32_sdwa v1, v0, s46 dst_sel:DWORD dst_unused:UNUSED_PAD src0_sel:BYTE_1 src1_sel:DWORD
	s_mov_b32 s36, s28
	v_accvgpr_write_b32 a41, s37
	v_cmp_ne_u32_e32 vcc, s46, v1
	v_accvgpr_write_b32 a40, s36
	s_and_saveexec_b64 s[42:43], vcc
	s_cbranch_execz .LBB237_170
; %bb.169:                              ;   in Loop: Header=BB237_13 Depth=1
	v_mov_b32_e32 v4, 7
	v_and_b32_sdwa v4, v0, v4 dst_sel:DWORD dst_unused:UNUSED_PAD src0_sel:BYTE_1 src1_sel:DWORD
	v_lshrrev_b32_e32 v8, 3, v1
	v_cmp_gt_u32_e32 vcc, 8, v1
	v_ffbh_u32_e32 v1, v4
	v_min_u32_e32 v1, 32, v1
	v_subrev_u32_e32 v6, 28, v1
	v_lshlrev_b64 v[6:7], v6, v[4:5]
	v_sub_u32_e32 v1, 29, v1
	v_and_b32_e32 v6, 7, v6
	v_cndmask_b32_e32 v1, v8, v1, vcc
	v_cndmask_b32_e32 v4, v4, v6, vcc
	v_bfrev_b32_e32 v6, 60
	v_lshlrev_b32_e32 v0, 16, v0
	v_lshl_add_u32 v1, v1, 23, v6
	v_and_or_b32 v0, v0, s29, v1
	v_lshlrev_b32_e32 v1, 20, v4
	v_or_b32_e32 v1, v0, v1
	v_mov_b32_e32 v0, v5
	v_accvgpr_write_b32 a41, v1
	v_accvgpr_write_b32 a40, v0
.LBB237_170:                            ;   in Loop: Header=BB237_13 Depth=1
	s_or_b64 exec, exec, s[42:43]
.LBB237_171:                            ;   in Loop: Header=BB237_13 Depth=1
	s_or_b64 exec, exec, s[40:41]
.LBB237_172:                            ;   in Loop: Header=BB237_13 Depth=1
	s_or_b64 exec, exec, s[38:39]
	flat_load_ushort v1, v[2:3] offset:1540
	v_pk_mov_b32 v[6:7], 0, 0
	v_accvgpr_write_b32 a9, v7
	v_accvgpr_write_b32 a49, v7
	;; [unrolled: 1-line block ×4, first 2 shown]
	s_waitcnt vmcnt(0) lgkmcnt(0)
	v_and_b32_e32 v0, 0xffff, v1
	v_cmp_ne_u16_sdwa vcc, v1, v5 src0_sel:BYTE_0 src1_sel:DWORD
	s_and_saveexec_b64 s[38:39], vcc
	s_cbranch_execz .LBB237_178
; %bb.173:                              ;   in Loop: Header=BB237_13 Depth=1
	v_bfrev_b32_e32 v6, 1
	v_mov_b32_e32 v7, 0
	v_accvgpr_write_b32 a49, v7
	v_cmp_ne_u16_sdwa vcc, v0, s45 src0_sel:BYTE_0 src1_sel:DWORD
	v_accvgpr_write_b32 a48, v6
	s_and_saveexec_b64 s[40:41], vcc
	s_cbranch_execz .LBB237_177
; %bb.174:                              ;   in Loop: Header=BB237_13 Depth=1
	v_mov_b32_e32 v6, 0x7f800001
	v_mov_b32_e32 v7, 0
	v_and_b32_e32 v1, 0x7f, v0
	v_accvgpr_write_b32 a49, v7
	v_cmp_ne_u32_e32 vcc, s46, v1
	v_accvgpr_write_b32 a48, v6
	s_and_saveexec_b64 s[42:43], vcc
	s_cbranch_execz .LBB237_176
; %bb.175:                              ;   in Loop: Header=BB237_13 Depth=1
	v_and_b32_e32 v4, 7, v0
	v_lshrrev_b32_e32 v8, 3, v1
	v_cmp_gt_u32_e32 vcc, 8, v1
	v_ffbh_u32_e32 v1, v4
	v_min_u32_e32 v1, 32, v1
	v_subrev_u32_e32 v6, 28, v1
	v_lshlrev_b64 v[6:7], v6, v[0:1]
	v_sub_u32_e32 v1, 29, v1
	v_and_b32_e32 v6, 7, v6
	v_cndmask_b32_e32 v1, v8, v1, vcc
	v_cndmask_b32_e32 v4, v4, v6, vcc
	v_bfrev_b32_e32 v7, 60
	v_lshlrev_b32_e32 v4, 20, v4
	v_and_b32_sdwa v6, sext(v0), s29 dst_sel:DWORD dst_unused:UNUSED_PAD src0_sel:BYTE_0 src1_sel:DWORD
	v_lshl_add_u32 v1, v1, 23, v7
	v_or3_b32 v4, v6, v1, v4
	v_accvgpr_write_b32 a49, v5
	v_accvgpr_write_b32 a48, v4
.LBB237_176:                            ;   in Loop: Header=BB237_13 Depth=1
	s_or_b64 exec, exec, s[42:43]
.LBB237_177:                            ;   in Loop: Header=BB237_13 Depth=1
	s_or_b64 exec, exec, s[40:41]
.LBB237_178:                            ;   in Loop: Header=BB237_13 Depth=1
	s_or_b64 exec, exec, s[38:39]
	v_cmp_ne_u16_sdwa vcc, v0, v5 src0_sel:BYTE_1 src1_sel:DWORD
	s_and_saveexec_b64 s[38:39], vcc
	s_cbranch_execz .LBB237_184
; %bb.179:                              ;   in Loop: Header=BB237_13 Depth=1
	v_accvgpr_write_b32 a8, s28
	v_cmp_ne_u16_sdwa vcc, v0, s45 src0_sel:BYTE_1 src1_sel:DWORD
	v_accvgpr_write_b32 a9, s29
	s_and_saveexec_b64 s[40:41], vcc
	s_cbranch_execz .LBB237_183
; %bb.180:                              ;   in Loop: Header=BB237_13 Depth=1
	s_mov_b32 s36, s28
	v_and_b32_sdwa v1, v0, s46 dst_sel:DWORD dst_unused:UNUSED_PAD src0_sel:BYTE_1 src1_sel:DWORD
	v_accvgpr_write_b32 a8, s36
	v_cmp_ne_u32_e32 vcc, s46, v1
	v_accvgpr_write_b32 a9, s37
	s_and_saveexec_b64 s[42:43], vcc
	s_cbranch_execz .LBB237_182
; %bb.181:                              ;   in Loop: Header=BB237_13 Depth=1
	v_mov_b32_e32 v4, 7
	v_and_b32_sdwa v4, v0, v4 dst_sel:DWORD dst_unused:UNUSED_PAD src0_sel:BYTE_1 src1_sel:DWORD
	v_lshrrev_b32_e32 v8, 3, v1
	v_cmp_gt_u32_e32 vcc, 8, v1
	v_ffbh_u32_e32 v1, v4
	v_min_u32_e32 v1, 32, v1
	v_subrev_u32_e32 v6, 28, v1
	v_lshlrev_b64 v[6:7], v6, v[4:5]
	v_sub_u32_e32 v1, 29, v1
	v_and_b32_e32 v6, 7, v6
	v_cndmask_b32_e32 v1, v8, v1, vcc
	v_cndmask_b32_e32 v4, v4, v6, vcc
	v_bfrev_b32_e32 v6, 60
	v_lshlrev_b32_e32 v0, 16, v0
	v_lshl_add_u32 v1, v1, 23, v6
	v_and_or_b32 v0, v0, s29, v1
	v_lshlrev_b32_e32 v1, 20, v4
	v_or_b32_e32 v1, v0, v1
	v_mov_b32_e32 v0, v5
	v_accvgpr_write_b32 a9, v1
	v_accvgpr_write_b32 a8, v0
.LBB237_182:                            ;   in Loop: Header=BB237_13 Depth=1
	s_or_b64 exec, exec, s[42:43]
.LBB237_183:                            ;   in Loop: Header=BB237_13 Depth=1
	s_or_b64 exec, exec, s[40:41]
.LBB237_184:                            ;   in Loop: Header=BB237_13 Depth=1
	s_or_b64 exec, exec, s[38:39]
	v_add_co_u32_e32 v0, vcc, 0x600, v2
	v_addc_co_u32_e32 v1, vcc, 0, v3, vcc
	flat_load_ushort v4, v[0:1] offset:8
	v_pk_mov_b32 v[8:9], 0, 0
	v_accvgpr_write_b32 a47, v9
	v_accvgpr_write_b32 a53, v9
	;; [unrolled: 1-line block ×4, first 2 shown]
	s_waitcnt vmcnt(0) lgkmcnt(0)
	v_and_b32_e32 v6, 0xffff, v4
	v_cmp_ne_u16_sdwa vcc, v4, v5 src0_sel:BYTE_0 src1_sel:DWORD
	s_and_saveexec_b64 s[38:39], vcc
	s_cbranch_execz .LBB237_190
; %bb.185:                              ;   in Loop: Header=BB237_13 Depth=1
	v_bfrev_b32_e32 v8, 1
	v_mov_b32_e32 v9, 0
	v_accvgpr_write_b32 a53, v9
	v_cmp_ne_u16_sdwa vcc, v6, s45 src0_sel:BYTE_0 src1_sel:DWORD
	v_accvgpr_write_b32 a52, v8
	s_and_saveexec_b64 s[40:41], vcc
	s_cbranch_execz .LBB237_189
; %bb.186:                              ;   in Loop: Header=BB237_13 Depth=1
	v_mov_b32_e32 v8, 0x7f800001
	v_mov_b32_e32 v9, 0
	v_and_b32_e32 v4, 0x7f, v6
	v_accvgpr_write_b32 a53, v9
	v_cmp_ne_u32_e32 vcc, s46, v4
	v_accvgpr_write_b32 a52, v8
	s_and_saveexec_b64 s[42:43], vcc
	s_cbranch_execz .LBB237_188
; %bb.187:                              ;   in Loop: Header=BB237_13 Depth=1
	v_and_b32_e32 v7, 7, v6
	v_lshrrev_b32_e32 v10, 3, v4
	v_cmp_gt_u32_e32 vcc, 8, v4
	v_ffbh_u32_e32 v4, v7
	v_min_u32_e32 v4, 32, v4
	v_subrev_u32_e32 v8, 28, v4
	v_lshlrev_b64 v[8:9], v8, v[6:7]
	v_sub_u32_e32 v4, 29, v4
	v_and_b32_e32 v8, 7, v8
	v_cndmask_b32_e32 v4, v10, v4, vcc
	v_cndmask_b32_e32 v7, v7, v8, vcc
	v_bfrev_b32_e32 v9, 60
	v_lshlrev_b32_e32 v7, 20, v7
	v_and_b32_sdwa v8, sext(v6), s29 dst_sel:DWORD dst_unused:UNUSED_PAD src0_sel:BYTE_0 src1_sel:DWORD
	v_lshl_add_u32 v4, v4, 23, v9
	v_or3_b32 v4, v8, v4, v7
	v_accvgpr_write_b32 a53, v5
	v_accvgpr_write_b32 a52, v4
.LBB237_188:                            ;   in Loop: Header=BB237_13 Depth=1
	s_or_b64 exec, exec, s[42:43]
.LBB237_189:                            ;   in Loop: Header=BB237_13 Depth=1
	s_or_b64 exec, exec, s[40:41]
.LBB237_190:                            ;   in Loop: Header=BB237_13 Depth=1
	s_or_b64 exec, exec, s[38:39]
	v_cmp_ne_u16_sdwa vcc, v6, v5 src0_sel:BYTE_1 src1_sel:DWORD
	s_and_saveexec_b64 s[38:39], vcc
	s_cbranch_execz .LBB237_196
; %bb.191:                              ;   in Loop: Header=BB237_13 Depth=1
	v_accvgpr_write_b32 a47, s29
	v_cmp_ne_u16_sdwa vcc, v6, s45 src0_sel:BYTE_1 src1_sel:DWORD
	v_accvgpr_write_b32 a46, s28
	s_and_saveexec_b64 s[40:41], vcc
	s_cbranch_execz .LBB237_195
; %bb.192:                              ;   in Loop: Header=BB237_13 Depth=1
	v_and_b32_sdwa v7, v6, s46 dst_sel:DWORD dst_unused:UNUSED_PAD src0_sel:BYTE_1 src1_sel:DWORD
	s_mov_b32 s36, s28
	v_accvgpr_write_b32 a47, s37
	v_cmp_ne_u32_e32 vcc, s46, v7
	v_accvgpr_write_b32 a46, s36
	s_and_saveexec_b64 s[42:43], vcc
	s_cbranch_execz .LBB237_194
; %bb.193:                              ;   in Loop: Header=BB237_13 Depth=1
	v_mov_b32_e32 v4, 7
	v_and_b32_sdwa v4, v6, v4 dst_sel:DWORD dst_unused:UNUSED_PAD src0_sel:BYTE_1 src1_sel:DWORD
	v_lshrrev_b32_e32 v10, 3, v7
	v_cmp_gt_u32_e32 vcc, 8, v7
	v_ffbh_u32_e32 v7, v4
	v_min_u32_e32 v7, 32, v7
	v_subrev_u32_e32 v8, 28, v7
	v_lshlrev_b64 v[8:9], v8, v[4:5]
	v_sub_u32_e32 v7, 29, v7
	v_and_b32_e32 v8, 7, v8
	v_cndmask_b32_e32 v7, v10, v7, vcc
	v_cndmask_b32_e32 v4, v4, v8, vcc
	v_bfrev_b32_e32 v8, 60
	v_lshlrev_b32_e32 v6, 16, v6
	v_lshl_add_u32 v7, v7, 23, v8
	v_and_or_b32 v6, v6, s29, v7
	v_lshlrev_b32_e32 v4, 20, v4
	v_or_b32_e32 v7, v6, v4
	v_mov_b32_e32 v6, v5
	v_accvgpr_write_b32 a47, v7
	v_accvgpr_write_b32 a46, v6
.LBB237_194:                            ;   in Loop: Header=BB237_13 Depth=1
	s_or_b64 exec, exec, s[42:43]
.LBB237_195:                            ;   in Loop: Header=BB237_13 Depth=1
	s_or_b64 exec, exec, s[40:41]
.LBB237_196:                            ;   in Loop: Header=BB237_13 Depth=1
	s_or_b64 exec, exec, s[38:39]
	flat_load_ushort v1, v[0:1] offset:12
	v_pk_mov_b32 v[6:7], 0, 0
	v_accvgpr_write_b32 a51, v7
	v_accvgpr_write_b32 a57, v7
	;; [unrolled: 1-line block ×4, first 2 shown]
	s_waitcnt vmcnt(0) lgkmcnt(0)
	v_and_b32_e32 v0, 0xffff, v1
	v_cmp_ne_u16_sdwa vcc, v1, v5 src0_sel:BYTE_0 src1_sel:DWORD
	s_and_saveexec_b64 s[38:39], vcc
	s_cbranch_execz .LBB237_202
; %bb.197:                              ;   in Loop: Header=BB237_13 Depth=1
	v_bfrev_b32_e32 v6, 1
	v_mov_b32_e32 v7, 0
	v_accvgpr_write_b32 a57, v7
	v_cmp_ne_u16_sdwa vcc, v0, s45 src0_sel:BYTE_0 src1_sel:DWORD
	v_accvgpr_write_b32 a56, v6
	s_and_saveexec_b64 s[40:41], vcc
	s_cbranch_execz .LBB237_201
; %bb.198:                              ;   in Loop: Header=BB237_13 Depth=1
	v_mov_b32_e32 v6, 0x7f800001
	v_mov_b32_e32 v7, 0
	v_and_b32_e32 v1, 0x7f, v0
	v_accvgpr_write_b32 a57, v7
	v_cmp_ne_u32_e32 vcc, s46, v1
	v_accvgpr_write_b32 a56, v6
	s_and_saveexec_b64 s[42:43], vcc
	s_cbranch_execz .LBB237_200
; %bb.199:                              ;   in Loop: Header=BB237_13 Depth=1
	v_and_b32_e32 v4, 7, v0
	v_lshrrev_b32_e32 v8, 3, v1
	v_cmp_gt_u32_e32 vcc, 8, v1
	v_ffbh_u32_e32 v1, v4
	v_min_u32_e32 v1, 32, v1
	v_subrev_u32_e32 v6, 28, v1
	v_lshlrev_b64 v[6:7], v6, v[0:1]
	v_sub_u32_e32 v1, 29, v1
	v_and_b32_e32 v6, 7, v6
	v_cndmask_b32_e32 v1, v8, v1, vcc
	v_cndmask_b32_e32 v4, v4, v6, vcc
	v_bfrev_b32_e32 v7, 60
	v_lshlrev_b32_e32 v4, 20, v4
	v_and_b32_sdwa v6, sext(v0), s29 dst_sel:DWORD dst_unused:UNUSED_PAD src0_sel:BYTE_0 src1_sel:DWORD
	v_lshl_add_u32 v1, v1, 23, v7
	v_or3_b32 v4, v6, v1, v4
	v_accvgpr_write_b32 a57, v5
	v_accvgpr_write_b32 a56, v4
.LBB237_200:                            ;   in Loop: Header=BB237_13 Depth=1
	s_or_b64 exec, exec, s[42:43]
.LBB237_201:                            ;   in Loop: Header=BB237_13 Depth=1
	s_or_b64 exec, exec, s[40:41]
.LBB237_202:                            ;   in Loop: Header=BB237_13 Depth=1
	s_or_b64 exec, exec, s[38:39]
	v_cmp_ne_u16_sdwa vcc, v0, v5 src0_sel:BYTE_1 src1_sel:DWORD
	s_and_saveexec_b64 s[38:39], vcc
	s_cbranch_execz .LBB237_208
; %bb.203:                              ;   in Loop: Header=BB237_13 Depth=1
	v_accvgpr_write_b32 a51, s29
	v_cmp_ne_u16_sdwa vcc, v0, s45 src0_sel:BYTE_1 src1_sel:DWORD
	v_accvgpr_write_b32 a50, s28
	s_and_saveexec_b64 s[40:41], vcc
	s_cbranch_execz .LBB237_207
; %bb.204:                              ;   in Loop: Header=BB237_13 Depth=1
	v_and_b32_sdwa v1, v0, s46 dst_sel:DWORD dst_unused:UNUSED_PAD src0_sel:BYTE_1 src1_sel:DWORD
	s_mov_b32 s36, s28
	v_accvgpr_write_b32 a51, s37
	v_cmp_ne_u32_e32 vcc, s46, v1
	v_accvgpr_write_b32 a50, s36
	s_and_saveexec_b64 s[42:43], vcc
	s_cbranch_execz .LBB237_206
; %bb.205:                              ;   in Loop: Header=BB237_13 Depth=1
	v_mov_b32_e32 v4, 7
	v_and_b32_sdwa v4, v0, v4 dst_sel:DWORD dst_unused:UNUSED_PAD src0_sel:BYTE_1 src1_sel:DWORD
	v_lshrrev_b32_e32 v8, 3, v1
	v_cmp_gt_u32_e32 vcc, 8, v1
	v_ffbh_u32_e32 v1, v4
	v_min_u32_e32 v1, 32, v1
	v_subrev_u32_e32 v6, 28, v1
	v_lshlrev_b64 v[6:7], v6, v[4:5]
	v_sub_u32_e32 v1, 29, v1
	v_and_b32_e32 v6, 7, v6
	v_cndmask_b32_e32 v1, v8, v1, vcc
	v_cndmask_b32_e32 v4, v4, v6, vcc
	v_bfrev_b32_e32 v6, 60
	v_lshlrev_b32_e32 v0, 16, v0
	v_lshl_add_u32 v1, v1, 23, v6
	v_and_or_b32 v0, v0, s29, v1
	v_lshlrev_b32_e32 v1, 20, v4
	v_or_b32_e32 v1, v0, v1
	v_mov_b32_e32 v0, v5
	v_accvgpr_write_b32 a51, v1
	v_accvgpr_write_b32 a50, v0
.LBB237_206:                            ;   in Loop: Header=BB237_13 Depth=1
	s_or_b64 exec, exec, s[42:43]
.LBB237_207:                            ;   in Loop: Header=BB237_13 Depth=1
	s_or_b64 exec, exec, s[40:41]
.LBB237_208:                            ;   in Loop: Header=BB237_13 Depth=1
	s_or_b64 exec, exec, s[38:39]
	flat_load_ushort v1, v[2:3] offset:2048
	v_pk_mov_b32 v[6:7], 0, 0
	v_accvgpr_write_b32 a55, v7
	v_accvgpr_write_b32 a61, v7
	;; [unrolled: 1-line block ×4, first 2 shown]
	s_waitcnt vmcnt(0) lgkmcnt(0)
	v_and_b32_e32 v0, 0xffff, v1
	v_cmp_ne_u16_sdwa vcc, v1, v5 src0_sel:BYTE_0 src1_sel:DWORD
	s_and_saveexec_b64 s[38:39], vcc
	s_cbranch_execz .LBB237_214
; %bb.209:                              ;   in Loop: Header=BB237_13 Depth=1
	v_bfrev_b32_e32 v6, 1
	v_mov_b32_e32 v7, 0
	v_accvgpr_write_b32 a61, v7
	v_cmp_ne_u16_sdwa vcc, v0, s45 src0_sel:BYTE_0 src1_sel:DWORD
	v_accvgpr_write_b32 a60, v6
	s_and_saveexec_b64 s[40:41], vcc
	s_cbranch_execz .LBB237_213
; %bb.210:                              ;   in Loop: Header=BB237_13 Depth=1
	v_mov_b32_e32 v6, 0x7f800001
	v_mov_b32_e32 v7, 0
	v_and_b32_e32 v1, 0x7f, v0
	v_accvgpr_write_b32 a61, v7
	v_cmp_ne_u32_e32 vcc, s46, v1
	v_accvgpr_write_b32 a60, v6
	s_and_saveexec_b64 s[42:43], vcc
	s_cbranch_execz .LBB237_212
; %bb.211:                              ;   in Loop: Header=BB237_13 Depth=1
	v_and_b32_e32 v4, 7, v0
	v_lshrrev_b32_e32 v8, 3, v1
	v_cmp_gt_u32_e32 vcc, 8, v1
	v_ffbh_u32_e32 v1, v4
	v_min_u32_e32 v1, 32, v1
	v_subrev_u32_e32 v6, 28, v1
	v_lshlrev_b64 v[6:7], v6, v[0:1]
	v_sub_u32_e32 v1, 29, v1
	v_and_b32_e32 v6, 7, v6
	v_cndmask_b32_e32 v1, v8, v1, vcc
	v_cndmask_b32_e32 v4, v4, v6, vcc
	v_bfrev_b32_e32 v7, 60
	v_lshlrev_b32_e32 v4, 20, v4
	v_and_b32_sdwa v6, sext(v0), s29 dst_sel:DWORD dst_unused:UNUSED_PAD src0_sel:BYTE_0 src1_sel:DWORD
	v_lshl_add_u32 v1, v1, 23, v7
	v_or3_b32 v4, v6, v1, v4
	v_accvgpr_write_b32 a61, v5
	v_accvgpr_write_b32 a60, v4
.LBB237_212:                            ;   in Loop: Header=BB237_13 Depth=1
	s_or_b64 exec, exec, s[42:43]
.LBB237_213:                            ;   in Loop: Header=BB237_13 Depth=1
	s_or_b64 exec, exec, s[40:41]
.LBB237_214:                            ;   in Loop: Header=BB237_13 Depth=1
	s_or_b64 exec, exec, s[38:39]
	v_cmp_ne_u16_sdwa vcc, v0, v5 src0_sel:BYTE_1 src1_sel:DWORD
	s_and_saveexec_b64 s[38:39], vcc
	s_cbranch_execz .LBB237_220
; %bb.215:                              ;   in Loop: Header=BB237_13 Depth=1
	v_accvgpr_write_b32 a55, s29
	v_cmp_ne_u16_sdwa vcc, v0, s45 src0_sel:BYTE_1 src1_sel:DWORD
	v_accvgpr_write_b32 a54, s28
	s_and_saveexec_b64 s[40:41], vcc
	s_cbranch_execz .LBB237_219
; %bb.216:                              ;   in Loop: Header=BB237_13 Depth=1
	v_and_b32_sdwa v1, v0, s46 dst_sel:DWORD dst_unused:UNUSED_PAD src0_sel:BYTE_1 src1_sel:DWORD
	s_mov_b32 s36, s28
	v_accvgpr_write_b32 a55, s37
	v_cmp_ne_u32_e32 vcc, s46, v1
	v_accvgpr_write_b32 a54, s36
	s_and_saveexec_b64 s[42:43], vcc
	s_cbranch_execz .LBB237_218
; %bb.217:                              ;   in Loop: Header=BB237_13 Depth=1
	v_mov_b32_e32 v4, 7
	v_and_b32_sdwa v4, v0, v4 dst_sel:DWORD dst_unused:UNUSED_PAD src0_sel:BYTE_1 src1_sel:DWORD
	v_lshrrev_b32_e32 v8, 3, v1
	v_cmp_gt_u32_e32 vcc, 8, v1
	v_ffbh_u32_e32 v1, v4
	v_min_u32_e32 v1, 32, v1
	v_subrev_u32_e32 v6, 28, v1
	v_lshlrev_b64 v[6:7], v6, v[4:5]
	v_sub_u32_e32 v1, 29, v1
	v_and_b32_e32 v6, 7, v6
	v_cndmask_b32_e32 v1, v8, v1, vcc
	v_cndmask_b32_e32 v4, v4, v6, vcc
	v_bfrev_b32_e32 v6, 60
	v_lshlrev_b32_e32 v0, 16, v0
	v_lshl_add_u32 v1, v1, 23, v6
	v_and_or_b32 v0, v0, s29, v1
	v_lshlrev_b32_e32 v1, 20, v4
	v_or_b32_e32 v1, v0, v1
	v_mov_b32_e32 v0, v5
	v_accvgpr_write_b32 a55, v1
	v_accvgpr_write_b32 a54, v0
.LBB237_218:                            ;   in Loop: Header=BB237_13 Depth=1
	s_or_b64 exec, exec, s[42:43]
.LBB237_219:                            ;   in Loop: Header=BB237_13 Depth=1
	s_or_b64 exec, exec, s[40:41]
.LBB237_220:                            ;   in Loop: Header=BB237_13 Depth=1
	s_or_b64 exec, exec, s[38:39]
	flat_load_ushort v1, v[2:3] offset:2052
	v_pk_mov_b32 v[6:7], 0, 0
	v_accvgpr_write_b32 a59, v7
	v_accvgpr_write_b32 a15, v7
	;; [unrolled: 1-line block ×4, first 2 shown]
	s_waitcnt vmcnt(0) lgkmcnt(0)
	v_and_b32_e32 v0, 0xffff, v1
	v_cmp_ne_u16_sdwa vcc, v1, v5 src0_sel:BYTE_0 src1_sel:DWORD
	s_and_saveexec_b64 s[38:39], vcc
	s_cbranch_execz .LBB237_226
; %bb.221:                              ;   in Loop: Header=BB237_13 Depth=1
	v_bfrev_b32_e32 v6, 1
	v_mov_b32_e32 v7, 0
	v_accvgpr_write_b32 a15, v7
	v_cmp_ne_u16_sdwa vcc, v0, s45 src0_sel:BYTE_0 src1_sel:DWORD
	v_accvgpr_write_b32 a14, v6
	s_and_saveexec_b64 s[40:41], vcc
	s_cbranch_execz .LBB237_225
; %bb.222:                              ;   in Loop: Header=BB237_13 Depth=1
	v_mov_b32_e32 v6, 0x7f800001
	v_mov_b32_e32 v7, 0
	v_and_b32_e32 v1, 0x7f, v0
	v_accvgpr_write_b32 a15, v7
	v_cmp_ne_u32_e32 vcc, s46, v1
	v_accvgpr_write_b32 a14, v6
	s_and_saveexec_b64 s[42:43], vcc
	s_cbranch_execz .LBB237_224
; %bb.223:                              ;   in Loop: Header=BB237_13 Depth=1
	v_and_b32_e32 v4, 7, v0
	v_lshrrev_b32_e32 v8, 3, v1
	v_cmp_gt_u32_e32 vcc, 8, v1
	v_ffbh_u32_e32 v1, v4
	v_min_u32_e32 v1, 32, v1
	v_subrev_u32_e32 v6, 28, v1
	v_lshlrev_b64 v[6:7], v6, v[0:1]
	v_sub_u32_e32 v1, 29, v1
	v_and_b32_e32 v6, 7, v6
	v_cndmask_b32_e32 v1, v8, v1, vcc
	v_cndmask_b32_e32 v4, v4, v6, vcc
	v_bfrev_b32_e32 v7, 60
	v_lshlrev_b32_e32 v4, 20, v4
	v_and_b32_sdwa v6, sext(v0), s29 dst_sel:DWORD dst_unused:UNUSED_PAD src0_sel:BYTE_0 src1_sel:DWORD
	v_lshl_add_u32 v1, v1, 23, v7
	v_or3_b32 v4, v6, v1, v4
	v_accvgpr_write_b32 a15, v5
	v_accvgpr_write_b32 a14, v4
.LBB237_224:                            ;   in Loop: Header=BB237_13 Depth=1
	s_or_b64 exec, exec, s[42:43]
.LBB237_225:                            ;   in Loop: Header=BB237_13 Depth=1
	s_or_b64 exec, exec, s[40:41]
.LBB237_226:                            ;   in Loop: Header=BB237_13 Depth=1
	s_or_b64 exec, exec, s[38:39]
	v_cmp_ne_u16_sdwa vcc, v0, v5 src0_sel:BYTE_1 src1_sel:DWORD
	s_and_saveexec_b64 s[38:39], vcc
	s_cbranch_execz .LBB237_232
; %bb.227:                              ;   in Loop: Header=BB237_13 Depth=1
	v_accvgpr_write_b32 a59, s29
	v_cmp_ne_u16_sdwa vcc, v0, s45 src0_sel:BYTE_1 src1_sel:DWORD
	v_accvgpr_write_b32 a58, s28
	s_and_saveexec_b64 s[40:41], vcc
	s_cbranch_execz .LBB237_231
; %bb.228:                              ;   in Loop: Header=BB237_13 Depth=1
	v_and_b32_sdwa v1, v0, s46 dst_sel:DWORD dst_unused:UNUSED_PAD src0_sel:BYTE_1 src1_sel:DWORD
	s_mov_b32 s36, s28
	v_accvgpr_write_b32 a59, s37
	v_cmp_ne_u32_e32 vcc, s46, v1
	v_accvgpr_write_b32 a58, s36
	s_and_saveexec_b64 s[42:43], vcc
	s_cbranch_execz .LBB237_230
; %bb.229:                              ;   in Loop: Header=BB237_13 Depth=1
	v_mov_b32_e32 v4, 7
	v_and_b32_sdwa v4, v0, v4 dst_sel:DWORD dst_unused:UNUSED_PAD src0_sel:BYTE_1 src1_sel:DWORD
	v_lshrrev_b32_e32 v8, 3, v1
	v_cmp_gt_u32_e32 vcc, 8, v1
	v_ffbh_u32_e32 v1, v4
	v_min_u32_e32 v1, 32, v1
	v_subrev_u32_e32 v6, 28, v1
	v_lshlrev_b64 v[6:7], v6, v[4:5]
	v_sub_u32_e32 v1, 29, v1
	v_and_b32_e32 v6, 7, v6
	v_cndmask_b32_e32 v1, v8, v1, vcc
	v_cndmask_b32_e32 v4, v4, v6, vcc
	v_bfrev_b32_e32 v6, 60
	v_lshlrev_b32_e32 v0, 16, v0
	v_lshl_add_u32 v1, v1, 23, v6
	v_and_or_b32 v0, v0, s29, v1
	v_lshlrev_b32_e32 v1, 20, v4
	v_or_b32_e32 v1, v0, v1
	v_mov_b32_e32 v0, v5
	v_accvgpr_write_b32 a59, v1
	v_accvgpr_write_b32 a58, v0
.LBB237_230:                            ;   in Loop: Header=BB237_13 Depth=1
	s_or_b64 exec, exec, s[42:43]
.LBB237_231:                            ;   in Loop: Header=BB237_13 Depth=1
	s_or_b64 exec, exec, s[40:41]
.LBB237_232:                            ;   in Loop: Header=BB237_13 Depth=1
	s_or_b64 exec, exec, s[38:39]
	v_add_co_u32_e32 v0, vcc, 0x800, v2
	v_addc_co_u32_e32 v1, vcc, 0, v3, vcc
	flat_load_ushort v4, v[0:1] offset:8
	v_pk_mov_b32 v[8:9], 0, 0
	v_accvgpr_write_b32 a63, v9
	v_accvgpr_write_b32 a33, v9
	;; [unrolled: 1-line block ×4, first 2 shown]
	s_waitcnt vmcnt(0) lgkmcnt(0)
	v_and_b32_e32 v6, 0xffff, v4
	v_cmp_ne_u16_sdwa vcc, v4, v5 src0_sel:BYTE_0 src1_sel:DWORD
	s_and_saveexec_b64 s[38:39], vcc
	s_cbranch_execz .LBB237_238
; %bb.233:                              ;   in Loop: Header=BB237_13 Depth=1
	v_bfrev_b32_e32 v8, 1
	v_mov_b32_e32 v9, 0
	v_accvgpr_write_b32 a33, v9
	v_cmp_ne_u16_sdwa vcc, v6, s45 src0_sel:BYTE_0 src1_sel:DWORD
	v_accvgpr_write_b32 a32, v8
	s_and_saveexec_b64 s[40:41], vcc
	s_cbranch_execz .LBB237_237
; %bb.234:                              ;   in Loop: Header=BB237_13 Depth=1
	v_mov_b32_e32 v8, 0x7f800001
	v_mov_b32_e32 v9, 0
	v_and_b32_e32 v4, 0x7f, v6
	v_accvgpr_write_b32 a33, v9
	v_cmp_ne_u32_e32 vcc, s46, v4
	v_accvgpr_write_b32 a32, v8
	s_and_saveexec_b64 s[42:43], vcc
	s_cbranch_execz .LBB237_236
; %bb.235:                              ;   in Loop: Header=BB237_13 Depth=1
	v_and_b32_e32 v7, 7, v6
	v_lshrrev_b32_e32 v10, 3, v4
	v_cmp_gt_u32_e32 vcc, 8, v4
	v_ffbh_u32_e32 v4, v7
	v_min_u32_e32 v4, 32, v4
	v_subrev_u32_e32 v8, 28, v4
	v_lshlrev_b64 v[8:9], v8, v[6:7]
	v_sub_u32_e32 v4, 29, v4
	v_and_b32_e32 v8, 7, v8
	v_cndmask_b32_e32 v4, v10, v4, vcc
	v_cndmask_b32_e32 v7, v7, v8, vcc
	v_bfrev_b32_e32 v9, 60
	v_lshlrev_b32_e32 v7, 20, v7
	v_and_b32_sdwa v8, sext(v6), s29 dst_sel:DWORD dst_unused:UNUSED_PAD src0_sel:BYTE_0 src1_sel:DWORD
	v_lshl_add_u32 v4, v4, 23, v9
	v_or3_b32 v4, v8, v4, v7
	v_accvgpr_write_b32 a33, v5
	v_accvgpr_write_b32 a32, v4
.LBB237_236:                            ;   in Loop: Header=BB237_13 Depth=1
	s_or_b64 exec, exec, s[42:43]
.LBB237_237:                            ;   in Loop: Header=BB237_13 Depth=1
	s_or_b64 exec, exec, s[40:41]
.LBB237_238:                            ;   in Loop: Header=BB237_13 Depth=1
	s_or_b64 exec, exec, s[38:39]
	v_cmp_ne_u16_sdwa vcc, v6, v5 src0_sel:BYTE_1 src1_sel:DWORD
	s_and_saveexec_b64 s[38:39], vcc
	s_cbranch_execz .LBB237_244
; %bb.239:                              ;   in Loop: Header=BB237_13 Depth=1
	v_accvgpr_write_b32 a63, s29
	v_cmp_ne_u16_sdwa vcc, v6, s45 src0_sel:BYTE_1 src1_sel:DWORD
	v_accvgpr_write_b32 a62, s28
	s_and_saveexec_b64 s[40:41], vcc
	s_cbranch_execz .LBB237_243
; %bb.240:                              ;   in Loop: Header=BB237_13 Depth=1
	v_and_b32_sdwa v7, v6, s46 dst_sel:DWORD dst_unused:UNUSED_PAD src0_sel:BYTE_1 src1_sel:DWORD
	s_mov_b32 s36, s28
	v_accvgpr_write_b32 a63, s37
	v_cmp_ne_u32_e32 vcc, s46, v7
	v_accvgpr_write_b32 a62, s36
	s_and_saveexec_b64 s[42:43], vcc
	s_cbranch_execz .LBB237_242
; %bb.241:                              ;   in Loop: Header=BB237_13 Depth=1
	v_mov_b32_e32 v4, 7
	v_and_b32_sdwa v4, v6, v4 dst_sel:DWORD dst_unused:UNUSED_PAD src0_sel:BYTE_1 src1_sel:DWORD
	v_lshrrev_b32_e32 v10, 3, v7
	v_cmp_gt_u32_e32 vcc, 8, v7
	v_ffbh_u32_e32 v7, v4
	v_min_u32_e32 v7, 32, v7
	v_subrev_u32_e32 v8, 28, v7
	v_lshlrev_b64 v[8:9], v8, v[4:5]
	v_sub_u32_e32 v7, 29, v7
	v_and_b32_e32 v8, 7, v8
	v_cndmask_b32_e32 v7, v10, v7, vcc
	v_cndmask_b32_e32 v4, v4, v8, vcc
	v_bfrev_b32_e32 v8, 60
	v_lshlrev_b32_e32 v6, 16, v6
	v_lshl_add_u32 v7, v7, 23, v8
	v_and_or_b32 v6, v6, s29, v7
	v_lshlrev_b32_e32 v4, 20, v4
	v_or_b32_e32 v7, v6, v4
	v_mov_b32_e32 v6, v5
	v_accvgpr_write_b32 a63, v7
	v_accvgpr_write_b32 a62, v6
.LBB237_242:                            ;   in Loop: Header=BB237_13 Depth=1
	s_or_b64 exec, exec, s[42:43]
.LBB237_243:                            ;   in Loop: Header=BB237_13 Depth=1
	s_or_b64 exec, exec, s[40:41]
.LBB237_244:                            ;   in Loop: Header=BB237_13 Depth=1
	s_or_b64 exec, exec, s[38:39]
	flat_load_ushort v1, v[0:1] offset:12
	v_pk_mov_b32 v[6:7], 0, 0
	v_accvgpr_write_b32 a31, v7
	v_accvgpr_write_b32 a45, v7
	;; [unrolled: 1-line block ×4, first 2 shown]
	s_waitcnt vmcnt(0) lgkmcnt(0)
	v_and_b32_e32 v0, 0xffff, v1
	v_cmp_ne_u16_sdwa vcc, v1, v5 src0_sel:BYTE_0 src1_sel:DWORD
	s_and_saveexec_b64 s[38:39], vcc
	s_cbranch_execz .LBB237_250
; %bb.245:                              ;   in Loop: Header=BB237_13 Depth=1
	v_bfrev_b32_e32 v6, 1
	v_mov_b32_e32 v7, 0
	v_accvgpr_write_b32 a45, v7
	v_cmp_ne_u16_sdwa vcc, v0, s45 src0_sel:BYTE_0 src1_sel:DWORD
	v_accvgpr_write_b32 a44, v6
	s_and_saveexec_b64 s[40:41], vcc
	s_cbranch_execz .LBB237_249
; %bb.246:                              ;   in Loop: Header=BB237_13 Depth=1
	v_mov_b32_e32 v6, 0x7f800001
	v_mov_b32_e32 v7, 0
	v_and_b32_e32 v1, 0x7f, v0
	v_accvgpr_write_b32 a45, v7
	v_cmp_ne_u32_e32 vcc, s46, v1
	v_accvgpr_write_b32 a44, v6
	s_and_saveexec_b64 s[42:43], vcc
	s_cbranch_execz .LBB237_248
; %bb.247:                              ;   in Loop: Header=BB237_13 Depth=1
	v_and_b32_e32 v4, 7, v0
	v_lshrrev_b32_e32 v8, 3, v1
	v_cmp_gt_u32_e32 vcc, 8, v1
	v_ffbh_u32_e32 v1, v4
	v_min_u32_e32 v1, 32, v1
	v_subrev_u32_e32 v6, 28, v1
	v_lshlrev_b64 v[6:7], v6, v[0:1]
	v_sub_u32_e32 v1, 29, v1
	v_and_b32_e32 v6, 7, v6
	v_cndmask_b32_e32 v1, v8, v1, vcc
	v_cndmask_b32_e32 v4, v4, v6, vcc
	v_bfrev_b32_e32 v7, 60
	v_lshlrev_b32_e32 v4, 20, v4
	v_and_b32_sdwa v6, sext(v0), s29 dst_sel:DWORD dst_unused:UNUSED_PAD src0_sel:BYTE_0 src1_sel:DWORD
	v_lshl_add_u32 v1, v1, 23, v7
	v_or3_b32 v4, v6, v1, v4
	v_accvgpr_write_b32 a45, v5
	v_accvgpr_write_b32 a44, v4
.LBB237_248:                            ;   in Loop: Header=BB237_13 Depth=1
	s_or_b64 exec, exec, s[42:43]
.LBB237_249:                            ;   in Loop: Header=BB237_13 Depth=1
	s_or_b64 exec, exec, s[40:41]
.LBB237_250:                            ;   in Loop: Header=BB237_13 Depth=1
	s_or_b64 exec, exec, s[38:39]
	v_cmp_ne_u16_sdwa vcc, v0, v5 src0_sel:BYTE_1 src1_sel:DWORD
	s_and_saveexec_b64 s[38:39], vcc
	s_cbranch_execz .LBB237_256
; %bb.251:                              ;   in Loop: Header=BB237_13 Depth=1
	v_accvgpr_write_b32 a31, s29
	v_cmp_ne_u16_sdwa vcc, v0, s45 src0_sel:BYTE_1 src1_sel:DWORD
	v_accvgpr_write_b32 a30, s28
	s_and_saveexec_b64 s[40:41], vcc
	s_cbranch_execz .LBB237_255
; %bb.252:                              ;   in Loop: Header=BB237_13 Depth=1
	s_mov_b32 s36, s28
	v_and_b32_sdwa v1, v0, s46 dst_sel:DWORD dst_unused:UNUSED_PAD src0_sel:BYTE_1 src1_sel:DWORD
	v_accvgpr_write_b32 a30, s36
	v_cmp_ne_u32_e32 vcc, s46, v1
	v_accvgpr_write_b32 a31, s37
	s_and_saveexec_b64 s[42:43], vcc
	s_cbranch_execz .LBB237_254
; %bb.253:                              ;   in Loop: Header=BB237_13 Depth=1
	v_mov_b32_e32 v4, 7
	v_and_b32_sdwa v4, v0, v4 dst_sel:DWORD dst_unused:UNUSED_PAD src0_sel:BYTE_1 src1_sel:DWORD
	v_lshrrev_b32_e32 v8, 3, v1
	v_cmp_gt_u32_e32 vcc, 8, v1
	v_ffbh_u32_e32 v1, v4
	v_min_u32_e32 v1, 32, v1
	v_subrev_u32_e32 v6, 28, v1
	v_lshlrev_b64 v[6:7], v6, v[4:5]
	v_sub_u32_e32 v1, 29, v1
	v_and_b32_e32 v6, 7, v6
	v_cndmask_b32_e32 v1, v8, v1, vcc
	v_cndmask_b32_e32 v4, v4, v6, vcc
	v_bfrev_b32_e32 v6, 60
	v_lshlrev_b32_e32 v0, 16, v0
	v_lshl_add_u32 v1, v1, 23, v6
	v_and_or_b32 v0, v0, s29, v1
	v_lshlrev_b32_e32 v1, 20, v4
	v_or_b32_e32 v1, v0, v1
	v_mov_b32_e32 v0, v5
	v_accvgpr_write_b32 a31, v1
	v_accvgpr_write_b32 a30, v0
.LBB237_254:                            ;   in Loop: Header=BB237_13 Depth=1
	s_or_b64 exec, exec, s[42:43]
.LBB237_255:                            ;   in Loop: Header=BB237_13 Depth=1
	s_or_b64 exec, exec, s[40:41]
.LBB237_256:                            ;   in Loop: Header=BB237_13 Depth=1
	s_or_b64 exec, exec, s[38:39]
	flat_load_ushort v4, v[2:3] offset:2560
	v_pk_mov_b32 v[0:1], 0, 0
	v_accvgpr_write_b32 a23, v1
	v_accvgpr_write_b32 a22, v0
	s_waitcnt vmcnt(0) lgkmcnt(0)
	v_and_b32_e32 v6, 0xffff, v4
	v_cmp_ne_u16_sdwa vcc, v4, v5 src0_sel:BYTE_0 src1_sel:DWORD
	s_and_saveexec_b64 s[38:39], vcc
	s_cbranch_execz .LBB237_262
; %bb.257:                              ;   in Loop: Header=BB237_13 Depth=1
	v_bfrev_b32_e32 v8, 1
	v_mov_b32_e32 v9, 0
	v_accvgpr_write_b32 a23, v9
	v_cmp_ne_u16_sdwa vcc, v6, s45 src0_sel:BYTE_0 src1_sel:DWORD
	v_accvgpr_write_b32 a22, v8
	s_and_saveexec_b64 s[40:41], vcc
	s_cbranch_execz .LBB237_261
; %bb.258:                              ;   in Loop: Header=BB237_13 Depth=1
	v_mov_b32_e32 v8, 0x7f800001
	v_mov_b32_e32 v9, 0
	v_and_b32_e32 v4, 0x7f, v6
	v_accvgpr_write_b32 a23, v9
	v_cmp_ne_u32_e32 vcc, s46, v4
	v_accvgpr_write_b32 a22, v8
	s_and_saveexec_b64 s[42:43], vcc
	s_cbranch_execz .LBB237_260
; %bb.259:                              ;   in Loop: Header=BB237_13 Depth=1
	v_and_b32_e32 v7, 7, v6
	v_lshrrev_b32_e32 v10, 3, v4
	v_cmp_gt_u32_e32 vcc, 8, v4
	v_ffbh_u32_e32 v4, v7
	v_min_u32_e32 v4, 32, v4
	v_subrev_u32_e32 v8, 28, v4
	v_lshlrev_b64 v[8:9], v8, v[6:7]
	v_sub_u32_e32 v4, 29, v4
	v_and_b32_e32 v8, 7, v8
	v_cndmask_b32_e32 v4, v10, v4, vcc
	v_cndmask_b32_e32 v7, v7, v8, vcc
	v_bfrev_b32_e32 v9, 60
	v_lshlrev_b32_e32 v7, 20, v7
	v_and_b32_sdwa v8, sext(v6), s29 dst_sel:DWORD dst_unused:UNUSED_PAD src0_sel:BYTE_0 src1_sel:DWORD
	v_lshl_add_u32 v4, v4, 23, v9
	v_or3_b32 v4, v8, v4, v7
	v_accvgpr_write_b32 a23, v5
	v_accvgpr_write_b32 a22, v4
.LBB237_260:                            ;   in Loop: Header=BB237_13 Depth=1
	s_or_b64 exec, exec, s[42:43]
.LBB237_261:                            ;   in Loop: Header=BB237_13 Depth=1
	s_or_b64 exec, exec, s[40:41]
.LBB237_262:                            ;   in Loop: Header=BB237_13 Depth=1
	s_or_b64 exec, exec, s[38:39]
	v_cmp_ne_u16_sdwa vcc, v6, v5 src0_sel:BYTE_1 src1_sel:DWORD
	s_and_saveexec_b64 s[38:39], vcc
	s_cbranch_execz .LBB237_268
; %bb.263:                              ;   in Loop: Header=BB237_13 Depth=1
	v_cmp_ne_u16_sdwa vcc, v6, s45 src0_sel:BYTE_1 src1_sel:DWORD
	v_pk_mov_b32 v[0:1], s[28:29], s[28:29] op_sel:[0,1]
	s_and_saveexec_b64 s[40:41], vcc
	s_cbranch_execz .LBB237_267
; %bb.264:                              ;   in Loop: Header=BB237_13 Depth=1
	v_and_b32_sdwa v7, v6, s46 dst_sel:DWORD dst_unused:UNUSED_PAD src0_sel:BYTE_1 src1_sel:DWORD
	s_mov_b32 s36, s28
	v_cmp_ne_u32_e32 vcc, s46, v7
	v_pk_mov_b32 v[0:1], s[36:37], s[36:37] op_sel:[0,1]
	s_and_saveexec_b64 s[42:43], vcc
	s_cbranch_execz .LBB237_266
; %bb.265:                              ;   in Loop: Header=BB237_13 Depth=1
	v_mov_b32_e32 v0, 7
	v_and_b32_sdwa v4, v6, v0 dst_sel:DWORD dst_unused:UNUSED_PAD src0_sel:BYTE_1 src1_sel:DWORD
	v_ffbh_u32_e32 v0, v4
	v_lshrrev_b32_e32 v8, 3, v7
	v_cmp_gt_u32_e32 vcc, 8, v7
	v_min_u32_e32 v7, 32, v0
	v_subrev_u32_e32 v0, 28, v7
	v_lshlrev_b64 v[0:1], v0, v[4:5]
	v_sub_u32_e32 v1, 29, v7
	v_and_b32_e32 v0, 7, v0
	v_cndmask_b32_e32 v1, v8, v1, vcc
	v_cndmask_b32_e32 v0, v4, v0, vcc
	v_lshlrev_b32_e32 v4, 16, v6
	v_bfrev_b32_e32 v6, 60
	v_lshl_add_u32 v1, v1, 23, v6
	v_and_or_b32 v1, v4, s29, v1
	v_lshlrev_b32_e32 v0, 20, v0
	v_or_b32_e32 v1, v1, v0
	v_mov_b32_e32 v0, v5
.LBB237_266:                            ;   in Loop: Header=BB237_13 Depth=1
	s_or_b64 exec, exec, s[42:43]
.LBB237_267:                            ;   in Loop: Header=BB237_13 Depth=1
	s_or_b64 exec, exec, s[40:41]
.LBB237_268:                            ;   in Loop: Header=BB237_13 Depth=1
	s_or_b64 exec, exec, s[38:39]
	flat_load_ushort v4, v[2:3] offset:2564
	v_pk_mov_b32 v[40:41], 0, 0
	v_accvgpr_write_b32 a28, v40
	v_accvgpr_write_b32 a29, v41
	s_waitcnt vmcnt(0) lgkmcnt(0)
	v_and_b32_e32 v6, 0xffff, v4
	v_cmp_ne_u16_sdwa vcc, v4, v5 src0_sel:BYTE_0 src1_sel:DWORD
	s_and_saveexec_b64 s[38:39], vcc
	s_cbranch_execz .LBB237_274
; %bb.269:                              ;   in Loop: Header=BB237_13 Depth=1
	v_bfrev_b32_e32 v8, 1
	v_mov_b32_e32 v9, 0
	v_accvgpr_write_b32 a29, v9
	v_cmp_ne_u16_sdwa vcc, v6, s45 src0_sel:BYTE_0 src1_sel:DWORD
	v_accvgpr_write_b32 a28, v8
	s_and_saveexec_b64 s[40:41], vcc
	s_cbranch_execz .LBB237_273
; %bb.270:                              ;   in Loop: Header=BB237_13 Depth=1
	v_mov_b32_e32 v8, 0x7f800001
	v_mov_b32_e32 v9, 0
	v_and_b32_e32 v4, 0x7f, v6
	v_accvgpr_write_b32 a29, v9
	v_cmp_ne_u32_e32 vcc, s46, v4
	v_accvgpr_write_b32 a28, v8
	s_and_saveexec_b64 s[42:43], vcc
	s_cbranch_execz .LBB237_272
; %bb.271:                              ;   in Loop: Header=BB237_13 Depth=1
	v_and_b32_e32 v7, 7, v6
	v_lshrrev_b32_e32 v10, 3, v4
	v_cmp_gt_u32_e32 vcc, 8, v4
	v_ffbh_u32_e32 v4, v7
	v_min_u32_e32 v4, 32, v4
	v_subrev_u32_e32 v8, 28, v4
	v_lshlrev_b64 v[8:9], v8, v[6:7]
	v_sub_u32_e32 v4, 29, v4
	v_and_b32_e32 v8, 7, v8
	v_cndmask_b32_e32 v4, v10, v4, vcc
	v_cndmask_b32_e32 v7, v7, v8, vcc
	v_bfrev_b32_e32 v9, 60
	v_lshlrev_b32_e32 v7, 20, v7
	v_and_b32_sdwa v8, sext(v6), s29 dst_sel:DWORD dst_unused:UNUSED_PAD src0_sel:BYTE_0 src1_sel:DWORD
	v_lshl_add_u32 v4, v4, 23, v9
	v_or3_b32 v4, v8, v4, v7
	v_accvgpr_write_b32 a29, v5
	v_accvgpr_write_b32 a28, v4
.LBB237_272:                            ;   in Loop: Header=BB237_13 Depth=1
	s_or_b64 exec, exec, s[42:43]
.LBB237_273:                            ;   in Loop: Header=BB237_13 Depth=1
	s_or_b64 exec, exec, s[40:41]
.LBB237_274:                            ;   in Loop: Header=BB237_13 Depth=1
	s_or_b64 exec, exec, s[38:39]
	v_cmp_ne_u16_sdwa vcc, v6, v5 src0_sel:BYTE_1 src1_sel:DWORD
	s_and_saveexec_b64 s[38:39], vcc
	s_cbranch_execz .LBB237_280
; %bb.275:                              ;   in Loop: Header=BB237_13 Depth=1
	v_cmp_ne_u16_sdwa vcc, v6, s45 src0_sel:BYTE_1 src1_sel:DWORD
	v_pk_mov_b32 v[40:41], s[28:29], s[28:29] op_sel:[0,1]
	s_and_saveexec_b64 s[40:41], vcc
	s_cbranch_execz .LBB237_279
; %bb.276:                              ;   in Loop: Header=BB237_13 Depth=1
	v_and_b32_sdwa v7, v6, s46 dst_sel:DWORD dst_unused:UNUSED_PAD src0_sel:BYTE_1 src1_sel:DWORD
	s_mov_b32 s36, s28
	v_cmp_ne_u32_e32 vcc, s46, v7
	v_pk_mov_b32 v[40:41], s[36:37], s[36:37] op_sel:[0,1]
	s_and_saveexec_b64 s[42:43], vcc
	s_cbranch_execz .LBB237_278
; %bb.277:                              ;   in Loop: Header=BB237_13 Depth=1
	v_mov_b32_e32 v4, 7
	v_and_b32_sdwa v4, v6, v4 dst_sel:DWORD dst_unused:UNUSED_PAD src0_sel:BYTE_1 src1_sel:DWORD
	v_lshrrev_b32_e32 v10, 3, v7
	v_cmp_gt_u32_e32 vcc, 8, v7
	v_ffbh_u32_e32 v7, v4
	v_min_u32_e32 v7, 32, v7
	v_subrev_u32_e32 v8, 28, v7
	v_lshlrev_b64 v[8:9], v8, v[4:5]
	v_sub_u32_e32 v7, 29, v7
	v_and_b32_e32 v8, 7, v8
	v_cndmask_b32_e32 v7, v10, v7, vcc
	v_cndmask_b32_e32 v4, v4, v8, vcc
	v_bfrev_b32_e32 v8, 60
	v_lshlrev_b32_e32 v6, 16, v6
	v_lshl_add_u32 v7, v7, 23, v8
	v_and_or_b32 v6, v6, s29, v7
	v_lshlrev_b32_e32 v4, 20, v4
	v_or_b32_e32 v41, v6, v4
	v_mov_b32_e32 v40, v5
.LBB237_278:                            ;   in Loop: Header=BB237_13 Depth=1
	s_or_b64 exec, exec, s[42:43]
.LBB237_279:                            ;   in Loop: Header=BB237_13 Depth=1
	s_or_b64 exec, exec, s[40:41]
.LBB237_280:                            ;   in Loop: Header=BB237_13 Depth=1
	s_or_b64 exec, exec, s[38:39]
	v_add_co_u32_e32 v6, vcc, 0xa00, v2
	v_addc_co_u32_e32 v7, vcc, 0, v3, vcc
	flat_load_ushort v4, v[6:7] offset:8
	v_pk_mov_b32 v[52:53], 0, 0
	v_accvgpr_write_b32 a26, v52
	v_accvgpr_write_b32 a27, v53
	s_waitcnt vmcnt(0) lgkmcnt(0)
	v_and_b32_e32 v8, 0xffff, v4
	v_cmp_ne_u16_sdwa vcc, v4, v5 src0_sel:BYTE_0 src1_sel:DWORD
	s_and_saveexec_b64 s[38:39], vcc
	s_cbranch_execz .LBB237_286
; %bb.281:                              ;   in Loop: Header=BB237_13 Depth=1
	v_bfrev_b32_e32 v10, 1
	v_mov_b32_e32 v11, 0
	v_accvgpr_write_b32 a27, v11
	v_cmp_ne_u16_sdwa vcc, v8, s45 src0_sel:BYTE_0 src1_sel:DWORD
	v_accvgpr_write_b32 a26, v10
	s_and_saveexec_b64 s[40:41], vcc
	s_cbranch_execz .LBB237_285
; %bb.282:                              ;   in Loop: Header=BB237_13 Depth=1
	v_mov_b32_e32 v10, 0x7f800001
	v_mov_b32_e32 v11, 0
	v_and_b32_e32 v4, 0x7f, v8
	v_accvgpr_write_b32 a27, v11
	v_cmp_ne_u32_e32 vcc, s46, v4
	v_accvgpr_write_b32 a26, v10
	s_and_saveexec_b64 s[42:43], vcc
	s_cbranch_execz .LBB237_284
; %bb.283:                              ;   in Loop: Header=BB237_13 Depth=1
	v_and_b32_e32 v9, 7, v8
	v_lshrrev_b32_e32 v14, 3, v4
	v_cmp_gt_u32_e32 vcc, 8, v4
	v_ffbh_u32_e32 v4, v9
	v_min_u32_e32 v4, 32, v4
	v_subrev_u32_e32 v10, 28, v4
	v_lshlrev_b64 v[10:11], v10, v[8:9]
	v_sub_u32_e32 v4, 29, v4
	v_and_b32_e32 v10, 7, v10
	v_cndmask_b32_e32 v4, v14, v4, vcc
	v_cndmask_b32_e32 v9, v9, v10, vcc
	v_bfrev_b32_e32 v11, 60
	v_lshlrev_b32_e32 v9, 20, v9
	v_and_b32_sdwa v10, sext(v8), s29 dst_sel:DWORD dst_unused:UNUSED_PAD src0_sel:BYTE_0 src1_sel:DWORD
	v_lshl_add_u32 v4, v4, 23, v11
	v_or3_b32 v4, v10, v4, v9
	v_accvgpr_write_b32 a27, v5
	v_accvgpr_write_b32 a26, v4
.LBB237_284:                            ;   in Loop: Header=BB237_13 Depth=1
	s_or_b64 exec, exec, s[42:43]
.LBB237_285:                            ;   in Loop: Header=BB237_13 Depth=1
	s_or_b64 exec, exec, s[40:41]
.LBB237_286:                            ;   in Loop: Header=BB237_13 Depth=1
	s_or_b64 exec, exec, s[38:39]
	v_cmp_ne_u16_sdwa vcc, v8, v5 src0_sel:BYTE_1 src1_sel:DWORD
	s_and_saveexec_b64 s[38:39], vcc
	s_cbranch_execz .LBB237_292
; %bb.287:                              ;   in Loop: Header=BB237_13 Depth=1
	v_cmp_ne_u16_sdwa vcc, v8, s45 src0_sel:BYTE_1 src1_sel:DWORD
	v_pk_mov_b32 v[52:53], s[28:29], s[28:29] op_sel:[0,1]
	s_and_saveexec_b64 s[40:41], vcc
	s_cbranch_execz .LBB237_291
; %bb.288:                              ;   in Loop: Header=BB237_13 Depth=1
	v_and_b32_sdwa v9, v8, s46 dst_sel:DWORD dst_unused:UNUSED_PAD src0_sel:BYTE_1 src1_sel:DWORD
	s_mov_b32 s36, s28
	v_cmp_ne_u32_e32 vcc, s46, v9
	v_pk_mov_b32 v[52:53], s[36:37], s[36:37] op_sel:[0,1]
	s_and_saveexec_b64 s[42:43], vcc
	s_cbranch_execz .LBB237_290
; %bb.289:                              ;   in Loop: Header=BB237_13 Depth=1
	v_mov_b32_e32 v4, 7
	v_and_b32_sdwa v4, v8, v4 dst_sel:DWORD dst_unused:UNUSED_PAD src0_sel:BYTE_1 src1_sel:DWORD
	v_lshrrev_b32_e32 v14, 3, v9
	v_cmp_gt_u32_e32 vcc, 8, v9
	v_ffbh_u32_e32 v9, v4
	v_min_u32_e32 v9, 32, v9
	v_subrev_u32_e32 v10, 28, v9
	v_lshlrev_b64 v[10:11], v10, v[4:5]
	v_sub_u32_e32 v9, 29, v9
	v_and_b32_e32 v10, 7, v10
	v_cndmask_b32_e32 v9, v14, v9, vcc
	v_cndmask_b32_e32 v4, v4, v10, vcc
	v_bfrev_b32_e32 v10, 60
	v_lshlrev_b32_e32 v8, 16, v8
	v_lshl_add_u32 v9, v9, 23, v10
	v_and_or_b32 v8, v8, s29, v9
	v_lshlrev_b32_e32 v4, 20, v4
	v_or_b32_e32 v53, v8, v4
	v_mov_b32_e32 v52, v5
.LBB237_290:                            ;   in Loop: Header=BB237_13 Depth=1
	s_or_b64 exec, exec, s[42:43]
.LBB237_291:                            ;   in Loop: Header=BB237_13 Depth=1
	s_or_b64 exec, exec, s[40:41]
.LBB237_292:                            ;   in Loop: Header=BB237_13 Depth=1
	s_or_b64 exec, exec, s[38:39]
	flat_load_ushort v4, v[6:7] offset:12
	v_pk_mov_b32 v[32:33], 0, 0
	v_pk_mov_b32 v[34:35], v[32:33], v[32:33] op_sel:[0,1]
	s_waitcnt vmcnt(0) lgkmcnt(0)
	v_and_b32_e32 v6, 0xffff, v4
	v_cmp_ne_u16_sdwa vcc, v4, v5 src0_sel:BYTE_0 src1_sel:DWORD
	s_and_saveexec_b64 s[38:39], vcc
	s_cbranch_execz .LBB237_298
; %bb.293:                              ;   in Loop: Header=BB237_13 Depth=1
	v_bfrev_b32_e32 v34, 1
	v_cmp_ne_u16_sdwa vcc, v6, s45 src0_sel:BYTE_0 src1_sel:DWORD
	v_mov_b32_e32 v35, 0
	s_and_saveexec_b64 s[40:41], vcc
	s_cbranch_execz .LBB237_297
; %bb.294:                              ;   in Loop: Header=BB237_13 Depth=1
	v_and_b32_e32 v4, 0x7f, v6
	v_mov_b32_e32 v34, 0x7f800001
	v_cmp_ne_u32_e32 vcc, s46, v4
	v_mov_b32_e32 v35, 0
	s_and_saveexec_b64 s[42:43], vcc
	s_cbranch_execz .LBB237_296
; %bb.295:                              ;   in Loop: Header=BB237_13 Depth=1
	v_and_b32_e32 v7, 7, v6
	v_lshrrev_b32_e32 v10, 3, v4
	v_cmp_gt_u32_e32 vcc, 8, v4
	v_ffbh_u32_e32 v4, v7
	v_min_u32_e32 v4, 32, v4
	v_subrev_u32_e32 v8, 28, v4
	v_lshlrev_b64 v[8:9], v8, v[6:7]
	v_sub_u32_e32 v4, 29, v4
	v_and_b32_e32 v8, 7, v8
	v_cndmask_b32_e32 v4, v10, v4, vcc
	v_cndmask_b32_e32 v7, v7, v8, vcc
	v_bfrev_b32_e32 v9, 60
	v_lshlrev_b32_e32 v7, 20, v7
	v_and_b32_sdwa v8, sext(v6), s29 dst_sel:DWORD dst_unused:UNUSED_PAD src0_sel:BYTE_0 src1_sel:DWORD
	v_lshl_add_u32 v4, v4, 23, v9
	v_or3_b32 v4, v8, v4, v7
	v_pk_mov_b32 v[34:35], v[4:5], v[4:5] op_sel:[0,1]
.LBB237_296:                            ;   in Loop: Header=BB237_13 Depth=1
	s_or_b64 exec, exec, s[42:43]
.LBB237_297:                            ;   in Loop: Header=BB237_13 Depth=1
	s_or_b64 exec, exec, s[40:41]
.LBB237_298:                            ;   in Loop: Header=BB237_13 Depth=1
	s_or_b64 exec, exec, s[38:39]
	v_cmp_ne_u16_sdwa vcc, v6, v5 src0_sel:BYTE_1 src1_sel:DWORD
	s_and_saveexec_b64 s[38:39], vcc
	s_cbranch_execz .LBB237_304
; %bb.299:                              ;   in Loop: Header=BB237_13 Depth=1
	v_cmp_ne_u16_sdwa vcc, v6, s45 src0_sel:BYTE_1 src1_sel:DWORD
	v_pk_mov_b32 v[32:33], s[28:29], s[28:29] op_sel:[0,1]
	s_and_saveexec_b64 s[40:41], vcc
	s_cbranch_execz .LBB237_303
; %bb.300:                              ;   in Loop: Header=BB237_13 Depth=1
	v_and_b32_sdwa v7, v6, s46 dst_sel:DWORD dst_unused:UNUSED_PAD src0_sel:BYTE_1 src1_sel:DWORD
	s_mov_b32 s36, s28
	v_cmp_ne_u32_e32 vcc, s46, v7
	v_pk_mov_b32 v[32:33], s[36:37], s[36:37] op_sel:[0,1]
	s_and_saveexec_b64 s[42:43], vcc
	s_cbranch_execz .LBB237_302
; %bb.301:                              ;   in Loop: Header=BB237_13 Depth=1
	v_mov_b32_e32 v4, 7
	v_and_b32_sdwa v4, v6, v4 dst_sel:DWORD dst_unused:UNUSED_PAD src0_sel:BYTE_1 src1_sel:DWORD
	v_lshrrev_b32_e32 v10, 3, v7
	v_cmp_gt_u32_e32 vcc, 8, v7
	v_ffbh_u32_e32 v7, v4
	v_min_u32_e32 v7, 32, v7
	v_subrev_u32_e32 v8, 28, v7
	v_lshlrev_b64 v[8:9], v8, v[4:5]
	v_sub_u32_e32 v7, 29, v7
	v_and_b32_e32 v8, 7, v8
	v_cndmask_b32_e32 v7, v10, v7, vcc
	v_cndmask_b32_e32 v4, v4, v8, vcc
	v_bfrev_b32_e32 v8, 60
	v_lshlrev_b32_e32 v6, 16, v6
	v_lshl_add_u32 v7, v7, 23, v8
	v_and_or_b32 v6, v6, s29, v7
	v_lshlrev_b32_e32 v4, 20, v4
	v_or_b32_e32 v33, v6, v4
	v_mov_b32_e32 v32, v5
.LBB237_302:                            ;   in Loop: Header=BB237_13 Depth=1
	s_or_b64 exec, exec, s[42:43]
.LBB237_303:                            ;   in Loop: Header=BB237_13 Depth=1
	s_or_b64 exec, exec, s[40:41]
.LBB237_304:                            ;   in Loop: Header=BB237_13 Depth=1
	s_or_b64 exec, exec, s[38:39]
	flat_load_ushort v4, v[2:3] offset:3072
	v_pk_mov_b32 v[8:9], 0, 0
	v_pk_mov_b32 v[10:11], v[8:9], v[8:9] op_sel:[0,1]
	s_waitcnt vmcnt(0) lgkmcnt(0)
	v_and_b32_e32 v6, 0xffff, v4
	v_cmp_ne_u16_sdwa vcc, v4, v5 src0_sel:BYTE_0 src1_sel:DWORD
	s_and_saveexec_b64 s[38:39], vcc
	s_cbranch_execz .LBB237_310
; %bb.305:                              ;   in Loop: Header=BB237_13 Depth=1
	v_bfrev_b32_e32 v10, 1
	v_cmp_ne_u16_sdwa vcc, v6, s45 src0_sel:BYTE_0 src1_sel:DWORD
	v_mov_b32_e32 v11, 0
	s_and_saveexec_b64 s[40:41], vcc
	s_cbranch_execz .LBB237_309
; %bb.306:                              ;   in Loop: Header=BB237_13 Depth=1
	v_and_b32_e32 v4, 0x7f, v6
	v_mov_b32_e32 v10, 0x7f800001
	v_cmp_ne_u32_e32 vcc, s46, v4
	v_mov_b32_e32 v11, 0
	s_and_saveexec_b64 s[42:43], vcc
	s_cbranch_execz .LBB237_308
; %bb.307:                              ;   in Loop: Header=BB237_13 Depth=1
	v_and_b32_e32 v7, 7, v6
	v_lshrrev_b32_e32 v14, 3, v4
	v_cmp_gt_u32_e32 vcc, 8, v4
	v_ffbh_u32_e32 v4, v7
	v_min_u32_e32 v4, 32, v4
	v_subrev_u32_e32 v10, 28, v4
	v_lshlrev_b64 v[10:11], v10, v[6:7]
	v_sub_u32_e32 v4, 29, v4
	v_and_b32_e32 v10, 7, v10
	v_cndmask_b32_e32 v4, v14, v4, vcc
	v_cndmask_b32_e32 v7, v7, v10, vcc
	v_bfrev_b32_e32 v11, 60
	v_lshlrev_b32_e32 v7, 20, v7
	v_and_b32_sdwa v10, sext(v6), s29 dst_sel:DWORD dst_unused:UNUSED_PAD src0_sel:BYTE_0 src1_sel:DWORD
	v_lshl_add_u32 v4, v4, 23, v11
	v_or3_b32 v4, v10, v4, v7
	v_pk_mov_b32 v[10:11], v[4:5], v[4:5] op_sel:[0,1]
.LBB237_308:                            ;   in Loop: Header=BB237_13 Depth=1
	s_or_b64 exec, exec, s[42:43]
.LBB237_309:                            ;   in Loop: Header=BB237_13 Depth=1
	s_or_b64 exec, exec, s[40:41]
.LBB237_310:                            ;   in Loop: Header=BB237_13 Depth=1
	s_or_b64 exec, exec, s[38:39]
	v_cmp_ne_u16_sdwa vcc, v6, v5 src0_sel:BYTE_1 src1_sel:DWORD
	s_and_saveexec_b64 s[38:39], vcc
	s_cbranch_execz .LBB237_316
; %bb.311:                              ;   in Loop: Header=BB237_13 Depth=1
	v_cmp_ne_u16_sdwa vcc, v6, s45 src0_sel:BYTE_1 src1_sel:DWORD
	v_pk_mov_b32 v[8:9], s[28:29], s[28:29] op_sel:[0,1]
	s_and_saveexec_b64 s[40:41], vcc
	s_cbranch_execz .LBB237_315
; %bb.312:                              ;   in Loop: Header=BB237_13 Depth=1
	v_and_b32_sdwa v7, v6, s46 dst_sel:DWORD dst_unused:UNUSED_PAD src0_sel:BYTE_1 src1_sel:DWORD
	s_mov_b32 s36, s28
	v_cmp_ne_u32_e32 vcc, s46, v7
	v_pk_mov_b32 v[8:9], s[36:37], s[36:37] op_sel:[0,1]
	s_and_saveexec_b64 s[42:43], vcc
	s_cbranch_execz .LBB237_314
; %bb.313:                              ;   in Loop: Header=BB237_13 Depth=1
	v_mov_b32_e32 v4, 7
	v_and_b32_sdwa v4, v6, v4 dst_sel:DWORD dst_unused:UNUSED_PAD src0_sel:BYTE_1 src1_sel:DWORD
	v_lshrrev_b32_e32 v14, 3, v7
	v_cmp_gt_u32_e32 vcc, 8, v7
	v_ffbh_u32_e32 v7, v4
	v_min_u32_e32 v7, 32, v7
	v_subrev_u32_e32 v8, 28, v7
	v_lshlrev_b64 v[8:9], v8, v[4:5]
	v_sub_u32_e32 v7, 29, v7
	v_and_b32_e32 v8, 7, v8
	v_cndmask_b32_e32 v7, v14, v7, vcc
	v_cndmask_b32_e32 v4, v4, v8, vcc
	v_bfrev_b32_e32 v8, 60
	v_lshlrev_b32_e32 v6, 16, v6
	v_lshl_add_u32 v7, v7, 23, v8
	v_and_or_b32 v6, v6, s29, v7
	v_lshlrev_b32_e32 v4, 20, v4
	v_or_b32_e32 v9, v6, v4
	v_mov_b32_e32 v8, v5
.LBB237_314:                            ;   in Loop: Header=BB237_13 Depth=1
	s_or_b64 exec, exec, s[42:43]
.LBB237_315:                            ;   in Loop: Header=BB237_13 Depth=1
	s_or_b64 exec, exec, s[40:41]
.LBB237_316:                            ;   in Loop: Header=BB237_13 Depth=1
	s_or_b64 exec, exec, s[38:39]
	flat_load_ushort v4, v[2:3] offset:3076
	v_pk_mov_b32 v[38:39], 0, 0
	v_pk_mov_b32 v[30:31], v[38:39], v[38:39] op_sel:[0,1]
	s_waitcnt vmcnt(0) lgkmcnt(0)
	v_and_b32_e32 v6, 0xffff, v4
	v_cmp_ne_u16_sdwa vcc, v4, v5 src0_sel:BYTE_0 src1_sel:DWORD
	s_and_saveexec_b64 s[38:39], vcc
	s_cbranch_execz .LBB237_322
; %bb.317:                              ;   in Loop: Header=BB237_13 Depth=1
	v_bfrev_b32_e32 v30, 1
	v_cmp_ne_u16_sdwa vcc, v6, s45 src0_sel:BYTE_0 src1_sel:DWORD
	v_mov_b32_e32 v31, 0
	s_and_saveexec_b64 s[40:41], vcc
	s_cbranch_execz .LBB237_321
; %bb.318:                              ;   in Loop: Header=BB237_13 Depth=1
	v_and_b32_e32 v4, 0x7f, v6
	v_mov_b32_e32 v30, 0x7f800001
	v_cmp_ne_u32_e32 vcc, s46, v4
	v_mov_b32_e32 v31, 0
	s_and_saveexec_b64 s[42:43], vcc
	s_cbranch_execz .LBB237_320
; %bb.319:                              ;   in Loop: Header=BB237_13 Depth=1
	v_and_b32_e32 v7, 7, v6
	v_lshrrev_b32_e32 v20, 3, v4
	v_cmp_gt_u32_e32 vcc, 8, v4
	v_ffbh_u32_e32 v4, v7
	v_min_u32_e32 v4, 32, v4
	v_subrev_u32_e32 v14, 28, v4
	v_lshlrev_b64 v[14:15], v14, v[6:7]
	v_sub_u32_e32 v4, 29, v4
	v_and_b32_e32 v14, 7, v14
	v_cndmask_b32_e32 v4, v20, v4, vcc
	v_cndmask_b32_e32 v7, v7, v14, vcc
	v_bfrev_b32_e32 v15, 60
	v_lshlrev_b32_e32 v7, 20, v7
	v_and_b32_sdwa v14, sext(v6), s29 dst_sel:DWORD dst_unused:UNUSED_PAD src0_sel:BYTE_0 src1_sel:DWORD
	v_lshl_add_u32 v4, v4, 23, v15
	v_or3_b32 v4, v14, v4, v7
	v_pk_mov_b32 v[30:31], v[4:5], v[4:5] op_sel:[0,1]
.LBB237_320:                            ;   in Loop: Header=BB237_13 Depth=1
	s_or_b64 exec, exec, s[42:43]
.LBB237_321:                            ;   in Loop: Header=BB237_13 Depth=1
	s_or_b64 exec, exec, s[40:41]
.LBB237_322:                            ;   in Loop: Header=BB237_13 Depth=1
	s_or_b64 exec, exec, s[38:39]
	v_cmp_ne_u16_sdwa vcc, v6, v5 src0_sel:BYTE_1 src1_sel:DWORD
	s_and_saveexec_b64 s[38:39], vcc
	s_cbranch_execz .LBB237_328
; %bb.323:                              ;   in Loop: Header=BB237_13 Depth=1
	v_cmp_ne_u16_sdwa vcc, v6, s45 src0_sel:BYTE_1 src1_sel:DWORD
	v_pk_mov_b32 v[38:39], s[28:29], s[28:29] op_sel:[0,1]
	s_and_saveexec_b64 s[40:41], vcc
	s_cbranch_execz .LBB237_327
; %bb.324:                              ;   in Loop: Header=BB237_13 Depth=1
	v_and_b32_sdwa v7, v6, s46 dst_sel:DWORD dst_unused:UNUSED_PAD src0_sel:BYTE_1 src1_sel:DWORD
	s_mov_b32 s36, s28
	v_cmp_ne_u32_e32 vcc, s46, v7
	v_pk_mov_b32 v[38:39], s[36:37], s[36:37] op_sel:[0,1]
	s_and_saveexec_b64 s[42:43], vcc
	s_cbranch_execz .LBB237_326
; %bb.325:                              ;   in Loop: Header=BB237_13 Depth=1
	v_mov_b32_e32 v4, 7
	v_and_b32_sdwa v4, v6, v4 dst_sel:DWORD dst_unused:UNUSED_PAD src0_sel:BYTE_1 src1_sel:DWORD
	v_lshrrev_b32_e32 v20, 3, v7
	v_cmp_gt_u32_e32 vcc, 8, v7
	v_ffbh_u32_e32 v7, v4
	v_min_u32_e32 v7, 32, v7
	v_subrev_u32_e32 v14, 28, v7
	v_lshlrev_b64 v[14:15], v14, v[4:5]
	v_sub_u32_e32 v7, 29, v7
	v_and_b32_e32 v14, 7, v14
	v_cndmask_b32_e32 v7, v20, v7, vcc
	v_cndmask_b32_e32 v4, v4, v14, vcc
	v_bfrev_b32_e32 v14, 60
	v_lshlrev_b32_e32 v6, 16, v6
	v_lshl_add_u32 v7, v7, 23, v14
	v_and_or_b32 v6, v6, s29, v7
	v_lshlrev_b32_e32 v4, 20, v4
	v_or_b32_e32 v39, v6, v4
	v_mov_b32_e32 v38, v5
.LBB237_326:                            ;   in Loop: Header=BB237_13 Depth=1
	s_or_b64 exec, exec, s[42:43]
.LBB237_327:                            ;   in Loop: Header=BB237_13 Depth=1
	s_or_b64 exec, exec, s[40:41]
.LBB237_328:                            ;   in Loop: Header=BB237_13 Depth=1
	s_or_b64 exec, exec, s[38:39]
	v_add_co_u32_e32 v6, vcc, 0xc00, v2
	v_addc_co_u32_e32 v7, vcc, 0, v3, vcc
	flat_load_ushort v4, v[6:7] offset:8
	v_pk_mov_b32 v[50:51], 0, 0
	v_pk_mov_b32 v[22:23], v[50:51], v[50:51] op_sel:[0,1]
	s_waitcnt vmcnt(0) lgkmcnt(0)
	v_and_b32_e32 v14, 0xffff, v4
	v_cmp_ne_u16_sdwa vcc, v4, v5 src0_sel:BYTE_0 src1_sel:DWORD
	s_and_saveexec_b64 s[38:39], vcc
	s_cbranch_execz .LBB237_334
; %bb.329:                              ;   in Loop: Header=BB237_13 Depth=1
	v_bfrev_b32_e32 v22, 1
	v_cmp_ne_u16_sdwa vcc, v14, s45 src0_sel:BYTE_0 src1_sel:DWORD
	v_mov_b32_e32 v23, 0
	s_and_saveexec_b64 s[40:41], vcc
	s_cbranch_execz .LBB237_333
; %bb.330:                              ;   in Loop: Header=BB237_13 Depth=1
	v_and_b32_e32 v4, 0x7f, v14
	v_mov_b32_e32 v22, 0x7f800001
	v_cmp_ne_u32_e32 vcc, s46, v4
	v_mov_b32_e32 v23, 0
	s_and_saveexec_b64 s[42:43], vcc
	s_cbranch_execz .LBB237_332
; %bb.331:                              ;   in Loop: Header=BB237_13 Depth=1
	v_and_b32_e32 v15, 7, v14
	v_lshrrev_b32_e32 v20, 3, v4
	v_cmp_gt_u32_e32 vcc, 8, v4
	v_ffbh_u32_e32 v4, v15
	v_min_u32_e32 v4, 32, v4
	v_subrev_u32_e32 v21, 28, v4
	v_lshlrev_b64 v[22:23], v21, v[14:15]
	v_sub_u32_e32 v4, 29, v4
	v_and_b32_e32 v21, 7, v22
	v_cndmask_b32_e32 v4, v20, v4, vcc
	v_cndmask_b32_e32 v15, v15, v21, vcc
	v_bfrev_b32_e32 v21, 60
	v_lshlrev_b32_e32 v15, 20, v15
	v_and_b32_sdwa v20, sext(v14), s29 dst_sel:DWORD dst_unused:UNUSED_PAD src0_sel:BYTE_0 src1_sel:DWORD
	v_lshl_add_u32 v4, v4, 23, v21
	v_or3_b32 v4, v20, v4, v15
	v_pk_mov_b32 v[22:23], v[4:5], v[4:5] op_sel:[0,1]
.LBB237_332:                            ;   in Loop: Header=BB237_13 Depth=1
	s_or_b64 exec, exec, s[42:43]
.LBB237_333:                            ;   in Loop: Header=BB237_13 Depth=1
	s_or_b64 exec, exec, s[40:41]
.LBB237_334:                            ;   in Loop: Header=BB237_13 Depth=1
	s_or_b64 exec, exec, s[38:39]
	v_cmp_ne_u16_sdwa vcc, v14, v5 src0_sel:BYTE_1 src1_sel:DWORD
	s_and_saveexec_b64 s[38:39], vcc
	s_cbranch_execz .LBB237_340
; %bb.335:                              ;   in Loop: Header=BB237_13 Depth=1
	v_cmp_ne_u16_sdwa vcc, v14, s45 src0_sel:BYTE_1 src1_sel:DWORD
	v_pk_mov_b32 v[50:51], s[28:29], s[28:29] op_sel:[0,1]
	s_and_saveexec_b64 s[40:41], vcc
	s_cbranch_execz .LBB237_339
; %bb.336:                              ;   in Loop: Header=BB237_13 Depth=1
	v_and_b32_sdwa v15, v14, s46 dst_sel:DWORD dst_unused:UNUSED_PAD src0_sel:BYTE_1 src1_sel:DWORD
	s_mov_b32 s36, s28
	v_cmp_ne_u32_e32 vcc, s46, v15
	v_pk_mov_b32 v[50:51], s[36:37], s[36:37] op_sel:[0,1]
	s_and_saveexec_b64 s[42:43], vcc
	s_cbranch_execz .LBB237_338
; %bb.337:                              ;   in Loop: Header=BB237_13 Depth=1
	v_mov_b32_e32 v4, 7
	v_and_b32_sdwa v4, v14, v4 dst_sel:DWORD dst_unused:UNUSED_PAD src0_sel:BYTE_1 src1_sel:DWORD
	v_lshrrev_b32_e32 v20, 3, v15
	v_cmp_gt_u32_e32 vcc, 8, v15
	v_ffbh_u32_e32 v15, v4
	v_min_u32_e32 v15, 32, v15
	v_subrev_u32_e32 v21, 28, v15
	v_lshlrev_b64 v[24:25], v21, v[4:5]
	v_sub_u32_e32 v15, 29, v15
	v_and_b32_e32 v21, 7, v24
	v_cndmask_b32_e32 v15, v20, v15, vcc
	v_bfrev_b32_e32 v20, 60
	v_cndmask_b32_e32 v4, v4, v21, vcc
	v_lshlrev_b32_e32 v14, 16, v14
	v_lshl_add_u32 v15, v15, 23, v20
	v_and_or_b32 v14, v14, s29, v15
	v_lshlrev_b32_e32 v4, 20, v4
	v_or_b32_e32 v51, v14, v4
	v_mov_b32_e32 v50, v5
.LBB237_338:                            ;   in Loop: Header=BB237_13 Depth=1
	s_or_b64 exec, exec, s[42:43]
.LBB237_339:                            ;   in Loop: Header=BB237_13 Depth=1
	s_or_b64 exec, exec, s[40:41]
.LBB237_340:                            ;   in Loop: Header=BB237_13 Depth=1
	s_or_b64 exec, exec, s[38:39]
	flat_load_ushort v4, v[6:7] offset:12
	v_pk_mov_b32 v[54:55], 0, 0
	v_pk_mov_b32 v[60:61], v[54:55], v[54:55] op_sel:[0,1]
	s_waitcnt vmcnt(0) lgkmcnt(0)
	v_and_b32_e32 v6, 0xffff, v4
	v_cmp_ne_u16_sdwa vcc, v4, v5 src0_sel:BYTE_0 src1_sel:DWORD
	s_and_saveexec_b64 s[38:39], vcc
	s_cbranch_execz .LBB237_346
; %bb.341:                              ;   in Loop: Header=BB237_13 Depth=1
	v_bfrev_b32_e32 v60, 1
	v_cmp_ne_u16_sdwa vcc, v6, s45 src0_sel:BYTE_0 src1_sel:DWORD
	v_mov_b32_e32 v61, 0
	s_and_saveexec_b64 s[40:41], vcc
	s_cbranch_execz .LBB237_345
; %bb.342:                              ;   in Loop: Header=BB237_13 Depth=1
	v_and_b32_e32 v4, 0x7f, v6
	v_mov_b32_e32 v60, 0x7f800001
	v_cmp_ne_u32_e32 vcc, s46, v4
	v_mov_b32_e32 v61, 0
	s_and_saveexec_b64 s[42:43], vcc
	s_cbranch_execz .LBB237_344
; %bb.343:                              ;   in Loop: Header=BB237_13 Depth=1
	v_and_b32_e32 v7, 7, v6
	v_lshrrev_b32_e32 v20, 3, v4
	v_cmp_gt_u32_e32 vcc, 8, v4
	v_ffbh_u32_e32 v4, v7
	v_min_u32_e32 v4, 32, v4
	v_subrev_u32_e32 v14, 28, v4
	v_lshlrev_b64 v[14:15], v14, v[6:7]
	v_sub_u32_e32 v4, 29, v4
	v_and_b32_e32 v14, 7, v14
	v_cndmask_b32_e32 v4, v20, v4, vcc
	v_cndmask_b32_e32 v7, v7, v14, vcc
	v_bfrev_b32_e32 v15, 60
	v_lshlrev_b32_e32 v7, 20, v7
	v_and_b32_sdwa v14, sext(v6), s29 dst_sel:DWORD dst_unused:UNUSED_PAD src0_sel:BYTE_0 src1_sel:DWORD
	v_lshl_add_u32 v4, v4, 23, v15
	v_or3_b32 v4, v14, v4, v7
	v_pk_mov_b32 v[60:61], v[4:5], v[4:5] op_sel:[0,1]
.LBB237_344:                            ;   in Loop: Header=BB237_13 Depth=1
	s_or_b64 exec, exec, s[42:43]
.LBB237_345:                            ;   in Loop: Header=BB237_13 Depth=1
	s_or_b64 exec, exec, s[40:41]
.LBB237_346:                            ;   in Loop: Header=BB237_13 Depth=1
	s_or_b64 exec, exec, s[38:39]
	v_cmp_ne_u16_sdwa vcc, v6, v5 src0_sel:BYTE_1 src1_sel:DWORD
	s_and_saveexec_b64 s[38:39], vcc
	s_cbranch_execz .LBB237_352
; %bb.347:                              ;   in Loop: Header=BB237_13 Depth=1
	v_cmp_ne_u16_sdwa vcc, v6, s45 src0_sel:BYTE_1 src1_sel:DWORD
	v_pk_mov_b32 v[54:55], s[28:29], s[28:29] op_sel:[0,1]
	s_and_saveexec_b64 s[40:41], vcc
	s_cbranch_execz .LBB237_351
; %bb.348:                              ;   in Loop: Header=BB237_13 Depth=1
	v_and_b32_sdwa v7, v6, s46 dst_sel:DWORD dst_unused:UNUSED_PAD src0_sel:BYTE_1 src1_sel:DWORD
	s_mov_b32 s36, s28
	v_cmp_ne_u32_e32 vcc, s46, v7
	v_pk_mov_b32 v[54:55], s[36:37], s[36:37] op_sel:[0,1]
	s_and_saveexec_b64 s[42:43], vcc
	s_cbranch_execz .LBB237_350
; %bb.349:                              ;   in Loop: Header=BB237_13 Depth=1
	v_mov_b32_e32 v4, 7
	v_and_b32_sdwa v4, v6, v4 dst_sel:DWORD dst_unused:UNUSED_PAD src0_sel:BYTE_1 src1_sel:DWORD
	v_lshrrev_b32_e32 v20, 3, v7
	v_cmp_gt_u32_e32 vcc, 8, v7
	v_ffbh_u32_e32 v7, v4
	v_min_u32_e32 v7, 32, v7
	v_subrev_u32_e32 v14, 28, v7
	v_lshlrev_b64 v[14:15], v14, v[4:5]
	v_sub_u32_e32 v7, 29, v7
	v_and_b32_e32 v14, 7, v14
	v_cndmask_b32_e32 v7, v20, v7, vcc
	v_cndmask_b32_e32 v4, v4, v14, vcc
	v_bfrev_b32_e32 v14, 60
	v_lshlrev_b32_e32 v6, 16, v6
	v_lshl_add_u32 v7, v7, 23, v14
	v_and_or_b32 v6, v6, s29, v7
	v_lshlrev_b32_e32 v4, 20, v4
	v_or_b32_e32 v55, v6, v4
	v_mov_b32_e32 v54, v5
.LBB237_350:                            ;   in Loop: Header=BB237_13 Depth=1
	s_or_b64 exec, exec, s[42:43]
.LBB237_351:                            ;   in Loop: Header=BB237_13 Depth=1
	s_or_b64 exec, exec, s[40:41]
.LBB237_352:                            ;   in Loop: Header=BB237_13 Depth=1
	s_or_b64 exec, exec, s[38:39]
	flat_load_ushort v4, v[2:3] offset:3584
	v_pk_mov_b32 v[42:43], 0, 0
	v_pk_mov_b32 v[44:45], v[42:43], v[42:43] op_sel:[0,1]
	s_waitcnt vmcnt(0) lgkmcnt(0)
	v_and_b32_e32 v6, 0xffff, v4
	v_cmp_ne_u16_sdwa vcc, v4, v5 src0_sel:BYTE_0 src1_sel:DWORD
	s_and_saveexec_b64 s[38:39], vcc
	s_cbranch_execz .LBB237_358
; %bb.353:                              ;   in Loop: Header=BB237_13 Depth=1
	v_bfrev_b32_e32 v44, 1
	v_cmp_ne_u16_sdwa vcc, v6, s45 src0_sel:BYTE_0 src1_sel:DWORD
	v_mov_b32_e32 v45, 0
	s_and_saveexec_b64 s[40:41], vcc
	s_cbranch_execz .LBB237_357
; %bb.354:                              ;   in Loop: Header=BB237_13 Depth=1
	v_and_b32_e32 v4, 0x7f, v6
	v_mov_b32_e32 v44, 0x7f800001
	v_cmp_ne_u32_e32 vcc, s46, v4
	v_mov_b32_e32 v45, 0
	s_and_saveexec_b64 s[42:43], vcc
	s_cbranch_execz .LBB237_356
; %bb.355:                              ;   in Loop: Header=BB237_13 Depth=1
	v_and_b32_e32 v7, 7, v6
	v_lshrrev_b32_e32 v20, 3, v4
	v_cmp_gt_u32_e32 vcc, 8, v4
	v_ffbh_u32_e32 v4, v7
	v_min_u32_e32 v4, 32, v4
	v_subrev_u32_e32 v14, 28, v4
	v_lshlrev_b64 v[14:15], v14, v[6:7]
	v_sub_u32_e32 v4, 29, v4
	v_and_b32_e32 v14, 7, v14
	v_cndmask_b32_e32 v4, v20, v4, vcc
	v_cndmask_b32_e32 v7, v7, v14, vcc
	v_bfrev_b32_e32 v15, 60
	v_lshlrev_b32_e32 v7, 20, v7
	v_and_b32_sdwa v14, sext(v6), s29 dst_sel:DWORD dst_unused:UNUSED_PAD src0_sel:BYTE_0 src1_sel:DWORD
	v_lshl_add_u32 v4, v4, 23, v15
	v_or3_b32 v4, v14, v4, v7
	v_pk_mov_b32 v[44:45], v[4:5], v[4:5] op_sel:[0,1]
.LBB237_356:                            ;   in Loop: Header=BB237_13 Depth=1
	s_or_b64 exec, exec, s[42:43]
.LBB237_357:                            ;   in Loop: Header=BB237_13 Depth=1
	s_or_b64 exec, exec, s[40:41]
.LBB237_358:                            ;   in Loop: Header=BB237_13 Depth=1
	s_or_b64 exec, exec, s[38:39]
	v_cmp_ne_u16_sdwa vcc, v6, v5 src0_sel:BYTE_1 src1_sel:DWORD
	s_and_saveexec_b64 s[38:39], vcc
	s_cbranch_execz .LBB237_364
; %bb.359:                              ;   in Loop: Header=BB237_13 Depth=1
	v_cmp_ne_u16_sdwa vcc, v6, s45 src0_sel:BYTE_1 src1_sel:DWORD
	v_pk_mov_b32 v[42:43], s[28:29], s[28:29] op_sel:[0,1]
	s_and_saveexec_b64 s[40:41], vcc
	s_cbranch_execz .LBB237_363
; %bb.360:                              ;   in Loop: Header=BB237_13 Depth=1
	v_and_b32_sdwa v7, v6, s46 dst_sel:DWORD dst_unused:UNUSED_PAD src0_sel:BYTE_1 src1_sel:DWORD
	s_mov_b32 s36, s28
	v_cmp_ne_u32_e32 vcc, s46, v7
	v_pk_mov_b32 v[42:43], s[36:37], s[36:37] op_sel:[0,1]
	s_and_saveexec_b64 s[42:43], vcc
	s_cbranch_execz .LBB237_362
; %bb.361:                              ;   in Loop: Header=BB237_13 Depth=1
	v_mov_b32_e32 v4, 7
	v_and_b32_sdwa v4, v6, v4 dst_sel:DWORD dst_unused:UNUSED_PAD src0_sel:BYTE_1 src1_sel:DWORD
	v_lshrrev_b32_e32 v20, 3, v7
	v_cmp_gt_u32_e32 vcc, 8, v7
	v_ffbh_u32_e32 v7, v4
	v_min_u32_e32 v7, 32, v7
	v_subrev_u32_e32 v14, 28, v7
	v_lshlrev_b64 v[14:15], v14, v[4:5]
	v_sub_u32_e32 v7, 29, v7
	v_and_b32_e32 v14, 7, v14
	v_cndmask_b32_e32 v7, v20, v7, vcc
	v_cndmask_b32_e32 v4, v4, v14, vcc
	v_bfrev_b32_e32 v14, 60
	v_lshlrev_b32_e32 v6, 16, v6
	v_lshl_add_u32 v7, v7, 23, v14
	v_and_or_b32 v6, v6, s29, v7
	v_lshlrev_b32_e32 v4, 20, v4
	v_or_b32_e32 v43, v6, v4
	v_mov_b32_e32 v42, v5
.LBB237_362:                            ;   in Loop: Header=BB237_13 Depth=1
	s_or_b64 exec, exec, s[42:43]
.LBB237_363:                            ;   in Loop: Header=BB237_13 Depth=1
	s_or_b64 exec, exec, s[40:41]
.LBB237_364:                            ;   in Loop: Header=BB237_13 Depth=1
	s_or_b64 exec, exec, s[38:39]
	flat_load_ushort v4, v[2:3] offset:3588
	v_pk_mov_b32 v[14:15], 0, 0
	v_pk_mov_b32 v[56:57], v[14:15], v[14:15] op_sel:[0,1]
	s_waitcnt vmcnt(0) lgkmcnt(0)
	v_and_b32_e32 v6, 0xffff, v4
	v_cmp_ne_u16_sdwa vcc, v4, v5 src0_sel:BYTE_0 src1_sel:DWORD
	s_and_saveexec_b64 s[38:39], vcc
	s_cbranch_execz .LBB237_370
; %bb.365:                              ;   in Loop: Header=BB237_13 Depth=1
	v_bfrev_b32_e32 v56, 1
	v_cmp_ne_u16_sdwa vcc, v6, s45 src0_sel:BYTE_0 src1_sel:DWORD
	v_mov_b32_e32 v57, 0
	s_and_saveexec_b64 s[40:41], vcc
	s_cbranch_execz .LBB237_369
; %bb.366:                              ;   in Loop: Header=BB237_13 Depth=1
	v_and_b32_e32 v4, 0x7f, v6
	v_mov_b32_e32 v56, 0x7f800001
	v_cmp_ne_u32_e32 vcc, s46, v4
	v_mov_b32_e32 v57, 0
	s_and_saveexec_b64 s[42:43], vcc
	s_cbranch_execz .LBB237_368
; %bb.367:                              ;   in Loop: Header=BB237_13 Depth=1
	v_and_b32_e32 v7, 7, v6
	v_lshrrev_b32_e32 v20, 3, v4
	v_cmp_gt_u32_e32 vcc, 8, v4
	v_ffbh_u32_e32 v4, v7
	v_min_u32_e32 v4, 32, v4
	v_subrev_u32_e32 v21, 28, v4
	v_lshlrev_b64 v[24:25], v21, v[6:7]
	v_sub_u32_e32 v4, 29, v4
	v_and_b32_e32 v21, 7, v24
	v_cndmask_b32_e32 v4, v20, v4, vcc
	v_cndmask_b32_e32 v7, v7, v21, vcc
	v_bfrev_b32_e32 v21, 60
	v_lshlrev_b32_e32 v7, 20, v7
	v_and_b32_sdwa v20, sext(v6), s29 dst_sel:DWORD dst_unused:UNUSED_PAD src0_sel:BYTE_0 src1_sel:DWORD
	v_lshl_add_u32 v4, v4, 23, v21
	v_or3_b32 v4, v20, v4, v7
	v_pk_mov_b32 v[56:57], v[4:5], v[4:5] op_sel:[0,1]
.LBB237_368:                            ;   in Loop: Header=BB237_13 Depth=1
	s_or_b64 exec, exec, s[42:43]
.LBB237_369:                            ;   in Loop: Header=BB237_13 Depth=1
	s_or_b64 exec, exec, s[40:41]
.LBB237_370:                            ;   in Loop: Header=BB237_13 Depth=1
	s_or_b64 exec, exec, s[38:39]
	v_cmp_ne_u16_sdwa vcc, v6, v5 src0_sel:BYTE_1 src1_sel:DWORD
	s_and_saveexec_b64 s[38:39], vcc
	s_cbranch_execz .LBB237_376
; %bb.371:                              ;   in Loop: Header=BB237_13 Depth=1
	v_cmp_ne_u16_sdwa vcc, v6, s45 src0_sel:BYTE_1 src1_sel:DWORD
	v_pk_mov_b32 v[14:15], s[28:29], s[28:29] op_sel:[0,1]
	s_and_saveexec_b64 s[40:41], vcc
	s_cbranch_execz .LBB237_375
; %bb.372:                              ;   in Loop: Header=BB237_13 Depth=1
	v_and_b32_sdwa v7, v6, s46 dst_sel:DWORD dst_unused:UNUSED_PAD src0_sel:BYTE_1 src1_sel:DWORD
	s_mov_b32 s36, s28
	v_cmp_ne_u32_e32 vcc, s46, v7
	v_pk_mov_b32 v[14:15], s[36:37], s[36:37] op_sel:[0,1]
	s_and_saveexec_b64 s[42:43], vcc
	s_cbranch_execz .LBB237_374
; %bb.373:                              ;   in Loop: Header=BB237_13 Depth=1
	v_mov_b32_e32 v4, 7
	v_and_b32_sdwa v4, v6, v4 dst_sel:DWORD dst_unused:UNUSED_PAD src0_sel:BYTE_1 src1_sel:DWORD
	v_lshrrev_b32_e32 v20, 3, v7
	v_cmp_gt_u32_e32 vcc, 8, v7
	v_ffbh_u32_e32 v7, v4
	v_min_u32_e32 v7, 32, v7
	v_subrev_u32_e32 v14, 28, v7
	v_lshlrev_b64 v[14:15], v14, v[4:5]
	v_sub_u32_e32 v7, 29, v7
	v_and_b32_e32 v14, 7, v14
	v_cndmask_b32_e32 v7, v20, v7, vcc
	v_cndmask_b32_e32 v4, v4, v14, vcc
	v_bfrev_b32_e32 v14, 60
	v_lshlrev_b32_e32 v6, 16, v6
	v_lshl_add_u32 v7, v7, 23, v14
	v_and_or_b32 v6, v6, s29, v7
	v_lshlrev_b32_e32 v4, 20, v4
	v_or_b32_e32 v15, v6, v4
	v_mov_b32_e32 v14, v5
.LBB237_374:                            ;   in Loop: Header=BB237_13 Depth=1
	s_or_b64 exec, exec, s[42:43]
.LBB237_375:                            ;   in Loop: Header=BB237_13 Depth=1
	s_or_b64 exec, exec, s[40:41]
.LBB237_376:                            ;   in Loop: Header=BB237_13 Depth=1
	s_or_b64 exec, exec, s[38:39]
	v_add_co_u32_e32 v6, vcc, 0xe00, v2
	v_addc_co_u32_e32 v7, vcc, 0, v3, vcc
	flat_load_ushort v4, v[6:7] offset:8
	v_pk_mov_b32 v[2:3], 0, 0
	v_pk_mov_b32 v[24:25], v[2:3], v[2:3] op_sel:[0,1]
	s_waitcnt vmcnt(0) lgkmcnt(0)
	v_and_b32_e32 v28, 0xffff, v4
	v_cmp_ne_u16_sdwa vcc, v4, v5 src0_sel:BYTE_0 src1_sel:DWORD
	s_and_saveexec_b64 s[38:39], vcc
	s_cbranch_execz .LBB237_382
; %bb.377:                              ;   in Loop: Header=BB237_13 Depth=1
	v_bfrev_b32_e32 v24, 1
	v_cmp_ne_u16_sdwa vcc, v28, s45 src0_sel:BYTE_0 src1_sel:DWORD
	v_mov_b32_e32 v25, 0
	s_and_saveexec_b64 s[40:41], vcc
	s_cbranch_execz .LBB237_381
; %bb.378:                              ;   in Loop: Header=BB237_13 Depth=1
	v_and_b32_e32 v4, 0x7f, v28
	v_mov_b32_e32 v24, 0x7f800001
	v_cmp_ne_u32_e32 vcc, s46, v4
	v_mov_b32_e32 v25, 0
	s_and_saveexec_b64 s[42:43], vcc
	s_cbranch_execz .LBB237_380
; %bb.379:                              ;   in Loop: Header=BB237_13 Depth=1
	v_and_b32_e32 v20, 7, v28
	v_lshrrev_b32_e32 v21, 3, v4
	v_cmp_gt_u32_e32 vcc, 8, v4
	v_ffbh_u32_e32 v4, v20
	v_min_u32_e32 v4, 32, v4
	v_subrev_u32_e32 v24, 28, v4
	v_lshlrev_b64 v[24:25], v24, v[28:29]
	v_sub_u32_e32 v4, 29, v4
	v_and_b32_e32 v24, 7, v24
	v_cndmask_b32_e32 v4, v21, v4, vcc
	v_cndmask_b32_e32 v20, v20, v24, vcc
	v_bfrev_b32_e32 v24, 60
	v_lshlrev_b32_e32 v20, 20, v20
	v_and_b32_sdwa v21, sext(v28), s29 dst_sel:DWORD dst_unused:UNUSED_PAD src0_sel:BYTE_0 src1_sel:DWORD
	v_lshl_add_u32 v4, v4, 23, v24
	v_or3_b32 v4, v21, v4, v20
	v_pk_mov_b32 v[24:25], v[4:5], v[4:5] op_sel:[0,1]
.LBB237_380:                            ;   in Loop: Header=BB237_13 Depth=1
	s_or_b64 exec, exec, s[42:43]
.LBB237_381:                            ;   in Loop: Header=BB237_13 Depth=1
	s_or_b64 exec, exec, s[40:41]
.LBB237_382:                            ;   in Loop: Header=BB237_13 Depth=1
	s_or_b64 exec, exec, s[38:39]
	v_cmp_ne_u16_sdwa vcc, v28, v5 src0_sel:BYTE_1 src1_sel:DWORD
	s_and_saveexec_b64 s[38:39], vcc
	s_cbranch_execz .LBB237_388
; %bb.383:                              ;   in Loop: Header=BB237_13 Depth=1
	v_cmp_ne_u16_sdwa vcc, v28, s45 src0_sel:BYTE_1 src1_sel:DWORD
	v_pk_mov_b32 v[2:3], s[28:29], s[28:29] op_sel:[0,1]
	s_and_saveexec_b64 s[40:41], vcc
	s_cbranch_execz .LBB237_387
; %bb.384:                              ;   in Loop: Header=BB237_13 Depth=1
	v_and_b32_sdwa v29, v28, s46 dst_sel:DWORD dst_unused:UNUSED_PAD src0_sel:BYTE_1 src1_sel:DWORD
	s_mov_b32 s36, s28
	v_cmp_ne_u32_e32 vcc, s46, v29
	v_pk_mov_b32 v[2:3], s[36:37], s[36:37] op_sel:[0,1]
	s_and_saveexec_b64 s[42:43], vcc
	s_cbranch_execz .LBB237_386
; %bb.385:                              ;   in Loop: Header=BB237_13 Depth=1
	v_mov_b32_e32 v2, 7
	v_and_b32_sdwa v4, v28, v2 dst_sel:DWORD dst_unused:UNUSED_PAD src0_sel:BYTE_1 src1_sel:DWORD
	v_ffbh_u32_e32 v2, v4
	v_min_u32_e32 v21, 32, v2
	v_subrev_u32_e32 v2, 28, v21
	v_lshlrev_b64 v[2:3], v2, v[4:5]
	v_lshrrev_b32_e32 v20, 3, v29
	v_cmp_gt_u32_e32 vcc, 8, v29
	v_sub_u32_e32 v3, 29, v21
	v_and_b32_e32 v2, 7, v2
	v_cndmask_b32_e32 v3, v20, v3, vcc
	v_bfrev_b32_e32 v20, 60
	v_cndmask_b32_e32 v2, v4, v2, vcc
	v_lshlrev_b32_e32 v4, 16, v28
	v_lshl_add_u32 v3, v3, 23, v20
	v_and_or_b32 v3, v4, s29, v3
	v_lshlrev_b32_e32 v2, 20, v2
	v_or_b32_e32 v3, v3, v2
	v_mov_b32_e32 v2, v5
.LBB237_386:                            ;   in Loop: Header=BB237_13 Depth=1
	s_or_b64 exec, exec, s[42:43]
.LBB237_387:                            ;   in Loop: Header=BB237_13 Depth=1
	s_or_b64 exec, exec, s[40:41]
.LBB237_388:                            ;   in Loop: Header=BB237_13 Depth=1
	s_or_b64 exec, exec, s[38:39]
	flat_load_ushort v4, v[6:7] offset:12
	v_pk_mov_b32 v[6:7], 0, 0
	v_pk_mov_b32 v[28:29], v[6:7], v[6:7] op_sel:[0,1]
	s_waitcnt vmcnt(0) lgkmcnt(0)
	v_and_b32_e32 v36, 0xffff, v4
	v_cmp_ne_u16_sdwa vcc, v4, v5 src0_sel:BYTE_0 src1_sel:DWORD
	s_and_saveexec_b64 s[38:39], vcc
	s_cbranch_execz .LBB237_394
; %bb.389:                              ;   in Loop: Header=BB237_13 Depth=1
	v_bfrev_b32_e32 v28, 1
	v_cmp_ne_u16_sdwa vcc, v36, s45 src0_sel:BYTE_0 src1_sel:DWORD
	v_mov_b32_e32 v29, 0
	s_and_saveexec_b64 s[40:41], vcc
	s_cbranch_execz .LBB237_393
; %bb.390:                              ;   in Loop: Header=BB237_13 Depth=1
	v_and_b32_e32 v4, 0x7f, v36
	v_mov_b32_e32 v28, 0x7f800001
	v_cmp_ne_u32_e32 vcc, s46, v4
	v_mov_b32_e32 v29, 0
	s_and_saveexec_b64 s[42:43], vcc
	s_cbranch_execz .LBB237_392
; %bb.391:                              ;   in Loop: Header=BB237_13 Depth=1
	v_and_b32_e32 v20, 7, v36
	v_lshrrev_b32_e32 v21, 3, v4
	v_cmp_gt_u32_e32 vcc, 8, v4
	v_ffbh_u32_e32 v4, v20
	v_min_u32_e32 v4, 32, v4
	v_subrev_u32_e32 v28, 28, v4
	v_lshlrev_b64 v[28:29], v28, v[36:37]
	v_sub_u32_e32 v4, 29, v4
	v_and_b32_e32 v28, 7, v28
	v_cndmask_b32_e32 v4, v21, v4, vcc
	v_cndmask_b32_e32 v20, v20, v28, vcc
	v_bfrev_b32_e32 v28, 60
	v_lshlrev_b32_e32 v20, 20, v20
	v_and_b32_sdwa v21, sext(v36), s29 dst_sel:DWORD dst_unused:UNUSED_PAD src0_sel:BYTE_0 src1_sel:DWORD
	v_lshl_add_u32 v4, v4, 23, v28
	v_or3_b32 v4, v21, v4, v20
	v_pk_mov_b32 v[28:29], v[4:5], v[4:5] op_sel:[0,1]
.LBB237_392:                            ;   in Loop: Header=BB237_13 Depth=1
	s_or_b64 exec, exec, s[42:43]
.LBB237_393:                            ;   in Loop: Header=BB237_13 Depth=1
	s_or_b64 exec, exec, s[40:41]
.LBB237_394:                            ;   in Loop: Header=BB237_13 Depth=1
	s_or_b64 exec, exec, s[38:39]
	v_accvgpr_write_b32 a39, v48
	v_cmp_ne_u16_sdwa vcc, v36, v5 src0_sel:BYTE_1 src1_sel:DWORD
	s_and_saveexec_b64 s[38:39], vcc
	s_cbranch_execz .LBB237_400
; %bb.395:                              ;   in Loop: Header=BB237_13 Depth=1
	v_cmp_ne_u16_sdwa vcc, v36, s45 src0_sel:BYTE_1 src1_sel:DWORD
	v_pk_mov_b32 v[6:7], s[28:29], s[28:29] op_sel:[0,1]
	s_and_saveexec_b64 s[40:41], vcc
	s_cbranch_execz .LBB237_399
; %bb.396:                              ;   in Loop: Header=BB237_13 Depth=1
	v_mov_b32_e32 v48, v47
	v_and_b32_sdwa v47, v36, s46 dst_sel:DWORD dst_unused:UNUSED_PAD src0_sel:BYTE_1 src1_sel:DWORD
	s_mov_b32 s36, s28
	v_cmp_ne_u32_e32 vcc, s46, v47
	v_pk_mov_b32 v[6:7], s[36:37], s[36:37] op_sel:[0,1]
	s_and_saveexec_b64 s[42:43], vcc
	s_cbranch_execz .LBB237_398
; %bb.397:                              ;   in Loop: Header=BB237_13 Depth=1
	v_mov_b32_e32 v4, 7
	v_and_b32_sdwa v4, v36, v4 dst_sel:DWORD dst_unused:UNUSED_PAD src0_sel:BYTE_1 src1_sel:DWORD
	v_ffbh_u32_e32 v6, v4
	v_min_u32_e32 v21, 32, v6
	v_subrev_u32_e32 v6, 28, v21
	v_lshlrev_b64 v[6:7], v6, v[4:5]
	v_lshrrev_b32_e32 v20, 3, v47
	v_cmp_gt_u32_e32 vcc, 8, v47
	v_sub_u32_e32 v7, 29, v21
	v_and_b32_e32 v6, 7, v6
	v_cndmask_b32_e32 v7, v20, v7, vcc
	v_bfrev_b32_e32 v20, 60
	v_cndmask_b32_e32 v4, v4, v6, vcc
	v_lshlrev_b32_e32 v6, 16, v36
	v_lshl_add_u32 v7, v7, 23, v20
	v_and_or_b32 v6, v6, s29, v7
	v_lshlrev_b32_e32 v4, 20, v4
	v_or_b32_e32 v7, v6, v4
	v_mov_b32_e32 v6, v5
.LBB237_398:                            ;   in Loop: Header=BB237_13 Depth=1
	s_or_b64 exec, exec, s[42:43]
	v_mov_b32_e32 v47, v48
.LBB237_399:                            ;   in Loop: Header=BB237_13 Depth=1
	s_or_b64 exec, exec, s[40:41]
.LBB237_400:                            ;   in Loop: Header=BB237_13 Depth=1
	s_or_b64 exec, exec, s[38:39]
	v_or_b32_e32 v21, v17, v19
	v_or_b32_e32 v20, v16, v18
	buffer_load_dword v48, off, s[0:3], s32 offset:224 ; 4-byte Folded Reload
	buffer_load_dword v49, off, s[0:3], s32 offset:228 ; 4-byte Folded Reload
	;; [unrolled: 1-line block ×4, first 2 shown]
	v_pk_mul_f32 v[20:21], v[12:13], v[20:21] op_sel_hi:[0,1]
	v_or_b32_e32 v31, v39, v31
	v_or_b32_e32 v30, v38, v30
	;; [unrolled: 1-line block ×4, first 2 shown]
	v_accvgpr_read_b32 v8, a26
	v_accvgpr_read_b32 v9, a27
	v_or_b32_e32 v33, v33, v35
	v_or_b32_e32 v32, v32, v34
	v_or_b32_e32 v35, v53, v9
	v_or_b32_e32 v34, v52, v8
	v_accvgpr_read_b32 v8, a28
	v_accvgpr_read_b32 v9, a29
	v_or_b32_e32 v23, v51, v23
	v_or_b32_e32 v22, v50, v22
	;; [unrolled: 1-line block ×10, first 2 shown]
	v_pk_mul_f32 v[10:11], v[12:13], v[24:25] op_sel_hi:[0,1]
	v_pk_mul_f32 v[6:7], v[12:13], v[6:7] op_sel_hi:[0,1]
	s_waitcnt vmcnt(0)
	v_or_b32_e32 v49, v17, v49
	v_or_b32_e32 v48, v16, v48
	buffer_load_dword v16, off, s[0:3], s32 offset:452 ; 4-byte Folded Reload
	buffer_load_dword v17, off, s[0:3], s32 offset:456 ; 4-byte Folded Reload
	;; [unrolled: 1-line block ×4, first 2 shown]
	s_waitcnt vmcnt(1)
	v_mul_f32_e32 v4, v18, v20
	s_waitcnt vmcnt(0)
	v_mul_f32_e32 v36, v19, v21
	v_pk_mul_f32 v[20:21], v[12:13], v[48:49] op_sel_hi:[0,1]
	v_fmac_f32_e32 v4, v16, v20
	v_fmac_f32_e32 v36, v17, v21
	buffer_load_dword v16, off, s[0:3], s32 offset:264 ; 4-byte Folded Reload
	buffer_load_dword v17, off, s[0:3], s32 offset:268 ; 4-byte Folded Reload
	;; [unrolled: 1-line block ×4, first 2 shown]
	s_waitcnt vmcnt(0)
	v_or_b32_e32 v21, v17, v19
	v_or_b32_e32 v20, v16, v18
	buffer_load_dword v16, off, s[0:3], s32 offset:248 ; 4-byte Folded Reload
	buffer_load_dword v17, off, s[0:3], s32 offset:252 ; 4-byte Folded Reload
	;; [unrolled: 1-line block ×4, first 2 shown]
	v_pk_mul_f32 v[20:21], v[12:13], v[20:21] op_sel_hi:[0,1]
	s_waitcnt vmcnt(0)
	v_or_b32_e32 v49, v17, v19
	v_or_b32_e32 v48, v16, v18
	buffer_load_dword v16, off, s[0:3], s32 offset:436 ; 4-byte Folded Reload
	buffer_load_dword v17, off, s[0:3], s32 offset:440 ; 4-byte Folded Reload
	;; [unrolled: 1-line block ×4, first 2 shown]
	v_pk_mul_f32 v[48:49], v[12:13], v[48:49] op_sel_hi:[0,1]
	s_waitcnt vmcnt(3)
	v_fmac_f32_e32 v4, v16, v48
	s_waitcnt vmcnt(2)
	v_fmac_f32_e32 v36, v17, v49
	;; [unrolled: 2-line block ×4, first 2 shown]
	buffer_load_dword v16, off, s[0:3], s32 offset:296 ; 4-byte Folded Reload
	buffer_load_dword v17, off, s[0:3], s32 offset:300 ; 4-byte Folded Reload
	;; [unrolled: 1-line block ×4, first 2 shown]
	s_waitcnt vmcnt(0)
	v_or_b32_e32 v21, v17, v19
	v_or_b32_e32 v20, v16, v18
	buffer_load_dword v16, off, s[0:3], s32 offset:280 ; 4-byte Folded Reload
	buffer_load_dword v17, off, s[0:3], s32 offset:284 ; 4-byte Folded Reload
	;; [unrolled: 1-line block ×4, first 2 shown]
	v_pk_mul_f32 v[20:21], v[12:13], v[20:21] op_sel_hi:[0,1]
	s_waitcnt vmcnt(0)
	v_or_b32_e32 v49, v17, v19
	v_or_b32_e32 v48, v16, v18
	buffer_load_dword v16, off, s[0:3], s32 offset:420 ; 4-byte Folded Reload
	buffer_load_dword v17, off, s[0:3], s32 offset:424 ; 4-byte Folded Reload
	;; [unrolled: 1-line block ×4, first 2 shown]
	v_pk_mul_f32 v[48:49], v[12:13], v[48:49] op_sel_hi:[0,1]
	s_waitcnt vmcnt(3)
	v_fmac_f32_e32 v4, v16, v48
	s_waitcnt vmcnt(2)
	v_fmac_f32_e32 v36, v17, v49
	;; [unrolled: 2-line block ×4, first 2 shown]
	v_accvgpr_read_b32 v16, a24
	v_accvgpr_read_b32 v19, a3
	;; [unrolled: 1-line block ×4, first 2 shown]
	v_or_b32_e32 v21, v17, v19
	v_or_b32_e32 v20, v16, v18
	buffer_load_dword v18, off, s[0:3], s32 offset:304 ; 4-byte Folded Reload
	buffer_load_dword v19, off, s[0:3], s32 offset:308 ; 4-byte Folded Reload
	v_accvgpr_read_b32 v16, a20
	v_accvgpr_read_b32 v17, a21
	v_pk_mul_f32 v[20:21], v[12:13], v[20:21] op_sel_hi:[0,1]
	s_waitcnt vmcnt(0)
	v_or_b32_e32 v49, v17, v19
	v_or_b32_e32 v48, v16, v18
	buffer_load_dword v16, off, s[0:3], s32 offset:404 ; 4-byte Folded Reload
	buffer_load_dword v17, off, s[0:3], s32 offset:408 ; 4-byte Folded Reload
	buffer_load_dword v18, off, s[0:3], s32 offset:412 ; 4-byte Folded Reload
	buffer_load_dword v19, off, s[0:3], s32 offset:416 ; 4-byte Folded Reload
	v_pk_mul_f32 v[48:49], v[12:13], v[48:49] op_sel_hi:[0,1]
	s_waitcnt vmcnt(3)
	v_fmac_f32_e32 v4, v16, v48
	s_waitcnt vmcnt(2)
	v_fmac_f32_e32 v36, v17, v49
	s_waitcnt vmcnt(1)
	v_fmac_f32_e32 v4, v18, v20
	s_waitcnt vmcnt(0)
	v_fmac_f32_e32 v36, v19, v21
	v_accvgpr_read_b32 v16, a16
	v_accvgpr_read_b32 v18, a36
	v_accvgpr_read_b32 v17, a17
	v_accvgpr_read_b32 v19, a37
	v_or_b32_e32 v21, v17, v19
	v_or_b32_e32 v20, v16, v18
	v_accvgpr_read_b32 v17, a1
	v_accvgpr_read_b32 v18, a18
	v_accvgpr_read_b32 v16, a0
	v_accvgpr_read_b32 v19, a19
	v_or_b32_e32 v49, v17, v19
	v_or_b32_e32 v48, v16, v18
	buffer_load_dword v16, off, s[0:3], s32 offset:388 ; 4-byte Folded Reload
	buffer_load_dword v17, off, s[0:3], s32 offset:392 ; 4-byte Folded Reload
	buffer_load_dword v18, off, s[0:3], s32 offset:396 ; 4-byte Folded Reload
	buffer_load_dword v19, off, s[0:3], s32 offset:400 ; 4-byte Folded Reload
	v_pk_mul_f32 v[48:49], v[12:13], v[48:49] op_sel_hi:[0,1]
	v_pk_mul_f32 v[20:21], v[12:13], v[20:21] op_sel_hi:[0,1]
	s_waitcnt vmcnt(3)
	v_fmac_f32_e32 v4, v16, v48
	s_waitcnt vmcnt(2)
	v_fmac_f32_e32 v36, v17, v49
	s_waitcnt vmcnt(1)
	v_fmac_f32_e32 v4, v18, v20
	s_waitcnt vmcnt(0)
	v_fmac_f32_e32 v36, v19, v21
	v_accvgpr_read_b32 v17, a5
	v_accvgpr_read_b32 v18, a42
	v_accvgpr_read_b32 v16, a4
	v_accvgpr_read_b32 v19, a43
	v_or_b32_e32 v21, v17, v19
	v_or_b32_e32 v20, v16, v18
	v_accvgpr_read_b32 v16, a34
	v_accvgpr_read_b32 v19, a7
	v_accvgpr_read_b32 v17, a35
	v_accvgpr_read_b32 v18, a6
	v_or_b32_e32 v49, v17, v19
	v_or_b32_e32 v48, v16, v18
	buffer_load_dword v16, off, s[0:3], s32 offset:372 ; 4-byte Folded Reload
	buffer_load_dword v17, off, s[0:3], s32 offset:376 ; 4-byte Folded Reload
	buffer_load_dword v18, off, s[0:3], s32 offset:380 ; 4-byte Folded Reload
	buffer_load_dword v19, off, s[0:3], s32 offset:384 ; 4-byte Folded Reload
	v_pk_mul_f32 v[48:49], v[12:13], v[48:49] op_sel_hi:[0,1]
	;; [unrolled: 26-line block ×4, first 2 shown]
	v_pk_mul_f32 v[20:21], v[12:13], v[20:21] op_sel_hi:[0,1]
	s_waitcnt vmcnt(3)
	v_fmac_f32_e32 v4, v16, v48
	s_waitcnt vmcnt(2)
	v_fmac_f32_e32 v36, v17, v49
	v_or_b32_e32 v49, v41, v9
	v_or_b32_e32 v48, v40, v8
	v_accvgpr_read_b32 v8, a22
	v_accvgpr_read_b32 v9, a23
	v_or_b32_e32 v51, v1, v9
	v_or_b32_e32 v50, v0, v8
	v_pk_mul_f32 v[16:17], v[12:13], v[30:31] op_sel_hi:[0,1]
	v_pk_mul_f32 v[30:31], v[12:13], v[50:51] op_sel_hi:[0,1]
	buffer_load_dword v50, off, s[0:3], s32 offset:552 ; 4-byte Folded Reload
	v_accvgpr_read_b32 v0, a30
	v_accvgpr_read_b32 v8, a44
	v_accvgpr_read_b32 v1, a31
	v_accvgpr_read_b32 v9, a45
	v_or_b32_e32 v55, v1, v9
	v_or_b32_e32 v54, v0, v8
	v_accvgpr_read_b32 v0, a62
	v_accvgpr_read_b32 v8, a32
	v_accvgpr_read_b32 v1, a63
	v_accvgpr_read_b32 v9, a33
	v_or_b32_e32 v53, v1, v9
	v_or_b32_e32 v52, v0, v8
	;; [unrolled: 6-line block ×3, first 2 shown]
	v_accvgpr_read_b32 v0, a54
	v_accvgpr_read_b32 v8, a60
	;; [unrolled: 1-line block ×4, first 2 shown]
	s_waitcnt vmcnt(2)
	v_fmac_f32_e32 v4, v18, v20
	s_waitcnt vmcnt(1)
	v_fmac_f32_e32 v36, v19, v21
	v_or_b32_e32 v21, v43, v45
	v_or_b32_e32 v20, v42, v44
	;; [unrolled: 1-line block ×4, first 2 shown]
	v_pk_mul_f32 v[0:1], v[12:13], v[2:3] op_sel_hi:[0,1]
	v_pk_mul_f32 v[2:3], v[12:13], v[14:15] op_sel_hi:[0,1]
	;; [unrolled: 1-line block ×12, first 2 shown]
	s_waitcnt vmcnt(0)
	v_and_b32_e32 v29, 64, v50
	v_xor_b32_e32 v28, 1, v50
	v_add_u32_e32 v29, 64, v29
	v_cmp_lt_i32_e32 vcc, v28, v29
	v_cndmask_b32_e32 v28, v50, v28, vcc
	buffer_load_dword v50, off, s[0:3], s32 offset:516 ; 4-byte Folded Reload
	buffer_load_dword v51, off, s[0:3], s32 offset:520 ; 4-byte Folded Reload
	;; [unrolled: 1-line block ×4, first 2 shown]
	v_lshlrev_b32_e32 v12, 2, v28
	s_waitcnt vmcnt(3)
	v_fmac_f32_e32 v4, v50, v48
	s_waitcnt vmcnt(2)
	v_fmac_f32_e32 v36, v51, v49
	buffer_load_dword v48, off, s[0:3], s32 offset:500 ; 4-byte Folded Reload
	buffer_load_dword v49, off, s[0:3], s32 offset:504 ; 4-byte Folded Reload
	;; [unrolled: 1-line block ×4, first 2 shown]
	s_waitcnt vmcnt(5)
	v_fmac_f32_e32 v4, v52, v38
	s_waitcnt vmcnt(4)
	v_fmac_f32_e32 v36, v53, v39
	;; [unrolled: 2-line block ×6, first 2 shown]
	buffer_load_dword v32, off, s[0:3], s32 offset:484 ; 4-byte Folded Reload
	buffer_load_dword v33, off, s[0:3], s32 offset:488 ; 4-byte Folded Reload
	buffer_load_dword v34, off, s[0:3], s32 offset:492 ; 4-byte Folded Reload
	buffer_load_dword v35, off, s[0:3], s32 offset:496 ; 4-byte Folded Reload
	v_accvgpr_read_b32 v48, a39
	s_waitcnt vmcnt(3)
	v_fmac_f32_e32 v4, v32, v30
	s_waitcnt vmcnt(2)
	v_fmac_f32_e32 v36, v33, v31
	buffer_load_dword v28, off, s[0:3], s32 offset:468 ; 4-byte Folded Reload
	buffer_load_dword v29, off, s[0:3], s32 offset:472 ; 4-byte Folded Reload
	;; [unrolled: 1-line block ×4, first 2 shown]
	s_waitcnt vmcnt(5)
	v_fmac_f32_e32 v4, v34, v24
	s_waitcnt vmcnt(4)
	v_fmac_f32_e32 v36, v35, v25
	;; [unrolled: 2-line block ×5, first 2 shown]
	ds_read2_b64 v[22:25], v48 offset0:25 offset1:26
	s_waitcnt vmcnt(0)
	v_fmac_f32_e32 v36, v31, v21
	buffer_load_dword v20, off, s[0:3], s32 offset:332 ; 4-byte Folded Reload
	buffer_load_dword v21, off, s[0:3], s32 offset:336 ; 4-byte Folded Reload
	s_waitcnt vmcnt(1)
	v_fmac_f32_e32 v4, v20, v18
	s_waitcnt vmcnt(0)
	v_fmac_f32_e32 v36, v21, v19
	ds_read2_b64 v[18:21], v48 offset0:27 offset1:28
	s_waitcnt lgkmcnt(1)
	v_fmac_f32_e32 v4, v22, v16
	v_fmac_f32_e32 v36, v23, v17
	;; [unrolled: 1-line block ×4, first 2 shown]
	ds_read2_b64 v[14:17], v48 offset0:29 offset1:30
	s_waitcnt lgkmcnt(1)
	v_fmac_f32_e32 v4, v18, v10
	v_fmac_f32_e32 v36, v19, v11
	;; [unrolled: 1-line block ×4, first 2 shown]
	ds_read_b64 v[8:9], v48 offset:248
	s_waitcnt lgkmcnt(1)
	v_fmac_f32_e32 v4, v14, v2
	v_fmac_f32_e32 v36, v15, v3
	;; [unrolled: 1-line block ×4, first 2 shown]
	s_waitcnt lgkmcnt(0)
	v_fmac_f32_e32 v4, v8, v6
	v_fmac_f32_e32 v36, v9, v7
	v_add_f32_e32 v0, v4, v36
	ds_bpermute_b32 v1, v12, v0
	s_and_saveexec_b64 s[38:39], s[8:9]
	s_cbranch_execz .LBB237_11
; %bb.401:                              ;   in Loop: Header=BB237_13 Depth=1
	buffer_load_dword v2, off, s[0:3], s32 offset:568 ; 4-byte Folded Reload
	buffer_load_dword v4, off, s[0:3], s32 offset:564 ; 4-byte Folded Reload
	s_load_dword vcc_lo, s[30:31], 0x0
	v_add_u32_e32 v3, v47, v37
	s_waitcnt lgkmcnt(0)
	v_add_f32_e32 v0, v0, v1
	s_waitcnt vmcnt(1)
	v_add_u32_e32 v2, v2, v37
	v_cvt_f32_i32_e32 v2, v2
	s_waitcnt vmcnt(0)
	v_mul_f32_e32 v2, v4, v2
	v_cndmask_b32_e64 v2, 0, v2, s[10:11]
	v_add_u32_e32 v4, vcc_lo, v58
	v_fmac_f32_e32 v2, v0, v13
	v_cmp_lt_i32_e32 vcc, v3, v62
	v_cndmask_b32_e32 v0, 0, v2, vcc
	ds_write_b32 v4, v0
	v_max_f32_e32 v0, v59, v59
	v_max_f32_e32 v0, v0, v2
	v_cndmask_b32_e32 v59, v59, v0, vcc
	s_branch .LBB237_11
.LBB237_402:
	s_or_b64 exec, exec, s[34:35]
	buffer_load_dword v15, off, s[0:3], s32 offset:648 ; 4-byte Folded Reload
	buffer_load_dword v14, off, s[0:3], s32 offset:640 ; 4-byte Folded Reload
	;; [unrolled: 1-line block ×17, first 2 shown]
	v_mbcnt_lo_u32_b32 v4, -1, 0
.LBB237_403:
	s_or_b64 exec, exec, s[26:27]
	v_mbcnt_hi_u32_b32 v2, -1, v4
	v_and_b32_e32 v0, 64, v2
	v_add_u32_e32 v3, 64, v0
	v_xor_b32_e32 v0, 32, v2
	v_cmp_lt_i32_e32 vcc, v0, v3
	v_cndmask_b32_e32 v0, v2, v0, vcc
	v_lshlrev_b32_e32 v0, 2, v0
	s_waitcnt lgkmcnt(0)
	ds_bpermute_b32 v1, v0, v59
	v_xor_b32_e32 v5, 16, v2
	v_max_f32_e32 v4, v59, v59
	v_cmp_lt_i32_e32 vcc, v5, v3
	v_xor_b32_e32 v6, 8, v2
	s_waitcnt lgkmcnt(0)
	v_max_f32_e32 v1, v1, v1
	v_max_f32_e32 v4, v4, v1
	v_cndmask_b32_e32 v1, v2, v5, vcc
	v_lshlrev_b32_e32 v1, 2, v1
	ds_bpermute_b32 v5, v1, v4
	v_cmp_lt_i32_e32 vcc, v6, v3
	v_xor_b32_e32 v7, 4, v2
	s_lshr_b32 s30, s44, 16
	s_waitcnt lgkmcnt(0)
	v_max_f32_e32 v5, v5, v5
	v_max_f32_e32 v5, v4, v5
	v_cndmask_b32_e32 v4, v2, v6, vcc
	v_lshlrev_b32_e32 v4, 2, v4
	ds_bpermute_b32 v6, v4, v5
	v_cmp_lt_i32_e32 vcc, v7, v3
	s_waitcnt lgkmcnt(0)
	v_max_f32_e32 v6, v6, v6
	v_max_f32_e32 v5, v5, v6
	v_cndmask_b32_e32 v6, v2, v7, vcc
	v_lshlrev_b32_e32 v21, 2, v6
	ds_bpermute_b32 v6, v21, v5
	v_xor_b32_e32 v7, 2, v2
	v_cmp_lt_i32_e32 vcc, v7, v3
	s_waitcnt lgkmcnt(0)
	v_max_f32_e32 v6, v6, v6
	v_max_f32_e32 v6, v5, v6
	v_cndmask_b32_e32 v5, v2, v7, vcc
	v_lshlrev_b32_e32 v28, 2, v5
	buffer_load_dword v5, off, s[0:3], s32 offset:532 ; 4-byte Folded Reload
	ds_bpermute_b32 v7, v28, v6
	s_waitcnt vmcnt(0)
	v_and_b32_e32 v61, 63, v5
	v_cmp_eq_u32_e32 vcc, 0, v61
	v_lshlrev_b32_e32 v5, 2, v25
	s_and_saveexec_b64 s[8:9], vcc
	s_cbranch_execz .LBB237_405
; %bb.404:
	s_waitcnt lgkmcnt(0)
	v_max_f32_e32 v7, v7, v7
	v_max_f32_e32 v6, v6, v6
	;; [unrolled: 1-line block ×3, first 2 shown]
	ds_write_b32 v5, v6 offset:512
.LBB237_405:
	s_or_b64 exec, exec, s[8:9]
	v_cmp_gt_u32_e64 s[8:9], 2, v61
	s_waitcnt lgkmcnt(0)
	v_mov_b32_e32 v7, 0xff7fffff
	v_lshlrev_b32_e32 v6, 2, v61
	s_barrier
	s_and_saveexec_b64 s[10:11], s[8:9]
	s_cbranch_execz .LBB237_407
; %bb.406:
	ds_read_b32 v7, v6 offset:512
.LBB237_407:
	s_or_b64 exec, exec, s[10:11]
	v_xor_b32_e32 v8, 1, v2
	v_cmp_lt_i32_e64 s[10:11], v8, v3
	v_cndmask_b32_e64 v3, v2, v8, s[10:11]
	buffer_load_dword v8, off, s[0:3], s32 offset:212 ; 4-byte Folded Reload
	v_lshlrev_b32_e32 v29, 2, v3
	s_waitcnt lgkmcnt(0)
	ds_bpermute_b32 v3, v29, v7
	v_max_f32_e32 v7, v7, v7
	v_lshlrev_b32_e32 v2, 2, v2
	s_waitcnt lgkmcnt(0)
	v_max_f32_e32 v3, v3, v3
	v_max_f32_e32 v3, v7, v3
	s_waitcnt vmcnt(0)
	v_subrev_u32_e32 v8, s21, v8
	v_lshl_add_u32 v9, v8, 5, s25
	v_min_i32_e32 v7, v9, v62
	buffer_load_dword v9, off, s[0:3], s32 offset:532 ; 4-byte Folded Reload
	v_and_b32_e32 v8, 0x100, v2
	ds_bpermute_b32 v2, v8, v3
	v_subrev_u32_e32 v3, s25, v7
	s_waitcnt vmcnt(0)
	v_cmp_lt_i32_e64 s[10:11], v9, v3
	v_mov_b32_e32 v9, 0
	s_and_saveexec_b64 s[26:27], s[10:11]
	s_cbranch_execz .LBB237_411
; %bb.408:
	buffer_load_dword v11, off, s[0:3], s32 offset:532 ; 4-byte Folded Reload
	s_ashr_i32 s23, s22, 31
	s_lshl_b64 s[16:17], s[22:23], 2
	s_getpc_b64 s[28:29]
	s_add_u32 s28, s28, llvm.amdgcn.dynlds.offset.table@rel32@lo+4
	s_addc_u32 s29, s29, llvm.amdgcn.dynlds.offset.table@rel32@hi+12
	s_add_u32 s16, s16, s28
	s_addc_u32 s17, s17, s29
	s_load_dword s16, s[16:17], 0x0
	s_mov_b64 s[28:29], 0
	v_mov_b32_e32 v9, 0
	s_waitcnt vmcnt(0) lgkmcnt(0)
	v_lshl_add_u32 v10, v11, 2, s16
.LBB237_409:                            ; =>This Inner Loop Header: Depth=1
	ds_read_b32 v12, v10
	v_add_u32_e32 v11, 0x80, v11
	v_cmp_ge_i32_e64 s[16:17], v11, v3
	s_or_b64 s[28:29], s[16:17], s[28:29]
	s_waitcnt lgkmcnt(0)
	v_sub_f32_e32 v12, v12, v2
	v_mul_f32_e32 v12, 0x3fb8aa3b, v12
	v_exp_f32_e32 v12, v12
	ds_write_b32 v10, v12
	v_add_f32_e32 v9, v9, v12
	v_add_u32_e32 v10, 0x200, v10
	s_andn2_b64 exec, exec, s[28:29]
	s_cbranch_execnz .LBB237_409
; %bb.410:
	s_or_b64 exec, exec, s[28:29]
.LBB237_411:
	s_or_b64 exec, exec, s[26:27]
	ds_bpermute_b32 v0, v0, v9
	s_waitcnt lgkmcnt(0)
	v_add_f32_e32 v0, v9, v0
	ds_bpermute_b32 v1, v1, v0
	s_waitcnt lgkmcnt(0)
	v_add_f32_e32 v0, v0, v1
	;; [unrolled: 3-line block ×6, first 2 shown]
	s_and_saveexec_b64 s[16:17], vcc
	s_cbranch_execz .LBB237_413
; %bb.412:
	ds_write_b32 v5, v0 offset:520
.LBB237_413:
	s_or_b64 exec, exec, s[16:17]
	s_waitcnt lgkmcnt(0)
	s_barrier
	s_and_saveexec_b64 s[16:17], s[8:9]
	s_cbranch_execz .LBB237_415
; %bb.414:
	ds_read_b32 v0, v6 offset:520
.LBB237_415:
	s_or_b64 exec, exec, s[16:17]
	s_waitcnt lgkmcnt(0)
	ds_bpermute_b32 v1, v29, v0
	s_waitcnt lgkmcnt(0)
	v_add_f32_e32 v0, v0, v1
	ds_bpermute_b32 v4, v8, v0
	s_and_saveexec_b64 s[8:9], s[10:11]
	s_cbranch_execz .LBB237_428
; %bb.416:
	s_waitcnt lgkmcnt(0)
	v_add_f32_e32 v0, 0x358637bd, v4
	v_div_scale_f32 v1, s[10:11], v0, v0, 1.0
	v_rcp_f32_e32 v5, v1
	v_div_scale_f32 v6, vcc, 1.0, v0, 1.0
	s_movk_i32 s10, 0x7f
	v_fma_f32 v8, -v1, v5, 1.0
	v_fmac_f32_e32 v5, v8, v5
	v_mul_f32_e32 v8, v6, v5
	v_fma_f32 v9, -v1, v8, v6
	v_fmac_f32_e32 v8, v9, v5
	v_fma_f32 v1, -v1, v8, v6
	buffer_load_dword v6, off, s[0:3], s32 offset:532 ; 4-byte Folded Reload
	v_div_fmas_f32 v1, v1, v5, v8
	v_div_fixup_f32 v0, v1, v0, 1.0
	s_mov_b64 s[16:17], -1
	s_waitcnt vmcnt(0)
	v_xad_u32 v1, v6, -1, v7
	v_subrev_u32_e32 v5, s25, v1
	v_cmp_lt_u32_e32 vcc, s10, v5
	v_mov_b32_e32 v1, v6
	s_and_saveexec_b64 s[10:11], vcc
	s_cbranch_execz .LBB237_425
; %bb.417:
	v_lshrrev_b32_e32 v5, 7, v5
	v_add_u32_e32 v7, -1, v5
	v_lshrrev_b32_e32 v6, 1, v7
	v_mov_b32_e32 v1, v0
	v_add_u32_e32 v6, 1, v6
	v_cmp_lt_u32_e32 vcc, 13, v7
	v_mov_b32_e32 v9, 0
	s_and_saveexec_b64 s[16:17], vcc
	s_cbranch_execz .LBB237_421
; %bb.418:
	buffer_load_dword v8, off, s[0:3], s32 offset:532 ; 4-byte Folded Reload
	s_ashr_i32 s23, s22, 31
	s_lshl_b64 s[26:27], s[22:23], 2
	s_getpc_b64 s[28:29]
	s_add_u32 s28, s28, llvm.amdgcn.dynlds.offset.table@rel32@lo+4
	s_addc_u32 s29, s29, llvm.amdgcn.dynlds.offset.table@rel32@hi+12
	s_add_u32 s26, s26, s28
	s_addc_u32 s27, s27, s29
	s_load_dword s23, s[26:27], 0x0
	v_and_b32_e32 v7, -8, v6
	s_mov_b32 s21, 0
	s_mov_b64 s[26:27], 0
	s_waitcnt vmcnt(0) lgkmcnt(0)
	v_lshl_add_u32 v8, v8, 2, s23
.LBB237_419:                            ; =>This Inner Loop Header: Depth=1
	ds_read2st64_b32 v[10:11], v8 offset1:2
	ds_read2st64_b32 v[12:13], v8 offset0:4 offset1:6
	ds_read2st64_b32 v[18:19], v8 offset0:8 offset1:10
	;; [unrolled: 1-line block ×3, first 2 shown]
	v_add_u32_e32 v7, -8, v7
	s_waitcnt lgkmcnt(3)
	v_pk_mul_f32 v[10:11], v[0:1], v[10:11]
	s_waitcnt lgkmcnt(2)
	v_pk_mul_f32 v[12:13], v[0:1], v[12:13]
	ds_write2st64_b32 v8, v10, v11 offset1:2
	ds_write2st64_b32 v8, v12, v13 offset0:4 offset1:6
	ds_read2st64_b32 v[12:13], v8 offset0:16 offset1:18
	s_waitcnt lgkmcnt(4)
	v_pk_mul_f32 v[10:11], v[0:1], v[18:19]
	ds_write2st64_b32 v8, v10, v11 offset0:8 offset1:10
	s_waitcnt lgkmcnt(4)
	v_pk_mul_f32 v[10:11], v[0:1], v[16:17]
	ds_write2st64_b32 v8, v10, v11 offset0:12 offset1:14
	ds_read2st64_b32 v[10:11], v8 offset0:20 offset1:22
	s_waitcnt lgkmcnt(3)
	v_pk_mul_f32 v[12:13], v[0:1], v[12:13]
	ds_read2st64_b32 v[16:17], v8 offset0:24 offset1:26
	ds_write2st64_b32 v8, v12, v13 offset0:16 offset1:18
	ds_read2st64_b32 v[12:13], v8 offset0:28 offset1:30
	s_waitcnt lgkmcnt(3)
	v_pk_mul_f32 v[10:11], v[0:1], v[10:11]
	ds_write2st64_b32 v8, v10, v11 offset0:20 offset1:22
	s_waitcnt lgkmcnt(3)
	v_pk_mul_f32 v[10:11], v[0:1], v[16:17]
	ds_write2st64_b32 v8, v10, v11 offset0:24 offset1:26
	s_waitcnt lgkmcnt(2)
	v_pk_mul_f32 v[10:11], v[0:1], v[12:13]
	s_add_i32 s21, s21, 16
	v_cmp_eq_u32_e32 vcc, 0, v7
	ds_write2st64_b32 v8, v10, v11 offset0:28 offset1:30
	v_add_u32_e32 v8, 0x2000, v8
	s_or_b64 s[26:27], vcc, s[26:27]
	v_mov_b32_e32 v9, s21
	s_andn2_b64 exec, exec, s[26:27]
	s_cbranch_execnz .LBB237_419
; %bb.420:
	s_or_b64 exec, exec, s[26:27]
.LBB237_421:
	s_or_b64 exec, exec, s[16:17]
	v_and_b32_e32 v6, 7, v6
	v_cmp_ne_u32_e32 vcc, 0, v6
	s_and_saveexec_b64 s[16:17], vcc
	s_cbranch_execz .LBB237_424
; %bb.422:
	s_ashr_i32 s23, s22, 31
	s_lshl_b64 s[26:27], s[22:23], 2
	s_getpc_b64 s[28:29]
	s_add_u32 s28, s28, llvm.amdgcn.dynlds.offset.table@rel32@lo+4
	s_addc_u32 s29, s29, llvm.amdgcn.dynlds.offset.table@rel32@hi+12
	s_add_u32 s26, s26, s28
	s_addc_u32 s27, s27, s29
	s_load_dword s21, s[26:27], 0x0
	v_lshlrev_b32_e32 v7, 9, v9
	s_mov_b64 s[26:27], 0
	s_waitcnt lgkmcnt(0)
	v_add3_u32 v7, v7, v24, s21
.LBB237_423:                            ; =>This Inner Loop Header: Depth=1
	ds_read2st64_b32 v[8:9], v7 offset1:2
	v_add_u32_e32 v6, -1, v6
	v_cmp_eq_u32_e32 vcc, 0, v6
	s_or_b64 s[26:27], vcc, s[26:27]
	s_waitcnt lgkmcnt(0)
	v_pk_mul_f32 v[8:9], v[0:1], v[8:9]
	ds_write2st64_b32 v7, v8, v9 offset1:2
	v_add_u32_e32 v7, 0x400, v7
	s_andn2_b64 exec, exec, s[26:27]
	s_cbranch_execnz .LBB237_423
.LBB237_424:
	s_or_b64 exec, exec, s[16:17]
	buffer_load_dword v1, off, s[0:3], s32 offset:532 ; 4-byte Folded Reload
	v_add_u32_e32 v5, 1, v5
	v_and_b32_e32 v6, 0x3fffffe, v5
	v_cmp_ne_u32_e32 vcc, v5, v6
	s_orn2_b64 s[16:17], vcc, exec
	s_waitcnt vmcnt(0)
	v_lshl_add_u32 v1, v6, 7, v1
.LBB237_425:
	s_or_b64 exec, exec, s[10:11]
	s_and_b64 exec, exec, s[16:17]
	s_cbranch_execz .LBB237_428
; %bb.426:
	s_ashr_i32 s23, s22, 31
	s_lshl_b64 s[10:11], s[22:23], 2
	s_getpc_b64 s[16:17]
	s_add_u32 s16, s16, llvm.amdgcn.dynlds.offset.table@rel32@lo+4
	s_addc_u32 s17, s17, llvm.amdgcn.dynlds.offset.table@rel32@hi+12
	s_add_u32 s10, s10, s16
	s_addc_u32 s11, s11, s17
	s_load_dword s10, s[10:11], 0x0
	s_waitcnt lgkmcnt(0)
	v_lshl_add_u32 v5, v1, 2, s10
	s_mov_b64 s[10:11], 0
.LBB237_427:                            ; =>This Inner Loop Header: Depth=1
	ds_read_b32 v6, v5
	v_add_u32_e32 v1, 0x80, v1
	v_cmp_ge_i32_e32 vcc, v1, v3
	s_or_b64 s[10:11], vcc, s[10:11]
	s_waitcnt lgkmcnt(0)
	v_mul_f32_e32 v6, v0, v6
	ds_write_b32 v5, v6
	v_add_u32_e32 v5, 0x200, v5
	s_andn2_b64 exec, exec, s[10:11]
	s_cbranch_execnz .LBB237_427
.LBB237_428:
	s_or_b64 exec, exec, s[8:9]
	s_waitcnt lgkmcnt(0)
	s_barrier
	buffer_load_dword v0, off, s[0:3], s32 offset:532 ; 4-byte Folded Reload
	v_cmp_ne_u16_e64 s[8:9], s30, 0
	s_cmp_lg_u64 s[8:9], 0
	s_addc_u32 s21, s13, 0
	s_mul_i32 s8, s21, s24
	s_mul_i32 s8, s8, s15
	s_waitcnt vmcnt(0)
	v_cmp_eq_u32_e32 vcc, 0, v0
	s_and_saveexec_b64 s[10:11], vcc
	s_cbranch_execz .LBB237_430
; %bb.429:
	s_mul_i32 s12, s21, s12
	s_ashr_i32 s9, s8, 31
	s_ashr_i32 s13, s12, 31
	;; [unrolled: 1-line block ×3, first 2 shown]
	s_lshl_b64 s[16:17], s[8:9], 2
	s_lshl_b64 s[12:13], s[12:13], 2
	;; [unrolled: 1-line block ×3, first 2 shown]
	s_add_u32 s9, s24, s12
	s_addc_u32 s12, s25, s13
	s_add_u32 s9, s9, s16
	s_addc_u32 s12, s12, s17
	v_mov_b32_e32 v1, s12
	v_add_co_u32_e32 v0, vcc, s9, v33
	v_addc_co_u32_e32 v1, vcc, v1, v32, vcc
	flat_store_dword v[0:1], v2
	v_mov_b32_e32 v1, s12
	v_add_co_u32_e32 v0, vcc, s9, v27
	v_addc_co_u32_e32 v1, vcc, v1, v26, vcc
	flat_store_dword v[0:1], v4
.LBB237_430:
	s_or_b64 exec, exec, s[10:11]
	buffer_load_dword v0, off, s[0:3], s32 offset:532 ; 4-byte Folded Reload
	s_ashr_i32 s23, s22, 31
	s_lshl_b64 s[10:11], s[22:23], 2
	s_getpc_b64 s[12:13]
	s_add_u32 s12, s12, llvm.amdgcn.dynlds.offset.table@rel32@lo+4
	s_addc_u32 s13, s13, llvm.amdgcn.dynlds.offset.table@rel32@hi+12
	s_add_u32 s10, s10, s12
	s_addc_u32 s11, s11, s13
	s_mov_b32 s16, 0
	v_mov_b32_e32 v8, 0
	v_mov_b32_e32 v9, 0
	;; [unrolled: 1-line block ×16, first 2 shown]
	s_waitcnt vmcnt(0)
	v_and_b32_e32 v32, 7, v0
	s_and_saveexec_b64 s[12:13], s[6:7]
	s_cbranch_execz .LBB237_852
; %bb.431:
	v_max_i32_e32 v60, v30, v37
	v_cvt_f32_u32_e32 v0, v60
	v_add_u32_e32 v1, -1, v31
	v_accvgpr_write_b32 a38, v1
	v_sub_u32_e32 v1, 0, v60
	v_rcp_iflag_f32_e32 v0, v0
	v_add_co_u32_e32 v2, vcc, v22, v23
	v_addc_co_u32_e32 v3, vcc, v20, v36, vcc
	v_mul_f32_e32 v0, 0x4f7ffffe, v0
	v_cvt_u32_f32_e32 v0, v0
	s_load_dword s6, s[10:11], 0x0
	v_accvgpr_write_b32 a37, v3
	v_accvgpr_write_b32 a36, v2
	v_mul_lo_u32 v1, v1, v0
	v_mul_hi_u32 v1, v0, v1
	v_add_u32_e32 v0, v0, v1
	v_accvgpr_write_b32 a44, v0
	v_accvgpr_read_b32 v0, a12
	v_accvgpr_read_b32 v1, a13
	v_lshlrev_b64 v[0:1], 2, v[0:1]
	v_add_co_u32_e32 v0, vcc, v34, v0
	v_addc_co_u32_e32 v1, vcc, v35, v1, vcc
	v_add_co_u32_e32 v14, vcc, v14, v0
	v_addc_co_u32_e32 v15, vcc, v15, v1, vcc
	buffer_load_dword v1, off, s[0:3], s32 offset:580 ; 4-byte Folded Reload
	v_and_b32_e32 v2, 0xfc, v24
	v_lshlrev_b32_e32 v0, 4, v32
	v_and_b32_e32 v59, 28, v24
	v_accvgpr_write_b32 a40, v2
	v_or_b32_e32 v2, 0xf00, v24
	v_lshl_or_b32 v0, v25, 7, v0
	v_accvgpr_write_b32 a17, v29
	v_accvgpr_write_b32 a16, v21
	;; [unrolled: 1-line block ×3, first 2 shown]
	v_mov_b32_e32 v19, 0
	v_accvgpr_write_b32 a42, v2
	v_accvgpr_write_b32 a18, v32
	s_waitcnt lgkmcnt(0)
	v_add_u32_e32 v58, s6, v0
	s_mov_b64 s[22:23], 0
	s_movk_i32 s9, 0x80
	s_movk_i32 s15, 0x7f
	s_brev_b32 s17, 1
	s_mov_b32 s25, 0x7f800001
	s_mov_b32 s36, 0xffffff
	v_mov_b32_e32 v39, 0
	v_mov_b32_e32 v38, 0
	v_mov_b32_e32 v51, 0
	v_mov_b32_e32 v50, 0
	v_mov_b32_e32 v17, 0
	v_mov_b32_e32 v16, 0
	v_mov_b32_e32 v53, 0
	v_mov_b32_e32 v52, 0
	v_mov_b32_e32 v49, 0
	v_mov_b32_e32 v48, 0
	v_mov_b32_e32 v11, 0
	v_mov_b32_e32 v10, 0
	v_mov_b32_e32 v7, 0
	v_mov_b32_e32 v6, 0
	v_mov_b32_e32 v9, 0
	v_mov_b32_e32 v8, 0
	v_accvgpr_write_b32 a19, v59
	s_branch .LBB237_434
.LBB237_432:                            ;   in Loop: Header=BB237_434 Depth=1
	s_or_b64 exec, exec, s[6:7]
	v_mul_f32_e32 v9, v1, v9
	v_fmac_f32_e32 v9, v0, v8
	v_mul_f32_e32 v11, v1, v11
	v_fmac_f32_e32 v9, v2, v6
	;; [unrolled: 2-line block ×4, first 2 shown]
	v_fmac_f32_e32 v10, v0, v56
	v_fmac_f32_e32 v6, v2, v4
	v_mul_f32_e32 v4, v1, v33
	v_fmac_f32_e32 v10, v2, v20
	v_mul_f32_e32 v20, v1, v47
	v_fmac_f32_e32 v6, v3, v5
	v_accvgpr_read_b32 v49, a29
	v_fmac_f32_e32 v4, v0, v32
	v_fmac_f32_e32 v20, v0, v46
	;; [unrolled: 1-line block ×3, first 2 shown]
	v_add_f32_e32 v49, v49, v6
	v_fmac_f32_e32 v4, v2, v34
	v_accvgpr_read_b32 v6, a60
	v_fmac_f32_e32 v20, v2, v16
	v_accvgpr_read_b32 v48, a28
	;; [unrolled: 2-line block ×3, first 2 shown]
	v_fmac_f32_e32 v11, v2, v22
	v_fmac_f32_e32 v20, v3, v17
	v_accvgpr_read_b32 v16, a24
	v_add_f32_e32 v48, v48, v4
	v_mul_f32_e32 v4, v1, v7
	v_fmac_f32_e32 v11, v3, v23
	v_fmac_f32_e32 v10, v3, v21
	v_accvgpr_read_b32 v17, a25
	v_fmac_f32_e32 v4, v0, v6
	v_add_f32_e32 v17, v17, v11
	v_add_f32_e32 v16, v16, v10
	v_fmac_f32_e32 v4, v2, v28
	v_accvgpr_read_b32 v10, a30
	v_accvgpr_read_b32 v6, a56
	v_fmac_f32_e32 v4, v3, v29
	v_accvgpr_read_b32 v11, a31
	v_accvgpr_read_b32 v7, a57
	v_add_f32_e32 v11, v11, v4
	v_mul_f32_e32 v4, v1, v7
	v_fmac_f32_e32 v4, v0, v6
	v_accvgpr_read_b32 v6, a58
	v_accvgpr_read_b32 v7, a59
	v_fmac_f32_e32 v4, v2, v6
	v_mul_f32_e32 v12, v1, v55
	v_fmac_f32_e32 v4, v3, v7
	v_accvgpr_read_b32 v6, a52
	v_fmac_f32_e32 v12, v0, v54
	v_accvgpr_read_b32 v7, a53
	v_fmac_f32_e32 v12, v2, v52
	v_add_f32_e32 v10, v10, v4
	v_mul_f32_e32 v4, v1, v7
	v_fmac_f32_e32 v12, v3, v53
	v_accvgpr_read_b32 v53, a27
	v_fmac_f32_e32 v4, v0, v6
	v_accvgpr_read_b32 v6, a54
	v_accvgpr_read_b32 v52, a26
	;; [unrolled: 1-line block ×3, first 2 shown]
	v_fmac_f32_e32 v4, v2, v6
	v_add_f32_e32 v52, v52, v9
	v_fmac_f32_e32 v4, v3, v7
	v_accvgpr_read_b32 v6, a32
	v_accvgpr_read_b32 v8, a8
	;; [unrolled: 1-line block ×4, first 2 shown]
	v_add_f32_e32 v7, v7, v4
	v_mul_f32_e32 v4, v1, v9
	v_fmac_f32_e32 v4, v0, v8
	v_accvgpr_read_b32 v8, a50
	v_mul_f32_e32 v18, v1, v37
	v_accvgpr_read_b32 v9, a51
	v_fmac_f32_e32 v4, v2, v8
	v_mul_f32_e32 v13, v1, v25
	v_fmac_f32_e32 v18, v0, v36
	v_fmac_f32_e32 v4, v3, v9
	v_accvgpr_read_b32 v9, a7
	v_fmac_f32_e32 v13, v0, v24
	v_fmac_f32_e32 v18, v2, v38
	v_add_f32_e32 v6, v6, v4
	v_accvgpr_read_b32 v8, a6
	v_mul_f32_e32 v4, v1, v9
	v_fmac_f32_e32 v13, v2, v50
	v_fmac_f32_e32 v18, v3, v39
	v_accvgpr_read_b32 v39, a21
	v_fmac_f32_e32 v4, v0, v8
	v_accvgpr_read_b32 v8, a10
	;; [unrolled: 2-line block ×3, first 2 shown]
	v_accvgpr_read_b32 v51, a23
	v_accvgpr_read_b32 v9, a11
	v_fmac_f32_e32 v4, v2, v8
	v_add_f32_e32 v38, v38, v12
	v_add_f32_e32 v51, v51, v13
	v_fmac_f32_e32 v4, v3, v9
	v_accvgpr_read_b32 v8, a34
	v_accvgpr_read_b32 v12, a46
	;; [unrolled: 1-line block ×4, first 2 shown]
	v_add_f32_e32 v9, v9, v4
	v_mul_f32_e32 v4, v1, v13
	v_mul_f32_e32 v1, v1, v41
	v_fmac_f32_e32 v4, v0, v12
	v_accvgpr_read_b32 v12, a48
	v_fmac_f32_e32 v1, v0, v40
	v_accvgpr_read_b32 v13, a49
	v_fmac_f32_e32 v4, v2, v12
	v_fmac_f32_e32 v1, v2, v26
	v_accvgpr_read_b32 v50, a22
	v_fmac_f32_e32 v4, v3, v13
	v_fmac_f32_e32 v1, v3, v27
	v_add_f32_e32 v50, v50, v18
	v_add_f32_e32 v53, v53, v20
	;; [unrolled: 1-line block ×4, first 2 shown]
.LBB237_433:                            ;   in Loop: Header=BB237_434 Depth=1
	s_or_b64 exec, exec, s[26:27]
	buffer_load_dword v0, off, s[0:3], s32 offset:212 ; 4-byte Folded Reload
	v_accvgpr_read_b32 v2, a12
	v_add_co_u32_e32 v14, vcc, 8, v14
	v_add_u32_e32 v2, 2, v2
	v_addc_co_u32_e32 v15, vcc, 0, v15, vcc
	v_accvgpr_read_b32 v1, a13
	v_add_u32_e32 v1, 64, v1
	v_accvgpr_write_b32 a12, v2
	v_add_u32_e32 v58, 0x100, v58
	s_waitcnt vmcnt(0)
	v_cmp_ge_i32_e32 vcc, v2, v0
	s_or_b64 s[22:23], vcc, s[22:23]
	s_andn2_b64 exec, exec, s[22:23]
	s_cbranch_execz .LBB237_851
.LBB237_434:                            ; =>This Inner Loop Header: Depth=1
	s_waitcnt vmcnt(0)
	v_ashrrev_i32_e32 v0, 31, v1
	v_mov_b32_e32 v2, v1
	buffer_load_dword v1, off, s[0:3], s32 offset:200 ; 4-byte Folded Reload
	buffer_load_dword v4, off, s[0:3], s32 offset:196 ; 4-byte Folded Reload
	v_accvgpr_write_b32 a13, v2
	s_waitcnt vmcnt(1)
	v_xor_b32_e32 v0, v0, v1
	v_sub_u32_e32 v1, 0, v2
	v_max_i32_e32 v1, v2, v1
	buffer_load_dword v2, off, s[0:3], s32 offset:220 ; 4-byte Folded Reload
	s_waitcnt vmcnt(0)
	v_mul_hi_u32 v2, v1, v2
	v_mul_lo_u32 v3, v2, v4
	v_sub_u32_e32 v1, v1, v3
	v_add_u32_e32 v3, 1, v2
	v_cmp_ge_u32_e32 vcc, v1, v4
	v_cndmask_b32_e32 v2, v2, v3, vcc
	v_sub_u32_e32 v3, v1, v4
	v_cndmask_b32_e32 v1, v1, v3, vcc
	v_add_u32_e32 v3, 1, v2
	v_cmp_ge_u32_e32 vcc, v1, v4
	v_cndmask_b32_e32 v1, v2, v3, vcc
	buffer_load_dword v2, off, s[0:3], s32 offset:204 ; 4-byte Folded Reload
	buffer_load_dword v3, off, s[0:3], s32 offset:208 ; 4-byte Folded Reload
	v_xor_b32_e32 v1, v1, v0
	v_sub_u32_e32 v0, v1, v0
	v_accvgpr_read_b32 v4, a44
	s_waitcnt vmcnt(1)
	v_add_u32_e32 v1, v0, v2
	s_waitcnt vmcnt(0)
	v_sub_u32_e32 v3, 0, v1
	v_ashrrev_i32_e32 v2, 31, v1
	v_max_i32_e32 v1, v1, v3
	v_mul_hi_u32 v3, v1, v4
	v_mul_lo_u32 v3, v3, v60
	v_sub_u32_e32 v1, v1, v3
	v_sub_u32_e32 v3, v1, v60
	v_cmp_ge_u32_e32 vcc, v1, v60
	v_cndmask_b32_e32 v1, v1, v3, vcc
	v_sub_u32_e32 v3, v1, v60
	v_cmp_ge_u32_e32 vcc, v1, v60
	v_cndmask_b32_e32 v1, v1, v3, vcc
	v_xor_b32_e32 v1, v1, v2
	v_sub_u32_e32 v1, v1, v2
	v_cmp_eq_u32_e32 vcc, 0, v1
	buffer_load_dword v1, off, s[0:3], s32 offset:216 ; 4-byte Folded Reload
	s_waitcnt vmcnt(0)
	v_cmp_gt_i32_e64 s[6:7], v0, v1
	s_or_b64 s[6:7], vcc, s[6:7]
	s_and_saveexec_b64 s[26:27], s[6:7]
	s_cbranch_execz .LBB237_433
; %bb.435:                              ;   in Loop: Header=BB237_434 Depth=1
	flat_load_dword v0, v[14:15]
	buffer_load_dword v2, off, s[0:3], s32 offset:312 ; 4-byte Folded Reload
	buffer_load_dword v3, off, s[0:3], s32 offset:316 ; 4-byte Folded Reload
	v_accvgpr_read_b32 v4, a36
	v_accvgpr_read_b32 v5, a37
	v_accvgpr_write_b32 a35, v9
	v_accvgpr_write_b32 a34, v8
	;; [unrolled: 1-line block ×9, first 2 shown]
	v_pk_mov_b32 v[8:9], 0, 0
	v_accvgpr_write_b32 a32, v6
	v_accvgpr_write_b32 a30, v10
	;; [unrolled: 1-line block ×7, first 2 shown]
	v_pk_mov_b32 v[6:7], v[8:9], v[8:9] op_sel:[0,1]
	s_waitcnt vmcnt(0) lgkmcnt(0)
	v_mad_i64_i32 v[44:45], s[6:7], v0, v2, v[4:5]
	v_accvgpr_read_b32 v0, a40
	v_add_co_u32_e32 v54, vcc, v44, v0
	v_addc_co_u32_e32 v55, vcc, 0, v45, vcc
	flat_load_dword v4, v[54:55]
	buffer_load_dword v0, off, s[0:3], s32 offset:536 ; 4-byte Folded Reload
	buffer_load_dword v1, off, s[0:3], s32 offset:540 ; 4-byte Folded Reload
	s_waitcnt vmcnt(0) lgkmcnt(0)
	v_cmp_ne_u16_sdwa s[28:29], v4, v19 src0_sel:BYTE_0 src1_sel:DWORD
	flat_load_dword v26, v[0:1]
	ds_read_b128 v[0:3], v58
	s_and_saveexec_b64 s[6:7], s[28:29]
	s_cbranch_execz .LBB237_441
; %bb.436:                              ;   in Loop: Header=BB237_434 Depth=1
	v_bfrev_b32_e32 v6, 1
	v_cmp_ne_u16_sdwa vcc, v4, s9 src0_sel:BYTE_0 src1_sel:DWORD
	v_mov_b32_e32 v7, 0
	s_and_saveexec_b64 s[28:29], vcc
	s_cbranch_execz .LBB237_440
; %bb.437:                              ;   in Loop: Header=BB237_434 Depth=1
	v_and_b32_e32 v5, 0x7f, v4
	v_mov_b32_e32 v6, 0x7f800001
	v_cmp_ne_u32_e32 vcc, s15, v5
	v_mov_b32_e32 v7, 0
	s_and_saveexec_b64 s[30:31], vcc
	s_cbranch_execz .LBB237_439
; %bb.438:                              ;   in Loop: Header=BB237_434 Depth=1
	v_and_b32_e32 v10, 7, v4
	v_ffbh_u32_e32 v6, v10
	v_min_u32_e32 v12, 32, v6
	v_subrev_u32_e32 v6, 28, v12
	v_lshlrev_b64 v[6:7], v6, v[4:5]
	v_lshrrev_b32_e32 v11, 3, v5
	v_sub_u32_e32 v7, 29, v12
	v_and_b32_e32 v6, 7, v6
	v_cmp_gt_u32_e32 vcc, 8, v5
	v_cndmask_b32_e32 v5, v11, v7, vcc
	v_cndmask_b32_e32 v6, v10, v6, vcc
	v_bfrev_b32_e32 v10, 60
	v_lshlrev_b32_e32 v6, 20, v6
	v_and_b32_sdwa v7, sext(v4), s17 dst_sel:DWORD dst_unused:UNUSED_PAD src0_sel:BYTE_0 src1_sel:DWORD
	v_lshl_add_u32 v5, v5, 23, v10
	v_or3_b32 v18, v7, v5, v6
	v_pk_mov_b32 v[6:7], v[18:19], v[18:19] op_sel:[0,1]
.LBB237_439:                            ;   in Loop: Header=BB237_434 Depth=1
	s_or_b64 exec, exec, s[30:31]
.LBB237_440:                            ;   in Loop: Header=BB237_434 Depth=1
	s_or_b64 exec, exec, s[28:29]
.LBB237_441:                            ;   in Loop: Header=BB237_434 Depth=1
	s_or_b64 exec, exec, s[6:7]
	v_cmp_ne_u16_sdwa s[28:29], v4, v19 src0_sel:BYTE_1 src1_sel:DWORD
	s_and_saveexec_b64 s[6:7], s[28:29]
	s_cbranch_execz .LBB237_447
; %bb.442:                              ;   in Loop: Header=BB237_434 Depth=1
	v_cmp_ne_u16_sdwa vcc, v4, s9 src0_sel:BYTE_1 src1_sel:DWORD
	v_pk_mov_b32 v[8:9], s[16:17], s[16:17] op_sel:[0,1]
	s_and_saveexec_b64 s[28:29], vcc
	s_cbranch_execz .LBB237_446
; %bb.443:                              ;   in Loop: Header=BB237_434 Depth=1
	v_and_b32_sdwa v5, v4, s15 dst_sel:DWORD dst_unused:UNUSED_PAD src0_sel:BYTE_1 src1_sel:DWORD
	s_mov_b32 s24, s16
	v_cmp_ne_u32_e32 vcc, s15, v5
	v_pk_mov_b32 v[8:9], s[24:25], s[24:25] op_sel:[0,1]
	s_and_saveexec_b64 s[30:31], vcc
	s_cbranch_execz .LBB237_445
; %bb.444:                              ;   in Loop: Header=BB237_434 Depth=1
	v_mov_b32_e32 v8, 7
	v_and_b32_sdwa v18, v4, v8 dst_sel:DWORD dst_unused:UNUSED_PAD src0_sel:BYTE_1 src1_sel:DWORD
	v_ffbh_u32_e32 v8, v18
	v_min_u32_e32 v11, 32, v8
	v_subrev_u32_e32 v8, 28, v11
	v_lshlrev_b64 v[8:9], v8, v[18:19]
	v_lshrrev_b32_e32 v10, 3, v5
	v_sub_u32_e32 v9, 29, v11
	v_cmp_gt_u32_e32 vcc, 8, v5
	v_and_b32_e32 v8, 7, v8
	v_cndmask_b32_e32 v5, v10, v9, vcc
	v_bfrev_b32_e32 v10, 60
	v_cndmask_b32_e32 v8, v18, v8, vcc
	v_lshlrev_b32_e32 v9, 16, v4
	v_lshl_add_u32 v5, v5, 23, v10
	v_and_or_b32 v5, v9, s17, v5
	v_lshlrev_b32_e32 v8, 20, v8
	v_or_b32_e32 v9, v5, v8
	v_mov_b32_e32 v8, v19
.LBB237_445:                            ;   in Loop: Header=BB237_434 Depth=1
	s_or_b64 exec, exec, s[30:31]
.LBB237_446:                            ;   in Loop: Header=BB237_434 Depth=1
	s_or_b64 exec, exec, s[28:29]
.LBB237_447:                            ;   in Loop: Header=BB237_434 Depth=1
	s_or_b64 exec, exec, s[6:7]
	v_lshrrev_b32_e32 v12, 16, v4
	v_pk_mov_b32 v[16:17], 0, 0
	v_cmp_ne_u16_sdwa s[28:29], v12, v19 src0_sel:BYTE_0 src1_sel:DWORD
	v_pk_mov_b32 v[10:11], v[16:17], v[16:17] op_sel:[0,1]
	s_and_saveexec_b64 s[6:7], s[28:29]
	s_cbranch_execz .LBB237_453
; %bb.448:                              ;   in Loop: Header=BB237_434 Depth=1
	v_bfrev_b32_e32 v10, 1
	v_cmp_ne_u16_sdwa vcc, v12, s9 src0_sel:BYTE_0 src1_sel:DWORD
	v_mov_b32_e32 v11, 0
	s_and_saveexec_b64 s[28:29], vcc
	s_cbranch_execz .LBB237_452
; %bb.449:                              ;   in Loop: Header=BB237_434 Depth=1
	v_bfe_u32 v5, v4, 16, 7
	v_mov_b32_e32 v10, 0x7f800001
	v_cmp_ne_u32_e32 vcc, s15, v5
	v_mov_b32_e32 v11, 0
	s_and_saveexec_b64 s[30:31], vcc
	s_cbranch_execz .LBB237_451
; %bb.450:                              ;   in Loop: Header=BB237_434 Depth=1
	v_and_b32_e32 v13, 7, v12
	v_ffbh_u32_e32 v10, v13
	v_min_u32_e32 v20, 32, v10
	v_subrev_u32_e32 v10, 28, v20
	v_lshlrev_b64 v[10:11], v10, v[12:13]
	v_lshrrev_b32_e32 v18, 3, v5
	v_sub_u32_e32 v11, 29, v20
	v_and_b32_e32 v10, 7, v10
	v_cmp_gt_u32_e32 vcc, 8, v5
	v_cndmask_b32_e32 v5, v18, v11, vcc
	v_cndmask_b32_e32 v10, v13, v10, vcc
	v_and_b32_sdwa v11, sext(v12), s17 dst_sel:DWORD dst_unused:UNUSED_PAD src0_sel:BYTE_0 src1_sel:DWORD
	v_bfrev_b32_e32 v12, 60
	v_lshlrev_b32_e32 v10, 20, v10
	v_lshl_add_u32 v5, v5, 23, v12
	v_or3_b32 v18, v11, v5, v10
	v_pk_mov_b32 v[10:11], v[18:19], v[18:19] op_sel:[0,1]
.LBB237_451:                            ;   in Loop: Header=BB237_434 Depth=1
	s_or_b64 exec, exec, s[30:31]
.LBB237_452:                            ;   in Loop: Header=BB237_434 Depth=1
	s_or_b64 exec, exec, s[28:29]
.LBB237_453:                            ;   in Loop: Header=BB237_434 Depth=1
	s_or_b64 exec, exec, s[6:7]
	v_cmp_lt_u32_e32 vcc, s36, v4
	s_and_saveexec_b64 s[6:7], vcc
	s_cbranch_execz .LBB237_459
; %bb.454:                              ;   in Loop: Header=BB237_434 Depth=1
	v_cmp_ne_u32_sdwa vcc, v4, s9 src0_sel:BYTE_3 src1_sel:DWORD
	v_pk_mov_b32 v[16:17], s[16:17], s[16:17] op_sel:[0,1]
	s_and_saveexec_b64 s[28:29], vcc
	s_cbranch_execz .LBB237_458
; %bb.455:                              ;   in Loop: Header=BB237_434 Depth=1
	v_bfe_u32 v5, v4, 24, 7
	s_mov_b32 s24, s16
	v_cmp_ne_u32_e32 vcc, s15, v5
	v_pk_mov_b32 v[16:17], s[24:25], s[24:25] op_sel:[0,1]
	s_and_saveexec_b64 s[30:31], vcc
	s_cbranch_execz .LBB237_457
; %bb.456:                              ;   in Loop: Header=BB237_434 Depth=1
	v_mov_b32_e32 v12, 7
	v_and_b32_sdwa v18, v4, v12 dst_sel:DWORD dst_unused:UNUSED_PAD src0_sel:BYTE_3 src1_sel:DWORD
	v_ffbh_u32_e32 v12, v18
	v_min_u32_e32 v17, 32, v12
	v_subrev_u32_e32 v12, 28, v17
	v_lshlrev_b64 v[12:13], v12, v[18:19]
	v_lshrrev_b32_e32 v16, 3, v5
	v_sub_u32_e32 v13, 29, v17
	v_cmp_gt_u32_e32 vcc, 8, v5
	v_cndmask_b32_e32 v5, v16, v13, vcc
	v_mov_b32_e32 v13, 24
	v_and_b32_e32 v12, 7, v12
	v_lshlrev_b32_sdwa v4, v13, v4 dst_sel:DWORD dst_unused:UNUSED_PAD src0_sel:DWORD src1_sel:BYTE_3
	v_bfrev_b32_e32 v13, 60
	v_cndmask_b32_e32 v12, v18, v12, vcc
	v_lshl_add_u32 v5, v5, 23, v13
	v_and_or_b32 v4, v4, s17, v5
	v_lshlrev_b32_e32 v5, 20, v12
	v_or_b32_e32 v17, v4, v5
	v_mov_b32_e32 v16, v19
.LBB237_457:                            ;   in Loop: Header=BB237_434 Depth=1
	s_or_b64 exec, exec, s[30:31]
.LBB237_458:                            ;   in Loop: Header=BB237_434 Depth=1
	s_or_b64 exec, exec, s[28:29]
.LBB237_459:                            ;   in Loop: Header=BB237_434 Depth=1
	s_or_b64 exec, exec, s[6:7]
	v_accvgpr_read_b32 v4, a13
	v_add_u32_e32 v12, v59, v4
	v_accvgpr_read_b32 v4, a12
	v_accvgpr_read_b32 v5, a38
	v_cmp_eq_u32_e32 vcc, v5, v4
	v_or_b32_e32 v5, v9, v7
	v_or_b32_e32 v4, v8, v6
	s_waitcnt vmcnt(0) lgkmcnt(0)
	v_pk_mul_f32 v[4:5], v[26:27], v[4:5] op_sel_hi:[0,1]
	v_accvgpr_write_b32 a47, v5
	v_accvgpr_write_b32 a46, v4
	v_or_b32_e32 v5, v17, v11
	v_or_b32_e32 v4, v16, v10
	v_pk_mul_f32 v[4:5], v[26:27], v[4:5] op_sel_hi:[0,1]
	v_accvgpr_write_b32 a49, v5
	v_accvgpr_write_b32 a48, v4
	v_add_u32_e32 v4, 1, v12
	v_accvgpr_write_b32 a4, v4
	v_add_u32_e32 v4, 2, v12
	;; [unrolled: 2-line block ×3, first 2 shown]
	v_accvgpr_write_b32 a1, v12
	v_accvgpr_write_b32 a2, v4
	s_and_saveexec_b64 s[28:29], vcc
	s_cbranch_execz .LBB237_461
; %bb.460:                              ;   in Loop: Header=BB237_434 Depth=1
	v_accvgpr_read_b32 v4, a1
	v_cmp_lt_i32_e64 s[6:7], v4, v62
	v_accvgpr_read_b32 v4, a46
	v_accvgpr_read_b32 v6, a4
	;; [unrolled: 1-line block ×3, first 2 shown]
	v_cndmask_b32_e64 v4, 0, v4, s[6:7]
	v_cmp_lt_i32_e64 s[6:7], v6, v62
	v_cndmask_b32_e64 v5, 0, v5, s[6:7]
	v_accvgpr_write_b32 a47, v5
	v_accvgpr_write_b32 a46, v4
	v_accvgpr_read_b32 v4, a3
	v_cmp_lt_i32_e64 s[6:7], v4, v62
	v_accvgpr_read_b32 v4, a48
	v_accvgpr_read_b32 v6, a2
	;; [unrolled: 1-line block ×3, first 2 shown]
	v_cndmask_b32_e64 v4, 0, v4, s[6:7]
	v_cmp_lt_i32_e64 s[6:7], v6, v62
	v_cndmask_b32_e64 v5, 0, v5, s[6:7]
	v_accvgpr_write_b32 a49, v5
	v_accvgpr_write_b32 a48, v4
.LBB237_461:                            ;   in Loop: Header=BB237_434 Depth=1
	s_or_b64 exec, exec, s[28:29]
	flat_load_dword v4, v[54:55] offset:256
	v_pk_mov_b32 v[8:9], 0, 0
	v_pk_mov_b32 v[6:7], v[8:9], v[8:9] op_sel:[0,1]
	s_waitcnt vmcnt(0) lgkmcnt(0)
	v_cmp_ne_u16_sdwa s[6:7], v4, v19 src0_sel:BYTE_0 src1_sel:DWORD
	s_and_saveexec_b64 s[28:29], s[6:7]
	s_cbranch_execz .LBB237_467
; %bb.462:                              ;   in Loop: Header=BB237_434 Depth=1
	v_bfrev_b32_e32 v6, 1
	v_cmp_ne_u16_sdwa s[6:7], v4, s9 src0_sel:BYTE_0 src1_sel:DWORD
	v_mov_b32_e32 v7, 0
	s_and_saveexec_b64 s[30:31], s[6:7]
	s_cbranch_execz .LBB237_466
; %bb.463:                              ;   in Loop: Header=BB237_434 Depth=1
	v_and_b32_e32 v5, 0x7f, v4
	v_mov_b32_e32 v6, 0x7f800001
	v_cmp_ne_u32_e64 s[6:7], s15, v5
	v_mov_b32_e32 v7, 0
	s_and_saveexec_b64 s[34:35], s[6:7]
	s_cbranch_execz .LBB237_465
; %bb.464:                              ;   in Loop: Header=BB237_434 Depth=1
	v_and_b32_e32 v10, 7, v4
	v_ffbh_u32_e32 v6, v10
	v_min_u32_e32 v12, 32, v6
	v_subrev_u32_e32 v6, 28, v12
	v_lshlrev_b64 v[6:7], v6, v[4:5]
	v_lshrrev_b32_e32 v11, 3, v5
	v_sub_u32_e32 v7, 29, v12
	v_and_b32_e32 v6, 7, v6
	v_cmp_gt_u32_e64 s[6:7], 8, v5
	v_cndmask_b32_e64 v5, v11, v7, s[6:7]
	v_cndmask_b32_e64 v6, v10, v6, s[6:7]
	v_bfrev_b32_e32 v10, 60
	v_lshlrev_b32_e32 v6, 20, v6
	v_and_b32_sdwa v7, sext(v4), s17 dst_sel:DWORD dst_unused:UNUSED_PAD src0_sel:BYTE_0 src1_sel:DWORD
	v_lshl_add_u32 v5, v5, 23, v10
	v_or3_b32 v18, v7, v5, v6
	v_pk_mov_b32 v[6:7], v[18:19], v[18:19] op_sel:[0,1]
.LBB237_465:                            ;   in Loop: Header=BB237_434 Depth=1
	s_or_b64 exec, exec, s[34:35]
.LBB237_466:                            ;   in Loop: Header=BB237_434 Depth=1
	s_or_b64 exec, exec, s[30:31]
.LBB237_467:                            ;   in Loop: Header=BB237_434 Depth=1
	s_or_b64 exec, exec, s[28:29]
	v_cmp_ne_u16_sdwa s[6:7], v4, v19 src0_sel:BYTE_1 src1_sel:DWORD
	s_and_saveexec_b64 s[28:29], s[6:7]
	s_cbranch_execz .LBB237_473
; %bb.468:                              ;   in Loop: Header=BB237_434 Depth=1
	v_cmp_ne_u16_sdwa s[6:7], v4, s9 src0_sel:BYTE_1 src1_sel:DWORD
	v_pk_mov_b32 v[8:9], s[16:17], s[16:17] op_sel:[0,1]
	s_and_saveexec_b64 s[30:31], s[6:7]
	s_cbranch_execz .LBB237_472
; %bb.469:                              ;   in Loop: Header=BB237_434 Depth=1
	v_and_b32_sdwa v5, v4, s15 dst_sel:DWORD dst_unused:UNUSED_PAD src0_sel:BYTE_1 src1_sel:DWORD
	s_mov_b32 s24, s16
	v_cmp_ne_u32_e64 s[6:7], s15, v5
	v_pk_mov_b32 v[8:9], s[24:25], s[24:25] op_sel:[0,1]
	s_and_saveexec_b64 s[34:35], s[6:7]
	s_cbranch_execz .LBB237_471
; %bb.470:                              ;   in Loop: Header=BB237_434 Depth=1
	v_mov_b32_e32 v8, 7
	v_and_b32_sdwa v18, v4, v8 dst_sel:DWORD dst_unused:UNUSED_PAD src0_sel:BYTE_1 src1_sel:DWORD
	v_ffbh_u32_e32 v8, v18
	v_min_u32_e32 v11, 32, v8
	v_subrev_u32_e32 v8, 28, v11
	v_lshlrev_b64 v[8:9], v8, v[18:19]
	v_lshrrev_b32_e32 v10, 3, v5
	v_sub_u32_e32 v9, 29, v11
	v_cmp_gt_u32_e64 s[6:7], 8, v5
	v_and_b32_e32 v8, 7, v8
	v_cndmask_b32_e64 v5, v10, v9, s[6:7]
	v_bfrev_b32_e32 v10, 60
	v_cndmask_b32_e64 v8, v18, v8, s[6:7]
	v_lshlrev_b32_e32 v9, 16, v4
	v_lshl_add_u32 v5, v5, 23, v10
	v_and_or_b32 v5, v9, s17, v5
	v_lshlrev_b32_e32 v8, 20, v8
	v_or_b32_e32 v9, v5, v8
	v_mov_b32_e32 v8, v19
.LBB237_471:                            ;   in Loop: Header=BB237_434 Depth=1
	s_or_b64 exec, exec, s[34:35]
.LBB237_472:                            ;   in Loop: Header=BB237_434 Depth=1
	s_or_b64 exec, exec, s[30:31]
.LBB237_473:                            ;   in Loop: Header=BB237_434 Depth=1
	s_or_b64 exec, exec, s[28:29]
	v_lshrrev_b32_e32 v16, 16, v4
	v_pk_mov_b32 v[12:13], 0, 0
	v_cmp_ne_u16_sdwa s[6:7], v16, v19 src0_sel:BYTE_0 src1_sel:DWORD
	v_pk_mov_b32 v[10:11], v[12:13], v[12:13] op_sel:[0,1]
	s_and_saveexec_b64 s[28:29], s[6:7]
	s_cbranch_execz .LBB237_479
; %bb.474:                              ;   in Loop: Header=BB237_434 Depth=1
	v_bfrev_b32_e32 v10, 1
	v_cmp_ne_u16_sdwa s[6:7], v16, s9 src0_sel:BYTE_0 src1_sel:DWORD
	v_mov_b32_e32 v11, 0
	s_and_saveexec_b64 s[30:31], s[6:7]
	s_cbranch_execz .LBB237_478
; %bb.475:                              ;   in Loop: Header=BB237_434 Depth=1
	v_bfe_u32 v5, v4, 16, 7
	v_mov_b32_e32 v10, 0x7f800001
	v_cmp_ne_u32_e64 s[6:7], s15, v5
	v_mov_b32_e32 v11, 0
	s_and_saveexec_b64 s[34:35], s[6:7]
	s_cbranch_execz .LBB237_477
; %bb.476:                              ;   in Loop: Header=BB237_434 Depth=1
	v_and_b32_e32 v17, 7, v16
	v_ffbh_u32_e32 v10, v17
	v_min_u32_e32 v20, 32, v10
	v_subrev_u32_e32 v10, 28, v20
	v_lshlrev_b64 v[10:11], v10, v[16:17]
	v_lshrrev_b32_e32 v18, 3, v5
	v_sub_u32_e32 v11, 29, v20
	v_and_b32_e32 v10, 7, v10
	v_cmp_gt_u32_e64 s[6:7], 8, v5
	v_cndmask_b32_e64 v5, v18, v11, s[6:7]
	v_cndmask_b32_e64 v10, v17, v10, s[6:7]
	v_and_b32_sdwa v11, sext(v16), s17 dst_sel:DWORD dst_unused:UNUSED_PAD src0_sel:BYTE_0 src1_sel:DWORD
	v_bfrev_b32_e32 v16, 60
	v_lshlrev_b32_e32 v10, 20, v10
	v_lshl_add_u32 v5, v5, 23, v16
	v_or3_b32 v18, v11, v5, v10
	v_pk_mov_b32 v[10:11], v[18:19], v[18:19] op_sel:[0,1]
.LBB237_477:                            ;   in Loop: Header=BB237_434 Depth=1
	s_or_b64 exec, exec, s[34:35]
.LBB237_478:                            ;   in Loop: Header=BB237_434 Depth=1
	s_or_b64 exec, exec, s[30:31]
.LBB237_479:                            ;   in Loop: Header=BB237_434 Depth=1
	s_or_b64 exec, exec, s[28:29]
	v_cmp_lt_u32_e64 s[6:7], s36, v4
	s_and_saveexec_b64 s[28:29], s[6:7]
	s_cbranch_execz .LBB237_485
; %bb.480:                              ;   in Loop: Header=BB237_434 Depth=1
	v_cmp_ne_u32_sdwa s[6:7], v4, s9 src0_sel:BYTE_3 src1_sel:DWORD
	v_pk_mov_b32 v[12:13], s[16:17], s[16:17] op_sel:[0,1]
	s_and_saveexec_b64 s[30:31], s[6:7]
	s_cbranch_execz .LBB237_484
; %bb.481:                              ;   in Loop: Header=BB237_434 Depth=1
	v_bfe_u32 v5, v4, 24, 7
	s_mov_b32 s24, s16
	v_cmp_ne_u32_e64 s[6:7], s15, v5
	v_pk_mov_b32 v[12:13], s[24:25], s[24:25] op_sel:[0,1]
	s_and_saveexec_b64 s[34:35], s[6:7]
	s_cbranch_execz .LBB237_483
; %bb.482:                              ;   in Loop: Header=BB237_434 Depth=1
	v_mov_b32_e32 v12, 7
	v_and_b32_sdwa v18, v4, v12 dst_sel:DWORD dst_unused:UNUSED_PAD src0_sel:BYTE_3 src1_sel:DWORD
	v_ffbh_u32_e32 v12, v18
	v_min_u32_e32 v17, 32, v12
	v_subrev_u32_e32 v12, 28, v17
	v_lshlrev_b64 v[12:13], v12, v[18:19]
	v_lshrrev_b32_e32 v16, 3, v5
	v_sub_u32_e32 v13, 29, v17
	v_cmp_gt_u32_e64 s[6:7], 8, v5
	v_cndmask_b32_e64 v5, v16, v13, s[6:7]
	v_mov_b32_e32 v13, 24
	v_and_b32_e32 v12, 7, v12
	v_lshlrev_b32_sdwa v4, v13, v4 dst_sel:DWORD dst_unused:UNUSED_PAD src0_sel:DWORD src1_sel:BYTE_3
	v_bfrev_b32_e32 v13, 60
	v_cndmask_b32_e64 v12, v18, v12, s[6:7]
	v_lshl_add_u32 v5, v5, 23, v13
	v_and_or_b32 v4, v4, s17, v5
	v_lshlrev_b32_e32 v5, 20, v12
	v_or_b32_e32 v13, v4, v5
	v_mov_b32_e32 v12, v19
.LBB237_483:                            ;   in Loop: Header=BB237_434 Depth=1
	s_or_b64 exec, exec, s[34:35]
.LBB237_484:                            ;   in Loop: Header=BB237_434 Depth=1
	s_or_b64 exec, exec, s[30:31]
.LBB237_485:                            ;   in Loop: Header=BB237_434 Depth=1
	s_or_b64 exec, exec, s[28:29]
	v_mov_b32_e32 v27, v26
	v_or_b32_e32 v5, v9, v7
	v_or_b32_e32 v4, v8, v6
	v_pk_mul_f32 v[4:5], v[26:27], v[4:5]
	v_accvgpr_write_b32 a7, v5
	v_accvgpr_write_b32 a6, v4
	v_or_b32_e32 v5, v13, v11
	v_or_b32_e32 v4, v12, v10
	v_pk_mul_f32 v[4:5], v[26:27], v[4:5]
	v_accvgpr_write_b32 a11, v5
	v_accvgpr_write_b32 a10, v4
	s_and_saveexec_b64 s[28:29], vcc
	s_cbranch_execz .LBB237_487
; %bb.486:                              ;   in Loop: Header=BB237_434 Depth=1
	v_accvgpr_read_b32 v4, a1
	v_cmp_lt_i32_e64 s[6:7], v4, v62
	v_accvgpr_read_b32 v6, a6
	v_accvgpr_read_b32 v4, a4
	;; [unrolled: 1-line block ×3, first 2 shown]
	v_cndmask_b32_e64 v6, 0, v6, s[6:7]
	v_cmp_lt_i32_e64 s[6:7], v4, v62
	v_cndmask_b32_e64 v7, 0, v7, s[6:7]
	v_accvgpr_write_b32 a6, v6
	v_accvgpr_read_b32 v4, a3
	v_accvgpr_write_b32 a7, v7
	v_cmp_lt_i32_e64 s[6:7], v4, v62
	v_accvgpr_read_b32 v6, a10
	v_accvgpr_read_b32 v4, a2
	;; [unrolled: 1-line block ×3, first 2 shown]
	v_cndmask_b32_e64 v6, 0, v6, s[6:7]
	v_cmp_lt_i32_e64 s[6:7], v4, v62
	v_cndmask_b32_e64 v7, 0, v7, s[6:7]
	v_accvgpr_write_b32 a11, v7
	v_accvgpr_write_b32 a10, v6
.LBB237_487:                            ;   in Loop: Header=BB237_434 Depth=1
	s_or_b64 exec, exec, s[28:29]
	flat_load_dword v4, v[54:55] offset:512
	v_pk_mov_b32 v[8:9], 0, 0
	v_pk_mov_b32 v[6:7], v[8:9], v[8:9] op_sel:[0,1]
	s_waitcnt vmcnt(0) lgkmcnt(0)
	v_cmp_ne_u16_sdwa s[6:7], v4, v19 src0_sel:BYTE_0 src1_sel:DWORD
	s_and_saveexec_b64 s[28:29], s[6:7]
	s_cbranch_execz .LBB237_493
; %bb.488:                              ;   in Loop: Header=BB237_434 Depth=1
	v_bfrev_b32_e32 v6, 1
	v_cmp_ne_u16_sdwa s[6:7], v4, s9 src0_sel:BYTE_0 src1_sel:DWORD
	v_mov_b32_e32 v7, 0
	s_and_saveexec_b64 s[30:31], s[6:7]
	s_cbranch_execz .LBB237_492
; %bb.489:                              ;   in Loop: Header=BB237_434 Depth=1
	v_and_b32_e32 v5, 0x7f, v4
	v_mov_b32_e32 v6, 0x7f800001
	v_cmp_ne_u32_e64 s[6:7], s15, v5
	v_mov_b32_e32 v7, 0
	s_and_saveexec_b64 s[34:35], s[6:7]
	s_cbranch_execz .LBB237_491
; %bb.490:                              ;   in Loop: Header=BB237_434 Depth=1
	v_and_b32_e32 v10, 7, v4
	v_ffbh_u32_e32 v6, v10
	v_min_u32_e32 v12, 32, v6
	v_subrev_u32_e32 v6, 28, v12
	v_lshlrev_b64 v[6:7], v6, v[4:5]
	v_lshrrev_b32_e32 v11, 3, v5
	v_sub_u32_e32 v7, 29, v12
	v_and_b32_e32 v6, 7, v6
	v_cmp_gt_u32_e64 s[6:7], 8, v5
	v_cndmask_b32_e64 v5, v11, v7, s[6:7]
	v_cndmask_b32_e64 v6, v10, v6, s[6:7]
	v_bfrev_b32_e32 v10, 60
	v_lshlrev_b32_e32 v6, 20, v6
	v_and_b32_sdwa v7, sext(v4), s17 dst_sel:DWORD dst_unused:UNUSED_PAD src0_sel:BYTE_0 src1_sel:DWORD
	v_lshl_add_u32 v5, v5, 23, v10
	v_or3_b32 v18, v7, v5, v6
	v_pk_mov_b32 v[6:7], v[18:19], v[18:19] op_sel:[0,1]
.LBB237_491:                            ;   in Loop: Header=BB237_434 Depth=1
	s_or_b64 exec, exec, s[34:35]
.LBB237_492:                            ;   in Loop: Header=BB237_434 Depth=1
	s_or_b64 exec, exec, s[30:31]
.LBB237_493:                            ;   in Loop: Header=BB237_434 Depth=1
	s_or_b64 exec, exec, s[28:29]
	v_cmp_ne_u16_sdwa s[6:7], v4, v19 src0_sel:BYTE_1 src1_sel:DWORD
	s_and_saveexec_b64 s[28:29], s[6:7]
	s_cbranch_execz .LBB237_499
; %bb.494:                              ;   in Loop: Header=BB237_434 Depth=1
	v_cmp_ne_u16_sdwa s[6:7], v4, s9 src0_sel:BYTE_1 src1_sel:DWORD
	v_pk_mov_b32 v[8:9], s[16:17], s[16:17] op_sel:[0,1]
	s_and_saveexec_b64 s[30:31], s[6:7]
	s_cbranch_execz .LBB237_498
; %bb.495:                              ;   in Loop: Header=BB237_434 Depth=1
	v_and_b32_sdwa v5, v4, s15 dst_sel:DWORD dst_unused:UNUSED_PAD src0_sel:BYTE_1 src1_sel:DWORD
	s_mov_b32 s24, s16
	v_cmp_ne_u32_e64 s[6:7], s15, v5
	v_pk_mov_b32 v[8:9], s[24:25], s[24:25] op_sel:[0,1]
	s_and_saveexec_b64 s[34:35], s[6:7]
	s_cbranch_execz .LBB237_497
; %bb.496:                              ;   in Loop: Header=BB237_434 Depth=1
	v_mov_b32_e32 v8, 7
	v_and_b32_sdwa v18, v4, v8 dst_sel:DWORD dst_unused:UNUSED_PAD src0_sel:BYTE_1 src1_sel:DWORD
	v_ffbh_u32_e32 v8, v18
	v_min_u32_e32 v11, 32, v8
	v_subrev_u32_e32 v8, 28, v11
	v_lshlrev_b64 v[8:9], v8, v[18:19]
	v_lshrrev_b32_e32 v10, 3, v5
	v_sub_u32_e32 v9, 29, v11
	v_cmp_gt_u32_e64 s[6:7], 8, v5
	v_and_b32_e32 v8, 7, v8
	v_cndmask_b32_e64 v5, v10, v9, s[6:7]
	v_bfrev_b32_e32 v10, 60
	v_cndmask_b32_e64 v8, v18, v8, s[6:7]
	v_lshlrev_b32_e32 v9, 16, v4
	v_lshl_add_u32 v5, v5, 23, v10
	v_and_or_b32 v5, v9, s17, v5
	v_lshlrev_b32_e32 v8, 20, v8
	v_or_b32_e32 v9, v5, v8
	v_mov_b32_e32 v8, v19
.LBB237_497:                            ;   in Loop: Header=BB237_434 Depth=1
	s_or_b64 exec, exec, s[34:35]
.LBB237_498:                            ;   in Loop: Header=BB237_434 Depth=1
	s_or_b64 exec, exec, s[30:31]
.LBB237_499:                            ;   in Loop: Header=BB237_434 Depth=1
	s_or_b64 exec, exec, s[28:29]
	v_lshrrev_b32_e32 v16, 16, v4
	v_pk_mov_b32 v[12:13], 0, 0
	v_cmp_ne_u16_sdwa s[6:7], v16, v19 src0_sel:BYTE_0 src1_sel:DWORD
	v_pk_mov_b32 v[10:11], v[12:13], v[12:13] op_sel:[0,1]
	s_and_saveexec_b64 s[28:29], s[6:7]
	s_cbranch_execz .LBB237_505
; %bb.500:                              ;   in Loop: Header=BB237_434 Depth=1
	v_bfrev_b32_e32 v10, 1
	v_cmp_ne_u16_sdwa s[6:7], v16, s9 src0_sel:BYTE_0 src1_sel:DWORD
	v_mov_b32_e32 v11, 0
	s_and_saveexec_b64 s[30:31], s[6:7]
	s_cbranch_execz .LBB237_504
; %bb.501:                              ;   in Loop: Header=BB237_434 Depth=1
	v_bfe_u32 v5, v4, 16, 7
	v_mov_b32_e32 v10, 0x7f800001
	v_cmp_ne_u32_e64 s[6:7], s15, v5
	v_mov_b32_e32 v11, 0
	s_and_saveexec_b64 s[34:35], s[6:7]
	s_cbranch_execz .LBB237_503
; %bb.502:                              ;   in Loop: Header=BB237_434 Depth=1
	v_and_b32_e32 v17, 7, v16
	v_ffbh_u32_e32 v10, v17
	v_min_u32_e32 v20, 32, v10
	v_subrev_u32_e32 v10, 28, v20
	v_lshlrev_b64 v[10:11], v10, v[16:17]
	v_lshrrev_b32_e32 v18, 3, v5
	v_sub_u32_e32 v11, 29, v20
	v_and_b32_e32 v10, 7, v10
	v_cmp_gt_u32_e64 s[6:7], 8, v5
	v_cndmask_b32_e64 v5, v18, v11, s[6:7]
	v_cndmask_b32_e64 v10, v17, v10, s[6:7]
	v_and_b32_sdwa v11, sext(v16), s17 dst_sel:DWORD dst_unused:UNUSED_PAD src0_sel:BYTE_0 src1_sel:DWORD
	v_bfrev_b32_e32 v16, 60
	v_lshlrev_b32_e32 v10, 20, v10
	v_lshl_add_u32 v5, v5, 23, v16
	v_or3_b32 v18, v11, v5, v10
	v_pk_mov_b32 v[10:11], v[18:19], v[18:19] op_sel:[0,1]
.LBB237_503:                            ;   in Loop: Header=BB237_434 Depth=1
	s_or_b64 exec, exec, s[34:35]
.LBB237_504:                            ;   in Loop: Header=BB237_434 Depth=1
	s_or_b64 exec, exec, s[30:31]
.LBB237_505:                            ;   in Loop: Header=BB237_434 Depth=1
	s_or_b64 exec, exec, s[28:29]
	v_cmp_lt_u32_e64 s[6:7], s36, v4
	s_and_saveexec_b64 s[28:29], s[6:7]
	s_cbranch_execz .LBB237_511
; %bb.506:                              ;   in Loop: Header=BB237_434 Depth=1
	v_cmp_ne_u32_sdwa s[6:7], v4, s9 src0_sel:BYTE_3 src1_sel:DWORD
	v_pk_mov_b32 v[12:13], s[16:17], s[16:17] op_sel:[0,1]
	s_and_saveexec_b64 s[30:31], s[6:7]
	s_cbranch_execz .LBB237_510
; %bb.507:                              ;   in Loop: Header=BB237_434 Depth=1
	v_bfe_u32 v5, v4, 24, 7
	s_mov_b32 s24, s16
	v_cmp_ne_u32_e64 s[6:7], s15, v5
	v_pk_mov_b32 v[12:13], s[24:25], s[24:25] op_sel:[0,1]
	s_and_saveexec_b64 s[34:35], s[6:7]
	s_cbranch_execz .LBB237_509
; %bb.508:                              ;   in Loop: Header=BB237_434 Depth=1
	v_mov_b32_e32 v12, 7
	v_and_b32_sdwa v18, v4, v12 dst_sel:DWORD dst_unused:UNUSED_PAD src0_sel:BYTE_3 src1_sel:DWORD
	v_ffbh_u32_e32 v12, v18
	v_min_u32_e32 v17, 32, v12
	v_subrev_u32_e32 v12, 28, v17
	v_lshlrev_b64 v[12:13], v12, v[18:19]
	v_lshrrev_b32_e32 v16, 3, v5
	v_sub_u32_e32 v13, 29, v17
	v_cmp_gt_u32_e64 s[6:7], 8, v5
	v_cndmask_b32_e64 v5, v16, v13, s[6:7]
	v_mov_b32_e32 v13, 24
	v_and_b32_e32 v12, 7, v12
	v_lshlrev_b32_sdwa v4, v13, v4 dst_sel:DWORD dst_unused:UNUSED_PAD src0_sel:DWORD src1_sel:BYTE_3
	v_bfrev_b32_e32 v13, 60
	v_cndmask_b32_e64 v12, v18, v12, s[6:7]
	v_lshl_add_u32 v5, v5, 23, v13
	v_and_or_b32 v4, v4, s17, v5
	v_lshlrev_b32_e32 v5, 20, v12
	v_or_b32_e32 v13, v4, v5
	v_mov_b32_e32 v12, v19
.LBB237_509:                            ;   in Loop: Header=BB237_434 Depth=1
	s_or_b64 exec, exec, s[34:35]
.LBB237_510:                            ;   in Loop: Header=BB237_434 Depth=1
	s_or_b64 exec, exec, s[30:31]
.LBB237_511:                            ;   in Loop: Header=BB237_434 Depth=1
	s_or_b64 exec, exec, s[28:29]
	v_or_b32_e32 v5, v9, v7
	v_or_b32_e32 v4, v8, v6
	v_pk_mul_f32 v[4:5], v[26:27], v[4:5]
	v_accvgpr_write_b32 a9, v5
	v_accvgpr_write_b32 a8, v4
	v_or_b32_e32 v5, v13, v11
	v_or_b32_e32 v4, v12, v10
	v_pk_mul_f32 v[4:5], v[26:27], v[4:5]
	v_accvgpr_write_b32 a51, v5
	v_accvgpr_write_b32 a50, v4
	s_and_saveexec_b64 s[28:29], vcc
	s_cbranch_execz .LBB237_513
; %bb.512:                              ;   in Loop: Header=BB237_434 Depth=1
	v_accvgpr_read_b32 v4, a1
	v_cmp_lt_i32_e64 s[6:7], v4, v62
	v_accvgpr_read_b32 v6, a8
	v_accvgpr_read_b32 v4, a4
	v_accvgpr_read_b32 v7, a9
	v_cndmask_b32_e64 v6, 0, v6, s[6:7]
	v_cmp_lt_i32_e64 s[6:7], v4, v62
	v_cndmask_b32_e64 v7, 0, v7, s[6:7]
	v_accvgpr_write_b32 a9, v7
	v_accvgpr_read_b32 v4, a3
	v_accvgpr_write_b32 a8, v6
	v_cmp_lt_i32_e64 s[6:7], v4, v62
	v_accvgpr_read_b32 v6, a50
	v_accvgpr_read_b32 v4, a2
	v_accvgpr_read_b32 v7, a51
	v_cndmask_b32_e64 v6, 0, v6, s[6:7]
	v_cmp_lt_i32_e64 s[6:7], v4, v62
	v_cndmask_b32_e64 v7, 0, v7, s[6:7]
	v_accvgpr_write_b32 a51, v7
	v_accvgpr_write_b32 a50, v6
.LBB237_513:                            ;   in Loop: Header=BB237_434 Depth=1
	s_or_b64 exec, exec, s[28:29]
	flat_load_dword v4, v[54:55] offset:768
	v_pk_mov_b32 v[8:9], 0, 0
	v_pk_mov_b32 v[6:7], v[8:9], v[8:9] op_sel:[0,1]
	s_waitcnt vmcnt(0) lgkmcnt(0)
	v_cmp_ne_u16_sdwa s[6:7], v4, v19 src0_sel:BYTE_0 src1_sel:DWORD
	s_and_saveexec_b64 s[28:29], s[6:7]
	s_cbranch_execz .LBB237_519
; %bb.514:                              ;   in Loop: Header=BB237_434 Depth=1
	v_bfrev_b32_e32 v6, 1
	v_cmp_ne_u16_sdwa s[6:7], v4, s9 src0_sel:BYTE_0 src1_sel:DWORD
	v_mov_b32_e32 v7, 0
	s_and_saveexec_b64 s[30:31], s[6:7]
	s_cbranch_execz .LBB237_518
; %bb.515:                              ;   in Loop: Header=BB237_434 Depth=1
	v_and_b32_e32 v5, 0x7f, v4
	v_mov_b32_e32 v6, 0x7f800001
	v_cmp_ne_u32_e64 s[6:7], s15, v5
	v_mov_b32_e32 v7, 0
	s_and_saveexec_b64 s[34:35], s[6:7]
	s_cbranch_execz .LBB237_517
; %bb.516:                              ;   in Loop: Header=BB237_434 Depth=1
	v_and_b32_e32 v10, 7, v4
	v_ffbh_u32_e32 v6, v10
	v_min_u32_e32 v12, 32, v6
	v_subrev_u32_e32 v6, 28, v12
	v_lshlrev_b64 v[6:7], v6, v[4:5]
	v_lshrrev_b32_e32 v11, 3, v5
	v_sub_u32_e32 v7, 29, v12
	v_and_b32_e32 v6, 7, v6
	v_cmp_gt_u32_e64 s[6:7], 8, v5
	v_cndmask_b32_e64 v5, v11, v7, s[6:7]
	v_cndmask_b32_e64 v6, v10, v6, s[6:7]
	v_bfrev_b32_e32 v10, 60
	v_lshlrev_b32_e32 v6, 20, v6
	v_and_b32_sdwa v7, sext(v4), s17 dst_sel:DWORD dst_unused:UNUSED_PAD src0_sel:BYTE_0 src1_sel:DWORD
	v_lshl_add_u32 v5, v5, 23, v10
	v_or3_b32 v18, v7, v5, v6
	v_pk_mov_b32 v[6:7], v[18:19], v[18:19] op_sel:[0,1]
.LBB237_517:                            ;   in Loop: Header=BB237_434 Depth=1
	s_or_b64 exec, exec, s[34:35]
.LBB237_518:                            ;   in Loop: Header=BB237_434 Depth=1
	s_or_b64 exec, exec, s[30:31]
.LBB237_519:                            ;   in Loop: Header=BB237_434 Depth=1
	s_or_b64 exec, exec, s[28:29]
	v_cmp_ne_u16_sdwa s[6:7], v4, v19 src0_sel:BYTE_1 src1_sel:DWORD
	s_and_saveexec_b64 s[28:29], s[6:7]
	s_cbranch_execz .LBB237_525
; %bb.520:                              ;   in Loop: Header=BB237_434 Depth=1
	v_cmp_ne_u16_sdwa s[6:7], v4, s9 src0_sel:BYTE_1 src1_sel:DWORD
	v_pk_mov_b32 v[8:9], s[16:17], s[16:17] op_sel:[0,1]
	s_and_saveexec_b64 s[30:31], s[6:7]
	s_cbranch_execz .LBB237_524
; %bb.521:                              ;   in Loop: Header=BB237_434 Depth=1
	v_and_b32_sdwa v5, v4, s15 dst_sel:DWORD dst_unused:UNUSED_PAD src0_sel:BYTE_1 src1_sel:DWORD
	s_mov_b32 s24, s16
	v_cmp_ne_u32_e64 s[6:7], s15, v5
	v_pk_mov_b32 v[8:9], s[24:25], s[24:25] op_sel:[0,1]
	s_and_saveexec_b64 s[34:35], s[6:7]
	s_cbranch_execz .LBB237_523
; %bb.522:                              ;   in Loop: Header=BB237_434 Depth=1
	v_mov_b32_e32 v8, 7
	v_and_b32_sdwa v18, v4, v8 dst_sel:DWORD dst_unused:UNUSED_PAD src0_sel:BYTE_1 src1_sel:DWORD
	v_ffbh_u32_e32 v8, v18
	v_min_u32_e32 v11, 32, v8
	v_subrev_u32_e32 v8, 28, v11
	v_lshlrev_b64 v[8:9], v8, v[18:19]
	v_lshrrev_b32_e32 v10, 3, v5
	v_sub_u32_e32 v9, 29, v11
	v_cmp_gt_u32_e64 s[6:7], 8, v5
	v_and_b32_e32 v8, 7, v8
	v_cndmask_b32_e64 v5, v10, v9, s[6:7]
	v_bfrev_b32_e32 v10, 60
	v_cndmask_b32_e64 v8, v18, v8, s[6:7]
	v_lshlrev_b32_e32 v9, 16, v4
	v_lshl_add_u32 v5, v5, 23, v10
	v_and_or_b32 v5, v9, s17, v5
	v_lshlrev_b32_e32 v8, 20, v8
	v_or_b32_e32 v9, v5, v8
	v_mov_b32_e32 v8, v19
.LBB237_523:                            ;   in Loop: Header=BB237_434 Depth=1
	s_or_b64 exec, exec, s[34:35]
.LBB237_524:                            ;   in Loop: Header=BB237_434 Depth=1
	s_or_b64 exec, exec, s[30:31]
.LBB237_525:                            ;   in Loop: Header=BB237_434 Depth=1
	s_or_b64 exec, exec, s[28:29]
	v_lshrrev_b32_e32 v16, 16, v4
	v_pk_mov_b32 v[12:13], 0, 0
	v_cmp_ne_u16_sdwa s[6:7], v16, v19 src0_sel:BYTE_0 src1_sel:DWORD
	v_pk_mov_b32 v[10:11], v[12:13], v[12:13] op_sel:[0,1]
	s_and_saveexec_b64 s[28:29], s[6:7]
	s_cbranch_execz .LBB237_531
; %bb.526:                              ;   in Loop: Header=BB237_434 Depth=1
	v_bfrev_b32_e32 v10, 1
	v_cmp_ne_u16_sdwa s[6:7], v16, s9 src0_sel:BYTE_0 src1_sel:DWORD
	v_mov_b32_e32 v11, 0
	s_and_saveexec_b64 s[30:31], s[6:7]
	s_cbranch_execz .LBB237_530
; %bb.527:                              ;   in Loop: Header=BB237_434 Depth=1
	v_bfe_u32 v5, v4, 16, 7
	v_mov_b32_e32 v10, 0x7f800001
	v_cmp_ne_u32_e64 s[6:7], s15, v5
	v_mov_b32_e32 v11, 0
	s_and_saveexec_b64 s[34:35], s[6:7]
	s_cbranch_execz .LBB237_529
; %bb.528:                              ;   in Loop: Header=BB237_434 Depth=1
	v_and_b32_e32 v17, 7, v16
	v_ffbh_u32_e32 v10, v17
	v_min_u32_e32 v20, 32, v10
	v_subrev_u32_e32 v10, 28, v20
	v_lshlrev_b64 v[10:11], v10, v[16:17]
	v_lshrrev_b32_e32 v18, 3, v5
	v_sub_u32_e32 v11, 29, v20
	v_and_b32_e32 v10, 7, v10
	v_cmp_gt_u32_e64 s[6:7], 8, v5
	v_cndmask_b32_e64 v5, v18, v11, s[6:7]
	v_cndmask_b32_e64 v10, v17, v10, s[6:7]
	v_and_b32_sdwa v11, sext(v16), s17 dst_sel:DWORD dst_unused:UNUSED_PAD src0_sel:BYTE_0 src1_sel:DWORD
	v_bfrev_b32_e32 v16, 60
	v_lshlrev_b32_e32 v10, 20, v10
	v_lshl_add_u32 v5, v5, 23, v16
	v_or3_b32 v18, v11, v5, v10
	v_pk_mov_b32 v[10:11], v[18:19], v[18:19] op_sel:[0,1]
.LBB237_529:                            ;   in Loop: Header=BB237_434 Depth=1
	s_or_b64 exec, exec, s[34:35]
.LBB237_530:                            ;   in Loop: Header=BB237_434 Depth=1
	s_or_b64 exec, exec, s[30:31]
.LBB237_531:                            ;   in Loop: Header=BB237_434 Depth=1
	s_or_b64 exec, exec, s[28:29]
	v_cmp_lt_u32_e64 s[6:7], s36, v4
	s_and_saveexec_b64 s[28:29], s[6:7]
	s_cbranch_execz .LBB237_537
; %bb.532:                              ;   in Loop: Header=BB237_434 Depth=1
	v_cmp_ne_u32_sdwa s[6:7], v4, s9 src0_sel:BYTE_3 src1_sel:DWORD
	v_pk_mov_b32 v[12:13], s[16:17], s[16:17] op_sel:[0,1]
	s_and_saveexec_b64 s[30:31], s[6:7]
	s_cbranch_execz .LBB237_536
; %bb.533:                              ;   in Loop: Header=BB237_434 Depth=1
	v_bfe_u32 v5, v4, 24, 7
	s_mov_b32 s24, s16
	v_cmp_ne_u32_e64 s[6:7], s15, v5
	v_pk_mov_b32 v[12:13], s[24:25], s[24:25] op_sel:[0,1]
	s_and_saveexec_b64 s[34:35], s[6:7]
	s_cbranch_execz .LBB237_535
; %bb.534:                              ;   in Loop: Header=BB237_434 Depth=1
	v_mov_b32_e32 v12, 7
	v_and_b32_sdwa v18, v4, v12 dst_sel:DWORD dst_unused:UNUSED_PAD src0_sel:BYTE_3 src1_sel:DWORD
	v_ffbh_u32_e32 v12, v18
	v_min_u32_e32 v17, 32, v12
	v_subrev_u32_e32 v12, 28, v17
	v_lshlrev_b64 v[12:13], v12, v[18:19]
	v_lshrrev_b32_e32 v16, 3, v5
	v_sub_u32_e32 v13, 29, v17
	v_cmp_gt_u32_e64 s[6:7], 8, v5
	v_cndmask_b32_e64 v5, v16, v13, s[6:7]
	v_mov_b32_e32 v13, 24
	v_and_b32_e32 v12, 7, v12
	v_lshlrev_b32_sdwa v4, v13, v4 dst_sel:DWORD dst_unused:UNUSED_PAD src0_sel:DWORD src1_sel:BYTE_3
	v_bfrev_b32_e32 v13, 60
	v_cndmask_b32_e64 v12, v18, v12, s[6:7]
	v_lshl_add_u32 v5, v5, 23, v13
	v_and_or_b32 v4, v4, s17, v5
	v_lshlrev_b32_e32 v5, 20, v12
	v_or_b32_e32 v13, v4, v5
	v_mov_b32_e32 v12, v19
.LBB237_535:                            ;   in Loop: Header=BB237_434 Depth=1
	s_or_b64 exec, exec, s[34:35]
.LBB237_536:                            ;   in Loop: Header=BB237_434 Depth=1
	s_or_b64 exec, exec, s[30:31]
.LBB237_537:                            ;   in Loop: Header=BB237_434 Depth=1
	s_or_b64 exec, exec, s[28:29]
	v_or_b32_e32 v5, v9, v7
	v_or_b32_e32 v4, v8, v6
	v_pk_mul_f32 v[4:5], v[26:27], v[4:5]
	v_accvgpr_write_b32 a53, v5
	v_accvgpr_write_b32 a52, v4
	v_or_b32_e32 v5, v13, v11
	v_or_b32_e32 v4, v12, v10
	v_pk_mul_f32 v[4:5], v[26:27], v[4:5]
	v_accvgpr_write_b32 a55, v5
	v_accvgpr_write_b32 a54, v4
	s_and_saveexec_b64 s[28:29], vcc
	s_cbranch_execz .LBB237_539
; %bb.538:                              ;   in Loop: Header=BB237_434 Depth=1
	v_accvgpr_read_b32 v4, a1
	v_cmp_lt_i32_e64 s[6:7], v4, v62
	v_accvgpr_read_b32 v6, a52
	v_accvgpr_read_b32 v4, a4
	;; [unrolled: 1-line block ×3, first 2 shown]
	v_cndmask_b32_e64 v6, 0, v6, s[6:7]
	v_cmp_lt_i32_e64 s[6:7], v4, v62
	v_cndmask_b32_e64 v7, 0, v7, s[6:7]
	v_accvgpr_write_b32 a53, v7
	v_accvgpr_read_b32 v4, a3
	v_accvgpr_write_b32 a52, v6
	v_cmp_lt_i32_e64 s[6:7], v4, v62
	v_accvgpr_read_b32 v6, a54
	v_accvgpr_read_b32 v4, a2
	;; [unrolled: 1-line block ×3, first 2 shown]
	v_cndmask_b32_e64 v6, 0, v6, s[6:7]
	v_cmp_lt_i32_e64 s[6:7], v4, v62
	v_cndmask_b32_e64 v7, 0, v7, s[6:7]
	v_accvgpr_write_b32 a55, v7
	v_accvgpr_write_b32 a54, v6
.LBB237_539:                            ;   in Loop: Header=BB237_434 Depth=1
	s_or_b64 exec, exec, s[28:29]
	flat_load_dword v4, v[54:55] offset:1024
	v_pk_mov_b32 v[8:9], 0, 0
	v_pk_mov_b32 v[6:7], v[8:9], v[8:9] op_sel:[0,1]
	s_waitcnt vmcnt(0) lgkmcnt(0)
	v_cmp_ne_u16_sdwa s[6:7], v4, v19 src0_sel:BYTE_0 src1_sel:DWORD
	s_and_saveexec_b64 s[28:29], s[6:7]
	s_cbranch_execz .LBB237_545
; %bb.540:                              ;   in Loop: Header=BB237_434 Depth=1
	v_bfrev_b32_e32 v6, 1
	v_cmp_ne_u16_sdwa s[6:7], v4, s9 src0_sel:BYTE_0 src1_sel:DWORD
	v_mov_b32_e32 v7, 0
	s_and_saveexec_b64 s[30:31], s[6:7]
	s_cbranch_execz .LBB237_544
; %bb.541:                              ;   in Loop: Header=BB237_434 Depth=1
	v_and_b32_e32 v5, 0x7f, v4
	v_mov_b32_e32 v6, 0x7f800001
	v_cmp_ne_u32_e64 s[6:7], s15, v5
	v_mov_b32_e32 v7, 0
	s_and_saveexec_b64 s[34:35], s[6:7]
	s_cbranch_execz .LBB237_543
; %bb.542:                              ;   in Loop: Header=BB237_434 Depth=1
	v_and_b32_e32 v10, 7, v4
	v_ffbh_u32_e32 v6, v10
	v_min_u32_e32 v12, 32, v6
	v_subrev_u32_e32 v6, 28, v12
	v_lshlrev_b64 v[6:7], v6, v[4:5]
	v_lshrrev_b32_e32 v11, 3, v5
	v_sub_u32_e32 v7, 29, v12
	v_and_b32_e32 v6, 7, v6
	v_cmp_gt_u32_e64 s[6:7], 8, v5
	v_cndmask_b32_e64 v5, v11, v7, s[6:7]
	v_cndmask_b32_e64 v6, v10, v6, s[6:7]
	v_bfrev_b32_e32 v10, 60
	v_lshlrev_b32_e32 v6, 20, v6
	v_and_b32_sdwa v7, sext(v4), s17 dst_sel:DWORD dst_unused:UNUSED_PAD src0_sel:BYTE_0 src1_sel:DWORD
	v_lshl_add_u32 v5, v5, 23, v10
	v_or3_b32 v18, v7, v5, v6
	v_pk_mov_b32 v[6:7], v[18:19], v[18:19] op_sel:[0,1]
.LBB237_543:                            ;   in Loop: Header=BB237_434 Depth=1
	s_or_b64 exec, exec, s[34:35]
.LBB237_544:                            ;   in Loop: Header=BB237_434 Depth=1
	s_or_b64 exec, exec, s[30:31]
.LBB237_545:                            ;   in Loop: Header=BB237_434 Depth=1
	s_or_b64 exec, exec, s[28:29]
	v_cmp_ne_u16_sdwa s[6:7], v4, v19 src0_sel:BYTE_1 src1_sel:DWORD
	s_and_saveexec_b64 s[28:29], s[6:7]
	s_cbranch_execz .LBB237_551
; %bb.546:                              ;   in Loop: Header=BB237_434 Depth=1
	v_cmp_ne_u16_sdwa s[6:7], v4, s9 src0_sel:BYTE_1 src1_sel:DWORD
	v_pk_mov_b32 v[8:9], s[16:17], s[16:17] op_sel:[0,1]
	s_and_saveexec_b64 s[30:31], s[6:7]
	s_cbranch_execz .LBB237_550
; %bb.547:                              ;   in Loop: Header=BB237_434 Depth=1
	v_and_b32_sdwa v5, v4, s15 dst_sel:DWORD dst_unused:UNUSED_PAD src0_sel:BYTE_1 src1_sel:DWORD
	s_mov_b32 s24, s16
	v_cmp_ne_u32_e64 s[6:7], s15, v5
	v_pk_mov_b32 v[8:9], s[24:25], s[24:25] op_sel:[0,1]
	s_and_saveexec_b64 s[34:35], s[6:7]
	s_cbranch_execz .LBB237_549
; %bb.548:                              ;   in Loop: Header=BB237_434 Depth=1
	v_mov_b32_e32 v8, 7
	v_and_b32_sdwa v18, v4, v8 dst_sel:DWORD dst_unused:UNUSED_PAD src0_sel:BYTE_1 src1_sel:DWORD
	v_ffbh_u32_e32 v8, v18
	v_min_u32_e32 v11, 32, v8
	v_subrev_u32_e32 v8, 28, v11
	v_lshlrev_b64 v[8:9], v8, v[18:19]
	v_lshrrev_b32_e32 v10, 3, v5
	v_sub_u32_e32 v9, 29, v11
	v_cmp_gt_u32_e64 s[6:7], 8, v5
	v_and_b32_e32 v8, 7, v8
	v_cndmask_b32_e64 v5, v10, v9, s[6:7]
	v_bfrev_b32_e32 v10, 60
	v_cndmask_b32_e64 v8, v18, v8, s[6:7]
	v_lshlrev_b32_e32 v9, 16, v4
	v_lshl_add_u32 v5, v5, 23, v10
	v_and_or_b32 v5, v9, s17, v5
	v_lshlrev_b32_e32 v8, 20, v8
	v_or_b32_e32 v9, v5, v8
	v_mov_b32_e32 v8, v19
.LBB237_549:                            ;   in Loop: Header=BB237_434 Depth=1
	s_or_b64 exec, exec, s[34:35]
.LBB237_550:                            ;   in Loop: Header=BB237_434 Depth=1
	s_or_b64 exec, exec, s[30:31]
.LBB237_551:                            ;   in Loop: Header=BB237_434 Depth=1
	s_or_b64 exec, exec, s[28:29]
	v_lshrrev_b32_e32 v16, 16, v4
	v_pk_mov_b32 v[12:13], 0, 0
	v_cmp_ne_u16_sdwa s[6:7], v16, v19 src0_sel:BYTE_0 src1_sel:DWORD
	v_pk_mov_b32 v[10:11], v[12:13], v[12:13] op_sel:[0,1]
	s_and_saveexec_b64 s[28:29], s[6:7]
	s_cbranch_execz .LBB237_557
; %bb.552:                              ;   in Loop: Header=BB237_434 Depth=1
	v_bfrev_b32_e32 v10, 1
	v_cmp_ne_u16_sdwa s[6:7], v16, s9 src0_sel:BYTE_0 src1_sel:DWORD
	v_mov_b32_e32 v11, 0
	s_and_saveexec_b64 s[30:31], s[6:7]
	s_cbranch_execz .LBB237_556
; %bb.553:                              ;   in Loop: Header=BB237_434 Depth=1
	v_bfe_u32 v5, v4, 16, 7
	v_mov_b32_e32 v10, 0x7f800001
	v_cmp_ne_u32_e64 s[6:7], s15, v5
	v_mov_b32_e32 v11, 0
	s_and_saveexec_b64 s[34:35], s[6:7]
	s_cbranch_execz .LBB237_555
; %bb.554:                              ;   in Loop: Header=BB237_434 Depth=1
	v_and_b32_e32 v17, 7, v16
	v_ffbh_u32_e32 v10, v17
	v_min_u32_e32 v20, 32, v10
	v_subrev_u32_e32 v10, 28, v20
	v_lshlrev_b64 v[10:11], v10, v[16:17]
	v_lshrrev_b32_e32 v18, 3, v5
	v_sub_u32_e32 v11, 29, v20
	v_and_b32_e32 v10, 7, v10
	v_cmp_gt_u32_e64 s[6:7], 8, v5
	v_cndmask_b32_e64 v5, v18, v11, s[6:7]
	v_cndmask_b32_e64 v10, v17, v10, s[6:7]
	v_and_b32_sdwa v11, sext(v16), s17 dst_sel:DWORD dst_unused:UNUSED_PAD src0_sel:BYTE_0 src1_sel:DWORD
	v_bfrev_b32_e32 v16, 60
	v_lshlrev_b32_e32 v10, 20, v10
	v_lshl_add_u32 v5, v5, 23, v16
	v_or3_b32 v18, v11, v5, v10
	v_pk_mov_b32 v[10:11], v[18:19], v[18:19] op_sel:[0,1]
.LBB237_555:                            ;   in Loop: Header=BB237_434 Depth=1
	s_or_b64 exec, exec, s[34:35]
.LBB237_556:                            ;   in Loop: Header=BB237_434 Depth=1
	s_or_b64 exec, exec, s[30:31]
.LBB237_557:                            ;   in Loop: Header=BB237_434 Depth=1
	s_or_b64 exec, exec, s[28:29]
	v_cmp_lt_u32_e64 s[6:7], s36, v4
	s_and_saveexec_b64 s[28:29], s[6:7]
	s_cbranch_execz .LBB237_563
; %bb.558:                              ;   in Loop: Header=BB237_434 Depth=1
	v_cmp_ne_u32_sdwa s[6:7], v4, s9 src0_sel:BYTE_3 src1_sel:DWORD
	v_pk_mov_b32 v[12:13], s[16:17], s[16:17] op_sel:[0,1]
	s_and_saveexec_b64 s[30:31], s[6:7]
	s_cbranch_execz .LBB237_562
; %bb.559:                              ;   in Loop: Header=BB237_434 Depth=1
	v_bfe_u32 v5, v4, 24, 7
	s_mov_b32 s24, s16
	v_cmp_ne_u32_e64 s[6:7], s15, v5
	v_pk_mov_b32 v[12:13], s[24:25], s[24:25] op_sel:[0,1]
	s_and_saveexec_b64 s[34:35], s[6:7]
	s_cbranch_execz .LBB237_561
; %bb.560:                              ;   in Loop: Header=BB237_434 Depth=1
	v_mov_b32_e32 v12, 7
	v_and_b32_sdwa v18, v4, v12 dst_sel:DWORD dst_unused:UNUSED_PAD src0_sel:BYTE_3 src1_sel:DWORD
	v_ffbh_u32_e32 v12, v18
	v_min_u32_e32 v17, 32, v12
	v_subrev_u32_e32 v12, 28, v17
	v_lshlrev_b64 v[12:13], v12, v[18:19]
	v_lshrrev_b32_e32 v16, 3, v5
	v_sub_u32_e32 v13, 29, v17
	v_cmp_gt_u32_e64 s[6:7], 8, v5
	v_cndmask_b32_e64 v5, v16, v13, s[6:7]
	v_mov_b32_e32 v13, 24
	v_and_b32_e32 v12, 7, v12
	v_lshlrev_b32_sdwa v4, v13, v4 dst_sel:DWORD dst_unused:UNUSED_PAD src0_sel:DWORD src1_sel:BYTE_3
	v_bfrev_b32_e32 v13, 60
	v_cndmask_b32_e64 v12, v18, v12, s[6:7]
	v_lshl_add_u32 v5, v5, 23, v13
	v_and_or_b32 v4, v4, s17, v5
	v_lshlrev_b32_e32 v5, 20, v12
	v_or_b32_e32 v13, v4, v5
	v_mov_b32_e32 v12, v19
.LBB237_561:                            ;   in Loop: Header=BB237_434 Depth=1
	s_or_b64 exec, exec, s[34:35]
.LBB237_562:                            ;   in Loop: Header=BB237_434 Depth=1
	s_or_b64 exec, exec, s[30:31]
.LBB237_563:                            ;   in Loop: Header=BB237_434 Depth=1
	s_or_b64 exec, exec, s[28:29]
	v_or_b32_e32 v5, v9, v7
	v_or_b32_e32 v4, v8, v6
	v_pk_mul_f32 v[4:5], v[26:27], v[4:5]
	v_accvgpr_write_b32 a57, v5
	v_accvgpr_write_b32 a56, v4
	v_or_b32_e32 v5, v13, v11
	v_or_b32_e32 v4, v12, v10
	v_pk_mul_f32 v[4:5], v[26:27], v[4:5]
	v_accvgpr_write_b32 a59, v5
	v_accvgpr_write_b32 a58, v4
	s_and_saveexec_b64 s[28:29], vcc
	s_cbranch_execz .LBB237_565
; %bb.564:                              ;   in Loop: Header=BB237_434 Depth=1
	v_accvgpr_read_b32 v4, a1
	v_cmp_lt_i32_e64 s[6:7], v4, v62
	v_accvgpr_read_b32 v6, a56
	v_accvgpr_read_b32 v4, a4
	;; [unrolled: 1-line block ×3, first 2 shown]
	v_cndmask_b32_e64 v6, 0, v6, s[6:7]
	v_cmp_lt_i32_e64 s[6:7], v4, v62
	v_cndmask_b32_e64 v7, 0, v7, s[6:7]
	v_accvgpr_write_b32 a57, v7
	v_accvgpr_read_b32 v4, a3
	v_accvgpr_write_b32 a56, v6
	v_cmp_lt_i32_e64 s[6:7], v4, v62
	v_accvgpr_read_b32 v6, a58
	v_accvgpr_read_b32 v4, a2
	;; [unrolled: 1-line block ×3, first 2 shown]
	v_cndmask_b32_e64 v6, 0, v6, s[6:7]
	v_cmp_lt_i32_e64 s[6:7], v4, v62
	v_cndmask_b32_e64 v7, 0, v7, s[6:7]
	v_accvgpr_write_b32 a59, v7
	v_accvgpr_write_b32 a58, v6
.LBB237_565:                            ;   in Loop: Header=BB237_434 Depth=1
	s_or_b64 exec, exec, s[28:29]
	flat_load_dword v4, v[54:55] offset:1280
	v_pk_mov_b32 v[8:9], 0, 0
	v_pk_mov_b32 v[6:7], v[8:9], v[8:9] op_sel:[0,1]
	s_waitcnt vmcnt(0) lgkmcnt(0)
	v_cmp_ne_u16_sdwa s[6:7], v4, v19 src0_sel:BYTE_0 src1_sel:DWORD
	s_and_saveexec_b64 s[28:29], s[6:7]
	s_cbranch_execz .LBB237_571
; %bb.566:                              ;   in Loop: Header=BB237_434 Depth=1
	v_bfrev_b32_e32 v6, 1
	v_cmp_ne_u16_sdwa s[6:7], v4, s9 src0_sel:BYTE_0 src1_sel:DWORD
	v_mov_b32_e32 v7, 0
	s_and_saveexec_b64 s[30:31], s[6:7]
	s_cbranch_execz .LBB237_570
; %bb.567:                              ;   in Loop: Header=BB237_434 Depth=1
	v_and_b32_e32 v5, 0x7f, v4
	v_mov_b32_e32 v6, 0x7f800001
	v_cmp_ne_u32_e64 s[6:7], s15, v5
	v_mov_b32_e32 v7, 0
	s_and_saveexec_b64 s[34:35], s[6:7]
	s_cbranch_execz .LBB237_569
; %bb.568:                              ;   in Loop: Header=BB237_434 Depth=1
	v_and_b32_e32 v10, 7, v4
	v_ffbh_u32_e32 v6, v10
	v_min_u32_e32 v12, 32, v6
	v_subrev_u32_e32 v6, 28, v12
	v_lshlrev_b64 v[6:7], v6, v[4:5]
	v_lshrrev_b32_e32 v11, 3, v5
	v_sub_u32_e32 v7, 29, v12
	v_and_b32_e32 v6, 7, v6
	v_cmp_gt_u32_e64 s[6:7], 8, v5
	v_cndmask_b32_e64 v5, v11, v7, s[6:7]
	v_cndmask_b32_e64 v6, v10, v6, s[6:7]
	v_bfrev_b32_e32 v10, 60
	v_lshlrev_b32_e32 v6, 20, v6
	v_and_b32_sdwa v7, sext(v4), s17 dst_sel:DWORD dst_unused:UNUSED_PAD src0_sel:BYTE_0 src1_sel:DWORD
	v_lshl_add_u32 v5, v5, 23, v10
	v_or3_b32 v18, v7, v5, v6
	v_pk_mov_b32 v[6:7], v[18:19], v[18:19] op_sel:[0,1]
.LBB237_569:                            ;   in Loop: Header=BB237_434 Depth=1
	s_or_b64 exec, exec, s[34:35]
.LBB237_570:                            ;   in Loop: Header=BB237_434 Depth=1
	s_or_b64 exec, exec, s[30:31]
.LBB237_571:                            ;   in Loop: Header=BB237_434 Depth=1
	s_or_b64 exec, exec, s[28:29]
	v_cmp_ne_u16_sdwa s[6:7], v4, v19 src0_sel:BYTE_1 src1_sel:DWORD
	s_and_saveexec_b64 s[28:29], s[6:7]
	s_cbranch_execz .LBB237_577
; %bb.572:                              ;   in Loop: Header=BB237_434 Depth=1
	v_cmp_ne_u16_sdwa s[6:7], v4, s9 src0_sel:BYTE_1 src1_sel:DWORD
	v_pk_mov_b32 v[8:9], s[16:17], s[16:17] op_sel:[0,1]
	s_and_saveexec_b64 s[30:31], s[6:7]
	s_cbranch_execz .LBB237_576
; %bb.573:                              ;   in Loop: Header=BB237_434 Depth=1
	v_and_b32_sdwa v5, v4, s15 dst_sel:DWORD dst_unused:UNUSED_PAD src0_sel:BYTE_1 src1_sel:DWORD
	s_mov_b32 s24, s16
	v_cmp_ne_u32_e64 s[6:7], s15, v5
	v_pk_mov_b32 v[8:9], s[24:25], s[24:25] op_sel:[0,1]
	s_and_saveexec_b64 s[34:35], s[6:7]
	s_cbranch_execz .LBB237_575
; %bb.574:                              ;   in Loop: Header=BB237_434 Depth=1
	v_mov_b32_e32 v8, 7
	v_and_b32_sdwa v18, v4, v8 dst_sel:DWORD dst_unused:UNUSED_PAD src0_sel:BYTE_1 src1_sel:DWORD
	v_ffbh_u32_e32 v8, v18
	v_min_u32_e32 v11, 32, v8
	v_subrev_u32_e32 v8, 28, v11
	v_lshlrev_b64 v[8:9], v8, v[18:19]
	v_lshrrev_b32_e32 v10, 3, v5
	v_sub_u32_e32 v9, 29, v11
	v_cmp_gt_u32_e64 s[6:7], 8, v5
	v_and_b32_e32 v8, 7, v8
	v_cndmask_b32_e64 v5, v10, v9, s[6:7]
	v_bfrev_b32_e32 v10, 60
	v_cndmask_b32_e64 v8, v18, v8, s[6:7]
	v_lshlrev_b32_e32 v9, 16, v4
	v_lshl_add_u32 v5, v5, 23, v10
	v_and_or_b32 v5, v9, s17, v5
	v_lshlrev_b32_e32 v8, 20, v8
	v_or_b32_e32 v9, v5, v8
	v_mov_b32_e32 v8, v19
.LBB237_575:                            ;   in Loop: Header=BB237_434 Depth=1
	s_or_b64 exec, exec, s[34:35]
.LBB237_576:                            ;   in Loop: Header=BB237_434 Depth=1
	s_or_b64 exec, exec, s[30:31]
.LBB237_577:                            ;   in Loop: Header=BB237_434 Depth=1
	s_or_b64 exec, exec, s[28:29]
	v_lshrrev_b32_e32 v16, 16, v4
	v_pk_mov_b32 v[12:13], 0, 0
	v_cmp_ne_u16_sdwa s[6:7], v16, v19 src0_sel:BYTE_0 src1_sel:DWORD
	v_pk_mov_b32 v[10:11], v[12:13], v[12:13] op_sel:[0,1]
	s_and_saveexec_b64 s[28:29], s[6:7]
	s_cbranch_execz .LBB237_583
; %bb.578:                              ;   in Loop: Header=BB237_434 Depth=1
	v_bfrev_b32_e32 v10, 1
	v_cmp_ne_u16_sdwa s[6:7], v16, s9 src0_sel:BYTE_0 src1_sel:DWORD
	v_mov_b32_e32 v11, 0
	s_and_saveexec_b64 s[30:31], s[6:7]
	s_cbranch_execz .LBB237_582
; %bb.579:                              ;   in Loop: Header=BB237_434 Depth=1
	v_bfe_u32 v5, v4, 16, 7
	v_mov_b32_e32 v10, 0x7f800001
	v_cmp_ne_u32_e64 s[6:7], s15, v5
	v_mov_b32_e32 v11, 0
	s_and_saveexec_b64 s[34:35], s[6:7]
	s_cbranch_execz .LBB237_581
; %bb.580:                              ;   in Loop: Header=BB237_434 Depth=1
	v_and_b32_e32 v17, 7, v16
	v_ffbh_u32_e32 v10, v17
	v_min_u32_e32 v20, 32, v10
	v_subrev_u32_e32 v10, 28, v20
	v_lshlrev_b64 v[10:11], v10, v[16:17]
	v_lshrrev_b32_e32 v18, 3, v5
	v_sub_u32_e32 v11, 29, v20
	v_and_b32_e32 v10, 7, v10
	v_cmp_gt_u32_e64 s[6:7], 8, v5
	v_cndmask_b32_e64 v5, v18, v11, s[6:7]
	v_cndmask_b32_e64 v10, v17, v10, s[6:7]
	v_and_b32_sdwa v11, sext(v16), s17 dst_sel:DWORD dst_unused:UNUSED_PAD src0_sel:BYTE_0 src1_sel:DWORD
	v_bfrev_b32_e32 v16, 60
	v_lshlrev_b32_e32 v10, 20, v10
	v_lshl_add_u32 v5, v5, 23, v16
	v_or3_b32 v18, v11, v5, v10
	v_pk_mov_b32 v[10:11], v[18:19], v[18:19] op_sel:[0,1]
.LBB237_581:                            ;   in Loop: Header=BB237_434 Depth=1
	s_or_b64 exec, exec, s[34:35]
.LBB237_582:                            ;   in Loop: Header=BB237_434 Depth=1
	s_or_b64 exec, exec, s[30:31]
.LBB237_583:                            ;   in Loop: Header=BB237_434 Depth=1
	s_or_b64 exec, exec, s[28:29]
	v_cmp_lt_u32_e64 s[6:7], s36, v4
	s_and_saveexec_b64 s[28:29], s[6:7]
	s_cbranch_execz .LBB237_589
; %bb.584:                              ;   in Loop: Header=BB237_434 Depth=1
	v_cmp_ne_u32_sdwa s[6:7], v4, s9 src0_sel:BYTE_3 src1_sel:DWORD
	v_pk_mov_b32 v[12:13], s[16:17], s[16:17] op_sel:[0,1]
	s_and_saveexec_b64 s[30:31], s[6:7]
	s_cbranch_execz .LBB237_588
; %bb.585:                              ;   in Loop: Header=BB237_434 Depth=1
	v_bfe_u32 v5, v4, 24, 7
	s_mov_b32 s24, s16
	v_cmp_ne_u32_e64 s[6:7], s15, v5
	v_pk_mov_b32 v[12:13], s[24:25], s[24:25] op_sel:[0,1]
	s_and_saveexec_b64 s[34:35], s[6:7]
	s_cbranch_execz .LBB237_587
; %bb.586:                              ;   in Loop: Header=BB237_434 Depth=1
	v_mov_b32_e32 v12, 7
	v_and_b32_sdwa v18, v4, v12 dst_sel:DWORD dst_unused:UNUSED_PAD src0_sel:BYTE_3 src1_sel:DWORD
	v_ffbh_u32_e32 v12, v18
	v_min_u32_e32 v17, 32, v12
	v_subrev_u32_e32 v12, 28, v17
	v_lshlrev_b64 v[12:13], v12, v[18:19]
	v_lshrrev_b32_e32 v16, 3, v5
	v_sub_u32_e32 v13, 29, v17
	v_cmp_gt_u32_e64 s[6:7], 8, v5
	v_cndmask_b32_e64 v5, v16, v13, s[6:7]
	v_mov_b32_e32 v13, 24
	v_and_b32_e32 v12, 7, v12
	v_lshlrev_b32_sdwa v4, v13, v4 dst_sel:DWORD dst_unused:UNUSED_PAD src0_sel:DWORD src1_sel:BYTE_3
	v_bfrev_b32_e32 v13, 60
	v_cndmask_b32_e64 v12, v18, v12, s[6:7]
	v_lshl_add_u32 v5, v5, 23, v13
	v_and_or_b32 v4, v4, s17, v5
	v_lshlrev_b32_e32 v5, 20, v12
	v_or_b32_e32 v13, v4, v5
	v_mov_b32_e32 v12, v19
.LBB237_587:                            ;   in Loop: Header=BB237_434 Depth=1
	s_or_b64 exec, exec, s[34:35]
.LBB237_588:                            ;   in Loop: Header=BB237_434 Depth=1
	s_or_b64 exec, exec, s[30:31]
.LBB237_589:                            ;   in Loop: Header=BB237_434 Depth=1
	s_or_b64 exec, exec, s[28:29]
	v_or_b32_e32 v5, v9, v7
	v_or_b32_e32 v4, v8, v6
	v_pk_mul_f32 v[4:5], v[26:27], v[4:5]
	v_accvgpr_write_b32 a61, v5
	v_accvgpr_write_b32 a60, v4
	v_or_b32_e32 v5, v13, v11
	v_or_b32_e32 v4, v12, v10
	v_pk_mul_f32 v[28:29], v[26:27], v[4:5]
	s_and_saveexec_b64 s[28:29], vcc
	s_cbranch_execz .LBB237_591
; %bb.590:                              ;   in Loop: Header=BB237_434 Depth=1
	v_accvgpr_read_b32 v4, a1
	v_cmp_lt_i32_e64 s[6:7], v4, v62
	v_accvgpr_read_b32 v6, a60
	v_accvgpr_read_b32 v4, a4
	v_accvgpr_read_b32 v7, a61
	v_cndmask_b32_e64 v6, 0, v6, s[6:7]
	v_cmp_lt_i32_e64 s[6:7], v4, v62
	v_accvgpr_read_b32 v4, a3
	v_cndmask_b32_e64 v7, 0, v7, s[6:7]
	v_cmp_lt_i32_e64 s[6:7], v4, v62
	v_accvgpr_read_b32 v4, a2
	v_accvgpr_write_b32 a61, v7
	v_cndmask_b32_e64 v28, 0, v28, s[6:7]
	v_cmp_lt_i32_e64 s[6:7], v4, v62
	v_accvgpr_write_b32 a60, v6
	v_cndmask_b32_e64 v29, 0, v29, s[6:7]
.LBB237_591:                            ;   in Loop: Header=BB237_434 Depth=1
	s_or_b64 exec, exec, s[28:29]
	flat_load_dword v4, v[54:55] offset:1536
	v_pk_mov_b32 v[8:9], 0, 0
	v_pk_mov_b32 v[6:7], v[8:9], v[8:9] op_sel:[0,1]
	s_waitcnt vmcnt(0) lgkmcnt(0)
	v_cmp_ne_u16_sdwa s[6:7], v4, v19 src0_sel:BYTE_0 src1_sel:DWORD
	s_and_saveexec_b64 s[28:29], s[6:7]
	s_cbranch_execz .LBB237_597
; %bb.592:                              ;   in Loop: Header=BB237_434 Depth=1
	v_bfrev_b32_e32 v6, 1
	v_cmp_ne_u16_sdwa s[6:7], v4, s9 src0_sel:BYTE_0 src1_sel:DWORD
	v_mov_b32_e32 v7, 0
	s_and_saveexec_b64 s[30:31], s[6:7]
	s_cbranch_execz .LBB237_596
; %bb.593:                              ;   in Loop: Header=BB237_434 Depth=1
	v_and_b32_e32 v5, 0x7f, v4
	v_mov_b32_e32 v6, 0x7f800001
	v_cmp_ne_u32_e64 s[6:7], s15, v5
	v_mov_b32_e32 v7, 0
	s_and_saveexec_b64 s[34:35], s[6:7]
	s_cbranch_execz .LBB237_595
; %bb.594:                              ;   in Loop: Header=BB237_434 Depth=1
	v_and_b32_e32 v10, 7, v4
	v_ffbh_u32_e32 v6, v10
	v_min_u32_e32 v12, 32, v6
	v_subrev_u32_e32 v6, 28, v12
	v_lshlrev_b64 v[6:7], v6, v[4:5]
	v_lshrrev_b32_e32 v11, 3, v5
	v_sub_u32_e32 v7, 29, v12
	v_and_b32_e32 v6, 7, v6
	v_cmp_gt_u32_e64 s[6:7], 8, v5
	v_cndmask_b32_e64 v5, v11, v7, s[6:7]
	v_cndmask_b32_e64 v6, v10, v6, s[6:7]
	v_bfrev_b32_e32 v10, 60
	v_lshlrev_b32_e32 v6, 20, v6
	v_and_b32_sdwa v7, sext(v4), s17 dst_sel:DWORD dst_unused:UNUSED_PAD src0_sel:BYTE_0 src1_sel:DWORD
	v_lshl_add_u32 v5, v5, 23, v10
	v_or3_b32 v18, v7, v5, v6
	v_pk_mov_b32 v[6:7], v[18:19], v[18:19] op_sel:[0,1]
.LBB237_595:                            ;   in Loop: Header=BB237_434 Depth=1
	s_or_b64 exec, exec, s[34:35]
.LBB237_596:                            ;   in Loop: Header=BB237_434 Depth=1
	s_or_b64 exec, exec, s[30:31]
.LBB237_597:                            ;   in Loop: Header=BB237_434 Depth=1
	s_or_b64 exec, exec, s[28:29]
	v_cmp_ne_u16_sdwa s[6:7], v4, v19 src0_sel:BYTE_1 src1_sel:DWORD
	s_and_saveexec_b64 s[28:29], s[6:7]
	s_cbranch_execz .LBB237_603
; %bb.598:                              ;   in Loop: Header=BB237_434 Depth=1
	v_cmp_ne_u16_sdwa s[6:7], v4, s9 src0_sel:BYTE_1 src1_sel:DWORD
	v_pk_mov_b32 v[8:9], s[16:17], s[16:17] op_sel:[0,1]
	s_and_saveexec_b64 s[30:31], s[6:7]
	s_cbranch_execz .LBB237_602
; %bb.599:                              ;   in Loop: Header=BB237_434 Depth=1
	v_and_b32_sdwa v5, v4, s15 dst_sel:DWORD dst_unused:UNUSED_PAD src0_sel:BYTE_1 src1_sel:DWORD
	s_mov_b32 s24, s16
	v_cmp_ne_u32_e64 s[6:7], s15, v5
	v_pk_mov_b32 v[8:9], s[24:25], s[24:25] op_sel:[0,1]
	s_and_saveexec_b64 s[34:35], s[6:7]
	s_cbranch_execz .LBB237_601
; %bb.600:                              ;   in Loop: Header=BB237_434 Depth=1
	v_mov_b32_e32 v8, 7
	v_and_b32_sdwa v18, v4, v8 dst_sel:DWORD dst_unused:UNUSED_PAD src0_sel:BYTE_1 src1_sel:DWORD
	v_ffbh_u32_e32 v8, v18
	v_min_u32_e32 v11, 32, v8
	v_subrev_u32_e32 v8, 28, v11
	v_lshlrev_b64 v[8:9], v8, v[18:19]
	v_lshrrev_b32_e32 v10, 3, v5
	v_sub_u32_e32 v9, 29, v11
	v_cmp_gt_u32_e64 s[6:7], 8, v5
	v_and_b32_e32 v8, 7, v8
	v_cndmask_b32_e64 v5, v10, v9, s[6:7]
	v_bfrev_b32_e32 v10, 60
	v_cndmask_b32_e64 v8, v18, v8, s[6:7]
	v_lshlrev_b32_e32 v9, 16, v4
	v_lshl_add_u32 v5, v5, 23, v10
	v_and_or_b32 v5, v9, s17, v5
	v_lshlrev_b32_e32 v8, 20, v8
	v_or_b32_e32 v9, v5, v8
	v_mov_b32_e32 v8, v19
.LBB237_601:                            ;   in Loop: Header=BB237_434 Depth=1
	s_or_b64 exec, exec, s[34:35]
.LBB237_602:                            ;   in Loop: Header=BB237_434 Depth=1
	s_or_b64 exec, exec, s[30:31]
.LBB237_603:                            ;   in Loop: Header=BB237_434 Depth=1
	s_or_b64 exec, exec, s[28:29]
	v_lshrrev_b32_e32 v16, 16, v4
	v_pk_mov_b32 v[12:13], 0, 0
	v_cmp_ne_u16_sdwa s[6:7], v16, v19 src0_sel:BYTE_0 src1_sel:DWORD
	v_pk_mov_b32 v[10:11], v[12:13], v[12:13] op_sel:[0,1]
	s_and_saveexec_b64 s[28:29], s[6:7]
	s_cbranch_execz .LBB237_609
; %bb.604:                              ;   in Loop: Header=BB237_434 Depth=1
	v_bfrev_b32_e32 v10, 1
	v_cmp_ne_u16_sdwa s[6:7], v16, s9 src0_sel:BYTE_0 src1_sel:DWORD
	v_mov_b32_e32 v11, 0
	s_and_saveexec_b64 s[30:31], s[6:7]
	s_cbranch_execz .LBB237_608
; %bb.605:                              ;   in Loop: Header=BB237_434 Depth=1
	v_bfe_u32 v5, v4, 16, 7
	v_mov_b32_e32 v10, 0x7f800001
	v_cmp_ne_u32_e64 s[6:7], s15, v5
	v_mov_b32_e32 v11, 0
	s_and_saveexec_b64 s[34:35], s[6:7]
	s_cbranch_execz .LBB237_607
; %bb.606:                              ;   in Loop: Header=BB237_434 Depth=1
	v_and_b32_e32 v17, 7, v16
	v_ffbh_u32_e32 v10, v17
	v_min_u32_e32 v20, 32, v10
	v_subrev_u32_e32 v10, 28, v20
	v_lshlrev_b64 v[10:11], v10, v[16:17]
	v_lshrrev_b32_e32 v18, 3, v5
	v_sub_u32_e32 v11, 29, v20
	v_and_b32_e32 v10, 7, v10
	v_cmp_gt_u32_e64 s[6:7], 8, v5
	v_cndmask_b32_e64 v5, v18, v11, s[6:7]
	v_cndmask_b32_e64 v10, v17, v10, s[6:7]
	v_and_b32_sdwa v11, sext(v16), s17 dst_sel:DWORD dst_unused:UNUSED_PAD src0_sel:BYTE_0 src1_sel:DWORD
	v_bfrev_b32_e32 v16, 60
	v_lshlrev_b32_e32 v10, 20, v10
	v_lshl_add_u32 v5, v5, 23, v16
	v_or3_b32 v18, v11, v5, v10
	v_pk_mov_b32 v[10:11], v[18:19], v[18:19] op_sel:[0,1]
.LBB237_607:                            ;   in Loop: Header=BB237_434 Depth=1
	s_or_b64 exec, exec, s[34:35]
.LBB237_608:                            ;   in Loop: Header=BB237_434 Depth=1
	s_or_b64 exec, exec, s[30:31]
.LBB237_609:                            ;   in Loop: Header=BB237_434 Depth=1
	s_or_b64 exec, exec, s[28:29]
	v_cmp_lt_u32_e64 s[6:7], s36, v4
	s_and_saveexec_b64 s[28:29], s[6:7]
	s_cbranch_execz .LBB237_615
; %bb.610:                              ;   in Loop: Header=BB237_434 Depth=1
	v_cmp_ne_u32_sdwa s[6:7], v4, s9 src0_sel:BYTE_3 src1_sel:DWORD
	v_pk_mov_b32 v[12:13], s[16:17], s[16:17] op_sel:[0,1]
	s_and_saveexec_b64 s[30:31], s[6:7]
	s_cbranch_execz .LBB237_614
; %bb.611:                              ;   in Loop: Header=BB237_434 Depth=1
	v_bfe_u32 v5, v4, 24, 7
	s_mov_b32 s24, s16
	v_cmp_ne_u32_e64 s[6:7], s15, v5
	v_pk_mov_b32 v[12:13], s[24:25], s[24:25] op_sel:[0,1]
	s_and_saveexec_b64 s[34:35], s[6:7]
	s_cbranch_execz .LBB237_613
; %bb.612:                              ;   in Loop: Header=BB237_434 Depth=1
	v_mov_b32_e32 v12, 7
	v_and_b32_sdwa v18, v4, v12 dst_sel:DWORD dst_unused:UNUSED_PAD src0_sel:BYTE_3 src1_sel:DWORD
	v_ffbh_u32_e32 v12, v18
	v_min_u32_e32 v17, 32, v12
	v_subrev_u32_e32 v12, 28, v17
	v_lshlrev_b64 v[12:13], v12, v[18:19]
	v_lshrrev_b32_e32 v16, 3, v5
	v_sub_u32_e32 v13, 29, v17
	v_cmp_gt_u32_e64 s[6:7], 8, v5
	v_cndmask_b32_e64 v5, v16, v13, s[6:7]
	v_mov_b32_e32 v13, 24
	v_and_b32_e32 v12, 7, v12
	v_lshlrev_b32_sdwa v4, v13, v4 dst_sel:DWORD dst_unused:UNUSED_PAD src0_sel:DWORD src1_sel:BYTE_3
	v_bfrev_b32_e32 v13, 60
	v_cndmask_b32_e64 v12, v18, v12, s[6:7]
	v_lshl_add_u32 v5, v5, 23, v13
	v_and_or_b32 v4, v4, s17, v5
	v_lshlrev_b32_e32 v5, 20, v12
	v_or_b32_e32 v13, v4, v5
	v_mov_b32_e32 v12, v19
.LBB237_613:                            ;   in Loop: Header=BB237_434 Depth=1
	s_or_b64 exec, exec, s[34:35]
.LBB237_614:                            ;   in Loop: Header=BB237_434 Depth=1
	s_or_b64 exec, exec, s[30:31]
.LBB237_615:                            ;   in Loop: Header=BB237_434 Depth=1
	s_or_b64 exec, exec, s[28:29]
	v_or_b32_e32 v5, v9, v7
	v_or_b32_e32 v4, v8, v6
	v_pk_mul_f32 v[32:33], v[26:27], v[4:5]
	v_or_b32_e32 v5, v13, v11
	v_or_b32_e32 v4, v12, v10
	v_pk_mul_f32 v[34:35], v[26:27], v[4:5]
	s_and_saveexec_b64 s[28:29], vcc
	s_cbranch_execz .LBB237_617
; %bb.616:                              ;   in Loop: Header=BB237_434 Depth=1
	v_accvgpr_read_b32 v4, a1
	v_cmp_lt_i32_e64 s[6:7], v4, v62
	v_accvgpr_read_b32 v4, a4
	v_cndmask_b32_e64 v32, 0, v32, s[6:7]
	v_cmp_lt_i32_e64 s[6:7], v4, v62
	v_accvgpr_read_b32 v4, a3
	v_cndmask_b32_e64 v33, 0, v33, s[6:7]
	;; [unrolled: 3-line block ×3, first 2 shown]
	v_cmp_lt_i32_e64 s[6:7], v4, v62
	v_cndmask_b32_e64 v35, 0, v35, s[6:7]
.LBB237_617:                            ;   in Loop: Header=BB237_434 Depth=1
	s_or_b64 exec, exec, s[28:29]
	flat_load_dword v4, v[54:55] offset:1792
	v_pk_mov_b32 v[8:9], 0, 0
	v_pk_mov_b32 v[6:7], v[8:9], v[8:9] op_sel:[0,1]
	s_waitcnt vmcnt(0) lgkmcnt(0)
	v_cmp_ne_u16_sdwa s[6:7], v4, v19 src0_sel:BYTE_0 src1_sel:DWORD
	s_and_saveexec_b64 s[28:29], s[6:7]
	s_cbranch_execz .LBB237_623
; %bb.618:                              ;   in Loop: Header=BB237_434 Depth=1
	v_bfrev_b32_e32 v6, 1
	v_cmp_ne_u16_sdwa s[6:7], v4, s9 src0_sel:BYTE_0 src1_sel:DWORD
	v_mov_b32_e32 v7, 0
	s_and_saveexec_b64 s[30:31], s[6:7]
	s_cbranch_execz .LBB237_622
; %bb.619:                              ;   in Loop: Header=BB237_434 Depth=1
	v_and_b32_e32 v5, 0x7f, v4
	v_mov_b32_e32 v6, 0x7f800001
	v_cmp_ne_u32_e64 s[6:7], s15, v5
	v_mov_b32_e32 v7, 0
	s_and_saveexec_b64 s[34:35], s[6:7]
	s_cbranch_execz .LBB237_621
; %bb.620:                              ;   in Loop: Header=BB237_434 Depth=1
	v_and_b32_e32 v10, 7, v4
	v_ffbh_u32_e32 v6, v10
	v_min_u32_e32 v12, 32, v6
	v_subrev_u32_e32 v6, 28, v12
	v_lshlrev_b64 v[6:7], v6, v[4:5]
	v_lshrrev_b32_e32 v11, 3, v5
	v_sub_u32_e32 v7, 29, v12
	v_and_b32_e32 v6, 7, v6
	v_cmp_gt_u32_e64 s[6:7], 8, v5
	v_cndmask_b32_e64 v5, v11, v7, s[6:7]
	v_cndmask_b32_e64 v6, v10, v6, s[6:7]
	v_bfrev_b32_e32 v10, 60
	v_lshlrev_b32_e32 v6, 20, v6
	v_and_b32_sdwa v7, sext(v4), s17 dst_sel:DWORD dst_unused:UNUSED_PAD src0_sel:BYTE_0 src1_sel:DWORD
	v_lshl_add_u32 v5, v5, 23, v10
	v_or3_b32 v18, v7, v5, v6
	v_pk_mov_b32 v[6:7], v[18:19], v[18:19] op_sel:[0,1]
.LBB237_621:                            ;   in Loop: Header=BB237_434 Depth=1
	s_or_b64 exec, exec, s[34:35]
.LBB237_622:                            ;   in Loop: Header=BB237_434 Depth=1
	s_or_b64 exec, exec, s[30:31]
.LBB237_623:                            ;   in Loop: Header=BB237_434 Depth=1
	s_or_b64 exec, exec, s[28:29]
	v_cmp_ne_u16_sdwa s[6:7], v4, v19 src0_sel:BYTE_1 src1_sel:DWORD
	s_and_saveexec_b64 s[28:29], s[6:7]
	s_cbranch_execz .LBB237_629
; %bb.624:                              ;   in Loop: Header=BB237_434 Depth=1
	v_cmp_ne_u16_sdwa s[6:7], v4, s9 src0_sel:BYTE_1 src1_sel:DWORD
	v_pk_mov_b32 v[8:9], s[16:17], s[16:17] op_sel:[0,1]
	s_and_saveexec_b64 s[30:31], s[6:7]
	s_cbranch_execz .LBB237_628
; %bb.625:                              ;   in Loop: Header=BB237_434 Depth=1
	v_and_b32_sdwa v5, v4, s15 dst_sel:DWORD dst_unused:UNUSED_PAD src0_sel:BYTE_1 src1_sel:DWORD
	s_mov_b32 s24, s16
	v_cmp_ne_u32_e64 s[6:7], s15, v5
	v_pk_mov_b32 v[8:9], s[24:25], s[24:25] op_sel:[0,1]
	s_and_saveexec_b64 s[34:35], s[6:7]
	s_cbranch_execz .LBB237_627
; %bb.626:                              ;   in Loop: Header=BB237_434 Depth=1
	v_mov_b32_e32 v8, 7
	v_and_b32_sdwa v18, v4, v8 dst_sel:DWORD dst_unused:UNUSED_PAD src0_sel:BYTE_1 src1_sel:DWORD
	v_ffbh_u32_e32 v8, v18
	v_min_u32_e32 v11, 32, v8
	v_subrev_u32_e32 v8, 28, v11
	v_lshlrev_b64 v[8:9], v8, v[18:19]
	v_lshrrev_b32_e32 v10, 3, v5
	v_sub_u32_e32 v9, 29, v11
	v_cmp_gt_u32_e64 s[6:7], 8, v5
	v_and_b32_e32 v8, 7, v8
	v_cndmask_b32_e64 v5, v10, v9, s[6:7]
	v_bfrev_b32_e32 v10, 60
	v_cndmask_b32_e64 v8, v18, v8, s[6:7]
	v_lshlrev_b32_e32 v9, 16, v4
	v_lshl_add_u32 v5, v5, 23, v10
	v_and_or_b32 v5, v9, s17, v5
	v_lshlrev_b32_e32 v8, 20, v8
	v_or_b32_e32 v9, v5, v8
	v_mov_b32_e32 v8, v19
.LBB237_627:                            ;   in Loop: Header=BB237_434 Depth=1
	s_or_b64 exec, exec, s[34:35]
.LBB237_628:                            ;   in Loop: Header=BB237_434 Depth=1
	s_or_b64 exec, exec, s[30:31]
.LBB237_629:                            ;   in Loop: Header=BB237_434 Depth=1
	s_or_b64 exec, exec, s[28:29]
	v_lshrrev_b32_e32 v16, 16, v4
	v_pk_mov_b32 v[12:13], 0, 0
	v_cmp_ne_u16_sdwa s[6:7], v16, v19 src0_sel:BYTE_0 src1_sel:DWORD
	v_pk_mov_b32 v[10:11], v[12:13], v[12:13] op_sel:[0,1]
	s_and_saveexec_b64 s[28:29], s[6:7]
	s_cbranch_execz .LBB237_635
; %bb.630:                              ;   in Loop: Header=BB237_434 Depth=1
	v_bfrev_b32_e32 v10, 1
	v_cmp_ne_u16_sdwa s[6:7], v16, s9 src0_sel:BYTE_0 src1_sel:DWORD
	v_mov_b32_e32 v11, 0
	s_and_saveexec_b64 s[30:31], s[6:7]
	s_cbranch_execz .LBB237_634
; %bb.631:                              ;   in Loop: Header=BB237_434 Depth=1
	v_bfe_u32 v5, v4, 16, 7
	v_mov_b32_e32 v10, 0x7f800001
	v_cmp_ne_u32_e64 s[6:7], s15, v5
	v_mov_b32_e32 v11, 0
	s_and_saveexec_b64 s[34:35], s[6:7]
	s_cbranch_execz .LBB237_633
; %bb.632:                              ;   in Loop: Header=BB237_434 Depth=1
	v_and_b32_e32 v17, 7, v16
	v_ffbh_u32_e32 v10, v17
	v_min_u32_e32 v20, 32, v10
	v_subrev_u32_e32 v10, 28, v20
	v_lshlrev_b64 v[10:11], v10, v[16:17]
	v_lshrrev_b32_e32 v18, 3, v5
	v_sub_u32_e32 v11, 29, v20
	v_and_b32_e32 v10, 7, v10
	v_cmp_gt_u32_e64 s[6:7], 8, v5
	v_cndmask_b32_e64 v5, v18, v11, s[6:7]
	v_cndmask_b32_e64 v10, v17, v10, s[6:7]
	v_and_b32_sdwa v11, sext(v16), s17 dst_sel:DWORD dst_unused:UNUSED_PAD src0_sel:BYTE_0 src1_sel:DWORD
	v_bfrev_b32_e32 v16, 60
	v_lshlrev_b32_e32 v10, 20, v10
	v_lshl_add_u32 v5, v5, 23, v16
	v_or3_b32 v18, v11, v5, v10
	v_pk_mov_b32 v[10:11], v[18:19], v[18:19] op_sel:[0,1]
.LBB237_633:                            ;   in Loop: Header=BB237_434 Depth=1
	s_or_b64 exec, exec, s[34:35]
.LBB237_634:                            ;   in Loop: Header=BB237_434 Depth=1
	s_or_b64 exec, exec, s[30:31]
.LBB237_635:                            ;   in Loop: Header=BB237_434 Depth=1
	s_or_b64 exec, exec, s[28:29]
	v_cmp_lt_u32_e64 s[6:7], s36, v4
	s_and_saveexec_b64 s[28:29], s[6:7]
	s_cbranch_execz .LBB237_641
; %bb.636:                              ;   in Loop: Header=BB237_434 Depth=1
	v_cmp_ne_u32_sdwa s[6:7], v4, s9 src0_sel:BYTE_3 src1_sel:DWORD
	v_pk_mov_b32 v[12:13], s[16:17], s[16:17] op_sel:[0,1]
	s_and_saveexec_b64 s[30:31], s[6:7]
	s_cbranch_execz .LBB237_640
; %bb.637:                              ;   in Loop: Header=BB237_434 Depth=1
	v_bfe_u32 v5, v4, 24, 7
	s_mov_b32 s24, s16
	v_cmp_ne_u32_e64 s[6:7], s15, v5
	v_pk_mov_b32 v[12:13], s[24:25], s[24:25] op_sel:[0,1]
	s_and_saveexec_b64 s[34:35], s[6:7]
	s_cbranch_execz .LBB237_639
; %bb.638:                              ;   in Loop: Header=BB237_434 Depth=1
	v_mov_b32_e32 v12, 7
	v_and_b32_sdwa v18, v4, v12 dst_sel:DWORD dst_unused:UNUSED_PAD src0_sel:BYTE_3 src1_sel:DWORD
	v_ffbh_u32_e32 v12, v18
	v_min_u32_e32 v17, 32, v12
	v_subrev_u32_e32 v12, 28, v17
	v_lshlrev_b64 v[12:13], v12, v[18:19]
	v_lshrrev_b32_e32 v16, 3, v5
	v_sub_u32_e32 v13, 29, v17
	v_cmp_gt_u32_e64 s[6:7], 8, v5
	v_cndmask_b32_e64 v5, v16, v13, s[6:7]
	v_mov_b32_e32 v13, 24
	v_and_b32_e32 v12, 7, v12
	v_lshlrev_b32_sdwa v4, v13, v4 dst_sel:DWORD dst_unused:UNUSED_PAD src0_sel:DWORD src1_sel:BYTE_3
	v_bfrev_b32_e32 v13, 60
	v_cndmask_b32_e64 v12, v18, v12, s[6:7]
	v_lshl_add_u32 v5, v5, 23, v13
	v_and_or_b32 v4, v4, s17, v5
	v_lshlrev_b32_e32 v5, 20, v12
	v_or_b32_e32 v13, v4, v5
	v_mov_b32_e32 v12, v19
.LBB237_639:                            ;   in Loop: Header=BB237_434 Depth=1
	s_or_b64 exec, exec, s[34:35]
.LBB237_640:                            ;   in Loop: Header=BB237_434 Depth=1
	s_or_b64 exec, exec, s[30:31]
.LBB237_641:                            ;   in Loop: Header=BB237_434 Depth=1
	s_or_b64 exec, exec, s[28:29]
	v_or_b32_e32 v5, v9, v7
	v_or_b32_e32 v4, v8, v6
	v_pk_mul_f32 v[48:49], v[26:27], v[4:5]
	v_or_b32_e32 v5, v13, v11
	v_or_b32_e32 v4, v12, v10
	v_pk_mul_f32 v[4:5], v[26:27], v[4:5]
	s_and_saveexec_b64 s[28:29], vcc
	s_cbranch_execz .LBB237_643
; %bb.642:                              ;   in Loop: Header=BB237_434 Depth=1
	v_accvgpr_read_b32 v6, a1
	v_cmp_lt_i32_e64 s[6:7], v6, v62
	v_accvgpr_read_b32 v6, a4
	v_cndmask_b32_e64 v48, 0, v48, s[6:7]
	v_cmp_lt_i32_e64 s[6:7], v6, v62
	v_accvgpr_read_b32 v6, a3
	v_cndmask_b32_e64 v49, 0, v49, s[6:7]
	;; [unrolled: 3-line block ×3, first 2 shown]
	v_cmp_lt_i32_e64 s[6:7], v6, v62
	v_cndmask_b32_e64 v5, 0, v5, s[6:7]
.LBB237_643:                            ;   in Loop: Header=BB237_434 Depth=1
	s_or_b64 exec, exec, s[28:29]
	flat_load_dword v6, v[54:55] offset:2048
	v_pk_mov_b32 v[10:11], 0, 0
	v_pk_mov_b32 v[8:9], v[10:11], v[10:11] op_sel:[0,1]
	s_waitcnt vmcnt(0) lgkmcnt(0)
	v_cmp_ne_u16_sdwa s[6:7], v6, v19 src0_sel:BYTE_0 src1_sel:DWORD
	s_and_saveexec_b64 s[28:29], s[6:7]
	s_cbranch_execz .LBB237_649
; %bb.644:                              ;   in Loop: Header=BB237_434 Depth=1
	v_bfrev_b32_e32 v8, 1
	v_cmp_ne_u16_sdwa s[6:7], v6, s9 src0_sel:BYTE_0 src1_sel:DWORD
	v_mov_b32_e32 v9, 0
	s_and_saveexec_b64 s[30:31], s[6:7]
	s_cbranch_execz .LBB237_648
; %bb.645:                              ;   in Loop: Header=BB237_434 Depth=1
	v_and_b32_e32 v7, 0x7f, v6
	v_mov_b32_e32 v8, 0x7f800001
	v_cmp_ne_u32_e64 s[6:7], s15, v7
	v_mov_b32_e32 v9, 0
	s_and_saveexec_b64 s[34:35], s[6:7]
	s_cbranch_execz .LBB237_647
; %bb.646:                              ;   in Loop: Header=BB237_434 Depth=1
	v_and_b32_e32 v12, 7, v6
	v_ffbh_u32_e32 v8, v12
	v_min_u32_e32 v16, 32, v8
	v_subrev_u32_e32 v8, 28, v16
	v_lshlrev_b64 v[8:9], v8, v[6:7]
	v_lshrrev_b32_e32 v13, 3, v7
	v_sub_u32_e32 v9, 29, v16
	v_and_b32_e32 v8, 7, v8
	v_cmp_gt_u32_e64 s[6:7], 8, v7
	v_cndmask_b32_e64 v7, v13, v9, s[6:7]
	v_cndmask_b32_e64 v8, v12, v8, s[6:7]
	v_bfrev_b32_e32 v12, 60
	v_lshlrev_b32_e32 v8, 20, v8
	v_and_b32_sdwa v9, sext(v6), s17 dst_sel:DWORD dst_unused:UNUSED_PAD src0_sel:BYTE_0 src1_sel:DWORD
	v_lshl_add_u32 v7, v7, 23, v12
	v_or3_b32 v18, v9, v7, v8
	v_pk_mov_b32 v[8:9], v[18:19], v[18:19] op_sel:[0,1]
.LBB237_647:                            ;   in Loop: Header=BB237_434 Depth=1
	s_or_b64 exec, exec, s[34:35]
.LBB237_648:                            ;   in Loop: Header=BB237_434 Depth=1
	s_or_b64 exec, exec, s[30:31]
.LBB237_649:                            ;   in Loop: Header=BB237_434 Depth=1
	s_or_b64 exec, exec, s[28:29]
	v_cmp_ne_u16_sdwa s[6:7], v6, v19 src0_sel:BYTE_1 src1_sel:DWORD
	s_and_saveexec_b64 s[28:29], s[6:7]
	s_cbranch_execz .LBB237_655
; %bb.650:                              ;   in Loop: Header=BB237_434 Depth=1
	v_cmp_ne_u16_sdwa s[6:7], v6, s9 src0_sel:BYTE_1 src1_sel:DWORD
	v_pk_mov_b32 v[10:11], s[16:17], s[16:17] op_sel:[0,1]
	s_and_saveexec_b64 s[30:31], s[6:7]
	s_cbranch_execz .LBB237_654
; %bb.651:                              ;   in Loop: Header=BB237_434 Depth=1
	v_and_b32_sdwa v7, v6, s15 dst_sel:DWORD dst_unused:UNUSED_PAD src0_sel:BYTE_1 src1_sel:DWORD
	s_mov_b32 s24, s16
	v_cmp_ne_u32_e64 s[6:7], s15, v7
	v_pk_mov_b32 v[10:11], s[24:25], s[24:25] op_sel:[0,1]
	s_and_saveexec_b64 s[34:35], s[6:7]
	s_cbranch_execz .LBB237_653
; %bb.652:                              ;   in Loop: Header=BB237_434 Depth=1
	v_mov_b32_e32 v10, 7
	v_and_b32_sdwa v18, v6, v10 dst_sel:DWORD dst_unused:UNUSED_PAD src0_sel:BYTE_1 src1_sel:DWORD
	v_ffbh_u32_e32 v10, v18
	v_min_u32_e32 v13, 32, v10
	v_subrev_u32_e32 v10, 28, v13
	v_lshlrev_b64 v[10:11], v10, v[18:19]
	v_lshrrev_b32_e32 v12, 3, v7
	v_sub_u32_e32 v11, 29, v13
	v_cmp_gt_u32_e64 s[6:7], 8, v7
	v_and_b32_e32 v10, 7, v10
	v_cndmask_b32_e64 v7, v12, v11, s[6:7]
	v_bfrev_b32_e32 v12, 60
	v_cndmask_b32_e64 v10, v18, v10, s[6:7]
	v_lshlrev_b32_e32 v11, 16, v6
	v_lshl_add_u32 v7, v7, 23, v12
	v_and_or_b32 v7, v11, s17, v7
	v_lshlrev_b32_e32 v10, 20, v10
	v_or_b32_e32 v11, v7, v10
	v_mov_b32_e32 v10, v19
.LBB237_653:                            ;   in Loop: Header=BB237_434 Depth=1
	s_or_b64 exec, exec, s[34:35]
.LBB237_654:                            ;   in Loop: Header=BB237_434 Depth=1
	s_or_b64 exec, exec, s[30:31]
.LBB237_655:                            ;   in Loop: Header=BB237_434 Depth=1
	s_or_b64 exec, exec, s[28:29]
	v_lshrrev_b32_e32 v18, 16, v6
	v_pk_mov_b32 v[16:17], 0, 0
	v_cmp_ne_u16_sdwa s[6:7], v18, v19 src0_sel:BYTE_0 src1_sel:DWORD
	v_pk_mov_b32 v[12:13], v[16:17], v[16:17] op_sel:[0,1]
	s_and_saveexec_b64 s[28:29], s[6:7]
	s_cbranch_execz .LBB237_661
; %bb.656:                              ;   in Loop: Header=BB237_434 Depth=1
	v_bfrev_b32_e32 v12, 1
	v_cmp_ne_u16_sdwa s[6:7], v18, s9 src0_sel:BYTE_0 src1_sel:DWORD
	v_mov_b32_e32 v13, 0
	s_and_saveexec_b64 s[30:31], s[6:7]
	s_cbranch_execz .LBB237_660
; %bb.657:                              ;   in Loop: Header=BB237_434 Depth=1
	v_bfe_u32 v7, v6, 16, 7
	v_mov_b32_e32 v12, 0x7f800001
	v_cmp_ne_u32_e64 s[6:7], s15, v7
	v_mov_b32_e32 v13, 0
	s_and_saveexec_b64 s[34:35], s[6:7]
	s_cbranch_execz .LBB237_659
; %bb.658:                              ;   in Loop: Header=BB237_434 Depth=1
	v_and_b32_e32 v20, 7, v18
	v_ffbh_u32_e32 v12, v20
	v_min_u32_e32 v22, 32, v12
	v_subrev_u32_e32 v12, 28, v22
	v_lshlrev_b64 v[12:13], v12, v[18:19]
	v_lshrrev_b32_e32 v21, 3, v7
	v_sub_u32_e32 v13, 29, v22
	v_and_b32_e32 v12, 7, v12
	v_cmp_gt_u32_e64 s[6:7], 8, v7
	v_cndmask_b32_e64 v7, v21, v13, s[6:7]
	v_cndmask_b32_e64 v12, v20, v12, s[6:7]
	v_and_b32_sdwa v13, sext(v18), s17 dst_sel:DWORD dst_unused:UNUSED_PAD src0_sel:BYTE_0 src1_sel:DWORD
	v_bfrev_b32_e32 v18, 60
	v_lshlrev_b32_e32 v12, 20, v12
	v_lshl_add_u32 v7, v7, 23, v18
	v_or3_b32 v18, v13, v7, v12
	v_pk_mov_b32 v[12:13], v[18:19], v[18:19] op_sel:[0,1]
.LBB237_659:                            ;   in Loop: Header=BB237_434 Depth=1
	s_or_b64 exec, exec, s[34:35]
.LBB237_660:                            ;   in Loop: Header=BB237_434 Depth=1
	s_or_b64 exec, exec, s[30:31]
.LBB237_661:                            ;   in Loop: Header=BB237_434 Depth=1
	s_or_b64 exec, exec, s[28:29]
	v_cmp_lt_u32_e64 s[6:7], s36, v6
	s_and_saveexec_b64 s[28:29], s[6:7]
	s_cbranch_execz .LBB237_667
; %bb.662:                              ;   in Loop: Header=BB237_434 Depth=1
	v_cmp_ne_u32_sdwa s[6:7], v6, s9 src0_sel:BYTE_3 src1_sel:DWORD
	v_pk_mov_b32 v[16:17], s[16:17], s[16:17] op_sel:[0,1]
	s_and_saveexec_b64 s[30:31], s[6:7]
	s_cbranch_execz .LBB237_666
; %bb.663:                              ;   in Loop: Header=BB237_434 Depth=1
	v_bfe_u32 v7, v6, 24, 7
	s_mov_b32 s24, s16
	v_cmp_ne_u32_e64 s[6:7], s15, v7
	v_pk_mov_b32 v[16:17], s[24:25], s[24:25] op_sel:[0,1]
	s_and_saveexec_b64 s[34:35], s[6:7]
	s_cbranch_execz .LBB237_665
; %bb.664:                              ;   in Loop: Header=BB237_434 Depth=1
	v_mov_b32_e32 v16, 7
	v_and_b32_sdwa v18, v6, v16 dst_sel:DWORD dst_unused:UNUSED_PAD src0_sel:BYTE_3 src1_sel:DWORD
	v_ffbh_u32_e32 v16, v18
	v_min_u32_e32 v21, 32, v16
	v_subrev_u32_e32 v16, 28, v21
	v_lshlrev_b64 v[16:17], v16, v[18:19]
	v_lshrrev_b32_e32 v20, 3, v7
	v_sub_u32_e32 v17, 29, v21
	v_cmp_gt_u32_e64 s[6:7], 8, v7
	v_cndmask_b32_e64 v7, v20, v17, s[6:7]
	v_mov_b32_e32 v17, 24
	v_and_b32_e32 v16, 7, v16
	v_lshlrev_b32_sdwa v6, v17, v6 dst_sel:DWORD dst_unused:UNUSED_PAD src0_sel:DWORD src1_sel:BYTE_3
	v_bfrev_b32_e32 v17, 60
	v_cndmask_b32_e64 v16, v18, v16, s[6:7]
	v_lshl_add_u32 v7, v7, 23, v17
	v_and_or_b32 v6, v6, s17, v7
	v_lshlrev_b32_e32 v7, 20, v16
	v_or_b32_e32 v17, v6, v7
	v_mov_b32_e32 v16, v19
.LBB237_665:                            ;   in Loop: Header=BB237_434 Depth=1
	s_or_b64 exec, exec, s[34:35]
.LBB237_666:                            ;   in Loop: Header=BB237_434 Depth=1
	s_or_b64 exec, exec, s[30:31]
.LBB237_667:                            ;   in Loop: Header=BB237_434 Depth=1
	s_or_b64 exec, exec, s[28:29]
	v_or_b32_e32 v7, v11, v9
	v_or_b32_e32 v6, v10, v8
	v_pk_mul_f32 v[8:9], v[26:27], v[6:7]
	v_or_b32_e32 v7, v17, v13
	v_or_b32_e32 v6, v16, v12
	v_pk_mul_f32 v[6:7], v[26:27], v[6:7]
	s_and_saveexec_b64 s[28:29], vcc
	s_cbranch_execz .LBB237_669
; %bb.668:                              ;   in Loop: Header=BB237_434 Depth=1
	v_accvgpr_read_b32 v10, a1
	v_cmp_lt_i32_e64 s[6:7], v10, v62
	v_accvgpr_read_b32 v10, a4
	v_cndmask_b32_e64 v8, 0, v8, s[6:7]
	v_cmp_lt_i32_e64 s[6:7], v10, v62
	v_accvgpr_read_b32 v10, a3
	v_cndmask_b32_e64 v9, 0, v9, s[6:7]
	v_cmp_lt_i32_e64 s[6:7], v10, v62
	v_accvgpr_read_b32 v10, a2
	v_cndmask_b32_e64 v6, 0, v6, s[6:7]
	v_cmp_lt_i32_e64 s[6:7], v10, v62
	v_cndmask_b32_e64 v7, 0, v7, s[6:7]
.LBB237_669:                            ;   in Loop: Header=BB237_434 Depth=1
	s_or_b64 exec, exec, s[28:29]
	flat_load_dword v10, v[54:55] offset:2304
	v_pk_mov_b32 v[16:17], 0, 0
	v_pk_mov_b32 v[12:13], v[16:17], v[16:17] op_sel:[0,1]
	s_waitcnt vmcnt(0) lgkmcnt(0)
	v_cmp_ne_u16_sdwa s[6:7], v10, v19 src0_sel:BYTE_0 src1_sel:DWORD
	s_and_saveexec_b64 s[28:29], s[6:7]
	s_cbranch_execz .LBB237_675
; %bb.670:                              ;   in Loop: Header=BB237_434 Depth=1
	v_bfrev_b32_e32 v12, 1
	v_cmp_ne_u16_sdwa s[6:7], v10, s9 src0_sel:BYTE_0 src1_sel:DWORD
	v_mov_b32_e32 v13, 0
	s_and_saveexec_b64 s[30:31], s[6:7]
	s_cbranch_execz .LBB237_674
; %bb.671:                              ;   in Loop: Header=BB237_434 Depth=1
	v_and_b32_e32 v11, 0x7f, v10
	v_mov_b32_e32 v12, 0x7f800001
	v_cmp_ne_u32_e64 s[6:7], s15, v11
	v_mov_b32_e32 v13, 0
	s_and_saveexec_b64 s[34:35], s[6:7]
	s_cbranch_execz .LBB237_673
; %bb.672:                              ;   in Loop: Header=BB237_434 Depth=1
	v_and_b32_e32 v18, 7, v10
	v_ffbh_u32_e32 v12, v18
	v_min_u32_e32 v21, 32, v12
	v_subrev_u32_e32 v12, 28, v21
	v_lshlrev_b64 v[12:13], v12, v[10:11]
	v_lshrrev_b32_e32 v20, 3, v11
	v_sub_u32_e32 v13, 29, v21
	v_and_b32_e32 v12, 7, v12
	v_cmp_gt_u32_e64 s[6:7], 8, v11
	v_cndmask_b32_e64 v11, v20, v13, s[6:7]
	v_cndmask_b32_e64 v12, v18, v12, s[6:7]
	v_bfrev_b32_e32 v18, 60
	v_lshlrev_b32_e32 v12, 20, v12
	v_and_b32_sdwa v13, sext(v10), s17 dst_sel:DWORD dst_unused:UNUSED_PAD src0_sel:BYTE_0 src1_sel:DWORD
	v_lshl_add_u32 v11, v11, 23, v18
	v_or3_b32 v18, v13, v11, v12
	v_pk_mov_b32 v[12:13], v[18:19], v[18:19] op_sel:[0,1]
.LBB237_673:                            ;   in Loop: Header=BB237_434 Depth=1
	s_or_b64 exec, exec, s[34:35]
.LBB237_674:                            ;   in Loop: Header=BB237_434 Depth=1
	s_or_b64 exec, exec, s[30:31]
.LBB237_675:                            ;   in Loop: Header=BB237_434 Depth=1
	s_or_b64 exec, exec, s[28:29]
	v_cmp_ne_u16_sdwa s[6:7], v10, v19 src0_sel:BYTE_1 src1_sel:DWORD
	s_and_saveexec_b64 s[28:29], s[6:7]
	s_cbranch_execz .LBB237_681
; %bb.676:                              ;   in Loop: Header=BB237_434 Depth=1
	v_cmp_ne_u16_sdwa s[6:7], v10, s9 src0_sel:BYTE_1 src1_sel:DWORD
	v_pk_mov_b32 v[16:17], s[16:17], s[16:17] op_sel:[0,1]
	s_and_saveexec_b64 s[30:31], s[6:7]
	s_cbranch_execz .LBB237_680
; %bb.677:                              ;   in Loop: Header=BB237_434 Depth=1
	v_and_b32_sdwa v11, v10, s15 dst_sel:DWORD dst_unused:UNUSED_PAD src0_sel:BYTE_1 src1_sel:DWORD
	s_mov_b32 s24, s16
	v_cmp_ne_u32_e64 s[6:7], s15, v11
	v_pk_mov_b32 v[16:17], s[24:25], s[24:25] op_sel:[0,1]
	s_and_saveexec_b64 s[34:35], s[6:7]
	s_cbranch_execz .LBB237_679
; %bb.678:                              ;   in Loop: Header=BB237_434 Depth=1
	v_mov_b32_e32 v16, 7
	v_and_b32_sdwa v18, v10, v16 dst_sel:DWORD dst_unused:UNUSED_PAD src0_sel:BYTE_1 src1_sel:DWORD
	v_ffbh_u32_e32 v16, v18
	v_min_u32_e32 v21, 32, v16
	v_subrev_u32_e32 v16, 28, v21
	v_lshlrev_b64 v[16:17], v16, v[18:19]
	v_lshrrev_b32_e32 v20, 3, v11
	v_sub_u32_e32 v17, 29, v21
	v_and_b32_e32 v16, 7, v16
	v_cmp_gt_u32_e64 s[6:7], 8, v11
	v_cndmask_b32_e64 v11, v20, v17, s[6:7]
	v_cndmask_b32_e64 v16, v18, v16, s[6:7]
	v_bfrev_b32_e32 v18, 60
	v_lshlrev_b32_e32 v17, 16, v10
	v_lshl_add_u32 v11, v11, 23, v18
	v_and_or_b32 v11, v17, s17, v11
	v_lshlrev_b32_e32 v16, 20, v16
	v_or_b32_e32 v17, v11, v16
	v_mov_b32_e32 v16, v19
.LBB237_679:                            ;   in Loop: Header=BB237_434 Depth=1
	s_or_b64 exec, exec, s[34:35]
.LBB237_680:                            ;   in Loop: Header=BB237_434 Depth=1
	s_or_b64 exec, exec, s[30:31]
.LBB237_681:                            ;   in Loop: Header=BB237_434 Depth=1
	s_or_b64 exec, exec, s[28:29]
	v_lshrrev_b32_e32 v18, 16, v10
	v_pk_mov_b32 v[22:23], 0, 0
	v_cmp_ne_u16_sdwa s[6:7], v18, v19 src0_sel:BYTE_0 src1_sel:DWORD
	v_pk_mov_b32 v[20:21], v[22:23], v[22:23] op_sel:[0,1]
	s_and_saveexec_b64 s[28:29], s[6:7]
	s_cbranch_execz .LBB237_687
; %bb.682:                              ;   in Loop: Header=BB237_434 Depth=1
	v_bfrev_b32_e32 v20, 1
	v_cmp_ne_u16_sdwa s[6:7], v18, s9 src0_sel:BYTE_0 src1_sel:DWORD
	v_mov_b32_e32 v21, 0
	s_and_saveexec_b64 s[30:31], s[6:7]
	s_cbranch_execz .LBB237_686
; %bb.683:                              ;   in Loop: Header=BB237_434 Depth=1
	v_bfe_u32 v11, v10, 16, 7
	v_mov_b32_e32 v20, 0x7f800001
	v_cmp_ne_u32_e64 s[6:7], s15, v11
	v_mov_b32_e32 v21, 0
	s_and_saveexec_b64 s[34:35], s[6:7]
	s_cbranch_execz .LBB237_685
; %bb.684:                              ;   in Loop: Header=BB237_434 Depth=1
	v_and_b32_e32 v24, 7, v18
	v_ffbh_u32_e32 v20, v24
	v_min_u32_e32 v30, 32, v20
	v_subrev_u32_e32 v20, 28, v30
	v_lshlrev_b64 v[20:21], v20, v[18:19]
	v_lshrrev_b32_e32 v25, 3, v11
	v_sub_u32_e32 v21, 29, v30
	v_and_b32_e32 v20, 7, v20
	v_cmp_gt_u32_e64 s[6:7], 8, v11
	v_cndmask_b32_e64 v11, v25, v21, s[6:7]
	v_cndmask_b32_e64 v20, v24, v20, s[6:7]
	v_bfrev_b32_e32 v21, 60
	v_lshlrev_b32_e32 v20, 20, v20
	v_and_b32_sdwa v18, sext(v18), s17 dst_sel:DWORD dst_unused:UNUSED_PAD src0_sel:BYTE_0 src1_sel:DWORD
	v_lshl_add_u32 v11, v11, 23, v21
	v_or3_b32 v18, v18, v11, v20
	v_pk_mov_b32 v[20:21], v[18:19], v[18:19] op_sel:[0,1]
.LBB237_685:                            ;   in Loop: Header=BB237_434 Depth=1
	s_or_b64 exec, exec, s[34:35]
.LBB237_686:                            ;   in Loop: Header=BB237_434 Depth=1
	s_or_b64 exec, exec, s[30:31]
.LBB237_687:                            ;   in Loop: Header=BB237_434 Depth=1
	s_or_b64 exec, exec, s[28:29]
	v_cmp_lt_u32_e64 s[6:7], s36, v10
	s_and_saveexec_b64 s[28:29], s[6:7]
	s_cbranch_execz .LBB237_693
; %bb.688:                              ;   in Loop: Header=BB237_434 Depth=1
	v_cmp_ne_u32_sdwa s[6:7], v10, s9 src0_sel:BYTE_3 src1_sel:DWORD
	v_pk_mov_b32 v[22:23], s[16:17], s[16:17] op_sel:[0,1]
	s_and_saveexec_b64 s[30:31], s[6:7]
	s_cbranch_execz .LBB237_692
; %bb.689:                              ;   in Loop: Header=BB237_434 Depth=1
	v_bfe_u32 v11, v10, 24, 7
	s_mov_b32 s24, s16
	v_cmp_ne_u32_e64 s[6:7], s15, v11
	v_pk_mov_b32 v[22:23], s[24:25], s[24:25] op_sel:[0,1]
	s_and_saveexec_b64 s[34:35], s[6:7]
	s_cbranch_execz .LBB237_691
; %bb.690:                              ;   in Loop: Header=BB237_434 Depth=1
	v_mov_b32_e32 v18, 7
	v_and_b32_sdwa v18, v10, v18 dst_sel:DWORD dst_unused:UNUSED_PAD src0_sel:BYTE_3 src1_sel:DWORD
	v_ffbh_u32_e32 v22, v18
	v_min_u32_e32 v25, 32, v22
	v_subrev_u32_e32 v22, 28, v25
	v_lshlrev_b64 v[22:23], v22, v[18:19]
	v_and_b32_e32 v22, 7, v22
	v_cmp_gt_u32_e64 s[6:7], 8, v11
	v_lshrrev_b32_e32 v24, 3, v11
	v_sub_u32_e32 v23, 29, v25
	v_cndmask_b32_e64 v18, v18, v22, s[6:7]
	v_mov_b32_e32 v22, 24
	v_cndmask_b32_e64 v11, v24, v23, s[6:7]
	v_lshlrev_b32_sdwa v10, v22, v10 dst_sel:DWORD dst_unused:UNUSED_PAD src0_sel:DWORD src1_sel:BYTE_3
	v_bfrev_b32_e32 v22, 60
	v_lshl_add_u32 v11, v11, 23, v22
	v_and_or_b32 v10, v10, s17, v11
	v_lshlrev_b32_e32 v11, 20, v18
	v_or_b32_e32 v23, v10, v11
	v_mov_b32_e32 v22, v19
.LBB237_691:                            ;   in Loop: Header=BB237_434 Depth=1
	s_or_b64 exec, exec, s[34:35]
.LBB237_692:                            ;   in Loop: Header=BB237_434 Depth=1
	s_or_b64 exec, exec, s[30:31]
.LBB237_693:                            ;   in Loop: Header=BB237_434 Depth=1
	s_or_b64 exec, exec, s[28:29]
	v_or_b32_e32 v11, v17, v13
	v_or_b32_e32 v10, v16, v12
	v_pk_mul_f32 v[46:47], v[26:27], v[10:11]
	v_or_b32_e32 v11, v23, v21
	v_or_b32_e32 v10, v22, v20
	v_pk_mul_f32 v[16:17], v[26:27], v[10:11]
	s_and_saveexec_b64 s[28:29], vcc
	s_cbranch_execz .LBB237_695
; %bb.694:                              ;   in Loop: Header=BB237_434 Depth=1
	v_accvgpr_read_b32 v10, a1
	v_cmp_lt_i32_e64 s[6:7], v10, v62
	v_accvgpr_read_b32 v10, a4
	v_cndmask_b32_e64 v46, 0, v46, s[6:7]
	v_cmp_lt_i32_e64 s[6:7], v10, v62
	v_accvgpr_read_b32 v10, a3
	v_cndmask_b32_e64 v47, 0, v47, s[6:7]
	;; [unrolled: 3-line block ×3, first 2 shown]
	v_cmp_lt_i32_e64 s[6:7], v10, v62
	v_cndmask_b32_e64 v17, 0, v17, s[6:7]
.LBB237_695:                            ;   in Loop: Header=BB237_434 Depth=1
	s_or_b64 exec, exec, s[28:29]
	flat_load_dword v10, v[54:55] offset:2560
	v_pk_mov_b32 v[20:21], 0, 0
	v_pk_mov_b32 v[12:13], v[20:21], v[20:21] op_sel:[0,1]
	s_waitcnt vmcnt(0) lgkmcnt(0)
	v_cmp_ne_u16_sdwa s[6:7], v10, v19 src0_sel:BYTE_0 src1_sel:DWORD
	s_and_saveexec_b64 s[28:29], s[6:7]
	s_cbranch_execz .LBB237_701
; %bb.696:                              ;   in Loop: Header=BB237_434 Depth=1
	v_bfrev_b32_e32 v12, 1
	v_cmp_ne_u16_sdwa s[6:7], v10, s9 src0_sel:BYTE_0 src1_sel:DWORD
	v_mov_b32_e32 v13, 0
	s_and_saveexec_b64 s[30:31], s[6:7]
	s_cbranch_execz .LBB237_700
; %bb.697:                              ;   in Loop: Header=BB237_434 Depth=1
	v_and_b32_e32 v11, 0x7f, v10
	v_mov_b32_e32 v12, 0x7f800001
	v_cmp_ne_u32_e64 s[6:7], s15, v11
	v_mov_b32_e32 v13, 0
	s_and_saveexec_b64 s[34:35], s[6:7]
	s_cbranch_execz .LBB237_699
; %bb.698:                              ;   in Loop: Header=BB237_434 Depth=1
	v_and_b32_e32 v18, 7, v10
	v_ffbh_u32_e32 v12, v18
	v_min_u32_e32 v23, 32, v12
	v_subrev_u32_e32 v12, 28, v23
	v_lshlrev_b64 v[12:13], v12, v[10:11]
	v_lshrrev_b32_e32 v22, 3, v11
	v_sub_u32_e32 v13, 29, v23
	v_and_b32_e32 v12, 7, v12
	v_cmp_gt_u32_e64 s[6:7], 8, v11
	v_cndmask_b32_e64 v11, v22, v13, s[6:7]
	v_cndmask_b32_e64 v12, v18, v12, s[6:7]
	v_bfrev_b32_e32 v18, 60
	v_lshlrev_b32_e32 v12, 20, v12
	v_and_b32_sdwa v13, sext(v10), s17 dst_sel:DWORD dst_unused:UNUSED_PAD src0_sel:BYTE_0 src1_sel:DWORD
	v_lshl_add_u32 v11, v11, 23, v18
	v_or3_b32 v18, v13, v11, v12
	v_pk_mov_b32 v[12:13], v[18:19], v[18:19] op_sel:[0,1]
.LBB237_699:                            ;   in Loop: Header=BB237_434 Depth=1
	s_or_b64 exec, exec, s[34:35]
.LBB237_700:                            ;   in Loop: Header=BB237_434 Depth=1
	s_or_b64 exec, exec, s[30:31]
.LBB237_701:                            ;   in Loop: Header=BB237_434 Depth=1
	s_or_b64 exec, exec, s[28:29]
	v_cmp_ne_u16_sdwa s[6:7], v10, v19 src0_sel:BYTE_1 src1_sel:DWORD
	s_and_saveexec_b64 s[28:29], s[6:7]
	s_cbranch_execz .LBB237_707
; %bb.702:                              ;   in Loop: Header=BB237_434 Depth=1
	v_cmp_ne_u16_sdwa s[6:7], v10, s9 src0_sel:BYTE_1 src1_sel:DWORD
	v_pk_mov_b32 v[20:21], s[16:17], s[16:17] op_sel:[0,1]
	s_and_saveexec_b64 s[30:31], s[6:7]
	s_cbranch_execz .LBB237_706
; %bb.703:                              ;   in Loop: Header=BB237_434 Depth=1
	v_and_b32_sdwa v11, v10, s15 dst_sel:DWORD dst_unused:UNUSED_PAD src0_sel:BYTE_1 src1_sel:DWORD
	s_mov_b32 s24, s16
	v_cmp_ne_u32_e64 s[6:7], s15, v11
	v_pk_mov_b32 v[20:21], s[24:25], s[24:25] op_sel:[0,1]
	s_and_saveexec_b64 s[34:35], s[6:7]
	s_cbranch_execz .LBB237_705
; %bb.704:                              ;   in Loop: Header=BB237_434 Depth=1
	v_mov_b32_e32 v18, 7
	v_and_b32_sdwa v18, v10, v18 dst_sel:DWORD dst_unused:UNUSED_PAD src0_sel:BYTE_1 src1_sel:DWORD
	v_ffbh_u32_e32 v20, v18
	v_min_u32_e32 v23, 32, v20
	v_subrev_u32_e32 v20, 28, v23
	v_lshlrev_b64 v[20:21], v20, v[18:19]
	v_lshrrev_b32_e32 v22, 3, v11
	v_sub_u32_e32 v21, 29, v23
	v_cmp_gt_u32_e64 s[6:7], 8, v11
	v_and_b32_e32 v20, 7, v20
	v_cndmask_b32_e64 v11, v22, v21, s[6:7]
	v_bfrev_b32_e32 v21, 60
	v_cndmask_b32_e64 v18, v18, v20, s[6:7]
	v_lshlrev_b32_e32 v20, 16, v10
	v_lshl_add_u32 v11, v11, 23, v21
	v_and_or_b32 v11, v20, s17, v11
	v_lshlrev_b32_e32 v18, 20, v18
	v_or_b32_e32 v21, v11, v18
	v_mov_b32_e32 v20, v19
.LBB237_705:                            ;   in Loop: Header=BB237_434 Depth=1
	s_or_b64 exec, exec, s[34:35]
.LBB237_706:                            ;   in Loop: Header=BB237_434 Depth=1
	s_or_b64 exec, exec, s[30:31]
.LBB237_707:                            ;   in Loop: Header=BB237_434 Depth=1
	s_or_b64 exec, exec, s[28:29]
	v_lshrrev_b32_e32 v18, 16, v10
	v_pk_mov_b32 v[24:25], 0, 0
	v_cmp_ne_u16_sdwa s[6:7], v18, v19 src0_sel:BYTE_0 src1_sel:DWORD
	v_pk_mov_b32 v[22:23], v[24:25], v[24:25] op_sel:[0,1]
	s_and_saveexec_b64 s[28:29], s[6:7]
	s_cbranch_execz .LBB237_713
; %bb.708:                              ;   in Loop: Header=BB237_434 Depth=1
	v_bfrev_b32_e32 v22, 1
	v_cmp_ne_u16_sdwa s[6:7], v18, s9 src0_sel:BYTE_0 src1_sel:DWORD
	v_mov_b32_e32 v23, 0
	s_and_saveexec_b64 s[30:31], s[6:7]
	s_cbranch_execz .LBB237_712
; %bb.709:                              ;   in Loop: Header=BB237_434 Depth=1
	v_bfe_u32 v11, v10, 16, 7
	v_mov_b32_e32 v22, 0x7f800001
	v_cmp_ne_u32_e64 s[6:7], s15, v11
	v_mov_b32_e32 v23, 0
	s_and_saveexec_b64 s[34:35], s[6:7]
	s_cbranch_execz .LBB237_711
; %bb.710:                              ;   in Loop: Header=BB237_434 Depth=1
	v_and_b32_e32 v30, 7, v18
	v_ffbh_u32_e32 v22, v30
	v_min_u32_e32 v36, 32, v22
	v_subrev_u32_e32 v22, 28, v36
	v_lshlrev_b64 v[22:23], v22, v[18:19]
	v_lshrrev_b32_e32 v31, 3, v11
	v_sub_u32_e32 v23, 29, v36
	v_and_b32_e32 v22, 7, v22
	v_cmp_gt_u32_e64 s[6:7], 8, v11
	v_cndmask_b32_e64 v11, v31, v23, s[6:7]
	v_cndmask_b32_e64 v22, v30, v22, s[6:7]
	v_bfrev_b32_e32 v23, 60
	v_lshlrev_b32_e32 v22, 20, v22
	v_and_b32_sdwa v18, sext(v18), s17 dst_sel:DWORD dst_unused:UNUSED_PAD src0_sel:BYTE_0 src1_sel:DWORD
	v_lshl_add_u32 v11, v11, 23, v23
	v_or3_b32 v18, v18, v11, v22
	v_pk_mov_b32 v[22:23], v[18:19], v[18:19] op_sel:[0,1]
.LBB237_711:                            ;   in Loop: Header=BB237_434 Depth=1
	s_or_b64 exec, exec, s[34:35]
.LBB237_712:                            ;   in Loop: Header=BB237_434 Depth=1
	s_or_b64 exec, exec, s[30:31]
.LBB237_713:                            ;   in Loop: Header=BB237_434 Depth=1
	s_or_b64 exec, exec, s[28:29]
	v_cmp_lt_u32_e64 s[6:7], s36, v10
	s_and_saveexec_b64 s[28:29], s[6:7]
	s_cbranch_execz .LBB237_719
; %bb.714:                              ;   in Loop: Header=BB237_434 Depth=1
	v_cmp_ne_u32_sdwa s[6:7], v10, s9 src0_sel:BYTE_3 src1_sel:DWORD
	v_pk_mov_b32 v[24:25], s[16:17], s[16:17] op_sel:[0,1]
	s_and_saveexec_b64 s[30:31], s[6:7]
	s_cbranch_execz .LBB237_718
; %bb.715:                              ;   in Loop: Header=BB237_434 Depth=1
	v_bfe_u32 v11, v10, 24, 7
	s_mov_b32 s24, s16
	v_cmp_ne_u32_e64 s[6:7], s15, v11
	v_pk_mov_b32 v[24:25], s[24:25], s[24:25] op_sel:[0,1]
	s_and_saveexec_b64 s[34:35], s[6:7]
	s_cbranch_execz .LBB237_717
; %bb.716:                              ;   in Loop: Header=BB237_434 Depth=1
	v_mov_b32_e32 v18, 7
	v_and_b32_sdwa v18, v10, v18 dst_sel:DWORD dst_unused:UNUSED_PAD src0_sel:BYTE_3 src1_sel:DWORD
	v_ffbh_u32_e32 v24, v18
	v_min_u32_e32 v31, 32, v24
	v_subrev_u32_e32 v24, 28, v31
	v_lshlrev_b64 v[24:25], v24, v[18:19]
	v_and_b32_e32 v24, 7, v24
	v_cmp_gt_u32_e64 s[6:7], 8, v11
	v_lshrrev_b32_e32 v30, 3, v11
	v_sub_u32_e32 v25, 29, v31
	v_cndmask_b32_e64 v18, v18, v24, s[6:7]
	v_mov_b32_e32 v24, 24
	v_cndmask_b32_e64 v11, v30, v25, s[6:7]
	v_lshlrev_b32_sdwa v10, v24, v10 dst_sel:DWORD dst_unused:UNUSED_PAD src0_sel:DWORD src1_sel:BYTE_3
	v_bfrev_b32_e32 v24, 60
	v_lshl_add_u32 v11, v11, 23, v24
	v_and_or_b32 v10, v10, s17, v11
	v_lshlrev_b32_e32 v11, 20, v18
	v_or_b32_e32 v25, v10, v11
	v_mov_b32_e32 v24, v19
.LBB237_717:                            ;   in Loop: Header=BB237_434 Depth=1
	s_or_b64 exec, exec, s[34:35]
.LBB237_718:                            ;   in Loop: Header=BB237_434 Depth=1
	s_or_b64 exec, exec, s[30:31]
.LBB237_719:                            ;   in Loop: Header=BB237_434 Depth=1
	s_or_b64 exec, exec, s[28:29]
	v_or_b32_e32 v11, v21, v13
	v_or_b32_e32 v10, v20, v12
	v_pk_mul_f32 v[56:57], v[26:27], v[10:11]
	v_or_b32_e32 v11, v25, v23
	v_or_b32_e32 v10, v24, v22
	v_pk_mul_f32 v[20:21], v[26:27], v[10:11]
	s_and_saveexec_b64 s[28:29], vcc
	s_cbranch_execz .LBB237_721
; %bb.720:                              ;   in Loop: Header=BB237_434 Depth=1
	v_accvgpr_read_b32 v10, a1
	v_cmp_lt_i32_e64 s[6:7], v10, v62
	v_accvgpr_read_b32 v10, a4
	v_cndmask_b32_e64 v56, 0, v56, s[6:7]
	v_cmp_lt_i32_e64 s[6:7], v10, v62
	v_accvgpr_read_b32 v10, a3
	v_cndmask_b32_e64 v57, 0, v57, s[6:7]
	;; [unrolled: 3-line block ×3, first 2 shown]
	v_cmp_lt_i32_e64 s[6:7], v10, v62
	v_cndmask_b32_e64 v21, 0, v21, s[6:7]
.LBB237_721:                            ;   in Loop: Header=BB237_434 Depth=1
	s_or_b64 exec, exec, s[28:29]
	flat_load_dword v10, v[54:55] offset:2816
	v_pk_mov_b32 v[24:25], 0, 0
	v_pk_mov_b32 v[22:23], v[24:25], v[24:25] op_sel:[0,1]
	s_waitcnt vmcnt(0) lgkmcnt(0)
	v_cmp_ne_u16_sdwa s[6:7], v10, v19 src0_sel:BYTE_0 src1_sel:DWORD
	s_and_saveexec_b64 s[28:29], s[6:7]
	s_cbranch_execz .LBB237_727
; %bb.722:                              ;   in Loop: Header=BB237_434 Depth=1
	v_bfrev_b32_e32 v22, 1
	v_cmp_ne_u16_sdwa s[6:7], v10, s9 src0_sel:BYTE_0 src1_sel:DWORD
	v_mov_b32_e32 v23, 0
	s_and_saveexec_b64 s[30:31], s[6:7]
	s_cbranch_execz .LBB237_726
; %bb.723:                              ;   in Loop: Header=BB237_434 Depth=1
	v_and_b32_e32 v11, 0x7f, v10
	v_mov_b32_e32 v22, 0x7f800001
	v_cmp_ne_u32_e64 s[6:7], s15, v11
	v_mov_b32_e32 v23, 0
	s_and_saveexec_b64 s[34:35], s[6:7]
	s_cbranch_execz .LBB237_725
; %bb.724:                              ;   in Loop: Header=BB237_434 Depth=1
	v_and_b32_e32 v18, 7, v10
	v_ffbh_u32_e32 v12, v18
	v_min_u32_e32 v23, 32, v12
	v_subrev_u32_e32 v12, 28, v23
	v_lshlrev_b64 v[12:13], v12, v[10:11]
	v_lshrrev_b32_e32 v22, 3, v11
	v_sub_u32_e32 v13, 29, v23
	v_and_b32_e32 v12, 7, v12
	v_cmp_gt_u32_e64 s[6:7], 8, v11
	v_cndmask_b32_e64 v11, v22, v13, s[6:7]
	v_cndmask_b32_e64 v12, v18, v12, s[6:7]
	v_bfrev_b32_e32 v18, 60
	v_lshlrev_b32_e32 v12, 20, v12
	v_and_b32_sdwa v13, sext(v10), s17 dst_sel:DWORD dst_unused:UNUSED_PAD src0_sel:BYTE_0 src1_sel:DWORD
	v_lshl_add_u32 v11, v11, 23, v18
	v_or3_b32 v18, v13, v11, v12
	v_pk_mov_b32 v[22:23], v[18:19], v[18:19] op_sel:[0,1]
.LBB237_725:                            ;   in Loop: Header=BB237_434 Depth=1
	s_or_b64 exec, exec, s[34:35]
.LBB237_726:                            ;   in Loop: Header=BB237_434 Depth=1
	s_or_b64 exec, exec, s[30:31]
.LBB237_727:                            ;   in Loop: Header=BB237_434 Depth=1
	s_or_b64 exec, exec, s[28:29]
	v_cmp_ne_u16_sdwa s[6:7], v10, v19 src0_sel:BYTE_1 src1_sel:DWORD
	s_and_saveexec_b64 s[28:29], s[6:7]
	s_cbranch_execz .LBB237_733
; %bb.728:                              ;   in Loop: Header=BB237_434 Depth=1
	v_cmp_ne_u16_sdwa s[6:7], v10, s9 src0_sel:BYTE_1 src1_sel:DWORD
	v_pk_mov_b32 v[24:25], s[16:17], s[16:17] op_sel:[0,1]
	s_and_saveexec_b64 s[30:31], s[6:7]
	s_cbranch_execz .LBB237_732
; %bb.729:                              ;   in Loop: Header=BB237_434 Depth=1
	v_and_b32_sdwa v11, v10, s15 dst_sel:DWORD dst_unused:UNUSED_PAD src0_sel:BYTE_1 src1_sel:DWORD
	s_mov_b32 s24, s16
	v_cmp_ne_u32_e64 s[6:7], s15, v11
	v_pk_mov_b32 v[24:25], s[24:25], s[24:25] op_sel:[0,1]
	s_and_saveexec_b64 s[34:35], s[6:7]
	s_cbranch_execz .LBB237_731
; %bb.730:                              ;   in Loop: Header=BB237_434 Depth=1
	v_mov_b32_e32 v12, 7
	v_and_b32_sdwa v18, v10, v12 dst_sel:DWORD dst_unused:UNUSED_PAD src0_sel:BYTE_1 src1_sel:DWORD
	v_ffbh_u32_e32 v12, v18
	v_min_u32_e32 v25, 32, v12
	v_subrev_u32_e32 v12, 28, v25
	v_lshlrev_b64 v[12:13], v12, v[18:19]
	v_lshrrev_b32_e32 v24, 3, v11
	v_sub_u32_e32 v13, 29, v25
	v_and_b32_e32 v12, 7, v12
	v_cmp_gt_u32_e64 s[6:7], 8, v11
	v_cndmask_b32_e64 v11, v24, v13, s[6:7]
	v_cndmask_b32_e64 v12, v18, v12, s[6:7]
	v_bfrev_b32_e32 v18, 60
	v_lshlrev_b32_e32 v13, 16, v10
	v_lshl_add_u32 v11, v11, 23, v18
	v_and_or_b32 v11, v13, s17, v11
	v_lshlrev_b32_e32 v12, 20, v12
	v_or_b32_e32 v25, v11, v12
	v_mov_b32_e32 v24, v19
.LBB237_731:                            ;   in Loop: Header=BB237_434 Depth=1
	s_or_b64 exec, exec, s[34:35]
.LBB237_732:                            ;   in Loop: Header=BB237_434 Depth=1
	s_or_b64 exec, exec, s[30:31]
.LBB237_733:                            ;   in Loop: Header=BB237_434 Depth=1
	s_or_b64 exec, exec, s[28:29]
	v_lshrrev_b32_e32 v18, 16, v10
	v_pk_mov_b32 v[30:31], 0, 0
	v_cmp_ne_u16_sdwa s[6:7], v18, v19 src0_sel:BYTE_0 src1_sel:DWORD
	v_pk_mov_b32 v[12:13], v[30:31], v[30:31] op_sel:[0,1]
	s_and_saveexec_b64 s[28:29], s[6:7]
	s_cbranch_execz .LBB237_739
; %bb.734:                              ;   in Loop: Header=BB237_434 Depth=1
	v_bfrev_b32_e32 v12, 1
	v_cmp_ne_u16_sdwa s[6:7], v18, s9 src0_sel:BYTE_0 src1_sel:DWORD
	v_mov_b32_e32 v13, 0
	s_and_saveexec_b64 s[30:31], s[6:7]
	s_cbranch_execz .LBB237_738
; %bb.735:                              ;   in Loop: Header=BB237_434 Depth=1
	v_bfe_u32 v11, v10, 16, 7
	v_mov_b32_e32 v12, 0x7f800001
	v_cmp_ne_u32_e64 s[6:7], s15, v11
	v_mov_b32_e32 v13, 0
	s_and_saveexec_b64 s[34:35], s[6:7]
	s_cbranch_execz .LBB237_737
; %bb.736:                              ;   in Loop: Header=BB237_434 Depth=1
	v_and_b32_e32 v36, 7, v18
	v_ffbh_u32_e32 v12, v36
	v_min_u32_e32 v38, 32, v12
	v_subrev_u32_e32 v12, 28, v38
	v_lshlrev_b64 v[12:13], v12, v[18:19]
	v_lshrrev_b32_e32 v37, 3, v11
	v_sub_u32_e32 v13, 29, v38
	v_and_b32_e32 v12, 7, v12
	v_cmp_gt_u32_e64 s[6:7], 8, v11
	v_cndmask_b32_e64 v11, v37, v13, s[6:7]
	v_cndmask_b32_e64 v12, v36, v12, s[6:7]
	v_and_b32_sdwa v13, sext(v18), s17 dst_sel:DWORD dst_unused:UNUSED_PAD src0_sel:BYTE_0 src1_sel:DWORD
	v_bfrev_b32_e32 v18, 60
	v_lshlrev_b32_e32 v12, 20, v12
	v_lshl_add_u32 v11, v11, 23, v18
	v_or3_b32 v18, v13, v11, v12
	v_pk_mov_b32 v[12:13], v[18:19], v[18:19] op_sel:[0,1]
.LBB237_737:                            ;   in Loop: Header=BB237_434 Depth=1
	s_or_b64 exec, exec, s[34:35]
.LBB237_738:                            ;   in Loop: Header=BB237_434 Depth=1
	s_or_b64 exec, exec, s[30:31]
.LBB237_739:                            ;   in Loop: Header=BB237_434 Depth=1
	s_or_b64 exec, exec, s[28:29]
	v_cmp_lt_u32_e64 s[6:7], s36, v10
	s_and_saveexec_b64 s[28:29], s[6:7]
	s_cbranch_execz .LBB237_745
; %bb.740:                              ;   in Loop: Header=BB237_434 Depth=1
	v_cmp_ne_u32_sdwa s[6:7], v10, s9 src0_sel:BYTE_3 src1_sel:DWORD
	v_pk_mov_b32 v[30:31], s[16:17], s[16:17] op_sel:[0,1]
	s_and_saveexec_b64 s[30:31], s[6:7]
	s_cbranch_execz .LBB237_744
; %bb.741:                              ;   in Loop: Header=BB237_434 Depth=1
	v_bfe_u32 v11, v10, 24, 7
	s_mov_b32 s24, s16
	v_cmp_ne_u32_e64 s[6:7], s15, v11
	v_pk_mov_b32 v[30:31], s[24:25], s[24:25] op_sel:[0,1]
	s_and_saveexec_b64 s[34:35], s[6:7]
	s_cbranch_execz .LBB237_743
; %bb.742:                              ;   in Loop: Header=BB237_434 Depth=1
	v_mov_b32_e32 v18, 7
	v_and_b32_sdwa v18, v10, v18 dst_sel:DWORD dst_unused:UNUSED_PAD src0_sel:BYTE_3 src1_sel:DWORD
	v_ffbh_u32_e32 v30, v18
	v_min_u32_e32 v37, 32, v30
	v_subrev_u32_e32 v30, 28, v37
	v_lshlrev_b64 v[30:31], v30, v[18:19]
	v_and_b32_e32 v30, 7, v30
	v_cmp_gt_u32_e64 s[6:7], 8, v11
	v_lshrrev_b32_e32 v36, 3, v11
	v_sub_u32_e32 v31, 29, v37
	v_cndmask_b32_e64 v18, v18, v30, s[6:7]
	v_mov_b32_e32 v30, 24
	v_cndmask_b32_e64 v11, v36, v31, s[6:7]
	v_lshlrev_b32_sdwa v10, v30, v10 dst_sel:DWORD dst_unused:UNUSED_PAD src0_sel:DWORD src1_sel:BYTE_3
	v_bfrev_b32_e32 v30, 60
	v_lshl_add_u32 v11, v11, 23, v30
	v_and_or_b32 v10, v10, s17, v11
	v_lshlrev_b32_e32 v11, 20, v18
	v_or_b32_e32 v31, v10, v11
	v_mov_b32_e32 v30, v19
.LBB237_743:                            ;   in Loop: Header=BB237_434 Depth=1
	s_or_b64 exec, exec, s[34:35]
.LBB237_744:                            ;   in Loop: Header=BB237_434 Depth=1
	s_or_b64 exec, exec, s[30:31]
.LBB237_745:                            ;   in Loop: Header=BB237_434 Depth=1
	s_or_b64 exec, exec, s[28:29]
	v_or_b32_e32 v11, v25, v23
	v_or_b32_e32 v10, v24, v22
	;; [unrolled: 1-line block ×4, first 2 shown]
	v_pk_mul_f32 v[10:11], v[26:27], v[10:11]
	v_pk_mul_f32 v[22:23], v[26:27], v[12:13]
	s_and_saveexec_b64 s[28:29], vcc
	s_cbranch_execz .LBB237_747
; %bb.746:                              ;   in Loop: Header=BB237_434 Depth=1
	v_accvgpr_read_b32 v12, a1
	v_cmp_lt_i32_e64 s[6:7], v12, v62
	v_accvgpr_read_b32 v12, a4
	v_cndmask_b32_e64 v10, 0, v10, s[6:7]
	v_cmp_lt_i32_e64 s[6:7], v12, v62
	v_accvgpr_read_b32 v12, a3
	v_cndmask_b32_e64 v11, 0, v11, s[6:7]
	;; [unrolled: 3-line block ×3, first 2 shown]
	v_cmp_lt_i32_e64 s[6:7], v12, v62
	v_cndmask_b32_e64 v23, 0, v23, s[6:7]
.LBB237_747:                            ;   in Loop: Header=BB237_434 Depth=1
	s_or_b64 exec, exec, s[28:29]
	flat_load_dword v24, v[54:55] offset:3072
	v_pk_mov_b32 v[38:39], 0, 0
	v_pk_mov_b32 v[36:37], v[38:39], v[38:39] op_sel:[0,1]
	s_waitcnt vmcnt(0) lgkmcnt(0)
	v_cmp_ne_u16_sdwa s[6:7], v24, v19 src0_sel:BYTE_0 src1_sel:DWORD
	s_and_saveexec_b64 s[28:29], s[6:7]
	s_cbranch_execz .LBB237_753
; %bb.748:                              ;   in Loop: Header=BB237_434 Depth=1
	v_bfrev_b32_e32 v36, 1
	v_cmp_ne_u16_sdwa s[6:7], v24, s9 src0_sel:BYTE_0 src1_sel:DWORD
	v_mov_b32_e32 v37, 0
	s_and_saveexec_b64 s[30:31], s[6:7]
	s_cbranch_execz .LBB237_752
; %bb.749:                              ;   in Loop: Header=BB237_434 Depth=1
	v_and_b32_e32 v12, 0x7f, v24
	v_mov_b32_e32 v36, 0x7f800001
	v_cmp_ne_u32_e64 s[6:7], s15, v12
	v_mov_b32_e32 v37, 0
	s_and_saveexec_b64 s[34:35], s[6:7]
	s_cbranch_execz .LBB237_751
; %bb.750:                              ;   in Loop: Header=BB237_434 Depth=1
	v_and_b32_e32 v13, 7, v24
	v_ffbh_u32_e32 v25, v13
	v_min_u32_e32 v25, 32, v25
	v_subrev_u32_e32 v30, 28, v25
	v_lshlrev_b64 v[30:31], v30, v[24:25]
	v_lshrrev_b32_e32 v18, 3, v12
	v_sub_u32_e32 v25, 29, v25
	v_and_b32_e32 v30, 7, v30
	v_cmp_gt_u32_e64 s[6:7], 8, v12
	v_cndmask_b32_e64 v12, v18, v25, s[6:7]
	v_cndmask_b32_e64 v13, v13, v30, s[6:7]
	v_bfrev_b32_e32 v25, 60
	v_lshlrev_b32_e32 v13, 20, v13
	v_and_b32_sdwa v18, sext(v24), s17 dst_sel:DWORD dst_unused:UNUSED_PAD src0_sel:BYTE_0 src1_sel:DWORD
	v_lshl_add_u32 v12, v12, 23, v25
	v_or3_b32 v18, v18, v12, v13
	v_pk_mov_b32 v[36:37], v[18:19], v[18:19] op_sel:[0,1]
.LBB237_751:                            ;   in Loop: Header=BB237_434 Depth=1
	s_or_b64 exec, exec, s[34:35]
.LBB237_752:                            ;   in Loop: Header=BB237_434 Depth=1
	s_or_b64 exec, exec, s[30:31]
.LBB237_753:                            ;   in Loop: Header=BB237_434 Depth=1
	s_or_b64 exec, exec, s[28:29]
	v_cmp_ne_u16_sdwa s[6:7], v24, v19 src0_sel:BYTE_1 src1_sel:DWORD
	s_and_saveexec_b64 s[28:29], s[6:7]
	s_cbranch_execz .LBB237_759
; %bb.754:                              ;   in Loop: Header=BB237_434 Depth=1
	v_cmp_ne_u16_sdwa s[6:7], v24, s9 src0_sel:BYTE_1 src1_sel:DWORD
	v_pk_mov_b32 v[38:39], s[16:17], s[16:17] op_sel:[0,1]
	s_and_saveexec_b64 s[30:31], s[6:7]
	s_cbranch_execz .LBB237_758
; %bb.755:                              ;   in Loop: Header=BB237_434 Depth=1
	v_and_b32_sdwa v12, v24, s15 dst_sel:DWORD dst_unused:UNUSED_PAD src0_sel:BYTE_1 src1_sel:DWORD
	s_mov_b32 s24, s16
	v_cmp_ne_u32_e64 s[6:7], s15, v12
	v_pk_mov_b32 v[38:39], s[24:25], s[24:25] op_sel:[0,1]
	s_and_saveexec_b64 s[34:35], s[6:7]
	s_cbranch_execz .LBB237_757
; %bb.756:                              ;   in Loop: Header=BB237_434 Depth=1
	v_mov_b32_e32 v13, 7
	v_and_b32_sdwa v18, v24, v13 dst_sel:DWORD dst_unused:UNUSED_PAD src0_sel:BYTE_1 src1_sel:DWORD
	v_ffbh_u32_e32 v25, v18
	v_min_u32_e32 v25, 32, v25
	v_subrev_u32_e32 v30, 28, v25
	v_lshrrev_b32_e32 v13, 3, v12
	v_lshlrev_b64 v[30:31], v30, v[18:19]
	v_sub_u32_e32 v25, 29, v25
	v_cmp_gt_u32_e64 s[6:7], 8, v12
	v_and_b32_e32 v30, 7, v30
	v_cndmask_b32_e64 v12, v13, v25, s[6:7]
	v_bfrev_b32_e32 v25, 60
	v_cndmask_b32_e64 v13, v18, v30, s[6:7]
	v_lshlrev_b32_e32 v18, 16, v24
	v_lshl_add_u32 v12, v12, 23, v25
	v_and_or_b32 v12, v18, s17, v12
	v_lshlrev_b32_e32 v13, 20, v13
	v_or_b32_e32 v39, v12, v13
	v_mov_b32_e32 v38, v19
.LBB237_757:                            ;   in Loop: Header=BB237_434 Depth=1
	s_or_b64 exec, exec, s[34:35]
.LBB237_758:                            ;   in Loop: Header=BB237_434 Depth=1
	s_or_b64 exec, exec, s[30:31]
.LBB237_759:                            ;   in Loop: Header=BB237_434 Depth=1
	s_or_b64 exec, exec, s[28:29]
	v_lshrrev_b32_e32 v18, 16, v24
	v_pk_mov_b32 v[30:31], 0, 0
	v_cmp_ne_u16_sdwa s[6:7], v18, v19 src0_sel:BYTE_0 src1_sel:DWORD
	v_pk_mov_b32 v[12:13], v[30:31], v[30:31] op_sel:[0,1]
	s_and_saveexec_b64 s[28:29], s[6:7]
	s_cbranch_execz .LBB237_765
; %bb.760:                              ;   in Loop: Header=BB237_434 Depth=1
	v_bfrev_b32_e32 v12, 1
	v_cmp_ne_u16_sdwa s[6:7], v18, s9 src0_sel:BYTE_0 src1_sel:DWORD
	v_mov_b32_e32 v13, 0
	s_and_saveexec_b64 s[30:31], s[6:7]
	s_cbranch_execz .LBB237_764
; %bb.761:                              ;   in Loop: Header=BB237_434 Depth=1
	v_bfe_u32 v25, v24, 16, 7
	v_mov_b32_e32 v12, 0x7f800001
	v_cmp_ne_u32_e64 s[6:7], s15, v25
	v_mov_b32_e32 v13, 0
	s_and_saveexec_b64 s[34:35], s[6:7]
	s_cbranch_execz .LBB237_763
; %bb.762:                              ;   in Loop: Header=BB237_434 Depth=1
	v_and_b32_e32 v50, 7, v18
	v_ffbh_u32_e32 v12, v50
	v_min_u32_e32 v52, 32, v12
	v_subrev_u32_e32 v12, 28, v52
	v_lshlrev_b64 v[12:13], v12, v[18:19]
	v_lshrrev_b32_e32 v51, 3, v25
	v_sub_u32_e32 v13, 29, v52
	v_and_b32_e32 v12, 7, v12
	v_cmp_gt_u32_e64 s[6:7], 8, v25
	v_cndmask_b32_e64 v13, v51, v13, s[6:7]
	v_cndmask_b32_e64 v12, v50, v12, s[6:7]
	v_bfrev_b32_e32 v25, 60
	v_lshlrev_b32_e32 v12, 20, v12
	v_and_b32_sdwa v18, sext(v18), s17 dst_sel:DWORD dst_unused:UNUSED_PAD src0_sel:BYTE_0 src1_sel:DWORD
	v_lshl_add_u32 v13, v13, 23, v25
	v_or3_b32 v18, v18, v13, v12
	v_pk_mov_b32 v[12:13], v[18:19], v[18:19] op_sel:[0,1]
.LBB237_763:                            ;   in Loop: Header=BB237_434 Depth=1
	s_or_b64 exec, exec, s[34:35]
.LBB237_764:                            ;   in Loop: Header=BB237_434 Depth=1
	s_or_b64 exec, exec, s[30:31]
.LBB237_765:                            ;   in Loop: Header=BB237_434 Depth=1
	s_or_b64 exec, exec, s[28:29]
	v_cmp_lt_u32_e64 s[6:7], s36, v24
	s_and_saveexec_b64 s[28:29], s[6:7]
	s_cbranch_execz .LBB237_771
; %bb.766:                              ;   in Loop: Header=BB237_434 Depth=1
	v_cmp_ne_u32_sdwa s[6:7], v24, s9 src0_sel:BYTE_3 src1_sel:DWORD
	v_pk_mov_b32 v[30:31], s[16:17], s[16:17] op_sel:[0,1]
	s_and_saveexec_b64 s[30:31], s[6:7]
	s_cbranch_execz .LBB237_770
; %bb.767:                              ;   in Loop: Header=BB237_434 Depth=1
	v_bfe_u32 v25, v24, 24, 7
	s_mov_b32 s24, s16
	v_cmp_ne_u32_e64 s[6:7], s15, v25
	v_pk_mov_b32 v[30:31], s[24:25], s[24:25] op_sel:[0,1]
	s_and_saveexec_b64 s[34:35], s[6:7]
	s_cbranch_execz .LBB237_769
; %bb.768:                              ;   in Loop: Header=BB237_434 Depth=1
	v_mov_b32_e32 v18, 7
	v_and_b32_sdwa v18, v24, v18 dst_sel:DWORD dst_unused:UNUSED_PAD src0_sel:BYTE_3 src1_sel:DWORD
	v_ffbh_u32_e32 v30, v18
	v_min_u32_e32 v51, 32, v30
	v_subrev_u32_e32 v30, 28, v51
	v_lshlrev_b64 v[30:31], v30, v[18:19]
	v_and_b32_e32 v30, 7, v30
	v_cmp_gt_u32_e64 s[6:7], 8, v25
	v_lshrrev_b32_e32 v50, 3, v25
	v_sub_u32_e32 v31, 29, v51
	v_cndmask_b32_e64 v18, v18, v30, s[6:7]
	v_mov_b32_e32 v30, 24
	v_cndmask_b32_e64 v25, v50, v31, s[6:7]
	v_lshlrev_b32_sdwa v24, v30, v24 dst_sel:DWORD dst_unused:UNUSED_PAD src0_sel:DWORD src1_sel:BYTE_3
	v_bfrev_b32_e32 v30, 60
	v_lshl_add_u32 v25, v25, 23, v30
	v_and_or_b32 v24, v24, s17, v25
	v_lshlrev_b32_e32 v18, 20, v18
	v_or_b32_e32 v31, v24, v18
	v_mov_b32_e32 v30, v19
.LBB237_769:                            ;   in Loop: Header=BB237_434 Depth=1
	s_or_b64 exec, exec, s[34:35]
.LBB237_770:                            ;   in Loop: Header=BB237_434 Depth=1
	s_or_b64 exec, exec, s[30:31]
.LBB237_771:                            ;   in Loop: Header=BB237_434 Depth=1
	s_or_b64 exec, exec, s[28:29]
	v_or_b32_e32 v25, v39, v37
	v_or_b32_e32 v24, v38, v36
	;; [unrolled: 1-line block ×4, first 2 shown]
	v_pk_mul_f32 v[36:37], v[26:27], v[24:25]
	v_pk_mul_f32 v[38:39], v[26:27], v[12:13]
	s_and_saveexec_b64 s[28:29], vcc
	s_cbranch_execz .LBB237_773
; %bb.772:                              ;   in Loop: Header=BB237_434 Depth=1
	v_accvgpr_read_b32 v12, a1
	v_cmp_lt_i32_e64 s[6:7], v12, v62
	v_accvgpr_read_b32 v12, a4
	v_cndmask_b32_e64 v36, 0, v36, s[6:7]
	v_cmp_lt_i32_e64 s[6:7], v12, v62
	v_accvgpr_read_b32 v12, a3
	v_cndmask_b32_e64 v37, 0, v37, s[6:7]
	;; [unrolled: 3-line block ×3, first 2 shown]
	v_cmp_lt_i32_e64 s[6:7], v12, v62
	v_cndmask_b32_e64 v39, 0, v39, s[6:7]
.LBB237_773:                            ;   in Loop: Header=BB237_434 Depth=1
	s_or_b64 exec, exec, s[28:29]
	flat_load_dword v24, v[54:55] offset:3328
	v_pk_mov_b32 v[52:53], 0, 0
	v_pk_mov_b32 v[50:51], v[52:53], v[52:53] op_sel:[0,1]
	s_waitcnt vmcnt(0) lgkmcnt(0)
	v_cmp_ne_u16_sdwa s[6:7], v24, v19 src0_sel:BYTE_0 src1_sel:DWORD
	s_and_saveexec_b64 s[28:29], s[6:7]
	s_cbranch_execz .LBB237_779
; %bb.774:                              ;   in Loop: Header=BB237_434 Depth=1
	v_bfrev_b32_e32 v50, 1
	v_cmp_ne_u16_sdwa s[6:7], v24, s9 src0_sel:BYTE_0 src1_sel:DWORD
	v_mov_b32_e32 v51, 0
	s_and_saveexec_b64 s[30:31], s[6:7]
	s_cbranch_execz .LBB237_778
; %bb.775:                              ;   in Loop: Header=BB237_434 Depth=1
	v_and_b32_e32 v12, 0x7f, v24
	v_mov_b32_e32 v50, 0x7f800001
	v_cmp_ne_u32_e64 s[6:7], s15, v12
	v_mov_b32_e32 v51, 0
	s_and_saveexec_b64 s[34:35], s[6:7]
	s_cbranch_execz .LBB237_777
; %bb.776:                              ;   in Loop: Header=BB237_434 Depth=1
	v_and_b32_e32 v13, 7, v24
	v_ffbh_u32_e32 v25, v13
	v_min_u32_e32 v25, 32, v25
	v_subrev_u32_e32 v30, 28, v25
	v_lshlrev_b64 v[30:31], v30, v[24:25]
	v_lshrrev_b32_e32 v18, 3, v12
	v_sub_u32_e32 v25, 29, v25
	v_and_b32_e32 v30, 7, v30
	v_cmp_gt_u32_e64 s[6:7], 8, v12
	v_cndmask_b32_e64 v12, v18, v25, s[6:7]
	v_cndmask_b32_e64 v13, v13, v30, s[6:7]
	v_bfrev_b32_e32 v25, 60
	v_lshlrev_b32_e32 v13, 20, v13
	v_and_b32_sdwa v18, sext(v24), s17 dst_sel:DWORD dst_unused:UNUSED_PAD src0_sel:BYTE_0 src1_sel:DWORD
	v_lshl_add_u32 v12, v12, 23, v25
	v_or3_b32 v18, v18, v12, v13
	v_pk_mov_b32 v[50:51], v[18:19], v[18:19] op_sel:[0,1]
.LBB237_777:                            ;   in Loop: Header=BB237_434 Depth=1
	s_or_b64 exec, exec, s[34:35]
.LBB237_778:                            ;   in Loop: Header=BB237_434 Depth=1
	s_or_b64 exec, exec, s[30:31]
.LBB237_779:                            ;   in Loop: Header=BB237_434 Depth=1
	s_or_b64 exec, exec, s[28:29]
	v_cmp_ne_u16_sdwa s[6:7], v24, v19 src0_sel:BYTE_1 src1_sel:DWORD
	s_and_saveexec_b64 s[28:29], s[6:7]
	s_cbranch_execz .LBB237_785
; %bb.780:                              ;   in Loop: Header=BB237_434 Depth=1
	v_cmp_ne_u16_sdwa s[6:7], v24, s9 src0_sel:BYTE_1 src1_sel:DWORD
	v_pk_mov_b32 v[52:53], s[16:17], s[16:17] op_sel:[0,1]
	s_and_saveexec_b64 s[30:31], s[6:7]
	s_cbranch_execz .LBB237_784
; %bb.781:                              ;   in Loop: Header=BB237_434 Depth=1
	v_and_b32_sdwa v12, v24, s15 dst_sel:DWORD dst_unused:UNUSED_PAD src0_sel:BYTE_1 src1_sel:DWORD
	s_mov_b32 s24, s16
	v_cmp_ne_u32_e64 s[6:7], s15, v12
	v_pk_mov_b32 v[52:53], s[24:25], s[24:25] op_sel:[0,1]
	s_and_saveexec_b64 s[34:35], s[6:7]
	s_cbranch_execz .LBB237_783
; %bb.782:                              ;   in Loop: Header=BB237_434 Depth=1
	v_mov_b32_e32 v13, 7
	v_and_b32_sdwa v18, v24, v13 dst_sel:DWORD dst_unused:UNUSED_PAD src0_sel:BYTE_1 src1_sel:DWORD
	v_ffbh_u32_e32 v25, v18
	v_min_u32_e32 v25, 32, v25
	v_subrev_u32_e32 v30, 28, v25
	v_lshrrev_b32_e32 v13, 3, v12
	v_lshlrev_b64 v[30:31], v30, v[18:19]
	v_sub_u32_e32 v25, 29, v25
	v_cmp_gt_u32_e64 s[6:7], 8, v12
	v_and_b32_e32 v30, 7, v30
	v_cndmask_b32_e64 v12, v13, v25, s[6:7]
	v_bfrev_b32_e32 v25, 60
	v_cndmask_b32_e64 v13, v18, v30, s[6:7]
	v_lshlrev_b32_e32 v18, 16, v24
	v_lshl_add_u32 v12, v12, 23, v25
	v_and_or_b32 v12, v18, s17, v12
	v_lshlrev_b32_e32 v13, 20, v13
	v_or_b32_e32 v53, v12, v13
	v_mov_b32_e32 v52, v19
.LBB237_783:                            ;   in Loop: Header=BB237_434 Depth=1
	s_or_b64 exec, exec, s[34:35]
.LBB237_784:                            ;   in Loop: Header=BB237_434 Depth=1
	s_or_b64 exec, exec, s[30:31]
.LBB237_785:                            ;   in Loop: Header=BB237_434 Depth=1
	s_or_b64 exec, exec, s[28:29]
	v_lshrrev_b32_e32 v12, 16, v24
	v_pk_mov_b32 v[30:31], 0, 0
	v_cmp_ne_u16_sdwa s[6:7], v12, v19 src0_sel:BYTE_0 src1_sel:DWORD
	v_pk_mov_b32 v[40:41], v[30:31], v[30:31] op_sel:[0,1]
	s_and_saveexec_b64 s[28:29], s[6:7]
	s_cbranch_execz .LBB237_791
; %bb.786:                              ;   in Loop: Header=BB237_434 Depth=1
	v_bfrev_b32_e32 v40, 1
	v_cmp_ne_u16_sdwa s[6:7], v12, s9 src0_sel:BYTE_0 src1_sel:DWORD
	v_mov_b32_e32 v41, 0
	s_and_saveexec_b64 s[30:31], s[6:7]
	s_cbranch_execz .LBB237_790
; %bb.787:                              ;   in Loop: Header=BB237_434 Depth=1
	v_bfe_u32 v13, v24, 16, 7
	v_mov_b32_e32 v40, 0x7f800001
	v_cmp_ne_u32_e64 s[6:7], s15, v13
	v_mov_b32_e32 v41, 0
	s_and_saveexec_b64 s[34:35], s[6:7]
	s_cbranch_execz .LBB237_789
; %bb.788:                              ;   in Loop: Header=BB237_434 Depth=1
	v_and_b32_e32 v18, 7, v12
	v_lshrrev_b32_e32 v25, 3, v13
	v_cmp_gt_u32_e64 s[6:7], 8, v13
	v_ffbh_u32_e32 v13, v18
	v_min_u32_e32 v13, 32, v13
	v_subrev_u32_e32 v40, 28, v13
	v_lshlrev_b64 v[40:41], v40, v[12:13]
	v_sub_u32_e32 v13, 29, v13
	v_and_b32_e32 v40, 7, v40
	v_cndmask_b32_e64 v13, v25, v13, s[6:7]
	v_cndmask_b32_e64 v18, v18, v40, s[6:7]
	v_bfrev_b32_e32 v25, 60
	v_lshlrev_b32_e32 v18, 20, v18
	v_and_b32_sdwa v12, sext(v12), s17 dst_sel:DWORD dst_unused:UNUSED_PAD src0_sel:BYTE_0 src1_sel:DWORD
	v_lshl_add_u32 v13, v13, 23, v25
	v_or3_b32 v18, v12, v13, v18
	v_pk_mov_b32 v[40:41], v[18:19], v[18:19] op_sel:[0,1]
.LBB237_789:                            ;   in Loop: Header=BB237_434 Depth=1
	s_or_b64 exec, exec, s[34:35]
.LBB237_790:                            ;   in Loop: Header=BB237_434 Depth=1
	s_or_b64 exec, exec, s[30:31]
.LBB237_791:                            ;   in Loop: Header=BB237_434 Depth=1
	s_or_b64 exec, exec, s[28:29]
	v_cmp_lt_u32_e64 s[6:7], s36, v24
	s_and_saveexec_b64 s[28:29], s[6:7]
	s_cbranch_execz .LBB237_797
; %bb.792:                              ;   in Loop: Header=BB237_434 Depth=1
	v_cmp_ne_u32_sdwa s[6:7], v24, s9 src0_sel:BYTE_3 src1_sel:DWORD
	v_pk_mov_b32 v[30:31], s[16:17], s[16:17] op_sel:[0,1]
	s_and_saveexec_b64 s[30:31], s[6:7]
	s_cbranch_execz .LBB237_796
; %bb.793:                              ;   in Loop: Header=BB237_434 Depth=1
	v_bfe_u32 v12, v24, 24, 7
	s_mov_b32 s24, s16
	v_cmp_ne_u32_e64 s[6:7], s15, v12
	v_pk_mov_b32 v[30:31], s[24:25], s[24:25] op_sel:[0,1]
	s_and_saveexec_b64 s[34:35], s[6:7]
	s_cbranch_execz .LBB237_795
; %bb.794:                              ;   in Loop: Header=BB237_434 Depth=1
	v_mov_b32_e32 v13, 7
	v_and_b32_sdwa v18, v24, v13 dst_sel:DWORD dst_unused:UNUSED_PAD src0_sel:BYTE_3 src1_sel:DWORD
	v_lshrrev_b32_e32 v25, 3, v12
	v_cmp_gt_u32_e64 s[6:7], 8, v12
	v_ffbh_u32_e32 v12, v18
	v_min_u32_e32 v30, 32, v12
	v_subrev_u32_e32 v12, 28, v30
	v_lshlrev_b64 v[12:13], v12, v[18:19]
	v_and_b32_e32 v12, 7, v12
	v_sub_u32_e32 v13, 29, v30
	v_cndmask_b32_e64 v12, v18, v12, s[6:7]
	v_mov_b32_e32 v18, 24
	v_cndmask_b32_e64 v13, v25, v13, s[6:7]
	v_lshlrev_b32_sdwa v18, v18, v24 dst_sel:DWORD dst_unused:UNUSED_PAD src0_sel:DWORD src1_sel:BYTE_3
	v_bfrev_b32_e32 v24, 60
	v_lshl_add_u32 v13, v13, 23, v24
	v_and_or_b32 v13, v18, s17, v13
	v_lshlrev_b32_e32 v12, 20, v12
	v_or_b32_e32 v31, v13, v12
	v_mov_b32_e32 v30, v19
.LBB237_795:                            ;   in Loop: Header=BB237_434 Depth=1
	s_or_b64 exec, exec, s[34:35]
.LBB237_796:                            ;   in Loop: Header=BB237_434 Depth=1
	s_or_b64 exec, exec, s[30:31]
.LBB237_797:                            ;   in Loop: Header=BB237_434 Depth=1
	s_or_b64 exec, exec, s[28:29]
	v_or_b32_e32 v13, v53, v51
	v_or_b32_e32 v12, v52, v50
	v_pk_mul_f32 v[24:25], v[26:27], v[12:13]
	v_or_b32_e32 v13, v31, v41
	v_or_b32_e32 v12, v30, v40
	v_pk_mul_f32 v[50:51], v[26:27], v[12:13]
	s_and_saveexec_b64 s[28:29], vcc
	s_cbranch_execz .LBB237_799
; %bb.798:                              ;   in Loop: Header=BB237_434 Depth=1
	v_accvgpr_read_b32 v12, a1
	v_cmp_lt_i32_e64 s[6:7], v12, v62
	v_accvgpr_read_b32 v12, a4
	v_cndmask_b32_e64 v24, 0, v24, s[6:7]
	v_cmp_lt_i32_e64 s[6:7], v12, v62
	v_accvgpr_read_b32 v12, a3
	v_cndmask_b32_e64 v25, 0, v25, s[6:7]
	;; [unrolled: 3-line block ×3, first 2 shown]
	v_cmp_lt_i32_e64 s[6:7], v12, v62
	v_cndmask_b32_e64 v51, 0, v51, s[6:7]
.LBB237_799:                            ;   in Loop: Header=BB237_434 Depth=1
	s_or_b64 exec, exec, s[28:29]
	flat_load_dword v52, v[54:55] offset:3584
	v_pk_mov_b32 v[40:41], 0, 0
	v_pk_mov_b32 v[54:55], v[40:41], v[40:41] op_sel:[0,1]
	s_waitcnt vmcnt(0) lgkmcnt(0)
	v_cmp_ne_u16_sdwa s[6:7], v52, v19 src0_sel:BYTE_0 src1_sel:DWORD
	s_and_saveexec_b64 s[28:29], s[6:7]
	s_cbranch_execz .LBB237_805
; %bb.800:                              ;   in Loop: Header=BB237_434 Depth=1
	v_bfrev_b32_e32 v54, 1
	v_cmp_ne_u16_sdwa s[6:7], v52, s9 src0_sel:BYTE_0 src1_sel:DWORD
	v_mov_b32_e32 v55, 0
	s_and_saveexec_b64 s[30:31], s[6:7]
	s_cbranch_execz .LBB237_804
; %bb.801:                              ;   in Loop: Header=BB237_434 Depth=1
	v_and_b32_e32 v12, 0x7f, v52
	v_mov_b32_e32 v54, 0x7f800001
	v_cmp_ne_u32_e64 s[6:7], s15, v12
	v_mov_b32_e32 v55, 0
	s_and_saveexec_b64 s[34:35], s[6:7]
	s_cbranch_execz .LBB237_803
; %bb.802:                              ;   in Loop: Header=BB237_434 Depth=1
	v_and_b32_e32 v18, 7, v52
	v_lshrrev_b32_e32 v30, 3, v12
	v_cmp_gt_u32_e64 s[6:7], 8, v12
	v_ffbh_u32_e32 v12, v18
	v_min_u32_e32 v31, 32, v12
	v_subrev_u32_e32 v12, 28, v31
	v_lshlrev_b64 v[12:13], v12, v[52:53]
	v_sub_u32_e32 v13, 29, v31
	v_and_b32_e32 v12, 7, v12
	v_cndmask_b32_e64 v13, v30, v13, s[6:7]
	v_cndmask_b32_e64 v12, v18, v12, s[6:7]
	v_bfrev_b32_e32 v30, 60
	v_lshlrev_b32_e32 v12, 20, v12
	v_and_b32_sdwa v18, sext(v52), s17 dst_sel:DWORD dst_unused:UNUSED_PAD src0_sel:BYTE_0 src1_sel:DWORD
	v_lshl_add_u32 v13, v13, 23, v30
	v_or3_b32 v18, v18, v13, v12
	v_pk_mov_b32 v[54:55], v[18:19], v[18:19] op_sel:[0,1]
.LBB237_803:                            ;   in Loop: Header=BB237_434 Depth=1
	s_or_b64 exec, exec, s[34:35]
.LBB237_804:                            ;   in Loop: Header=BB237_434 Depth=1
	s_or_b64 exec, exec, s[30:31]
.LBB237_805:                            ;   in Loop: Header=BB237_434 Depth=1
	s_or_b64 exec, exec, s[28:29]
	v_cmp_ne_u16_sdwa s[6:7], v52, v19 src0_sel:BYTE_1 src1_sel:DWORD
	s_and_saveexec_b64 s[28:29], s[6:7]
	s_cbranch_execz .LBB237_811
; %bb.806:                              ;   in Loop: Header=BB237_434 Depth=1
	v_cmp_ne_u16_sdwa s[6:7], v52, s9 src0_sel:BYTE_1 src1_sel:DWORD
	v_pk_mov_b32 v[40:41], s[16:17], s[16:17] op_sel:[0,1]
	s_and_saveexec_b64 s[30:31], s[6:7]
	s_cbranch_execz .LBB237_810
; %bb.807:                              ;   in Loop: Header=BB237_434 Depth=1
	v_and_b32_sdwa v12, v52, s15 dst_sel:DWORD dst_unused:UNUSED_PAD src0_sel:BYTE_1 src1_sel:DWORD
	s_mov_b32 s24, s16
	v_cmp_ne_u32_e64 s[6:7], s15, v12
	v_pk_mov_b32 v[40:41], s[24:25], s[24:25] op_sel:[0,1]
	s_and_saveexec_b64 s[34:35], s[6:7]
	s_cbranch_execz .LBB237_809
; %bb.808:                              ;   in Loop: Header=BB237_434 Depth=1
	v_mov_b32_e32 v13, 7
	v_and_b32_sdwa v18, v52, v13 dst_sel:DWORD dst_unused:UNUSED_PAD src0_sel:BYTE_1 src1_sel:DWORD
	v_lshrrev_b32_e32 v30, 3, v12
	v_cmp_gt_u32_e64 s[6:7], 8, v12
	v_ffbh_u32_e32 v12, v18
	v_min_u32_e32 v31, 32, v12
	v_subrev_u32_e32 v12, 28, v31
	v_lshlrev_b64 v[12:13], v12, v[18:19]
	v_sub_u32_e32 v13, 29, v31
	v_and_b32_e32 v12, 7, v12
	v_cndmask_b32_e64 v13, v30, v13, s[6:7]
	v_bfrev_b32_e32 v30, 60
	v_cndmask_b32_e64 v12, v18, v12, s[6:7]
	v_lshlrev_b32_e32 v18, 16, v52
	v_lshl_add_u32 v13, v13, 23, v30
	v_and_or_b32 v13, v18, s17, v13
	v_lshlrev_b32_e32 v12, 20, v12
	v_or_b32_e32 v41, v13, v12
	v_mov_b32_e32 v40, v19
.LBB237_809:                            ;   in Loop: Header=BB237_434 Depth=1
	s_or_b64 exec, exec, s[34:35]
.LBB237_810:                            ;   in Loop: Header=BB237_434 Depth=1
	s_or_b64 exec, exec, s[30:31]
.LBB237_811:                            ;   in Loop: Header=BB237_434 Depth=1
	s_or_b64 exec, exec, s[28:29]
	v_lshrrev_b32_e32 v12, 16, v52
	v_pk_mov_b32 v[30:31], 0, 0
	v_cmp_ne_u16_sdwa s[6:7], v12, v19 src0_sel:BYTE_0 src1_sel:DWORD
	v_pk_mov_b32 v[42:43], v[30:31], v[30:31] op_sel:[0,1]
	s_and_saveexec_b64 s[28:29], s[6:7]
	s_cbranch_execz .LBB237_817
; %bb.812:                              ;   in Loop: Header=BB237_434 Depth=1
	v_bfrev_b32_e32 v42, 1
	v_cmp_ne_u16_sdwa s[6:7], v12, s9 src0_sel:BYTE_0 src1_sel:DWORD
	v_mov_b32_e32 v43, 0
	s_and_saveexec_b64 s[30:31], s[6:7]
	s_cbranch_execz .LBB237_816
; %bb.813:                              ;   in Loop: Header=BB237_434 Depth=1
	v_bfe_u32 v13, v52, 16, 7
	v_mov_b32_e32 v42, 0x7f800001
	v_cmp_ne_u32_e64 s[6:7], s15, v13
	v_mov_b32_e32 v43, 0
	s_and_saveexec_b64 s[34:35], s[6:7]
	s_cbranch_execz .LBB237_815
; %bb.814:                              ;   in Loop: Header=BB237_434 Depth=1
	v_and_b32_e32 v18, 7, v12
	v_lshrrev_b32_e32 v53, 3, v13
	v_cmp_gt_u32_e64 s[6:7], 8, v13
	v_ffbh_u32_e32 v13, v18
	v_min_u32_e32 v13, 32, v13
	v_subrev_u32_e32 v42, 28, v13
	v_lshlrev_b64 v[42:43], v42, v[12:13]
	v_sub_u32_e32 v13, 29, v13
	v_and_b32_e32 v42, 7, v42
	v_cndmask_b32_e64 v13, v53, v13, s[6:7]
	v_cndmask_b32_e64 v18, v18, v42, s[6:7]
	v_bfrev_b32_e32 v53, 60
	v_lshlrev_b32_e32 v18, 20, v18
	v_and_b32_sdwa v12, sext(v12), s17 dst_sel:DWORD dst_unused:UNUSED_PAD src0_sel:BYTE_0 src1_sel:DWORD
	v_lshl_add_u32 v13, v13, 23, v53
	v_or3_b32 v18, v12, v13, v18
	v_pk_mov_b32 v[42:43], v[18:19], v[18:19] op_sel:[0,1]
.LBB237_815:                            ;   in Loop: Header=BB237_434 Depth=1
	s_or_b64 exec, exec, s[34:35]
.LBB237_816:                            ;   in Loop: Header=BB237_434 Depth=1
	s_or_b64 exec, exec, s[30:31]
.LBB237_817:                            ;   in Loop: Header=BB237_434 Depth=1
	s_or_b64 exec, exec, s[28:29]
	v_cmp_lt_u32_e64 s[6:7], s36, v52
	s_and_saveexec_b64 s[28:29], s[6:7]
	s_cbranch_execz .LBB237_823
; %bb.818:                              ;   in Loop: Header=BB237_434 Depth=1
	v_cmp_ne_u32_sdwa s[6:7], v52, s9 src0_sel:BYTE_3 src1_sel:DWORD
	v_pk_mov_b32 v[30:31], s[16:17], s[16:17] op_sel:[0,1]
	s_and_saveexec_b64 s[30:31], s[6:7]
	s_cbranch_execz .LBB237_822
; %bb.819:                              ;   in Loop: Header=BB237_434 Depth=1
	v_bfe_u32 v12, v52, 24, 7
	s_mov_b32 s24, s16
	v_cmp_ne_u32_e64 s[6:7], s15, v12
	v_pk_mov_b32 v[30:31], s[24:25], s[24:25] op_sel:[0,1]
	s_and_saveexec_b64 s[34:35], s[6:7]
	s_cbranch_execz .LBB237_821
; %bb.820:                              ;   in Loop: Header=BB237_434 Depth=1
	v_mov_b32_e32 v13, 7
	v_and_b32_sdwa v18, v52, v13 dst_sel:DWORD dst_unused:UNUSED_PAD src0_sel:BYTE_3 src1_sel:DWORD
	v_lshrrev_b32_e32 v30, 3, v12
	v_cmp_gt_u32_e64 s[6:7], 8, v12
	v_ffbh_u32_e32 v12, v18
	v_min_u32_e32 v31, 32, v12
	v_subrev_u32_e32 v12, 28, v31
	v_lshlrev_b64 v[12:13], v12, v[18:19]
	v_sub_u32_e32 v13, 29, v31
	v_and_b32_e32 v12, 7, v12
	v_cndmask_b32_e64 v13, v30, v13, s[6:7]
	v_cndmask_b32_e64 v12, v18, v12, s[6:7]
	v_mov_b32_e32 v18, 24
	v_bfrev_b32_e32 v30, 60
	v_lshlrev_b32_sdwa v18, v18, v52 dst_sel:DWORD dst_unused:UNUSED_PAD src0_sel:DWORD src1_sel:BYTE_3
	v_lshl_add_u32 v13, v13, 23, v30
	v_and_or_b32 v13, v18, s17, v13
	v_lshlrev_b32_e32 v12, 20, v12
	v_or_b32_e32 v31, v13, v12
	v_mov_b32_e32 v30, v19
.LBB237_821:                            ;   in Loop: Header=BB237_434 Depth=1
	s_or_b64 exec, exec, s[34:35]
.LBB237_822:                            ;   in Loop: Header=BB237_434 Depth=1
	s_or_b64 exec, exec, s[30:31]
.LBB237_823:                            ;   in Loop: Header=BB237_434 Depth=1
	s_or_b64 exec, exec, s[28:29]
	v_or_b32_e32 v13, v41, v55
	v_or_b32_e32 v12, v40, v54
	v_pk_mul_f32 v[54:55], v[26:27], v[12:13]
	v_or_b32_e32 v13, v31, v43
	v_or_b32_e32 v12, v30, v42
	v_pk_mul_f32 v[52:53], v[26:27], v[12:13]
	s_and_saveexec_b64 s[28:29], vcc
	s_cbranch_execz .LBB237_825
; %bb.824:                              ;   in Loop: Header=BB237_434 Depth=1
	v_accvgpr_read_b32 v12, a1
	v_cmp_lt_i32_e64 s[6:7], v12, v62
	v_accvgpr_read_b32 v12, a4
	v_cndmask_b32_e64 v54, 0, v54, s[6:7]
	v_cmp_lt_i32_e64 s[6:7], v12, v62
	v_accvgpr_read_b32 v12, a3
	v_cndmask_b32_e64 v55, 0, v55, s[6:7]
	;; [unrolled: 3-line block ×3, first 2 shown]
	v_cmp_lt_i32_e64 s[6:7], v12, v62
	v_cndmask_b32_e64 v53, 0, v53, s[6:7]
.LBB237_825:                            ;   in Loop: Header=BB237_434 Depth=1
	s_or_b64 exec, exec, s[28:29]
	v_accvgpr_read_b32 v12, a42
	v_add_co_u32_e64 v12, s[6:7], v44, v12
	v_addc_co_u32_e64 v13, s[6:7], 0, v45, s[6:7]
	flat_load_dword v40, v[12:13]
	v_pk_mov_b32 v[42:43], 0, 0
	v_pk_mov_b32 v[44:45], v[42:43], v[42:43] op_sel:[0,1]
	s_waitcnt vmcnt(0) lgkmcnt(0)
	v_cmp_ne_u16_sdwa s[6:7], v40, v19 src0_sel:BYTE_0 src1_sel:DWORD
	s_and_saveexec_b64 s[28:29], s[6:7]
	s_cbranch_execz .LBB237_831
; %bb.826:                              ;   in Loop: Header=BB237_434 Depth=1
	v_bfrev_b32_e32 v44, 1
	v_cmp_ne_u16_sdwa s[6:7], v40, s9 src0_sel:BYTE_0 src1_sel:DWORD
	v_mov_b32_e32 v45, 0
	s_and_saveexec_b64 s[30:31], s[6:7]
	s_cbranch_execz .LBB237_830
; %bb.827:                              ;   in Loop: Header=BB237_434 Depth=1
	v_and_b32_e32 v12, 0x7f, v40
	v_mov_b32_e32 v44, 0x7f800001
	v_cmp_ne_u32_e64 s[6:7], s15, v12
	v_mov_b32_e32 v45, 0
	s_and_saveexec_b64 s[34:35], s[6:7]
	s_cbranch_execz .LBB237_829
; %bb.828:                              ;   in Loop: Header=BB237_434 Depth=1
	v_and_b32_e32 v18, 7, v40
	v_lshrrev_b32_e32 v30, 3, v12
	v_cmp_gt_u32_e64 s[6:7], 8, v12
	v_ffbh_u32_e32 v12, v18
	v_min_u32_e32 v31, 32, v12
	v_subrev_u32_e32 v12, 28, v31
	v_lshlrev_b64 v[12:13], v12, v[40:41]
	v_sub_u32_e32 v13, 29, v31
	v_and_b32_e32 v12, 7, v12
	v_cndmask_b32_e64 v13, v30, v13, s[6:7]
	v_cndmask_b32_e64 v12, v18, v12, s[6:7]
	v_bfrev_b32_e32 v30, 60
	v_lshlrev_b32_e32 v12, 20, v12
	v_and_b32_sdwa v18, sext(v40), s17 dst_sel:DWORD dst_unused:UNUSED_PAD src0_sel:BYTE_0 src1_sel:DWORD
	v_lshl_add_u32 v13, v13, 23, v30
	v_or3_b32 v18, v18, v13, v12
	v_pk_mov_b32 v[44:45], v[18:19], v[18:19] op_sel:[0,1]
.LBB237_829:                            ;   in Loop: Header=BB237_434 Depth=1
	s_or_b64 exec, exec, s[34:35]
.LBB237_830:                            ;   in Loop: Header=BB237_434 Depth=1
	s_or_b64 exec, exec, s[30:31]
.LBB237_831:                            ;   in Loop: Header=BB237_434 Depth=1
	s_or_b64 exec, exec, s[28:29]
	v_cmp_ne_u16_sdwa s[6:7], v40, v19 src0_sel:BYTE_1 src1_sel:DWORD
	s_and_saveexec_b64 s[28:29], s[6:7]
	s_cbranch_execz .LBB237_837
; %bb.832:                              ;   in Loop: Header=BB237_434 Depth=1
	v_cmp_ne_u16_sdwa s[6:7], v40, s9 src0_sel:BYTE_1 src1_sel:DWORD
	v_pk_mov_b32 v[42:43], s[16:17], s[16:17] op_sel:[0,1]
	s_and_saveexec_b64 s[30:31], s[6:7]
	s_cbranch_execz .LBB237_836
; %bb.833:                              ;   in Loop: Header=BB237_434 Depth=1
	v_and_b32_sdwa v12, v40, s15 dst_sel:DWORD dst_unused:UNUSED_PAD src0_sel:BYTE_1 src1_sel:DWORD
	s_mov_b32 s24, s16
	v_cmp_ne_u32_e64 s[6:7], s15, v12
	v_pk_mov_b32 v[42:43], s[24:25], s[24:25] op_sel:[0,1]
	s_and_saveexec_b64 s[34:35], s[6:7]
	s_cbranch_execz .LBB237_835
; %bb.834:                              ;   in Loop: Header=BB237_434 Depth=1
	v_mov_b32_e32 v13, 7
	v_and_b32_sdwa v18, v40, v13 dst_sel:DWORD dst_unused:UNUSED_PAD src0_sel:BYTE_1 src1_sel:DWORD
	v_lshrrev_b32_e32 v30, 3, v12
	v_cmp_gt_u32_e64 s[6:7], 8, v12
	v_ffbh_u32_e32 v12, v18
	v_min_u32_e32 v31, 32, v12
	v_subrev_u32_e32 v12, 28, v31
	v_lshlrev_b64 v[12:13], v12, v[18:19]
	v_sub_u32_e32 v13, 29, v31
	v_and_b32_e32 v12, 7, v12
	v_cndmask_b32_e64 v13, v30, v13, s[6:7]
	v_bfrev_b32_e32 v30, 60
	v_cndmask_b32_e64 v12, v18, v12, s[6:7]
	v_lshlrev_b32_e32 v18, 16, v40
	v_lshl_add_u32 v13, v13, 23, v30
	v_and_or_b32 v13, v18, s17, v13
	v_lshlrev_b32_e32 v12, 20, v12
	v_or_b32_e32 v43, v13, v12
	v_mov_b32_e32 v42, v19
.LBB237_835:                            ;   in Loop: Header=BB237_434 Depth=1
	s_or_b64 exec, exec, s[34:35]
.LBB237_836:                            ;   in Loop: Header=BB237_434 Depth=1
	s_or_b64 exec, exec, s[30:31]
.LBB237_837:                            ;   in Loop: Header=BB237_434 Depth=1
	s_or_b64 exec, exec, s[28:29]
	v_lshrrev_b32_e32 v18, 16, v40
	v_pk_mov_b32 v[30:31], 0, 0
	v_cmp_ne_u16_sdwa s[6:7], v18, v19 src0_sel:BYTE_0 src1_sel:DWORD
	v_pk_mov_b32 v[12:13], v[30:31], v[30:31] op_sel:[0,1]
	s_and_saveexec_b64 s[28:29], s[6:7]
	s_cbranch_execz .LBB237_843
; %bb.838:                              ;   in Loop: Header=BB237_434 Depth=1
	v_bfrev_b32_e32 v12, 1
	v_cmp_ne_u16_sdwa s[6:7], v18, s9 src0_sel:BYTE_0 src1_sel:DWORD
	v_mov_b32_e32 v13, 0
	s_and_saveexec_b64 s[30:31], s[6:7]
	s_cbranch_execz .LBB237_842
; %bb.839:                              ;   in Loop: Header=BB237_434 Depth=1
	v_bfe_u32 v41, v40, 16, 7
	v_mov_b32_e32 v12, 0x7f800001
	v_cmp_ne_u32_e64 s[6:7], s15, v41
	v_mov_b32_e32 v13, 0
	s_and_saveexec_b64 s[34:35], s[6:7]
	s_cbranch_execz .LBB237_841
; %bb.840:                              ;   in Loop: Header=BB237_434 Depth=1
	v_and_b32_e32 v59, 7, v18
	v_ffbh_u32_e32 v12, v59
	v_accvgpr_write_b32 a14, v60
	v_lshrrev_b32_e32 v60, 3, v41
	v_cmp_gt_u32_e64 s[6:7], 8, v41
	v_min_u32_e32 v41, 32, v12
	v_subrev_u32_e32 v12, 28, v41
	v_lshlrev_b64 v[12:13], v12, v[18:19]
	v_sub_u32_e32 v13, 29, v41
	v_and_b32_e32 v12, 7, v12
	v_cndmask_b32_e64 v13, v60, v13, s[6:7]
	v_cndmask_b32_e64 v12, v59, v12, s[6:7]
	v_bfrev_b32_e32 v41, 60
	v_lshlrev_b32_e32 v12, 20, v12
	v_and_b32_sdwa v18, sext(v18), s17 dst_sel:DWORD dst_unused:UNUSED_PAD src0_sel:BYTE_0 src1_sel:DWORD
	v_lshl_add_u32 v13, v13, 23, v41
	v_or3_b32 v18, v18, v13, v12
	v_accvgpr_read_b32 v60, a14
	v_accvgpr_read_b32 v59, a19
	v_pk_mov_b32 v[12:13], v[18:19], v[18:19] op_sel:[0,1]
.LBB237_841:                            ;   in Loop: Header=BB237_434 Depth=1
	s_or_b64 exec, exec, s[34:35]
.LBB237_842:                            ;   in Loop: Header=BB237_434 Depth=1
	s_or_b64 exec, exec, s[30:31]
.LBB237_843:                            ;   in Loop: Header=BB237_434 Depth=1
	s_or_b64 exec, exec, s[28:29]
	v_cmp_lt_u32_e64 s[6:7], s36, v40
	s_and_saveexec_b64 s[28:29], s[6:7]
	s_cbranch_execz .LBB237_849
; %bb.844:                              ;   in Loop: Header=BB237_434 Depth=1
	v_cmp_ne_u32_sdwa s[6:7], v40, s9 src0_sel:BYTE_3 src1_sel:DWORD
	v_pk_mov_b32 v[30:31], s[16:17], s[16:17] op_sel:[0,1]
	s_and_saveexec_b64 s[30:31], s[6:7]
	s_cbranch_execz .LBB237_848
; %bb.845:                              ;   in Loop: Header=BB237_434 Depth=1
	v_bfe_u32 v41, v40, 24, 7
	s_mov_b32 s24, s16
	v_cmp_ne_u32_e64 s[6:7], s15, v41
	v_pk_mov_b32 v[30:31], s[24:25], s[24:25] op_sel:[0,1]
	s_and_saveexec_b64 s[34:35], s[6:7]
	s_cbranch_execz .LBB237_847
; %bb.846:                              ;   in Loop: Header=BB237_434 Depth=1
	v_mov_b32_e32 v18, 7
	v_and_b32_sdwa v18, v40, v18 dst_sel:DWORD dst_unused:UNUSED_PAD src0_sel:BYTE_3 src1_sel:DWORD
	v_ffbh_u32_e32 v30, v18
	v_lshrrev_b32_e32 v59, 3, v41
	v_cmp_gt_u32_e64 s[6:7], 8, v41
	v_min_u32_e32 v41, 32, v30
	v_subrev_u32_e32 v30, 28, v41
	v_lshlrev_b64 v[30:31], v30, v[18:19]
	v_and_b32_e32 v30, 7, v30
	v_sub_u32_e32 v31, 29, v41
	v_cndmask_b32_e64 v18, v18, v30, s[6:7]
	v_mov_b32_e32 v30, 24
	v_cndmask_b32_e64 v31, v59, v31, s[6:7]
	v_lshlrev_b32_sdwa v30, v30, v40 dst_sel:DWORD dst_unused:UNUSED_PAD src0_sel:DWORD src1_sel:BYTE_3
	v_bfrev_b32_e32 v40, 60
	v_lshl_add_u32 v31, v31, 23, v40
	v_and_or_b32 v30, v30, s17, v31
	v_lshlrev_b32_e32 v18, 20, v18
	v_accvgpr_read_b32 v59, a19
	v_or_b32_e32 v31, v30, v18
	v_mov_b32_e32 v30, v19
.LBB237_847:                            ;   in Loop: Header=BB237_434 Depth=1
	s_or_b64 exec, exec, s[34:35]
.LBB237_848:                            ;   in Loop: Header=BB237_434 Depth=1
	s_or_b64 exec, exec, s[30:31]
.LBB237_849:                            ;   in Loop: Header=BB237_434 Depth=1
	s_or_b64 exec, exec, s[28:29]
	v_or_b32_e32 v41, v43, v45
	v_or_b32_e32 v40, v42, v44
	;; [unrolled: 1-line block ×4, first 2 shown]
	v_pk_mul_f32 v[40:41], v[26:27], v[40:41]
	v_pk_mul_f32 v[26:27], v[26:27], v[12:13]
	s_and_saveexec_b64 s[6:7], vcc
	s_cbranch_execz .LBB237_432
; %bb.850:                              ;   in Loop: Header=BB237_434 Depth=1
	v_accvgpr_read_b32 v12, a1
	v_cmp_lt_i32_e32 vcc, v12, v62
	v_accvgpr_read_b32 v12, a4
	v_cndmask_b32_e32 v40, 0, v40, vcc
	v_cmp_lt_i32_e32 vcc, v12, v62
	v_accvgpr_read_b32 v12, a3
	v_cndmask_b32_e32 v41, 0, v41, vcc
	;; [unrolled: 3-line block ×3, first 2 shown]
	v_cmp_lt_i32_e32 vcc, v12, v62
	v_cndmask_b32_e32 v27, 0, v27, vcc
	s_branch .LBB237_432
.LBB237_851:
	s_or_b64 exec, exec, s[22:23]
	v_accvgpr_read_b32 v28, a0
	v_accvgpr_read_b32 v21, a16
	;; [unrolled: 1-line block ×4, first 2 shown]
.LBB237_852:
	s_or_b64 exec, exec, s[12:13]
	ds_bpermute_b32 v2, v21, v6
	ds_bpermute_b32 v3, v21, v7
	;; [unrolled: 1-line block ×6, first 2 shown]
	s_waitcnt lgkmcnt(0)
	v_pk_add_f32 v[2:3], v[6:7], v[2:3]
	ds_bpermute_b32 v6, v28, v2
	v_pk_add_f32 v[0:1], v[8:9], v[0:1]
	ds_bpermute_b32 v7, v28, v3
	ds_bpermute_b32 v8, v21, v10
	;; [unrolled: 1-line block ×5, first 2 shown]
	s_waitcnt lgkmcnt(4)
	v_pk_add_f32 v[2:3], v[2:3], v[6:7]
	v_pk_add_f32 v[12:13], v[48:49], v[12:13]
	s_waitcnt lgkmcnt(2)
	v_pk_add_f32 v[6:7], v[10:11], v[8:9]
	ds_bpermute_b32 v8, v28, v6
	ds_bpermute_b32 v9, v28, v7
	s_waitcnt lgkmcnt(2)
	v_pk_add_f32 v[0:1], v[0:1], v[4:5]
	ds_bpermute_b32 v4, v29, v0
	ds_bpermute_b32 v5, v29, v1
	ds_bpermute_b32 v14, v28, v12
	s_waitcnt lgkmcnt(3)
	v_pk_add_f32 v[6:7], v[6:7], v[8:9]
	ds_bpermute_b32 v8, v29, v6
	;; [unrolled: 5-line block ×3, first 2 shown]
	ds_bpermute_b32 v19, v21, v51
	s_waitcnt lgkmcnt(3)
	v_pk_add_f32 v[0:1], v[6:7], v[8:9]
	s_waitcnt lgkmcnt(2)
	v_pk_add_f32 v[6:7], v[12:13], v[14:15]
	ds_bpermute_b32 v12, v21, v16
	ds_bpermute_b32 v13, v21, v17
	;; [unrolled: 1-line block ×4, first 2 shown]
	s_waitcnt lgkmcnt(0)
	s_barrier
	v_pk_add_f32 v[12:13], v[16:17], v[12:13]
	ds_bpermute_b32 v16, v28, v12
	ds_bpermute_b32 v17, v28, v13
	s_waitcnt lgkmcnt(0)
	ds_bpermute_b32 v10, v29, v2
	ds_bpermute_b32 v11, v29, v3
	;; [unrolled: 1-line block ×3, first 2 shown]
	v_pk_add_f32 v[16:17], v[12:13], v[16:17]
	v_pk_add_f32 v[12:13], v[50:51], v[18:19]
	ds_bpermute_b32 v18, v28, v12
	ds_bpermute_b32 v19, v28, v13
	s_waitcnt lgkmcnt(3)
	v_pk_add_f32 v[2:3], v[2:3], v[10:11]
	ds_bpermute_b32 v10, v21, v52
	ds_bpermute_b32 v11, v21, v53
	;; [unrolled: 1-line block ×3, first 2 shown]
	s_waitcnt lgkmcnt(3)
	v_pk_add_f32 v[18:19], v[12:13], v[18:19]
	ds_bpermute_b32 v24, v29, v18
	ds_bpermute_b32 v25, v29, v19
	v_pk_add_f32 v[12:13], v[6:7], v[8:9]
	s_waitcnt lgkmcnt(3)
	v_pk_add_f32 v[10:11], v[52:53], v[10:11]
	ds_bpermute_b32 v14, v28, v10
	ds_bpermute_b32 v15, v28, v11
	s_waitcnt lgkmcnt(2)
	v_pk_add_f32 v[6:7], v[18:19], v[24:25]
	buffer_load_dword v18, off, s[0:3], s32 offset:532 ; 4-byte Folded Reload
	v_pk_add_f32 v[22:23], v[38:39], v[22:23]
	ds_bpermute_b32 v26, v28, v22
	s_waitcnt lgkmcnt(1)
	v_pk_add_f32 v[10:11], v[10:11], v[14:15]
	ds_bpermute_b32 v14, v29, v10
	ds_bpermute_b32 v15, v29, v11
	;; [unrolled: 1-line block ×5, first 2 shown]
	s_waitcnt lgkmcnt(3)
	v_pk_add_f32 v[10:11], v[10:11], v[14:15]
	s_waitcnt lgkmcnt(2)
	v_pk_add_f32 v[14:15], v[22:23], v[26:27]
	;; [unrolled: 2-line block ×3, first 2 shown]
	ds_bpermute_b32 v16, v29, v14
	ds_bpermute_b32 v17, v29, v15
	s_waitcnt vmcnt(0)
	v_and_b32_e32 v18, 0x3c7, v18
	v_cmp_ne_u32_e32 vcc, 64, v18
	s_and_saveexec_b64 s[6:7], vcc
	s_xor_b64 s[6:7], exec, s[6:7]
; %bb.853:
                                        ; implicit-def: $vgpr61
; %bb.854:
	s_or_saveexec_b64 s[6:7], s[6:7]
	s_waitcnt lgkmcnt(0)
	v_pk_add_f32 v[14:15], v[14:15], v[16:17]
	s_xor_b64 exec, exec, s[6:7]
	s_cbranch_execz .LBB237_856
; %bb.855:
	s_load_dword s9, s[10:11], 0x0
	v_lshrrev_b32_e32 v16, 1, v61
	s_waitcnt lgkmcnt(0)
	v_add_u32_e32 v16, s9, v16
	ds_write2_b32 v16, v4, v5 offset1:8
	ds_write2_b32 v16, v2, v3 offset0:16 offset1:24
	ds_write2_b32 v16, v0, v1 offset0:32 offset1:40
	;; [unrolled: 1-line block ×7, first 2 shown]
.LBB237_856:
	s_or_b64 exec, exec, s[6:7]
	s_waitcnt lgkmcnt(0)
	s_barrier
	s_and_saveexec_b64 s[6:7], s[4:5]
	s_cbranch_execz .LBB237_875
; %bb.857:
	buffer_load_dword v16, off, s[0:3], s32 offset:532 ; 4-byte Folded Reload
	v_cmp_eq_u32_e32 vcc, 0, v32
	s_waitcnt vmcnt(0)
	v_lshrrev_b32_e32 v16, 3, v16
	s_and_saveexec_b64 s[4:5], vcc
	s_cbranch_execnz .LBB237_878
; %bb.858:
	s_or_b64 exec, exec, s[4:5]
	s_and_saveexec_b64 s[4:5], vcc
	s_cbranch_execnz .LBB237_879
.LBB237_859:
	s_or_b64 exec, exec, s[4:5]
	s_and_saveexec_b64 s[4:5], vcc
	s_cbranch_execnz .LBB237_880
.LBB237_860:
	s_or_b64 exec, exec, s[4:5]
	s_and_saveexec_b64 s[4:5], vcc
	s_cbranch_execnz .LBB237_881
.LBB237_861:
	s_or_b64 exec, exec, s[4:5]
	s_and_saveexec_b64 s[4:5], vcc
	s_cbranch_execnz .LBB237_882
.LBB237_862:
	s_or_b64 exec, exec, s[4:5]
	s_and_saveexec_b64 s[4:5], vcc
	s_cbranch_execnz .LBB237_883
.LBB237_863:
	s_or_b64 exec, exec, s[4:5]
	s_and_saveexec_b64 s[4:5], vcc
	s_cbranch_execnz .LBB237_884
.LBB237_864:
	s_or_b64 exec, exec, s[4:5]
	s_and_saveexec_b64 s[4:5], vcc
	s_cbranch_execnz .LBB237_885
.LBB237_865:
	s_or_b64 exec, exec, s[4:5]
	s_and_saveexec_b64 s[4:5], vcc
	s_cbranch_execnz .LBB237_886
.LBB237_866:
	s_or_b64 exec, exec, s[4:5]
	s_and_saveexec_b64 s[4:5], vcc
	s_cbranch_execnz .LBB237_887
.LBB237_867:
	s_or_b64 exec, exec, s[4:5]
	s_and_saveexec_b64 s[4:5], vcc
	s_cbranch_execnz .LBB237_888
.LBB237_868:
	s_or_b64 exec, exec, s[4:5]
	s_and_saveexec_b64 s[4:5], vcc
	s_cbranch_execnz .LBB237_889
.LBB237_869:
	s_or_b64 exec, exec, s[4:5]
	s_and_saveexec_b64 s[4:5], vcc
	s_cbranch_execnz .LBB237_890
.LBB237_870:
	s_or_b64 exec, exec, s[4:5]
	s_and_saveexec_b64 s[4:5], vcc
	s_cbranch_execnz .LBB237_891
.LBB237_871:
	s_or_b64 exec, exec, s[4:5]
	s_and_saveexec_b64 s[4:5], vcc
	s_cbranch_execnz .LBB237_892
.LBB237_872:
	s_or_b64 exec, exec, s[4:5]
	s_and_saveexec_b64 s[4:5], vcc
	s_cbranch_execz .LBB237_874
.LBB237_873:
	s_load_dword s9, s[10:11], 0x0
	s_waitcnt lgkmcnt(0)
	v_lshl_add_u32 v16, v16, 2, s9
	ds_read_b32 v16, v16 offset:480
	s_waitcnt lgkmcnt(0)
	v_add_f32_e32 v15, v16, v15
.LBB237_874:
	s_or_b64 exec, exec, s[4:5]
.LBB237_875:
	s_or_b64 exec, exec, s[6:7]
	v_cmp_eq_u32_e32 vcc, 0, v18
	s_barrier
	s_and_b64 exec, exec, vcc
	s_cbranch_execz .LBB237_877
; %bb.876:
	buffer_load_dword v17, off, s[0:3], s32 offset:572 ; 4-byte Folded Reload
	buffer_load_dword v18, off, s[0:3], s32 offset:576 ; 4-byte Folded Reload
	s_lshl_b32 s4, s8, 7
	s_mul_i32 s6, s20, s21
	s_lshl_b32 s8, s14, 7
	s_ashr_i32 s5, s4, 31
	s_ashr_i32 s7, s6, 31
	;; [unrolled: 1-line block ×3, first 2 shown]
	s_lshl_b64 s[4:5], s[4:5], 2
	s_lshl_b64 s[6:7], s[6:7], 2
	s_lshl_b64 s[8:9], s[8:9], 2
	s_add_u32 s6, s8, s6
	s_addc_u32 s7, s9, s7
	s_add_u32 s4, s6, s4
	s_addc_u32 s5, s7, s5
	v_mov_b32_e32 v16, s5
	s_waitcnt vmcnt(1)
	v_add_co_u32_e32 v17, vcc, s4, v17
	s_waitcnt vmcnt(0)
	v_addc_co_u32_e32 v18, vcc, v16, v18, vcc
	buffer_load_dword v16, off, s[0:3], s32 offset:532 ; 4-byte Folded Reload
	s_waitcnt vmcnt(0)
	v_lshrrev_b32_e32 v16, 1, v16
	v_add_co_u32_e32 v16, vcc, v17, v16
	v_addc_co_u32_e32 v17, vcc, 0, v18, vcc
	flat_store_dword v[16:17], v4
	flat_store_dword v[16:17], v5 offset:32
	flat_store_dword v[16:17], v2 offset:64
	;; [unrolled: 1-line block ×15, first 2 shown]
.LBB237_877:
	s_or_b64 exec, exec, s[18:19]
	buffer_load_dword a63, off, s[0:3], s32 offset:8 ; 4-byte Folded Reload
	buffer_load_dword a62, off, s[0:3], s32 offset:12 ; 4-byte Folded Reload
	;; [unrolled: 1-line block ×47, first 2 shown]
	v_readlane_b32 s30, v63, 13
	v_readlane_b32 s31, v63, 14
	v_readlane_b32 s46, v63, 12
	v_readlane_b32 s45, v63, 11
	v_readlane_b32 s44, v63, 10
	v_readlane_b32 s43, v63, 9
	v_readlane_b32 s42, v63, 8
	v_readlane_b32 s41, v63, 7
	v_readlane_b32 s40, v63, 6
	v_readlane_b32 s39, v63, 5
	v_readlane_b32 s38, v63, 4
	v_readlane_b32 s37, v63, 3
	v_readlane_b32 s36, v63, 2
	v_readlane_b32 s35, v63, 1
	v_readlane_b32 s34, v63, 0
	s_or_saveexec_b64 s[4:5], -1
	buffer_load_dword v63, off, s[0:3], s32 offset:652 ; 4-byte Folded Reload
	s_mov_b64 exec, s[4:5]
	s_waitcnt vmcnt(0) lgkmcnt(0)
	s_setpc_b64 s[30:31]
.LBB237_878:
	s_load_dword s9, s[10:11], 0x0
	s_waitcnt lgkmcnt(0)
	v_lshl_add_u32 v17, v16, 2, s9
	ds_read_b32 v17, v17
	s_waitcnt lgkmcnt(0)
	v_add_f32_e32 v4, v17, v4
	s_or_b64 exec, exec, s[4:5]
	s_and_saveexec_b64 s[4:5], vcc
	s_cbranch_execz .LBB237_859
.LBB237_879:
	s_load_dword s9, s[10:11], 0x0
	s_waitcnt lgkmcnt(0)
	v_lshl_add_u32 v17, v16, 2, s9
	ds_read_b32 v17, v17 offset:32
	s_waitcnt lgkmcnt(0)
	v_add_f32_e32 v5, v17, v5
	s_or_b64 exec, exec, s[4:5]
	s_and_saveexec_b64 s[4:5], vcc
	s_cbranch_execz .LBB237_860
.LBB237_880:
	s_load_dword s9, s[10:11], 0x0
	s_waitcnt lgkmcnt(0)
	v_lshl_add_u32 v17, v16, 2, s9
	ds_read_b32 v17, v17 offset:64
	s_waitcnt lgkmcnt(0)
	v_add_f32_e32 v2, v17, v2
	s_or_b64 exec, exec, s[4:5]
	s_and_saveexec_b64 s[4:5], vcc
	s_cbranch_execz .LBB237_861
.LBB237_881:
	s_load_dword s9, s[10:11], 0x0
	s_waitcnt lgkmcnt(0)
	v_lshl_add_u32 v17, v16, 2, s9
	ds_read_b32 v17, v17 offset:96
	s_waitcnt lgkmcnt(0)
	v_add_f32_e32 v3, v17, v3
	s_or_b64 exec, exec, s[4:5]
	s_and_saveexec_b64 s[4:5], vcc
	s_cbranch_execz .LBB237_862
.LBB237_882:
	s_load_dword s9, s[10:11], 0x0
	s_waitcnt lgkmcnt(0)
	v_lshl_add_u32 v17, v16, 2, s9
	ds_read_b32 v17, v17 offset:128
	s_waitcnt lgkmcnt(0)
	v_add_f32_e32 v0, v17, v0
	s_or_b64 exec, exec, s[4:5]
	s_and_saveexec_b64 s[4:5], vcc
	s_cbranch_execz .LBB237_863
.LBB237_883:
	s_load_dword s9, s[10:11], 0x0
	s_waitcnt lgkmcnt(0)
	v_lshl_add_u32 v17, v16, 2, s9
	ds_read_b32 v17, v17 offset:160
	s_waitcnt lgkmcnt(0)
	v_add_f32_e32 v1, v17, v1
	s_or_b64 exec, exec, s[4:5]
	s_and_saveexec_b64 s[4:5], vcc
	s_cbranch_execz .LBB237_864
.LBB237_884:
	s_load_dword s9, s[10:11], 0x0
	s_waitcnt lgkmcnt(0)
	v_lshl_add_u32 v17, v16, 2, s9
	ds_read_b32 v17, v17 offset:192
	s_waitcnt lgkmcnt(0)
	v_add_f32_e32 v12, v17, v12
	s_or_b64 exec, exec, s[4:5]
	s_and_saveexec_b64 s[4:5], vcc
	s_cbranch_execz .LBB237_865
.LBB237_885:
	s_load_dword s9, s[10:11], 0x0
	s_waitcnt lgkmcnt(0)
	v_lshl_add_u32 v17, v16, 2, s9
	ds_read_b32 v17, v17 offset:224
	s_waitcnt lgkmcnt(0)
	v_add_f32_e32 v13, v17, v13
	s_or_b64 exec, exec, s[4:5]
	s_and_saveexec_b64 s[4:5], vcc
	s_cbranch_execz .LBB237_866
.LBB237_886:
	s_load_dword s9, s[10:11], 0x0
	s_waitcnt lgkmcnt(0)
	v_lshl_add_u32 v17, v16, 2, s9
	ds_read_b32 v17, v17 offset:256
	s_waitcnt lgkmcnt(0)
	v_add_f32_e32 v10, v17, v10
	s_or_b64 exec, exec, s[4:5]
	s_and_saveexec_b64 s[4:5], vcc
	s_cbranch_execz .LBB237_867
.LBB237_887:
	s_load_dword s9, s[10:11], 0x0
	s_waitcnt lgkmcnt(0)
	v_lshl_add_u32 v17, v16, 2, s9
	ds_read_b32 v17, v17 offset:288
	s_waitcnt lgkmcnt(0)
	v_add_f32_e32 v11, v17, v11
	s_or_b64 exec, exec, s[4:5]
	s_and_saveexec_b64 s[4:5], vcc
	s_cbranch_execz .LBB237_868
.LBB237_888:
	s_load_dword s9, s[10:11], 0x0
	s_waitcnt lgkmcnt(0)
	v_lshl_add_u32 v17, v16, 2, s9
	ds_read_b32 v17, v17 offset:320
	s_waitcnt lgkmcnt(0)
	v_add_f32_e32 v8, v17, v8
	s_or_b64 exec, exec, s[4:5]
	s_and_saveexec_b64 s[4:5], vcc
	s_cbranch_execz .LBB237_869
.LBB237_889:
	s_load_dword s9, s[10:11], 0x0
	s_waitcnt lgkmcnt(0)
	v_lshl_add_u32 v17, v16, 2, s9
	ds_read_b32 v17, v17 offset:352
	s_waitcnt lgkmcnt(0)
	v_add_f32_e32 v9, v17, v9
	s_or_b64 exec, exec, s[4:5]
	s_and_saveexec_b64 s[4:5], vcc
	s_cbranch_execz .LBB237_870
.LBB237_890:
	s_load_dword s9, s[10:11], 0x0
	s_waitcnt lgkmcnt(0)
	v_lshl_add_u32 v17, v16, 2, s9
	ds_read_b32 v17, v17 offset:384
	s_waitcnt lgkmcnt(0)
	v_add_f32_e32 v6, v17, v6
	s_or_b64 exec, exec, s[4:5]
	s_and_saveexec_b64 s[4:5], vcc
	s_cbranch_execz .LBB237_871
.LBB237_891:
	s_load_dword s9, s[10:11], 0x0
	s_waitcnt lgkmcnt(0)
	v_lshl_add_u32 v17, v16, 2, s9
	ds_read_b32 v17, v17 offset:416
	s_waitcnt lgkmcnt(0)
	v_add_f32_e32 v7, v17, v7
	s_or_b64 exec, exec, s[4:5]
	s_and_saveexec_b64 s[4:5], vcc
	s_cbranch_execz .LBB237_872
.LBB237_892:
	s_load_dword s9, s[10:11], 0x0
	s_waitcnt lgkmcnt(0)
	v_lshl_add_u32 v17, v16, 2, s9
	ds_read_b32 v17, v17 offset:448
	s_waitcnt lgkmcnt(0)
	v_add_f32_e32 v14, v17, v14
	s_or_b64 exec, exec, s[4:5]
	s_and_saveexec_b64 s[4:5], vcc
	s_cbranch_execnz .LBB237_873
	s_branch .LBB237_874
.Lfunc_end237:
	.size	_ZN4vllm22paged_attention_kernelIfhLi128ELi32ELi128ELNS_18Fp8KVCacheDataTypeE1ELb1ELi512EEEvPfS2_PT_PKS3_PKT0_S9_ifPKiSB_iPKfiiiSD_SD_iiiii, .Lfunc_end237-_ZN4vllm22paged_attention_kernelIfhLi128ELi32ELi128ELNS_18Fp8KVCacheDataTypeE1ELb1ELi512EEEvPfS2_PT_PKS3_PKT0_S9_ifPKiSB_iPKfiiiSD_SD_iiiii
                                        ; -- End function
	.section	.AMDGPU.csdata,"",@progbits
; Function info:
; codeLenInByte = 42212
; NumSgprs: 51
; NumVgprs: 64
; NumAgprs: 64
; TotalNumVgprs: 128
; ScratchSize: 660
; MemoryBound: 0
	.section	.text._ZN4vllm25paged_attention_v2_kernelIfhLi128ELi32ELi128ELNS_18Fp8KVCacheDataTypeE1ELb1ELi512EEEvPfS2_PT_PKS3_PKT0_S9_ifPKiSB_iPKfiiiSD_SD_iiiii,"axG",@progbits,_ZN4vllm25paged_attention_v2_kernelIfhLi128ELi32ELi128ELNS_18Fp8KVCacheDataTypeE1ELb1ELi512EEEvPfS2_PT_PKS3_PKT0_S9_ifPKiSB_iPKfiiiSD_SD_iiiii,comdat
	.protected	_ZN4vllm25paged_attention_v2_kernelIfhLi128ELi32ELi128ELNS_18Fp8KVCacheDataTypeE1ELb1ELi512EEEvPfS2_PT_PKS3_PKT0_S9_ifPKiSB_iPKfiiiSD_SD_iiiii ; -- Begin function _ZN4vllm25paged_attention_v2_kernelIfhLi128ELi32ELi128ELNS_18Fp8KVCacheDataTypeE1ELb1ELi512EEEvPfS2_PT_PKS3_PKT0_S9_ifPKiSB_iPKfiiiSD_SD_iiiii
	.globl	_ZN4vllm25paged_attention_v2_kernelIfhLi128ELi32ELi128ELNS_18Fp8KVCacheDataTypeE1ELb1ELi512EEEvPfS2_PT_PKS3_PKT0_S9_ifPKiSB_iPKfiiiSD_SD_iiiii
	.p2align	8
	.type	_ZN4vllm25paged_attention_v2_kernelIfhLi128ELi32ELi128ELNS_18Fp8KVCacheDataTypeE1ELb1ELi512EEEvPfS2_PT_PKS3_PKT0_S9_ifPKiSB_iPKfiiiSD_SD_iiiii,@function
_ZN4vllm25paged_attention_v2_kernelIfhLi128ELi32ELi128ELNS_18Fp8KVCacheDataTypeE1ELb1ELi512EEEvPfS2_PT_PKS3_PKT0_S9_ifPKiSB_iPKfiiiSD_SD_iiiii: ; @_ZN4vllm25paged_attention_v2_kernelIfhLi128ELi32ELi128ELNS_18Fp8KVCacheDataTypeE1ELb1ELi512EEEvPfS2_PT_PKS3_PKT0_S9_ifPKiSB_iPKfiiiSD_SD_iiiii
; %bb.0:
	s_add_u32 flat_scratch_lo, s6, s11
	s_addc_u32 flat_scratch_hi, s7, 0
	s_add_u32 s0, s0, s11
	s_mov_b32 s12, s8
	s_load_dwordx8 s[24:31], s[4:5], 0x0
	s_load_dwordx8 s[16:23], s[4:5], 0x20
	s_load_dwordx2 s[6:7], s[4:5], 0x40
	s_load_dwordx4 s[44:47], s[4:5], 0x78
	s_load_dwordx2 s[34:35], s[4:5], 0x50
	s_load_dword s11, s[4:5], 0x48
	s_load_dword s8, s[4:5], 0x88
	s_load_dwordx8 s[36:43], s[4:5], 0x58
	s_mov_b32 s32, 0
	s_addc_u32 s1, s1, 0
	s_waitcnt lgkmcnt(0)
	v_mov_b32_e32 v1, s47
	buffer_store_dword v1, off, s[0:3], s32
	v_mov_b32_e32 v1, s8
	s_add_u32 s8, s4, 0x90
	s_mov_b32 s13, s9
	buffer_store_dword v1, off, s[0:3], s32 offset:4
	s_addc_u32 s9, s5, 0
	s_mov_b32 s14, s10
	s_mov_b32 s15, 33
	v_mov_b32_e32 v31, v0
	v_mov_b32_e32 v0, s24
	;; [unrolled: 1-line block ×32, first 2 shown]
	s_getpc_b64 s[4:5]
	s_add_u32 s4, s4, _ZN4vllm22paged_attention_kernelIfhLi128ELi32ELi128ELNS_18Fp8KVCacheDataTypeE1ELb1ELi512EEEvPfS2_PT_PKS3_PKT0_S9_ifPKiSB_iPKfiiiSD_SD_iiiii@rel32@lo+4
	s_addc_u32 s5, s5, _ZN4vllm22paged_attention_kernelIfhLi128ELi32ELi128ELNS_18Fp8KVCacheDataTypeE1ELb1ELi512EEEvPfS2_PT_PKS3_PKT0_S9_ifPKiSB_iPKfiiiSD_SD_iiiii@rel32@hi+12
	s_swappc_b64 s[30:31], s[4:5]
	s_endpgm
	.section	.rodata,"a",@progbits
	.p2align	6, 0x0
	.amdhsa_kernel _ZN4vllm25paged_attention_v2_kernelIfhLi128ELi32ELi128ELNS_18Fp8KVCacheDataTypeE1ELb1ELi512EEEvPfS2_PT_PKS3_PKT0_S9_ifPKiSB_iPKfiiiSD_SD_iiiii
		.amdhsa_group_segment_fixed_size 528
		.amdhsa_private_segment_fixed_size 660
		.amdhsa_kernarg_size 400
		.amdhsa_user_sgpr_count 8
		.amdhsa_user_sgpr_private_segment_buffer 1
		.amdhsa_user_sgpr_dispatch_ptr 0
		.amdhsa_user_sgpr_queue_ptr 0
		.amdhsa_user_sgpr_kernarg_segment_ptr 1
		.amdhsa_user_sgpr_dispatch_id 0
		.amdhsa_user_sgpr_flat_scratch_init 1
		.amdhsa_user_sgpr_kernarg_preload_length 0
		.amdhsa_user_sgpr_kernarg_preload_offset 0
		.amdhsa_user_sgpr_private_segment_size 0
		.amdhsa_uses_dynamic_stack 0
		.amdhsa_system_sgpr_private_segment_wavefront_offset 1
		.amdhsa_system_sgpr_workgroup_id_x 1
		.amdhsa_system_sgpr_workgroup_id_y 1
		.amdhsa_system_sgpr_workgroup_id_z 1
		.amdhsa_system_sgpr_workgroup_info 0
		.amdhsa_system_vgpr_workitem_id 0
		.amdhsa_next_free_vgpr 128
		.amdhsa_next_free_sgpr 48
		.amdhsa_accum_offset 64
		.amdhsa_reserve_vcc 1
		.amdhsa_reserve_flat_scratch 1
		.amdhsa_float_round_mode_32 0
		.amdhsa_float_round_mode_16_64 0
		.amdhsa_float_denorm_mode_32 3
		.amdhsa_float_denorm_mode_16_64 3
		.amdhsa_dx10_clamp 1
		.amdhsa_ieee_mode 1
		.amdhsa_fp16_overflow 0
		.amdhsa_tg_split 0
		.amdhsa_exception_fp_ieee_invalid_op 0
		.amdhsa_exception_fp_denorm_src 0
		.amdhsa_exception_fp_ieee_div_zero 0
		.amdhsa_exception_fp_ieee_overflow 0
		.amdhsa_exception_fp_ieee_underflow 0
		.amdhsa_exception_fp_ieee_inexact 0
		.amdhsa_exception_int_div_zero 0
	.end_amdhsa_kernel
	.section	.text._ZN4vllm25paged_attention_v2_kernelIfhLi128ELi32ELi128ELNS_18Fp8KVCacheDataTypeE1ELb1ELi512EEEvPfS2_PT_PKS3_PKT0_S9_ifPKiSB_iPKfiiiSD_SD_iiiii,"axG",@progbits,_ZN4vllm25paged_attention_v2_kernelIfhLi128ELi32ELi128ELNS_18Fp8KVCacheDataTypeE1ELb1ELi512EEEvPfS2_PT_PKS3_PKT0_S9_ifPKiSB_iPKfiiiSD_SD_iiiii,comdat
.Lfunc_end238:
	.size	_ZN4vllm25paged_attention_v2_kernelIfhLi128ELi32ELi128ELNS_18Fp8KVCacheDataTypeE1ELb1ELi512EEEvPfS2_PT_PKS3_PKT0_S9_ifPKiSB_iPKfiiiSD_SD_iiiii, .Lfunc_end238-_ZN4vllm25paged_attention_v2_kernelIfhLi128ELi32ELi128ELNS_18Fp8KVCacheDataTypeE1ELb1ELi512EEEvPfS2_PT_PKS3_PKT0_S9_ifPKiSB_iPKfiiiSD_SD_iiiii
                                        ; -- End function
	.section	.AMDGPU.csdata,"",@progbits
; Kernel info:
; codeLenInByte = 296
; NumSgprs: 54
; NumVgprs: 64
; NumAgprs: 64
; TotalNumVgprs: 128
; ScratchSize: 660
; MemoryBound: 0
; FloatMode: 240
; IeeeMode: 1
; LDSByteSize: 528 bytes/workgroup (compile time only)
; SGPRBlocks: 6
; VGPRBlocks: 15
; NumSGPRsForWavesPerEU: 54
; NumVGPRsForWavesPerEU: 128
; AccumOffset: 64
; Occupancy: 4
; WaveLimiterHint : 1
; COMPUTE_PGM_RSRC2:SCRATCH_EN: 1
; COMPUTE_PGM_RSRC2:USER_SGPR: 8
; COMPUTE_PGM_RSRC2:TRAP_HANDLER: 0
; COMPUTE_PGM_RSRC2:TGID_X_EN: 1
; COMPUTE_PGM_RSRC2:TGID_Y_EN: 1
; COMPUTE_PGM_RSRC2:TGID_Z_EN: 1
; COMPUTE_PGM_RSRC2:TIDIG_COMP_CNT: 0
; COMPUTE_PGM_RSRC3_GFX90A:ACCUM_OFFSET: 15
; COMPUTE_PGM_RSRC3_GFX90A:TG_SPLIT: 0
	.text
	.p2align	2                               ; -- Begin function _ZN4vllm22paged_attention_kernelIfhLi192ELi32ELi128ELNS_18Fp8KVCacheDataTypeE1ELb1ELi512EEEvPfS2_PT_PKS3_PKT0_S9_ifPKiSB_iPKfiiiSD_SD_iiiii
	.type	_ZN4vllm22paged_attention_kernelIfhLi192ELi32ELi128ELNS_18Fp8KVCacheDataTypeE1ELb1ELi512EEEvPfS2_PT_PKS3_PKT0_S9_ifPKiSB_iPKfiiiSD_SD_iiiii,@function
_ZN4vllm22paged_attention_kernelIfhLi192ELi32ELi128ELNS_18Fp8KVCacheDataTypeE1ELb1ELi512EEEvPfS2_PT_PKS3_PKT0_S9_ifPKiSB_iPKfiiiSD_SD_iiiii: ; @_ZN4vllm22paged_attention_kernelIfhLi192ELi32ELi128ELNS_18Fp8KVCacheDataTypeE1ELb1ELi512EEEvPfS2_PT_PKS3_PKT0_S9_ifPKiSB_iPKfiiiSD_SD_iiiii
; %bb.0:
	s_waitcnt vmcnt(0) expcnt(0) lgkmcnt(0)
	s_or_saveexec_b64 s[4:5], -1
	buffer_store_dword v63, off, s[0:3], s32 offset:936 ; 4-byte Folded Spill
	s_mov_b64 exec, s[4:5]
	buffer_store_dword v40, off, s[0:3], s32 offset:192 ; 4-byte Folded Spill
	buffer_store_dword v41, off, s[0:3], s32 offset:188 ; 4-byte Folded Spill
	;; [unrolled: 1-line block ×47, first 2 shown]
	v_writelane_b32 v63, s34, 0
	v_writelane_b32 v63, s35, 1
	;; [unrolled: 1-line block ×13, first 2 shown]
	s_mov_b32 s22, s13
	s_ashr_i32 s23, s13, 31
	s_lshl_b64 s[4:5], s[22:23], 2
	buffer_store_dword v30, off, s[0:3], s32 offset:856 ; 4-byte Folded Spill
	buffer_store_dword v26, off, s[0:3], s32 offset:800 ; 4-byte Folded Spill
	s_nop 0
	buffer_store_dword v27, off, s[0:3], s32 offset:804 ; 4-byte Folded Spill
	buffer_store_dword v24, off, s[0:3], s32 offset:808 ; 4-byte Folded Spill
	s_nop 0
	;; [unrolled: 3-line block ×3, first 2 shown]
	buffer_store_dword v23, off, s[0:3], s32 offset:676 ; 4-byte Folded Spill
	buffer_store_dword v15, off, s[0:3], s32 offset:864 ; 4-byte Folded Spill
	;; [unrolled: 1-line block ×11, first 2 shown]
	v_mov_b32_e32 v0, s5
	v_add_co_u32_e32 v2, vcc, s4, v16
	v_addc_co_u32_e32 v3, vcc, v17, v0, vcc
	flat_load_dword v62, v[2:3]
	buffer_load_dword v4, off, s[0:3], s32 offset:4
	buffer_load_dword v5, off, s[0:3], s32
	s_lshl_b32 s23, s14, 9
	v_mov_b32_e32 v25, v20
	v_mov_b32_e32 v24, v19
	s_waitcnt vmcnt(0) lgkmcnt(0)
	v_cmp_lt_i32_e32 vcc, s23, v62
	s_and_saveexec_b64 s[16:17], vcc
	s_cbranch_execz .LBB239_1285
; %bb.1:
	v_sub_u32_e32 v0, 0, v12
	v_max_i32_e32 v0, v12, v0
	buffer_store_dword v1, off, s[0:3], s32 offset:932 ; 4-byte Folded Spill
	v_cvt_f32_u32_e32 v1, v0
	s_load_dword s4, s[8:9], 0x10
	s_load_dword s6, s[8:9], 0x0
	v_sub_u32_e32 v3, 0, v0
	s_mov_b32 s20, s15
	v_rcp_iflag_f32_e32 v1, v1
	s_waitcnt lgkmcnt(0)
	s_lshr_b32 s4, s4, 16
	s_cmp_lg_u32 s4, 0
	s_cselect_b64 s[4:5], -1, 0
	v_mul_f32_e32 v1, 0x4f7ffffe, v1
	v_cvt_u32_f32_e32 v1, v1
	s_cmp_lg_u64 s[4:5], 0
	s_addc_u32 s15, s6, 0
	s_abs_i32 s4, s15
	v_mul_lo_u32 v3, v3, v1
	v_mul_hi_u32 v3, v1, v3
	v_add_u32_e32 v1, v1, v3
	v_mul_hi_u32 v1, s4, v1
	v_mul_lo_u32 v3, v1, v0
	v_sub_u32_e32 v3, s4, v3
	v_add_u32_e32 v10, 1, v1
	v_cmp_ge_u32_e32 vcc, v3, v0
	v_cndmask_b32_e32 v1, v1, v10, vcc
	v_sub_u32_e32 v10, v3, v0
	v_cndmask_b32_e32 v3, v3, v10, vcc
	v_xor_b32_e32 v2, s15, v12
	v_add_u32_e32 v10, 1, v1
	v_cmp_ge_u32_e32 vcc, v3, v0
	v_ashrrev_i32_e32 v2, 31, v2
	v_cndmask_b32_e32 v0, v1, v10, vcc
	v_xor_b32_e32 v0, v0, v2
	v_sub_u32_e32 v3, v0, v2
	v_sub_u32_e32 v0, 0, v3
	v_max_i32_e32 v2, v3, v0
	v_cvt_f32_u32_e32 v0, v2
	v_sub_u32_e32 v1, 0, v2
	s_abs_i32 s6, s12
	v_cmp_ne_u64_e32 vcc, 0, v[24:25]
	v_rcp_iflag_f32_e32 v0, v0
	v_mul_f32_e32 v0, 0x4f7ffffe, v0
	v_cvt_u32_f32_e32 v0, v0
	v_mul_lo_u32 v1, v1, v0
	v_mul_hi_u32 v1, v0, v1
	v_add_u32_e32 v0, v0, v1
	v_mad_u64_u32 v[0:1], s[4:5], s6, v0, 0
	v_mov_b32_e32 v0, 0
	buffer_store_dword v0, off, s[0:3], s32 offset:840 ; 4-byte Folded Spill
	s_and_saveexec_b64 s[4:5], vcc
	s_cbranch_execz .LBB239_3
; %bb.2:
	s_ashr_i32 s13, s12, 31
	s_lshl_b64 s[10:11], s[12:13], 2
	v_mov_b32_e32 v0, s11
	v_add_co_u32_e32 v10, vcc, s10, v24
	v_addc_co_u32_e32 v11, vcc, v25, v0, vcc
	flat_load_dword v0, v[10:11]
	s_waitcnt vmcnt(0) lgkmcnt(0)
	buffer_store_dword v0, off, s[0:3], s32 offset:840 ; 4-byte Folded Spill
.LBB239_3:
	s_or_b64 exec, exec, s[4:5]
	v_ashrrev_i32_e32 v0, 31, v3
	v_and_b32_e32 v3, 0x3ff, v31
	s_movk_i32 s4, 0x60
	s_ashr_i32 s7, s12, 31
	v_and_b32_e32 v10, 1, v3
	s_mul_i32 s18, s12, 0xc0
	v_cmp_gt_u32_e32 vcc, s4, v3
	buffer_store_dword v3, off, s[0:3], s32 offset:796 ; 4-byte Folded Spill
	v_lshlrev_b32_e32 v3, 2, v3
	buffer_store_dword v3, off, s[0:3], s32 offset:900 ; 4-byte Folded Spill
	s_and_saveexec_b64 s[4:5], vcc
	s_cbranch_execz .LBB239_5
; %bb.4:
	v_mul_lo_u32 v16, s22, v21
	v_ashrrev_i32_e32 v17, 31, v16
	v_lshlrev_b64 v[16:17], 2, v[16:17]
	v_add_co_u32_e32 v3, vcc, v6, v16
	s_ashr_i32 s19, s18, 31
	v_addc_co_u32_e32 v6, vcc, v7, v17, vcc
	s_lshl_b64 s[10:11], s[18:19], 2
	v_mov_b32_e32 v7, s11
	v_add_co_u32_e32 v3, vcc, s10, v3
	v_addc_co_u32_e32 v7, vcc, v6, v7, vcc
	buffer_load_dword v6, off, s[0:3], s32 offset:796 ; 4-byte Folded Reload
	s_movk_i32 s10, 0x180
	s_waitcnt vmcnt(0)
	v_lshlrev_b32_e32 v6, 3, v6
	v_add_co_u32_e32 v6, vcc, v3, v6
	buffer_load_dword v3, off, s[0:3], s32 offset:900 ; 4-byte Folded Reload
	v_addc_co_u32_e32 v7, vcc, 0, v7, vcc
	flat_load_dwordx2 v[6:7], v[6:7]
	s_waitcnt vmcnt(0)
	v_and_b32_e32 v3, 0xff8, v3
	v_mad_u32_u24 v3, v10, s10, v3
	s_waitcnt lgkmcnt(0)
	ds_write_b64 v3, v[6:7]
.LBB239_5:
	s_or_b64 exec, exec, s[4:5]
	v_mul_lo_u32 v3, v1, v2
	v_sub_u32_e32 v3, s6, v3
	v_add_u32_e32 v6, 1, v1
	v_cmp_ge_u32_e32 vcc, v3, v2
	v_cndmask_b32_e32 v1, v1, v6, vcc
	v_sub_u32_e32 v6, v3, v2
	v_cndmask_b32_e32 v3, v3, v6, vcc
	v_cmp_ge_u32_e32 vcc, v3, v2
	v_sub_u32_e32 v2, 0, v5
	v_max_i32_e32 v3, v5, v2
	v_cvt_f32_u32_e32 v2, v3
	v_add_u32_e32 v6, 1, v1
	v_xor_b32_e32 v0, s7, v0
	v_cndmask_b32_e32 v1, v1, v6, vcc
	v_xor_b32_e32 v1, v1, v0
	v_sub_u32_e32 v0, v1, v0
	v_rcp_iflag_f32_e32 v1, v2
	s_waitcnt lgkmcnt(0)
	s_barrier
	v_mul_f32_e32 v1, 0x4f7ffffe, v1
	v_cvt_u32_f32_e32 v2, v1
	buffer_store_dword v3, off, s[0:3], s32 offset:212 ; 4-byte Folded Spill
	v_sub_u32_e32 v3, 0, v3
	v_add_u32_e32 v6, -1, v62
	v_mul_lo_u32 v3, v3, v2
	v_sub_u32_e32 v1, 0, v6
	v_mul_hi_u32 v3, v2, v3
	v_max_i32_e32 v1, v6, v1
	v_add_u32_e32 v2, v2, v3
	buffer_store_dword v2, off, s[0:3], s32 offset:236 ; 4-byte Folded Spill
	v_mad_u64_u32 v[2:3], s[4:5], v1, v2, 0
	v_cmp_gt_i32_e32 vcc, 0, v4
                                        ; implicit-def: $vgpr2
	buffer_store_dword v2, off, s[0:3], s32 offset:216 ; 4-byte Folded Spill
	s_nop 0
	buffer_store_dword v3, off, s[0:3], s32 offset:220 ; 4-byte Folded Spill
	s_and_saveexec_b64 s[4:5], vcc
	s_xor_b64 s[4:5], exec, s[4:5]
	s_cbranch_execz .LBB239_7
; %bb.6:
	v_mad_u64_u32 v[12:13], s[6:7], v28, v12, v[0:1]
	v_mul_lo_u32 v2, v12, v4
	v_sub_u32_e32 v2, 1, v2
	buffer_store_dword v2, off, s[0:3], s32 offset:216 ; 4-byte Folded Spill
	s_nop 0
	buffer_store_dword v3, off, s[0:3], s32 offset:220 ; 4-byte Folded Spill
                                        ; implicit-def: $vgpr28
                                        ; implicit-def: $vgpr4
.LBB239_7:
	s_or_saveexec_b64 s[4:5], s[4:5]
	v_ashrrev_i32_e32 v2, 31, v6
	v_ashrrev_i32_e32 v5, 31, v5
	buffer_store_dword v5, off, s[0:3], s32 offset:224 ; 4-byte Folded Spill
	s_xor_b64 exec, exec, s[4:5]
	s_cbranch_execz .LBB239_9
; %bb.8:
	v_mul_lo_u32 v5, s15, v28
	v_add_u32_e32 v5, s12, v5
	v_mad_u64_u32 v[4:5], s[6:7], v5, v4, 1
	buffer_store_dword v4, off, s[0:3], s32 offset:216 ; 4-byte Folded Spill
	s_nop 0
	buffer_store_dword v5, off, s[0:3], s32 offset:220 ; 4-byte Folded Spill
.LBB239_9:
	s_or_b64 exec, exec, s[4:5]
	s_load_dword s42, s[8:9], 0x14
	s_load_dword s13, s[8:9], 0x8
	buffer_load_dword v6, off, s[0:3], s32 offset:224 ; 4-byte Folded Reload
	buffer_load_dword v7, off, s[0:3], s32 offset:212 ; 4-byte Folded Reload
	s_lshl_b32 s19, s14, 4
	s_add_i32 s4, s19, 16
	v_mul_lo_u32 v0, v0, v23
	v_mul_lo_u32 v4, s22, v18
	v_ashrrev_i32_e32 v5, 31, v4
	v_mov_b32_e32 v31, 0xff7fffff
	s_waitcnt vmcnt(1)
	v_xor_b32_e32 v2, v2, v6
	s_waitcnt vmcnt(0)
	v_mul_lo_u32 v6, v3, v7
	v_sub_u32_e32 v1, v1, v6
	v_add_u32_e32 v6, 1, v3
	v_cmp_ge_u32_e32 vcc, v1, v7
	v_cndmask_b32_e32 v3, v3, v6, vcc
	v_sub_u32_e32 v6, v1, v7
	v_cndmask_b32_e32 v1, v1, v6, vcc
	v_add_u32_e32 v6, 1, v3
	v_cmp_ge_u32_e32 vcc, v1, v7
	v_cndmask_b32_e32 v1, v3, v6, vcc
	v_xor_b32_e32 v1, v1, v2
	v_sub_u32_e32 v1, v1, v2
	v_add_u32_e32 v2, 31, v62
	v_ashrrev_i32_e32 v3, 31, v2
	v_lshrrev_b32_e32 v3, 27, v3
	v_add_u32_e32 v2, v2, v3
	v_ashrrev_i32_e32 v2, 5, v2
	buffer_store_dword v2, off, s[0:3], s32 offset:928 ; 4-byte Folded Spill
	v_min_i32_e32 v3, s4, v2
	buffer_load_dword v2, off, s[0:3], s32 offset:796 ; 4-byte Folded Reload
	v_sub_u32_e32 v1, v1, v29
	buffer_store_dword v3, off, s[0:3], s32 offset:228 ; 4-byte Folded Spill
	buffer_store_dword v1, off, s[0:3], s32 offset:232 ; 4-byte Folded Spill
	s_waitcnt vmcnt(2)
	v_lshrrev_b32_e32 v6, 6, v2
	v_or_b32_e32 v2, s19, v6
	v_cmp_lt_i32_e64 s[4:5], v2, v3
	v_ashrrev_i32_e32 v3, 31, v2
	buffer_store_dword v2, off, s[0:3], s32 offset:196 ; 4-byte Folded Spill
	s_nop 0
	buffer_store_dword v3, off, s[0:3], s32 offset:200 ; 4-byte Folded Spill
	buffer_store_dword v0, off, s[0:3], s32 offset:920 ; 4-byte Folded Spill
	v_ashrrev_i32_e32 v0, 31, v0
	buffer_store_dword v0, off, s[0:3], s32 offset:916 ; 4-byte Folded Spill
	buffer_load_dword v0, off, s[0:3], s32 offset:856 ; 4-byte Folded Reload
	v_mbcnt_lo_u32_b32 v2, -1, 0
	s_waitcnt vmcnt(0)
	v_sub_u32_e32 v0, 0, v0
	buffer_store_dword v0, off, s[0:3], s32 offset:912 ; 4-byte Folded Spill
	v_lshlrev_b64 v[0:1], 2, v[4:5]
	buffer_store_dword v0, off, s[0:3], s32 offset:904 ; 4-byte Folded Spill
	s_nop 0
	buffer_store_dword v1, off, s[0:3], s32 offset:908 ; 4-byte Folded Spill
	buffer_store_dword v6, off, s[0:3], s32 offset:860 ; 4-byte Folded Spill
	v_lshl_add_u32 v0, v6, 5, s23
	buffer_store_dword v0, off, s[0:3], s32 offset:924 ; 4-byte Folded Spill
	s_and_saveexec_b64 s[24:25], s[4:5]
	s_cbranch_execz .LBB239_595
; %bb.10:
	buffer_load_dword v0, off, s[0:3], s32 offset:796 ; 4-byte Folded Reload
	buffer_load_dword v1, off, s[0:3], s32 offset:916 ; 4-byte Folded Reload
	v_mov_b32_e32 v4, v2
	s_ashr_i32 s21, s20, 31
	s_lshl_b64 s[10:11], s[20:21], 2
	s_getpc_b64 s[28:29]
	s_add_u32 s28, s28, llvm.amdgcn.dynlds.offset.table@rel32@lo+4
	s_addc_u32 s29, s29, llvm.amdgcn.dynlds.offset.table@rel32@hi+12
	s_add_u32 s28, s10, s28
	s_addc_u32 s29, s11, s29
	s_mov_b32 s26, 0
	s_brev_b32 s27, 1
	v_cmp_eq_u32_e64 s[6:7], 0, v10
	v_mov_b32_e32 v5, 0
	v_mul_u32_u24_e32 v27, 0x180, v10
	s_mov_b64 s[30:31], 0
	s_movk_i32 s43, 0x80
	s_movk_i32 s44, 0x7f
	s_mov_b32 s35, 0x7f800001
	s_waitcnt vmcnt(1)
	v_bfe_u32 v11, v0, 1, 5
	buffer_load_dword v0, off, s[0:3], s32 offset:920 ; 4-byte Folded Reload
	v_lshlrev_b32_e32 v2, 4, v11
	s_waitcnt vmcnt(0)
	v_add_co_u32_e32 v0, vcc, v8, v0
	v_addc_co_u32_e32 v1, vcc, v9, v1, vcc
	v_add_co_u32_e32 v0, vcc, v0, v2
	v_addc_co_u32_e32 v1, vcc, 0, v1, vcc
	buffer_store_dword v0, off, s[0:3], s32 offset:824 ; 4-byte Folded Spill
	s_nop 0
	buffer_store_dword v1, off, s[0:3], s32 offset:828 ; 4-byte Folded Spill
	v_lshlrev_b32_e32 v0, 1, v10
	buffer_store_dword v0, off, s[0:3], s32 offset:832 ; 4-byte Folded Spill
	s_nop 0
	buffer_store_dword v1, off, s[0:3], s32 offset:836 ; 4-byte Folded Spill
	buffer_load_dword v1, off, s[0:3], s32 offset:912 ; 4-byte Folded Reload
	s_nop 0
	buffer_load_dword v0, off, s[0:3], s32 offset:856 ; 4-byte Folded Reload
	s_load_dword s21, s[28:29], 0x0
	s_waitcnt vmcnt(0)
	v_max_i32_e32 v2, v0, v1
	buffer_load_dword v1, off, s[0:3], s32 offset:840 ; 4-byte Folded Reload
	v_cvt_f32_u32_e32 v0, v2
	buffer_store_dword v2, off, s[0:3], s32 offset:680 ; 4-byte Folded Spill
	v_rcp_iflag_f32_e32 v0, v0
	v_mul_f32_e32 v0, 0x4f7ffffe, v0
	v_cvt_u32_f32_e32 v0, v0
	s_waitcnt vmcnt(1)
	v_cmp_neq_f32_e64 s[8:9], 0, v1
	v_sub_u32_e32 v1, 0, v2
	v_mul_lo_u32 v1, v1, v0
	v_mul_hi_u32 v1, v0, v1
	v_add_u32_e32 v0, v0, v1
	buffer_store_dword v0, off, s[0:3], s32 offset:684 ; 4-byte Folded Spill
	s_nop 0
	buffer_store_dword v1, off, s[0:3], s32 offset:688 ; 4-byte Folded Spill
	buffer_load_dword v2, off, s[0:3], s32 offset:196 ; 4-byte Folded Reload
	buffer_load_dword v3, off, s[0:3], s32 offset:200 ; 4-byte Folded Reload
	;; [unrolled: 1-line block ×4, first 2 shown]
	s_waitcnt vmcnt(2)
	v_lshlrev_b64 v[0:1], 2, v[2:3]
	buffer_load_dword v3, off, s[0:3], s32 offset:868 ; 4-byte Folded Reload
	s_waitcnt vmcnt(2)
	v_add_co_u32_e32 v0, vcc, v6, v0
	s_waitcnt vmcnt(1)
	v_addc_co_u32_e32 v1, vcc, v7, v1, vcc
	buffer_store_dword v11, off, s[0:3], s32 offset:848 ; 4-byte Folded Spill
	s_waitcnt vmcnt(1)
	v_add_co_u32_e32 v6, vcc, v3, v0
	buffer_load_dword v0, off, s[0:3], s32 offset:864 ; 4-byte Folded Reload
	s_waitcnt vmcnt(0)
	v_addc_co_u32_e32 v7, vcc, v0, v1, vcc
	buffer_load_dword v1, off, s[0:3], s32 offset:860 ; 4-byte Folded Reload
	v_lshlrev_b32_e32 v0, 2, v11
	v_accvgpr_write_b32 a45, v7
	v_accvgpr_write_b32 a44, v6
	s_waitcnt vmcnt(0)
	v_lshl_or_b32 v0, v1, 7, v0
	v_accvgpr_write_b32 a43, v0
	v_sub_u32_e32 v0, v11, v62
	v_add_u32_e32 v0, 1, v0
	v_lshl_add_u32 v3, v1, 5, s23
	buffer_store_dword v0, off, s[0:3], s32 offset:852 ; 4-byte Folded Spill
	v_mbcnt_hi_u32_b32 v0, -1, v4
	v_mov_b32_e32 v1, v3
	buffer_store_dword v0, off, s[0:3], s32 offset:820 ; 4-byte Folded Spill
	v_mov_b32_e32 v0, 0xff7fffff
	buffer_store_dword v0, off, s[0:3], s32 offset:816 ; 4-byte Folded Spill
	s_branch .LBB239_13
.LBB239_11:                             ;   in Loop: Header=BB239_13 Depth=1
	s_or_b64 exec, exec, s[36:37]
.LBB239_12:                             ;   in Loop: Header=BB239_13 Depth=1
	s_or_b64 exec, exec, s[10:11]
	s_waitcnt lgkmcnt(0)
	v_accvgpr_read_b32 v0, a44
	v_accvgpr_read_b32 v1, a45
	v_add_co_u32_e32 v0, vcc, 8, v0
	v_addc_co_u32_e32 v1, vcc, 0, v1, vcc
	v_accvgpr_write_b32 a45, v1
	v_accvgpr_write_b32 a44, v0
	buffer_load_dword v1, off, s[0:3], s32 offset:204 ; 4-byte Folded Reload
	buffer_load_dword v0, off, s[0:3], s32 offset:228 ; 4-byte Folded Reload
	v_accvgpr_read_b32 v2, a42
	v_add_u32_e32 v2, 2, v2
	s_waitcnt vmcnt(1)
	v_add_u32_e32 v1, 64, v1
	s_waitcnt vmcnt(0)
	v_cmp_ge_i32_e32 vcc, v2, v0
	v_accvgpr_read_b32 v0, a43
	v_add_u32_e32 v0, 0x100, v0
	s_or_b64 s[30:31], vcc, s[30:31]
	v_accvgpr_write_b32 a43, v0
	s_andn2_b64 exec, exec, s[30:31]
	s_cbranch_execz .LBB239_594
.LBB239_13:                             ; =>This Inner Loop Header: Depth=1
	v_accvgpr_write_b32 a42, v2
	v_ashrrev_i32_e32 v0, 31, v1
	v_mov_b32_e32 v2, v1
	buffer_load_dword v1, off, s[0:3], s32 offset:224 ; 4-byte Folded Reload
	buffer_load_dword v4, off, s[0:3], s32 offset:212 ; 4-byte Folded Reload
	s_waitcnt vmcnt(1)
	v_xor_b32_e32 v0, v0, v1
	v_sub_u32_e32 v1, 0, v2
	buffer_store_dword v2, off, s[0:3], s32 offset:204 ; 4-byte Folded Spill
	v_max_i32_e32 v1, v2, v1
	buffer_load_dword v2, off, s[0:3], s32 offset:236 ; 4-byte Folded Reload
	s_waitcnt vmcnt(0)
	v_mul_hi_u32 v2, v1, v2
	v_mul_lo_u32 v3, v2, v4
	v_sub_u32_e32 v1, v1, v3
	v_add_u32_e32 v3, 1, v2
	v_cmp_ge_u32_e32 vcc, v1, v4
	v_cndmask_b32_e32 v2, v2, v3, vcc
	v_sub_u32_e32 v3, v1, v4
	v_cndmask_b32_e32 v1, v1, v3, vcc
	v_add_u32_e32 v3, 1, v2
	v_cmp_ge_u32_e32 vcc, v1, v4
	v_cndmask_b32_e32 v1, v2, v3, vcc
	buffer_load_dword v2, off, s[0:3], s32 offset:216 ; 4-byte Folded Reload
	buffer_load_dword v3, off, s[0:3], s32 offset:220 ; 4-byte Folded Reload
	;; [unrolled: 1-line block ×5, first 2 shown]
	v_xor_b32_e32 v1, v1, v0
	v_sub_u32_e32 v0, v1, v0
	s_waitcnt vmcnt(4)
	v_add_u32_e32 v1, v0, v2
	s_waitcnt vmcnt(3)
	v_sub_u32_e32 v3, 0, v1
	v_ashrrev_i32_e32 v2, 31, v1
	v_max_i32_e32 v1, v1, v3
	s_waitcnt vmcnt(2)
	v_mul_hi_u32 v3, v1, v6
	s_waitcnt vmcnt(0)
	v_mul_lo_u32 v3, v3, v4
	v_sub_u32_e32 v1, v1, v3
	v_sub_u32_e32 v3, v1, v4
	v_cmp_ge_u32_e32 vcc, v1, v4
	v_cndmask_b32_e32 v1, v1, v3, vcc
	v_sub_u32_e32 v3, v1, v4
	v_cmp_ge_u32_e32 vcc, v1, v4
	v_cndmask_b32_e32 v1, v1, v3, vcc
	v_xor_b32_e32 v1, v1, v2
	v_sub_u32_e32 v1, v1, v2
	v_cmp_ne_u32_e32 vcc, 0, v1
	buffer_load_dword v1, off, s[0:3], s32 offset:232 ; 4-byte Folded Reload
	s_waitcnt vmcnt(0)
	v_cmp_le_i32_e64 s[10:11], v0, v1
	s_and_b64 s[10:11], vcc, s[10:11]
	s_and_b64 s[36:37], s[6:7], s[10:11]
	s_and_saveexec_b64 vcc, s[36:37]
	s_cbranch_execz .LBB239_15
; %bb.14:                               ;   in Loop: Header=BB239_13 Depth=1
	v_accvgpr_read_b32 v0, a43
	s_waitcnt lgkmcnt(0)
	v_add_u32_e32 v0, s21, v0
	v_mov_b32_e32 v1, 0xff7fffff
	ds_write_b32 v0, v1
.LBB239_15:                             ;   in Loop: Header=BB239_13 Depth=1
	s_or_b64 exec, exec, vcc
	s_xor_b64 vcc, s[10:11], -1
	s_and_saveexec_b64 s[10:11], vcc
	s_cbranch_execz .LBB239_12
; %bb.16:                               ;   in Loop: Header=BB239_13 Depth=1
	v_accvgpr_read_b32 v0, a44
	v_accvgpr_read_b32 v1, a45
	flat_load_dword v0, v[0:1]
	s_nop 0
	buffer_load_dword v6, off, s[0:3], s32 offset:824 ; 4-byte Folded Reload
	buffer_load_dword v7, off, s[0:3], s32 offset:828 ; 4-byte Folded Reload
	;; [unrolled: 1-line block ×4, first 2 shown]
	v_pk_mov_b32 v[52:53], 0, 0
	s_waitcnt vmcnt(0) lgkmcnt(0)
	v_mad_i64_i32 v[0:1], vcc, v0, v2, v[6:7]
	buffer_load_dword v2, off, s[0:3], s32 offset:832 ; 4-byte Folded Reload
	buffer_load_dword v3, off, s[0:3], s32 offset:836 ; 4-byte Folded Reload
	s_waitcnt vmcnt(1)
	v_add_co_u32_e32 v16, vcc, v0, v2
	v_addc_co_u32_e32 v17, vcc, 0, v1, vcc
	flat_load_ushort v1, v[16:17]
	buffer_load_dword v2, off, s[0:3], s32 offset:808 ; 4-byte Folded Reload
	buffer_load_dword v3, off, s[0:3], s32 offset:812 ; 4-byte Folded Reload
	s_waitcnt vmcnt(0) lgkmcnt(0)
	v_and_b32_e32 v0, 0xffff, v1
	flat_load_dword v12, v[2:3]
	ds_read_b128 v[20:23], v27
	ds_read_b128 v[6:9], v27 offset:16
	s_waitcnt lgkmcnt(0)
	buffer_store_dword v6, off, s[0:3], s32 offset:692 ; 4-byte Folded Spill
	s_nop 0
	buffer_store_dword v7, off, s[0:3], s32 offset:696 ; 4-byte Folded Spill
	buffer_store_dword v8, off, s[0:3], s32 offset:700 ; 4-byte Folded Spill
	buffer_store_dword v9, off, s[0:3], s32 offset:704 ; 4-byte Folded Spill
	ds_read_b128 a[8:11], v27 offset:32
	ds_read_b128 v[6:9], v27 offset:48
	s_waitcnt lgkmcnt(0)
	buffer_store_dword v6, off, s[0:3], s32 offset:748 ; 4-byte Folded Spill
	s_nop 0
	buffer_store_dword v7, off, s[0:3], s32 offset:752 ; 4-byte Folded Spill
	buffer_store_dword v8, off, s[0:3], s32 offset:756 ; 4-byte Folded Spill
	buffer_store_dword v9, off, s[0:3], s32 offset:760 ; 4-byte Folded Spill
	ds_read_b128 a[32:35], v27 offset:64
	;; [unrolled: 8-line block ×3, first 2 shown]
	ds_read_b128 v[6:9], v27 offset:112
	s_waitcnt lgkmcnt(0)
	buffer_store_dword v6, off, s[0:3], s32 offset:716 ; 4-byte Folded Spill
	s_nop 0
	buffer_store_dword v7, off, s[0:3], s32 offset:720 ; 4-byte Folded Spill
	buffer_store_dword v8, off, s[0:3], s32 offset:724 ; 4-byte Folded Spill
	;; [unrolled: 1-line block ×3, first 2 shown]
	ds_read_b64 v[2:3], v27 offset:192
	s_waitcnt lgkmcnt(0)
	buffer_store_dword v2, off, s[0:3], s32 offset:708 ; 4-byte Folded Spill
	s_nop 0
	buffer_store_dword v3, off, s[0:3], s32 offset:712 ; 4-byte Folded Spill
	buffer_store_dword v52, off, s[0:3], s32 offset:240 ; 4-byte Folded Spill
	s_nop 0
	buffer_store_dword v53, off, s[0:3], s32 offset:244 ; 4-byte Folded Spill
	ds_read_b128 a[24:27], v27 offset:128
	ds_read_b128 v[6:9], v27 offset:144
	s_waitcnt lgkmcnt(0)
	buffer_store_dword v6, off, s[0:3], s32 offset:780 ; 4-byte Folded Spill
	s_nop 0
	buffer_store_dword v7, off, s[0:3], s32 offset:784 ; 4-byte Folded Spill
	buffer_store_dword v8, off, s[0:3], s32 offset:788 ; 4-byte Folded Spill
	;; [unrolled: 1-line block ×3, first 2 shown]
	ds_read_b128 a[56:59], v27 offset:160
	ds_read_b128 v[6:9], v27 offset:176
	v_cmp_ne_u16_sdwa vcc, v1, v5 src0_sel:BYTE_0 src1_sel:DWORD
	s_waitcnt lgkmcnt(0)
	buffer_store_dword v6, off, s[0:3], s32 offset:764 ; 4-byte Folded Spill
	s_nop 0
	buffer_store_dword v7, off, s[0:3], s32 offset:768 ; 4-byte Folded Spill
	buffer_store_dword v8, off, s[0:3], s32 offset:772 ; 4-byte Folded Spill
	;; [unrolled: 1-line block ×3, first 2 shown]
	s_and_saveexec_b64 s[36:37], vcc
	s_cbranch_execz .LBB239_22
; %bb.17:                               ;   in Loop: Header=BB239_13 Depth=1
	v_bfrev_b32_e32 v52, 1
	v_cmp_ne_u16_sdwa vcc, v0, s43 src0_sel:BYTE_0 src1_sel:DWORD
	v_mov_b32_e32 v53, 0
	s_and_saveexec_b64 s[38:39], vcc
	s_cbranch_execz .LBB239_21
; %bb.18:                               ;   in Loop: Header=BB239_13 Depth=1
	v_and_b32_e32 v1, 0x7f, v0
	v_mov_b32_e32 v52, 0x7f800001
	v_cmp_ne_u32_e32 vcc, s44, v1
	v_mov_b32_e32 v53, 0
	s_and_saveexec_b64 s[40:41], vcc
	s_cbranch_execz .LBB239_20
; %bb.19:                               ;   in Loop: Header=BB239_13 Depth=1
	v_and_b32_e32 v4, 7, v0
	v_ffbh_u32_e32 v2, v4
	v_min_u32_e32 v7, 32, v2
	v_subrev_u32_e32 v2, 28, v7
	v_lshlrev_b64 v[2:3], v2, v[0:1]
	v_lshrrev_b32_e32 v6, 3, v1
	v_sub_u32_e32 v3, 29, v7
	v_and_b32_e32 v2, 7, v2
	v_cmp_gt_u32_e32 vcc, 8, v1
	v_cndmask_b32_e32 v1, v6, v3, vcc
	v_cndmask_b32_e32 v2, v4, v2, vcc
	v_bfrev_b32_e32 v4, 60
	v_lshlrev_b32_e32 v2, 20, v2
	v_and_b32_sdwa v3, sext(v0), s27 dst_sel:DWORD dst_unused:UNUSED_PAD src0_sel:BYTE_0 src1_sel:DWORD
	v_lshl_add_u32 v1, v1, 23, v4
	v_or3_b32 v4, v3, v1, v2
	v_pk_mov_b32 v[52:53], v[4:5], v[4:5] op_sel:[0,1]
.LBB239_20:                             ;   in Loop: Header=BB239_13 Depth=1
	s_or_b64 exec, exec, s[40:41]
.LBB239_21:                             ;   in Loop: Header=BB239_13 Depth=1
	s_or_b64 exec, exec, s[38:39]
.LBB239_22:                             ;   in Loop: Header=BB239_13 Depth=1
	s_or_b64 exec, exec, s[36:37]
	v_cmp_ne_u16_sdwa vcc, v0, v5 src0_sel:BYTE_1 src1_sel:DWORD
	s_and_saveexec_b64 s[36:37], vcc
	s_cbranch_execz .LBB239_28
; %bb.23:                               ;   in Loop: Header=BB239_13 Depth=1
	v_cmp_ne_u16_sdwa vcc, v0, s43 src0_sel:BYTE_1 src1_sel:DWORD
	v_pk_mov_b32 v[2:3], s[26:27], s[26:27] op_sel:[0,1]
	buffer_store_dword v2, off, s[0:3], s32 offset:240 ; 4-byte Folded Spill
	s_nop 0
	buffer_store_dword v3, off, s[0:3], s32 offset:244 ; 4-byte Folded Spill
	s_and_saveexec_b64 s[38:39], vcc
	s_cbranch_execz .LBB239_27
; %bb.24:                               ;   in Loop: Header=BB239_13 Depth=1
	v_and_b32_sdwa v1, v0, s44 dst_sel:DWORD dst_unused:UNUSED_PAD src0_sel:BYTE_1 src1_sel:DWORD
	s_mov_b32 s34, s26
	v_cmp_ne_u32_e32 vcc, s44, v1
	v_pk_mov_b32 v[2:3], s[34:35], s[34:35] op_sel:[0,1]
	buffer_store_dword v2, off, s[0:3], s32 offset:240 ; 4-byte Folded Spill
	s_nop 0
	buffer_store_dword v3, off, s[0:3], s32 offset:244 ; 4-byte Folded Spill
	s_and_saveexec_b64 s[40:41], vcc
	s_cbranch_execz .LBB239_26
; %bb.25:                               ;   in Loop: Header=BB239_13 Depth=1
	v_mov_b32_e32 v2, 7
	v_and_b32_sdwa v4, v0, v2 dst_sel:DWORD dst_unused:UNUSED_PAD src0_sel:BYTE_1 src1_sel:DWORD
	v_ffbh_u32_e32 v2, v4
	v_min_u32_e32 v7, 32, v2
	v_subrev_u32_e32 v2, 28, v7
	v_lshlrev_b64 v[2:3], v2, v[4:5]
	v_lshrrev_b32_e32 v6, 3, v1
	v_sub_u32_e32 v3, 29, v7
	v_cmp_gt_u32_e32 vcc, 8, v1
	v_and_b32_e32 v2, 7, v2
	v_cndmask_b32_e32 v1, v6, v3, vcc
	v_bfrev_b32_e32 v3, 60
	v_cndmask_b32_e32 v2, v4, v2, vcc
	v_lshlrev_b32_e32 v0, 16, v0
	v_lshl_add_u32 v1, v1, 23, v3
	v_and_or_b32 v0, v0, s27, v1
	v_lshlrev_b32_e32 v1, 20, v2
	v_or_b32_e32 v1, v0, v1
	v_mov_b32_e32 v0, v5
	buffer_store_dword v0, off, s[0:3], s32 offset:240 ; 4-byte Folded Spill
	s_nop 0
	buffer_store_dword v1, off, s[0:3], s32 offset:244 ; 4-byte Folded Spill
.LBB239_26:                             ;   in Loop: Header=BB239_13 Depth=1
	s_or_b64 exec, exec, s[40:41]
.LBB239_27:                             ;   in Loop: Header=BB239_13 Depth=1
	s_or_b64 exec, exec, s[38:39]
.LBB239_28:                             ;   in Loop: Header=BB239_13 Depth=1
	s_or_b64 exec, exec, s[36:37]
	flat_load_ushort v1, v[16:17] offset:4
	v_pk_mov_b32 v[2:3], 0, 0
	buffer_store_dword v2, off, s[0:3], s32 offset:256 ; 4-byte Folded Spill
	s_nop 0
	buffer_store_dword v3, off, s[0:3], s32 offset:260 ; 4-byte Folded Spill
	buffer_store_dword v2, off, s[0:3], s32 offset:248 ; 4-byte Folded Spill
	s_nop 0
	buffer_store_dword v3, off, s[0:3], s32 offset:252 ; 4-byte Folded Spill
	s_waitcnt vmcnt(0) lgkmcnt(0)
	v_and_b32_e32 v0, 0xffff, v1
	v_cmp_ne_u16_sdwa vcc, v1, v5 src0_sel:BYTE_0 src1_sel:DWORD
	s_and_saveexec_b64 s[36:37], vcc
	s_cbranch_execz .LBB239_34
; %bb.29:                               ;   in Loop: Header=BB239_13 Depth=1
	v_bfrev_b32_e32 v2, 1
	v_cmp_ne_u16_sdwa vcc, v0, s43 src0_sel:BYTE_0 src1_sel:DWORD
	v_mov_b32_e32 v3, 0
	buffer_store_dword v2, off, s[0:3], s32 offset:248 ; 4-byte Folded Spill
	s_nop 0
	buffer_store_dword v3, off, s[0:3], s32 offset:252 ; 4-byte Folded Spill
	s_and_saveexec_b64 s[38:39], vcc
	s_cbranch_execz .LBB239_33
; %bb.30:                               ;   in Loop: Header=BB239_13 Depth=1
	v_and_b32_e32 v1, 0x7f, v0
	v_mov_b32_e32 v2, 0x7f800001
	v_cmp_ne_u32_e32 vcc, s44, v1
	v_mov_b32_e32 v3, 0
	buffer_store_dword v2, off, s[0:3], s32 offset:248 ; 4-byte Folded Spill
	s_nop 0
	buffer_store_dword v3, off, s[0:3], s32 offset:252 ; 4-byte Folded Spill
	s_and_saveexec_b64 s[40:41], vcc
	s_cbranch_execz .LBB239_32
; %bb.31:                               ;   in Loop: Header=BB239_13 Depth=1
	v_and_b32_e32 v4, 7, v0
	v_ffbh_u32_e32 v2, v4
	v_min_u32_e32 v7, 32, v2
	v_subrev_u32_e32 v2, 28, v7
	v_lshlrev_b64 v[2:3], v2, v[0:1]
	v_lshrrev_b32_e32 v6, 3, v1
	v_sub_u32_e32 v3, 29, v7
	v_and_b32_e32 v2, 7, v2
	v_cmp_gt_u32_e32 vcc, 8, v1
	v_cndmask_b32_e32 v1, v6, v3, vcc
	v_cndmask_b32_e32 v2, v4, v2, vcc
	v_bfrev_b32_e32 v4, 60
	v_lshlrev_b32_e32 v2, 20, v2
	v_and_b32_sdwa v3, sext(v0), s27 dst_sel:DWORD dst_unused:UNUSED_PAD src0_sel:BYTE_0 src1_sel:DWORD
	v_lshl_add_u32 v1, v1, 23, v4
	v_or3_b32 v4, v3, v1, v2
	buffer_store_dword v4, off, s[0:3], s32 offset:248 ; 4-byte Folded Spill
	s_nop 0
	buffer_store_dword v5, off, s[0:3], s32 offset:252 ; 4-byte Folded Spill
.LBB239_32:                             ;   in Loop: Header=BB239_13 Depth=1
	s_or_b64 exec, exec, s[40:41]
.LBB239_33:                             ;   in Loop: Header=BB239_13 Depth=1
	s_or_b64 exec, exec, s[38:39]
.LBB239_34:                             ;   in Loop: Header=BB239_13 Depth=1
	s_or_b64 exec, exec, s[36:37]
	v_cmp_ne_u16_sdwa vcc, v0, v5 src0_sel:BYTE_1 src1_sel:DWORD
	s_and_saveexec_b64 s[36:37], vcc
	s_cbranch_execz .LBB239_40
; %bb.35:                               ;   in Loop: Header=BB239_13 Depth=1
	v_cmp_ne_u16_sdwa vcc, v0, s43 src0_sel:BYTE_1 src1_sel:DWORD
	v_pk_mov_b32 v[2:3], s[26:27], s[26:27] op_sel:[0,1]
	buffer_store_dword v2, off, s[0:3], s32 offset:256 ; 4-byte Folded Spill
	s_nop 0
	buffer_store_dword v3, off, s[0:3], s32 offset:260 ; 4-byte Folded Spill
	s_and_saveexec_b64 s[38:39], vcc
	s_cbranch_execz .LBB239_39
; %bb.36:                               ;   in Loop: Header=BB239_13 Depth=1
	v_and_b32_sdwa v1, v0, s44 dst_sel:DWORD dst_unused:UNUSED_PAD src0_sel:BYTE_1 src1_sel:DWORD
	s_mov_b32 s34, s26
	v_cmp_ne_u32_e32 vcc, s44, v1
	v_pk_mov_b32 v[2:3], s[34:35], s[34:35] op_sel:[0,1]
	buffer_store_dword v2, off, s[0:3], s32 offset:256 ; 4-byte Folded Spill
	s_nop 0
	buffer_store_dword v3, off, s[0:3], s32 offset:260 ; 4-byte Folded Spill
	s_and_saveexec_b64 s[40:41], vcc
	s_cbranch_execz .LBB239_38
; %bb.37:                               ;   in Loop: Header=BB239_13 Depth=1
	v_mov_b32_e32 v2, 7
	v_and_b32_sdwa v4, v0, v2 dst_sel:DWORD dst_unused:UNUSED_PAD src0_sel:BYTE_1 src1_sel:DWORD
	v_ffbh_u32_e32 v2, v4
	v_min_u32_e32 v7, 32, v2
	v_subrev_u32_e32 v2, 28, v7
	v_lshlrev_b64 v[2:3], v2, v[4:5]
	v_lshrrev_b32_e32 v6, 3, v1
	v_sub_u32_e32 v3, 29, v7
	v_cmp_gt_u32_e32 vcc, 8, v1
	v_and_b32_e32 v2, 7, v2
	v_cndmask_b32_e32 v1, v6, v3, vcc
	v_bfrev_b32_e32 v3, 60
	v_cndmask_b32_e32 v2, v4, v2, vcc
	v_lshlrev_b32_e32 v0, 16, v0
	v_lshl_add_u32 v1, v1, 23, v3
	v_and_or_b32 v0, v0, s27, v1
	v_lshlrev_b32_e32 v1, 20, v2
	v_or_b32_e32 v1, v0, v1
	v_mov_b32_e32 v0, v5
	buffer_store_dword v0, off, s[0:3], s32 offset:256 ; 4-byte Folded Spill
	s_nop 0
	buffer_store_dword v1, off, s[0:3], s32 offset:260 ; 4-byte Folded Spill
.LBB239_38:                             ;   in Loop: Header=BB239_13 Depth=1
	s_or_b64 exec, exec, s[40:41]
.LBB239_39:                             ;   in Loop: Header=BB239_13 Depth=1
	s_or_b64 exec, exec, s[38:39]
.LBB239_40:                             ;   in Loop: Header=BB239_13 Depth=1
	s_or_b64 exec, exec, s[36:37]
	flat_load_ushort v1, v[16:17] offset:8
	v_pk_mov_b32 v[2:3], 0, 0
	buffer_store_dword v2, off, s[0:3], s32 offset:272 ; 4-byte Folded Spill
	s_nop 0
	buffer_store_dword v3, off, s[0:3], s32 offset:276 ; 4-byte Folded Spill
	buffer_store_dword v2, off, s[0:3], s32 offset:264 ; 4-byte Folded Spill
	s_nop 0
	buffer_store_dword v3, off, s[0:3], s32 offset:268 ; 4-byte Folded Spill
	s_waitcnt vmcnt(0) lgkmcnt(0)
	v_and_b32_e32 v0, 0xffff, v1
	v_cmp_ne_u16_sdwa vcc, v1, v5 src0_sel:BYTE_0 src1_sel:DWORD
	s_and_saveexec_b64 s[36:37], vcc
	s_cbranch_execz .LBB239_46
; %bb.41:                               ;   in Loop: Header=BB239_13 Depth=1
	v_bfrev_b32_e32 v2, 1
	v_cmp_ne_u16_sdwa vcc, v0, s43 src0_sel:BYTE_0 src1_sel:DWORD
	v_mov_b32_e32 v3, 0
	buffer_store_dword v2, off, s[0:3], s32 offset:264 ; 4-byte Folded Spill
	s_nop 0
	buffer_store_dword v3, off, s[0:3], s32 offset:268 ; 4-byte Folded Spill
	s_and_saveexec_b64 s[38:39], vcc
	s_cbranch_execz .LBB239_45
; %bb.42:                               ;   in Loop: Header=BB239_13 Depth=1
	v_and_b32_e32 v1, 0x7f, v0
	v_mov_b32_e32 v2, 0x7f800001
	v_cmp_ne_u32_e32 vcc, s44, v1
	v_mov_b32_e32 v3, 0
	buffer_store_dword v2, off, s[0:3], s32 offset:264 ; 4-byte Folded Spill
	s_nop 0
	buffer_store_dword v3, off, s[0:3], s32 offset:268 ; 4-byte Folded Spill
	s_and_saveexec_b64 s[40:41], vcc
	s_cbranch_execz .LBB239_44
; %bb.43:                               ;   in Loop: Header=BB239_13 Depth=1
	v_and_b32_e32 v4, 7, v0
	v_ffbh_u32_e32 v2, v4
	v_min_u32_e32 v7, 32, v2
	v_subrev_u32_e32 v2, 28, v7
	v_lshlrev_b64 v[2:3], v2, v[0:1]
	v_lshrrev_b32_e32 v6, 3, v1
	v_sub_u32_e32 v3, 29, v7
	v_and_b32_e32 v2, 7, v2
	v_cmp_gt_u32_e32 vcc, 8, v1
	v_cndmask_b32_e32 v1, v6, v3, vcc
	v_cndmask_b32_e32 v2, v4, v2, vcc
	v_bfrev_b32_e32 v4, 60
	v_lshlrev_b32_e32 v2, 20, v2
	v_and_b32_sdwa v3, sext(v0), s27 dst_sel:DWORD dst_unused:UNUSED_PAD src0_sel:BYTE_0 src1_sel:DWORD
	v_lshl_add_u32 v1, v1, 23, v4
	v_or3_b32 v4, v3, v1, v2
	buffer_store_dword v4, off, s[0:3], s32 offset:264 ; 4-byte Folded Spill
	s_nop 0
	buffer_store_dword v5, off, s[0:3], s32 offset:268 ; 4-byte Folded Spill
.LBB239_44:                             ;   in Loop: Header=BB239_13 Depth=1
	s_or_b64 exec, exec, s[40:41]
.LBB239_45:                             ;   in Loop: Header=BB239_13 Depth=1
	s_or_b64 exec, exec, s[38:39]
.LBB239_46:                             ;   in Loop: Header=BB239_13 Depth=1
	s_or_b64 exec, exec, s[36:37]
	v_cmp_ne_u16_sdwa vcc, v0, v5 src0_sel:BYTE_1 src1_sel:DWORD
	s_and_saveexec_b64 s[36:37], vcc
	s_cbranch_execz .LBB239_52
; %bb.47:                               ;   in Loop: Header=BB239_13 Depth=1
	v_cmp_ne_u16_sdwa vcc, v0, s43 src0_sel:BYTE_1 src1_sel:DWORD
	v_pk_mov_b32 v[2:3], s[26:27], s[26:27] op_sel:[0,1]
	buffer_store_dword v2, off, s[0:3], s32 offset:272 ; 4-byte Folded Spill
	s_nop 0
	buffer_store_dword v3, off, s[0:3], s32 offset:276 ; 4-byte Folded Spill
	s_and_saveexec_b64 s[38:39], vcc
	s_cbranch_execz .LBB239_51
; %bb.48:                               ;   in Loop: Header=BB239_13 Depth=1
	v_and_b32_sdwa v1, v0, s44 dst_sel:DWORD dst_unused:UNUSED_PAD src0_sel:BYTE_1 src1_sel:DWORD
	s_mov_b32 s34, s26
	v_cmp_ne_u32_e32 vcc, s44, v1
	v_pk_mov_b32 v[2:3], s[34:35], s[34:35] op_sel:[0,1]
	buffer_store_dword v2, off, s[0:3], s32 offset:272 ; 4-byte Folded Spill
	s_nop 0
	buffer_store_dword v3, off, s[0:3], s32 offset:276 ; 4-byte Folded Spill
	s_and_saveexec_b64 s[40:41], vcc
	s_cbranch_execz .LBB239_50
; %bb.49:                               ;   in Loop: Header=BB239_13 Depth=1
	v_mov_b32_e32 v2, 7
	v_and_b32_sdwa v4, v0, v2 dst_sel:DWORD dst_unused:UNUSED_PAD src0_sel:BYTE_1 src1_sel:DWORD
	v_ffbh_u32_e32 v2, v4
	v_min_u32_e32 v7, 32, v2
	v_subrev_u32_e32 v2, 28, v7
	v_lshlrev_b64 v[2:3], v2, v[4:5]
	v_lshrrev_b32_e32 v6, 3, v1
	v_sub_u32_e32 v3, 29, v7
	v_cmp_gt_u32_e32 vcc, 8, v1
	v_and_b32_e32 v2, 7, v2
	v_cndmask_b32_e32 v1, v6, v3, vcc
	v_bfrev_b32_e32 v3, 60
	v_cndmask_b32_e32 v2, v4, v2, vcc
	v_lshlrev_b32_e32 v0, 16, v0
	v_lshl_add_u32 v1, v1, 23, v3
	v_and_or_b32 v0, v0, s27, v1
	v_lshlrev_b32_e32 v1, 20, v2
	v_or_b32_e32 v1, v0, v1
	v_mov_b32_e32 v0, v5
	buffer_store_dword v0, off, s[0:3], s32 offset:272 ; 4-byte Folded Spill
	s_nop 0
	buffer_store_dword v1, off, s[0:3], s32 offset:276 ; 4-byte Folded Spill
.LBB239_50:                             ;   in Loop: Header=BB239_13 Depth=1
	s_or_b64 exec, exec, s[40:41]
.LBB239_51:                             ;   in Loop: Header=BB239_13 Depth=1
	s_or_b64 exec, exec, s[38:39]
.LBB239_52:                             ;   in Loop: Header=BB239_13 Depth=1
	s_or_b64 exec, exec, s[36:37]
	flat_load_ushort v1, v[16:17] offset:12
	v_pk_mov_b32 v[2:3], 0, 0
	buffer_store_dword v2, off, s[0:3], s32 offset:288 ; 4-byte Folded Spill
	s_nop 0
	buffer_store_dword v3, off, s[0:3], s32 offset:292 ; 4-byte Folded Spill
	buffer_store_dword v2, off, s[0:3], s32 offset:280 ; 4-byte Folded Spill
	s_nop 0
	buffer_store_dword v3, off, s[0:3], s32 offset:284 ; 4-byte Folded Spill
	s_waitcnt vmcnt(0) lgkmcnt(0)
	v_and_b32_e32 v0, 0xffff, v1
	v_cmp_ne_u16_sdwa vcc, v1, v5 src0_sel:BYTE_0 src1_sel:DWORD
	s_and_saveexec_b64 s[36:37], vcc
	s_cbranch_execz .LBB239_58
; %bb.53:                               ;   in Loop: Header=BB239_13 Depth=1
	v_bfrev_b32_e32 v2, 1
	v_cmp_ne_u16_sdwa vcc, v0, s43 src0_sel:BYTE_0 src1_sel:DWORD
	v_mov_b32_e32 v3, 0
	buffer_store_dword v2, off, s[0:3], s32 offset:280 ; 4-byte Folded Spill
	s_nop 0
	buffer_store_dword v3, off, s[0:3], s32 offset:284 ; 4-byte Folded Spill
	s_and_saveexec_b64 s[38:39], vcc
	s_cbranch_execz .LBB239_57
; %bb.54:                               ;   in Loop: Header=BB239_13 Depth=1
	v_and_b32_e32 v1, 0x7f, v0
	v_mov_b32_e32 v2, 0x7f800001
	v_cmp_ne_u32_e32 vcc, s44, v1
	v_mov_b32_e32 v3, 0
	buffer_store_dword v2, off, s[0:3], s32 offset:280 ; 4-byte Folded Spill
	s_nop 0
	buffer_store_dword v3, off, s[0:3], s32 offset:284 ; 4-byte Folded Spill
	s_and_saveexec_b64 s[40:41], vcc
	s_cbranch_execz .LBB239_56
; %bb.55:                               ;   in Loop: Header=BB239_13 Depth=1
	v_and_b32_e32 v4, 7, v0
	v_lshrrev_b32_e32 v6, 3, v1
	v_cmp_gt_u32_e32 vcc, 8, v1
	v_ffbh_u32_e32 v1, v4
	v_min_u32_e32 v1, 32, v1
	v_subrev_u32_e32 v2, 28, v1
	v_lshlrev_b64 v[2:3], v2, v[0:1]
	v_sub_u32_e32 v1, 29, v1
	v_and_b32_e32 v2, 7, v2
	v_cndmask_b32_e32 v1, v6, v1, vcc
	v_cndmask_b32_e32 v2, v4, v2, vcc
	v_bfrev_b32_e32 v4, 60
	v_lshlrev_b32_e32 v2, 20, v2
	v_and_b32_sdwa v3, sext(v0), s27 dst_sel:DWORD dst_unused:UNUSED_PAD src0_sel:BYTE_0 src1_sel:DWORD
	v_lshl_add_u32 v1, v1, 23, v4
	v_or3_b32 v4, v3, v1, v2
	buffer_store_dword v4, off, s[0:3], s32 offset:280 ; 4-byte Folded Spill
	s_nop 0
	buffer_store_dword v5, off, s[0:3], s32 offset:284 ; 4-byte Folded Spill
.LBB239_56:                             ;   in Loop: Header=BB239_13 Depth=1
	s_or_b64 exec, exec, s[40:41]
.LBB239_57:                             ;   in Loop: Header=BB239_13 Depth=1
	s_or_b64 exec, exec, s[38:39]
.LBB239_58:                             ;   in Loop: Header=BB239_13 Depth=1
	s_or_b64 exec, exec, s[36:37]
	v_cmp_ne_u16_sdwa vcc, v0, v5 src0_sel:BYTE_1 src1_sel:DWORD
	s_and_saveexec_b64 s[36:37], vcc
	s_cbranch_execz .LBB239_64
; %bb.59:                               ;   in Loop: Header=BB239_13 Depth=1
	v_cmp_ne_u16_sdwa vcc, v0, s43 src0_sel:BYTE_1 src1_sel:DWORD
	v_pk_mov_b32 v[2:3], s[26:27], s[26:27] op_sel:[0,1]
	buffer_store_dword v2, off, s[0:3], s32 offset:288 ; 4-byte Folded Spill
	s_nop 0
	buffer_store_dword v3, off, s[0:3], s32 offset:292 ; 4-byte Folded Spill
	s_and_saveexec_b64 s[38:39], vcc
	s_cbranch_execz .LBB239_63
; %bb.60:                               ;   in Loop: Header=BB239_13 Depth=1
	v_and_b32_sdwa v1, v0, s44 dst_sel:DWORD dst_unused:UNUSED_PAD src0_sel:BYTE_1 src1_sel:DWORD
	s_mov_b32 s34, s26
	v_cmp_ne_u32_e32 vcc, s44, v1
	v_pk_mov_b32 v[2:3], s[34:35], s[34:35] op_sel:[0,1]
	buffer_store_dword v2, off, s[0:3], s32 offset:288 ; 4-byte Folded Spill
	s_nop 0
	buffer_store_dword v3, off, s[0:3], s32 offset:292 ; 4-byte Folded Spill
	s_and_saveexec_b64 s[40:41], vcc
	s_cbranch_execz .LBB239_62
; %bb.61:                               ;   in Loop: Header=BB239_13 Depth=1
	v_mov_b32_e32 v2, 7
	v_and_b32_sdwa v4, v0, v2 dst_sel:DWORD dst_unused:UNUSED_PAD src0_sel:BYTE_1 src1_sel:DWORD
	v_lshrrev_b32_e32 v6, 3, v1
	v_cmp_gt_u32_e32 vcc, 8, v1
	v_ffbh_u32_e32 v1, v4
	v_min_u32_e32 v1, 32, v1
	v_subrev_u32_e32 v2, 28, v1
	v_lshlrev_b64 v[2:3], v2, v[4:5]
	v_sub_u32_e32 v1, 29, v1
	v_and_b32_e32 v2, 7, v2
	v_cndmask_b32_e32 v1, v6, v1, vcc
	v_bfrev_b32_e32 v3, 60
	v_cndmask_b32_e32 v2, v4, v2, vcc
	v_lshlrev_b32_e32 v0, 16, v0
	v_lshl_add_u32 v1, v1, 23, v3
	v_and_or_b32 v0, v0, s27, v1
	v_lshlrev_b32_e32 v1, 20, v2
	v_or_b32_e32 v1, v0, v1
	v_mov_b32_e32 v0, v5
	buffer_store_dword v0, off, s[0:3], s32 offset:288 ; 4-byte Folded Spill
	s_nop 0
	buffer_store_dword v1, off, s[0:3], s32 offset:292 ; 4-byte Folded Spill
.LBB239_62:                             ;   in Loop: Header=BB239_13 Depth=1
	s_or_b64 exec, exec, s[40:41]
.LBB239_63:                             ;   in Loop: Header=BB239_13 Depth=1
	s_or_b64 exec, exec, s[38:39]
.LBB239_64:                             ;   in Loop: Header=BB239_13 Depth=1
	s_or_b64 exec, exec, s[36:37]
	flat_load_ushort v1, v[16:17] offset:512
	v_pk_mov_b32 v[2:3], 0, 0
	buffer_store_dword v2, off, s[0:3], s32 offset:304 ; 4-byte Folded Spill
	s_nop 0
	buffer_store_dword v3, off, s[0:3], s32 offset:308 ; 4-byte Folded Spill
	buffer_store_dword v2, off, s[0:3], s32 offset:296 ; 4-byte Folded Spill
	s_nop 0
	buffer_store_dword v3, off, s[0:3], s32 offset:300 ; 4-byte Folded Spill
	s_waitcnt vmcnt(0) lgkmcnt(0)
	v_and_b32_e32 v0, 0xffff, v1
	v_cmp_ne_u16_sdwa vcc, v1, v5 src0_sel:BYTE_0 src1_sel:DWORD
	s_and_saveexec_b64 s[36:37], vcc
	s_cbranch_execz .LBB239_70
; %bb.65:                               ;   in Loop: Header=BB239_13 Depth=1
	v_bfrev_b32_e32 v2, 1
	v_cmp_ne_u16_sdwa vcc, v0, s43 src0_sel:BYTE_0 src1_sel:DWORD
	v_mov_b32_e32 v3, 0
	buffer_store_dword v2, off, s[0:3], s32 offset:296 ; 4-byte Folded Spill
	s_nop 0
	buffer_store_dword v3, off, s[0:3], s32 offset:300 ; 4-byte Folded Spill
	s_and_saveexec_b64 s[38:39], vcc
	s_cbranch_execz .LBB239_69
; %bb.66:                               ;   in Loop: Header=BB239_13 Depth=1
	v_and_b32_e32 v1, 0x7f, v0
	v_mov_b32_e32 v2, 0x7f800001
	v_cmp_ne_u32_e32 vcc, s44, v1
	v_mov_b32_e32 v3, 0
	buffer_store_dword v2, off, s[0:3], s32 offset:296 ; 4-byte Folded Spill
	s_nop 0
	buffer_store_dword v3, off, s[0:3], s32 offset:300 ; 4-byte Folded Spill
	s_and_saveexec_b64 s[40:41], vcc
	s_cbranch_execz .LBB239_68
; %bb.67:                               ;   in Loop: Header=BB239_13 Depth=1
	v_and_b32_e32 v4, 7, v0
	v_lshrrev_b32_e32 v6, 3, v1
	v_cmp_gt_u32_e32 vcc, 8, v1
	v_ffbh_u32_e32 v1, v4
	v_min_u32_e32 v1, 32, v1
	v_subrev_u32_e32 v2, 28, v1
	v_lshlrev_b64 v[2:3], v2, v[0:1]
	v_sub_u32_e32 v1, 29, v1
	v_and_b32_e32 v2, 7, v2
	v_cndmask_b32_e32 v1, v6, v1, vcc
	v_cndmask_b32_e32 v2, v4, v2, vcc
	v_bfrev_b32_e32 v4, 60
	v_lshlrev_b32_e32 v2, 20, v2
	v_and_b32_sdwa v3, sext(v0), s27 dst_sel:DWORD dst_unused:UNUSED_PAD src0_sel:BYTE_0 src1_sel:DWORD
	v_lshl_add_u32 v1, v1, 23, v4
	v_or3_b32 v4, v3, v1, v2
	buffer_store_dword v4, off, s[0:3], s32 offset:296 ; 4-byte Folded Spill
	s_nop 0
	buffer_store_dword v5, off, s[0:3], s32 offset:300 ; 4-byte Folded Spill
.LBB239_68:                             ;   in Loop: Header=BB239_13 Depth=1
	s_or_b64 exec, exec, s[40:41]
.LBB239_69:                             ;   in Loop: Header=BB239_13 Depth=1
	s_or_b64 exec, exec, s[38:39]
.LBB239_70:                             ;   in Loop: Header=BB239_13 Depth=1
	s_or_b64 exec, exec, s[36:37]
	v_cmp_ne_u16_sdwa vcc, v0, v5 src0_sel:BYTE_1 src1_sel:DWORD
	s_and_saveexec_b64 s[36:37], vcc
	s_cbranch_execz .LBB239_76
; %bb.71:                               ;   in Loop: Header=BB239_13 Depth=1
	v_cmp_ne_u16_sdwa vcc, v0, s43 src0_sel:BYTE_1 src1_sel:DWORD
	v_pk_mov_b32 v[2:3], s[26:27], s[26:27] op_sel:[0,1]
	buffer_store_dword v2, off, s[0:3], s32 offset:304 ; 4-byte Folded Spill
	s_nop 0
	buffer_store_dword v3, off, s[0:3], s32 offset:308 ; 4-byte Folded Spill
	s_and_saveexec_b64 s[38:39], vcc
	s_cbranch_execz .LBB239_75
; %bb.72:                               ;   in Loop: Header=BB239_13 Depth=1
	v_and_b32_sdwa v1, v0, s44 dst_sel:DWORD dst_unused:UNUSED_PAD src0_sel:BYTE_1 src1_sel:DWORD
	s_mov_b32 s34, s26
	v_cmp_ne_u32_e32 vcc, s44, v1
	v_pk_mov_b32 v[2:3], s[34:35], s[34:35] op_sel:[0,1]
	buffer_store_dword v2, off, s[0:3], s32 offset:304 ; 4-byte Folded Spill
	s_nop 0
	buffer_store_dword v3, off, s[0:3], s32 offset:308 ; 4-byte Folded Spill
	s_and_saveexec_b64 s[40:41], vcc
	s_cbranch_execz .LBB239_74
; %bb.73:                               ;   in Loop: Header=BB239_13 Depth=1
	v_mov_b32_e32 v2, 7
	v_and_b32_sdwa v4, v0, v2 dst_sel:DWORD dst_unused:UNUSED_PAD src0_sel:BYTE_1 src1_sel:DWORD
	v_lshrrev_b32_e32 v6, 3, v1
	v_cmp_gt_u32_e32 vcc, 8, v1
	v_ffbh_u32_e32 v1, v4
	v_min_u32_e32 v1, 32, v1
	v_subrev_u32_e32 v2, 28, v1
	v_lshlrev_b64 v[2:3], v2, v[4:5]
	v_sub_u32_e32 v1, 29, v1
	v_and_b32_e32 v2, 7, v2
	v_cndmask_b32_e32 v1, v6, v1, vcc
	v_bfrev_b32_e32 v3, 60
	v_cndmask_b32_e32 v2, v4, v2, vcc
	v_lshlrev_b32_e32 v0, 16, v0
	v_lshl_add_u32 v1, v1, 23, v3
	v_and_or_b32 v0, v0, s27, v1
	v_lshlrev_b32_e32 v1, 20, v2
	v_or_b32_e32 v1, v0, v1
	v_mov_b32_e32 v0, v5
	buffer_store_dword v0, off, s[0:3], s32 offset:304 ; 4-byte Folded Spill
	s_nop 0
	buffer_store_dword v1, off, s[0:3], s32 offset:308 ; 4-byte Folded Spill
.LBB239_74:                             ;   in Loop: Header=BB239_13 Depth=1
	s_or_b64 exec, exec, s[40:41]
.LBB239_75:                             ;   in Loop: Header=BB239_13 Depth=1
	s_or_b64 exec, exec, s[38:39]
.LBB239_76:                             ;   in Loop: Header=BB239_13 Depth=1
	s_or_b64 exec, exec, s[36:37]
	flat_load_ushort v1, v[16:17] offset:516
	v_pk_mov_b32 v[2:3], 0, 0
	buffer_store_dword v2, off, s[0:3], s32 offset:320 ; 4-byte Folded Spill
	s_nop 0
	buffer_store_dword v3, off, s[0:3], s32 offset:324 ; 4-byte Folded Spill
	buffer_store_dword v2, off, s[0:3], s32 offset:312 ; 4-byte Folded Spill
	s_nop 0
	buffer_store_dword v3, off, s[0:3], s32 offset:316 ; 4-byte Folded Spill
	s_waitcnt vmcnt(0) lgkmcnt(0)
	v_and_b32_e32 v0, 0xffff, v1
	v_cmp_ne_u16_sdwa vcc, v1, v5 src0_sel:BYTE_0 src1_sel:DWORD
	s_and_saveexec_b64 s[36:37], vcc
	s_cbranch_execz .LBB239_82
; %bb.77:                               ;   in Loop: Header=BB239_13 Depth=1
	v_bfrev_b32_e32 v2, 1
	v_cmp_ne_u16_sdwa vcc, v0, s43 src0_sel:BYTE_0 src1_sel:DWORD
	v_mov_b32_e32 v3, 0
	buffer_store_dword v2, off, s[0:3], s32 offset:312 ; 4-byte Folded Spill
	s_nop 0
	buffer_store_dword v3, off, s[0:3], s32 offset:316 ; 4-byte Folded Spill
	s_and_saveexec_b64 s[38:39], vcc
	s_cbranch_execz .LBB239_81
; %bb.78:                               ;   in Loop: Header=BB239_13 Depth=1
	v_and_b32_e32 v1, 0x7f, v0
	v_mov_b32_e32 v2, 0x7f800001
	v_cmp_ne_u32_e32 vcc, s44, v1
	v_mov_b32_e32 v3, 0
	buffer_store_dword v2, off, s[0:3], s32 offset:312 ; 4-byte Folded Spill
	s_nop 0
	buffer_store_dword v3, off, s[0:3], s32 offset:316 ; 4-byte Folded Spill
	s_and_saveexec_b64 s[40:41], vcc
	s_cbranch_execz .LBB239_80
; %bb.79:                               ;   in Loop: Header=BB239_13 Depth=1
	v_and_b32_e32 v4, 7, v0
	v_lshrrev_b32_e32 v6, 3, v1
	v_cmp_gt_u32_e32 vcc, 8, v1
	v_ffbh_u32_e32 v1, v4
	v_min_u32_e32 v1, 32, v1
	v_subrev_u32_e32 v2, 28, v1
	v_lshlrev_b64 v[2:3], v2, v[0:1]
	v_sub_u32_e32 v1, 29, v1
	v_and_b32_e32 v2, 7, v2
	v_cndmask_b32_e32 v1, v6, v1, vcc
	v_cndmask_b32_e32 v2, v4, v2, vcc
	v_bfrev_b32_e32 v4, 60
	v_lshlrev_b32_e32 v2, 20, v2
	v_and_b32_sdwa v3, sext(v0), s27 dst_sel:DWORD dst_unused:UNUSED_PAD src0_sel:BYTE_0 src1_sel:DWORD
	v_lshl_add_u32 v1, v1, 23, v4
	v_or3_b32 v4, v3, v1, v2
	buffer_store_dword v4, off, s[0:3], s32 offset:312 ; 4-byte Folded Spill
	s_nop 0
	buffer_store_dword v5, off, s[0:3], s32 offset:316 ; 4-byte Folded Spill
.LBB239_80:                             ;   in Loop: Header=BB239_13 Depth=1
	s_or_b64 exec, exec, s[40:41]
.LBB239_81:                             ;   in Loop: Header=BB239_13 Depth=1
	s_or_b64 exec, exec, s[38:39]
.LBB239_82:                             ;   in Loop: Header=BB239_13 Depth=1
	s_or_b64 exec, exec, s[36:37]
	v_cmp_ne_u16_sdwa vcc, v0, v5 src0_sel:BYTE_1 src1_sel:DWORD
	s_and_saveexec_b64 s[36:37], vcc
	s_cbranch_execz .LBB239_88
; %bb.83:                               ;   in Loop: Header=BB239_13 Depth=1
	v_cmp_ne_u16_sdwa vcc, v0, s43 src0_sel:BYTE_1 src1_sel:DWORD
	v_pk_mov_b32 v[2:3], s[26:27], s[26:27] op_sel:[0,1]
	buffer_store_dword v2, off, s[0:3], s32 offset:320 ; 4-byte Folded Spill
	s_nop 0
	buffer_store_dword v3, off, s[0:3], s32 offset:324 ; 4-byte Folded Spill
	s_and_saveexec_b64 s[38:39], vcc
	s_cbranch_execz .LBB239_87
; %bb.84:                               ;   in Loop: Header=BB239_13 Depth=1
	v_and_b32_sdwa v1, v0, s44 dst_sel:DWORD dst_unused:UNUSED_PAD src0_sel:BYTE_1 src1_sel:DWORD
	s_mov_b32 s34, s26
	v_cmp_ne_u32_e32 vcc, s44, v1
	v_pk_mov_b32 v[2:3], s[34:35], s[34:35] op_sel:[0,1]
	buffer_store_dword v2, off, s[0:3], s32 offset:320 ; 4-byte Folded Spill
	s_nop 0
	buffer_store_dword v3, off, s[0:3], s32 offset:324 ; 4-byte Folded Spill
	s_and_saveexec_b64 s[40:41], vcc
	s_cbranch_execz .LBB239_86
; %bb.85:                               ;   in Loop: Header=BB239_13 Depth=1
	v_mov_b32_e32 v2, 7
	v_and_b32_sdwa v4, v0, v2 dst_sel:DWORD dst_unused:UNUSED_PAD src0_sel:BYTE_1 src1_sel:DWORD
	v_lshrrev_b32_e32 v6, 3, v1
	v_cmp_gt_u32_e32 vcc, 8, v1
	v_ffbh_u32_e32 v1, v4
	v_min_u32_e32 v1, 32, v1
	v_subrev_u32_e32 v2, 28, v1
	v_lshlrev_b64 v[2:3], v2, v[4:5]
	v_sub_u32_e32 v1, 29, v1
	v_and_b32_e32 v2, 7, v2
	v_cndmask_b32_e32 v1, v6, v1, vcc
	v_bfrev_b32_e32 v3, 60
	v_cndmask_b32_e32 v2, v4, v2, vcc
	v_lshlrev_b32_e32 v0, 16, v0
	v_lshl_add_u32 v1, v1, 23, v3
	v_and_or_b32 v0, v0, s27, v1
	v_lshlrev_b32_e32 v1, 20, v2
	v_or_b32_e32 v1, v0, v1
	v_mov_b32_e32 v0, v5
	buffer_store_dword v0, off, s[0:3], s32 offset:320 ; 4-byte Folded Spill
	s_nop 0
	buffer_store_dword v1, off, s[0:3], s32 offset:324 ; 4-byte Folded Spill
.LBB239_86:                             ;   in Loop: Header=BB239_13 Depth=1
	s_or_b64 exec, exec, s[40:41]
.LBB239_87:                             ;   in Loop: Header=BB239_13 Depth=1
	s_or_b64 exec, exec, s[38:39]
.LBB239_88:                             ;   in Loop: Header=BB239_13 Depth=1
	s_or_b64 exec, exec, s[36:37]
	v_add_co_u32_e32 v0, vcc, 0x200, v16
	v_addc_co_u32_e32 v1, vcc, 0, v17, vcc
	flat_load_ushort v3, v[0:1] offset:8
	v_pk_mov_b32 v[6:7], 0, 0
	buffer_store_dword v6, off, s[0:3], s32 offset:336 ; 4-byte Folded Spill
	s_nop 0
	buffer_store_dword v7, off, s[0:3], s32 offset:340 ; 4-byte Folded Spill
	buffer_store_dword v6, off, s[0:3], s32 offset:328 ; 4-byte Folded Spill
	s_nop 0
	buffer_store_dword v7, off, s[0:3], s32 offset:332 ; 4-byte Folded Spill
	s_waitcnt vmcnt(0) lgkmcnt(0)
	v_and_b32_e32 v2, 0xffff, v3
	v_cmp_ne_u16_sdwa vcc, v3, v5 src0_sel:BYTE_0 src1_sel:DWORD
	s_and_saveexec_b64 s[36:37], vcc
	s_cbranch_execz .LBB239_94
; %bb.89:                               ;   in Loop: Header=BB239_13 Depth=1
	v_bfrev_b32_e32 v6, 1
	v_cmp_ne_u16_sdwa vcc, v2, s43 src0_sel:BYTE_0 src1_sel:DWORD
	v_mov_b32_e32 v7, 0
	buffer_store_dword v6, off, s[0:3], s32 offset:328 ; 4-byte Folded Spill
	s_nop 0
	buffer_store_dword v7, off, s[0:3], s32 offset:332 ; 4-byte Folded Spill
	s_and_saveexec_b64 s[38:39], vcc
	s_cbranch_execz .LBB239_93
; %bb.90:                               ;   in Loop: Header=BB239_13 Depth=1
	v_and_b32_e32 v3, 0x7f, v2
	v_mov_b32_e32 v6, 0x7f800001
	v_cmp_ne_u32_e32 vcc, s44, v3
	v_mov_b32_e32 v7, 0
	buffer_store_dword v6, off, s[0:3], s32 offset:328 ; 4-byte Folded Spill
	s_nop 0
	buffer_store_dword v7, off, s[0:3], s32 offset:332 ; 4-byte Folded Spill
	s_and_saveexec_b64 s[40:41], vcc
	s_cbranch_execz .LBB239_92
; %bb.91:                               ;   in Loop: Header=BB239_13 Depth=1
	v_and_b32_e32 v4, 7, v2
	v_lshrrev_b32_e32 v8, 3, v3
	v_cmp_gt_u32_e32 vcc, 8, v3
	v_ffbh_u32_e32 v3, v4
	v_min_u32_e32 v3, 32, v3
	v_subrev_u32_e32 v6, 28, v3
	v_lshlrev_b64 v[6:7], v6, v[2:3]
	v_sub_u32_e32 v3, 29, v3
	v_and_b32_e32 v6, 7, v6
	v_cndmask_b32_e32 v3, v8, v3, vcc
	v_cndmask_b32_e32 v4, v4, v6, vcc
	v_bfrev_b32_e32 v7, 60
	v_lshlrev_b32_e32 v4, 20, v4
	v_and_b32_sdwa v6, sext(v2), s27 dst_sel:DWORD dst_unused:UNUSED_PAD src0_sel:BYTE_0 src1_sel:DWORD
	v_lshl_add_u32 v3, v3, 23, v7
	v_or3_b32 v4, v6, v3, v4
	buffer_store_dword v4, off, s[0:3], s32 offset:328 ; 4-byte Folded Spill
	s_nop 0
	buffer_store_dword v5, off, s[0:3], s32 offset:332 ; 4-byte Folded Spill
.LBB239_92:                             ;   in Loop: Header=BB239_13 Depth=1
	s_or_b64 exec, exec, s[40:41]
.LBB239_93:                             ;   in Loop: Header=BB239_13 Depth=1
	s_or_b64 exec, exec, s[38:39]
.LBB239_94:                             ;   in Loop: Header=BB239_13 Depth=1
	s_or_b64 exec, exec, s[36:37]
	v_cmp_ne_u16_sdwa vcc, v2, v5 src0_sel:BYTE_1 src1_sel:DWORD
	s_and_saveexec_b64 s[36:37], vcc
	s_cbranch_execz .LBB239_100
; %bb.95:                               ;   in Loop: Header=BB239_13 Depth=1
	v_cmp_ne_u16_sdwa vcc, v2, s43 src0_sel:BYTE_1 src1_sel:DWORD
	v_pk_mov_b32 v[6:7], s[26:27], s[26:27] op_sel:[0,1]
	buffer_store_dword v6, off, s[0:3], s32 offset:336 ; 4-byte Folded Spill
	s_nop 0
	buffer_store_dword v7, off, s[0:3], s32 offset:340 ; 4-byte Folded Spill
	s_and_saveexec_b64 s[38:39], vcc
	s_cbranch_execz .LBB239_99
; %bb.96:                               ;   in Loop: Header=BB239_13 Depth=1
	v_and_b32_sdwa v3, v2, s44 dst_sel:DWORD dst_unused:UNUSED_PAD src0_sel:BYTE_1 src1_sel:DWORD
	s_mov_b32 s34, s26
	v_cmp_ne_u32_e32 vcc, s44, v3
	v_pk_mov_b32 v[6:7], s[34:35], s[34:35] op_sel:[0,1]
	buffer_store_dword v6, off, s[0:3], s32 offset:336 ; 4-byte Folded Spill
	s_nop 0
	buffer_store_dword v7, off, s[0:3], s32 offset:340 ; 4-byte Folded Spill
	s_and_saveexec_b64 s[40:41], vcc
	s_cbranch_execz .LBB239_98
; %bb.97:                               ;   in Loop: Header=BB239_13 Depth=1
	v_mov_b32_e32 v4, 7
	v_and_b32_sdwa v4, v2, v4 dst_sel:DWORD dst_unused:UNUSED_PAD src0_sel:BYTE_1 src1_sel:DWORD
	v_lshrrev_b32_e32 v8, 3, v3
	v_cmp_gt_u32_e32 vcc, 8, v3
	v_ffbh_u32_e32 v3, v4
	v_min_u32_e32 v3, 32, v3
	v_subrev_u32_e32 v6, 28, v3
	v_lshlrev_b64 v[6:7], v6, v[4:5]
	v_sub_u32_e32 v3, 29, v3
	v_and_b32_e32 v6, 7, v6
	v_cndmask_b32_e32 v3, v8, v3, vcc
	v_cndmask_b32_e32 v4, v4, v6, vcc
	v_bfrev_b32_e32 v6, 60
	v_lshlrev_b32_e32 v2, 16, v2
	v_lshl_add_u32 v3, v3, 23, v6
	v_and_or_b32 v2, v2, s27, v3
	v_lshlrev_b32_e32 v3, 20, v4
	v_or_b32_e32 v3, v2, v3
	v_mov_b32_e32 v2, v5
	buffer_store_dword v2, off, s[0:3], s32 offset:336 ; 4-byte Folded Spill
	s_nop 0
	buffer_store_dword v3, off, s[0:3], s32 offset:340 ; 4-byte Folded Spill
.LBB239_98:                             ;   in Loop: Header=BB239_13 Depth=1
	s_or_b64 exec, exec, s[40:41]
.LBB239_99:                             ;   in Loop: Header=BB239_13 Depth=1
	s_or_b64 exec, exec, s[38:39]
.LBB239_100:                            ;   in Loop: Header=BB239_13 Depth=1
	s_or_b64 exec, exec, s[36:37]
	flat_load_ushort v1, v[0:1] offset:12
	v_pk_mov_b32 v[2:3], 0, 0
	buffer_store_dword v2, off, s[0:3], s32 offset:352 ; 4-byte Folded Spill
	s_nop 0
	buffer_store_dword v3, off, s[0:3], s32 offset:356 ; 4-byte Folded Spill
	buffer_store_dword v2, off, s[0:3], s32 offset:344 ; 4-byte Folded Spill
	s_nop 0
	buffer_store_dword v3, off, s[0:3], s32 offset:348 ; 4-byte Folded Spill
	s_waitcnt vmcnt(0) lgkmcnt(0)
	v_and_b32_e32 v0, 0xffff, v1
	v_cmp_ne_u16_sdwa vcc, v1, v5 src0_sel:BYTE_0 src1_sel:DWORD
	s_and_saveexec_b64 s[36:37], vcc
	s_cbranch_execz .LBB239_106
; %bb.101:                              ;   in Loop: Header=BB239_13 Depth=1
	v_bfrev_b32_e32 v2, 1
	v_cmp_ne_u16_sdwa vcc, v0, s43 src0_sel:BYTE_0 src1_sel:DWORD
	v_mov_b32_e32 v3, 0
	buffer_store_dword v2, off, s[0:3], s32 offset:344 ; 4-byte Folded Spill
	s_nop 0
	buffer_store_dword v3, off, s[0:3], s32 offset:348 ; 4-byte Folded Spill
	s_and_saveexec_b64 s[38:39], vcc
	s_cbranch_execz .LBB239_105
; %bb.102:                              ;   in Loop: Header=BB239_13 Depth=1
	v_and_b32_e32 v1, 0x7f, v0
	v_mov_b32_e32 v2, 0x7f800001
	v_cmp_ne_u32_e32 vcc, s44, v1
	v_mov_b32_e32 v3, 0
	buffer_store_dword v2, off, s[0:3], s32 offset:344 ; 4-byte Folded Spill
	s_nop 0
	buffer_store_dword v3, off, s[0:3], s32 offset:348 ; 4-byte Folded Spill
	s_and_saveexec_b64 s[40:41], vcc
	s_cbranch_execz .LBB239_104
; %bb.103:                              ;   in Loop: Header=BB239_13 Depth=1
	v_and_b32_e32 v4, 7, v0
	v_lshrrev_b32_e32 v6, 3, v1
	v_cmp_gt_u32_e32 vcc, 8, v1
	v_ffbh_u32_e32 v1, v4
	v_min_u32_e32 v1, 32, v1
	v_subrev_u32_e32 v2, 28, v1
	v_lshlrev_b64 v[2:3], v2, v[0:1]
	v_sub_u32_e32 v1, 29, v1
	v_and_b32_e32 v2, 7, v2
	v_cndmask_b32_e32 v1, v6, v1, vcc
	v_cndmask_b32_e32 v2, v4, v2, vcc
	v_bfrev_b32_e32 v4, 60
	v_lshlrev_b32_e32 v2, 20, v2
	v_and_b32_sdwa v3, sext(v0), s27 dst_sel:DWORD dst_unused:UNUSED_PAD src0_sel:BYTE_0 src1_sel:DWORD
	v_lshl_add_u32 v1, v1, 23, v4
	v_or3_b32 v4, v3, v1, v2
	buffer_store_dword v4, off, s[0:3], s32 offset:344 ; 4-byte Folded Spill
	s_nop 0
	buffer_store_dword v5, off, s[0:3], s32 offset:348 ; 4-byte Folded Spill
.LBB239_104:                            ;   in Loop: Header=BB239_13 Depth=1
	s_or_b64 exec, exec, s[40:41]
.LBB239_105:                            ;   in Loop: Header=BB239_13 Depth=1
	s_or_b64 exec, exec, s[38:39]
.LBB239_106:                            ;   in Loop: Header=BB239_13 Depth=1
	s_or_b64 exec, exec, s[36:37]
	v_cmp_ne_u16_sdwa vcc, v0, v5 src0_sel:BYTE_1 src1_sel:DWORD
	s_and_saveexec_b64 s[36:37], vcc
	s_cbranch_execz .LBB239_112
; %bb.107:                              ;   in Loop: Header=BB239_13 Depth=1
	v_cmp_ne_u16_sdwa vcc, v0, s43 src0_sel:BYTE_1 src1_sel:DWORD
	v_pk_mov_b32 v[2:3], s[26:27], s[26:27] op_sel:[0,1]
	buffer_store_dword v2, off, s[0:3], s32 offset:352 ; 4-byte Folded Spill
	s_nop 0
	buffer_store_dword v3, off, s[0:3], s32 offset:356 ; 4-byte Folded Spill
	s_and_saveexec_b64 s[38:39], vcc
	s_cbranch_execz .LBB239_111
; %bb.108:                              ;   in Loop: Header=BB239_13 Depth=1
	v_and_b32_sdwa v1, v0, s44 dst_sel:DWORD dst_unused:UNUSED_PAD src0_sel:BYTE_1 src1_sel:DWORD
	s_mov_b32 s34, s26
	v_cmp_ne_u32_e32 vcc, s44, v1
	v_pk_mov_b32 v[2:3], s[34:35], s[34:35] op_sel:[0,1]
	buffer_store_dword v2, off, s[0:3], s32 offset:352 ; 4-byte Folded Spill
	s_nop 0
	buffer_store_dword v3, off, s[0:3], s32 offset:356 ; 4-byte Folded Spill
	s_and_saveexec_b64 s[40:41], vcc
	s_cbranch_execz .LBB239_110
; %bb.109:                              ;   in Loop: Header=BB239_13 Depth=1
	v_mov_b32_e32 v2, 7
	v_and_b32_sdwa v4, v0, v2 dst_sel:DWORD dst_unused:UNUSED_PAD src0_sel:BYTE_1 src1_sel:DWORD
	v_lshrrev_b32_e32 v6, 3, v1
	v_cmp_gt_u32_e32 vcc, 8, v1
	v_ffbh_u32_e32 v1, v4
	v_min_u32_e32 v1, 32, v1
	v_subrev_u32_e32 v2, 28, v1
	v_lshlrev_b64 v[2:3], v2, v[4:5]
	v_sub_u32_e32 v1, 29, v1
	v_and_b32_e32 v2, 7, v2
	v_cndmask_b32_e32 v1, v6, v1, vcc
	v_bfrev_b32_e32 v3, 60
	v_cndmask_b32_e32 v2, v4, v2, vcc
	v_lshlrev_b32_e32 v0, 16, v0
	v_lshl_add_u32 v1, v1, 23, v3
	v_and_or_b32 v0, v0, s27, v1
	v_lshlrev_b32_e32 v1, 20, v2
	v_or_b32_e32 v1, v0, v1
	v_mov_b32_e32 v0, v5
	buffer_store_dword v0, off, s[0:3], s32 offset:352 ; 4-byte Folded Spill
	s_nop 0
	buffer_store_dword v1, off, s[0:3], s32 offset:356 ; 4-byte Folded Spill
.LBB239_110:                            ;   in Loop: Header=BB239_13 Depth=1
	s_or_b64 exec, exec, s[40:41]
.LBB239_111:                            ;   in Loop: Header=BB239_13 Depth=1
	s_or_b64 exec, exec, s[38:39]
.LBB239_112:                            ;   in Loop: Header=BB239_13 Depth=1
	s_or_b64 exec, exec, s[36:37]
	flat_load_ushort v1, v[16:17] offset:1024
	v_pk_mov_b32 v[2:3], 0, 0
	buffer_store_dword v2, off, s[0:3], s32 offset:368 ; 4-byte Folded Spill
	s_nop 0
	buffer_store_dword v3, off, s[0:3], s32 offset:372 ; 4-byte Folded Spill
	buffer_store_dword v2, off, s[0:3], s32 offset:360 ; 4-byte Folded Spill
	s_nop 0
	buffer_store_dword v3, off, s[0:3], s32 offset:364 ; 4-byte Folded Spill
	s_waitcnt vmcnt(0) lgkmcnt(0)
	v_and_b32_e32 v0, 0xffff, v1
	v_cmp_ne_u16_sdwa vcc, v1, v5 src0_sel:BYTE_0 src1_sel:DWORD
	s_and_saveexec_b64 s[36:37], vcc
	s_cbranch_execz .LBB239_118
; %bb.113:                              ;   in Loop: Header=BB239_13 Depth=1
	v_bfrev_b32_e32 v2, 1
	v_cmp_ne_u16_sdwa vcc, v0, s43 src0_sel:BYTE_0 src1_sel:DWORD
	v_mov_b32_e32 v3, 0
	buffer_store_dword v2, off, s[0:3], s32 offset:360 ; 4-byte Folded Spill
	s_nop 0
	buffer_store_dword v3, off, s[0:3], s32 offset:364 ; 4-byte Folded Spill
	s_and_saveexec_b64 s[38:39], vcc
	s_cbranch_execz .LBB239_117
; %bb.114:                              ;   in Loop: Header=BB239_13 Depth=1
	v_and_b32_e32 v1, 0x7f, v0
	v_mov_b32_e32 v2, 0x7f800001
	v_cmp_ne_u32_e32 vcc, s44, v1
	v_mov_b32_e32 v3, 0
	buffer_store_dword v2, off, s[0:3], s32 offset:360 ; 4-byte Folded Spill
	s_nop 0
	buffer_store_dword v3, off, s[0:3], s32 offset:364 ; 4-byte Folded Spill
	s_and_saveexec_b64 s[40:41], vcc
	s_cbranch_execz .LBB239_116
; %bb.115:                              ;   in Loop: Header=BB239_13 Depth=1
	v_and_b32_e32 v4, 7, v0
	v_lshrrev_b32_e32 v6, 3, v1
	v_cmp_gt_u32_e32 vcc, 8, v1
	v_ffbh_u32_e32 v1, v4
	v_min_u32_e32 v1, 32, v1
	v_subrev_u32_e32 v2, 28, v1
	v_lshlrev_b64 v[2:3], v2, v[0:1]
	v_sub_u32_e32 v1, 29, v1
	v_and_b32_e32 v2, 7, v2
	v_cndmask_b32_e32 v1, v6, v1, vcc
	v_cndmask_b32_e32 v2, v4, v2, vcc
	v_bfrev_b32_e32 v4, 60
	v_lshlrev_b32_e32 v2, 20, v2
	v_and_b32_sdwa v3, sext(v0), s27 dst_sel:DWORD dst_unused:UNUSED_PAD src0_sel:BYTE_0 src1_sel:DWORD
	v_lshl_add_u32 v1, v1, 23, v4
	v_or3_b32 v4, v3, v1, v2
	buffer_store_dword v4, off, s[0:3], s32 offset:360 ; 4-byte Folded Spill
	s_nop 0
	buffer_store_dword v5, off, s[0:3], s32 offset:364 ; 4-byte Folded Spill
.LBB239_116:                            ;   in Loop: Header=BB239_13 Depth=1
	s_or_b64 exec, exec, s[40:41]
.LBB239_117:                            ;   in Loop: Header=BB239_13 Depth=1
	s_or_b64 exec, exec, s[38:39]
.LBB239_118:                            ;   in Loop: Header=BB239_13 Depth=1
	s_or_b64 exec, exec, s[36:37]
	v_cmp_ne_u16_sdwa vcc, v0, v5 src0_sel:BYTE_1 src1_sel:DWORD
	s_and_saveexec_b64 s[36:37], vcc
	s_cbranch_execz .LBB239_124
; %bb.119:                              ;   in Loop: Header=BB239_13 Depth=1
	v_cmp_ne_u16_sdwa vcc, v0, s43 src0_sel:BYTE_1 src1_sel:DWORD
	v_pk_mov_b32 v[2:3], s[26:27], s[26:27] op_sel:[0,1]
	buffer_store_dword v2, off, s[0:3], s32 offset:368 ; 4-byte Folded Spill
	s_nop 0
	buffer_store_dword v3, off, s[0:3], s32 offset:372 ; 4-byte Folded Spill
	s_and_saveexec_b64 s[38:39], vcc
	s_cbranch_execz .LBB239_123
; %bb.120:                              ;   in Loop: Header=BB239_13 Depth=1
	v_and_b32_sdwa v1, v0, s44 dst_sel:DWORD dst_unused:UNUSED_PAD src0_sel:BYTE_1 src1_sel:DWORD
	s_mov_b32 s34, s26
	v_cmp_ne_u32_e32 vcc, s44, v1
	v_pk_mov_b32 v[2:3], s[34:35], s[34:35] op_sel:[0,1]
	buffer_store_dword v2, off, s[0:3], s32 offset:368 ; 4-byte Folded Spill
	s_nop 0
	buffer_store_dword v3, off, s[0:3], s32 offset:372 ; 4-byte Folded Spill
	s_and_saveexec_b64 s[40:41], vcc
	s_cbranch_execz .LBB239_122
; %bb.121:                              ;   in Loop: Header=BB239_13 Depth=1
	v_mov_b32_e32 v2, 7
	v_and_b32_sdwa v4, v0, v2 dst_sel:DWORD dst_unused:UNUSED_PAD src0_sel:BYTE_1 src1_sel:DWORD
	v_lshrrev_b32_e32 v6, 3, v1
	v_cmp_gt_u32_e32 vcc, 8, v1
	v_ffbh_u32_e32 v1, v4
	v_min_u32_e32 v1, 32, v1
	v_subrev_u32_e32 v2, 28, v1
	v_lshlrev_b64 v[2:3], v2, v[4:5]
	v_sub_u32_e32 v1, 29, v1
	v_and_b32_e32 v2, 7, v2
	v_cndmask_b32_e32 v1, v6, v1, vcc
	v_bfrev_b32_e32 v3, 60
	v_cndmask_b32_e32 v2, v4, v2, vcc
	v_lshlrev_b32_e32 v0, 16, v0
	v_lshl_add_u32 v1, v1, 23, v3
	v_and_or_b32 v0, v0, s27, v1
	v_lshlrev_b32_e32 v1, 20, v2
	v_or_b32_e32 v1, v0, v1
	v_mov_b32_e32 v0, v5
	buffer_store_dword v0, off, s[0:3], s32 offset:368 ; 4-byte Folded Spill
	s_nop 0
	buffer_store_dword v1, off, s[0:3], s32 offset:372 ; 4-byte Folded Spill
.LBB239_122:                            ;   in Loop: Header=BB239_13 Depth=1
	s_or_b64 exec, exec, s[40:41]
.LBB239_123:                            ;   in Loop: Header=BB239_13 Depth=1
	s_or_b64 exec, exec, s[38:39]
.LBB239_124:                            ;   in Loop: Header=BB239_13 Depth=1
	s_or_b64 exec, exec, s[36:37]
	flat_load_ushort v1, v[16:17] offset:1028
	v_pk_mov_b32 v[2:3], 0, 0
	buffer_store_dword v2, off, s[0:3], s32 offset:384 ; 4-byte Folded Spill
	s_nop 0
	buffer_store_dword v3, off, s[0:3], s32 offset:388 ; 4-byte Folded Spill
	buffer_store_dword v2, off, s[0:3], s32 offset:376 ; 4-byte Folded Spill
	s_nop 0
	buffer_store_dword v3, off, s[0:3], s32 offset:380 ; 4-byte Folded Spill
	s_waitcnt vmcnt(0) lgkmcnt(0)
	v_and_b32_e32 v0, 0xffff, v1
	v_cmp_ne_u16_sdwa vcc, v1, v5 src0_sel:BYTE_0 src1_sel:DWORD
	s_and_saveexec_b64 s[36:37], vcc
	s_cbranch_execz .LBB239_130
; %bb.125:                              ;   in Loop: Header=BB239_13 Depth=1
	v_bfrev_b32_e32 v2, 1
	v_cmp_ne_u16_sdwa vcc, v0, s43 src0_sel:BYTE_0 src1_sel:DWORD
	v_mov_b32_e32 v3, 0
	buffer_store_dword v2, off, s[0:3], s32 offset:376 ; 4-byte Folded Spill
	s_nop 0
	buffer_store_dword v3, off, s[0:3], s32 offset:380 ; 4-byte Folded Spill
	s_and_saveexec_b64 s[38:39], vcc
	s_cbranch_execz .LBB239_129
; %bb.126:                              ;   in Loop: Header=BB239_13 Depth=1
	v_and_b32_e32 v1, 0x7f, v0
	v_mov_b32_e32 v2, 0x7f800001
	v_cmp_ne_u32_e32 vcc, s44, v1
	v_mov_b32_e32 v3, 0
	buffer_store_dword v2, off, s[0:3], s32 offset:376 ; 4-byte Folded Spill
	s_nop 0
	buffer_store_dword v3, off, s[0:3], s32 offset:380 ; 4-byte Folded Spill
	s_and_saveexec_b64 s[40:41], vcc
	s_cbranch_execz .LBB239_128
; %bb.127:                              ;   in Loop: Header=BB239_13 Depth=1
	v_and_b32_e32 v4, 7, v0
	v_lshrrev_b32_e32 v6, 3, v1
	v_cmp_gt_u32_e32 vcc, 8, v1
	v_ffbh_u32_e32 v1, v4
	v_min_u32_e32 v1, 32, v1
	v_subrev_u32_e32 v2, 28, v1
	v_lshlrev_b64 v[2:3], v2, v[0:1]
	v_sub_u32_e32 v1, 29, v1
	v_and_b32_e32 v2, 7, v2
	v_cndmask_b32_e32 v1, v6, v1, vcc
	v_cndmask_b32_e32 v2, v4, v2, vcc
	v_bfrev_b32_e32 v4, 60
	v_lshlrev_b32_e32 v2, 20, v2
	v_and_b32_sdwa v3, sext(v0), s27 dst_sel:DWORD dst_unused:UNUSED_PAD src0_sel:BYTE_0 src1_sel:DWORD
	v_lshl_add_u32 v1, v1, 23, v4
	v_or3_b32 v4, v3, v1, v2
	buffer_store_dword v4, off, s[0:3], s32 offset:376 ; 4-byte Folded Spill
	s_nop 0
	buffer_store_dword v5, off, s[0:3], s32 offset:380 ; 4-byte Folded Spill
.LBB239_128:                            ;   in Loop: Header=BB239_13 Depth=1
	s_or_b64 exec, exec, s[40:41]
.LBB239_129:                            ;   in Loop: Header=BB239_13 Depth=1
	s_or_b64 exec, exec, s[38:39]
.LBB239_130:                            ;   in Loop: Header=BB239_13 Depth=1
	s_or_b64 exec, exec, s[36:37]
	v_cmp_ne_u16_sdwa vcc, v0, v5 src0_sel:BYTE_1 src1_sel:DWORD
	s_and_saveexec_b64 s[36:37], vcc
	s_cbranch_execz .LBB239_136
; %bb.131:                              ;   in Loop: Header=BB239_13 Depth=1
	v_cmp_ne_u16_sdwa vcc, v0, s43 src0_sel:BYTE_1 src1_sel:DWORD
	v_pk_mov_b32 v[2:3], s[26:27], s[26:27] op_sel:[0,1]
	buffer_store_dword v2, off, s[0:3], s32 offset:384 ; 4-byte Folded Spill
	s_nop 0
	buffer_store_dword v3, off, s[0:3], s32 offset:388 ; 4-byte Folded Spill
	s_and_saveexec_b64 s[38:39], vcc
	s_cbranch_execz .LBB239_135
; %bb.132:                              ;   in Loop: Header=BB239_13 Depth=1
	v_and_b32_sdwa v1, v0, s44 dst_sel:DWORD dst_unused:UNUSED_PAD src0_sel:BYTE_1 src1_sel:DWORD
	s_mov_b32 s34, s26
	v_cmp_ne_u32_e32 vcc, s44, v1
	v_pk_mov_b32 v[2:3], s[34:35], s[34:35] op_sel:[0,1]
	buffer_store_dword v2, off, s[0:3], s32 offset:384 ; 4-byte Folded Spill
	s_nop 0
	buffer_store_dword v3, off, s[0:3], s32 offset:388 ; 4-byte Folded Spill
	s_and_saveexec_b64 s[40:41], vcc
	s_cbranch_execz .LBB239_134
; %bb.133:                              ;   in Loop: Header=BB239_13 Depth=1
	v_mov_b32_e32 v2, 7
	v_and_b32_sdwa v4, v0, v2 dst_sel:DWORD dst_unused:UNUSED_PAD src0_sel:BYTE_1 src1_sel:DWORD
	v_lshrrev_b32_e32 v6, 3, v1
	v_cmp_gt_u32_e32 vcc, 8, v1
	v_ffbh_u32_e32 v1, v4
	v_min_u32_e32 v1, 32, v1
	v_subrev_u32_e32 v2, 28, v1
	v_lshlrev_b64 v[2:3], v2, v[4:5]
	v_sub_u32_e32 v1, 29, v1
	v_and_b32_e32 v2, 7, v2
	v_cndmask_b32_e32 v1, v6, v1, vcc
	v_bfrev_b32_e32 v3, 60
	v_cndmask_b32_e32 v2, v4, v2, vcc
	v_lshlrev_b32_e32 v0, 16, v0
	v_lshl_add_u32 v1, v1, 23, v3
	v_and_or_b32 v0, v0, s27, v1
	v_lshlrev_b32_e32 v1, 20, v2
	v_or_b32_e32 v1, v0, v1
	v_mov_b32_e32 v0, v5
	buffer_store_dword v0, off, s[0:3], s32 offset:384 ; 4-byte Folded Spill
	s_nop 0
	buffer_store_dword v1, off, s[0:3], s32 offset:388 ; 4-byte Folded Spill
.LBB239_134:                            ;   in Loop: Header=BB239_13 Depth=1
	s_or_b64 exec, exec, s[40:41]
.LBB239_135:                            ;   in Loop: Header=BB239_13 Depth=1
	s_or_b64 exec, exec, s[38:39]
.LBB239_136:                            ;   in Loop: Header=BB239_13 Depth=1
	s_or_b64 exec, exec, s[36:37]
	v_add_co_u32_e32 v0, vcc, 0x400, v16
	v_addc_co_u32_e32 v1, vcc, 0, v17, vcc
	flat_load_ushort v3, v[0:1] offset:8
	v_pk_mov_b32 v[6:7], 0, 0
	buffer_store_dword v6, off, s[0:3], s32 offset:400 ; 4-byte Folded Spill
	s_nop 0
	buffer_store_dword v7, off, s[0:3], s32 offset:404 ; 4-byte Folded Spill
	buffer_store_dword v6, off, s[0:3], s32 offset:392 ; 4-byte Folded Spill
	s_nop 0
	buffer_store_dword v7, off, s[0:3], s32 offset:396 ; 4-byte Folded Spill
	s_waitcnt vmcnt(0) lgkmcnt(0)
	v_and_b32_e32 v2, 0xffff, v3
	v_cmp_ne_u16_sdwa vcc, v3, v5 src0_sel:BYTE_0 src1_sel:DWORD
	s_and_saveexec_b64 s[36:37], vcc
	s_cbranch_execz .LBB239_142
; %bb.137:                              ;   in Loop: Header=BB239_13 Depth=1
	v_bfrev_b32_e32 v6, 1
	v_cmp_ne_u16_sdwa vcc, v2, s43 src0_sel:BYTE_0 src1_sel:DWORD
	v_mov_b32_e32 v7, 0
	buffer_store_dword v6, off, s[0:3], s32 offset:392 ; 4-byte Folded Spill
	s_nop 0
	buffer_store_dword v7, off, s[0:3], s32 offset:396 ; 4-byte Folded Spill
	s_and_saveexec_b64 s[38:39], vcc
	s_cbranch_execz .LBB239_141
; %bb.138:                              ;   in Loop: Header=BB239_13 Depth=1
	v_and_b32_e32 v3, 0x7f, v2
	v_mov_b32_e32 v6, 0x7f800001
	v_cmp_ne_u32_e32 vcc, s44, v3
	v_mov_b32_e32 v7, 0
	buffer_store_dword v6, off, s[0:3], s32 offset:392 ; 4-byte Folded Spill
	s_nop 0
	buffer_store_dword v7, off, s[0:3], s32 offset:396 ; 4-byte Folded Spill
	s_and_saveexec_b64 s[40:41], vcc
	s_cbranch_execz .LBB239_140
; %bb.139:                              ;   in Loop: Header=BB239_13 Depth=1
	v_and_b32_e32 v4, 7, v2
	v_lshrrev_b32_e32 v8, 3, v3
	v_cmp_gt_u32_e32 vcc, 8, v3
	v_ffbh_u32_e32 v3, v4
	v_min_u32_e32 v3, 32, v3
	v_subrev_u32_e32 v6, 28, v3
	v_lshlrev_b64 v[6:7], v6, v[2:3]
	v_sub_u32_e32 v3, 29, v3
	v_and_b32_e32 v6, 7, v6
	v_cndmask_b32_e32 v3, v8, v3, vcc
	v_cndmask_b32_e32 v4, v4, v6, vcc
	v_bfrev_b32_e32 v7, 60
	v_lshlrev_b32_e32 v4, 20, v4
	v_and_b32_sdwa v6, sext(v2), s27 dst_sel:DWORD dst_unused:UNUSED_PAD src0_sel:BYTE_0 src1_sel:DWORD
	v_lshl_add_u32 v3, v3, 23, v7
	v_or3_b32 v4, v6, v3, v4
	buffer_store_dword v4, off, s[0:3], s32 offset:392 ; 4-byte Folded Spill
	s_nop 0
	buffer_store_dword v5, off, s[0:3], s32 offset:396 ; 4-byte Folded Spill
.LBB239_140:                            ;   in Loop: Header=BB239_13 Depth=1
	s_or_b64 exec, exec, s[40:41]
.LBB239_141:                            ;   in Loop: Header=BB239_13 Depth=1
	s_or_b64 exec, exec, s[38:39]
.LBB239_142:                            ;   in Loop: Header=BB239_13 Depth=1
	s_or_b64 exec, exec, s[36:37]
	v_cmp_ne_u16_sdwa vcc, v2, v5 src0_sel:BYTE_1 src1_sel:DWORD
	s_and_saveexec_b64 s[36:37], vcc
	s_cbranch_execz .LBB239_148
; %bb.143:                              ;   in Loop: Header=BB239_13 Depth=1
	v_cmp_ne_u16_sdwa vcc, v2, s43 src0_sel:BYTE_1 src1_sel:DWORD
	v_pk_mov_b32 v[6:7], s[26:27], s[26:27] op_sel:[0,1]
	buffer_store_dword v6, off, s[0:3], s32 offset:400 ; 4-byte Folded Spill
	s_nop 0
	buffer_store_dword v7, off, s[0:3], s32 offset:404 ; 4-byte Folded Spill
	s_and_saveexec_b64 s[38:39], vcc
	s_cbranch_execz .LBB239_147
; %bb.144:                              ;   in Loop: Header=BB239_13 Depth=1
	v_and_b32_sdwa v3, v2, s44 dst_sel:DWORD dst_unused:UNUSED_PAD src0_sel:BYTE_1 src1_sel:DWORD
	s_mov_b32 s34, s26
	v_cmp_ne_u32_e32 vcc, s44, v3
	v_pk_mov_b32 v[6:7], s[34:35], s[34:35] op_sel:[0,1]
	buffer_store_dword v6, off, s[0:3], s32 offset:400 ; 4-byte Folded Spill
	s_nop 0
	buffer_store_dword v7, off, s[0:3], s32 offset:404 ; 4-byte Folded Spill
	s_and_saveexec_b64 s[40:41], vcc
	s_cbranch_execz .LBB239_146
; %bb.145:                              ;   in Loop: Header=BB239_13 Depth=1
	v_mov_b32_e32 v4, 7
	v_and_b32_sdwa v4, v2, v4 dst_sel:DWORD dst_unused:UNUSED_PAD src0_sel:BYTE_1 src1_sel:DWORD
	v_lshrrev_b32_e32 v8, 3, v3
	v_cmp_gt_u32_e32 vcc, 8, v3
	v_ffbh_u32_e32 v3, v4
	v_min_u32_e32 v3, 32, v3
	v_subrev_u32_e32 v6, 28, v3
	v_lshlrev_b64 v[6:7], v6, v[4:5]
	v_sub_u32_e32 v3, 29, v3
	v_and_b32_e32 v6, 7, v6
	v_cndmask_b32_e32 v3, v8, v3, vcc
	v_cndmask_b32_e32 v4, v4, v6, vcc
	v_bfrev_b32_e32 v6, 60
	v_lshlrev_b32_e32 v2, 16, v2
	v_lshl_add_u32 v3, v3, 23, v6
	v_and_or_b32 v2, v2, s27, v3
	v_lshlrev_b32_e32 v3, 20, v4
	v_or_b32_e32 v3, v2, v3
	v_mov_b32_e32 v2, v5
	buffer_store_dword v2, off, s[0:3], s32 offset:400 ; 4-byte Folded Spill
	s_nop 0
	buffer_store_dword v3, off, s[0:3], s32 offset:404 ; 4-byte Folded Spill
.LBB239_146:                            ;   in Loop: Header=BB239_13 Depth=1
	s_or_b64 exec, exec, s[40:41]
.LBB239_147:                            ;   in Loop: Header=BB239_13 Depth=1
	s_or_b64 exec, exec, s[38:39]
.LBB239_148:                            ;   in Loop: Header=BB239_13 Depth=1
	s_or_b64 exec, exec, s[36:37]
	flat_load_ushort v1, v[0:1] offset:12
	v_pk_mov_b32 v[2:3], 0, 0
	buffer_store_dword v2, off, s[0:3], s32 offset:416 ; 4-byte Folded Spill
	s_nop 0
	buffer_store_dword v3, off, s[0:3], s32 offset:420 ; 4-byte Folded Spill
	buffer_store_dword v2, off, s[0:3], s32 offset:408 ; 4-byte Folded Spill
	s_nop 0
	buffer_store_dword v3, off, s[0:3], s32 offset:412 ; 4-byte Folded Spill
	s_waitcnt vmcnt(0) lgkmcnt(0)
	v_and_b32_e32 v0, 0xffff, v1
	v_cmp_ne_u16_sdwa vcc, v1, v5 src0_sel:BYTE_0 src1_sel:DWORD
	s_and_saveexec_b64 s[36:37], vcc
	s_cbranch_execz .LBB239_154
; %bb.149:                              ;   in Loop: Header=BB239_13 Depth=1
	v_bfrev_b32_e32 v2, 1
	v_cmp_ne_u16_sdwa vcc, v0, s43 src0_sel:BYTE_0 src1_sel:DWORD
	v_mov_b32_e32 v3, 0
	buffer_store_dword v2, off, s[0:3], s32 offset:408 ; 4-byte Folded Spill
	s_nop 0
	buffer_store_dword v3, off, s[0:3], s32 offset:412 ; 4-byte Folded Spill
	s_and_saveexec_b64 s[38:39], vcc
	s_cbranch_execz .LBB239_153
; %bb.150:                              ;   in Loop: Header=BB239_13 Depth=1
	v_and_b32_e32 v1, 0x7f, v0
	v_mov_b32_e32 v2, 0x7f800001
	v_cmp_ne_u32_e32 vcc, s44, v1
	v_mov_b32_e32 v3, 0
	buffer_store_dword v2, off, s[0:3], s32 offset:408 ; 4-byte Folded Spill
	s_nop 0
	buffer_store_dword v3, off, s[0:3], s32 offset:412 ; 4-byte Folded Spill
	s_and_saveexec_b64 s[40:41], vcc
	s_cbranch_execz .LBB239_152
; %bb.151:                              ;   in Loop: Header=BB239_13 Depth=1
	v_and_b32_e32 v4, 7, v0
	v_lshrrev_b32_e32 v6, 3, v1
	v_cmp_gt_u32_e32 vcc, 8, v1
	v_ffbh_u32_e32 v1, v4
	v_min_u32_e32 v1, 32, v1
	v_subrev_u32_e32 v2, 28, v1
	v_lshlrev_b64 v[2:3], v2, v[0:1]
	v_sub_u32_e32 v1, 29, v1
	v_and_b32_e32 v2, 7, v2
	v_cndmask_b32_e32 v1, v6, v1, vcc
	v_cndmask_b32_e32 v2, v4, v2, vcc
	v_bfrev_b32_e32 v4, 60
	v_lshlrev_b32_e32 v2, 20, v2
	v_and_b32_sdwa v3, sext(v0), s27 dst_sel:DWORD dst_unused:UNUSED_PAD src0_sel:BYTE_0 src1_sel:DWORD
	v_lshl_add_u32 v1, v1, 23, v4
	v_or3_b32 v4, v3, v1, v2
	buffer_store_dword v4, off, s[0:3], s32 offset:408 ; 4-byte Folded Spill
	s_nop 0
	buffer_store_dword v5, off, s[0:3], s32 offset:412 ; 4-byte Folded Spill
.LBB239_152:                            ;   in Loop: Header=BB239_13 Depth=1
	s_or_b64 exec, exec, s[40:41]
.LBB239_153:                            ;   in Loop: Header=BB239_13 Depth=1
	s_or_b64 exec, exec, s[38:39]
.LBB239_154:                            ;   in Loop: Header=BB239_13 Depth=1
	s_or_b64 exec, exec, s[36:37]
	v_cmp_ne_u16_sdwa vcc, v0, v5 src0_sel:BYTE_1 src1_sel:DWORD
	s_and_saveexec_b64 s[36:37], vcc
	s_cbranch_execz .LBB239_160
; %bb.155:                              ;   in Loop: Header=BB239_13 Depth=1
	v_cmp_ne_u16_sdwa vcc, v0, s43 src0_sel:BYTE_1 src1_sel:DWORD
	v_pk_mov_b32 v[2:3], s[26:27], s[26:27] op_sel:[0,1]
	buffer_store_dword v2, off, s[0:3], s32 offset:416 ; 4-byte Folded Spill
	s_nop 0
	buffer_store_dword v3, off, s[0:3], s32 offset:420 ; 4-byte Folded Spill
	s_and_saveexec_b64 s[38:39], vcc
	s_cbranch_execz .LBB239_159
; %bb.156:                              ;   in Loop: Header=BB239_13 Depth=1
	v_and_b32_sdwa v1, v0, s44 dst_sel:DWORD dst_unused:UNUSED_PAD src0_sel:BYTE_1 src1_sel:DWORD
	s_mov_b32 s34, s26
	v_cmp_ne_u32_e32 vcc, s44, v1
	v_pk_mov_b32 v[2:3], s[34:35], s[34:35] op_sel:[0,1]
	buffer_store_dword v2, off, s[0:3], s32 offset:416 ; 4-byte Folded Spill
	s_nop 0
	buffer_store_dword v3, off, s[0:3], s32 offset:420 ; 4-byte Folded Spill
	s_and_saveexec_b64 s[40:41], vcc
	s_cbranch_execz .LBB239_158
; %bb.157:                              ;   in Loop: Header=BB239_13 Depth=1
	v_mov_b32_e32 v2, 7
	v_and_b32_sdwa v4, v0, v2 dst_sel:DWORD dst_unused:UNUSED_PAD src0_sel:BYTE_1 src1_sel:DWORD
	v_lshrrev_b32_e32 v6, 3, v1
	v_cmp_gt_u32_e32 vcc, 8, v1
	v_ffbh_u32_e32 v1, v4
	v_min_u32_e32 v1, 32, v1
	v_subrev_u32_e32 v2, 28, v1
	v_lshlrev_b64 v[2:3], v2, v[4:5]
	v_sub_u32_e32 v1, 29, v1
	v_and_b32_e32 v2, 7, v2
	v_cndmask_b32_e32 v1, v6, v1, vcc
	v_bfrev_b32_e32 v3, 60
	v_cndmask_b32_e32 v2, v4, v2, vcc
	v_lshlrev_b32_e32 v0, 16, v0
	v_lshl_add_u32 v1, v1, 23, v3
	v_and_or_b32 v0, v0, s27, v1
	v_lshlrev_b32_e32 v1, 20, v2
	v_or_b32_e32 v1, v0, v1
	v_mov_b32_e32 v0, v5
	buffer_store_dword v0, off, s[0:3], s32 offset:416 ; 4-byte Folded Spill
	s_nop 0
	buffer_store_dword v1, off, s[0:3], s32 offset:420 ; 4-byte Folded Spill
.LBB239_158:                            ;   in Loop: Header=BB239_13 Depth=1
	s_or_b64 exec, exec, s[40:41]
.LBB239_159:                            ;   in Loop: Header=BB239_13 Depth=1
	s_or_b64 exec, exec, s[38:39]
.LBB239_160:                            ;   in Loop: Header=BB239_13 Depth=1
	s_or_b64 exec, exec, s[36:37]
	flat_load_ushort v1, v[16:17] offset:1536
	v_pk_mov_b32 v[2:3], 0, 0
	buffer_store_dword v2, off, s[0:3], s32 offset:432 ; 4-byte Folded Spill
	s_nop 0
	buffer_store_dword v3, off, s[0:3], s32 offset:436 ; 4-byte Folded Spill
	buffer_store_dword v2, off, s[0:3], s32 offset:424 ; 4-byte Folded Spill
	s_nop 0
	buffer_store_dword v3, off, s[0:3], s32 offset:428 ; 4-byte Folded Spill
	s_waitcnt vmcnt(0) lgkmcnt(0)
	v_and_b32_e32 v0, 0xffff, v1
	v_cmp_ne_u16_sdwa vcc, v1, v5 src0_sel:BYTE_0 src1_sel:DWORD
	s_and_saveexec_b64 s[36:37], vcc
	s_cbranch_execz .LBB239_166
; %bb.161:                              ;   in Loop: Header=BB239_13 Depth=1
	v_bfrev_b32_e32 v2, 1
	v_cmp_ne_u16_sdwa vcc, v0, s43 src0_sel:BYTE_0 src1_sel:DWORD
	v_mov_b32_e32 v3, 0
	buffer_store_dword v2, off, s[0:3], s32 offset:424 ; 4-byte Folded Spill
	s_nop 0
	buffer_store_dword v3, off, s[0:3], s32 offset:428 ; 4-byte Folded Spill
	s_and_saveexec_b64 s[38:39], vcc
	s_cbranch_execz .LBB239_165
; %bb.162:                              ;   in Loop: Header=BB239_13 Depth=1
	v_and_b32_e32 v1, 0x7f, v0
	v_mov_b32_e32 v2, 0x7f800001
	v_cmp_ne_u32_e32 vcc, s44, v1
	v_mov_b32_e32 v3, 0
	buffer_store_dword v2, off, s[0:3], s32 offset:424 ; 4-byte Folded Spill
	s_nop 0
	buffer_store_dword v3, off, s[0:3], s32 offset:428 ; 4-byte Folded Spill
	s_and_saveexec_b64 s[40:41], vcc
	s_cbranch_execz .LBB239_164
; %bb.163:                              ;   in Loop: Header=BB239_13 Depth=1
	v_and_b32_e32 v4, 7, v0
	v_lshrrev_b32_e32 v6, 3, v1
	v_cmp_gt_u32_e32 vcc, 8, v1
	v_ffbh_u32_e32 v1, v4
	v_min_u32_e32 v1, 32, v1
	v_subrev_u32_e32 v2, 28, v1
	v_lshlrev_b64 v[2:3], v2, v[0:1]
	v_sub_u32_e32 v1, 29, v1
	v_and_b32_e32 v2, 7, v2
	v_cndmask_b32_e32 v1, v6, v1, vcc
	v_cndmask_b32_e32 v2, v4, v2, vcc
	v_bfrev_b32_e32 v4, 60
	v_lshlrev_b32_e32 v2, 20, v2
	v_and_b32_sdwa v3, sext(v0), s27 dst_sel:DWORD dst_unused:UNUSED_PAD src0_sel:BYTE_0 src1_sel:DWORD
	v_lshl_add_u32 v1, v1, 23, v4
	v_or3_b32 v4, v3, v1, v2
	buffer_store_dword v4, off, s[0:3], s32 offset:424 ; 4-byte Folded Spill
	s_nop 0
	buffer_store_dword v5, off, s[0:3], s32 offset:428 ; 4-byte Folded Spill
.LBB239_164:                            ;   in Loop: Header=BB239_13 Depth=1
	s_or_b64 exec, exec, s[40:41]
.LBB239_165:                            ;   in Loop: Header=BB239_13 Depth=1
	s_or_b64 exec, exec, s[38:39]
.LBB239_166:                            ;   in Loop: Header=BB239_13 Depth=1
	s_or_b64 exec, exec, s[36:37]
	v_cmp_ne_u16_sdwa vcc, v0, v5 src0_sel:BYTE_1 src1_sel:DWORD
	s_and_saveexec_b64 s[36:37], vcc
	s_cbranch_execz .LBB239_172
; %bb.167:                              ;   in Loop: Header=BB239_13 Depth=1
	v_cmp_ne_u16_sdwa vcc, v0, s43 src0_sel:BYTE_1 src1_sel:DWORD
	v_pk_mov_b32 v[2:3], s[26:27], s[26:27] op_sel:[0,1]
	buffer_store_dword v2, off, s[0:3], s32 offset:432 ; 4-byte Folded Spill
	s_nop 0
	buffer_store_dword v3, off, s[0:3], s32 offset:436 ; 4-byte Folded Spill
	s_and_saveexec_b64 s[38:39], vcc
	s_cbranch_execz .LBB239_171
; %bb.168:                              ;   in Loop: Header=BB239_13 Depth=1
	v_and_b32_sdwa v1, v0, s44 dst_sel:DWORD dst_unused:UNUSED_PAD src0_sel:BYTE_1 src1_sel:DWORD
	s_mov_b32 s34, s26
	v_cmp_ne_u32_e32 vcc, s44, v1
	v_pk_mov_b32 v[2:3], s[34:35], s[34:35] op_sel:[0,1]
	buffer_store_dword v2, off, s[0:3], s32 offset:432 ; 4-byte Folded Spill
	s_nop 0
	buffer_store_dword v3, off, s[0:3], s32 offset:436 ; 4-byte Folded Spill
	s_and_saveexec_b64 s[40:41], vcc
	s_cbranch_execz .LBB239_170
; %bb.169:                              ;   in Loop: Header=BB239_13 Depth=1
	v_mov_b32_e32 v2, 7
	v_and_b32_sdwa v4, v0, v2 dst_sel:DWORD dst_unused:UNUSED_PAD src0_sel:BYTE_1 src1_sel:DWORD
	v_lshrrev_b32_e32 v6, 3, v1
	v_cmp_gt_u32_e32 vcc, 8, v1
	v_ffbh_u32_e32 v1, v4
	v_min_u32_e32 v1, 32, v1
	v_subrev_u32_e32 v2, 28, v1
	v_lshlrev_b64 v[2:3], v2, v[4:5]
	v_sub_u32_e32 v1, 29, v1
	v_and_b32_e32 v2, 7, v2
	v_cndmask_b32_e32 v1, v6, v1, vcc
	v_bfrev_b32_e32 v3, 60
	v_cndmask_b32_e32 v2, v4, v2, vcc
	v_lshlrev_b32_e32 v0, 16, v0
	v_lshl_add_u32 v1, v1, 23, v3
	v_and_or_b32 v0, v0, s27, v1
	v_lshlrev_b32_e32 v1, 20, v2
	v_or_b32_e32 v1, v0, v1
	v_mov_b32_e32 v0, v5
	buffer_store_dword v0, off, s[0:3], s32 offset:432 ; 4-byte Folded Spill
	s_nop 0
	buffer_store_dword v1, off, s[0:3], s32 offset:436 ; 4-byte Folded Spill
.LBB239_170:                            ;   in Loop: Header=BB239_13 Depth=1
	s_or_b64 exec, exec, s[40:41]
.LBB239_171:                            ;   in Loop: Header=BB239_13 Depth=1
	s_or_b64 exec, exec, s[38:39]
.LBB239_172:                            ;   in Loop: Header=BB239_13 Depth=1
	s_or_b64 exec, exec, s[36:37]
	flat_load_ushort v1, v[16:17] offset:1540
	v_pk_mov_b32 v[2:3], 0, 0
	buffer_store_dword v2, off, s[0:3], s32 offset:448 ; 4-byte Folded Spill
	s_nop 0
	buffer_store_dword v3, off, s[0:3], s32 offset:452 ; 4-byte Folded Spill
	buffer_store_dword v2, off, s[0:3], s32 offset:440 ; 4-byte Folded Spill
	s_nop 0
	buffer_store_dword v3, off, s[0:3], s32 offset:444 ; 4-byte Folded Spill
	s_waitcnt vmcnt(0) lgkmcnt(0)
	v_and_b32_e32 v0, 0xffff, v1
	v_cmp_ne_u16_sdwa vcc, v1, v5 src0_sel:BYTE_0 src1_sel:DWORD
	s_and_saveexec_b64 s[36:37], vcc
	s_cbranch_execz .LBB239_178
; %bb.173:                              ;   in Loop: Header=BB239_13 Depth=1
	v_bfrev_b32_e32 v2, 1
	v_cmp_ne_u16_sdwa vcc, v0, s43 src0_sel:BYTE_0 src1_sel:DWORD
	v_mov_b32_e32 v3, 0
	buffer_store_dword v2, off, s[0:3], s32 offset:440 ; 4-byte Folded Spill
	s_nop 0
	buffer_store_dword v3, off, s[0:3], s32 offset:444 ; 4-byte Folded Spill
	s_and_saveexec_b64 s[38:39], vcc
	s_cbranch_execz .LBB239_177
; %bb.174:                              ;   in Loop: Header=BB239_13 Depth=1
	v_and_b32_e32 v1, 0x7f, v0
	v_mov_b32_e32 v2, 0x7f800001
	v_cmp_ne_u32_e32 vcc, s44, v1
	v_mov_b32_e32 v3, 0
	buffer_store_dword v2, off, s[0:3], s32 offset:440 ; 4-byte Folded Spill
	s_nop 0
	buffer_store_dword v3, off, s[0:3], s32 offset:444 ; 4-byte Folded Spill
	s_and_saveexec_b64 s[40:41], vcc
	s_cbranch_execz .LBB239_176
; %bb.175:                              ;   in Loop: Header=BB239_13 Depth=1
	v_and_b32_e32 v4, 7, v0
	v_lshrrev_b32_e32 v6, 3, v1
	v_cmp_gt_u32_e32 vcc, 8, v1
	v_ffbh_u32_e32 v1, v4
	v_min_u32_e32 v1, 32, v1
	v_subrev_u32_e32 v2, 28, v1
	v_lshlrev_b64 v[2:3], v2, v[0:1]
	v_sub_u32_e32 v1, 29, v1
	v_and_b32_e32 v2, 7, v2
	v_cndmask_b32_e32 v1, v6, v1, vcc
	v_cndmask_b32_e32 v2, v4, v2, vcc
	v_bfrev_b32_e32 v4, 60
	v_lshlrev_b32_e32 v2, 20, v2
	v_and_b32_sdwa v3, sext(v0), s27 dst_sel:DWORD dst_unused:UNUSED_PAD src0_sel:BYTE_0 src1_sel:DWORD
	v_lshl_add_u32 v1, v1, 23, v4
	v_or3_b32 v4, v3, v1, v2
	buffer_store_dword v4, off, s[0:3], s32 offset:440 ; 4-byte Folded Spill
	s_nop 0
	buffer_store_dword v5, off, s[0:3], s32 offset:444 ; 4-byte Folded Spill
.LBB239_176:                            ;   in Loop: Header=BB239_13 Depth=1
	s_or_b64 exec, exec, s[40:41]
.LBB239_177:                            ;   in Loop: Header=BB239_13 Depth=1
	s_or_b64 exec, exec, s[38:39]
.LBB239_178:                            ;   in Loop: Header=BB239_13 Depth=1
	s_or_b64 exec, exec, s[36:37]
	v_cmp_ne_u16_sdwa vcc, v0, v5 src0_sel:BYTE_1 src1_sel:DWORD
	s_and_saveexec_b64 s[36:37], vcc
	s_cbranch_execz .LBB239_184
; %bb.179:                              ;   in Loop: Header=BB239_13 Depth=1
	v_cmp_ne_u16_sdwa vcc, v0, s43 src0_sel:BYTE_1 src1_sel:DWORD
	v_pk_mov_b32 v[2:3], s[26:27], s[26:27] op_sel:[0,1]
	buffer_store_dword v2, off, s[0:3], s32 offset:448 ; 4-byte Folded Spill
	s_nop 0
	buffer_store_dword v3, off, s[0:3], s32 offset:452 ; 4-byte Folded Spill
	s_and_saveexec_b64 s[38:39], vcc
	s_cbranch_execz .LBB239_183
; %bb.180:                              ;   in Loop: Header=BB239_13 Depth=1
	v_and_b32_sdwa v1, v0, s44 dst_sel:DWORD dst_unused:UNUSED_PAD src0_sel:BYTE_1 src1_sel:DWORD
	s_mov_b32 s34, s26
	v_cmp_ne_u32_e32 vcc, s44, v1
	v_pk_mov_b32 v[2:3], s[34:35], s[34:35] op_sel:[0,1]
	buffer_store_dword v2, off, s[0:3], s32 offset:448 ; 4-byte Folded Spill
	s_nop 0
	buffer_store_dword v3, off, s[0:3], s32 offset:452 ; 4-byte Folded Spill
	s_and_saveexec_b64 s[40:41], vcc
	s_cbranch_execz .LBB239_182
; %bb.181:                              ;   in Loop: Header=BB239_13 Depth=1
	v_mov_b32_e32 v2, 7
	v_and_b32_sdwa v4, v0, v2 dst_sel:DWORD dst_unused:UNUSED_PAD src0_sel:BYTE_1 src1_sel:DWORD
	v_lshrrev_b32_e32 v6, 3, v1
	v_cmp_gt_u32_e32 vcc, 8, v1
	v_ffbh_u32_e32 v1, v4
	v_min_u32_e32 v1, 32, v1
	v_subrev_u32_e32 v2, 28, v1
	v_lshlrev_b64 v[2:3], v2, v[4:5]
	v_sub_u32_e32 v1, 29, v1
	v_and_b32_e32 v2, 7, v2
	v_cndmask_b32_e32 v1, v6, v1, vcc
	v_bfrev_b32_e32 v3, 60
	v_cndmask_b32_e32 v2, v4, v2, vcc
	v_lshlrev_b32_e32 v0, 16, v0
	v_lshl_add_u32 v1, v1, 23, v3
	v_and_or_b32 v0, v0, s27, v1
	v_lshlrev_b32_e32 v1, 20, v2
	v_or_b32_e32 v1, v0, v1
	v_mov_b32_e32 v0, v5
	buffer_store_dword v0, off, s[0:3], s32 offset:448 ; 4-byte Folded Spill
	s_nop 0
	buffer_store_dword v1, off, s[0:3], s32 offset:452 ; 4-byte Folded Spill
.LBB239_182:                            ;   in Loop: Header=BB239_13 Depth=1
	s_or_b64 exec, exec, s[40:41]
.LBB239_183:                            ;   in Loop: Header=BB239_13 Depth=1
	s_or_b64 exec, exec, s[38:39]
.LBB239_184:                            ;   in Loop: Header=BB239_13 Depth=1
	s_or_b64 exec, exec, s[36:37]
	v_add_co_u32_e32 v0, vcc, 0x600, v16
	v_addc_co_u32_e32 v1, vcc, 0, v17, vcc
	flat_load_ushort v3, v[0:1] offset:8
	v_pk_mov_b32 v[6:7], 0, 0
	buffer_store_dword v6, off, s[0:3], s32 offset:464 ; 4-byte Folded Spill
	s_nop 0
	buffer_store_dword v7, off, s[0:3], s32 offset:468 ; 4-byte Folded Spill
	buffer_store_dword v6, off, s[0:3], s32 offset:456 ; 4-byte Folded Spill
	s_nop 0
	buffer_store_dword v7, off, s[0:3], s32 offset:460 ; 4-byte Folded Spill
	s_waitcnt vmcnt(0) lgkmcnt(0)
	v_and_b32_e32 v2, 0xffff, v3
	v_cmp_ne_u16_sdwa vcc, v3, v5 src0_sel:BYTE_0 src1_sel:DWORD
	s_and_saveexec_b64 s[36:37], vcc
	s_cbranch_execz .LBB239_190
; %bb.185:                              ;   in Loop: Header=BB239_13 Depth=1
	v_bfrev_b32_e32 v6, 1
	v_cmp_ne_u16_sdwa vcc, v2, s43 src0_sel:BYTE_0 src1_sel:DWORD
	v_mov_b32_e32 v7, 0
	buffer_store_dword v6, off, s[0:3], s32 offset:456 ; 4-byte Folded Spill
	s_nop 0
	buffer_store_dword v7, off, s[0:3], s32 offset:460 ; 4-byte Folded Spill
	s_and_saveexec_b64 s[38:39], vcc
	s_cbranch_execz .LBB239_189
; %bb.186:                              ;   in Loop: Header=BB239_13 Depth=1
	v_and_b32_e32 v3, 0x7f, v2
	v_mov_b32_e32 v6, 0x7f800001
	v_cmp_ne_u32_e32 vcc, s44, v3
	v_mov_b32_e32 v7, 0
	buffer_store_dword v6, off, s[0:3], s32 offset:456 ; 4-byte Folded Spill
	s_nop 0
	buffer_store_dword v7, off, s[0:3], s32 offset:460 ; 4-byte Folded Spill
	s_and_saveexec_b64 s[40:41], vcc
	s_cbranch_execz .LBB239_188
; %bb.187:                              ;   in Loop: Header=BB239_13 Depth=1
	v_and_b32_e32 v4, 7, v2
	v_lshrrev_b32_e32 v8, 3, v3
	v_cmp_gt_u32_e32 vcc, 8, v3
	v_ffbh_u32_e32 v3, v4
	v_min_u32_e32 v3, 32, v3
	v_subrev_u32_e32 v6, 28, v3
	v_lshlrev_b64 v[6:7], v6, v[2:3]
	v_sub_u32_e32 v3, 29, v3
	v_and_b32_e32 v6, 7, v6
	v_cndmask_b32_e32 v3, v8, v3, vcc
	v_cndmask_b32_e32 v4, v4, v6, vcc
	v_bfrev_b32_e32 v7, 60
	v_lshlrev_b32_e32 v4, 20, v4
	v_and_b32_sdwa v6, sext(v2), s27 dst_sel:DWORD dst_unused:UNUSED_PAD src0_sel:BYTE_0 src1_sel:DWORD
	v_lshl_add_u32 v3, v3, 23, v7
	v_or3_b32 v4, v6, v3, v4
	buffer_store_dword v4, off, s[0:3], s32 offset:456 ; 4-byte Folded Spill
	s_nop 0
	buffer_store_dword v5, off, s[0:3], s32 offset:460 ; 4-byte Folded Spill
.LBB239_188:                            ;   in Loop: Header=BB239_13 Depth=1
	s_or_b64 exec, exec, s[40:41]
.LBB239_189:                            ;   in Loop: Header=BB239_13 Depth=1
	s_or_b64 exec, exec, s[38:39]
.LBB239_190:                            ;   in Loop: Header=BB239_13 Depth=1
	s_or_b64 exec, exec, s[36:37]
	v_cmp_ne_u16_sdwa vcc, v2, v5 src0_sel:BYTE_1 src1_sel:DWORD
	s_and_saveexec_b64 s[36:37], vcc
	s_cbranch_execz .LBB239_196
; %bb.191:                              ;   in Loop: Header=BB239_13 Depth=1
	v_cmp_ne_u16_sdwa vcc, v2, s43 src0_sel:BYTE_1 src1_sel:DWORD
	v_pk_mov_b32 v[6:7], s[26:27], s[26:27] op_sel:[0,1]
	buffer_store_dword v6, off, s[0:3], s32 offset:464 ; 4-byte Folded Spill
	s_nop 0
	buffer_store_dword v7, off, s[0:3], s32 offset:468 ; 4-byte Folded Spill
	s_and_saveexec_b64 s[38:39], vcc
	s_cbranch_execz .LBB239_195
; %bb.192:                              ;   in Loop: Header=BB239_13 Depth=1
	v_and_b32_sdwa v3, v2, s44 dst_sel:DWORD dst_unused:UNUSED_PAD src0_sel:BYTE_1 src1_sel:DWORD
	s_mov_b32 s34, s26
	v_cmp_ne_u32_e32 vcc, s44, v3
	v_pk_mov_b32 v[6:7], s[34:35], s[34:35] op_sel:[0,1]
	buffer_store_dword v6, off, s[0:3], s32 offset:464 ; 4-byte Folded Spill
	s_nop 0
	buffer_store_dword v7, off, s[0:3], s32 offset:468 ; 4-byte Folded Spill
	s_and_saveexec_b64 s[40:41], vcc
	s_cbranch_execz .LBB239_194
; %bb.193:                              ;   in Loop: Header=BB239_13 Depth=1
	v_mov_b32_e32 v4, 7
	v_and_b32_sdwa v4, v2, v4 dst_sel:DWORD dst_unused:UNUSED_PAD src0_sel:BYTE_1 src1_sel:DWORD
	v_lshrrev_b32_e32 v8, 3, v3
	v_cmp_gt_u32_e32 vcc, 8, v3
	v_ffbh_u32_e32 v3, v4
	v_min_u32_e32 v3, 32, v3
	v_subrev_u32_e32 v6, 28, v3
	v_lshlrev_b64 v[6:7], v6, v[4:5]
	v_sub_u32_e32 v3, 29, v3
	v_and_b32_e32 v6, 7, v6
	v_cndmask_b32_e32 v3, v8, v3, vcc
	v_cndmask_b32_e32 v4, v4, v6, vcc
	v_bfrev_b32_e32 v6, 60
	v_lshlrev_b32_e32 v2, 16, v2
	v_lshl_add_u32 v3, v3, 23, v6
	v_and_or_b32 v2, v2, s27, v3
	v_lshlrev_b32_e32 v3, 20, v4
	v_or_b32_e32 v3, v2, v3
	v_mov_b32_e32 v2, v5
	buffer_store_dword v2, off, s[0:3], s32 offset:464 ; 4-byte Folded Spill
	s_nop 0
	buffer_store_dword v3, off, s[0:3], s32 offset:468 ; 4-byte Folded Spill
.LBB239_194:                            ;   in Loop: Header=BB239_13 Depth=1
	s_or_b64 exec, exec, s[40:41]
.LBB239_195:                            ;   in Loop: Header=BB239_13 Depth=1
	s_or_b64 exec, exec, s[38:39]
.LBB239_196:                            ;   in Loop: Header=BB239_13 Depth=1
	s_or_b64 exec, exec, s[36:37]
	flat_load_ushort v1, v[0:1] offset:12
	v_pk_mov_b32 v[2:3], 0, 0
	buffer_store_dword v2, off, s[0:3], s32 offset:480 ; 4-byte Folded Spill
	s_nop 0
	buffer_store_dword v3, off, s[0:3], s32 offset:484 ; 4-byte Folded Spill
	buffer_store_dword v2, off, s[0:3], s32 offset:472 ; 4-byte Folded Spill
	s_nop 0
	buffer_store_dword v3, off, s[0:3], s32 offset:476 ; 4-byte Folded Spill
	s_waitcnt vmcnt(0) lgkmcnt(0)
	v_and_b32_e32 v0, 0xffff, v1
	v_cmp_ne_u16_sdwa vcc, v1, v5 src0_sel:BYTE_0 src1_sel:DWORD
	s_and_saveexec_b64 s[36:37], vcc
	s_cbranch_execz .LBB239_202
; %bb.197:                              ;   in Loop: Header=BB239_13 Depth=1
	v_bfrev_b32_e32 v2, 1
	v_cmp_ne_u16_sdwa vcc, v0, s43 src0_sel:BYTE_0 src1_sel:DWORD
	v_mov_b32_e32 v3, 0
	buffer_store_dword v2, off, s[0:3], s32 offset:472 ; 4-byte Folded Spill
	s_nop 0
	buffer_store_dword v3, off, s[0:3], s32 offset:476 ; 4-byte Folded Spill
	s_and_saveexec_b64 s[38:39], vcc
	s_cbranch_execz .LBB239_201
; %bb.198:                              ;   in Loop: Header=BB239_13 Depth=1
	v_and_b32_e32 v1, 0x7f, v0
	v_mov_b32_e32 v2, 0x7f800001
	v_cmp_ne_u32_e32 vcc, s44, v1
	v_mov_b32_e32 v3, 0
	buffer_store_dword v2, off, s[0:3], s32 offset:472 ; 4-byte Folded Spill
	s_nop 0
	buffer_store_dword v3, off, s[0:3], s32 offset:476 ; 4-byte Folded Spill
	s_and_saveexec_b64 s[40:41], vcc
	s_cbranch_execz .LBB239_200
; %bb.199:                              ;   in Loop: Header=BB239_13 Depth=1
	v_and_b32_e32 v4, 7, v0
	v_lshrrev_b32_e32 v6, 3, v1
	v_cmp_gt_u32_e32 vcc, 8, v1
	v_ffbh_u32_e32 v1, v4
	v_min_u32_e32 v1, 32, v1
	v_subrev_u32_e32 v2, 28, v1
	v_lshlrev_b64 v[2:3], v2, v[0:1]
	v_sub_u32_e32 v1, 29, v1
	v_and_b32_e32 v2, 7, v2
	v_cndmask_b32_e32 v1, v6, v1, vcc
	v_cndmask_b32_e32 v2, v4, v2, vcc
	v_bfrev_b32_e32 v4, 60
	v_lshlrev_b32_e32 v2, 20, v2
	v_and_b32_sdwa v3, sext(v0), s27 dst_sel:DWORD dst_unused:UNUSED_PAD src0_sel:BYTE_0 src1_sel:DWORD
	v_lshl_add_u32 v1, v1, 23, v4
	v_or3_b32 v4, v3, v1, v2
	buffer_store_dword v4, off, s[0:3], s32 offset:472 ; 4-byte Folded Spill
	s_nop 0
	buffer_store_dword v5, off, s[0:3], s32 offset:476 ; 4-byte Folded Spill
.LBB239_200:                            ;   in Loop: Header=BB239_13 Depth=1
	s_or_b64 exec, exec, s[40:41]
.LBB239_201:                            ;   in Loop: Header=BB239_13 Depth=1
	s_or_b64 exec, exec, s[38:39]
.LBB239_202:                            ;   in Loop: Header=BB239_13 Depth=1
	s_or_b64 exec, exec, s[36:37]
	v_cmp_ne_u16_sdwa vcc, v0, v5 src0_sel:BYTE_1 src1_sel:DWORD
	s_and_saveexec_b64 s[36:37], vcc
	s_cbranch_execz .LBB239_208
; %bb.203:                              ;   in Loop: Header=BB239_13 Depth=1
	v_cmp_ne_u16_sdwa vcc, v0, s43 src0_sel:BYTE_1 src1_sel:DWORD
	v_pk_mov_b32 v[2:3], s[26:27], s[26:27] op_sel:[0,1]
	buffer_store_dword v2, off, s[0:3], s32 offset:480 ; 4-byte Folded Spill
	s_nop 0
	buffer_store_dword v3, off, s[0:3], s32 offset:484 ; 4-byte Folded Spill
	s_and_saveexec_b64 s[38:39], vcc
	s_cbranch_execz .LBB239_207
; %bb.204:                              ;   in Loop: Header=BB239_13 Depth=1
	v_and_b32_sdwa v1, v0, s44 dst_sel:DWORD dst_unused:UNUSED_PAD src0_sel:BYTE_1 src1_sel:DWORD
	s_mov_b32 s34, s26
	v_cmp_ne_u32_e32 vcc, s44, v1
	v_pk_mov_b32 v[2:3], s[34:35], s[34:35] op_sel:[0,1]
	buffer_store_dword v2, off, s[0:3], s32 offset:480 ; 4-byte Folded Spill
	s_nop 0
	buffer_store_dword v3, off, s[0:3], s32 offset:484 ; 4-byte Folded Spill
	s_and_saveexec_b64 s[40:41], vcc
	s_cbranch_execz .LBB239_206
; %bb.205:                              ;   in Loop: Header=BB239_13 Depth=1
	v_mov_b32_e32 v2, 7
	v_and_b32_sdwa v4, v0, v2 dst_sel:DWORD dst_unused:UNUSED_PAD src0_sel:BYTE_1 src1_sel:DWORD
	v_lshrrev_b32_e32 v6, 3, v1
	v_cmp_gt_u32_e32 vcc, 8, v1
	v_ffbh_u32_e32 v1, v4
	v_min_u32_e32 v1, 32, v1
	v_subrev_u32_e32 v2, 28, v1
	v_lshlrev_b64 v[2:3], v2, v[4:5]
	v_sub_u32_e32 v1, 29, v1
	v_and_b32_e32 v2, 7, v2
	v_cndmask_b32_e32 v1, v6, v1, vcc
	v_bfrev_b32_e32 v3, 60
	v_cndmask_b32_e32 v2, v4, v2, vcc
	v_lshlrev_b32_e32 v0, 16, v0
	v_lshl_add_u32 v1, v1, 23, v3
	v_and_or_b32 v0, v0, s27, v1
	v_lshlrev_b32_e32 v1, 20, v2
	v_or_b32_e32 v1, v0, v1
	v_mov_b32_e32 v0, v5
	buffer_store_dword v0, off, s[0:3], s32 offset:480 ; 4-byte Folded Spill
	s_nop 0
	buffer_store_dword v1, off, s[0:3], s32 offset:484 ; 4-byte Folded Spill
.LBB239_206:                            ;   in Loop: Header=BB239_13 Depth=1
	s_or_b64 exec, exec, s[40:41]
.LBB239_207:                            ;   in Loop: Header=BB239_13 Depth=1
	s_or_b64 exec, exec, s[38:39]
.LBB239_208:                            ;   in Loop: Header=BB239_13 Depth=1
	s_or_b64 exec, exec, s[36:37]
	flat_load_ushort v1, v[16:17] offset:2048
	v_pk_mov_b32 v[2:3], 0, 0
	buffer_store_dword v2, off, s[0:3], s32 offset:496 ; 4-byte Folded Spill
	s_nop 0
	buffer_store_dword v3, off, s[0:3], s32 offset:500 ; 4-byte Folded Spill
	buffer_store_dword v2, off, s[0:3], s32 offset:488 ; 4-byte Folded Spill
	s_nop 0
	buffer_store_dword v3, off, s[0:3], s32 offset:492 ; 4-byte Folded Spill
	s_waitcnt vmcnt(0) lgkmcnt(0)
	v_and_b32_e32 v0, 0xffff, v1
	v_cmp_ne_u16_sdwa vcc, v1, v5 src0_sel:BYTE_0 src1_sel:DWORD
	s_and_saveexec_b64 s[36:37], vcc
	s_cbranch_execz .LBB239_214
; %bb.209:                              ;   in Loop: Header=BB239_13 Depth=1
	v_bfrev_b32_e32 v2, 1
	v_cmp_ne_u16_sdwa vcc, v0, s43 src0_sel:BYTE_0 src1_sel:DWORD
	v_mov_b32_e32 v3, 0
	buffer_store_dword v2, off, s[0:3], s32 offset:488 ; 4-byte Folded Spill
	s_nop 0
	buffer_store_dword v3, off, s[0:3], s32 offset:492 ; 4-byte Folded Spill
	s_and_saveexec_b64 s[38:39], vcc
	s_cbranch_execz .LBB239_213
; %bb.210:                              ;   in Loop: Header=BB239_13 Depth=1
	v_and_b32_e32 v1, 0x7f, v0
	v_mov_b32_e32 v2, 0x7f800001
	v_cmp_ne_u32_e32 vcc, s44, v1
	v_mov_b32_e32 v3, 0
	buffer_store_dword v2, off, s[0:3], s32 offset:488 ; 4-byte Folded Spill
	s_nop 0
	buffer_store_dword v3, off, s[0:3], s32 offset:492 ; 4-byte Folded Spill
	s_and_saveexec_b64 s[40:41], vcc
	s_cbranch_execz .LBB239_212
; %bb.211:                              ;   in Loop: Header=BB239_13 Depth=1
	v_and_b32_e32 v4, 7, v0
	v_lshrrev_b32_e32 v6, 3, v1
	v_cmp_gt_u32_e32 vcc, 8, v1
	v_ffbh_u32_e32 v1, v4
	v_min_u32_e32 v1, 32, v1
	v_subrev_u32_e32 v2, 28, v1
	v_lshlrev_b64 v[2:3], v2, v[0:1]
	v_sub_u32_e32 v1, 29, v1
	v_and_b32_e32 v2, 7, v2
	v_cndmask_b32_e32 v1, v6, v1, vcc
	v_cndmask_b32_e32 v2, v4, v2, vcc
	v_bfrev_b32_e32 v4, 60
	v_lshlrev_b32_e32 v2, 20, v2
	v_and_b32_sdwa v3, sext(v0), s27 dst_sel:DWORD dst_unused:UNUSED_PAD src0_sel:BYTE_0 src1_sel:DWORD
	v_lshl_add_u32 v1, v1, 23, v4
	v_or3_b32 v4, v3, v1, v2
	buffer_store_dword v4, off, s[0:3], s32 offset:488 ; 4-byte Folded Spill
	s_nop 0
	buffer_store_dword v5, off, s[0:3], s32 offset:492 ; 4-byte Folded Spill
.LBB239_212:                            ;   in Loop: Header=BB239_13 Depth=1
	s_or_b64 exec, exec, s[40:41]
.LBB239_213:                            ;   in Loop: Header=BB239_13 Depth=1
	s_or_b64 exec, exec, s[38:39]
.LBB239_214:                            ;   in Loop: Header=BB239_13 Depth=1
	s_or_b64 exec, exec, s[36:37]
	v_cmp_ne_u16_sdwa vcc, v0, v5 src0_sel:BYTE_1 src1_sel:DWORD
	s_and_saveexec_b64 s[36:37], vcc
	s_cbranch_execz .LBB239_220
; %bb.215:                              ;   in Loop: Header=BB239_13 Depth=1
	v_cmp_ne_u16_sdwa vcc, v0, s43 src0_sel:BYTE_1 src1_sel:DWORD
	v_pk_mov_b32 v[2:3], s[26:27], s[26:27] op_sel:[0,1]
	buffer_store_dword v2, off, s[0:3], s32 offset:496 ; 4-byte Folded Spill
	s_nop 0
	buffer_store_dword v3, off, s[0:3], s32 offset:500 ; 4-byte Folded Spill
	s_and_saveexec_b64 s[38:39], vcc
	s_cbranch_execz .LBB239_219
; %bb.216:                              ;   in Loop: Header=BB239_13 Depth=1
	v_and_b32_sdwa v1, v0, s44 dst_sel:DWORD dst_unused:UNUSED_PAD src0_sel:BYTE_1 src1_sel:DWORD
	s_mov_b32 s34, s26
	v_cmp_ne_u32_e32 vcc, s44, v1
	v_pk_mov_b32 v[2:3], s[34:35], s[34:35] op_sel:[0,1]
	buffer_store_dword v2, off, s[0:3], s32 offset:496 ; 4-byte Folded Spill
	s_nop 0
	buffer_store_dword v3, off, s[0:3], s32 offset:500 ; 4-byte Folded Spill
	s_and_saveexec_b64 s[40:41], vcc
	s_cbranch_execz .LBB239_218
; %bb.217:                              ;   in Loop: Header=BB239_13 Depth=1
	v_mov_b32_e32 v2, 7
	v_and_b32_sdwa v4, v0, v2 dst_sel:DWORD dst_unused:UNUSED_PAD src0_sel:BYTE_1 src1_sel:DWORD
	v_lshrrev_b32_e32 v6, 3, v1
	v_cmp_gt_u32_e32 vcc, 8, v1
	v_ffbh_u32_e32 v1, v4
	v_min_u32_e32 v1, 32, v1
	v_subrev_u32_e32 v2, 28, v1
	v_lshlrev_b64 v[2:3], v2, v[4:5]
	v_sub_u32_e32 v1, 29, v1
	v_and_b32_e32 v2, 7, v2
	v_cndmask_b32_e32 v1, v6, v1, vcc
	v_bfrev_b32_e32 v3, 60
	v_cndmask_b32_e32 v2, v4, v2, vcc
	v_lshlrev_b32_e32 v0, 16, v0
	v_lshl_add_u32 v1, v1, 23, v3
	v_and_or_b32 v0, v0, s27, v1
	v_lshlrev_b32_e32 v1, 20, v2
	v_or_b32_e32 v1, v0, v1
	v_mov_b32_e32 v0, v5
	buffer_store_dword v0, off, s[0:3], s32 offset:496 ; 4-byte Folded Spill
	s_nop 0
	buffer_store_dword v1, off, s[0:3], s32 offset:500 ; 4-byte Folded Spill
.LBB239_218:                            ;   in Loop: Header=BB239_13 Depth=1
	s_or_b64 exec, exec, s[40:41]
.LBB239_219:                            ;   in Loop: Header=BB239_13 Depth=1
	s_or_b64 exec, exec, s[38:39]
.LBB239_220:                            ;   in Loop: Header=BB239_13 Depth=1
	s_or_b64 exec, exec, s[36:37]
	flat_load_ushort v1, v[16:17] offset:2052
	v_pk_mov_b32 v[2:3], 0, 0
	buffer_store_dword v2, off, s[0:3], s32 offset:512 ; 4-byte Folded Spill
	s_nop 0
	buffer_store_dword v3, off, s[0:3], s32 offset:516 ; 4-byte Folded Spill
	buffer_store_dword v2, off, s[0:3], s32 offset:504 ; 4-byte Folded Spill
	s_nop 0
	buffer_store_dword v3, off, s[0:3], s32 offset:508 ; 4-byte Folded Spill
	s_waitcnt vmcnt(0) lgkmcnt(0)
	v_and_b32_e32 v0, 0xffff, v1
	v_cmp_ne_u16_sdwa vcc, v1, v5 src0_sel:BYTE_0 src1_sel:DWORD
	s_and_saveexec_b64 s[36:37], vcc
	s_cbranch_execz .LBB239_226
; %bb.221:                              ;   in Loop: Header=BB239_13 Depth=1
	v_bfrev_b32_e32 v2, 1
	v_cmp_ne_u16_sdwa vcc, v0, s43 src0_sel:BYTE_0 src1_sel:DWORD
	v_mov_b32_e32 v3, 0
	buffer_store_dword v2, off, s[0:3], s32 offset:504 ; 4-byte Folded Spill
	s_nop 0
	buffer_store_dword v3, off, s[0:3], s32 offset:508 ; 4-byte Folded Spill
	s_and_saveexec_b64 s[38:39], vcc
	s_cbranch_execz .LBB239_225
; %bb.222:                              ;   in Loop: Header=BB239_13 Depth=1
	v_and_b32_e32 v1, 0x7f, v0
	v_mov_b32_e32 v2, 0x7f800001
	v_cmp_ne_u32_e32 vcc, s44, v1
	v_mov_b32_e32 v3, 0
	buffer_store_dword v2, off, s[0:3], s32 offset:504 ; 4-byte Folded Spill
	s_nop 0
	buffer_store_dword v3, off, s[0:3], s32 offset:508 ; 4-byte Folded Spill
	s_and_saveexec_b64 s[40:41], vcc
	s_cbranch_execz .LBB239_224
; %bb.223:                              ;   in Loop: Header=BB239_13 Depth=1
	v_and_b32_e32 v4, 7, v0
	v_lshrrev_b32_e32 v6, 3, v1
	v_cmp_gt_u32_e32 vcc, 8, v1
	v_ffbh_u32_e32 v1, v4
	v_min_u32_e32 v1, 32, v1
	v_subrev_u32_e32 v2, 28, v1
	v_lshlrev_b64 v[2:3], v2, v[0:1]
	v_sub_u32_e32 v1, 29, v1
	v_and_b32_e32 v2, 7, v2
	v_cndmask_b32_e32 v1, v6, v1, vcc
	v_cndmask_b32_e32 v2, v4, v2, vcc
	v_bfrev_b32_e32 v4, 60
	v_lshlrev_b32_e32 v2, 20, v2
	v_and_b32_sdwa v3, sext(v0), s27 dst_sel:DWORD dst_unused:UNUSED_PAD src0_sel:BYTE_0 src1_sel:DWORD
	v_lshl_add_u32 v1, v1, 23, v4
	v_or3_b32 v4, v3, v1, v2
	buffer_store_dword v4, off, s[0:3], s32 offset:504 ; 4-byte Folded Spill
	s_nop 0
	buffer_store_dword v5, off, s[0:3], s32 offset:508 ; 4-byte Folded Spill
.LBB239_224:                            ;   in Loop: Header=BB239_13 Depth=1
	s_or_b64 exec, exec, s[40:41]
.LBB239_225:                            ;   in Loop: Header=BB239_13 Depth=1
	s_or_b64 exec, exec, s[38:39]
.LBB239_226:                            ;   in Loop: Header=BB239_13 Depth=1
	s_or_b64 exec, exec, s[36:37]
	v_cmp_ne_u16_sdwa vcc, v0, v5 src0_sel:BYTE_1 src1_sel:DWORD
	s_and_saveexec_b64 s[36:37], vcc
	s_cbranch_execz .LBB239_232
; %bb.227:                              ;   in Loop: Header=BB239_13 Depth=1
	v_cmp_ne_u16_sdwa vcc, v0, s43 src0_sel:BYTE_1 src1_sel:DWORD
	v_pk_mov_b32 v[2:3], s[26:27], s[26:27] op_sel:[0,1]
	buffer_store_dword v2, off, s[0:3], s32 offset:512 ; 4-byte Folded Spill
	s_nop 0
	buffer_store_dword v3, off, s[0:3], s32 offset:516 ; 4-byte Folded Spill
	s_and_saveexec_b64 s[38:39], vcc
	s_cbranch_execz .LBB239_231
; %bb.228:                              ;   in Loop: Header=BB239_13 Depth=1
	v_and_b32_sdwa v1, v0, s44 dst_sel:DWORD dst_unused:UNUSED_PAD src0_sel:BYTE_1 src1_sel:DWORD
	s_mov_b32 s34, s26
	v_cmp_ne_u32_e32 vcc, s44, v1
	v_pk_mov_b32 v[2:3], s[34:35], s[34:35] op_sel:[0,1]
	buffer_store_dword v2, off, s[0:3], s32 offset:512 ; 4-byte Folded Spill
	s_nop 0
	buffer_store_dword v3, off, s[0:3], s32 offset:516 ; 4-byte Folded Spill
	s_and_saveexec_b64 s[40:41], vcc
	s_cbranch_execz .LBB239_230
; %bb.229:                              ;   in Loop: Header=BB239_13 Depth=1
	v_mov_b32_e32 v2, 7
	v_and_b32_sdwa v4, v0, v2 dst_sel:DWORD dst_unused:UNUSED_PAD src0_sel:BYTE_1 src1_sel:DWORD
	v_lshrrev_b32_e32 v6, 3, v1
	v_cmp_gt_u32_e32 vcc, 8, v1
	v_ffbh_u32_e32 v1, v4
	v_min_u32_e32 v1, 32, v1
	v_subrev_u32_e32 v2, 28, v1
	v_lshlrev_b64 v[2:3], v2, v[4:5]
	v_sub_u32_e32 v1, 29, v1
	v_and_b32_e32 v2, 7, v2
	v_cndmask_b32_e32 v1, v6, v1, vcc
	v_bfrev_b32_e32 v3, 60
	v_cndmask_b32_e32 v2, v4, v2, vcc
	v_lshlrev_b32_e32 v0, 16, v0
	v_lshl_add_u32 v1, v1, 23, v3
	v_and_or_b32 v0, v0, s27, v1
	v_lshlrev_b32_e32 v1, 20, v2
	v_or_b32_e32 v1, v0, v1
	v_mov_b32_e32 v0, v5
	buffer_store_dword v0, off, s[0:3], s32 offset:512 ; 4-byte Folded Spill
	s_nop 0
	buffer_store_dword v1, off, s[0:3], s32 offset:516 ; 4-byte Folded Spill
.LBB239_230:                            ;   in Loop: Header=BB239_13 Depth=1
	s_or_b64 exec, exec, s[40:41]
.LBB239_231:                            ;   in Loop: Header=BB239_13 Depth=1
	s_or_b64 exec, exec, s[38:39]
.LBB239_232:                            ;   in Loop: Header=BB239_13 Depth=1
	s_or_b64 exec, exec, s[36:37]
	v_add_co_u32_e32 v0, vcc, 0x800, v16
	v_addc_co_u32_e32 v1, vcc, 0, v17, vcc
	flat_load_ushort v3, v[0:1] offset:8
	v_pk_mov_b32 v[6:7], 0, 0
	buffer_store_dword v6, off, s[0:3], s32 offset:528 ; 4-byte Folded Spill
	s_nop 0
	buffer_store_dword v7, off, s[0:3], s32 offset:532 ; 4-byte Folded Spill
	buffer_store_dword v6, off, s[0:3], s32 offset:520 ; 4-byte Folded Spill
	s_nop 0
	buffer_store_dword v7, off, s[0:3], s32 offset:524 ; 4-byte Folded Spill
	s_waitcnt vmcnt(0) lgkmcnt(0)
	v_and_b32_e32 v2, 0xffff, v3
	v_cmp_ne_u16_sdwa vcc, v3, v5 src0_sel:BYTE_0 src1_sel:DWORD
	s_and_saveexec_b64 s[36:37], vcc
	s_cbranch_execz .LBB239_238
; %bb.233:                              ;   in Loop: Header=BB239_13 Depth=1
	v_bfrev_b32_e32 v6, 1
	v_cmp_ne_u16_sdwa vcc, v2, s43 src0_sel:BYTE_0 src1_sel:DWORD
	v_mov_b32_e32 v7, 0
	buffer_store_dword v6, off, s[0:3], s32 offset:520 ; 4-byte Folded Spill
	s_nop 0
	buffer_store_dword v7, off, s[0:3], s32 offset:524 ; 4-byte Folded Spill
	s_and_saveexec_b64 s[38:39], vcc
	s_cbranch_execz .LBB239_237
; %bb.234:                              ;   in Loop: Header=BB239_13 Depth=1
	v_and_b32_e32 v3, 0x7f, v2
	v_mov_b32_e32 v6, 0x7f800001
	v_cmp_ne_u32_e32 vcc, s44, v3
	v_mov_b32_e32 v7, 0
	buffer_store_dword v6, off, s[0:3], s32 offset:520 ; 4-byte Folded Spill
	s_nop 0
	buffer_store_dword v7, off, s[0:3], s32 offset:524 ; 4-byte Folded Spill
	s_and_saveexec_b64 s[40:41], vcc
	s_cbranch_execz .LBB239_236
; %bb.235:                              ;   in Loop: Header=BB239_13 Depth=1
	v_and_b32_e32 v4, 7, v2
	v_lshrrev_b32_e32 v8, 3, v3
	v_cmp_gt_u32_e32 vcc, 8, v3
	v_ffbh_u32_e32 v3, v4
	v_min_u32_e32 v3, 32, v3
	v_subrev_u32_e32 v6, 28, v3
	v_lshlrev_b64 v[6:7], v6, v[2:3]
	v_sub_u32_e32 v3, 29, v3
	v_and_b32_e32 v6, 7, v6
	v_cndmask_b32_e32 v3, v8, v3, vcc
	v_cndmask_b32_e32 v4, v4, v6, vcc
	v_bfrev_b32_e32 v7, 60
	v_lshlrev_b32_e32 v4, 20, v4
	v_and_b32_sdwa v6, sext(v2), s27 dst_sel:DWORD dst_unused:UNUSED_PAD src0_sel:BYTE_0 src1_sel:DWORD
	v_lshl_add_u32 v3, v3, 23, v7
	v_or3_b32 v4, v6, v3, v4
	buffer_store_dword v4, off, s[0:3], s32 offset:520 ; 4-byte Folded Spill
	s_nop 0
	buffer_store_dword v5, off, s[0:3], s32 offset:524 ; 4-byte Folded Spill
.LBB239_236:                            ;   in Loop: Header=BB239_13 Depth=1
	s_or_b64 exec, exec, s[40:41]
.LBB239_237:                            ;   in Loop: Header=BB239_13 Depth=1
	s_or_b64 exec, exec, s[38:39]
.LBB239_238:                            ;   in Loop: Header=BB239_13 Depth=1
	s_or_b64 exec, exec, s[36:37]
	v_cmp_ne_u16_sdwa vcc, v2, v5 src0_sel:BYTE_1 src1_sel:DWORD
	s_and_saveexec_b64 s[36:37], vcc
	s_cbranch_execz .LBB239_244
; %bb.239:                              ;   in Loop: Header=BB239_13 Depth=1
	v_cmp_ne_u16_sdwa vcc, v2, s43 src0_sel:BYTE_1 src1_sel:DWORD
	v_pk_mov_b32 v[6:7], s[26:27], s[26:27] op_sel:[0,1]
	buffer_store_dword v6, off, s[0:3], s32 offset:528 ; 4-byte Folded Spill
	s_nop 0
	buffer_store_dword v7, off, s[0:3], s32 offset:532 ; 4-byte Folded Spill
	s_and_saveexec_b64 s[38:39], vcc
	s_cbranch_execz .LBB239_243
; %bb.240:                              ;   in Loop: Header=BB239_13 Depth=1
	v_and_b32_sdwa v3, v2, s44 dst_sel:DWORD dst_unused:UNUSED_PAD src0_sel:BYTE_1 src1_sel:DWORD
	s_mov_b32 s34, s26
	v_cmp_ne_u32_e32 vcc, s44, v3
	v_pk_mov_b32 v[6:7], s[34:35], s[34:35] op_sel:[0,1]
	buffer_store_dword v6, off, s[0:3], s32 offset:528 ; 4-byte Folded Spill
	s_nop 0
	buffer_store_dword v7, off, s[0:3], s32 offset:532 ; 4-byte Folded Spill
	s_and_saveexec_b64 s[40:41], vcc
	s_cbranch_execz .LBB239_242
; %bb.241:                              ;   in Loop: Header=BB239_13 Depth=1
	v_mov_b32_e32 v4, 7
	v_and_b32_sdwa v4, v2, v4 dst_sel:DWORD dst_unused:UNUSED_PAD src0_sel:BYTE_1 src1_sel:DWORD
	v_lshrrev_b32_e32 v8, 3, v3
	v_cmp_gt_u32_e32 vcc, 8, v3
	v_ffbh_u32_e32 v3, v4
	v_min_u32_e32 v3, 32, v3
	v_subrev_u32_e32 v6, 28, v3
	v_lshlrev_b64 v[6:7], v6, v[4:5]
	v_sub_u32_e32 v3, 29, v3
	v_and_b32_e32 v6, 7, v6
	v_cndmask_b32_e32 v3, v8, v3, vcc
	v_cndmask_b32_e32 v4, v4, v6, vcc
	v_bfrev_b32_e32 v6, 60
	v_lshlrev_b32_e32 v2, 16, v2
	v_lshl_add_u32 v3, v3, 23, v6
	v_and_or_b32 v2, v2, s27, v3
	v_lshlrev_b32_e32 v3, 20, v4
	v_or_b32_e32 v3, v2, v3
	v_mov_b32_e32 v2, v5
	buffer_store_dword v2, off, s[0:3], s32 offset:528 ; 4-byte Folded Spill
	s_nop 0
	buffer_store_dword v3, off, s[0:3], s32 offset:532 ; 4-byte Folded Spill
.LBB239_242:                            ;   in Loop: Header=BB239_13 Depth=1
	s_or_b64 exec, exec, s[40:41]
.LBB239_243:                            ;   in Loop: Header=BB239_13 Depth=1
	s_or_b64 exec, exec, s[38:39]
.LBB239_244:                            ;   in Loop: Header=BB239_13 Depth=1
	s_or_b64 exec, exec, s[36:37]
	flat_load_ushort v1, v[0:1] offset:12
	v_pk_mov_b32 v[2:3], 0, 0
	buffer_store_dword v2, off, s[0:3], s32 offset:544 ; 4-byte Folded Spill
	s_nop 0
	buffer_store_dword v3, off, s[0:3], s32 offset:548 ; 4-byte Folded Spill
	buffer_store_dword v2, off, s[0:3], s32 offset:536 ; 4-byte Folded Spill
	s_nop 0
	buffer_store_dword v3, off, s[0:3], s32 offset:540 ; 4-byte Folded Spill
	s_waitcnt vmcnt(0) lgkmcnt(0)
	v_and_b32_e32 v0, 0xffff, v1
	v_cmp_ne_u16_sdwa vcc, v1, v5 src0_sel:BYTE_0 src1_sel:DWORD
	s_and_saveexec_b64 s[36:37], vcc
	s_cbranch_execz .LBB239_250
; %bb.245:                              ;   in Loop: Header=BB239_13 Depth=1
	v_bfrev_b32_e32 v2, 1
	v_cmp_ne_u16_sdwa vcc, v0, s43 src0_sel:BYTE_0 src1_sel:DWORD
	v_mov_b32_e32 v3, 0
	buffer_store_dword v2, off, s[0:3], s32 offset:536 ; 4-byte Folded Spill
	s_nop 0
	buffer_store_dword v3, off, s[0:3], s32 offset:540 ; 4-byte Folded Spill
	s_and_saveexec_b64 s[38:39], vcc
	s_cbranch_execz .LBB239_249
; %bb.246:                              ;   in Loop: Header=BB239_13 Depth=1
	v_and_b32_e32 v1, 0x7f, v0
	v_mov_b32_e32 v2, 0x7f800001
	v_cmp_ne_u32_e32 vcc, s44, v1
	v_mov_b32_e32 v3, 0
	buffer_store_dword v2, off, s[0:3], s32 offset:536 ; 4-byte Folded Spill
	s_nop 0
	buffer_store_dword v3, off, s[0:3], s32 offset:540 ; 4-byte Folded Spill
	s_and_saveexec_b64 s[40:41], vcc
	s_cbranch_execz .LBB239_248
; %bb.247:                              ;   in Loop: Header=BB239_13 Depth=1
	v_and_b32_e32 v4, 7, v0
	v_lshrrev_b32_e32 v6, 3, v1
	v_cmp_gt_u32_e32 vcc, 8, v1
	v_ffbh_u32_e32 v1, v4
	v_min_u32_e32 v1, 32, v1
	v_subrev_u32_e32 v2, 28, v1
	v_lshlrev_b64 v[2:3], v2, v[0:1]
	v_sub_u32_e32 v1, 29, v1
	v_and_b32_e32 v2, 7, v2
	v_cndmask_b32_e32 v1, v6, v1, vcc
	v_cndmask_b32_e32 v2, v4, v2, vcc
	v_bfrev_b32_e32 v4, 60
	v_lshlrev_b32_e32 v2, 20, v2
	v_and_b32_sdwa v3, sext(v0), s27 dst_sel:DWORD dst_unused:UNUSED_PAD src0_sel:BYTE_0 src1_sel:DWORD
	v_lshl_add_u32 v1, v1, 23, v4
	v_or3_b32 v4, v3, v1, v2
	buffer_store_dword v4, off, s[0:3], s32 offset:536 ; 4-byte Folded Spill
	s_nop 0
	buffer_store_dword v5, off, s[0:3], s32 offset:540 ; 4-byte Folded Spill
.LBB239_248:                            ;   in Loop: Header=BB239_13 Depth=1
	s_or_b64 exec, exec, s[40:41]
.LBB239_249:                            ;   in Loop: Header=BB239_13 Depth=1
	s_or_b64 exec, exec, s[38:39]
.LBB239_250:                            ;   in Loop: Header=BB239_13 Depth=1
	s_or_b64 exec, exec, s[36:37]
	v_cmp_ne_u16_sdwa vcc, v0, v5 src0_sel:BYTE_1 src1_sel:DWORD
	s_and_saveexec_b64 s[36:37], vcc
	s_cbranch_execz .LBB239_256
; %bb.251:                              ;   in Loop: Header=BB239_13 Depth=1
	v_cmp_ne_u16_sdwa vcc, v0, s43 src0_sel:BYTE_1 src1_sel:DWORD
	v_pk_mov_b32 v[2:3], s[26:27], s[26:27] op_sel:[0,1]
	buffer_store_dword v2, off, s[0:3], s32 offset:544 ; 4-byte Folded Spill
	s_nop 0
	buffer_store_dword v3, off, s[0:3], s32 offset:548 ; 4-byte Folded Spill
	s_and_saveexec_b64 s[38:39], vcc
	s_cbranch_execz .LBB239_255
; %bb.252:                              ;   in Loop: Header=BB239_13 Depth=1
	v_and_b32_sdwa v1, v0, s44 dst_sel:DWORD dst_unused:UNUSED_PAD src0_sel:BYTE_1 src1_sel:DWORD
	s_mov_b32 s34, s26
	v_cmp_ne_u32_e32 vcc, s44, v1
	v_pk_mov_b32 v[2:3], s[34:35], s[34:35] op_sel:[0,1]
	buffer_store_dword v2, off, s[0:3], s32 offset:544 ; 4-byte Folded Spill
	s_nop 0
	buffer_store_dword v3, off, s[0:3], s32 offset:548 ; 4-byte Folded Spill
	s_and_saveexec_b64 s[40:41], vcc
	s_cbranch_execz .LBB239_254
; %bb.253:                              ;   in Loop: Header=BB239_13 Depth=1
	v_mov_b32_e32 v2, 7
	v_and_b32_sdwa v4, v0, v2 dst_sel:DWORD dst_unused:UNUSED_PAD src0_sel:BYTE_1 src1_sel:DWORD
	v_lshrrev_b32_e32 v6, 3, v1
	v_cmp_gt_u32_e32 vcc, 8, v1
	v_ffbh_u32_e32 v1, v4
	v_min_u32_e32 v1, 32, v1
	v_subrev_u32_e32 v2, 28, v1
	v_lshlrev_b64 v[2:3], v2, v[4:5]
	v_sub_u32_e32 v1, 29, v1
	v_and_b32_e32 v2, 7, v2
	v_cndmask_b32_e32 v1, v6, v1, vcc
	v_bfrev_b32_e32 v3, 60
	v_cndmask_b32_e32 v2, v4, v2, vcc
	v_lshlrev_b32_e32 v0, 16, v0
	v_lshl_add_u32 v1, v1, 23, v3
	v_and_or_b32 v0, v0, s27, v1
	v_lshlrev_b32_e32 v1, 20, v2
	v_or_b32_e32 v1, v0, v1
	v_mov_b32_e32 v0, v5
	buffer_store_dword v0, off, s[0:3], s32 offset:544 ; 4-byte Folded Spill
	s_nop 0
	buffer_store_dword v1, off, s[0:3], s32 offset:548 ; 4-byte Folded Spill
.LBB239_254:                            ;   in Loop: Header=BB239_13 Depth=1
	s_or_b64 exec, exec, s[40:41]
.LBB239_255:                            ;   in Loop: Header=BB239_13 Depth=1
	s_or_b64 exec, exec, s[38:39]
.LBB239_256:                            ;   in Loop: Header=BB239_13 Depth=1
	s_or_b64 exec, exec, s[36:37]
	flat_load_ushort v1, v[16:17] offset:2560
	v_pk_mov_b32 v[2:3], 0, 0
	buffer_store_dword v2, off, s[0:3], s32 offset:560 ; 4-byte Folded Spill
	s_nop 0
	buffer_store_dword v3, off, s[0:3], s32 offset:564 ; 4-byte Folded Spill
	buffer_store_dword v2, off, s[0:3], s32 offset:552 ; 4-byte Folded Spill
	s_nop 0
	buffer_store_dword v3, off, s[0:3], s32 offset:556 ; 4-byte Folded Spill
	s_waitcnt vmcnt(0) lgkmcnt(0)
	v_and_b32_e32 v0, 0xffff, v1
	v_cmp_ne_u16_sdwa vcc, v1, v5 src0_sel:BYTE_0 src1_sel:DWORD
	s_and_saveexec_b64 s[36:37], vcc
	s_cbranch_execz .LBB239_262
; %bb.257:                              ;   in Loop: Header=BB239_13 Depth=1
	v_bfrev_b32_e32 v2, 1
	v_cmp_ne_u16_sdwa vcc, v0, s43 src0_sel:BYTE_0 src1_sel:DWORD
	v_mov_b32_e32 v3, 0
	buffer_store_dword v2, off, s[0:3], s32 offset:552 ; 4-byte Folded Spill
	s_nop 0
	buffer_store_dword v3, off, s[0:3], s32 offset:556 ; 4-byte Folded Spill
	s_and_saveexec_b64 s[38:39], vcc
	s_cbranch_execz .LBB239_261
; %bb.258:                              ;   in Loop: Header=BB239_13 Depth=1
	v_and_b32_e32 v1, 0x7f, v0
	v_mov_b32_e32 v2, 0x7f800001
	v_cmp_ne_u32_e32 vcc, s44, v1
	v_mov_b32_e32 v3, 0
	buffer_store_dword v2, off, s[0:3], s32 offset:552 ; 4-byte Folded Spill
	s_nop 0
	buffer_store_dword v3, off, s[0:3], s32 offset:556 ; 4-byte Folded Spill
	s_and_saveexec_b64 s[40:41], vcc
	s_cbranch_execz .LBB239_260
; %bb.259:                              ;   in Loop: Header=BB239_13 Depth=1
	v_and_b32_e32 v4, 7, v0
	v_lshrrev_b32_e32 v6, 3, v1
	v_cmp_gt_u32_e32 vcc, 8, v1
	v_ffbh_u32_e32 v1, v4
	v_min_u32_e32 v1, 32, v1
	v_subrev_u32_e32 v2, 28, v1
	v_lshlrev_b64 v[2:3], v2, v[0:1]
	v_sub_u32_e32 v1, 29, v1
	v_and_b32_e32 v2, 7, v2
	v_cndmask_b32_e32 v1, v6, v1, vcc
	v_cndmask_b32_e32 v2, v4, v2, vcc
	v_bfrev_b32_e32 v4, 60
	v_lshlrev_b32_e32 v2, 20, v2
	v_and_b32_sdwa v3, sext(v0), s27 dst_sel:DWORD dst_unused:UNUSED_PAD src0_sel:BYTE_0 src1_sel:DWORD
	v_lshl_add_u32 v1, v1, 23, v4
	v_or3_b32 v4, v3, v1, v2
	buffer_store_dword v4, off, s[0:3], s32 offset:552 ; 4-byte Folded Spill
	s_nop 0
	buffer_store_dword v5, off, s[0:3], s32 offset:556 ; 4-byte Folded Spill
.LBB239_260:                            ;   in Loop: Header=BB239_13 Depth=1
	s_or_b64 exec, exec, s[40:41]
.LBB239_261:                            ;   in Loop: Header=BB239_13 Depth=1
	s_or_b64 exec, exec, s[38:39]
.LBB239_262:                            ;   in Loop: Header=BB239_13 Depth=1
	s_or_b64 exec, exec, s[36:37]
	v_cmp_ne_u16_sdwa vcc, v0, v5 src0_sel:BYTE_1 src1_sel:DWORD
	s_and_saveexec_b64 s[36:37], vcc
	s_cbranch_execz .LBB239_268
; %bb.263:                              ;   in Loop: Header=BB239_13 Depth=1
	v_cmp_ne_u16_sdwa vcc, v0, s43 src0_sel:BYTE_1 src1_sel:DWORD
	v_pk_mov_b32 v[2:3], s[26:27], s[26:27] op_sel:[0,1]
	buffer_store_dword v2, off, s[0:3], s32 offset:560 ; 4-byte Folded Spill
	s_nop 0
	buffer_store_dword v3, off, s[0:3], s32 offset:564 ; 4-byte Folded Spill
	s_and_saveexec_b64 s[38:39], vcc
	s_cbranch_execz .LBB239_267
; %bb.264:                              ;   in Loop: Header=BB239_13 Depth=1
	v_and_b32_sdwa v1, v0, s44 dst_sel:DWORD dst_unused:UNUSED_PAD src0_sel:BYTE_1 src1_sel:DWORD
	s_mov_b32 s34, s26
	v_cmp_ne_u32_e32 vcc, s44, v1
	v_pk_mov_b32 v[2:3], s[34:35], s[34:35] op_sel:[0,1]
	buffer_store_dword v2, off, s[0:3], s32 offset:560 ; 4-byte Folded Spill
	s_nop 0
	buffer_store_dword v3, off, s[0:3], s32 offset:564 ; 4-byte Folded Spill
	s_and_saveexec_b64 s[40:41], vcc
	s_cbranch_execz .LBB239_266
; %bb.265:                              ;   in Loop: Header=BB239_13 Depth=1
	v_mov_b32_e32 v2, 7
	v_and_b32_sdwa v4, v0, v2 dst_sel:DWORD dst_unused:UNUSED_PAD src0_sel:BYTE_1 src1_sel:DWORD
	v_lshrrev_b32_e32 v6, 3, v1
	v_cmp_gt_u32_e32 vcc, 8, v1
	v_ffbh_u32_e32 v1, v4
	v_min_u32_e32 v1, 32, v1
	v_subrev_u32_e32 v2, 28, v1
	v_lshlrev_b64 v[2:3], v2, v[4:5]
	v_sub_u32_e32 v1, 29, v1
	v_and_b32_e32 v2, 7, v2
	v_cndmask_b32_e32 v1, v6, v1, vcc
	v_bfrev_b32_e32 v3, 60
	v_cndmask_b32_e32 v2, v4, v2, vcc
	v_lshlrev_b32_e32 v0, 16, v0
	v_lshl_add_u32 v1, v1, 23, v3
	v_and_or_b32 v0, v0, s27, v1
	v_lshlrev_b32_e32 v1, 20, v2
	v_or_b32_e32 v1, v0, v1
	v_mov_b32_e32 v0, v5
	buffer_store_dword v0, off, s[0:3], s32 offset:560 ; 4-byte Folded Spill
	s_nop 0
	buffer_store_dword v1, off, s[0:3], s32 offset:564 ; 4-byte Folded Spill
.LBB239_266:                            ;   in Loop: Header=BB239_13 Depth=1
	s_or_b64 exec, exec, s[40:41]
.LBB239_267:                            ;   in Loop: Header=BB239_13 Depth=1
	s_or_b64 exec, exec, s[38:39]
.LBB239_268:                            ;   in Loop: Header=BB239_13 Depth=1
	s_or_b64 exec, exec, s[36:37]
	flat_load_ushort v1, v[16:17] offset:2564
	v_pk_mov_b32 v[2:3], 0, 0
	buffer_store_dword v2, off, s[0:3], s32 offset:576 ; 4-byte Folded Spill
	s_nop 0
	buffer_store_dword v3, off, s[0:3], s32 offset:580 ; 4-byte Folded Spill
	buffer_store_dword v2, off, s[0:3], s32 offset:568 ; 4-byte Folded Spill
	s_nop 0
	buffer_store_dword v3, off, s[0:3], s32 offset:572 ; 4-byte Folded Spill
	s_waitcnt vmcnt(0) lgkmcnt(0)
	v_and_b32_e32 v0, 0xffff, v1
	v_cmp_ne_u16_sdwa vcc, v1, v5 src0_sel:BYTE_0 src1_sel:DWORD
	s_and_saveexec_b64 s[36:37], vcc
	s_cbranch_execz .LBB239_274
; %bb.269:                              ;   in Loop: Header=BB239_13 Depth=1
	v_bfrev_b32_e32 v2, 1
	v_cmp_ne_u16_sdwa vcc, v0, s43 src0_sel:BYTE_0 src1_sel:DWORD
	v_mov_b32_e32 v3, 0
	buffer_store_dword v2, off, s[0:3], s32 offset:568 ; 4-byte Folded Spill
	s_nop 0
	buffer_store_dword v3, off, s[0:3], s32 offset:572 ; 4-byte Folded Spill
	s_and_saveexec_b64 s[38:39], vcc
	s_cbranch_execz .LBB239_273
; %bb.270:                              ;   in Loop: Header=BB239_13 Depth=1
	v_and_b32_e32 v1, 0x7f, v0
	v_mov_b32_e32 v2, 0x7f800001
	v_cmp_ne_u32_e32 vcc, s44, v1
	v_mov_b32_e32 v3, 0
	buffer_store_dword v2, off, s[0:3], s32 offset:568 ; 4-byte Folded Spill
	s_nop 0
	buffer_store_dword v3, off, s[0:3], s32 offset:572 ; 4-byte Folded Spill
	s_and_saveexec_b64 s[40:41], vcc
	s_cbranch_execz .LBB239_272
; %bb.271:                              ;   in Loop: Header=BB239_13 Depth=1
	v_and_b32_e32 v4, 7, v0
	v_lshrrev_b32_e32 v6, 3, v1
	v_cmp_gt_u32_e32 vcc, 8, v1
	v_ffbh_u32_e32 v1, v4
	v_min_u32_e32 v1, 32, v1
	v_subrev_u32_e32 v2, 28, v1
	v_lshlrev_b64 v[2:3], v2, v[0:1]
	v_sub_u32_e32 v1, 29, v1
	v_and_b32_e32 v2, 7, v2
	v_cndmask_b32_e32 v1, v6, v1, vcc
	v_cndmask_b32_e32 v2, v4, v2, vcc
	v_bfrev_b32_e32 v4, 60
	v_lshlrev_b32_e32 v2, 20, v2
	v_and_b32_sdwa v3, sext(v0), s27 dst_sel:DWORD dst_unused:UNUSED_PAD src0_sel:BYTE_0 src1_sel:DWORD
	v_lshl_add_u32 v1, v1, 23, v4
	v_or3_b32 v4, v3, v1, v2
	buffer_store_dword v4, off, s[0:3], s32 offset:568 ; 4-byte Folded Spill
	s_nop 0
	buffer_store_dword v5, off, s[0:3], s32 offset:572 ; 4-byte Folded Spill
.LBB239_272:                            ;   in Loop: Header=BB239_13 Depth=1
	s_or_b64 exec, exec, s[40:41]
.LBB239_273:                            ;   in Loop: Header=BB239_13 Depth=1
	s_or_b64 exec, exec, s[38:39]
.LBB239_274:                            ;   in Loop: Header=BB239_13 Depth=1
	s_or_b64 exec, exec, s[36:37]
	v_cmp_ne_u16_sdwa vcc, v0, v5 src0_sel:BYTE_1 src1_sel:DWORD
	s_and_saveexec_b64 s[36:37], vcc
	s_cbranch_execz .LBB239_280
; %bb.275:                              ;   in Loop: Header=BB239_13 Depth=1
	v_cmp_ne_u16_sdwa vcc, v0, s43 src0_sel:BYTE_1 src1_sel:DWORD
	v_pk_mov_b32 v[2:3], s[26:27], s[26:27] op_sel:[0,1]
	buffer_store_dword v2, off, s[0:3], s32 offset:576 ; 4-byte Folded Spill
	s_nop 0
	buffer_store_dword v3, off, s[0:3], s32 offset:580 ; 4-byte Folded Spill
	s_and_saveexec_b64 s[38:39], vcc
	s_cbranch_execz .LBB239_279
; %bb.276:                              ;   in Loop: Header=BB239_13 Depth=1
	v_and_b32_sdwa v1, v0, s44 dst_sel:DWORD dst_unused:UNUSED_PAD src0_sel:BYTE_1 src1_sel:DWORD
	s_mov_b32 s34, s26
	v_cmp_ne_u32_e32 vcc, s44, v1
	v_pk_mov_b32 v[2:3], s[34:35], s[34:35] op_sel:[0,1]
	buffer_store_dword v2, off, s[0:3], s32 offset:576 ; 4-byte Folded Spill
	s_nop 0
	buffer_store_dword v3, off, s[0:3], s32 offset:580 ; 4-byte Folded Spill
	s_and_saveexec_b64 s[40:41], vcc
	s_cbranch_execz .LBB239_278
; %bb.277:                              ;   in Loop: Header=BB239_13 Depth=1
	v_mov_b32_e32 v2, 7
	v_and_b32_sdwa v4, v0, v2 dst_sel:DWORD dst_unused:UNUSED_PAD src0_sel:BYTE_1 src1_sel:DWORD
	v_lshrrev_b32_e32 v6, 3, v1
	v_cmp_gt_u32_e32 vcc, 8, v1
	v_ffbh_u32_e32 v1, v4
	v_min_u32_e32 v1, 32, v1
	v_subrev_u32_e32 v2, 28, v1
	v_lshlrev_b64 v[2:3], v2, v[4:5]
	v_sub_u32_e32 v1, 29, v1
	v_and_b32_e32 v2, 7, v2
	v_cndmask_b32_e32 v1, v6, v1, vcc
	v_bfrev_b32_e32 v3, 60
	v_cndmask_b32_e32 v2, v4, v2, vcc
	v_lshlrev_b32_e32 v0, 16, v0
	v_lshl_add_u32 v1, v1, 23, v3
	v_and_or_b32 v0, v0, s27, v1
	v_lshlrev_b32_e32 v1, 20, v2
	v_or_b32_e32 v1, v0, v1
	v_mov_b32_e32 v0, v5
	buffer_store_dword v0, off, s[0:3], s32 offset:576 ; 4-byte Folded Spill
	s_nop 0
	buffer_store_dword v1, off, s[0:3], s32 offset:580 ; 4-byte Folded Spill
.LBB239_278:                            ;   in Loop: Header=BB239_13 Depth=1
	s_or_b64 exec, exec, s[40:41]
.LBB239_279:                            ;   in Loop: Header=BB239_13 Depth=1
	s_or_b64 exec, exec, s[38:39]
.LBB239_280:                            ;   in Loop: Header=BB239_13 Depth=1
	s_or_b64 exec, exec, s[36:37]
	v_add_co_u32_e32 v0, vcc, 0xa00, v16
	v_addc_co_u32_e32 v1, vcc, 0, v17, vcc
	flat_load_ushort v3, v[0:1] offset:8
	v_pk_mov_b32 v[6:7], 0, 0
	buffer_store_dword v6, off, s[0:3], s32 offset:592 ; 4-byte Folded Spill
	s_nop 0
	buffer_store_dword v7, off, s[0:3], s32 offset:596 ; 4-byte Folded Spill
	buffer_store_dword v6, off, s[0:3], s32 offset:584 ; 4-byte Folded Spill
	s_nop 0
	buffer_store_dword v7, off, s[0:3], s32 offset:588 ; 4-byte Folded Spill
	s_waitcnt vmcnt(0) lgkmcnt(0)
	v_and_b32_e32 v2, 0xffff, v3
	v_cmp_ne_u16_sdwa vcc, v3, v5 src0_sel:BYTE_0 src1_sel:DWORD
	s_and_saveexec_b64 s[36:37], vcc
	s_cbranch_execz .LBB239_286
; %bb.281:                              ;   in Loop: Header=BB239_13 Depth=1
	v_bfrev_b32_e32 v6, 1
	v_cmp_ne_u16_sdwa vcc, v2, s43 src0_sel:BYTE_0 src1_sel:DWORD
	v_mov_b32_e32 v7, 0
	buffer_store_dword v6, off, s[0:3], s32 offset:584 ; 4-byte Folded Spill
	s_nop 0
	buffer_store_dword v7, off, s[0:3], s32 offset:588 ; 4-byte Folded Spill
	s_and_saveexec_b64 s[38:39], vcc
	s_cbranch_execz .LBB239_285
; %bb.282:                              ;   in Loop: Header=BB239_13 Depth=1
	v_and_b32_e32 v3, 0x7f, v2
	v_mov_b32_e32 v6, 0x7f800001
	v_cmp_ne_u32_e32 vcc, s44, v3
	v_mov_b32_e32 v7, 0
	buffer_store_dword v6, off, s[0:3], s32 offset:584 ; 4-byte Folded Spill
	s_nop 0
	buffer_store_dword v7, off, s[0:3], s32 offset:588 ; 4-byte Folded Spill
	s_and_saveexec_b64 s[40:41], vcc
	s_cbranch_execz .LBB239_284
; %bb.283:                              ;   in Loop: Header=BB239_13 Depth=1
	v_and_b32_e32 v4, 7, v2
	v_lshrrev_b32_e32 v8, 3, v3
	v_cmp_gt_u32_e32 vcc, 8, v3
	v_ffbh_u32_e32 v3, v4
	v_min_u32_e32 v3, 32, v3
	v_subrev_u32_e32 v6, 28, v3
	v_lshlrev_b64 v[6:7], v6, v[2:3]
	v_sub_u32_e32 v3, 29, v3
	v_and_b32_e32 v6, 7, v6
	v_cndmask_b32_e32 v3, v8, v3, vcc
	v_cndmask_b32_e32 v4, v4, v6, vcc
	v_bfrev_b32_e32 v7, 60
	v_lshlrev_b32_e32 v4, 20, v4
	v_and_b32_sdwa v6, sext(v2), s27 dst_sel:DWORD dst_unused:UNUSED_PAD src0_sel:BYTE_0 src1_sel:DWORD
	v_lshl_add_u32 v3, v3, 23, v7
	v_or3_b32 v4, v6, v3, v4
	buffer_store_dword v4, off, s[0:3], s32 offset:584 ; 4-byte Folded Spill
	s_nop 0
	buffer_store_dword v5, off, s[0:3], s32 offset:588 ; 4-byte Folded Spill
.LBB239_284:                            ;   in Loop: Header=BB239_13 Depth=1
	s_or_b64 exec, exec, s[40:41]
.LBB239_285:                            ;   in Loop: Header=BB239_13 Depth=1
	s_or_b64 exec, exec, s[38:39]
.LBB239_286:                            ;   in Loop: Header=BB239_13 Depth=1
	s_or_b64 exec, exec, s[36:37]
	v_cmp_ne_u16_sdwa vcc, v2, v5 src0_sel:BYTE_1 src1_sel:DWORD
	s_and_saveexec_b64 s[36:37], vcc
	s_cbranch_execz .LBB239_292
; %bb.287:                              ;   in Loop: Header=BB239_13 Depth=1
	v_cmp_ne_u16_sdwa vcc, v2, s43 src0_sel:BYTE_1 src1_sel:DWORD
	v_pk_mov_b32 v[6:7], s[26:27], s[26:27] op_sel:[0,1]
	buffer_store_dword v6, off, s[0:3], s32 offset:592 ; 4-byte Folded Spill
	s_nop 0
	buffer_store_dword v7, off, s[0:3], s32 offset:596 ; 4-byte Folded Spill
	s_and_saveexec_b64 s[38:39], vcc
	s_cbranch_execz .LBB239_291
; %bb.288:                              ;   in Loop: Header=BB239_13 Depth=1
	v_and_b32_sdwa v3, v2, s44 dst_sel:DWORD dst_unused:UNUSED_PAD src0_sel:BYTE_1 src1_sel:DWORD
	s_mov_b32 s34, s26
	v_cmp_ne_u32_e32 vcc, s44, v3
	v_pk_mov_b32 v[6:7], s[34:35], s[34:35] op_sel:[0,1]
	buffer_store_dword v6, off, s[0:3], s32 offset:592 ; 4-byte Folded Spill
	s_nop 0
	buffer_store_dword v7, off, s[0:3], s32 offset:596 ; 4-byte Folded Spill
	s_and_saveexec_b64 s[40:41], vcc
	s_cbranch_execz .LBB239_290
; %bb.289:                              ;   in Loop: Header=BB239_13 Depth=1
	v_mov_b32_e32 v4, 7
	v_and_b32_sdwa v4, v2, v4 dst_sel:DWORD dst_unused:UNUSED_PAD src0_sel:BYTE_1 src1_sel:DWORD
	v_lshrrev_b32_e32 v8, 3, v3
	v_cmp_gt_u32_e32 vcc, 8, v3
	v_ffbh_u32_e32 v3, v4
	v_min_u32_e32 v3, 32, v3
	v_subrev_u32_e32 v6, 28, v3
	v_lshlrev_b64 v[6:7], v6, v[4:5]
	v_sub_u32_e32 v3, 29, v3
	v_and_b32_e32 v6, 7, v6
	v_cndmask_b32_e32 v3, v8, v3, vcc
	v_cndmask_b32_e32 v4, v4, v6, vcc
	v_bfrev_b32_e32 v6, 60
	v_lshlrev_b32_e32 v2, 16, v2
	v_lshl_add_u32 v3, v3, 23, v6
	v_and_or_b32 v2, v2, s27, v3
	v_lshlrev_b32_e32 v3, 20, v4
	v_or_b32_e32 v3, v2, v3
	v_mov_b32_e32 v2, v5
	buffer_store_dword v2, off, s[0:3], s32 offset:592 ; 4-byte Folded Spill
	s_nop 0
	buffer_store_dword v3, off, s[0:3], s32 offset:596 ; 4-byte Folded Spill
.LBB239_290:                            ;   in Loop: Header=BB239_13 Depth=1
	s_or_b64 exec, exec, s[40:41]
.LBB239_291:                            ;   in Loop: Header=BB239_13 Depth=1
	s_or_b64 exec, exec, s[38:39]
.LBB239_292:                            ;   in Loop: Header=BB239_13 Depth=1
	s_or_b64 exec, exec, s[36:37]
	flat_load_ushort v1, v[0:1] offset:12
	v_pk_mov_b32 v[2:3], 0, 0
	buffer_store_dword v2, off, s[0:3], s32 offset:608 ; 4-byte Folded Spill
	s_nop 0
	buffer_store_dword v3, off, s[0:3], s32 offset:612 ; 4-byte Folded Spill
	buffer_store_dword v2, off, s[0:3], s32 offset:600 ; 4-byte Folded Spill
	s_nop 0
	buffer_store_dword v3, off, s[0:3], s32 offset:604 ; 4-byte Folded Spill
	s_waitcnt vmcnt(0) lgkmcnt(0)
	v_and_b32_e32 v0, 0xffff, v1
	v_cmp_ne_u16_sdwa vcc, v1, v5 src0_sel:BYTE_0 src1_sel:DWORD
	s_and_saveexec_b64 s[36:37], vcc
	s_cbranch_execz .LBB239_298
; %bb.293:                              ;   in Loop: Header=BB239_13 Depth=1
	v_bfrev_b32_e32 v2, 1
	v_cmp_ne_u16_sdwa vcc, v0, s43 src0_sel:BYTE_0 src1_sel:DWORD
	v_mov_b32_e32 v3, 0
	buffer_store_dword v2, off, s[0:3], s32 offset:600 ; 4-byte Folded Spill
	s_nop 0
	buffer_store_dword v3, off, s[0:3], s32 offset:604 ; 4-byte Folded Spill
	s_and_saveexec_b64 s[38:39], vcc
	s_cbranch_execz .LBB239_297
; %bb.294:                              ;   in Loop: Header=BB239_13 Depth=1
	v_and_b32_e32 v1, 0x7f, v0
	v_mov_b32_e32 v2, 0x7f800001
	v_cmp_ne_u32_e32 vcc, s44, v1
	v_mov_b32_e32 v3, 0
	buffer_store_dword v2, off, s[0:3], s32 offset:600 ; 4-byte Folded Spill
	s_nop 0
	buffer_store_dword v3, off, s[0:3], s32 offset:604 ; 4-byte Folded Spill
	s_and_saveexec_b64 s[40:41], vcc
	s_cbranch_execz .LBB239_296
; %bb.295:                              ;   in Loop: Header=BB239_13 Depth=1
	v_and_b32_e32 v4, 7, v0
	v_lshrrev_b32_e32 v6, 3, v1
	v_cmp_gt_u32_e32 vcc, 8, v1
	v_ffbh_u32_e32 v1, v4
	v_min_u32_e32 v1, 32, v1
	v_subrev_u32_e32 v2, 28, v1
	v_lshlrev_b64 v[2:3], v2, v[0:1]
	v_sub_u32_e32 v1, 29, v1
	v_and_b32_e32 v2, 7, v2
	v_cndmask_b32_e32 v1, v6, v1, vcc
	v_cndmask_b32_e32 v2, v4, v2, vcc
	v_bfrev_b32_e32 v4, 60
	v_lshlrev_b32_e32 v2, 20, v2
	v_and_b32_sdwa v3, sext(v0), s27 dst_sel:DWORD dst_unused:UNUSED_PAD src0_sel:BYTE_0 src1_sel:DWORD
	v_lshl_add_u32 v1, v1, 23, v4
	v_or3_b32 v4, v3, v1, v2
	buffer_store_dword v4, off, s[0:3], s32 offset:600 ; 4-byte Folded Spill
	s_nop 0
	buffer_store_dword v5, off, s[0:3], s32 offset:604 ; 4-byte Folded Spill
.LBB239_296:                            ;   in Loop: Header=BB239_13 Depth=1
	s_or_b64 exec, exec, s[40:41]
.LBB239_297:                            ;   in Loop: Header=BB239_13 Depth=1
	s_or_b64 exec, exec, s[38:39]
.LBB239_298:                            ;   in Loop: Header=BB239_13 Depth=1
	s_or_b64 exec, exec, s[36:37]
	v_cmp_ne_u16_sdwa vcc, v0, v5 src0_sel:BYTE_1 src1_sel:DWORD
	s_and_saveexec_b64 s[36:37], vcc
	s_cbranch_execz .LBB239_304
; %bb.299:                              ;   in Loop: Header=BB239_13 Depth=1
	v_cmp_ne_u16_sdwa vcc, v0, s43 src0_sel:BYTE_1 src1_sel:DWORD
	v_pk_mov_b32 v[2:3], s[26:27], s[26:27] op_sel:[0,1]
	buffer_store_dword v2, off, s[0:3], s32 offset:608 ; 4-byte Folded Spill
	s_nop 0
	buffer_store_dword v3, off, s[0:3], s32 offset:612 ; 4-byte Folded Spill
	s_and_saveexec_b64 s[38:39], vcc
	s_cbranch_execz .LBB239_303
; %bb.300:                              ;   in Loop: Header=BB239_13 Depth=1
	v_and_b32_sdwa v1, v0, s44 dst_sel:DWORD dst_unused:UNUSED_PAD src0_sel:BYTE_1 src1_sel:DWORD
	s_mov_b32 s34, s26
	v_cmp_ne_u32_e32 vcc, s44, v1
	v_pk_mov_b32 v[2:3], s[34:35], s[34:35] op_sel:[0,1]
	buffer_store_dword v2, off, s[0:3], s32 offset:608 ; 4-byte Folded Spill
	s_nop 0
	buffer_store_dword v3, off, s[0:3], s32 offset:612 ; 4-byte Folded Spill
	s_and_saveexec_b64 s[40:41], vcc
	s_cbranch_execz .LBB239_302
; %bb.301:                              ;   in Loop: Header=BB239_13 Depth=1
	v_mov_b32_e32 v2, 7
	v_and_b32_sdwa v4, v0, v2 dst_sel:DWORD dst_unused:UNUSED_PAD src0_sel:BYTE_1 src1_sel:DWORD
	v_lshrrev_b32_e32 v6, 3, v1
	v_cmp_gt_u32_e32 vcc, 8, v1
	v_ffbh_u32_e32 v1, v4
	v_min_u32_e32 v1, 32, v1
	v_subrev_u32_e32 v2, 28, v1
	v_lshlrev_b64 v[2:3], v2, v[4:5]
	v_sub_u32_e32 v1, 29, v1
	v_and_b32_e32 v2, 7, v2
	v_cndmask_b32_e32 v1, v6, v1, vcc
	v_bfrev_b32_e32 v3, 60
	v_cndmask_b32_e32 v2, v4, v2, vcc
	v_lshlrev_b32_e32 v0, 16, v0
	v_lshl_add_u32 v1, v1, 23, v3
	v_and_or_b32 v0, v0, s27, v1
	v_lshlrev_b32_e32 v1, 20, v2
	v_or_b32_e32 v1, v0, v1
	v_mov_b32_e32 v0, v5
	buffer_store_dword v0, off, s[0:3], s32 offset:608 ; 4-byte Folded Spill
	s_nop 0
	buffer_store_dword v1, off, s[0:3], s32 offset:612 ; 4-byte Folded Spill
.LBB239_302:                            ;   in Loop: Header=BB239_13 Depth=1
	s_or_b64 exec, exec, s[40:41]
.LBB239_303:                            ;   in Loop: Header=BB239_13 Depth=1
	s_or_b64 exec, exec, s[38:39]
.LBB239_304:                            ;   in Loop: Header=BB239_13 Depth=1
	s_or_b64 exec, exec, s[36:37]
	flat_load_ushort v1, v[16:17] offset:3072
	v_pk_mov_b32 v[2:3], 0, 0
	buffer_store_dword v2, off, s[0:3], s32 offset:624 ; 4-byte Folded Spill
	s_nop 0
	buffer_store_dword v3, off, s[0:3], s32 offset:628 ; 4-byte Folded Spill
	buffer_store_dword v2, off, s[0:3], s32 offset:616 ; 4-byte Folded Spill
	s_nop 0
	buffer_store_dword v3, off, s[0:3], s32 offset:620 ; 4-byte Folded Spill
	s_waitcnt vmcnt(0) lgkmcnt(0)
	v_and_b32_e32 v0, 0xffff, v1
	v_cmp_ne_u16_sdwa vcc, v1, v5 src0_sel:BYTE_0 src1_sel:DWORD
	s_and_saveexec_b64 s[36:37], vcc
	s_cbranch_execz .LBB239_310
; %bb.305:                              ;   in Loop: Header=BB239_13 Depth=1
	v_bfrev_b32_e32 v2, 1
	v_cmp_ne_u16_sdwa vcc, v0, s43 src0_sel:BYTE_0 src1_sel:DWORD
	v_mov_b32_e32 v3, 0
	buffer_store_dword v2, off, s[0:3], s32 offset:616 ; 4-byte Folded Spill
	s_nop 0
	buffer_store_dword v3, off, s[0:3], s32 offset:620 ; 4-byte Folded Spill
	s_and_saveexec_b64 s[38:39], vcc
	s_cbranch_execz .LBB239_309
; %bb.306:                              ;   in Loop: Header=BB239_13 Depth=1
	v_and_b32_e32 v1, 0x7f, v0
	v_mov_b32_e32 v2, 0x7f800001
	v_cmp_ne_u32_e32 vcc, s44, v1
	v_mov_b32_e32 v3, 0
	buffer_store_dword v2, off, s[0:3], s32 offset:616 ; 4-byte Folded Spill
	s_nop 0
	buffer_store_dword v3, off, s[0:3], s32 offset:620 ; 4-byte Folded Spill
	s_and_saveexec_b64 s[40:41], vcc
	s_cbranch_execz .LBB239_308
; %bb.307:                              ;   in Loop: Header=BB239_13 Depth=1
	v_and_b32_e32 v4, 7, v0
	v_lshrrev_b32_e32 v6, 3, v1
	v_cmp_gt_u32_e32 vcc, 8, v1
	v_ffbh_u32_e32 v1, v4
	v_min_u32_e32 v1, 32, v1
	v_subrev_u32_e32 v2, 28, v1
	v_lshlrev_b64 v[2:3], v2, v[0:1]
	v_sub_u32_e32 v1, 29, v1
	v_and_b32_e32 v2, 7, v2
	v_cndmask_b32_e32 v1, v6, v1, vcc
	v_cndmask_b32_e32 v2, v4, v2, vcc
	v_bfrev_b32_e32 v4, 60
	v_lshlrev_b32_e32 v2, 20, v2
	v_and_b32_sdwa v3, sext(v0), s27 dst_sel:DWORD dst_unused:UNUSED_PAD src0_sel:BYTE_0 src1_sel:DWORD
	v_lshl_add_u32 v1, v1, 23, v4
	v_or3_b32 v4, v3, v1, v2
	buffer_store_dword v4, off, s[0:3], s32 offset:616 ; 4-byte Folded Spill
	s_nop 0
	buffer_store_dword v5, off, s[0:3], s32 offset:620 ; 4-byte Folded Spill
.LBB239_308:                            ;   in Loop: Header=BB239_13 Depth=1
	s_or_b64 exec, exec, s[40:41]
.LBB239_309:                            ;   in Loop: Header=BB239_13 Depth=1
	s_or_b64 exec, exec, s[38:39]
.LBB239_310:                            ;   in Loop: Header=BB239_13 Depth=1
	s_or_b64 exec, exec, s[36:37]
	v_cmp_ne_u16_sdwa vcc, v0, v5 src0_sel:BYTE_1 src1_sel:DWORD
	s_and_saveexec_b64 s[36:37], vcc
	s_cbranch_execz .LBB239_316
; %bb.311:                              ;   in Loop: Header=BB239_13 Depth=1
	v_cmp_ne_u16_sdwa vcc, v0, s43 src0_sel:BYTE_1 src1_sel:DWORD
	v_pk_mov_b32 v[2:3], s[26:27], s[26:27] op_sel:[0,1]
	buffer_store_dword v2, off, s[0:3], s32 offset:624 ; 4-byte Folded Spill
	s_nop 0
	buffer_store_dword v3, off, s[0:3], s32 offset:628 ; 4-byte Folded Spill
	s_and_saveexec_b64 s[38:39], vcc
	s_cbranch_execz .LBB239_315
; %bb.312:                              ;   in Loop: Header=BB239_13 Depth=1
	v_and_b32_sdwa v1, v0, s44 dst_sel:DWORD dst_unused:UNUSED_PAD src0_sel:BYTE_1 src1_sel:DWORD
	s_mov_b32 s34, s26
	v_cmp_ne_u32_e32 vcc, s44, v1
	v_pk_mov_b32 v[2:3], s[34:35], s[34:35] op_sel:[0,1]
	buffer_store_dword v2, off, s[0:3], s32 offset:624 ; 4-byte Folded Spill
	s_nop 0
	buffer_store_dword v3, off, s[0:3], s32 offset:628 ; 4-byte Folded Spill
	s_and_saveexec_b64 s[40:41], vcc
	s_cbranch_execz .LBB239_314
; %bb.313:                              ;   in Loop: Header=BB239_13 Depth=1
	v_mov_b32_e32 v2, 7
	v_and_b32_sdwa v4, v0, v2 dst_sel:DWORD dst_unused:UNUSED_PAD src0_sel:BYTE_1 src1_sel:DWORD
	v_lshrrev_b32_e32 v6, 3, v1
	v_cmp_gt_u32_e32 vcc, 8, v1
	v_ffbh_u32_e32 v1, v4
	v_min_u32_e32 v1, 32, v1
	v_subrev_u32_e32 v2, 28, v1
	v_lshlrev_b64 v[2:3], v2, v[4:5]
	v_sub_u32_e32 v1, 29, v1
	v_and_b32_e32 v2, 7, v2
	v_cndmask_b32_e32 v1, v6, v1, vcc
	v_bfrev_b32_e32 v3, 60
	v_cndmask_b32_e32 v2, v4, v2, vcc
	v_lshlrev_b32_e32 v0, 16, v0
	v_lshl_add_u32 v1, v1, 23, v3
	v_and_or_b32 v0, v0, s27, v1
	v_lshlrev_b32_e32 v1, 20, v2
	v_or_b32_e32 v1, v0, v1
	v_mov_b32_e32 v0, v5
	buffer_store_dword v0, off, s[0:3], s32 offset:624 ; 4-byte Folded Spill
	s_nop 0
	buffer_store_dword v1, off, s[0:3], s32 offset:628 ; 4-byte Folded Spill
.LBB239_314:                            ;   in Loop: Header=BB239_13 Depth=1
	s_or_b64 exec, exec, s[40:41]
.LBB239_315:                            ;   in Loop: Header=BB239_13 Depth=1
	s_or_b64 exec, exec, s[38:39]
.LBB239_316:                            ;   in Loop: Header=BB239_13 Depth=1
	s_or_b64 exec, exec, s[36:37]
	flat_load_ushort v1, v[16:17] offset:3076
	v_pk_mov_b32 v[2:3], 0, 0
	buffer_store_dword v2, off, s[0:3], s32 offset:640 ; 4-byte Folded Spill
	s_nop 0
	buffer_store_dword v3, off, s[0:3], s32 offset:644 ; 4-byte Folded Spill
	buffer_store_dword v2, off, s[0:3], s32 offset:632 ; 4-byte Folded Spill
	s_nop 0
	buffer_store_dword v3, off, s[0:3], s32 offset:636 ; 4-byte Folded Spill
	s_waitcnt vmcnt(0) lgkmcnt(0)
	v_and_b32_e32 v0, 0xffff, v1
	v_cmp_ne_u16_sdwa vcc, v1, v5 src0_sel:BYTE_0 src1_sel:DWORD
	s_and_saveexec_b64 s[36:37], vcc
	s_cbranch_execz .LBB239_322
; %bb.317:                              ;   in Loop: Header=BB239_13 Depth=1
	v_bfrev_b32_e32 v2, 1
	v_cmp_ne_u16_sdwa vcc, v0, s43 src0_sel:BYTE_0 src1_sel:DWORD
	v_mov_b32_e32 v3, 0
	buffer_store_dword v2, off, s[0:3], s32 offset:632 ; 4-byte Folded Spill
	s_nop 0
	buffer_store_dword v3, off, s[0:3], s32 offset:636 ; 4-byte Folded Spill
	s_and_saveexec_b64 s[38:39], vcc
	s_cbranch_execz .LBB239_321
; %bb.318:                              ;   in Loop: Header=BB239_13 Depth=1
	v_and_b32_e32 v1, 0x7f, v0
	v_mov_b32_e32 v2, 0x7f800001
	v_cmp_ne_u32_e32 vcc, s44, v1
	v_mov_b32_e32 v3, 0
	buffer_store_dword v2, off, s[0:3], s32 offset:632 ; 4-byte Folded Spill
	s_nop 0
	buffer_store_dword v3, off, s[0:3], s32 offset:636 ; 4-byte Folded Spill
	s_and_saveexec_b64 s[40:41], vcc
	s_cbranch_execz .LBB239_320
; %bb.319:                              ;   in Loop: Header=BB239_13 Depth=1
	v_and_b32_e32 v4, 7, v0
	v_lshrrev_b32_e32 v6, 3, v1
	v_cmp_gt_u32_e32 vcc, 8, v1
	v_ffbh_u32_e32 v1, v4
	v_min_u32_e32 v1, 32, v1
	v_subrev_u32_e32 v2, 28, v1
	v_lshlrev_b64 v[2:3], v2, v[0:1]
	v_sub_u32_e32 v1, 29, v1
	v_and_b32_e32 v2, 7, v2
	v_cndmask_b32_e32 v1, v6, v1, vcc
	v_cndmask_b32_e32 v2, v4, v2, vcc
	v_bfrev_b32_e32 v4, 60
	v_lshlrev_b32_e32 v2, 20, v2
	v_and_b32_sdwa v3, sext(v0), s27 dst_sel:DWORD dst_unused:UNUSED_PAD src0_sel:BYTE_0 src1_sel:DWORD
	v_lshl_add_u32 v1, v1, 23, v4
	v_or3_b32 v4, v3, v1, v2
	buffer_store_dword v4, off, s[0:3], s32 offset:632 ; 4-byte Folded Spill
	s_nop 0
	buffer_store_dword v5, off, s[0:3], s32 offset:636 ; 4-byte Folded Spill
.LBB239_320:                            ;   in Loop: Header=BB239_13 Depth=1
	s_or_b64 exec, exec, s[40:41]
.LBB239_321:                            ;   in Loop: Header=BB239_13 Depth=1
	s_or_b64 exec, exec, s[38:39]
.LBB239_322:                            ;   in Loop: Header=BB239_13 Depth=1
	s_or_b64 exec, exec, s[36:37]
	v_cmp_ne_u16_sdwa vcc, v0, v5 src0_sel:BYTE_1 src1_sel:DWORD
	s_and_saveexec_b64 s[36:37], vcc
	s_cbranch_execz .LBB239_328
; %bb.323:                              ;   in Loop: Header=BB239_13 Depth=1
	v_cmp_ne_u16_sdwa vcc, v0, s43 src0_sel:BYTE_1 src1_sel:DWORD
	v_pk_mov_b32 v[2:3], s[26:27], s[26:27] op_sel:[0,1]
	buffer_store_dword v2, off, s[0:3], s32 offset:640 ; 4-byte Folded Spill
	s_nop 0
	buffer_store_dword v3, off, s[0:3], s32 offset:644 ; 4-byte Folded Spill
	s_and_saveexec_b64 s[38:39], vcc
	s_cbranch_execz .LBB239_327
; %bb.324:                              ;   in Loop: Header=BB239_13 Depth=1
	v_and_b32_sdwa v1, v0, s44 dst_sel:DWORD dst_unused:UNUSED_PAD src0_sel:BYTE_1 src1_sel:DWORD
	s_mov_b32 s34, s26
	v_cmp_ne_u32_e32 vcc, s44, v1
	v_pk_mov_b32 v[2:3], s[34:35], s[34:35] op_sel:[0,1]
	buffer_store_dword v2, off, s[0:3], s32 offset:640 ; 4-byte Folded Spill
	s_nop 0
	buffer_store_dword v3, off, s[0:3], s32 offset:644 ; 4-byte Folded Spill
	s_and_saveexec_b64 s[40:41], vcc
	s_cbranch_execz .LBB239_326
; %bb.325:                              ;   in Loop: Header=BB239_13 Depth=1
	v_mov_b32_e32 v2, 7
	v_and_b32_sdwa v4, v0, v2 dst_sel:DWORD dst_unused:UNUSED_PAD src0_sel:BYTE_1 src1_sel:DWORD
	v_lshrrev_b32_e32 v6, 3, v1
	v_cmp_gt_u32_e32 vcc, 8, v1
	v_ffbh_u32_e32 v1, v4
	v_min_u32_e32 v1, 32, v1
	v_subrev_u32_e32 v2, 28, v1
	v_lshlrev_b64 v[2:3], v2, v[4:5]
	v_sub_u32_e32 v1, 29, v1
	v_and_b32_e32 v2, 7, v2
	v_cndmask_b32_e32 v1, v6, v1, vcc
	v_bfrev_b32_e32 v3, 60
	v_cndmask_b32_e32 v2, v4, v2, vcc
	v_lshlrev_b32_e32 v0, 16, v0
	v_lshl_add_u32 v1, v1, 23, v3
	v_and_or_b32 v0, v0, s27, v1
	v_lshlrev_b32_e32 v1, 20, v2
	v_or_b32_e32 v1, v0, v1
	v_mov_b32_e32 v0, v5
	buffer_store_dword v0, off, s[0:3], s32 offset:640 ; 4-byte Folded Spill
	s_nop 0
	buffer_store_dword v1, off, s[0:3], s32 offset:644 ; 4-byte Folded Spill
.LBB239_326:                            ;   in Loop: Header=BB239_13 Depth=1
	s_or_b64 exec, exec, s[40:41]
.LBB239_327:                            ;   in Loop: Header=BB239_13 Depth=1
	s_or_b64 exec, exec, s[38:39]
.LBB239_328:                            ;   in Loop: Header=BB239_13 Depth=1
	s_or_b64 exec, exec, s[36:37]
	v_add_co_u32_e32 v0, vcc, 0xc00, v16
	v_addc_co_u32_e32 v1, vcc, 0, v17, vcc
	flat_load_ushort v3, v[0:1] offset:8
	v_pk_mov_b32 v[6:7], 0, 0
	buffer_store_dword v6, off, s[0:3], s32 offset:656 ; 4-byte Folded Spill
	s_nop 0
	buffer_store_dword v7, off, s[0:3], s32 offset:660 ; 4-byte Folded Spill
	buffer_store_dword v6, off, s[0:3], s32 offset:648 ; 4-byte Folded Spill
	s_nop 0
	buffer_store_dword v7, off, s[0:3], s32 offset:652 ; 4-byte Folded Spill
	s_waitcnt vmcnt(0) lgkmcnt(0)
	v_and_b32_e32 v2, 0xffff, v3
	v_cmp_ne_u16_sdwa vcc, v3, v5 src0_sel:BYTE_0 src1_sel:DWORD
	s_and_saveexec_b64 s[36:37], vcc
	s_cbranch_execz .LBB239_334
; %bb.329:                              ;   in Loop: Header=BB239_13 Depth=1
	v_bfrev_b32_e32 v6, 1
	v_cmp_ne_u16_sdwa vcc, v2, s43 src0_sel:BYTE_0 src1_sel:DWORD
	v_mov_b32_e32 v7, 0
	buffer_store_dword v6, off, s[0:3], s32 offset:648 ; 4-byte Folded Spill
	s_nop 0
	buffer_store_dword v7, off, s[0:3], s32 offset:652 ; 4-byte Folded Spill
	s_and_saveexec_b64 s[38:39], vcc
	s_cbranch_execz .LBB239_333
; %bb.330:                              ;   in Loop: Header=BB239_13 Depth=1
	v_and_b32_e32 v3, 0x7f, v2
	v_mov_b32_e32 v6, 0x7f800001
	v_cmp_ne_u32_e32 vcc, s44, v3
	v_mov_b32_e32 v7, 0
	buffer_store_dword v6, off, s[0:3], s32 offset:648 ; 4-byte Folded Spill
	s_nop 0
	buffer_store_dword v7, off, s[0:3], s32 offset:652 ; 4-byte Folded Spill
	s_and_saveexec_b64 s[40:41], vcc
	s_cbranch_execz .LBB239_332
; %bb.331:                              ;   in Loop: Header=BB239_13 Depth=1
	v_and_b32_e32 v4, 7, v2
	v_lshrrev_b32_e32 v8, 3, v3
	v_cmp_gt_u32_e32 vcc, 8, v3
	v_ffbh_u32_e32 v3, v4
	v_min_u32_e32 v3, 32, v3
	v_subrev_u32_e32 v6, 28, v3
	v_lshlrev_b64 v[6:7], v6, v[2:3]
	v_sub_u32_e32 v3, 29, v3
	v_and_b32_e32 v6, 7, v6
	v_cndmask_b32_e32 v3, v8, v3, vcc
	v_cndmask_b32_e32 v4, v4, v6, vcc
	v_bfrev_b32_e32 v7, 60
	v_lshlrev_b32_e32 v4, 20, v4
	v_and_b32_sdwa v6, sext(v2), s27 dst_sel:DWORD dst_unused:UNUSED_PAD src0_sel:BYTE_0 src1_sel:DWORD
	v_lshl_add_u32 v3, v3, 23, v7
	v_or3_b32 v4, v6, v3, v4
	buffer_store_dword v4, off, s[0:3], s32 offset:648 ; 4-byte Folded Spill
	s_nop 0
	buffer_store_dword v5, off, s[0:3], s32 offset:652 ; 4-byte Folded Spill
.LBB239_332:                            ;   in Loop: Header=BB239_13 Depth=1
	s_or_b64 exec, exec, s[40:41]
.LBB239_333:                            ;   in Loop: Header=BB239_13 Depth=1
	s_or_b64 exec, exec, s[38:39]
.LBB239_334:                            ;   in Loop: Header=BB239_13 Depth=1
	s_or_b64 exec, exec, s[36:37]
	v_cmp_ne_u16_sdwa vcc, v2, v5 src0_sel:BYTE_1 src1_sel:DWORD
	s_and_saveexec_b64 s[36:37], vcc
	s_cbranch_execz .LBB239_340
; %bb.335:                              ;   in Loop: Header=BB239_13 Depth=1
	v_cmp_ne_u16_sdwa vcc, v2, s43 src0_sel:BYTE_1 src1_sel:DWORD
	v_pk_mov_b32 v[6:7], s[26:27], s[26:27] op_sel:[0,1]
	buffer_store_dword v6, off, s[0:3], s32 offset:656 ; 4-byte Folded Spill
	s_nop 0
	buffer_store_dword v7, off, s[0:3], s32 offset:660 ; 4-byte Folded Spill
	s_and_saveexec_b64 s[38:39], vcc
	s_cbranch_execz .LBB239_339
; %bb.336:                              ;   in Loop: Header=BB239_13 Depth=1
	v_and_b32_sdwa v3, v2, s44 dst_sel:DWORD dst_unused:UNUSED_PAD src0_sel:BYTE_1 src1_sel:DWORD
	s_mov_b32 s34, s26
	v_cmp_ne_u32_e32 vcc, s44, v3
	v_pk_mov_b32 v[6:7], s[34:35], s[34:35] op_sel:[0,1]
	buffer_store_dword v6, off, s[0:3], s32 offset:656 ; 4-byte Folded Spill
	s_nop 0
	buffer_store_dword v7, off, s[0:3], s32 offset:660 ; 4-byte Folded Spill
	s_and_saveexec_b64 s[40:41], vcc
	s_cbranch_execz .LBB239_338
; %bb.337:                              ;   in Loop: Header=BB239_13 Depth=1
	v_mov_b32_e32 v4, 7
	v_and_b32_sdwa v4, v2, v4 dst_sel:DWORD dst_unused:UNUSED_PAD src0_sel:BYTE_1 src1_sel:DWORD
	v_lshrrev_b32_e32 v8, 3, v3
	v_cmp_gt_u32_e32 vcc, 8, v3
	v_ffbh_u32_e32 v3, v4
	v_min_u32_e32 v3, 32, v3
	v_subrev_u32_e32 v6, 28, v3
	v_lshlrev_b64 v[6:7], v6, v[4:5]
	v_sub_u32_e32 v3, 29, v3
	v_and_b32_e32 v6, 7, v6
	v_cndmask_b32_e32 v3, v8, v3, vcc
	v_cndmask_b32_e32 v4, v4, v6, vcc
	v_bfrev_b32_e32 v6, 60
	v_lshlrev_b32_e32 v2, 16, v2
	v_lshl_add_u32 v3, v3, 23, v6
	v_and_or_b32 v2, v2, s27, v3
	v_lshlrev_b32_e32 v3, 20, v4
	v_or_b32_e32 v3, v2, v3
	v_mov_b32_e32 v2, v5
	buffer_store_dword v2, off, s[0:3], s32 offset:656 ; 4-byte Folded Spill
	s_nop 0
	buffer_store_dword v3, off, s[0:3], s32 offset:660 ; 4-byte Folded Spill
.LBB239_338:                            ;   in Loop: Header=BB239_13 Depth=1
	s_or_b64 exec, exec, s[40:41]
.LBB239_339:                            ;   in Loop: Header=BB239_13 Depth=1
	s_or_b64 exec, exec, s[38:39]
.LBB239_340:                            ;   in Loop: Header=BB239_13 Depth=1
	s_or_b64 exec, exec, s[36:37]
	flat_load_ushort v1, v[0:1] offset:12
	v_pk_mov_b32 v[2:3], 0, 0
	v_accvgpr_write_b32 a49, v3
	v_accvgpr_write_b32 a48, v2
	buffer_store_dword v2, off, s[0:3], s32 offset:664 ; 4-byte Folded Spill
	s_nop 0
	buffer_store_dword v3, off, s[0:3], s32 offset:668 ; 4-byte Folded Spill
	s_waitcnt vmcnt(0) lgkmcnt(0)
	v_and_b32_e32 v0, 0xffff, v1
	v_cmp_ne_u16_sdwa vcc, v1, v5 src0_sel:BYTE_0 src1_sel:DWORD
	s_and_saveexec_b64 s[36:37], vcc
	s_cbranch_execz .LBB239_346
; %bb.341:                              ;   in Loop: Header=BB239_13 Depth=1
	v_bfrev_b32_e32 v2, 1
	v_cmp_ne_u16_sdwa vcc, v0, s43 src0_sel:BYTE_0 src1_sel:DWORD
	v_mov_b32_e32 v3, 0
	buffer_store_dword v2, off, s[0:3], s32 offset:664 ; 4-byte Folded Spill
	s_nop 0
	buffer_store_dword v3, off, s[0:3], s32 offset:668 ; 4-byte Folded Spill
	s_and_saveexec_b64 s[38:39], vcc
	s_cbranch_execz .LBB239_345
; %bb.342:                              ;   in Loop: Header=BB239_13 Depth=1
	v_and_b32_e32 v1, 0x7f, v0
	v_mov_b32_e32 v2, 0x7f800001
	v_cmp_ne_u32_e32 vcc, s44, v1
	v_mov_b32_e32 v3, 0
	buffer_store_dword v2, off, s[0:3], s32 offset:664 ; 4-byte Folded Spill
	s_nop 0
	buffer_store_dword v3, off, s[0:3], s32 offset:668 ; 4-byte Folded Spill
	s_and_saveexec_b64 s[40:41], vcc
	s_cbranch_execz .LBB239_344
; %bb.343:                              ;   in Loop: Header=BB239_13 Depth=1
	v_and_b32_e32 v4, 7, v0
	v_lshrrev_b32_e32 v6, 3, v1
	v_cmp_gt_u32_e32 vcc, 8, v1
	v_ffbh_u32_e32 v1, v4
	v_min_u32_e32 v1, 32, v1
	v_subrev_u32_e32 v2, 28, v1
	v_lshlrev_b64 v[2:3], v2, v[0:1]
	v_sub_u32_e32 v1, 29, v1
	v_and_b32_e32 v2, 7, v2
	v_cndmask_b32_e32 v1, v6, v1, vcc
	v_cndmask_b32_e32 v2, v4, v2, vcc
	v_bfrev_b32_e32 v4, 60
	v_lshlrev_b32_e32 v2, 20, v2
	v_and_b32_sdwa v3, sext(v0), s27 dst_sel:DWORD dst_unused:UNUSED_PAD src0_sel:BYTE_0 src1_sel:DWORD
	v_lshl_add_u32 v1, v1, 23, v4
	v_or3_b32 v4, v3, v1, v2
	buffer_store_dword v4, off, s[0:3], s32 offset:664 ; 4-byte Folded Spill
	s_nop 0
	buffer_store_dword v5, off, s[0:3], s32 offset:668 ; 4-byte Folded Spill
.LBB239_344:                            ;   in Loop: Header=BB239_13 Depth=1
	s_or_b64 exec, exec, s[40:41]
.LBB239_345:                            ;   in Loop: Header=BB239_13 Depth=1
	s_or_b64 exec, exec, s[38:39]
.LBB239_346:                            ;   in Loop: Header=BB239_13 Depth=1
	s_or_b64 exec, exec, s[36:37]
	v_cmp_ne_u16_sdwa vcc, v0, v5 src0_sel:BYTE_1 src1_sel:DWORD
	s_and_saveexec_b64 s[36:37], vcc
	s_cbranch_execz .LBB239_352
; %bb.347:                              ;   in Loop: Header=BB239_13 Depth=1
	v_accvgpr_write_b32 a49, s27
	v_cmp_ne_u16_sdwa vcc, v0, s43 src0_sel:BYTE_1 src1_sel:DWORD
	v_accvgpr_write_b32 a48, s26
	s_and_saveexec_b64 s[38:39], vcc
	s_cbranch_execz .LBB239_351
; %bb.348:                              ;   in Loop: Header=BB239_13 Depth=1
	v_and_b32_sdwa v1, v0, s44 dst_sel:DWORD dst_unused:UNUSED_PAD src0_sel:BYTE_1 src1_sel:DWORD
	s_mov_b32 s34, s26
	v_accvgpr_write_b32 a49, s35
	v_cmp_ne_u32_e32 vcc, s44, v1
	v_accvgpr_write_b32 a48, s34
	s_and_saveexec_b64 s[40:41], vcc
	s_cbranch_execz .LBB239_350
; %bb.349:                              ;   in Loop: Header=BB239_13 Depth=1
	v_mov_b32_e32 v2, 7
	v_and_b32_sdwa v4, v0, v2 dst_sel:DWORD dst_unused:UNUSED_PAD src0_sel:BYTE_1 src1_sel:DWORD
	v_lshrrev_b32_e32 v6, 3, v1
	v_cmp_gt_u32_e32 vcc, 8, v1
	v_ffbh_u32_e32 v1, v4
	v_min_u32_e32 v1, 32, v1
	v_subrev_u32_e32 v2, 28, v1
	v_lshlrev_b64 v[2:3], v2, v[4:5]
	v_sub_u32_e32 v1, 29, v1
	v_and_b32_e32 v2, 7, v2
	v_cndmask_b32_e32 v1, v6, v1, vcc
	v_bfrev_b32_e32 v3, 60
	v_cndmask_b32_e32 v2, v4, v2, vcc
	v_lshlrev_b32_e32 v0, 16, v0
	v_lshl_add_u32 v1, v1, 23, v3
	v_and_or_b32 v0, v0, s27, v1
	v_lshlrev_b32_e32 v1, 20, v2
	v_or_b32_e32 v1, v0, v1
	v_mov_b32_e32 v0, v5
	v_accvgpr_write_b32 a49, v1
	v_accvgpr_write_b32 a48, v0
.LBB239_350:                            ;   in Loop: Header=BB239_13 Depth=1
	s_or_b64 exec, exec, s[40:41]
.LBB239_351:                            ;   in Loop: Header=BB239_13 Depth=1
	s_or_b64 exec, exec, s[38:39]
.LBB239_352:                            ;   in Loop: Header=BB239_13 Depth=1
	s_or_b64 exec, exec, s[36:37]
	flat_load_ushort v1, v[16:17] offset:3584
	v_pk_mov_b32 v[2:3], 0, 0
	v_accvgpr_write_b32 a5, v3
	v_accvgpr_write_b32 a2, v2
	;; [unrolled: 1-line block ×4, first 2 shown]
	s_waitcnt vmcnt(0) lgkmcnt(0)
	v_and_b32_e32 v0, 0xffff, v1
	v_cmp_ne_u16_sdwa vcc, v1, v5 src0_sel:BYTE_0 src1_sel:DWORD
	s_and_saveexec_b64 s[36:37], vcc
	s_cbranch_execz .LBB239_358
; %bb.353:                              ;   in Loop: Header=BB239_13 Depth=1
	v_bfrev_b32_e32 v2, 1
	v_mov_b32_e32 v3, 0
	v_accvgpr_write_b32 a2, v2
	v_cmp_ne_u16_sdwa vcc, v0, s43 src0_sel:BYTE_0 src1_sel:DWORD
	v_accvgpr_write_b32 a3, v3
	s_and_saveexec_b64 s[38:39], vcc
	s_cbranch_execz .LBB239_357
; %bb.354:                              ;   in Loop: Header=BB239_13 Depth=1
	v_mov_b32_e32 v2, 0x7f800001
	v_and_b32_e32 v1, 0x7f, v0
	v_mov_b32_e32 v3, 0
	v_accvgpr_write_b32 a2, v2
	v_cmp_ne_u32_e32 vcc, s44, v1
	v_accvgpr_write_b32 a3, v3
	s_and_saveexec_b64 s[40:41], vcc
	s_cbranch_execz .LBB239_356
; %bb.355:                              ;   in Loop: Header=BB239_13 Depth=1
	v_and_b32_e32 v4, 7, v0
	v_lshrrev_b32_e32 v6, 3, v1
	v_cmp_gt_u32_e32 vcc, 8, v1
	v_ffbh_u32_e32 v1, v4
	v_min_u32_e32 v1, 32, v1
	v_subrev_u32_e32 v2, 28, v1
	v_lshlrev_b64 v[2:3], v2, v[0:1]
	v_sub_u32_e32 v1, 29, v1
	v_and_b32_e32 v2, 7, v2
	v_cndmask_b32_e32 v1, v6, v1, vcc
	v_cndmask_b32_e32 v2, v4, v2, vcc
	v_bfrev_b32_e32 v4, 60
	v_lshlrev_b32_e32 v2, 20, v2
	v_and_b32_sdwa v3, sext(v0), s27 dst_sel:DWORD dst_unused:UNUSED_PAD src0_sel:BYTE_0 src1_sel:DWORD
	v_lshl_add_u32 v1, v1, 23, v4
	v_or3_b32 v4, v3, v1, v2
	v_accvgpr_write_b32 a2, v4
	v_accvgpr_write_b32 a3, v5
.LBB239_356:                            ;   in Loop: Header=BB239_13 Depth=1
	s_or_b64 exec, exec, s[40:41]
.LBB239_357:                            ;   in Loop: Header=BB239_13 Depth=1
	s_or_b64 exec, exec, s[38:39]
.LBB239_358:                            ;   in Loop: Header=BB239_13 Depth=1
	s_or_b64 exec, exec, s[36:37]
	v_cmp_ne_u16_sdwa vcc, v0, v5 src0_sel:BYTE_1 src1_sel:DWORD
	s_and_saveexec_b64 s[36:37], vcc
	s_cbranch_execz .LBB239_364
; %bb.359:                              ;   in Loop: Header=BB239_13 Depth=1
	v_accvgpr_write_b32 a4, s26
	v_cmp_ne_u16_sdwa vcc, v0, s43 src0_sel:BYTE_1 src1_sel:DWORD
	v_accvgpr_write_b32 a5, s27
	s_and_saveexec_b64 s[38:39], vcc
	s_cbranch_execz .LBB239_363
; %bb.360:                              ;   in Loop: Header=BB239_13 Depth=1
	s_mov_b32 s34, s26
	v_and_b32_sdwa v1, v0, s44 dst_sel:DWORD dst_unused:UNUSED_PAD src0_sel:BYTE_1 src1_sel:DWORD
	v_accvgpr_write_b32 a4, s34
	v_cmp_ne_u32_e32 vcc, s44, v1
	v_accvgpr_write_b32 a5, s35
	s_and_saveexec_b64 s[40:41], vcc
	s_cbranch_execz .LBB239_362
; %bb.361:                              ;   in Loop: Header=BB239_13 Depth=1
	v_mov_b32_e32 v2, 7
	v_and_b32_sdwa v4, v0, v2 dst_sel:DWORD dst_unused:UNUSED_PAD src0_sel:BYTE_1 src1_sel:DWORD
	v_lshrrev_b32_e32 v6, 3, v1
	v_cmp_gt_u32_e32 vcc, 8, v1
	v_ffbh_u32_e32 v1, v4
	v_min_u32_e32 v1, 32, v1
	v_subrev_u32_e32 v2, 28, v1
	v_lshlrev_b64 v[2:3], v2, v[4:5]
	v_sub_u32_e32 v1, 29, v1
	v_and_b32_e32 v2, 7, v2
	v_cndmask_b32_e32 v1, v6, v1, vcc
	v_bfrev_b32_e32 v3, 60
	v_cndmask_b32_e32 v2, v4, v2, vcc
	v_lshlrev_b32_e32 v0, 16, v0
	v_lshl_add_u32 v1, v1, 23, v3
	v_and_or_b32 v0, v0, s27, v1
	v_lshlrev_b32_e32 v1, 20, v2
	v_or_b32_e32 v1, v0, v1
	v_mov_b32_e32 v0, v5
	v_accvgpr_write_b32 a5, v1
	v_accvgpr_write_b32 a4, v0
.LBB239_362:                            ;   in Loop: Header=BB239_13 Depth=1
	s_or_b64 exec, exec, s[40:41]
.LBB239_363:                            ;   in Loop: Header=BB239_13 Depth=1
	s_or_b64 exec, exec, s[38:39]
.LBB239_364:                            ;   in Loop: Header=BB239_13 Depth=1
	s_or_b64 exec, exec, s[36:37]
	flat_load_ushort v1, v[16:17] offset:3588
	v_pk_mov_b32 v[2:3], 0, 0
	v_accvgpr_write_b32 a21, v3
	v_accvgpr_write_b32 a31, v3
	;; [unrolled: 1-line block ×4, first 2 shown]
	s_waitcnt vmcnt(0) lgkmcnt(0)
	v_and_b32_e32 v0, 0xffff, v1
	v_cmp_ne_u16_sdwa vcc, v1, v5 src0_sel:BYTE_0 src1_sel:DWORD
	s_and_saveexec_b64 s[36:37], vcc
	s_cbranch_execz .LBB239_370
; %bb.365:                              ;   in Loop: Header=BB239_13 Depth=1
	v_bfrev_b32_e32 v2, 1
	v_mov_b32_e32 v3, 0
	v_accvgpr_write_b32 a31, v3
	v_cmp_ne_u16_sdwa vcc, v0, s43 src0_sel:BYTE_0 src1_sel:DWORD
	v_accvgpr_write_b32 a30, v2
	s_and_saveexec_b64 s[38:39], vcc
	s_cbranch_execz .LBB239_369
; %bb.366:                              ;   in Loop: Header=BB239_13 Depth=1
	v_mov_b32_e32 v2, 0x7f800001
	v_mov_b32_e32 v3, 0
	v_and_b32_e32 v1, 0x7f, v0
	v_accvgpr_write_b32 a31, v3
	v_cmp_ne_u32_e32 vcc, s44, v1
	v_accvgpr_write_b32 a30, v2
	s_and_saveexec_b64 s[40:41], vcc
	s_cbranch_execz .LBB239_368
; %bb.367:                              ;   in Loop: Header=BB239_13 Depth=1
	v_and_b32_e32 v4, 7, v0
	v_lshrrev_b32_e32 v6, 3, v1
	v_cmp_gt_u32_e32 vcc, 8, v1
	v_ffbh_u32_e32 v1, v4
	v_min_u32_e32 v1, 32, v1
	v_subrev_u32_e32 v2, 28, v1
	v_lshlrev_b64 v[2:3], v2, v[0:1]
	v_sub_u32_e32 v1, 29, v1
	v_and_b32_e32 v2, 7, v2
	v_cndmask_b32_e32 v1, v6, v1, vcc
	v_cndmask_b32_e32 v2, v4, v2, vcc
	v_bfrev_b32_e32 v4, 60
	v_lshlrev_b32_e32 v2, 20, v2
	v_and_b32_sdwa v3, sext(v0), s27 dst_sel:DWORD dst_unused:UNUSED_PAD src0_sel:BYTE_0 src1_sel:DWORD
	v_lshl_add_u32 v1, v1, 23, v4
	v_or3_b32 v4, v3, v1, v2
	v_accvgpr_write_b32 a31, v5
	v_accvgpr_write_b32 a30, v4
.LBB239_368:                            ;   in Loop: Header=BB239_13 Depth=1
	s_or_b64 exec, exec, s[40:41]
.LBB239_369:                            ;   in Loop: Header=BB239_13 Depth=1
	s_or_b64 exec, exec, s[38:39]
.LBB239_370:                            ;   in Loop: Header=BB239_13 Depth=1
	s_or_b64 exec, exec, s[36:37]
	v_cmp_ne_u16_sdwa vcc, v0, v5 src0_sel:BYTE_1 src1_sel:DWORD
	s_and_saveexec_b64 s[36:37], vcc
	s_cbranch_execz .LBB239_376
; %bb.371:                              ;   in Loop: Header=BB239_13 Depth=1
	v_accvgpr_write_b32 a20, s26
	v_cmp_ne_u16_sdwa vcc, v0, s43 src0_sel:BYTE_1 src1_sel:DWORD
	v_accvgpr_write_b32 a21, s27
	s_and_saveexec_b64 s[38:39], vcc
	s_cbranch_execz .LBB239_375
; %bb.372:                              ;   in Loop: Header=BB239_13 Depth=1
	s_mov_b32 s34, s26
	v_and_b32_sdwa v1, v0, s44 dst_sel:DWORD dst_unused:UNUSED_PAD src0_sel:BYTE_1 src1_sel:DWORD
	v_accvgpr_write_b32 a20, s34
	v_cmp_ne_u32_e32 vcc, s44, v1
	v_accvgpr_write_b32 a21, s35
	s_and_saveexec_b64 s[40:41], vcc
	s_cbranch_execz .LBB239_374
; %bb.373:                              ;   in Loop: Header=BB239_13 Depth=1
	v_mov_b32_e32 v2, 7
	v_and_b32_sdwa v4, v0, v2 dst_sel:DWORD dst_unused:UNUSED_PAD src0_sel:BYTE_1 src1_sel:DWORD
	v_lshrrev_b32_e32 v6, 3, v1
	v_cmp_gt_u32_e32 vcc, 8, v1
	v_ffbh_u32_e32 v1, v4
	v_min_u32_e32 v1, 32, v1
	v_subrev_u32_e32 v2, 28, v1
	v_lshlrev_b64 v[2:3], v2, v[4:5]
	v_sub_u32_e32 v1, 29, v1
	v_and_b32_e32 v2, 7, v2
	v_cndmask_b32_e32 v1, v6, v1, vcc
	v_bfrev_b32_e32 v3, 60
	v_cndmask_b32_e32 v2, v4, v2, vcc
	v_lshlrev_b32_e32 v0, 16, v0
	v_lshl_add_u32 v1, v1, 23, v3
	v_and_or_b32 v0, v0, s27, v1
	v_lshlrev_b32_e32 v1, 20, v2
	v_or_b32_e32 v1, v0, v1
	v_mov_b32_e32 v0, v5
	v_accvgpr_write_b32 a21, v1
	v_accvgpr_write_b32 a20, v0
.LBB239_374:                            ;   in Loop: Header=BB239_13 Depth=1
	s_or_b64 exec, exec, s[40:41]
.LBB239_375:                            ;   in Loop: Header=BB239_13 Depth=1
	s_or_b64 exec, exec, s[38:39]
.LBB239_376:                            ;   in Loop: Header=BB239_13 Depth=1
	s_or_b64 exec, exec, s[36:37]
	v_add_co_u32_e32 v0, vcc, 0xe00, v16
	v_addc_co_u32_e32 v1, vcc, 0, v17, vcc
	flat_load_ushort v3, v[0:1] offset:8
	v_pk_mov_b32 v[6:7], 0, 0
	v_accvgpr_write_b32 a0, v6
	v_accvgpr_write_b32 a6, v6
	;; [unrolled: 1-line block ×4, first 2 shown]
	s_waitcnt vmcnt(0) lgkmcnt(0)
	v_and_b32_e32 v2, 0xffff, v3
	v_cmp_ne_u16_sdwa vcc, v3, v5 src0_sel:BYTE_0 src1_sel:DWORD
	s_and_saveexec_b64 s[36:37], vcc
	s_cbranch_execz .LBB239_382
; %bb.377:                              ;   in Loop: Header=BB239_13 Depth=1
	v_bfrev_b32_e32 v6, 1
	v_mov_b32_e32 v7, 0
	v_accvgpr_write_b32 a6, v6
	v_cmp_ne_u16_sdwa vcc, v2, s43 src0_sel:BYTE_0 src1_sel:DWORD
	v_accvgpr_write_b32 a7, v7
	s_and_saveexec_b64 s[38:39], vcc
	s_cbranch_execz .LBB239_381
; %bb.378:                              ;   in Loop: Header=BB239_13 Depth=1
	v_mov_b32_e32 v6, 0x7f800001
	v_and_b32_e32 v3, 0x7f, v2
	v_mov_b32_e32 v7, 0
	v_accvgpr_write_b32 a6, v6
	v_cmp_ne_u32_e32 vcc, s44, v3
	v_accvgpr_write_b32 a7, v7
	s_and_saveexec_b64 s[40:41], vcc
	s_cbranch_execz .LBB239_380
; %bb.379:                              ;   in Loop: Header=BB239_13 Depth=1
	v_and_b32_e32 v4, 7, v2
	v_lshrrev_b32_e32 v8, 3, v3
	v_cmp_gt_u32_e32 vcc, 8, v3
	v_ffbh_u32_e32 v3, v4
	v_min_u32_e32 v3, 32, v3
	v_subrev_u32_e32 v6, 28, v3
	v_lshlrev_b64 v[6:7], v6, v[2:3]
	v_sub_u32_e32 v3, 29, v3
	v_and_b32_e32 v6, 7, v6
	v_cndmask_b32_e32 v3, v8, v3, vcc
	v_cndmask_b32_e32 v4, v4, v6, vcc
	v_bfrev_b32_e32 v7, 60
	v_lshlrev_b32_e32 v4, 20, v4
	v_and_b32_sdwa v6, sext(v2), s27 dst_sel:DWORD dst_unused:UNUSED_PAD src0_sel:BYTE_0 src1_sel:DWORD
	v_lshl_add_u32 v3, v3, 23, v7
	v_or3_b32 v4, v6, v3, v4
	v_accvgpr_write_b32 a7, v5
	v_accvgpr_write_b32 a6, v4
.LBB239_380:                            ;   in Loop: Header=BB239_13 Depth=1
	s_or_b64 exec, exec, s[40:41]
.LBB239_381:                            ;   in Loop: Header=BB239_13 Depth=1
	s_or_b64 exec, exec, s[38:39]
.LBB239_382:                            ;   in Loop: Header=BB239_13 Depth=1
	s_or_b64 exec, exec, s[36:37]
	v_cmp_ne_u16_sdwa vcc, v2, v5 src0_sel:BYTE_1 src1_sel:DWORD
	s_and_saveexec_b64 s[36:37], vcc
	s_cbranch_execz .LBB239_388
; %bb.383:                              ;   in Loop: Header=BB239_13 Depth=1
	v_accvgpr_write_b32 a0, s26
	v_cmp_ne_u16_sdwa vcc, v2, s43 src0_sel:BYTE_1 src1_sel:DWORD
	v_accvgpr_write_b32 a1, s27
	s_and_saveexec_b64 s[38:39], vcc
	s_cbranch_execz .LBB239_387
; %bb.384:                              ;   in Loop: Header=BB239_13 Depth=1
	s_mov_b32 s34, s26
	v_and_b32_sdwa v3, v2, s44 dst_sel:DWORD dst_unused:UNUSED_PAD src0_sel:BYTE_1 src1_sel:DWORD
	v_accvgpr_write_b32 a0, s34
	v_cmp_ne_u32_e32 vcc, s44, v3
	v_accvgpr_write_b32 a1, s35
	s_and_saveexec_b64 s[40:41], vcc
	s_cbranch_execz .LBB239_386
; %bb.385:                              ;   in Loop: Header=BB239_13 Depth=1
	v_mov_b32_e32 v4, 7
	v_and_b32_sdwa v4, v2, v4 dst_sel:DWORD dst_unused:UNUSED_PAD src0_sel:BYTE_1 src1_sel:DWORD
	v_lshrrev_b32_e32 v8, 3, v3
	v_cmp_gt_u32_e32 vcc, 8, v3
	v_ffbh_u32_e32 v3, v4
	v_min_u32_e32 v3, 32, v3
	v_subrev_u32_e32 v6, 28, v3
	v_lshlrev_b64 v[6:7], v6, v[4:5]
	v_sub_u32_e32 v3, 29, v3
	v_and_b32_e32 v6, 7, v6
	v_cndmask_b32_e32 v3, v8, v3, vcc
	v_cndmask_b32_e32 v4, v4, v6, vcc
	v_bfrev_b32_e32 v6, 60
	v_lshlrev_b32_e32 v2, 16, v2
	v_lshl_add_u32 v3, v3, 23, v6
	v_and_or_b32 v2, v2, s27, v3
	v_lshlrev_b32_e32 v3, 20, v4
	v_or_b32_e32 v3, v2, v3
	v_mov_b32_e32 v2, v5
	v_accvgpr_write_b32 a0, v2
	v_accvgpr_write_b32 a1, v3
.LBB239_386:                            ;   in Loop: Header=BB239_13 Depth=1
	s_or_b64 exec, exec, s[40:41]
.LBB239_387:                            ;   in Loop: Header=BB239_13 Depth=1
	s_or_b64 exec, exec, s[38:39]
.LBB239_388:                            ;   in Loop: Header=BB239_13 Depth=1
	s_or_b64 exec, exec, s[36:37]
	flat_load_ushort v1, v[0:1] offset:12
	v_pk_mov_b32 v[2:3], 0, 0
	v_accvgpr_write_b32 a29, v3
	v_accvgpr_write_b32 a53, v3
	;; [unrolled: 1-line block ×4, first 2 shown]
	s_waitcnt vmcnt(0) lgkmcnt(0)
	v_and_b32_e32 v0, 0xffff, v1
	v_cmp_ne_u16_sdwa vcc, v1, v5 src0_sel:BYTE_0 src1_sel:DWORD
	s_and_saveexec_b64 s[36:37], vcc
	s_cbranch_execz .LBB239_394
; %bb.389:                              ;   in Loop: Header=BB239_13 Depth=1
	v_bfrev_b32_e32 v2, 1
	v_mov_b32_e32 v3, 0
	v_accvgpr_write_b32 a53, v3
	v_cmp_ne_u16_sdwa vcc, v0, s43 src0_sel:BYTE_0 src1_sel:DWORD
	v_accvgpr_write_b32 a52, v2
	s_and_saveexec_b64 s[38:39], vcc
	s_cbranch_execz .LBB239_393
; %bb.390:                              ;   in Loop: Header=BB239_13 Depth=1
	v_mov_b32_e32 v2, 0x7f800001
	v_mov_b32_e32 v3, 0
	v_and_b32_e32 v1, 0x7f, v0
	v_accvgpr_write_b32 a53, v3
	v_cmp_ne_u32_e32 vcc, s44, v1
	v_accvgpr_write_b32 a52, v2
	s_and_saveexec_b64 s[40:41], vcc
	s_cbranch_execz .LBB239_392
; %bb.391:                              ;   in Loop: Header=BB239_13 Depth=1
	v_and_b32_e32 v4, 7, v0
	v_lshrrev_b32_e32 v6, 3, v1
	v_cmp_gt_u32_e32 vcc, 8, v1
	v_ffbh_u32_e32 v1, v4
	v_min_u32_e32 v1, 32, v1
	v_subrev_u32_e32 v2, 28, v1
	v_lshlrev_b64 v[2:3], v2, v[0:1]
	v_sub_u32_e32 v1, 29, v1
	v_and_b32_e32 v2, 7, v2
	v_cndmask_b32_e32 v1, v6, v1, vcc
	v_cndmask_b32_e32 v2, v4, v2, vcc
	v_bfrev_b32_e32 v4, 60
	v_lshlrev_b32_e32 v2, 20, v2
	v_and_b32_sdwa v3, sext(v0), s27 dst_sel:DWORD dst_unused:UNUSED_PAD src0_sel:BYTE_0 src1_sel:DWORD
	v_lshl_add_u32 v1, v1, 23, v4
	v_or3_b32 v4, v3, v1, v2
	v_accvgpr_write_b32 a53, v5
	v_accvgpr_write_b32 a52, v4
.LBB239_392:                            ;   in Loop: Header=BB239_13 Depth=1
	s_or_b64 exec, exec, s[40:41]
.LBB239_393:                            ;   in Loop: Header=BB239_13 Depth=1
	s_or_b64 exec, exec, s[38:39]
.LBB239_394:                            ;   in Loop: Header=BB239_13 Depth=1
	s_or_b64 exec, exec, s[36:37]
	v_cmp_ne_u16_sdwa vcc, v0, v5 src0_sel:BYTE_1 src1_sel:DWORD
	s_and_saveexec_b64 s[36:37], vcc
	s_cbranch_execz .LBB239_400
; %bb.395:                              ;   in Loop: Header=BB239_13 Depth=1
	v_accvgpr_write_b32 a29, s27
	v_cmp_ne_u16_sdwa vcc, v0, s43 src0_sel:BYTE_1 src1_sel:DWORD
	v_accvgpr_write_b32 a28, s26
	s_and_saveexec_b64 s[38:39], vcc
	s_cbranch_execz .LBB239_399
; %bb.396:                              ;   in Loop: Header=BB239_13 Depth=1
	s_mov_b32 s34, s26
	v_and_b32_sdwa v1, v0, s44 dst_sel:DWORD dst_unused:UNUSED_PAD src0_sel:BYTE_1 src1_sel:DWORD
	v_accvgpr_write_b32 a28, s34
	v_cmp_ne_u32_e32 vcc, s44, v1
	v_accvgpr_write_b32 a29, s35
	s_and_saveexec_b64 s[40:41], vcc
	s_cbranch_execz .LBB239_398
; %bb.397:                              ;   in Loop: Header=BB239_13 Depth=1
	v_mov_b32_e32 v2, 7
	v_and_b32_sdwa v4, v0, v2 dst_sel:DWORD dst_unused:UNUSED_PAD src0_sel:BYTE_1 src1_sel:DWORD
	v_lshrrev_b32_e32 v6, 3, v1
	v_cmp_gt_u32_e32 vcc, 8, v1
	v_ffbh_u32_e32 v1, v4
	v_min_u32_e32 v1, 32, v1
	v_subrev_u32_e32 v2, 28, v1
	v_lshlrev_b64 v[2:3], v2, v[4:5]
	v_sub_u32_e32 v1, 29, v1
	v_and_b32_e32 v2, 7, v2
	v_cndmask_b32_e32 v1, v6, v1, vcc
	v_bfrev_b32_e32 v3, 60
	v_cndmask_b32_e32 v2, v4, v2, vcc
	v_lshlrev_b32_e32 v0, 16, v0
	v_lshl_add_u32 v1, v1, 23, v3
	v_and_or_b32 v0, v0, s27, v1
	v_lshlrev_b32_e32 v1, 20, v2
	v_or_b32_e32 v1, v0, v1
	v_mov_b32_e32 v0, v5
	v_accvgpr_write_b32 a29, v1
	v_accvgpr_write_b32 a28, v0
.LBB239_398:                            ;   in Loop: Header=BB239_13 Depth=1
	s_or_b64 exec, exec, s[40:41]
.LBB239_399:                            ;   in Loop: Header=BB239_13 Depth=1
	s_or_b64 exec, exec, s[38:39]
.LBB239_400:                            ;   in Loop: Header=BB239_13 Depth=1
	s_or_b64 exec, exec, s[36:37]
	v_add_co_u32_e32 v0, vcc, 0x1000, v16
	v_addc_co_u32_e32 v1, vcc, 0, v17, vcc
	flat_load_ushort v1, v[0:1]
	v_pk_mov_b32 v[2:3], 0, 0
	v_accvgpr_write_b32 a61, v3
	v_accvgpr_write_b32 a13, v3
	;; [unrolled: 1-line block ×4, first 2 shown]
	s_waitcnt vmcnt(0) lgkmcnt(0)
	v_and_b32_e32 v0, 0xffff, v1
	v_cmp_ne_u16_sdwa vcc, v1, v5 src0_sel:BYTE_0 src1_sel:DWORD
	s_and_saveexec_b64 s[36:37], vcc
	s_cbranch_execz .LBB239_406
; %bb.401:                              ;   in Loop: Header=BB239_13 Depth=1
	v_bfrev_b32_e32 v2, 1
	v_mov_b32_e32 v3, 0
	v_accvgpr_write_b32 a13, v3
	v_cmp_ne_u16_sdwa vcc, v0, s43 src0_sel:BYTE_0 src1_sel:DWORD
	v_accvgpr_write_b32 a12, v2
	s_and_saveexec_b64 s[38:39], vcc
	s_cbranch_execz .LBB239_405
; %bb.402:                              ;   in Loop: Header=BB239_13 Depth=1
	v_mov_b32_e32 v2, 0x7f800001
	v_mov_b32_e32 v3, 0
	v_and_b32_e32 v1, 0x7f, v0
	v_accvgpr_write_b32 a13, v3
	v_cmp_ne_u32_e32 vcc, s44, v1
	v_accvgpr_write_b32 a12, v2
	s_and_saveexec_b64 s[40:41], vcc
	s_cbranch_execz .LBB239_404
; %bb.403:                              ;   in Loop: Header=BB239_13 Depth=1
	v_and_b32_e32 v4, 7, v0
	v_lshrrev_b32_e32 v6, 3, v1
	v_cmp_gt_u32_e32 vcc, 8, v1
	v_ffbh_u32_e32 v1, v4
	v_min_u32_e32 v1, 32, v1
	v_subrev_u32_e32 v2, 28, v1
	v_lshlrev_b64 v[2:3], v2, v[0:1]
	v_sub_u32_e32 v1, 29, v1
	v_and_b32_e32 v2, 7, v2
	v_cndmask_b32_e32 v1, v6, v1, vcc
	v_cndmask_b32_e32 v2, v4, v2, vcc
	v_bfrev_b32_e32 v4, 60
	v_lshlrev_b32_e32 v2, 20, v2
	v_and_b32_sdwa v3, sext(v0), s27 dst_sel:DWORD dst_unused:UNUSED_PAD src0_sel:BYTE_0 src1_sel:DWORD
	v_lshl_add_u32 v1, v1, 23, v4
	v_or3_b32 v4, v3, v1, v2
	v_accvgpr_write_b32 a13, v5
	v_accvgpr_write_b32 a12, v4
.LBB239_404:                            ;   in Loop: Header=BB239_13 Depth=1
	s_or_b64 exec, exec, s[40:41]
.LBB239_405:                            ;   in Loop: Header=BB239_13 Depth=1
	s_or_b64 exec, exec, s[38:39]
.LBB239_406:                            ;   in Loop: Header=BB239_13 Depth=1
	s_or_b64 exec, exec, s[36:37]
	v_cmp_ne_u16_sdwa vcc, v0, v5 src0_sel:BYTE_1 src1_sel:DWORD
	s_and_saveexec_b64 s[36:37], vcc
	s_cbranch_execz .LBB239_412
; %bb.407:                              ;   in Loop: Header=BB239_13 Depth=1
	v_accvgpr_write_b32 a61, s27
	v_cmp_ne_u16_sdwa vcc, v0, s43 src0_sel:BYTE_1 src1_sel:DWORD
	v_accvgpr_write_b32 a60, s26
	s_and_saveexec_b64 s[38:39], vcc
	s_cbranch_execz .LBB239_411
; %bb.408:                              ;   in Loop: Header=BB239_13 Depth=1
	v_and_b32_sdwa v1, v0, s44 dst_sel:DWORD dst_unused:UNUSED_PAD src0_sel:BYTE_1 src1_sel:DWORD
	s_mov_b32 s34, s26
	v_accvgpr_write_b32 a61, s35
	v_cmp_ne_u32_e32 vcc, s44, v1
	v_accvgpr_write_b32 a60, s34
	s_and_saveexec_b64 s[40:41], vcc
	s_cbranch_execz .LBB239_410
; %bb.409:                              ;   in Loop: Header=BB239_13 Depth=1
	v_mov_b32_e32 v2, 7
	v_and_b32_sdwa v4, v0, v2 dst_sel:DWORD dst_unused:UNUSED_PAD src0_sel:BYTE_1 src1_sel:DWORD
	v_lshrrev_b32_e32 v6, 3, v1
	v_cmp_gt_u32_e32 vcc, 8, v1
	v_ffbh_u32_e32 v1, v4
	v_min_u32_e32 v1, 32, v1
	v_subrev_u32_e32 v2, 28, v1
	v_lshlrev_b64 v[2:3], v2, v[4:5]
	v_sub_u32_e32 v1, 29, v1
	v_and_b32_e32 v2, 7, v2
	v_cndmask_b32_e32 v1, v6, v1, vcc
	v_bfrev_b32_e32 v3, 60
	v_cndmask_b32_e32 v2, v4, v2, vcc
	v_lshlrev_b32_e32 v0, 16, v0
	v_lshl_add_u32 v1, v1, 23, v3
	v_and_or_b32 v0, v0, s27, v1
	v_lshlrev_b32_e32 v1, 20, v2
	v_or_b32_e32 v1, v0, v1
	v_mov_b32_e32 v0, v5
	v_accvgpr_write_b32 a61, v1
	v_accvgpr_write_b32 a60, v0
.LBB239_410:                            ;   in Loop: Header=BB239_13 Depth=1
	s_or_b64 exec, exec, s[40:41]
.LBB239_411:                            ;   in Loop: Header=BB239_13 Depth=1
	s_or_b64 exec, exec, s[38:39]
.LBB239_412:                            ;   in Loop: Header=BB239_13 Depth=1
	s_or_b64 exec, exec, s[36:37]
	v_add_co_u32_e32 v0, vcc, 0x1000, v16
	v_addc_co_u32_e32 v1, vcc, 0, v17, vcc
	flat_load_ushort v3, v[0:1] offset:4
	v_pk_mov_b32 v[6:7], 0, 0
	v_accvgpr_write_b32 a41, v7
	v_accvgpr_write_b32 a55, v7
	;; [unrolled: 1-line block ×4, first 2 shown]
	s_waitcnt vmcnt(0) lgkmcnt(0)
	v_and_b32_e32 v2, 0xffff, v3
	v_cmp_ne_u16_sdwa vcc, v3, v5 src0_sel:BYTE_0 src1_sel:DWORD
	s_and_saveexec_b64 s[36:37], vcc
	s_cbranch_execz .LBB239_418
; %bb.413:                              ;   in Loop: Header=BB239_13 Depth=1
	v_bfrev_b32_e32 v6, 1
	v_mov_b32_e32 v7, 0
	v_accvgpr_write_b32 a55, v7
	v_cmp_ne_u16_sdwa vcc, v2, s43 src0_sel:BYTE_0 src1_sel:DWORD
	v_accvgpr_write_b32 a54, v6
	s_and_saveexec_b64 s[38:39], vcc
	s_cbranch_execz .LBB239_417
; %bb.414:                              ;   in Loop: Header=BB239_13 Depth=1
	v_mov_b32_e32 v6, 0x7f800001
	v_mov_b32_e32 v7, 0
	v_and_b32_e32 v3, 0x7f, v2
	v_accvgpr_write_b32 a55, v7
	v_cmp_ne_u32_e32 vcc, s44, v3
	v_accvgpr_write_b32 a54, v6
	s_and_saveexec_b64 s[40:41], vcc
	s_cbranch_execz .LBB239_416
; %bb.415:                              ;   in Loop: Header=BB239_13 Depth=1
	v_and_b32_e32 v4, 7, v2
	v_lshrrev_b32_e32 v8, 3, v3
	v_cmp_gt_u32_e32 vcc, 8, v3
	v_ffbh_u32_e32 v3, v4
	v_min_u32_e32 v3, 32, v3
	v_subrev_u32_e32 v6, 28, v3
	v_lshlrev_b64 v[6:7], v6, v[2:3]
	v_sub_u32_e32 v3, 29, v3
	v_and_b32_e32 v6, 7, v6
	v_cndmask_b32_e32 v3, v8, v3, vcc
	v_cndmask_b32_e32 v4, v4, v6, vcc
	v_bfrev_b32_e32 v7, 60
	v_lshlrev_b32_e32 v4, 20, v4
	v_and_b32_sdwa v6, sext(v2), s27 dst_sel:DWORD dst_unused:UNUSED_PAD src0_sel:BYTE_0 src1_sel:DWORD
	v_lshl_add_u32 v3, v3, 23, v7
	v_or3_b32 v4, v6, v3, v4
	v_accvgpr_write_b32 a55, v5
	v_accvgpr_write_b32 a54, v4
.LBB239_416:                            ;   in Loop: Header=BB239_13 Depth=1
	s_or_b64 exec, exec, s[40:41]
.LBB239_417:                            ;   in Loop: Header=BB239_13 Depth=1
	s_or_b64 exec, exec, s[38:39]
.LBB239_418:                            ;   in Loop: Header=BB239_13 Depth=1
	s_or_b64 exec, exec, s[36:37]
	v_cmp_ne_u16_sdwa vcc, v2, v5 src0_sel:BYTE_1 src1_sel:DWORD
	s_and_saveexec_b64 s[36:37], vcc
	s_cbranch_execz .LBB239_424
; %bb.419:                              ;   in Loop: Header=BB239_13 Depth=1
	v_accvgpr_write_b32 a41, s27
	v_cmp_ne_u16_sdwa vcc, v2, s43 src0_sel:BYTE_1 src1_sel:DWORD
	v_accvgpr_write_b32 a40, s26
	s_and_saveexec_b64 s[38:39], vcc
	s_cbranch_execz .LBB239_423
; %bb.420:                              ;   in Loop: Header=BB239_13 Depth=1
	v_and_b32_sdwa v3, v2, s44 dst_sel:DWORD dst_unused:UNUSED_PAD src0_sel:BYTE_1 src1_sel:DWORD
	s_mov_b32 s34, s26
	v_accvgpr_write_b32 a41, s35
	v_cmp_ne_u32_e32 vcc, s44, v3
	v_accvgpr_write_b32 a40, s34
	s_and_saveexec_b64 s[40:41], vcc
	s_cbranch_execz .LBB239_422
; %bb.421:                              ;   in Loop: Header=BB239_13 Depth=1
	v_mov_b32_e32 v4, 7
	v_and_b32_sdwa v4, v2, v4 dst_sel:DWORD dst_unused:UNUSED_PAD src0_sel:BYTE_1 src1_sel:DWORD
	v_lshrrev_b32_e32 v8, 3, v3
	v_cmp_gt_u32_e32 vcc, 8, v3
	v_ffbh_u32_e32 v3, v4
	v_min_u32_e32 v3, 32, v3
	v_subrev_u32_e32 v6, 28, v3
	v_lshlrev_b64 v[6:7], v6, v[4:5]
	v_sub_u32_e32 v3, 29, v3
	v_and_b32_e32 v6, 7, v6
	v_cndmask_b32_e32 v3, v8, v3, vcc
	v_cndmask_b32_e32 v4, v4, v6, vcc
	v_bfrev_b32_e32 v6, 60
	v_lshlrev_b32_e32 v2, 16, v2
	v_lshl_add_u32 v3, v3, 23, v6
	v_and_or_b32 v2, v2, s27, v3
	v_lshlrev_b32_e32 v3, 20, v4
	v_or_b32_e32 v3, v2, v3
	v_mov_b32_e32 v2, v5
	v_accvgpr_write_b32 a41, v3
	v_accvgpr_write_b32 a40, v2
.LBB239_422:                            ;   in Loop: Header=BB239_13 Depth=1
	s_or_b64 exec, exec, s[40:41]
.LBB239_423:                            ;   in Loop: Header=BB239_13 Depth=1
	s_or_b64 exec, exec, s[38:39]
.LBB239_424:                            ;   in Loop: Header=BB239_13 Depth=1
	s_or_b64 exec, exec, s[36:37]
	flat_load_ushort v3, v[0:1] offset:8
	v_pk_mov_b32 v[6:7], 0, 0
	v_accvgpr_write_b32 a63, v7
	v_accvgpr_write_b32 a51, v7
	v_accvgpr_write_b32 a62, v6
	v_accvgpr_write_b32 a50, v6
	s_waitcnt vmcnt(0) lgkmcnt(0)
	v_and_b32_e32 v2, 0xffff, v3
	v_cmp_ne_u16_sdwa vcc, v3, v5 src0_sel:BYTE_0 src1_sel:DWORD
	s_and_saveexec_b64 s[36:37], vcc
	s_cbranch_execz .LBB239_430
; %bb.425:                              ;   in Loop: Header=BB239_13 Depth=1
	v_bfrev_b32_e32 v6, 1
	v_mov_b32_e32 v7, 0
	v_accvgpr_write_b32 a51, v7
	v_cmp_ne_u16_sdwa vcc, v2, s43 src0_sel:BYTE_0 src1_sel:DWORD
	v_accvgpr_write_b32 a50, v6
	s_and_saveexec_b64 s[38:39], vcc
	s_cbranch_execz .LBB239_429
; %bb.426:                              ;   in Loop: Header=BB239_13 Depth=1
	v_mov_b32_e32 v6, 0x7f800001
	v_mov_b32_e32 v7, 0
	v_and_b32_e32 v3, 0x7f, v2
	v_accvgpr_write_b32 a51, v7
	v_cmp_ne_u32_e32 vcc, s44, v3
	v_accvgpr_write_b32 a50, v6
	s_and_saveexec_b64 s[40:41], vcc
	s_cbranch_execz .LBB239_428
; %bb.427:                              ;   in Loop: Header=BB239_13 Depth=1
	v_and_b32_e32 v4, 7, v2
	v_lshrrev_b32_e32 v8, 3, v3
	v_cmp_gt_u32_e32 vcc, 8, v3
	v_ffbh_u32_e32 v3, v4
	v_min_u32_e32 v3, 32, v3
	v_subrev_u32_e32 v6, 28, v3
	v_lshlrev_b64 v[6:7], v6, v[2:3]
	v_sub_u32_e32 v3, 29, v3
	v_and_b32_e32 v6, 7, v6
	v_cndmask_b32_e32 v3, v8, v3, vcc
	v_cndmask_b32_e32 v4, v4, v6, vcc
	v_bfrev_b32_e32 v7, 60
	v_lshlrev_b32_e32 v4, 20, v4
	v_and_b32_sdwa v6, sext(v2), s27 dst_sel:DWORD dst_unused:UNUSED_PAD src0_sel:BYTE_0 src1_sel:DWORD
	v_lshl_add_u32 v3, v3, 23, v7
	v_or3_b32 v4, v6, v3, v4
	v_accvgpr_write_b32 a51, v5
	v_accvgpr_write_b32 a50, v4
.LBB239_428:                            ;   in Loop: Header=BB239_13 Depth=1
	s_or_b64 exec, exec, s[40:41]
.LBB239_429:                            ;   in Loop: Header=BB239_13 Depth=1
	s_or_b64 exec, exec, s[38:39]
.LBB239_430:                            ;   in Loop: Header=BB239_13 Depth=1
	s_or_b64 exec, exec, s[36:37]
	v_cmp_ne_u16_sdwa vcc, v2, v5 src0_sel:BYTE_1 src1_sel:DWORD
	s_and_saveexec_b64 s[36:37], vcc
	s_cbranch_execz .LBB239_436
; %bb.431:                              ;   in Loop: Header=BB239_13 Depth=1
	v_accvgpr_write_b32 a63, s27
	v_cmp_ne_u16_sdwa vcc, v2, s43 src0_sel:BYTE_1 src1_sel:DWORD
	v_accvgpr_write_b32 a62, s26
	s_and_saveexec_b64 s[38:39], vcc
	s_cbranch_execz .LBB239_435
; %bb.432:                              ;   in Loop: Header=BB239_13 Depth=1
	v_and_b32_sdwa v3, v2, s44 dst_sel:DWORD dst_unused:UNUSED_PAD src0_sel:BYTE_1 src1_sel:DWORD
	s_mov_b32 s34, s26
	v_accvgpr_write_b32 a63, s35
	v_cmp_ne_u32_e32 vcc, s44, v3
	v_accvgpr_write_b32 a62, s34
	s_and_saveexec_b64 s[40:41], vcc
	s_cbranch_execz .LBB239_434
; %bb.433:                              ;   in Loop: Header=BB239_13 Depth=1
	v_mov_b32_e32 v4, 7
	v_and_b32_sdwa v4, v2, v4 dst_sel:DWORD dst_unused:UNUSED_PAD src0_sel:BYTE_1 src1_sel:DWORD
	v_lshrrev_b32_e32 v8, 3, v3
	v_cmp_gt_u32_e32 vcc, 8, v3
	v_ffbh_u32_e32 v3, v4
	v_min_u32_e32 v3, 32, v3
	v_subrev_u32_e32 v6, 28, v3
	v_lshlrev_b64 v[6:7], v6, v[4:5]
	v_sub_u32_e32 v3, 29, v3
	v_and_b32_e32 v6, 7, v6
	v_cndmask_b32_e32 v3, v8, v3, vcc
	v_cndmask_b32_e32 v4, v4, v6, vcc
	v_bfrev_b32_e32 v6, 60
	v_lshlrev_b32_e32 v2, 16, v2
	v_lshl_add_u32 v3, v3, 23, v6
	v_and_or_b32 v2, v2, s27, v3
	v_lshlrev_b32_e32 v3, 20, v4
	v_or_b32_e32 v3, v2, v3
	v_mov_b32_e32 v2, v5
	v_accvgpr_write_b32 a63, v3
	v_accvgpr_write_b32 a62, v2
.LBB239_434:                            ;   in Loop: Header=BB239_13 Depth=1
	s_or_b64 exec, exec, s[40:41]
.LBB239_435:                            ;   in Loop: Header=BB239_13 Depth=1
	s_or_b64 exec, exec, s[38:39]
.LBB239_436:                            ;   in Loop: Header=BB239_13 Depth=1
	s_or_b64 exec, exec, s[36:37]
	flat_load_ushort v1, v[0:1] offset:12
	v_pk_mov_b32 v[36:37], 0, 0
	v_accvgpr_write_b32 a14, v36
	v_accvgpr_write_b32 a15, v37
	s_waitcnt vmcnt(0) lgkmcnt(0)
	v_and_b32_e32 v0, 0xffff, v1
	v_cmp_ne_u16_sdwa vcc, v1, v5 src0_sel:BYTE_0 src1_sel:DWORD
	s_and_saveexec_b64 s[36:37], vcc
	s_cbranch_execz .LBB239_442
; %bb.437:                              ;   in Loop: Header=BB239_13 Depth=1
	v_bfrev_b32_e32 v2, 1
	v_mov_b32_e32 v3, 0
	v_accvgpr_write_b32 a15, v3
	v_cmp_ne_u16_sdwa vcc, v0, s43 src0_sel:BYTE_0 src1_sel:DWORD
	v_accvgpr_write_b32 a14, v2
	s_and_saveexec_b64 s[38:39], vcc
	s_cbranch_execz .LBB239_441
; %bb.438:                              ;   in Loop: Header=BB239_13 Depth=1
	v_mov_b32_e32 v2, 0x7f800001
	v_mov_b32_e32 v3, 0
	v_and_b32_e32 v1, 0x7f, v0
	v_accvgpr_write_b32 a15, v3
	v_cmp_ne_u32_e32 vcc, s44, v1
	v_accvgpr_write_b32 a14, v2
	s_and_saveexec_b64 s[40:41], vcc
	s_cbranch_execz .LBB239_440
; %bb.439:                              ;   in Loop: Header=BB239_13 Depth=1
	v_and_b32_e32 v4, 7, v0
	v_lshrrev_b32_e32 v6, 3, v1
	v_cmp_gt_u32_e32 vcc, 8, v1
	v_ffbh_u32_e32 v1, v4
	v_min_u32_e32 v1, 32, v1
	v_subrev_u32_e32 v2, 28, v1
	v_lshlrev_b64 v[2:3], v2, v[0:1]
	v_sub_u32_e32 v1, 29, v1
	v_and_b32_e32 v2, 7, v2
	v_cndmask_b32_e32 v1, v6, v1, vcc
	v_cndmask_b32_e32 v2, v4, v2, vcc
	v_bfrev_b32_e32 v4, 60
	v_lshlrev_b32_e32 v2, 20, v2
	v_and_b32_sdwa v3, sext(v0), s27 dst_sel:DWORD dst_unused:UNUSED_PAD src0_sel:BYTE_0 src1_sel:DWORD
	v_lshl_add_u32 v1, v1, 23, v4
	v_or3_b32 v4, v3, v1, v2
	v_accvgpr_write_b32 a15, v5
	v_accvgpr_write_b32 a14, v4
.LBB239_440:                            ;   in Loop: Header=BB239_13 Depth=1
	s_or_b64 exec, exec, s[40:41]
.LBB239_441:                            ;   in Loop: Header=BB239_13 Depth=1
	s_or_b64 exec, exec, s[38:39]
.LBB239_442:                            ;   in Loop: Header=BB239_13 Depth=1
	s_or_b64 exec, exec, s[36:37]
	v_cmp_ne_u16_sdwa vcc, v0, v5 src0_sel:BYTE_1 src1_sel:DWORD
	s_and_saveexec_b64 s[36:37], vcc
	s_cbranch_execz .LBB239_448
; %bb.443:                              ;   in Loop: Header=BB239_13 Depth=1
	v_cmp_ne_u16_sdwa vcc, v0, s43 src0_sel:BYTE_1 src1_sel:DWORD
	v_pk_mov_b32 v[36:37], s[26:27], s[26:27] op_sel:[0,1]
	s_and_saveexec_b64 s[38:39], vcc
	s_cbranch_execz .LBB239_447
; %bb.444:                              ;   in Loop: Header=BB239_13 Depth=1
	v_and_b32_sdwa v1, v0, s44 dst_sel:DWORD dst_unused:UNUSED_PAD src0_sel:BYTE_1 src1_sel:DWORD
	s_mov_b32 s34, s26
	v_cmp_ne_u32_e32 vcc, s44, v1
	v_pk_mov_b32 v[36:37], s[34:35], s[34:35] op_sel:[0,1]
	s_and_saveexec_b64 s[40:41], vcc
	s_cbranch_execz .LBB239_446
; %bb.445:                              ;   in Loop: Header=BB239_13 Depth=1
	v_mov_b32_e32 v2, 7
	v_and_b32_sdwa v4, v0, v2 dst_sel:DWORD dst_unused:UNUSED_PAD src0_sel:BYTE_1 src1_sel:DWORD
	v_lshrrev_b32_e32 v6, 3, v1
	v_cmp_gt_u32_e32 vcc, 8, v1
	v_ffbh_u32_e32 v1, v4
	v_min_u32_e32 v1, 32, v1
	v_subrev_u32_e32 v2, 28, v1
	v_lshlrev_b64 v[2:3], v2, v[4:5]
	v_sub_u32_e32 v1, 29, v1
	v_and_b32_e32 v2, 7, v2
	v_cndmask_b32_e32 v1, v6, v1, vcc
	v_bfrev_b32_e32 v3, 60
	v_cndmask_b32_e32 v2, v4, v2, vcc
	v_lshlrev_b32_e32 v0, 16, v0
	v_lshl_add_u32 v1, v1, 23, v3
	v_and_or_b32 v0, v0, s27, v1
	v_lshlrev_b32_e32 v1, 20, v2
	v_or_b32_e32 v37, v0, v1
	v_mov_b32_e32 v36, v5
.LBB239_446:                            ;   in Loop: Header=BB239_13 Depth=1
	s_or_b64 exec, exec, s[40:41]
.LBB239_447:                            ;   in Loop: Header=BB239_13 Depth=1
	s_or_b64 exec, exec, s[38:39]
.LBB239_448:                            ;   in Loop: Header=BB239_13 Depth=1
	s_or_b64 exec, exec, s[36:37]
	v_add_co_u32_e32 v0, vcc, 0x1000, v16
	v_addc_co_u32_e32 v1, vcc, 0, v17, vcc
	flat_load_ushort v1, v[0:1] offset:512
	v_pk_mov_b32 v[14:15], 0, 0
	v_accvgpr_write_b32 a23, v15
	v_accvgpr_write_b32 a22, v14
	s_waitcnt vmcnt(0) lgkmcnt(0)
	v_and_b32_e32 v0, 0xffff, v1
	v_cmp_ne_u16_sdwa vcc, v1, v5 src0_sel:BYTE_0 src1_sel:DWORD
	s_and_saveexec_b64 s[36:37], vcc
	s_cbranch_execz .LBB239_454
; %bb.449:                              ;   in Loop: Header=BB239_13 Depth=1
	v_bfrev_b32_e32 v2, 1
	v_mov_b32_e32 v3, 0
	v_accvgpr_write_b32 a23, v3
	v_cmp_ne_u16_sdwa vcc, v0, s43 src0_sel:BYTE_0 src1_sel:DWORD
	v_accvgpr_write_b32 a22, v2
	s_and_saveexec_b64 s[38:39], vcc
	s_cbranch_execz .LBB239_453
; %bb.450:                              ;   in Loop: Header=BB239_13 Depth=1
	v_mov_b32_e32 v2, 0x7f800001
	v_mov_b32_e32 v3, 0
	v_and_b32_e32 v1, 0x7f, v0
	v_accvgpr_write_b32 a23, v3
	v_cmp_ne_u32_e32 vcc, s44, v1
	v_accvgpr_write_b32 a22, v2
	s_and_saveexec_b64 s[40:41], vcc
	s_cbranch_execz .LBB239_452
; %bb.451:                              ;   in Loop: Header=BB239_13 Depth=1
	v_and_b32_e32 v4, 7, v0
	v_lshrrev_b32_e32 v6, 3, v1
	v_cmp_gt_u32_e32 vcc, 8, v1
	v_ffbh_u32_e32 v1, v4
	v_min_u32_e32 v1, 32, v1
	v_subrev_u32_e32 v2, 28, v1
	v_lshlrev_b64 v[2:3], v2, v[0:1]
	v_sub_u32_e32 v1, 29, v1
	v_and_b32_e32 v2, 7, v2
	v_cndmask_b32_e32 v1, v6, v1, vcc
	v_cndmask_b32_e32 v2, v4, v2, vcc
	v_bfrev_b32_e32 v4, 60
	v_lshlrev_b32_e32 v2, 20, v2
	v_and_b32_sdwa v3, sext(v0), s27 dst_sel:DWORD dst_unused:UNUSED_PAD src0_sel:BYTE_0 src1_sel:DWORD
	v_lshl_add_u32 v1, v1, 23, v4
	v_or3_b32 v4, v3, v1, v2
	v_accvgpr_write_b32 a23, v5
	v_accvgpr_write_b32 a22, v4
.LBB239_452:                            ;   in Loop: Header=BB239_13 Depth=1
	s_or_b64 exec, exec, s[40:41]
.LBB239_453:                            ;   in Loop: Header=BB239_13 Depth=1
	s_or_b64 exec, exec, s[38:39]
.LBB239_454:                            ;   in Loop: Header=BB239_13 Depth=1
	s_or_b64 exec, exec, s[36:37]
	v_cmp_ne_u16_sdwa vcc, v0, v5 src0_sel:BYTE_1 src1_sel:DWORD
	s_and_saveexec_b64 s[36:37], vcc
	s_cbranch_execz .LBB239_460
; %bb.455:                              ;   in Loop: Header=BB239_13 Depth=1
	v_cmp_ne_u16_sdwa vcc, v0, s43 src0_sel:BYTE_1 src1_sel:DWORD
	v_pk_mov_b32 v[14:15], s[26:27], s[26:27] op_sel:[0,1]
	s_and_saveexec_b64 s[38:39], vcc
	s_cbranch_execz .LBB239_459
; %bb.456:                              ;   in Loop: Header=BB239_13 Depth=1
	v_and_b32_sdwa v1, v0, s44 dst_sel:DWORD dst_unused:UNUSED_PAD src0_sel:BYTE_1 src1_sel:DWORD
	s_mov_b32 s34, s26
	v_cmp_ne_u32_e32 vcc, s44, v1
	v_pk_mov_b32 v[14:15], s[34:35], s[34:35] op_sel:[0,1]
	s_and_saveexec_b64 s[40:41], vcc
	s_cbranch_execz .LBB239_458
; %bb.457:                              ;   in Loop: Header=BB239_13 Depth=1
	v_mov_b32_e32 v2, 7
	v_and_b32_sdwa v4, v0, v2 dst_sel:DWORD dst_unused:UNUSED_PAD src0_sel:BYTE_1 src1_sel:DWORD
	v_lshrrev_b32_e32 v6, 3, v1
	v_cmp_gt_u32_e32 vcc, 8, v1
	v_ffbh_u32_e32 v1, v4
	v_min_u32_e32 v1, 32, v1
	v_subrev_u32_e32 v2, 28, v1
	v_lshlrev_b64 v[2:3], v2, v[4:5]
	v_sub_u32_e32 v1, 29, v1
	v_and_b32_e32 v2, 7, v2
	v_cndmask_b32_e32 v1, v6, v1, vcc
	v_bfrev_b32_e32 v3, 60
	v_cndmask_b32_e32 v2, v4, v2, vcc
	v_lshlrev_b32_e32 v0, 16, v0
	v_lshl_add_u32 v1, v1, 23, v3
	v_and_or_b32 v0, v0, s27, v1
	v_lshlrev_b32_e32 v1, 20, v2
	v_or_b32_e32 v15, v0, v1
	v_mov_b32_e32 v14, v5
.LBB239_458:                            ;   in Loop: Header=BB239_13 Depth=1
	s_or_b64 exec, exec, s[40:41]
.LBB239_459:                            ;   in Loop: Header=BB239_13 Depth=1
	s_or_b64 exec, exec, s[38:39]
.LBB239_460:                            ;   in Loop: Header=BB239_13 Depth=1
	s_or_b64 exec, exec, s[36:37]
	v_add_co_u32_e32 v0, vcc, 0x1200, v16
	v_addc_co_u32_e32 v1, vcc, 0, v17, vcc
	flat_load_ushort v3, v[0:1] offset:4
	v_pk_mov_b32 v[40:41], 0, 0
	v_accvgpr_write_b32 a47, v41
	v_accvgpr_write_b32 a46, v40
	s_waitcnt vmcnt(0) lgkmcnt(0)
	v_and_b32_e32 v2, 0xffff, v3
	v_cmp_ne_u16_sdwa vcc, v3, v5 src0_sel:BYTE_0 src1_sel:DWORD
	s_and_saveexec_b64 s[36:37], vcc
	s_cbranch_execz .LBB239_466
; %bb.461:                              ;   in Loop: Header=BB239_13 Depth=1
	v_bfrev_b32_e32 v6, 1
	v_mov_b32_e32 v7, 0
	v_accvgpr_write_b32 a47, v7
	v_cmp_ne_u16_sdwa vcc, v2, s43 src0_sel:BYTE_0 src1_sel:DWORD
	v_accvgpr_write_b32 a46, v6
	s_and_saveexec_b64 s[38:39], vcc
	s_cbranch_execz .LBB239_465
; %bb.462:                              ;   in Loop: Header=BB239_13 Depth=1
	v_mov_b32_e32 v6, 0x7f800001
	v_mov_b32_e32 v7, 0
	v_and_b32_e32 v3, 0x7f, v2
	v_accvgpr_write_b32 a47, v7
	v_cmp_ne_u32_e32 vcc, s44, v3
	v_accvgpr_write_b32 a46, v6
	s_and_saveexec_b64 s[40:41], vcc
	s_cbranch_execz .LBB239_464
; %bb.463:                              ;   in Loop: Header=BB239_13 Depth=1
	v_and_b32_e32 v4, 7, v2
	v_lshrrev_b32_e32 v8, 3, v3
	v_cmp_gt_u32_e32 vcc, 8, v3
	v_ffbh_u32_e32 v3, v4
	v_min_u32_e32 v3, 32, v3
	v_subrev_u32_e32 v6, 28, v3
	v_lshlrev_b64 v[6:7], v6, v[2:3]
	v_sub_u32_e32 v3, 29, v3
	v_and_b32_e32 v6, 7, v6
	v_cndmask_b32_e32 v3, v8, v3, vcc
	v_cndmask_b32_e32 v4, v4, v6, vcc
	v_bfrev_b32_e32 v7, 60
	v_lshlrev_b32_e32 v4, 20, v4
	v_and_b32_sdwa v6, sext(v2), s27 dst_sel:DWORD dst_unused:UNUSED_PAD src0_sel:BYTE_0 src1_sel:DWORD
	v_lshl_add_u32 v3, v3, 23, v7
	v_or3_b32 v4, v6, v3, v4
	v_accvgpr_write_b32 a47, v5
	v_accvgpr_write_b32 a46, v4
.LBB239_464:                            ;   in Loop: Header=BB239_13 Depth=1
	s_or_b64 exec, exec, s[40:41]
.LBB239_465:                            ;   in Loop: Header=BB239_13 Depth=1
	s_or_b64 exec, exec, s[38:39]
.LBB239_466:                            ;   in Loop: Header=BB239_13 Depth=1
	s_or_b64 exec, exec, s[36:37]
	v_cmp_ne_u16_sdwa vcc, v2, v5 src0_sel:BYTE_1 src1_sel:DWORD
	s_and_saveexec_b64 s[36:37], vcc
	s_cbranch_execz .LBB239_472
; %bb.467:                              ;   in Loop: Header=BB239_13 Depth=1
	v_cmp_ne_u16_sdwa vcc, v2, s43 src0_sel:BYTE_1 src1_sel:DWORD
	v_pk_mov_b32 v[40:41], s[26:27], s[26:27] op_sel:[0,1]
	s_and_saveexec_b64 s[38:39], vcc
	s_cbranch_execz .LBB239_471
; %bb.468:                              ;   in Loop: Header=BB239_13 Depth=1
	v_and_b32_sdwa v3, v2, s44 dst_sel:DWORD dst_unused:UNUSED_PAD src0_sel:BYTE_1 src1_sel:DWORD
	s_mov_b32 s34, s26
	v_cmp_ne_u32_e32 vcc, s44, v3
	v_pk_mov_b32 v[40:41], s[34:35], s[34:35] op_sel:[0,1]
	s_and_saveexec_b64 s[40:41], vcc
	s_cbranch_execz .LBB239_470
; %bb.469:                              ;   in Loop: Header=BB239_13 Depth=1
	v_mov_b32_e32 v4, 7
	v_and_b32_sdwa v4, v2, v4 dst_sel:DWORD dst_unused:UNUSED_PAD src0_sel:BYTE_1 src1_sel:DWORD
	v_lshrrev_b32_e32 v8, 3, v3
	v_cmp_gt_u32_e32 vcc, 8, v3
	v_ffbh_u32_e32 v3, v4
	v_min_u32_e32 v3, 32, v3
	v_subrev_u32_e32 v6, 28, v3
	v_lshlrev_b64 v[6:7], v6, v[4:5]
	v_sub_u32_e32 v3, 29, v3
	v_and_b32_e32 v6, 7, v6
	v_cndmask_b32_e32 v3, v8, v3, vcc
	v_cndmask_b32_e32 v4, v4, v6, vcc
	v_bfrev_b32_e32 v6, 60
	v_lshlrev_b32_e32 v2, 16, v2
	v_lshl_add_u32 v3, v3, 23, v6
	v_and_or_b32 v2, v2, s27, v3
	v_lshlrev_b32_e32 v3, 20, v4
	v_or_b32_e32 v41, v2, v3
	v_mov_b32_e32 v40, v5
.LBB239_470:                            ;   in Loop: Header=BB239_13 Depth=1
	s_or_b64 exec, exec, s[40:41]
.LBB239_471:                            ;   in Loop: Header=BB239_13 Depth=1
	s_or_b64 exec, exec, s[38:39]
.LBB239_472:                            ;   in Loop: Header=BB239_13 Depth=1
	s_or_b64 exec, exec, s[36:37]
	flat_load_ushort v3, v[0:1] offset:8
	v_pk_mov_b32 v[48:49], 0, 0
	v_pk_mov_b32 v[30:31], v[48:49], v[48:49] op_sel:[0,1]
	s_waitcnt vmcnt(0) lgkmcnt(0)
	v_and_b32_e32 v2, 0xffff, v3
	v_cmp_ne_u16_sdwa vcc, v3, v5 src0_sel:BYTE_0 src1_sel:DWORD
	s_and_saveexec_b64 s[36:37], vcc
	s_cbranch_execz .LBB239_478
; %bb.473:                              ;   in Loop: Header=BB239_13 Depth=1
	v_bfrev_b32_e32 v30, 1
	v_cmp_ne_u16_sdwa vcc, v2, s43 src0_sel:BYTE_0 src1_sel:DWORD
	v_mov_b32_e32 v31, 0
	s_and_saveexec_b64 s[38:39], vcc
	s_cbranch_execz .LBB239_477
; %bb.474:                              ;   in Loop: Header=BB239_13 Depth=1
	v_and_b32_e32 v3, 0x7f, v2
	v_mov_b32_e32 v30, 0x7f800001
	v_cmp_ne_u32_e32 vcc, s44, v3
	v_mov_b32_e32 v31, 0
	s_and_saveexec_b64 s[40:41], vcc
	s_cbranch_execz .LBB239_476
; %bb.475:                              ;   in Loop: Header=BB239_13 Depth=1
	v_and_b32_e32 v4, 7, v2
	v_lshrrev_b32_e32 v8, 3, v3
	v_cmp_gt_u32_e32 vcc, 8, v3
	v_ffbh_u32_e32 v3, v4
	v_min_u32_e32 v3, 32, v3
	v_subrev_u32_e32 v6, 28, v3
	v_lshlrev_b64 v[6:7], v6, v[2:3]
	v_sub_u32_e32 v3, 29, v3
	v_and_b32_e32 v6, 7, v6
	v_cndmask_b32_e32 v3, v8, v3, vcc
	v_cndmask_b32_e32 v4, v4, v6, vcc
	v_bfrev_b32_e32 v7, 60
	v_lshlrev_b32_e32 v4, 20, v4
	v_and_b32_sdwa v6, sext(v2), s27 dst_sel:DWORD dst_unused:UNUSED_PAD src0_sel:BYTE_0 src1_sel:DWORD
	v_lshl_add_u32 v3, v3, 23, v7
	v_or3_b32 v4, v6, v3, v4
	v_pk_mov_b32 v[30:31], v[4:5], v[4:5] op_sel:[0,1]
.LBB239_476:                            ;   in Loop: Header=BB239_13 Depth=1
	s_or_b64 exec, exec, s[40:41]
.LBB239_477:                            ;   in Loop: Header=BB239_13 Depth=1
	s_or_b64 exec, exec, s[38:39]
.LBB239_478:                            ;   in Loop: Header=BB239_13 Depth=1
	s_or_b64 exec, exec, s[36:37]
	v_cmp_ne_u16_sdwa vcc, v2, v5 src0_sel:BYTE_1 src1_sel:DWORD
	s_and_saveexec_b64 s[36:37], vcc
	s_cbranch_execz .LBB239_484
; %bb.479:                              ;   in Loop: Header=BB239_13 Depth=1
	v_cmp_ne_u16_sdwa vcc, v2, s43 src0_sel:BYTE_1 src1_sel:DWORD
	v_pk_mov_b32 v[48:49], s[26:27], s[26:27] op_sel:[0,1]
	s_and_saveexec_b64 s[38:39], vcc
	s_cbranch_execz .LBB239_483
; %bb.480:                              ;   in Loop: Header=BB239_13 Depth=1
	v_and_b32_sdwa v3, v2, s44 dst_sel:DWORD dst_unused:UNUSED_PAD src0_sel:BYTE_1 src1_sel:DWORD
	s_mov_b32 s34, s26
	v_cmp_ne_u32_e32 vcc, s44, v3
	v_pk_mov_b32 v[48:49], s[34:35], s[34:35] op_sel:[0,1]
	s_and_saveexec_b64 s[40:41], vcc
	s_cbranch_execz .LBB239_482
; %bb.481:                              ;   in Loop: Header=BB239_13 Depth=1
	v_mov_b32_e32 v4, 7
	v_and_b32_sdwa v4, v2, v4 dst_sel:DWORD dst_unused:UNUSED_PAD src0_sel:BYTE_1 src1_sel:DWORD
	v_lshrrev_b32_e32 v8, 3, v3
	v_cmp_gt_u32_e32 vcc, 8, v3
	v_ffbh_u32_e32 v3, v4
	v_min_u32_e32 v3, 32, v3
	v_subrev_u32_e32 v6, 28, v3
	v_lshlrev_b64 v[6:7], v6, v[4:5]
	v_sub_u32_e32 v3, 29, v3
	v_and_b32_e32 v6, 7, v6
	v_cndmask_b32_e32 v3, v8, v3, vcc
	v_cndmask_b32_e32 v4, v4, v6, vcc
	v_bfrev_b32_e32 v6, 60
	v_lshlrev_b32_e32 v2, 16, v2
	v_lshl_add_u32 v3, v3, 23, v6
	v_and_or_b32 v2, v2, s27, v3
	v_lshlrev_b32_e32 v3, 20, v4
	v_or_b32_e32 v49, v2, v3
	v_mov_b32_e32 v48, v5
.LBB239_482:                            ;   in Loop: Header=BB239_13 Depth=1
	s_or_b64 exec, exec, s[40:41]
.LBB239_483:                            ;   in Loop: Header=BB239_13 Depth=1
	s_or_b64 exec, exec, s[38:39]
.LBB239_484:                            ;   in Loop: Header=BB239_13 Depth=1
	s_or_b64 exec, exec, s[36:37]
	flat_load_ushort v1, v[0:1] offset:12
	v_pk_mov_b32 v[50:51], 0, 0
	v_pk_mov_b32 v[6:7], v[50:51], v[50:51] op_sel:[0,1]
	s_waitcnt vmcnt(0) lgkmcnt(0)
	v_and_b32_e32 v0, 0xffff, v1
	v_cmp_ne_u16_sdwa vcc, v1, v5 src0_sel:BYTE_0 src1_sel:DWORD
	s_and_saveexec_b64 s[36:37], vcc
	s_cbranch_execz .LBB239_490
; %bb.485:                              ;   in Loop: Header=BB239_13 Depth=1
	v_bfrev_b32_e32 v6, 1
	v_cmp_ne_u16_sdwa vcc, v0, s43 src0_sel:BYTE_0 src1_sel:DWORD
	v_mov_b32_e32 v7, 0
	s_and_saveexec_b64 s[38:39], vcc
	s_cbranch_execz .LBB239_489
; %bb.486:                              ;   in Loop: Header=BB239_13 Depth=1
	v_and_b32_e32 v1, 0x7f, v0
	v_mov_b32_e32 v6, 0x7f800001
	v_cmp_ne_u32_e32 vcc, s44, v1
	v_mov_b32_e32 v7, 0
	s_and_saveexec_b64 s[40:41], vcc
	s_cbranch_execz .LBB239_488
; %bb.487:                              ;   in Loop: Header=BB239_13 Depth=1
	v_and_b32_e32 v4, 7, v0
	v_lshrrev_b32_e32 v6, 3, v1
	v_cmp_gt_u32_e32 vcc, 8, v1
	v_ffbh_u32_e32 v1, v4
	v_min_u32_e32 v1, 32, v1
	v_subrev_u32_e32 v2, 28, v1
	v_lshlrev_b64 v[2:3], v2, v[0:1]
	v_sub_u32_e32 v1, 29, v1
	v_and_b32_e32 v2, 7, v2
	v_cndmask_b32_e32 v1, v6, v1, vcc
	v_cndmask_b32_e32 v2, v4, v2, vcc
	v_bfrev_b32_e32 v4, 60
	v_lshlrev_b32_e32 v2, 20, v2
	v_and_b32_sdwa v3, sext(v0), s27 dst_sel:DWORD dst_unused:UNUSED_PAD src0_sel:BYTE_0 src1_sel:DWORD
	v_lshl_add_u32 v1, v1, 23, v4
	v_or3_b32 v4, v3, v1, v2
	v_pk_mov_b32 v[6:7], v[4:5], v[4:5] op_sel:[0,1]
.LBB239_488:                            ;   in Loop: Header=BB239_13 Depth=1
	s_or_b64 exec, exec, s[40:41]
.LBB239_489:                            ;   in Loop: Header=BB239_13 Depth=1
	s_or_b64 exec, exec, s[38:39]
.LBB239_490:                            ;   in Loop: Header=BB239_13 Depth=1
	s_or_b64 exec, exec, s[36:37]
	v_cmp_ne_u16_sdwa vcc, v0, v5 src0_sel:BYTE_1 src1_sel:DWORD
	s_and_saveexec_b64 s[36:37], vcc
	s_cbranch_execz .LBB239_496
; %bb.491:                              ;   in Loop: Header=BB239_13 Depth=1
	v_cmp_ne_u16_sdwa vcc, v0, s43 src0_sel:BYTE_1 src1_sel:DWORD
	v_pk_mov_b32 v[50:51], s[26:27], s[26:27] op_sel:[0,1]
	s_and_saveexec_b64 s[38:39], vcc
	s_cbranch_execz .LBB239_495
; %bb.492:                              ;   in Loop: Header=BB239_13 Depth=1
	v_and_b32_sdwa v1, v0, s44 dst_sel:DWORD dst_unused:UNUSED_PAD src0_sel:BYTE_1 src1_sel:DWORD
	s_mov_b32 s34, s26
	v_cmp_ne_u32_e32 vcc, s44, v1
	v_pk_mov_b32 v[50:51], s[34:35], s[34:35] op_sel:[0,1]
	s_and_saveexec_b64 s[40:41], vcc
	s_cbranch_execz .LBB239_494
; %bb.493:                              ;   in Loop: Header=BB239_13 Depth=1
	v_mov_b32_e32 v2, 7
	v_and_b32_sdwa v4, v0, v2 dst_sel:DWORD dst_unused:UNUSED_PAD src0_sel:BYTE_1 src1_sel:DWORD
	v_lshrrev_b32_e32 v8, 3, v1
	v_cmp_gt_u32_e32 vcc, 8, v1
	v_ffbh_u32_e32 v1, v4
	v_min_u32_e32 v1, 32, v1
	v_subrev_u32_e32 v2, 28, v1
	v_lshlrev_b64 v[2:3], v2, v[4:5]
	v_sub_u32_e32 v1, 29, v1
	v_and_b32_e32 v2, 7, v2
	v_cndmask_b32_e32 v1, v8, v1, vcc
	v_bfrev_b32_e32 v3, 60
	v_cndmask_b32_e32 v2, v4, v2, vcc
	v_lshlrev_b32_e32 v0, 16, v0
	v_lshl_add_u32 v1, v1, 23, v3
	v_and_or_b32 v0, v0, s27, v1
	v_lshlrev_b32_e32 v1, 20, v2
	v_or_b32_e32 v51, v0, v1
	v_mov_b32_e32 v50, v5
.LBB239_494:                            ;   in Loop: Header=BB239_13 Depth=1
	s_or_b64 exec, exec, s[40:41]
.LBB239_495:                            ;   in Loop: Header=BB239_13 Depth=1
	s_or_b64 exec, exec, s[38:39]
.LBB239_496:                            ;   in Loop: Header=BB239_13 Depth=1
	s_or_b64 exec, exec, s[36:37]
	v_add_co_u32_e32 v0, vcc, 0x1000, v16
	v_addc_co_u32_e32 v1, vcc, 0, v17, vcc
	flat_load_ushort v1, v[0:1] offset:1024
	v_pk_mov_b32 v[54:55], 0, 0
	v_pk_mov_b32 v[46:47], v[54:55], v[54:55] op_sel:[0,1]
	s_waitcnt vmcnt(0) lgkmcnt(0)
	v_and_b32_e32 v0, 0xffff, v1
	v_cmp_ne_u16_sdwa vcc, v1, v5 src0_sel:BYTE_0 src1_sel:DWORD
	s_and_saveexec_b64 s[36:37], vcc
	s_cbranch_execz .LBB239_502
; %bb.497:                              ;   in Loop: Header=BB239_13 Depth=1
	v_bfrev_b32_e32 v46, 1
	v_cmp_ne_u16_sdwa vcc, v0, s43 src0_sel:BYTE_0 src1_sel:DWORD
	v_mov_b32_e32 v47, 0
	s_and_saveexec_b64 s[38:39], vcc
	s_cbranch_execz .LBB239_501
; %bb.498:                              ;   in Loop: Header=BB239_13 Depth=1
	v_and_b32_e32 v1, 0x7f, v0
	v_mov_b32_e32 v46, 0x7f800001
	v_cmp_ne_u32_e32 vcc, s44, v1
	v_mov_b32_e32 v47, 0
	s_and_saveexec_b64 s[40:41], vcc
	s_cbranch_execz .LBB239_500
; %bb.499:                              ;   in Loop: Header=BB239_13 Depth=1
	v_and_b32_e32 v4, 7, v0
	v_lshrrev_b32_e32 v8, 3, v1
	v_cmp_gt_u32_e32 vcc, 8, v1
	v_ffbh_u32_e32 v1, v4
	v_min_u32_e32 v1, 32, v1
	v_subrev_u32_e32 v2, 28, v1
	v_lshlrev_b64 v[2:3], v2, v[0:1]
	v_sub_u32_e32 v1, 29, v1
	v_and_b32_e32 v2, 7, v2
	v_cndmask_b32_e32 v1, v8, v1, vcc
	v_cndmask_b32_e32 v2, v4, v2, vcc
	v_bfrev_b32_e32 v4, 60
	v_lshlrev_b32_e32 v2, 20, v2
	v_and_b32_sdwa v3, sext(v0), s27 dst_sel:DWORD dst_unused:UNUSED_PAD src0_sel:BYTE_0 src1_sel:DWORD
	v_lshl_add_u32 v1, v1, 23, v4
	v_or3_b32 v4, v3, v1, v2
	v_pk_mov_b32 v[46:47], v[4:5], v[4:5] op_sel:[0,1]
.LBB239_500:                            ;   in Loop: Header=BB239_13 Depth=1
	s_or_b64 exec, exec, s[40:41]
.LBB239_501:                            ;   in Loop: Header=BB239_13 Depth=1
	s_or_b64 exec, exec, s[38:39]
.LBB239_502:                            ;   in Loop: Header=BB239_13 Depth=1
	s_or_b64 exec, exec, s[36:37]
	v_cmp_ne_u16_sdwa vcc, v0, v5 src0_sel:BYTE_1 src1_sel:DWORD
	s_and_saveexec_b64 s[36:37], vcc
	s_cbranch_execz .LBB239_508
; %bb.503:                              ;   in Loop: Header=BB239_13 Depth=1
	v_cmp_ne_u16_sdwa vcc, v0, s43 src0_sel:BYTE_1 src1_sel:DWORD
	v_pk_mov_b32 v[54:55], s[26:27], s[26:27] op_sel:[0,1]
	s_and_saveexec_b64 s[38:39], vcc
	s_cbranch_execz .LBB239_507
; %bb.504:                              ;   in Loop: Header=BB239_13 Depth=1
	v_and_b32_sdwa v1, v0, s44 dst_sel:DWORD dst_unused:UNUSED_PAD src0_sel:BYTE_1 src1_sel:DWORD
	s_mov_b32 s34, s26
	v_cmp_ne_u32_e32 vcc, s44, v1
	v_pk_mov_b32 v[54:55], s[34:35], s[34:35] op_sel:[0,1]
	s_and_saveexec_b64 s[40:41], vcc
	s_cbranch_execz .LBB239_506
; %bb.505:                              ;   in Loop: Header=BB239_13 Depth=1
	v_mov_b32_e32 v2, 7
	v_and_b32_sdwa v4, v0, v2 dst_sel:DWORD dst_unused:UNUSED_PAD src0_sel:BYTE_1 src1_sel:DWORD
	v_lshrrev_b32_e32 v10, 3, v1
	v_cmp_gt_u32_e32 vcc, 8, v1
	v_ffbh_u32_e32 v1, v4
	v_min_u32_e32 v1, 32, v1
	v_subrev_u32_e32 v8, 28, v1
	v_lshlrev_b64 v[8:9], v8, v[4:5]
	v_sub_u32_e32 v1, 29, v1
	v_and_b32_e32 v8, 7, v8
	v_cndmask_b32_e32 v1, v10, v1, vcc
	v_bfrev_b32_e32 v2, 60
	v_cndmask_b32_e32 v4, v4, v8, vcc
	v_lshlrev_b32_e32 v0, 16, v0
	v_lshl_add_u32 v1, v1, 23, v2
	v_and_or_b32 v0, v0, s27, v1
	v_lshlrev_b32_e32 v1, 20, v4
	v_or_b32_e32 v55, v0, v1
	v_mov_b32_e32 v54, v5
.LBB239_506:                            ;   in Loop: Header=BB239_13 Depth=1
	s_or_b64 exec, exec, s[40:41]
.LBB239_507:                            ;   in Loop: Header=BB239_13 Depth=1
	s_or_b64 exec, exec, s[38:39]
.LBB239_508:                            ;   in Loop: Header=BB239_13 Depth=1
	s_or_b64 exec, exec, s[36:37]
	v_add_co_u32_e32 v0, vcc, 0x1400, v16
	v_addc_co_u32_e32 v1, vcc, 0, v17, vcc
	flat_load_ushort v4, v[0:1] offset:4
	v_pk_mov_b32 v[18:19], 0, 0
	v_pk_mov_b32 v[42:43], v[18:19], v[18:19] op_sel:[0,1]
	s_waitcnt vmcnt(0) lgkmcnt(0)
	v_and_b32_e32 v8, 0xffff, v4
	v_cmp_ne_u16_sdwa vcc, v4, v5 src0_sel:BYTE_0 src1_sel:DWORD
	s_and_saveexec_b64 s[36:37], vcc
	s_cbranch_execz .LBB239_514
; %bb.509:                              ;   in Loop: Header=BB239_13 Depth=1
	v_bfrev_b32_e32 v42, 1
	v_cmp_ne_u16_sdwa vcc, v8, s43 src0_sel:BYTE_0 src1_sel:DWORD
	v_mov_b32_e32 v43, 0
	s_and_saveexec_b64 s[38:39], vcc
	s_cbranch_execz .LBB239_513
; %bb.510:                              ;   in Loop: Header=BB239_13 Depth=1
	v_and_b32_e32 v4, 0x7f, v8
	v_mov_b32_e32 v42, 0x7f800001
	v_cmp_ne_u32_e32 vcc, s44, v4
	v_mov_b32_e32 v43, 0
	s_and_saveexec_b64 s[40:41], vcc
	s_cbranch_execz .LBB239_512
; %bb.511:                              ;   in Loop: Header=BB239_13 Depth=1
	v_and_b32_e32 v9, 7, v8
	v_lshrrev_b32_e32 v13, 3, v4
	v_cmp_gt_u32_e32 vcc, 8, v4
	v_ffbh_u32_e32 v4, v9
	v_min_u32_e32 v4, 32, v4
	v_subrev_u32_e32 v10, 28, v4
	v_lshlrev_b64 v[10:11], v10, v[8:9]
	v_sub_u32_e32 v4, 29, v4
	v_and_b32_e32 v10, 7, v10
	v_cndmask_b32_e32 v4, v13, v4, vcc
	v_cndmask_b32_e32 v9, v9, v10, vcc
	v_bfrev_b32_e32 v2, 60
	v_lshlrev_b32_e32 v9, 20, v9
	v_and_b32_sdwa v10, sext(v8), s27 dst_sel:DWORD dst_unused:UNUSED_PAD src0_sel:BYTE_0 src1_sel:DWORD
	v_lshl_add_u32 v4, v4, 23, v2
	v_or3_b32 v4, v10, v4, v9
	v_pk_mov_b32 v[42:43], v[4:5], v[4:5] op_sel:[0,1]
.LBB239_512:                            ;   in Loop: Header=BB239_13 Depth=1
	s_or_b64 exec, exec, s[40:41]
.LBB239_513:                            ;   in Loop: Header=BB239_13 Depth=1
	s_or_b64 exec, exec, s[38:39]
.LBB239_514:                            ;   in Loop: Header=BB239_13 Depth=1
	s_or_b64 exec, exec, s[36:37]
	v_cmp_ne_u16_sdwa vcc, v8, v5 src0_sel:BYTE_1 src1_sel:DWORD
	s_and_saveexec_b64 s[36:37], vcc
	s_cbranch_execz .LBB239_520
; %bb.515:                              ;   in Loop: Header=BB239_13 Depth=1
	v_cmp_ne_u16_sdwa vcc, v8, s43 src0_sel:BYTE_1 src1_sel:DWORD
	v_pk_mov_b32 v[18:19], s[26:27], s[26:27] op_sel:[0,1]
	s_and_saveexec_b64 s[38:39], vcc
	s_cbranch_execz .LBB239_519
; %bb.516:                              ;   in Loop: Header=BB239_13 Depth=1
	v_and_b32_sdwa v9, v8, s44 dst_sel:DWORD dst_unused:UNUSED_PAD src0_sel:BYTE_1 src1_sel:DWORD
	s_mov_b32 s34, s26
	v_cmp_ne_u32_e32 vcc, s44, v9
	v_pk_mov_b32 v[18:19], s[34:35], s[34:35] op_sel:[0,1]
	s_and_saveexec_b64 s[40:41], vcc
	s_cbranch_execz .LBB239_518
; %bb.517:                              ;   in Loop: Header=BB239_13 Depth=1
	v_mov_b32_e32 v2, 7
	v_and_b32_sdwa v4, v8, v2 dst_sel:DWORD dst_unused:UNUSED_PAD src0_sel:BYTE_1 src1_sel:DWORD
	v_lshrrev_b32_e32 v13, 3, v9
	v_cmp_gt_u32_e32 vcc, 8, v9
	v_ffbh_u32_e32 v9, v4
	v_min_u32_e32 v9, 32, v9
	v_subrev_u32_e32 v10, 28, v9
	v_lshlrev_b64 v[10:11], v10, v[4:5]
	v_sub_u32_e32 v9, 29, v9
	v_and_b32_e32 v10, 7, v10
	v_cndmask_b32_e32 v9, v13, v9, vcc
	v_bfrev_b32_e32 v2, 60
	v_cndmask_b32_e32 v4, v4, v10, vcc
	v_lshlrev_b32_e32 v8, 16, v8
	v_lshl_add_u32 v9, v9, 23, v2
	v_and_or_b32 v8, v8, s27, v9
	v_lshlrev_b32_e32 v4, 20, v4
	v_or_b32_e32 v19, v8, v4
	v_mov_b32_e32 v18, v5
.LBB239_518:                            ;   in Loop: Header=BB239_13 Depth=1
	s_or_b64 exec, exec, s[40:41]
.LBB239_519:                            ;   in Loop: Header=BB239_13 Depth=1
	s_or_b64 exec, exec, s[38:39]
.LBB239_520:                            ;   in Loop: Header=BB239_13 Depth=1
	s_or_b64 exec, exec, s[36:37]
	flat_load_ushort v4, v[0:1] offset:8
	v_pk_mov_b32 v[32:33], 0, 0
	v_pk_mov_b32 v[34:35], v[32:33], v[32:33] op_sel:[0,1]
	s_waitcnt vmcnt(0) lgkmcnt(0)
	v_and_b32_e32 v8, 0xffff, v4
	v_cmp_ne_u16_sdwa vcc, v4, v5 src0_sel:BYTE_0 src1_sel:DWORD
	s_and_saveexec_b64 s[36:37], vcc
	s_cbranch_execz .LBB239_526
; %bb.521:                              ;   in Loop: Header=BB239_13 Depth=1
	v_bfrev_b32_e32 v34, 1
	v_cmp_ne_u16_sdwa vcc, v8, s43 src0_sel:BYTE_0 src1_sel:DWORD
	v_mov_b32_e32 v35, 0
	s_and_saveexec_b64 s[38:39], vcc
	s_cbranch_execz .LBB239_525
; %bb.522:                              ;   in Loop: Header=BB239_13 Depth=1
	v_and_b32_e32 v4, 0x7f, v8
	v_mov_b32_e32 v34, 0x7f800001
	v_cmp_ne_u32_e32 vcc, s44, v4
	v_mov_b32_e32 v35, 0
	s_and_saveexec_b64 s[40:41], vcc
	s_cbranch_execz .LBB239_524
; %bb.523:                              ;   in Loop: Header=BB239_13 Depth=1
	v_and_b32_e32 v9, 7, v8
	v_lshrrev_b32_e32 v13, 3, v4
	v_cmp_gt_u32_e32 vcc, 8, v4
	v_ffbh_u32_e32 v4, v9
	v_min_u32_e32 v4, 32, v4
	v_subrev_u32_e32 v10, 28, v4
	v_lshlrev_b64 v[10:11], v10, v[8:9]
	v_sub_u32_e32 v4, 29, v4
	v_and_b32_e32 v10, 7, v10
	v_cndmask_b32_e32 v4, v13, v4, vcc
	v_cndmask_b32_e32 v9, v9, v10, vcc
	v_bfrev_b32_e32 v2, 60
	v_lshlrev_b32_e32 v9, 20, v9
	v_and_b32_sdwa v10, sext(v8), s27 dst_sel:DWORD dst_unused:UNUSED_PAD src0_sel:BYTE_0 src1_sel:DWORD
	v_lshl_add_u32 v4, v4, 23, v2
	v_or3_b32 v4, v10, v4, v9
	v_pk_mov_b32 v[34:35], v[4:5], v[4:5] op_sel:[0,1]
.LBB239_524:                            ;   in Loop: Header=BB239_13 Depth=1
	s_or_b64 exec, exec, s[40:41]
.LBB239_525:                            ;   in Loop: Header=BB239_13 Depth=1
	s_or_b64 exec, exec, s[38:39]
.LBB239_526:                            ;   in Loop: Header=BB239_13 Depth=1
	s_or_b64 exec, exec, s[36:37]
	v_cmp_ne_u16_sdwa vcc, v8, v5 src0_sel:BYTE_1 src1_sel:DWORD
	s_and_saveexec_b64 s[36:37], vcc
	s_cbranch_execz .LBB239_532
; %bb.527:                              ;   in Loop: Header=BB239_13 Depth=1
	v_cmp_ne_u16_sdwa vcc, v8, s43 src0_sel:BYTE_1 src1_sel:DWORD
	v_pk_mov_b32 v[32:33], s[26:27], s[26:27] op_sel:[0,1]
	s_and_saveexec_b64 s[38:39], vcc
	s_cbranch_execz .LBB239_531
; %bb.528:                              ;   in Loop: Header=BB239_13 Depth=1
	v_and_b32_sdwa v9, v8, s44 dst_sel:DWORD dst_unused:UNUSED_PAD src0_sel:BYTE_1 src1_sel:DWORD
	s_mov_b32 s34, s26
	v_cmp_ne_u32_e32 vcc, s44, v9
	v_pk_mov_b32 v[32:33], s[34:35], s[34:35] op_sel:[0,1]
	s_and_saveexec_b64 s[40:41], vcc
	s_cbranch_execz .LBB239_530
; %bb.529:                              ;   in Loop: Header=BB239_13 Depth=1
	v_mov_b32_e32 v2, 7
	v_and_b32_sdwa v4, v8, v2 dst_sel:DWORD dst_unused:UNUSED_PAD src0_sel:BYTE_1 src1_sel:DWORD
	v_lshrrev_b32_e32 v13, 3, v9
	v_cmp_gt_u32_e32 vcc, 8, v9
	v_ffbh_u32_e32 v9, v4
	v_min_u32_e32 v9, 32, v9
	v_subrev_u32_e32 v10, 28, v9
	v_lshlrev_b64 v[10:11], v10, v[4:5]
	v_sub_u32_e32 v9, 29, v9
	v_and_b32_e32 v10, 7, v10
	v_cndmask_b32_e32 v9, v13, v9, vcc
	v_bfrev_b32_e32 v2, 60
	v_cndmask_b32_e32 v4, v4, v10, vcc
	v_lshlrev_b32_e32 v8, 16, v8
	v_lshl_add_u32 v9, v9, 23, v2
	v_and_or_b32 v8, v8, s27, v9
	v_lshlrev_b32_e32 v4, 20, v4
	v_or_b32_e32 v33, v8, v4
	v_mov_b32_e32 v32, v5
.LBB239_530:                            ;   in Loop: Header=BB239_13 Depth=1
	s_or_b64 exec, exec, s[40:41]
.LBB239_531:                            ;   in Loop: Header=BB239_13 Depth=1
	s_or_b64 exec, exec, s[38:39]
.LBB239_532:                            ;   in Loop: Header=BB239_13 Depth=1
	s_or_b64 exec, exec, s[36:37]
	flat_load_ushort v1, v[0:1] offset:12
	v_pk_mov_b32 v[60:61], 0, 0
	v_pk_mov_b32 v[56:57], v[60:61], v[60:61] op_sel:[0,1]
	s_waitcnt vmcnt(0) lgkmcnt(0)
	v_and_b32_e32 v0, 0xffff, v1
	v_cmp_ne_u16_sdwa vcc, v1, v5 src0_sel:BYTE_0 src1_sel:DWORD
	s_and_saveexec_b64 s[36:37], vcc
	s_cbranch_execz .LBB239_538
; %bb.533:                              ;   in Loop: Header=BB239_13 Depth=1
	v_bfrev_b32_e32 v56, 1
	v_cmp_ne_u16_sdwa vcc, v0, s43 src0_sel:BYTE_0 src1_sel:DWORD
	v_mov_b32_e32 v57, 0
	s_and_saveexec_b64 s[38:39], vcc
	s_cbranch_execz .LBB239_537
; %bb.534:                              ;   in Loop: Header=BB239_13 Depth=1
	v_and_b32_e32 v1, 0x7f, v0
	v_mov_b32_e32 v56, 0x7f800001
	v_cmp_ne_u32_e32 vcc, s44, v1
	v_mov_b32_e32 v57, 0
	s_and_saveexec_b64 s[40:41], vcc
	s_cbranch_execz .LBB239_536
; %bb.535:                              ;   in Loop: Header=BB239_13 Depth=1
	v_and_b32_e32 v4, 7, v0
	v_lshrrev_b32_e32 v10, 3, v1
	v_cmp_gt_u32_e32 vcc, 8, v1
	v_ffbh_u32_e32 v1, v4
	v_min_u32_e32 v1, 32, v1
	v_subrev_u32_e32 v8, 28, v1
	v_lshlrev_b64 v[8:9], v8, v[0:1]
	v_sub_u32_e32 v1, 29, v1
	v_and_b32_e32 v8, 7, v8
	v_cndmask_b32_e32 v1, v10, v1, vcc
	v_cndmask_b32_e32 v4, v4, v8, vcc
	v_bfrev_b32_e32 v2, 60
	v_lshlrev_b32_e32 v4, 20, v4
	v_and_b32_sdwa v8, sext(v0), s27 dst_sel:DWORD dst_unused:UNUSED_PAD src0_sel:BYTE_0 src1_sel:DWORD
	v_lshl_add_u32 v1, v1, 23, v2
	v_or3_b32 v4, v8, v1, v4
	v_pk_mov_b32 v[56:57], v[4:5], v[4:5] op_sel:[0,1]
.LBB239_536:                            ;   in Loop: Header=BB239_13 Depth=1
	s_or_b64 exec, exec, s[40:41]
.LBB239_537:                            ;   in Loop: Header=BB239_13 Depth=1
	s_or_b64 exec, exec, s[38:39]
.LBB239_538:                            ;   in Loop: Header=BB239_13 Depth=1
	s_or_b64 exec, exec, s[36:37]
	v_cmp_ne_u16_sdwa vcc, v0, v5 src0_sel:BYTE_1 src1_sel:DWORD
	s_and_saveexec_b64 s[36:37], vcc
	s_cbranch_execz .LBB239_544
; %bb.539:                              ;   in Loop: Header=BB239_13 Depth=1
	v_cmp_ne_u16_sdwa vcc, v0, s43 src0_sel:BYTE_1 src1_sel:DWORD
	v_pk_mov_b32 v[60:61], s[26:27], s[26:27] op_sel:[0,1]
	s_and_saveexec_b64 s[38:39], vcc
	s_cbranch_execz .LBB239_543
; %bb.540:                              ;   in Loop: Header=BB239_13 Depth=1
	v_and_b32_sdwa v1, v0, s44 dst_sel:DWORD dst_unused:UNUSED_PAD src0_sel:BYTE_1 src1_sel:DWORD
	s_mov_b32 s34, s26
	v_cmp_ne_u32_e32 vcc, s44, v1
	v_pk_mov_b32 v[60:61], s[34:35], s[34:35] op_sel:[0,1]
	s_and_saveexec_b64 s[40:41], vcc
	s_cbranch_execz .LBB239_542
; %bb.541:                              ;   in Loop: Header=BB239_13 Depth=1
	v_mov_b32_e32 v2, 7
	v_and_b32_sdwa v4, v0, v2 dst_sel:DWORD dst_unused:UNUSED_PAD src0_sel:BYTE_1 src1_sel:DWORD
	v_lshrrev_b32_e32 v10, 3, v1
	v_cmp_gt_u32_e32 vcc, 8, v1
	v_ffbh_u32_e32 v1, v4
	v_min_u32_e32 v1, 32, v1
	v_subrev_u32_e32 v8, 28, v1
	v_lshlrev_b64 v[8:9], v8, v[4:5]
	v_sub_u32_e32 v1, 29, v1
	v_and_b32_e32 v8, 7, v8
	v_cndmask_b32_e32 v1, v10, v1, vcc
	v_bfrev_b32_e32 v2, 60
	v_cndmask_b32_e32 v4, v4, v8, vcc
	v_lshlrev_b32_e32 v0, 16, v0
	v_lshl_add_u32 v1, v1, 23, v2
	v_and_or_b32 v0, v0, s27, v1
	v_lshlrev_b32_e32 v1, 20, v4
	v_or_b32_e32 v61, v0, v1
	v_mov_b32_e32 v60, v5
.LBB239_542:                            ;   in Loop: Header=BB239_13 Depth=1
	s_or_b64 exec, exec, s[40:41]
.LBB239_543:                            ;   in Loop: Header=BB239_13 Depth=1
	s_or_b64 exec, exec, s[38:39]
.LBB239_544:                            ;   in Loop: Header=BB239_13 Depth=1
	s_or_b64 exec, exec, s[36:37]
	v_add_co_u32_e32 v0, vcc, 0x1000, v16
	v_addc_co_u32_e32 v1, vcc, 0, v17, vcc
	flat_load_ushort v1, v[0:1] offset:1536
	v_pk_mov_b32 v[58:59], 0, 0
	v_pk_mov_b32 v[24:25], v[58:59], v[58:59] op_sel:[0,1]
	s_waitcnt vmcnt(0) lgkmcnt(0)
	v_and_b32_e32 v0, 0xffff, v1
	v_cmp_ne_u16_sdwa vcc, v1, v5 src0_sel:BYTE_0 src1_sel:DWORD
	s_and_saveexec_b64 s[36:37], vcc
	s_cbranch_execz .LBB239_550
; %bb.545:                              ;   in Loop: Header=BB239_13 Depth=1
	v_bfrev_b32_e32 v24, 1
	v_cmp_ne_u16_sdwa vcc, v0, s43 src0_sel:BYTE_0 src1_sel:DWORD
	v_mov_b32_e32 v25, 0
	s_and_saveexec_b64 s[38:39], vcc
	s_cbranch_execz .LBB239_549
; %bb.546:                              ;   in Loop: Header=BB239_13 Depth=1
	v_and_b32_e32 v1, 0x7f, v0
	v_mov_b32_e32 v24, 0x7f800001
	v_cmp_ne_u32_e32 vcc, s44, v1
	v_mov_b32_e32 v25, 0
	s_and_saveexec_b64 s[40:41], vcc
	s_cbranch_execz .LBB239_548
; %bb.547:                              ;   in Loop: Header=BB239_13 Depth=1
	v_and_b32_e32 v4, 7, v0
	v_lshrrev_b32_e32 v10, 3, v1
	v_cmp_gt_u32_e32 vcc, 8, v1
	v_ffbh_u32_e32 v1, v4
	v_min_u32_e32 v1, 32, v1
	v_subrev_u32_e32 v8, 28, v1
	v_lshlrev_b64 v[8:9], v8, v[0:1]
	v_sub_u32_e32 v1, 29, v1
	v_and_b32_e32 v8, 7, v8
	v_cndmask_b32_e32 v1, v10, v1, vcc
	v_cndmask_b32_e32 v4, v4, v8, vcc
	v_bfrev_b32_e32 v2, 60
	v_lshlrev_b32_e32 v4, 20, v4
	v_and_b32_sdwa v8, sext(v0), s27 dst_sel:DWORD dst_unused:UNUSED_PAD src0_sel:BYTE_0 src1_sel:DWORD
	v_lshl_add_u32 v1, v1, 23, v2
	v_or3_b32 v4, v8, v1, v4
	v_pk_mov_b32 v[24:25], v[4:5], v[4:5] op_sel:[0,1]
.LBB239_548:                            ;   in Loop: Header=BB239_13 Depth=1
	s_or_b64 exec, exec, s[40:41]
.LBB239_549:                            ;   in Loop: Header=BB239_13 Depth=1
	s_or_b64 exec, exec, s[38:39]
.LBB239_550:                            ;   in Loop: Header=BB239_13 Depth=1
	s_or_b64 exec, exec, s[36:37]
	v_cmp_ne_u16_sdwa vcc, v0, v5 src0_sel:BYTE_1 src1_sel:DWORD
	s_and_saveexec_b64 s[36:37], vcc
	s_cbranch_execz .LBB239_556
; %bb.551:                              ;   in Loop: Header=BB239_13 Depth=1
	v_cmp_ne_u16_sdwa vcc, v0, s43 src0_sel:BYTE_1 src1_sel:DWORD
	v_pk_mov_b32 v[58:59], s[26:27], s[26:27] op_sel:[0,1]
	s_and_saveexec_b64 s[38:39], vcc
	s_cbranch_execz .LBB239_555
; %bb.552:                              ;   in Loop: Header=BB239_13 Depth=1
	v_and_b32_sdwa v1, v0, s44 dst_sel:DWORD dst_unused:UNUSED_PAD src0_sel:BYTE_1 src1_sel:DWORD
	s_mov_b32 s34, s26
	v_cmp_ne_u32_e32 vcc, s44, v1
	v_pk_mov_b32 v[58:59], s[34:35], s[34:35] op_sel:[0,1]
	s_and_saveexec_b64 s[40:41], vcc
	s_cbranch_execz .LBB239_554
; %bb.553:                              ;   in Loop: Header=BB239_13 Depth=1
	v_mov_b32_e32 v2, 7
	v_and_b32_sdwa v4, v0, v2 dst_sel:DWORD dst_unused:UNUSED_PAD src0_sel:BYTE_1 src1_sel:DWORD
	v_lshrrev_b32_e32 v10, 3, v1
	v_cmp_gt_u32_e32 vcc, 8, v1
	v_ffbh_u32_e32 v1, v4
	v_min_u32_e32 v1, 32, v1
	v_subrev_u32_e32 v8, 28, v1
	v_lshlrev_b64 v[8:9], v8, v[4:5]
	v_sub_u32_e32 v1, 29, v1
	v_and_b32_e32 v8, 7, v8
	v_cndmask_b32_e32 v1, v10, v1, vcc
	v_bfrev_b32_e32 v2, 60
	v_cndmask_b32_e32 v4, v4, v8, vcc
	v_lshlrev_b32_e32 v0, 16, v0
	v_lshl_add_u32 v1, v1, 23, v2
	v_and_or_b32 v0, v0, s27, v1
	v_lshlrev_b32_e32 v1, 20, v4
	v_or_b32_e32 v59, v0, v1
	v_mov_b32_e32 v58, v5
.LBB239_554:                            ;   in Loop: Header=BB239_13 Depth=1
	s_or_b64 exec, exec, s[40:41]
.LBB239_555:                            ;   in Loop: Header=BB239_13 Depth=1
	s_or_b64 exec, exec, s[38:39]
.LBB239_556:                            ;   in Loop: Header=BB239_13 Depth=1
	s_or_b64 exec, exec, s[36:37]
	v_add_co_u32_e32 v0, vcc, 0x1600, v16
	v_addc_co_u32_e32 v1, vcc, 0, v17, vcc
	flat_load_ushort v4, v[0:1] offset:4
	v_pk_mov_b32 v[16:17], 0, 0
	v_pk_mov_b32 v[8:9], v[16:17], v[16:17] op_sel:[0,1]
	s_waitcnt vmcnt(0) lgkmcnt(0)
	v_and_b32_e32 v10, 0xffff, v4
	v_cmp_ne_u16_sdwa vcc, v4, v5 src0_sel:BYTE_0 src1_sel:DWORD
	s_and_saveexec_b64 s[36:37], vcc
	s_cbranch_execz .LBB239_562
; %bb.557:                              ;   in Loop: Header=BB239_13 Depth=1
	v_bfrev_b32_e32 v8, 1
	v_cmp_ne_u16_sdwa vcc, v10, s43 src0_sel:BYTE_0 src1_sel:DWORD
	v_mov_b32_e32 v9, 0
	s_and_saveexec_b64 s[38:39], vcc
	s_cbranch_execz .LBB239_561
; %bb.558:                              ;   in Loop: Header=BB239_13 Depth=1
	v_and_b32_e32 v4, 0x7f, v10
	v_mov_b32_e32 v8, 0x7f800001
	v_cmp_ne_u32_e32 vcc, s44, v4
	v_mov_b32_e32 v9, 0
	s_and_saveexec_b64 s[40:41], vcc
	s_cbranch_execz .LBB239_560
; %bb.559:                              ;   in Loop: Header=BB239_13 Depth=1
	v_and_b32_e32 v11, 7, v10
	v_lshrrev_b32_e32 v13, 3, v4
	v_cmp_gt_u32_e32 vcc, 8, v4
	v_ffbh_u32_e32 v4, v11
	v_min_u32_e32 v4, 32, v4
	v_subrev_u32_e32 v8, 28, v4
	v_lshlrev_b64 v[8:9], v8, v[10:11]
	v_sub_u32_e32 v4, 29, v4
	v_and_b32_e32 v8, 7, v8
	v_cndmask_b32_e32 v4, v13, v4, vcc
	v_cndmask_b32_e32 v8, v11, v8, vcc
	v_bfrev_b32_e32 v2, 60
	v_lshlrev_b32_e32 v8, 20, v8
	v_and_b32_sdwa v9, sext(v10), s27 dst_sel:DWORD dst_unused:UNUSED_PAD src0_sel:BYTE_0 src1_sel:DWORD
	v_lshl_add_u32 v4, v4, 23, v2
	v_or3_b32 v4, v9, v4, v8
	v_pk_mov_b32 v[8:9], v[4:5], v[4:5] op_sel:[0,1]
.LBB239_560:                            ;   in Loop: Header=BB239_13 Depth=1
	s_or_b64 exec, exec, s[40:41]
.LBB239_561:                            ;   in Loop: Header=BB239_13 Depth=1
	s_or_b64 exec, exec, s[38:39]
.LBB239_562:                            ;   in Loop: Header=BB239_13 Depth=1
	s_or_b64 exec, exec, s[36:37]
	v_cmp_ne_u16_sdwa vcc, v10, v5 src0_sel:BYTE_1 src1_sel:DWORD
	s_and_saveexec_b64 s[36:37], vcc
	s_cbranch_execz .LBB239_568
; %bb.563:                              ;   in Loop: Header=BB239_13 Depth=1
	v_cmp_ne_u16_sdwa vcc, v10, s43 src0_sel:BYTE_1 src1_sel:DWORD
	v_pk_mov_b32 v[16:17], s[26:27], s[26:27] op_sel:[0,1]
	s_and_saveexec_b64 s[38:39], vcc
	s_cbranch_execz .LBB239_567
; %bb.564:                              ;   in Loop: Header=BB239_13 Depth=1
	v_and_b32_sdwa v11, v10, s44 dst_sel:DWORD dst_unused:UNUSED_PAD src0_sel:BYTE_1 src1_sel:DWORD
	s_mov_b32 s34, s26
	v_cmp_ne_u32_e32 vcc, s44, v11
	v_pk_mov_b32 v[16:17], s[34:35], s[34:35] op_sel:[0,1]
	s_and_saveexec_b64 s[40:41], vcc
	s_cbranch_execz .LBB239_566
; %bb.565:                              ;   in Loop: Header=BB239_13 Depth=1
	v_mov_b32_e32 v2, 7
	v_and_b32_sdwa v4, v10, v2 dst_sel:DWORD dst_unused:UNUSED_PAD src0_sel:BYTE_1 src1_sel:DWORD
	v_lshrrev_b32_e32 v13, 3, v11
	v_cmp_gt_u32_e32 vcc, 8, v11
	v_ffbh_u32_e32 v11, v4
	v_min_u32_e32 v11, 32, v11
	v_subrev_u32_e32 v16, 28, v11
	v_lshlrev_b64 v[16:17], v16, v[4:5]
	v_sub_u32_e32 v11, 29, v11
	v_and_b32_e32 v16, 7, v16
	v_cndmask_b32_e32 v11, v13, v11, vcc
	v_bfrev_b32_e32 v2, 60
	v_cndmask_b32_e32 v4, v4, v16, vcc
	v_lshlrev_b32_e32 v10, 16, v10
	v_lshl_add_u32 v11, v11, 23, v2
	v_and_or_b32 v10, v10, s27, v11
	v_lshlrev_b32_e32 v4, 20, v4
	v_or_b32_e32 v17, v10, v4
	v_mov_b32_e32 v16, v5
.LBB239_566:                            ;   in Loop: Header=BB239_13 Depth=1
	s_or_b64 exec, exec, s[40:41]
.LBB239_567:                            ;   in Loop: Header=BB239_13 Depth=1
	s_or_b64 exec, exec, s[38:39]
.LBB239_568:                            ;   in Loop: Header=BB239_13 Depth=1
	s_or_b64 exec, exec, s[36:37]
	flat_load_ushort v4, v[0:1] offset:8
	v_pk_mov_b32 v[28:29], 0, 0
	v_pk_mov_b32 v[44:45], v[28:29], v[28:29] op_sel:[0,1]
	s_waitcnt vmcnt(0) lgkmcnt(0)
	v_and_b32_e32 v10, 0xffff, v4
	v_cmp_ne_u16_sdwa vcc, v4, v5 src0_sel:BYTE_0 src1_sel:DWORD
	s_and_saveexec_b64 s[36:37], vcc
	s_cbranch_execz .LBB239_574
; %bb.569:                              ;   in Loop: Header=BB239_13 Depth=1
	v_bfrev_b32_e32 v44, 1
	v_cmp_ne_u16_sdwa vcc, v10, s43 src0_sel:BYTE_0 src1_sel:DWORD
	v_mov_b32_e32 v45, 0
	s_and_saveexec_b64 s[38:39], vcc
	s_cbranch_execz .LBB239_573
; %bb.570:                              ;   in Loop: Header=BB239_13 Depth=1
	v_and_b32_e32 v4, 0x7f, v10
	v_mov_b32_e32 v44, 0x7f800001
	v_cmp_ne_u32_e32 vcc, s44, v4
	v_mov_b32_e32 v45, 0
	s_and_saveexec_b64 s[40:41], vcc
	s_cbranch_execz .LBB239_572
; %bb.571:                              ;   in Loop: Header=BB239_13 Depth=1
	v_and_b32_e32 v11, 7, v10
	v_lshrrev_b32_e32 v13, 3, v4
	v_cmp_gt_u32_e32 vcc, 8, v4
	v_ffbh_u32_e32 v4, v11
	v_min_u32_e32 v4, 32, v4
	v_accvgpr_mov_b32 a39, a11
	v_subrev_u32_e32 v26, 28, v4
	v_accvgpr_mov_b32 a38, a10
	v_accvgpr_mov_b32 a37, a9
	;; [unrolled: 1-line block ×3, first 2 shown]
	v_accvgpr_write_b32 a8, v20
	v_accvgpr_write_b32 a9, v21
	;; [unrolled: 1-line block ×4, first 2 shown]
	v_lshlrev_b64 v[22:23], v26, v[10:11]
	v_sub_u32_e32 v4, 29, v4
	v_and_b32_e32 v26, 7, v22
	v_cndmask_b32_e32 v4, v13, v4, vcc
	v_cndmask_b32_e32 v11, v11, v26, vcc
	v_bfrev_b32_e32 v2, 60
	v_accvgpr_read_b32 v23, a11
	v_lshlrev_b32_e32 v11, 20, v11
	v_and_b32_sdwa v13, sext(v10), s27 dst_sel:DWORD dst_unused:UNUSED_PAD src0_sel:BYTE_0 src1_sel:DWORD
	v_lshl_add_u32 v4, v4, 23, v2
	v_accvgpr_read_b32 v22, a10
	v_accvgpr_read_b32 v21, a9
	;; [unrolled: 1-line block ×3, first 2 shown]
	v_accvgpr_mov_b32 a8, a36
	v_or3_b32 v4, v13, v4, v11
	v_accvgpr_mov_b32 a9, a37
	v_accvgpr_mov_b32 a10, a38
	;; [unrolled: 1-line block ×3, first 2 shown]
	v_pk_mov_b32 v[44:45], v[4:5], v[4:5] op_sel:[0,1]
.LBB239_572:                            ;   in Loop: Header=BB239_13 Depth=1
	s_or_b64 exec, exec, s[40:41]
.LBB239_573:                            ;   in Loop: Header=BB239_13 Depth=1
	s_or_b64 exec, exec, s[38:39]
.LBB239_574:                            ;   in Loop: Header=BB239_13 Depth=1
	s_or_b64 exec, exec, s[36:37]
	v_cmp_ne_u16_sdwa vcc, v10, v5 src0_sel:BYTE_1 src1_sel:DWORD
	s_and_saveexec_b64 s[36:37], vcc
	s_cbranch_execz .LBB239_580
; %bb.575:                              ;   in Loop: Header=BB239_13 Depth=1
	v_cmp_ne_u16_sdwa vcc, v10, s43 src0_sel:BYTE_1 src1_sel:DWORD
	v_pk_mov_b32 v[28:29], s[26:27], s[26:27] op_sel:[0,1]
	s_and_saveexec_b64 s[38:39], vcc
	s_cbranch_execz .LBB239_579
; %bb.576:                              ;   in Loop: Header=BB239_13 Depth=1
	v_and_b32_sdwa v11, v10, s44 dst_sel:DWORD dst_unused:UNUSED_PAD src0_sel:BYTE_1 src1_sel:DWORD
	s_mov_b32 s34, s26
	v_cmp_ne_u32_e32 vcc, s44, v11
	v_pk_mov_b32 v[28:29], s[34:35], s[34:35] op_sel:[0,1]
	s_and_saveexec_b64 s[40:41], vcc
	s_cbranch_execz .LBB239_578
; %bb.577:                              ;   in Loop: Header=BB239_13 Depth=1
	v_mov_b32_e32 v2, 7
	v_and_b32_sdwa v4, v10, v2 dst_sel:DWORD dst_unused:UNUSED_PAD src0_sel:BYTE_1 src1_sel:DWORD
	v_lshrrev_b32_e32 v13, 3, v11
	v_cmp_gt_u32_e32 vcc, 8, v11
	v_ffbh_u32_e32 v11, v4
	v_accvgpr_mov_b32 a39, a11
	v_min_u32_e32 v11, 32, v11
	v_accvgpr_mov_b32 a38, a10
	v_accvgpr_mov_b32 a37, a9
	;; [unrolled: 1-line block ×3, first 2 shown]
	v_accvgpr_write_b32 a8, v20
	v_accvgpr_write_b32 a9, v21
	;; [unrolled: 1-line block ×4, first 2 shown]
	v_subrev_u32_e32 v22, 28, v11
	v_lshlrev_b64 v[22:23], v22, v[4:5]
	v_sub_u32_e32 v11, 29, v11
	v_and_b32_e32 v22, 7, v22
	v_cndmask_b32_e32 v11, v13, v11, vcc
	v_bfrev_b32_e32 v2, 60
	v_cndmask_b32_e32 v4, v4, v22, vcc
	v_accvgpr_read_b32 v23, a11
	v_lshlrev_b32_e32 v10, 16, v10
	v_lshl_add_u32 v11, v11, 23, v2
	v_accvgpr_read_b32 v22, a10
	v_accvgpr_read_b32 v21, a9
	;; [unrolled: 1-line block ×3, first 2 shown]
	v_accvgpr_mov_b32 a8, a36
	v_and_or_b32 v10, v10, s27, v11
	v_lshlrev_b32_e32 v4, 20, v4
	v_accvgpr_mov_b32 a9, a37
	v_accvgpr_mov_b32 a10, a38
	;; [unrolled: 1-line block ×3, first 2 shown]
	v_or_b32_e32 v29, v10, v4
	v_mov_b32_e32 v28, v5
.LBB239_578:                            ;   in Loop: Header=BB239_13 Depth=1
	s_or_b64 exec, exec, s[40:41]
.LBB239_579:                            ;   in Loop: Header=BB239_13 Depth=1
	s_or_b64 exec, exec, s[38:39]
.LBB239_580:                            ;   in Loop: Header=BB239_13 Depth=1
	s_or_b64 exec, exec, s[36:37]
	flat_load_ushort v0, v[0:1] offset:12
	v_pk_mov_b32 v[10:11], 0, 0
	v_pk_mov_b32 v[2:3], v[10:11], v[10:11] op_sel:[0,1]
	s_waitcnt vmcnt(0) lgkmcnt(0)
	v_and_b32_e32 v38, 0xffff, v0
	v_cmp_ne_u16_sdwa vcc, v0, v5 src0_sel:BYTE_0 src1_sel:DWORD
	s_and_saveexec_b64 s[36:37], vcc
	s_cbranch_execz .LBB239_586
; %bb.581:                              ;   in Loop: Header=BB239_13 Depth=1
	v_bfrev_b32_e32 v2, 1
	v_cmp_ne_u16_sdwa vcc, v38, s43 src0_sel:BYTE_0 src1_sel:DWORD
	v_mov_b32_e32 v3, 0
	s_and_saveexec_b64 s[38:39], vcc
	s_cbranch_execz .LBB239_585
; %bb.582:                              ;   in Loop: Header=BB239_13 Depth=1
	v_and_b32_e32 v4, 0x7f, v38
	v_mov_b32_e32 v2, 0x7f800001
	v_cmp_ne_u32_e32 vcc, s44, v4
	v_mov_b32_e32 v3, 0
	s_and_saveexec_b64 s[40:41], vcc
	s_cbranch_execz .LBB239_584
; %bb.583:                              ;   in Loop: Header=BB239_13 Depth=1
	v_and_b32_e32 v13, 7, v38
	v_ffbh_u32_e32 v0, v13
	v_lshrrev_b32_e32 v26, 3, v4
	v_cmp_gt_u32_e32 vcc, 8, v4
	v_min_u32_e32 v4, 32, v0
	v_subrev_u32_e32 v0, 28, v4
	v_lshlrev_b64 v[0:1], v0, v[38:39]
	v_sub_u32_e32 v1, 29, v4
	v_and_b32_e32 v0, 7, v0
	v_cndmask_b32_e32 v1, v26, v1, vcc
	v_cndmask_b32_e32 v0, v13, v0, vcc
	v_bfrev_b32_e32 v2, 60
	v_lshlrev_b32_e32 v0, 20, v0
	v_and_b32_sdwa v4, sext(v38), s27 dst_sel:DWORD dst_unused:UNUSED_PAD src0_sel:BYTE_0 src1_sel:DWORD
	v_lshl_add_u32 v1, v1, 23, v2
	v_or3_b32 v4, v4, v1, v0
	v_pk_mov_b32 v[2:3], v[4:5], v[4:5] op_sel:[0,1]
.LBB239_584:                            ;   in Loop: Header=BB239_13 Depth=1
	s_or_b64 exec, exec, s[40:41]
.LBB239_585:                            ;   in Loop: Header=BB239_13 Depth=1
	s_or_b64 exec, exec, s[38:39]
.LBB239_586:                            ;   in Loop: Header=BB239_13 Depth=1
	s_or_b64 exec, exec, s[36:37]
	v_accvgpr_write_b32 a39, v27
	v_cmp_ne_u16_sdwa vcc, v38, v5 src0_sel:BYTE_1 src1_sel:DWORD
	s_and_saveexec_b64 s[36:37], vcc
	s_cbranch_execz .LBB239_592
; %bb.587:                              ;   in Loop: Header=BB239_13 Depth=1
	v_cmp_ne_u16_sdwa vcc, v38, s43 src0_sel:BYTE_1 src1_sel:DWORD
	v_pk_mov_b32 v[10:11], s[26:27], s[26:27] op_sel:[0,1]
	s_and_saveexec_b64 s[38:39], vcc
	s_cbranch_execz .LBB239_591
; %bb.588:                              ;   in Loop: Header=BB239_13 Depth=1
	v_and_b32_sdwa v13, v38, s44 dst_sel:DWORD dst_unused:UNUSED_PAD src0_sel:BYTE_1 src1_sel:DWORD
	s_mov_b32 s34, s26
	v_cmp_ne_u32_e32 vcc, s44, v13
	v_pk_mov_b32 v[10:11], s[34:35], s[34:35] op_sel:[0,1]
	s_and_saveexec_b64 s[40:41], vcc
	s_cbranch_execz .LBB239_590
; %bb.589:                              ;   in Loop: Header=BB239_13 Depth=1
	v_mov_b32_e32 v0, 7
	v_and_b32_sdwa v4, v38, v0 dst_sel:DWORD dst_unused:UNUSED_PAD src0_sel:BYTE_1 src1_sel:DWORD
	v_ffbh_u32_e32 v10, v4
	v_lshrrev_b32_e32 v26, 3, v13
	v_cmp_gt_u32_e32 vcc, 8, v13
	v_min_u32_e32 v13, 32, v10
	v_subrev_u32_e32 v10, 28, v13
	v_lshlrev_b64 v[10:11], v10, v[4:5]
	v_sub_u32_e32 v11, 29, v13
	v_and_b32_e32 v10, 7, v10
	v_cndmask_b32_e32 v11, v26, v11, vcc
	v_bfrev_b32_e32 v0, 60
	v_cndmask_b32_e32 v4, v4, v10, vcc
	v_lshlrev_b32_e32 v10, 16, v38
	v_lshl_add_u32 v11, v11, 23, v0
	v_and_or_b32 v10, v10, s27, v11
	v_lshlrev_b32_e32 v4, 20, v4
	v_or_b32_e32 v11, v10, v4
	v_mov_b32_e32 v10, v5
.LBB239_590:                            ;   in Loop: Header=BB239_13 Depth=1
	s_or_b64 exec, exec, s[40:41]
.LBB239_591:                            ;   in Loop: Header=BB239_13 Depth=1
	s_or_b64 exec, exec, s[38:39]
.LBB239_592:                            ;   in Loop: Header=BB239_13 Depth=1
	s_or_b64 exec, exec, s[36:37]
	buffer_load_dword v0, off, s[0:3], s32 offset:256 ; 4-byte Folded Reload
	buffer_load_dword v1, off, s[0:3], s32 offset:260 ; 4-byte Folded Reload
	buffer_load_dword v26, off, s[0:3], s32 offset:248 ; 4-byte Folded Reload
	buffer_load_dword v27, off, s[0:3], s32 offset:252 ; 4-byte Folded Reload
	v_or_b32_e32 v7, v51, v7
	v_or_b32_e32 v6, v50, v6
	;; [unrolled: 1-line block ×8, first 2 shown]
	s_waitcnt vmcnt(0)
	v_or_b32_e32 v39, v1, v27
	v_or_b32_e32 v38, v0, v26
	buffer_load_dword v0, off, s[0:3], s32 offset:240 ; 4-byte Folded Reload
	buffer_load_dword v1, off, s[0:3], s32 offset:244 ; 4-byte Folded Reload
	v_pk_mul_f32 v[38:39], v[12:13], v[38:39] op_sel_hi:[0,1]
	v_mul_f32_e32 v13, v23, v39
	v_mul_f32_e32 v4, v22, v38
	s_waitcnt vmcnt(0)
	v_or_b32_e32 v53, v1, v53
	v_or_b32_e32 v52, v0, v52
	v_pk_mul_f32 v[38:39], v[12:13], v[52:53] op_sel_hi:[0,1]
	v_fmac_f32_e32 v4, v20, v38
	v_fmac_f32_e32 v13, v21, v39
	buffer_load_dword v0, off, s[0:3], s32 offset:288 ; 4-byte Folded Reload
	buffer_load_dword v1, off, s[0:3], s32 offset:292 ; 4-byte Folded Reload
	;; [unrolled: 1-line block ×4, first 2 shown]
	s_waitcnt vmcnt(0)
	v_or_b32_e32 v39, v1, v21
	v_or_b32_e32 v38, v0, v20
	buffer_load_dword v0, off, s[0:3], s32 offset:272 ; 4-byte Folded Reload
	buffer_load_dword v1, off, s[0:3], s32 offset:276 ; 4-byte Folded Reload
	;; [unrolled: 1-line block ×4, first 2 shown]
	s_waitcnt vmcnt(0)
	v_or_b32_e32 v53, v1, v21
	v_or_b32_e32 v52, v0, v20
	buffer_load_dword v20, off, s[0:3], s32 offset:692 ; 4-byte Folded Reload
	buffer_load_dword v21, off, s[0:3], s32 offset:696 ; 4-byte Folded Reload
	;; [unrolled: 1-line block ×4, first 2 shown]
	v_pk_mul_f32 v[52:53], v[12:13], v[52:53] op_sel_hi:[0,1]
	s_waitcnt vmcnt(3)
	v_fmac_f32_e32 v4, v20, v52
	s_waitcnt vmcnt(2)
	v_fmac_f32_e32 v13, v21, v53
	buffer_load_dword v0, off, s[0:3], s32 offset:320 ; 4-byte Folded Reload
	buffer_load_dword v1, off, s[0:3], s32 offset:324 ; 4-byte Folded Reload
	;; [unrolled: 1-line block ×4, first 2 shown]
	v_pk_mul_f32 v[38:39], v[12:13], v[38:39] op_sel_hi:[0,1]
	s_waitcnt vmcnt(5)
	v_fmac_f32_e32 v4, v22, v38
	s_waitcnt vmcnt(4)
	v_fmac_f32_e32 v13, v23, v39
	s_waitcnt vmcnt(0)
	v_or_b32_e32 v39, v1, v21
	v_or_b32_e32 v38, v0, v20
	buffer_load_dword v0, off, s[0:3], s32 offset:304 ; 4-byte Folded Reload
	buffer_load_dword v1, off, s[0:3], s32 offset:308 ; 4-byte Folded Reload
	;; [unrolled: 1-line block ×4, first 2 shown]
	s_waitcnt vmcnt(0)
	v_or_b32_e32 v53, v1, v21
	v_or_b32_e32 v52, v0, v20
	v_accvgpr_read_b32 v23, a11
	v_pk_mul_f32 v[52:53], v[12:13], v[52:53] op_sel_hi:[0,1]
	v_accvgpr_read_b32 v21, a9
	v_accvgpr_read_b32 v20, a8
	v_fmac_f32_e32 v4, v20, v52
	v_fmac_f32_e32 v13, v21, v53
	buffer_load_dword v0, off, s[0:3], s32 offset:352 ; 4-byte Folded Reload
	buffer_load_dword v1, off, s[0:3], s32 offset:356 ; 4-byte Folded Reload
	;; [unrolled: 1-line block ×4, first 2 shown]
	v_accvgpr_read_b32 v22, a10
	v_pk_mul_f32 v[38:39], v[12:13], v[38:39] op_sel_hi:[0,1]
	v_fmac_f32_e32 v4, v22, v38
	v_fmac_f32_e32 v13, v23, v39
	s_waitcnt vmcnt(0)
	v_or_b32_e32 v39, v1, v21
	v_or_b32_e32 v38, v0, v20
	buffer_load_dword v0, off, s[0:3], s32 offset:336 ; 4-byte Folded Reload
	buffer_load_dword v1, off, s[0:3], s32 offset:340 ; 4-byte Folded Reload
	;; [unrolled: 1-line block ×4, first 2 shown]
	s_waitcnt vmcnt(0)
	v_or_b32_e32 v53, v1, v21
	v_or_b32_e32 v52, v0, v20
	buffer_load_dword v20, off, s[0:3], s32 offset:748 ; 4-byte Folded Reload
	buffer_load_dword v21, off, s[0:3], s32 offset:752 ; 4-byte Folded Reload
	;; [unrolled: 1-line block ×4, first 2 shown]
	v_pk_mul_f32 v[52:53], v[12:13], v[52:53] op_sel_hi:[0,1]
	s_waitcnt vmcnt(3)
	v_fmac_f32_e32 v4, v20, v52
	s_waitcnt vmcnt(2)
	v_fmac_f32_e32 v13, v21, v53
	buffer_load_dword v0, off, s[0:3], s32 offset:384 ; 4-byte Folded Reload
	buffer_load_dword v1, off, s[0:3], s32 offset:388 ; 4-byte Folded Reload
	;; [unrolled: 1-line block ×4, first 2 shown]
	v_pk_mul_f32 v[38:39], v[12:13], v[38:39] op_sel_hi:[0,1]
	s_waitcnt vmcnt(5)
	v_fmac_f32_e32 v4, v22, v38
	s_waitcnt vmcnt(4)
	v_fmac_f32_e32 v13, v23, v39
	s_waitcnt vmcnt(0)
	v_or_b32_e32 v39, v1, v21
	v_or_b32_e32 v38, v0, v20
	buffer_load_dword v0, off, s[0:3], s32 offset:368 ; 4-byte Folded Reload
	buffer_load_dword v1, off, s[0:3], s32 offset:372 ; 4-byte Folded Reload
	;; [unrolled: 1-line block ×4, first 2 shown]
	s_waitcnt vmcnt(0)
	v_or_b32_e32 v53, v1, v21
	v_or_b32_e32 v52, v0, v20
	v_accvgpr_read_b32 v20, a32
	v_pk_mul_f32 v[52:53], v[12:13], v[52:53] op_sel_hi:[0,1]
	v_accvgpr_read_b32 v21, a33
	v_fmac_f32_e32 v4, v20, v52
	v_fmac_f32_e32 v13, v21, v53
	buffer_load_dword v0, off, s[0:3], s32 offset:416 ; 4-byte Folded Reload
	buffer_load_dword v1, off, s[0:3], s32 offset:420 ; 4-byte Folded Reload
	buffer_load_dword v20, off, s[0:3], s32 offset:408 ; 4-byte Folded Reload
	buffer_load_dword v21, off, s[0:3], s32 offset:412 ; 4-byte Folded Reload
	v_accvgpr_read_b32 v22, a34
	v_accvgpr_read_b32 v23, a35
	v_pk_mul_f32 v[38:39], v[12:13], v[38:39] op_sel_hi:[0,1]
	v_fmac_f32_e32 v4, v22, v38
	v_fmac_f32_e32 v13, v23, v39
	s_waitcnt vmcnt(0)
	v_or_b32_e32 v39, v1, v21
	v_or_b32_e32 v38, v0, v20
	buffer_load_dword v0, off, s[0:3], s32 offset:400 ; 4-byte Folded Reload
	buffer_load_dword v1, off, s[0:3], s32 offset:404 ; 4-byte Folded Reload
	;; [unrolled: 1-line block ×4, first 2 shown]
	s_waitcnt vmcnt(0)
	v_or_b32_e32 v53, v1, v21
	v_or_b32_e32 v52, v0, v20
	buffer_load_dword v20, off, s[0:3], s32 offset:732 ; 4-byte Folded Reload
	buffer_load_dword v21, off, s[0:3], s32 offset:736 ; 4-byte Folded Reload
	;; [unrolled: 1-line block ×4, first 2 shown]
	v_pk_mul_f32 v[52:53], v[12:13], v[52:53] op_sel_hi:[0,1]
	s_waitcnt vmcnt(3)
	v_fmac_f32_e32 v4, v20, v52
	s_waitcnt vmcnt(2)
	v_fmac_f32_e32 v13, v21, v53
	buffer_load_dword v0, off, s[0:3], s32 offset:448 ; 4-byte Folded Reload
	buffer_load_dword v1, off, s[0:3], s32 offset:452 ; 4-byte Folded Reload
	buffer_load_dword v20, off, s[0:3], s32 offset:440 ; 4-byte Folded Reload
	buffer_load_dword v21, off, s[0:3], s32 offset:444 ; 4-byte Folded Reload
	v_pk_mul_f32 v[38:39], v[12:13], v[38:39] op_sel_hi:[0,1]
	s_waitcnt vmcnt(5)
	v_fmac_f32_e32 v4, v22, v38
	s_waitcnt vmcnt(4)
	v_fmac_f32_e32 v13, v23, v39
	s_waitcnt vmcnt(0)
	v_or_b32_e32 v39, v1, v21
	v_or_b32_e32 v38, v0, v20
	buffer_load_dword v0, off, s[0:3], s32 offset:432 ; 4-byte Folded Reload
	buffer_load_dword v1, off, s[0:3], s32 offset:436 ; 4-byte Folded Reload
	;; [unrolled: 1-line block ×4, first 2 shown]
	s_waitcnt vmcnt(0)
	v_or_b32_e32 v53, v1, v21
	v_or_b32_e32 v52, v0, v20
	v_accvgpr_read_b32 v23, a19
	v_pk_mul_f32 v[52:53], v[12:13], v[52:53] op_sel_hi:[0,1]
	v_accvgpr_read_b32 v21, a17
	v_accvgpr_read_b32 v20, a16
	v_fmac_f32_e32 v4, v20, v52
	v_fmac_f32_e32 v13, v21, v53
	buffer_load_dword v0, off, s[0:3], s32 offset:480 ; 4-byte Folded Reload
	buffer_load_dword v1, off, s[0:3], s32 offset:484 ; 4-byte Folded Reload
	;; [unrolled: 1-line block ×4, first 2 shown]
	v_accvgpr_read_b32 v22, a18
	v_pk_mul_f32 v[38:39], v[12:13], v[38:39] op_sel_hi:[0,1]
	v_fmac_f32_e32 v4, v22, v38
	v_fmac_f32_e32 v13, v23, v39
	s_waitcnt vmcnt(0)
	v_or_b32_e32 v39, v1, v21
	v_or_b32_e32 v38, v0, v20
	buffer_load_dword v0, off, s[0:3], s32 offset:464 ; 4-byte Folded Reload
	buffer_load_dword v1, off, s[0:3], s32 offset:468 ; 4-byte Folded Reload
	;; [unrolled: 1-line block ×4, first 2 shown]
	s_waitcnt vmcnt(0)
	v_or_b32_e32 v53, v1, v21
	v_or_b32_e32 v52, v0, v20
	buffer_load_dword v20, off, s[0:3], s32 offset:716 ; 4-byte Folded Reload
	buffer_load_dword v21, off, s[0:3], s32 offset:720 ; 4-byte Folded Reload
	;; [unrolled: 1-line block ×4, first 2 shown]
	v_pk_mul_f32 v[52:53], v[12:13], v[52:53] op_sel_hi:[0,1]
	s_waitcnt vmcnt(3)
	v_fmac_f32_e32 v4, v20, v52
	s_waitcnt vmcnt(2)
	v_fmac_f32_e32 v13, v21, v53
	buffer_load_dword v0, off, s[0:3], s32 offset:512 ; 4-byte Folded Reload
	buffer_load_dword v1, off, s[0:3], s32 offset:516 ; 4-byte Folded Reload
	;; [unrolled: 1-line block ×4, first 2 shown]
	v_pk_mul_f32 v[38:39], v[12:13], v[38:39] op_sel_hi:[0,1]
	s_waitcnt vmcnt(5)
	v_fmac_f32_e32 v4, v22, v38
	s_waitcnt vmcnt(4)
	v_fmac_f32_e32 v13, v23, v39
	s_waitcnt vmcnt(0)
	v_or_b32_e32 v39, v1, v21
	v_or_b32_e32 v38, v0, v20
	buffer_load_dword v0, off, s[0:3], s32 offset:496 ; 4-byte Folded Reload
	buffer_load_dword v1, off, s[0:3], s32 offset:500 ; 4-byte Folded Reload
	;; [unrolled: 1-line block ×4, first 2 shown]
	s_waitcnt vmcnt(0)
	v_or_b32_e32 v53, v1, v21
	v_or_b32_e32 v52, v0, v20
	v_accvgpr_read_b32 v20, a24
	v_pk_mul_f32 v[52:53], v[12:13], v[52:53] op_sel_hi:[0,1]
	v_accvgpr_read_b32 v21, a25
	v_fmac_f32_e32 v4, v20, v52
	v_fmac_f32_e32 v13, v21, v53
	buffer_load_dword v0, off, s[0:3], s32 offset:544 ; 4-byte Folded Reload
	buffer_load_dword v1, off, s[0:3], s32 offset:548 ; 4-byte Folded Reload
	buffer_load_dword v20, off, s[0:3], s32 offset:536 ; 4-byte Folded Reload
	buffer_load_dword v21, off, s[0:3], s32 offset:540 ; 4-byte Folded Reload
	v_accvgpr_read_b32 v22, a26
	v_accvgpr_read_b32 v23, a27
	v_pk_mul_f32 v[38:39], v[12:13], v[38:39] op_sel_hi:[0,1]
	v_fmac_f32_e32 v4, v22, v38
	v_fmac_f32_e32 v13, v23, v39
	s_waitcnt vmcnt(0)
	v_or_b32_e32 v39, v1, v21
	v_or_b32_e32 v38, v0, v20
	buffer_load_dword v0, off, s[0:3], s32 offset:528 ; 4-byte Folded Reload
	buffer_load_dword v1, off, s[0:3], s32 offset:532 ; 4-byte Folded Reload
	;; [unrolled: 1-line block ×4, first 2 shown]
	s_waitcnt vmcnt(0)
	v_or_b32_e32 v53, v1, v21
	v_or_b32_e32 v52, v0, v20
	buffer_load_dword v20, off, s[0:3], s32 offset:780 ; 4-byte Folded Reload
	buffer_load_dword v21, off, s[0:3], s32 offset:784 ; 4-byte Folded Reload
	;; [unrolled: 1-line block ×4, first 2 shown]
	v_pk_mul_f32 v[52:53], v[12:13], v[52:53] op_sel_hi:[0,1]
	s_waitcnt vmcnt(3)
	v_fmac_f32_e32 v4, v20, v52
	s_waitcnt vmcnt(2)
	v_fmac_f32_e32 v13, v21, v53
	buffer_load_dword v0, off, s[0:3], s32 offset:576 ; 4-byte Folded Reload
	buffer_load_dword v1, off, s[0:3], s32 offset:580 ; 4-byte Folded Reload
	;; [unrolled: 1-line block ×4, first 2 shown]
	v_pk_mul_f32 v[38:39], v[12:13], v[38:39] op_sel_hi:[0,1]
	s_waitcnt vmcnt(5)
	v_fmac_f32_e32 v4, v22, v38
	s_waitcnt vmcnt(4)
	v_fmac_f32_e32 v13, v23, v39
	s_waitcnt vmcnt(0)
	v_or_b32_e32 v39, v1, v21
	v_or_b32_e32 v38, v0, v20
	buffer_load_dword v0, off, s[0:3], s32 offset:560 ; 4-byte Folded Reload
	buffer_load_dword v1, off, s[0:3], s32 offset:564 ; 4-byte Folded Reload
	;; [unrolled: 1-line block ×4, first 2 shown]
	s_waitcnt vmcnt(0)
	v_or_b32_e32 v53, v1, v21
	v_or_b32_e32 v52, v0, v20
	v_accvgpr_read_b32 v20, a56
	v_pk_mul_f32 v[52:53], v[12:13], v[52:53] op_sel_hi:[0,1]
	v_accvgpr_read_b32 v21, a57
	v_fmac_f32_e32 v4, v20, v52
	v_fmac_f32_e32 v13, v21, v53
	buffer_load_dword v0, off, s[0:3], s32 offset:608 ; 4-byte Folded Reload
	buffer_load_dword v1, off, s[0:3], s32 offset:612 ; 4-byte Folded Reload
	buffer_load_dword v20, off, s[0:3], s32 offset:600 ; 4-byte Folded Reload
	buffer_load_dword v21, off, s[0:3], s32 offset:604 ; 4-byte Folded Reload
	v_accvgpr_read_b32 v22, a58
	v_accvgpr_read_b32 v23, a59
	v_pk_mul_f32 v[38:39], v[12:13], v[38:39] op_sel_hi:[0,1]
	v_fmac_f32_e32 v4, v22, v38
	v_fmac_f32_e32 v13, v23, v39
	s_waitcnt vmcnt(0)
	v_or_b32_e32 v39, v1, v21
	v_or_b32_e32 v38, v0, v20
	buffer_load_dword v0, off, s[0:3], s32 offset:592 ; 4-byte Folded Reload
	buffer_load_dword v1, off, s[0:3], s32 offset:596 ; 4-byte Folded Reload
	;; [unrolled: 1-line block ×4, first 2 shown]
	s_waitcnt vmcnt(0)
	v_or_b32_e32 v53, v1, v21
	v_or_b32_e32 v52, v0, v20
	buffer_load_dword v20, off, s[0:3], s32 offset:764 ; 4-byte Folded Reload
	buffer_load_dword v21, off, s[0:3], s32 offset:768 ; 4-byte Folded Reload
	;; [unrolled: 1-line block ×4, first 2 shown]
	v_pk_mul_f32 v[52:53], v[12:13], v[52:53] op_sel_hi:[0,1]
	v_or_b32_e32 v1, v19, v43
	v_or_b32_e32 v0, v18, v42
	v_accvgpr_read_b32 v18, a46
	v_accvgpr_read_b32 v19, a47
	s_waitcnt vmcnt(2)
	v_fmac_f32_e32 v13, v21, v53
	v_fmac_f32_e32 v4, v20, v52
	v_pk_mul_f32 v[38:39], v[12:13], v[38:39] op_sel_hi:[0,1]
	s_waitcnt vmcnt(1)
	v_fmac_f32_e32 v4, v22, v38
	s_waitcnt vmcnt(0)
	v_fmac_f32_e32 v13, v23, v39
	v_or_b32_e32 v39, v41, v19
	v_or_b32_e32 v38, v40, v18
	v_accvgpr_read_b32 v18, a22
	v_accvgpr_read_b32 v19, a23
	v_or_b32_e32 v23, v29, v45
	v_or_b32_e32 v22, v28, v44
	;; [unrolled: 1-line block ×8, first 2 shown]
	v_accvgpr_read_b32 v14, a14
	v_accvgpr_read_b32 v15, a15
	v_or_b32_e32 v37, v37, v15
	v_or_b32_e32 v36, v36, v14
	v_accvgpr_read_b32 v14, a62
	v_accvgpr_read_b32 v18, a50
	;; [unrolled: 1-line block ×4, first 2 shown]
	v_or_b32_e32 v51, v15, v19
	v_or_b32_e32 v50, v14, v18
	v_accvgpr_read_b32 v14, a40
	v_accvgpr_read_b32 v18, a54
	;; [unrolled: 1-line block ×4, first 2 shown]
	v_or_b32_e32 v33, v55, v47
	v_or_b32_e32 v32, v54, v46
	;; [unrolled: 1-line block ×4, first 2 shown]
	v_accvgpr_read_b32 v14, a60
	v_accvgpr_read_b32 v19, a13
	v_accvgpr_read_b32 v15, a61
	v_accvgpr_read_b32 v18, a12
	v_or_b32_e32 v53, v15, v19
	v_or_b32_e32 v52, v14, v18
	v_accvgpr_read_b32 v14, a28
	v_accvgpr_read_b32 v18, a52
	v_accvgpr_read_b32 v15, a29
	v_accvgpr_read_b32 v19, a53
	v_or_b32_e32 v41, v15, v19
	v_or_b32_e32 v40, v14, v18
	;; [unrolled: 6-line block ×5, first 2 shown]
	buffer_load_dword v18, off, s[0:3], s32 offset:664 ; 4-byte Folded Reload
	buffer_load_dword v19, off, s[0:3], s32 offset:668 ; 4-byte Folded Reload
	v_accvgpr_read_b32 v14, a48
	v_accvgpr_read_b32 v15, a49
	v_pk_mul_f32 v[30:31], v[12:13], v[22:23] op_sel_hi:[0,1]
	v_pk_mul_f32 v[22:23], v[12:13], v[0:1] op_sel_hi:[0,1]
	v_or_b32_e32 v0, v10, v2
	v_pk_mul_f32 v[8:9], v[12:13], v[8:9] op_sel_hi:[0,1]
	v_accvgpr_write_b32 a0, v8
	v_accvgpr_write_b32 a1, v9
	v_pk_mul_f32 v[20:21], v[12:13], v[28:29] op_sel_hi:[0,1]
	v_pk_mul_f32 v[28:29], v[12:13], v[6:7] op_sel_hi:[0,1]
	v_or_b32_e32 v1, v11, v3
	v_pk_mul_f32 v[16:17], v[12:13], v[16:17] op_sel_hi:[0,1]
	v_pk_mul_f32 v[36:37], v[12:13], v[36:37] op_sel_hi:[0,1]
	v_pk_mul_f32 v[0:1], v[12:13], v[0:1] op_sel_hi:[0,1]
	s_waitcnt vmcnt(0)
	v_or_b32_e32 v57, v15, v19
	v_or_b32_e32 v56, v14, v18
	buffer_load_dword v14, off, s[0:3], s32 offset:656 ; 4-byte Folded Reload
	buffer_load_dword v15, off, s[0:3], s32 offset:660 ; 4-byte Folded Reload
	buffer_load_dword v18, off, s[0:3], s32 offset:648 ; 4-byte Folded Reload
	buffer_load_dword v19, off, s[0:3], s32 offset:652 ; 4-byte Folded Reload
	s_waitcnt vmcnt(0)
	v_or_b32_e32 v59, v15, v19
	v_or_b32_e32 v58, v14, v18
	buffer_load_dword v14, off, s[0:3], s32 offset:640 ; 4-byte Folded Reload
	buffer_load_dword v15, off, s[0:3], s32 offset:644 ; 4-byte Folded Reload
	buffer_load_dword v18, off, s[0:3], s32 offset:632 ; 4-byte Folded Reload
	buffer_load_dword v19, off, s[0:3], s32 offset:636 ; 4-byte Folded Reload
	;; [unrolled: 7-line block ×3, first 2 shown]
	buffer_load_dword v2, off, s[0:3], s32 offset:820 ; 4-byte Folded Reload
	s_waitcnt vmcnt(1)
	v_or_b32_e32 v27, v15, v19
	s_waitcnt vmcnt(0)
	v_and_b32_e32 v9, 64, v2
	v_or_b32_e32 v26, v14, v18
	v_xor_b32_e32 v8, 1, v2
	v_add_u32_e32 v9, 64, v9
	v_pk_mul_f32 v[6:7], v[12:13], v[26:27] op_sel_hi:[0,1]
	v_cmp_lt_i32_e32 vcc, v8, v9
	v_accvgpr_read_b32 v27, a39
	v_pk_mul_f32 v[18:19], v[12:13], v[24:25] op_sel_hi:[0,1]
	v_pk_mul_f32 v[24:25], v[12:13], v[32:33] op_sel_hi:[0,1]
	;; [unrolled: 1-line block ×15, first 2 shown]
	v_cndmask_b32_e32 v8, v2, v8, vcc
	ds_read2_b64 v[58:61], v27 offset0:25 offset1:26
	buffer_load_dword v2, off, s[0:3], s32 offset:708 ; 4-byte Folded Reload
	buffer_load_dword v3, off, s[0:3], s32 offset:712 ; 4-byte Folded Reload
	v_lshlrev_b32_e32 v10, 2, v8
	s_waitcnt vmcnt(1)
	v_fmac_f32_e32 v4, v2, v6
	s_waitcnt vmcnt(0)
	v_fmac_f32_e32 v13, v3, v7
	ds_read2_b64 v[6:9], v27 offset0:27 offset1:28
	s_waitcnt lgkmcnt(1)
	v_fmac_f32_e32 v4, v58, v56
	v_fmac_f32_e32 v13, v59, v57
	ds_read2_b64 v[56:59], v27 offset0:29 offset1:30
	v_fmac_f32_e32 v4, v60, v46
	v_fmac_f32_e32 v13, v61, v47
	s_waitcnt lgkmcnt(1)
	v_fmac_f32_e32 v4, v6, v44
	v_fmac_f32_e32 v13, v7, v45
	v_fmac_f32_e32 v4, v8, v42
	v_fmac_f32_e32 v13, v9, v43
	ds_read2_b64 v[6:9], v27 offset0:31 offset1:32
	s_waitcnt lgkmcnt(1)
	v_fmac_f32_e32 v4, v56, v40
	v_fmac_f32_e32 v13, v57, v41
	ds_read2_b64 v[40:43], v27 offset0:33 offset1:34
	v_fmac_f32_e32 v4, v58, v54
	v_fmac_f32_e32 v13, v59, v55
	s_waitcnt lgkmcnt(1)
	v_fmac_f32_e32 v4, v6, v52
	v_fmac_f32_e32 v13, v7, v53
	v_fmac_f32_e32 v4, v8, v50
	;; [unrolled: 12-line block ×4, first 2 shown]
	v_fmac_f32_e32 v13, v9, v25
	ds_read2_b64 v[6:9], v27 offset0:43 offset1:44
	s_waitcnt lgkmcnt(1)
	v_fmac_f32_e32 v4, v32, v22
	v_fmac_f32_e32 v13, v33, v23
	;; [unrolled: 1-line block ×4, first 2 shown]
	ds_read2_b64 v[20:23], v27 offset0:45 offset1:46
	s_waitcnt lgkmcnt(1)
	v_fmac_f32_e32 v4, v6, v18
	v_fmac_f32_e32 v13, v7, v19
	ds_read_b64 v[6:7], v27 offset:376
	v_accvgpr_read_b32 v3, a1
	v_fmac_f32_e32 v4, v8, v16
	v_fmac_f32_e32 v13, v9, v17
	v_accvgpr_read_b32 v2, a0
	s_waitcnt lgkmcnt(1)
	v_fmac_f32_e32 v4, v20, v2
	v_fmac_f32_e32 v13, v21, v3
	;; [unrolled: 1-line block ×4, first 2 shown]
	s_waitcnt lgkmcnt(0)
	v_fmac_f32_e32 v4, v6, v0
	v_fmac_f32_e32 v13, v7, v1
	v_add_f32_e32 v0, v4, v13
	ds_bpermute_b32 v1, v10, v0
	s_and_saveexec_b64 s[36:37], s[6:7]
	s_cbranch_execz .LBB239_11
; %bb.593:                              ;   in Loop: Header=BB239_13 Depth=1
	buffer_load_dword v4, off, s[0:3], s32 offset:204 ; 4-byte Folded Reload
	buffer_load_dword v2, off, s[0:3], s32 offset:852 ; 4-byte Folded Reload
	;; [unrolled: 1-line block ×3, first 2 shown]
	s_waitcnt lgkmcnt(0)
	v_add_f32_e32 v0, v0, v1
	s_load_dword vcc_lo, s[28:29], 0x0
	buffer_load_dword v1, off, s[0:3], s32 offset:844 ; 4-byte Folded Reload
	s_waitcnt vmcnt(2)
	v_add_u32_e32 v2, v2, v4
	s_waitcnt vmcnt(1)
	v_add_u32_e32 v3, v3, v4
	buffer_load_dword v4, off, s[0:3], s32 offset:840 ; 4-byte Folded Reload
	v_cvt_f32_i32_e32 v2, v2
	s_waitcnt vmcnt(0)
	v_mul_f32_e32 v2, v4, v2
	v_cndmask_b32_e64 v2, 0, v2, s[8:9]
	v_fmac_f32_e32 v2, v0, v1
	buffer_load_dword v1, off, s[0:3], s32 offset:816 ; 4-byte Folded Reload
	v_accvgpr_read_b32 v4, a43
	s_waitcnt lgkmcnt(0)
	v_add_u32_e32 v4, vcc_lo, v4
	v_cmp_lt_i32_e32 vcc, v3, v62
	v_cndmask_b32_e32 v0, 0, v2, vcc
	ds_write_b32 v4, v0
	s_waitcnt vmcnt(0)
	v_max_f32_e32 v0, v1, v1
	v_max_f32_e32 v0, v0, v2
	v_cndmask_b32_e32 v1, v1, v0, vcc
	buffer_store_dword v1, off, s[0:3], s32 offset:816 ; 4-byte Folded Spill
	s_branch .LBB239_11
.LBB239_594:
	s_or_b64 exec, exec, s[30:31]
	buffer_load_dword v31, off, s[0:3], s32 offset:816 ; 4-byte Folded Reload
	v_mbcnt_lo_u32_b32 v2, -1, 0
.LBB239_595:
	s_or_b64 exec, exec, s[24:25]
	v_mbcnt_hi_u32_b32 v2, -1, v2
	v_and_b32_e32 v0, 64, v2
	v_add_u32_e32 v3, 64, v0
	v_xor_b32_e32 v0, 32, v2
	v_cmp_lt_i32_e32 vcc, v0, v3
	v_cndmask_b32_e32 v0, v2, v0, vcc
	v_lshlrev_b32_e32 v0, 2, v0
	s_waitcnt vmcnt(0)
	ds_bpermute_b32 v1, v0, v31
	v_xor_b32_e32 v5, 16, v2
	v_max_f32_e32 v4, v31, v31
	v_cmp_lt_i32_e32 vcc, v5, v3
	v_xor_b32_e32 v6, 8, v2
	s_waitcnt lgkmcnt(0)
	v_max_f32_e32 v1, v1, v1
	v_max_f32_e32 v4, v4, v1
	v_cndmask_b32_e32 v1, v2, v5, vcc
	v_lshlrev_b32_e32 v1, 2, v1
	ds_bpermute_b32 v5, v1, v4
	v_cmp_lt_i32_e32 vcc, v6, v3
	v_xor_b32_e32 v7, 4, v2
	s_lshr_b32 s28, s42, 16
	s_waitcnt lgkmcnt(0)
	v_max_f32_e32 v5, v5, v5
	v_max_f32_e32 v5, v4, v5
	v_cndmask_b32_e32 v4, v2, v6, vcc
	v_lshlrev_b32_e32 v4, 2, v4
	ds_bpermute_b32 v6, v4, v5
	v_cmp_lt_i32_e32 vcc, v7, v3
	s_waitcnt lgkmcnt(0)
	v_max_f32_e32 v6, v6, v6
	v_max_f32_e32 v5, v5, v6
	v_cndmask_b32_e32 v6, v2, v7, vcc
	v_lshlrev_b32_e32 v29, 2, v6
	ds_bpermute_b32 v6, v29, v5
	v_xor_b32_e32 v7, 2, v2
	v_cmp_lt_i32_e32 vcc, v7, v3
	s_waitcnt lgkmcnt(0)
	v_max_f32_e32 v6, v6, v6
	v_max_f32_e32 v6, v5, v6
	v_cndmask_b32_e32 v5, v2, v7, vcc
	v_lshlrev_b32_e32 v35, 2, v5
	buffer_load_dword v5, off, s[0:3], s32 offset:796 ; 4-byte Folded Reload
	ds_bpermute_b32 v7, v35, v6
	s_waitcnt vmcnt(0)
	v_and_b32_e32 v41, 63, v5
	buffer_load_dword v5, off, s[0:3], s32 offset:860 ; 4-byte Folded Reload
	v_cmp_eq_u32_e32 vcc, 0, v41
	s_waitcnt vmcnt(0)
	v_lshlrev_b32_e32 v5, 2, v5
	s_and_saveexec_b64 s[6:7], vcc
	s_cbranch_execz .LBB239_597
; %bb.596:
	s_waitcnt lgkmcnt(0)
	v_max_f32_e32 v7, v7, v7
	v_max_f32_e32 v6, v6, v6
	;; [unrolled: 1-line block ×3, first 2 shown]
	ds_write_b32 v5, v6 offset:768
.LBB239_597:
	s_or_b64 exec, exec, s[6:7]
	v_cmp_gt_u32_e64 s[6:7], 2, v41
	s_waitcnt lgkmcnt(0)
	v_mov_b32_e32 v7, 0xff7fffff
	v_lshlrev_b32_e32 v6, 2, v41
	s_barrier
	s_and_saveexec_b64 s[8:9], s[6:7]
	s_cbranch_execz .LBB239_599
; %bb.598:
	ds_read_b32 v7, v6 offset:768
.LBB239_599:
	s_or_b64 exec, exec, s[8:9]
	v_xor_b32_e32 v8, 1, v2
	v_cmp_lt_i32_e64 s[8:9], v8, v3
	v_cndmask_b32_e64 v3, v2, v8, s[8:9]
	buffer_load_dword v8, off, s[0:3], s32 offset:228 ; 4-byte Folded Reload
	v_lshlrev_b32_e32 v36, 2, v3
	s_waitcnt lgkmcnt(0)
	ds_bpermute_b32 v3, v36, v7
	v_max_f32_e32 v7, v7, v7
	v_lshlrev_b32_e32 v2, 2, v2
	s_waitcnt lgkmcnt(0)
	v_max_f32_e32 v3, v3, v3
	v_max_f32_e32 v3, v7, v3
	s_waitcnt vmcnt(0)
	v_subrev_u32_e32 v8, s19, v8
	v_lshl_add_u32 v9, v8, 5, s23
	v_min_i32_e32 v7, v9, v62
	buffer_load_dword v9, off, s[0:3], s32 offset:796 ; 4-byte Folded Reload
	v_and_b32_e32 v8, 0x100, v2
	ds_bpermute_b32 v2, v8, v3
	v_subrev_u32_e32 v3, s23, v7
	s_waitcnt vmcnt(0)
	v_cmp_lt_i32_e64 s[8:9], v9, v3
	v_mov_b32_e32 v9, 0
	s_and_saveexec_b64 s[24:25], s[8:9]
	s_cbranch_execz .LBB239_603
; %bb.600:
	buffer_load_dword v11, off, s[0:3], s32 offset:796 ; 4-byte Folded Reload
	s_ashr_i32 s21, s20, 31
	s_lshl_b64 s[10:11], s[20:21], 2
	s_getpc_b64 s[26:27]
	s_add_u32 s26, s26, llvm.amdgcn.dynlds.offset.table@rel32@lo+4
	s_addc_u32 s27, s27, llvm.amdgcn.dynlds.offset.table@rel32@hi+12
	s_add_u32 s10, s10, s26
	s_addc_u32 s11, s11, s27
	s_load_dword s10, s[10:11], 0x0
	s_mov_b64 s[26:27], 0
	v_mov_b32_e32 v9, 0
	s_waitcnt vmcnt(0) lgkmcnt(0)
	v_lshl_add_u32 v10, v11, 2, s10
.LBB239_601:                            ; =>This Inner Loop Header: Depth=1
	ds_read_b32 v12, v10
	v_add_u32_e32 v11, 0x80, v11
	v_cmp_ge_i32_e64 s[10:11], v11, v3
	s_or_b64 s[26:27], s[10:11], s[26:27]
	s_waitcnt lgkmcnt(0)
	v_sub_f32_e32 v12, v12, v2
	v_mul_f32_e32 v12, 0x3fb8aa3b, v12
	v_exp_f32_e32 v12, v12
	ds_write_b32 v10, v12
	v_add_f32_e32 v9, v9, v12
	v_add_u32_e32 v10, 0x200, v10
	s_andn2_b64 exec, exec, s[26:27]
	s_cbranch_execnz .LBB239_601
; %bb.602:
	s_or_b64 exec, exec, s[26:27]
.LBB239_603:
	s_or_b64 exec, exec, s[24:25]
	ds_bpermute_b32 v0, v0, v9
	s_waitcnt lgkmcnt(0)
	v_add_f32_e32 v0, v9, v0
	ds_bpermute_b32 v1, v1, v0
	s_waitcnt lgkmcnt(0)
	v_add_f32_e32 v0, v0, v1
	;; [unrolled: 3-line block ×6, first 2 shown]
	s_and_saveexec_b64 s[10:11], vcc
	s_cbranch_execz .LBB239_605
; %bb.604:
	ds_write_b32 v5, v0 offset:776
.LBB239_605:
	s_or_b64 exec, exec, s[10:11]
	s_waitcnt lgkmcnt(0)
	s_barrier
	s_and_saveexec_b64 s[10:11], s[6:7]
	s_cbranch_execz .LBB239_607
; %bb.606:
	ds_read_b32 v0, v6 offset:776
.LBB239_607:
	s_or_b64 exec, exec, s[10:11]
	s_waitcnt lgkmcnt(0)
	ds_bpermute_b32 v1, v36, v0
	s_waitcnt lgkmcnt(0)
	v_add_f32_e32 v0, v0, v1
	ds_bpermute_b32 v4, v8, v0
	s_and_saveexec_b64 s[6:7], s[8:9]
	s_cbranch_execz .LBB239_620
; %bb.608:
	s_waitcnt lgkmcnt(0)
	v_add_f32_e32 v0, 0x358637bd, v4
	v_div_scale_f32 v1, s[8:9], v0, v0, 1.0
	v_rcp_f32_e32 v5, v1
	v_div_scale_f32 v6, vcc, 1.0, v0, 1.0
	s_movk_i32 s8, 0x7f
	v_fma_f32 v8, -v1, v5, 1.0
	v_fmac_f32_e32 v5, v8, v5
	v_mul_f32_e32 v8, v6, v5
	v_fma_f32 v9, -v1, v8, v6
	v_fmac_f32_e32 v8, v9, v5
	v_fma_f32 v1, -v1, v8, v6
	buffer_load_dword v6, off, s[0:3], s32 offset:796 ; 4-byte Folded Reload
	v_div_fmas_f32 v1, v1, v5, v8
	v_div_fixup_f32 v0, v1, v0, 1.0
	s_mov_b64 s[10:11], -1
	s_waitcnt vmcnt(0)
	v_xad_u32 v1, v6, -1, v7
	v_subrev_u32_e32 v5, s23, v1
	v_cmp_lt_u32_e32 vcc, s8, v5
	v_mov_b32_e32 v1, v6
	s_and_saveexec_b64 s[8:9], vcc
	s_cbranch_execz .LBB239_617
; %bb.609:
	v_lshrrev_b32_e32 v5, 7, v5
	v_add_u32_e32 v7, -1, v5
	v_lshrrev_b32_e32 v6, 1, v7
	v_mov_b32_e32 v1, v0
	v_add_u32_e32 v6, 1, v6
	v_cmp_lt_u32_e32 vcc, 13, v7
	v_mov_b32_e32 v9, 0
	s_and_saveexec_b64 s[10:11], vcc
	s_cbranch_execz .LBB239_613
; %bb.610:
	buffer_load_dword v8, off, s[0:3], s32 offset:796 ; 4-byte Folded Reload
	s_ashr_i32 s21, s20, 31
	s_lshl_b64 s[24:25], s[20:21], 2
	s_getpc_b64 s[26:27]
	s_add_u32 s26, s26, llvm.amdgcn.dynlds.offset.table@rel32@lo+4
	s_addc_u32 s27, s27, llvm.amdgcn.dynlds.offset.table@rel32@hi+12
	s_add_u32 s24, s24, s26
	s_addc_u32 s25, s25, s27
	s_load_dword s21, s[24:25], 0x0
	v_and_b32_e32 v7, -8, v6
	s_mov_b32 s19, 0
	s_mov_b64 s[24:25], 0
	s_waitcnt vmcnt(0) lgkmcnt(0)
	v_lshl_add_u32 v8, v8, 2, s21
.LBB239_611:                            ; =>This Inner Loop Header: Depth=1
	ds_read2st64_b32 v[10:11], v8 offset1:2
	ds_read2st64_b32 v[12:13], v8 offset0:4 offset1:6
	ds_read2st64_b32 v[18:19], v8 offset0:8 offset1:10
	;; [unrolled: 1-line block ×3, first 2 shown]
	v_add_u32_e32 v7, -8, v7
	s_waitcnt lgkmcnt(3)
	v_pk_mul_f32 v[10:11], v[0:1], v[10:11]
	s_waitcnt lgkmcnt(2)
	v_pk_mul_f32 v[12:13], v[0:1], v[12:13]
	ds_write2st64_b32 v8, v10, v11 offset1:2
	ds_write2st64_b32 v8, v12, v13 offset0:4 offset1:6
	ds_read2st64_b32 v[12:13], v8 offset0:16 offset1:18
	s_waitcnt lgkmcnt(4)
	v_pk_mul_f32 v[10:11], v[0:1], v[18:19]
	ds_write2st64_b32 v8, v10, v11 offset0:8 offset1:10
	s_waitcnt lgkmcnt(4)
	v_pk_mul_f32 v[10:11], v[0:1], v[16:17]
	ds_write2st64_b32 v8, v10, v11 offset0:12 offset1:14
	ds_read2st64_b32 v[10:11], v8 offset0:20 offset1:22
	s_waitcnt lgkmcnt(3)
	v_pk_mul_f32 v[12:13], v[0:1], v[12:13]
	ds_read2st64_b32 v[16:17], v8 offset0:24 offset1:26
	ds_write2st64_b32 v8, v12, v13 offset0:16 offset1:18
	ds_read2st64_b32 v[12:13], v8 offset0:28 offset1:30
	s_waitcnt lgkmcnt(3)
	v_pk_mul_f32 v[10:11], v[0:1], v[10:11]
	ds_write2st64_b32 v8, v10, v11 offset0:20 offset1:22
	s_waitcnt lgkmcnt(3)
	v_pk_mul_f32 v[10:11], v[0:1], v[16:17]
	ds_write2st64_b32 v8, v10, v11 offset0:24 offset1:26
	s_waitcnt lgkmcnt(2)
	v_pk_mul_f32 v[10:11], v[0:1], v[12:13]
	s_add_i32 s19, s19, 16
	v_cmp_eq_u32_e32 vcc, 0, v7
	ds_write2st64_b32 v8, v10, v11 offset0:28 offset1:30
	v_add_u32_e32 v8, 0x2000, v8
	s_or_b64 s[24:25], vcc, s[24:25]
	v_mov_b32_e32 v9, s19
	s_andn2_b64 exec, exec, s[24:25]
	s_cbranch_execnz .LBB239_611
; %bb.612:
	s_or_b64 exec, exec, s[24:25]
.LBB239_613:
	s_or_b64 exec, exec, s[10:11]
	v_and_b32_e32 v6, 7, v6
	v_cmp_ne_u32_e32 vcc, 0, v6
	s_and_saveexec_b64 s[10:11], vcc
	s_cbranch_execz .LBB239_616
; %bb.614:
	buffer_load_dword v8, off, s[0:3], s32 offset:900 ; 4-byte Folded Reload
	s_ashr_i32 s21, s20, 31
	s_lshl_b64 s[24:25], s[20:21], 2
	s_getpc_b64 s[26:27]
	s_add_u32 s26, s26, llvm.amdgcn.dynlds.offset.table@rel32@lo+4
	s_addc_u32 s27, s27, llvm.amdgcn.dynlds.offset.table@rel32@hi+12
	s_add_u32 s24, s24, s26
	s_addc_u32 s25, s25, s27
	s_load_dword s19, s[24:25], 0x0
	v_lshlrev_b32_e32 v7, 9, v9
	s_mov_b64 s[24:25], 0
	s_waitcnt vmcnt(0) lgkmcnt(0)
	v_add3_u32 v7, v7, v8, s19
.LBB239_615:                            ; =>This Inner Loop Header: Depth=1
	ds_read2st64_b32 v[8:9], v7 offset1:2
	v_add_u32_e32 v6, -1, v6
	v_cmp_eq_u32_e32 vcc, 0, v6
	s_or_b64 s[24:25], vcc, s[24:25]
	s_waitcnt lgkmcnt(0)
	v_pk_mul_f32 v[8:9], v[0:1], v[8:9]
	ds_write2st64_b32 v7, v8, v9 offset1:2
	v_add_u32_e32 v7, 0x400, v7
	s_andn2_b64 exec, exec, s[24:25]
	s_cbranch_execnz .LBB239_615
.LBB239_616:
	s_or_b64 exec, exec, s[10:11]
	buffer_load_dword v1, off, s[0:3], s32 offset:796 ; 4-byte Folded Reload
	v_add_u32_e32 v5, 1, v5
	v_and_b32_e32 v6, 0x3fffffe, v5
	v_cmp_ne_u32_e32 vcc, v5, v6
	s_orn2_b64 s[10:11], vcc, exec
	s_waitcnt vmcnt(0)
	v_lshl_add_u32 v1, v6, 7, v1
.LBB239_617:
	s_or_b64 exec, exec, s[8:9]
	s_and_b64 exec, exec, s[10:11]
	s_cbranch_execz .LBB239_620
; %bb.618:
	s_ashr_i32 s21, s20, 31
	s_lshl_b64 s[8:9], s[20:21], 2
	s_getpc_b64 s[10:11]
	s_add_u32 s10, s10, llvm.amdgcn.dynlds.offset.table@rel32@lo+4
	s_addc_u32 s11, s11, llvm.amdgcn.dynlds.offset.table@rel32@hi+12
	s_add_u32 s8, s8, s10
	s_addc_u32 s9, s9, s11
	s_load_dword s8, s[8:9], 0x0
	s_waitcnt lgkmcnt(0)
	v_lshl_add_u32 v5, v1, 2, s8
	s_mov_b64 s[8:9], 0
.LBB239_619:                            ; =>This Inner Loop Header: Depth=1
	ds_read_b32 v6, v5
	v_add_u32_e32 v1, 0x80, v1
	v_cmp_ge_i32_e32 vcc, v1, v3
	s_or_b64 s[8:9], vcc, s[8:9]
	s_waitcnt lgkmcnt(0)
	v_mul_f32_e32 v6, v0, v6
	ds_write_b32 v5, v6
	v_add_u32_e32 v5, 0x200, v5
	s_andn2_b64 exec, exec, s[8:9]
	s_cbranch_execnz .LBB239_619
.LBB239_620:
	s_or_b64 exec, exec, s[6:7]
	s_waitcnt lgkmcnt(0)
	s_barrier
	buffer_load_dword v0, off, s[0:3], s32 offset:796 ; 4-byte Folded Reload
	v_cmp_ne_u16_e64 s[6:7], s28, 0
	s_cmp_lg_u64 s[6:7], 0
	s_addc_u32 s19, s13, 0
	s_mul_i32 s6, s19, s22
	s_mul_i32 s6, s6, s15
	s_waitcnt vmcnt(0)
	v_cmp_eq_u32_e32 vcc, 0, v0
	s_and_saveexec_b64 s[8:9], vcc
	s_cbranch_execz .LBB239_622
; %bb.621:
	buffer_load_dword v0, off, s[0:3], s32 offset:896 ; 4-byte Folded Reload
	buffer_load_dword v3, off, s[0:3], s32 offset:892 ; 4-byte Folded Reload
	s_mul_i32 s12, s19, s12
	s_ashr_i32 s7, s6, 31
	s_ashr_i32 s13, s12, 31
	;; [unrolled: 1-line block ×3, first 2 shown]
	s_lshl_b64 s[10:11], s[6:7], 2
	s_lshl_b64 s[12:13], s[12:13], 2
	;; [unrolled: 1-line block ×3, first 2 shown]
	s_add_u32 s7, s22, s12
	s_addc_u32 s12, s23, s13
	s_add_u32 s7, s7, s10
	s_addc_u32 s10, s12, s11
	v_mov_b32_e32 v1, s10
	s_waitcnt vmcnt(1)
	v_add_co_u32_e32 v0, vcc, s7, v0
	s_waitcnt vmcnt(0)
	v_addc_co_u32_e32 v1, vcc, v1, v3, vcc
	flat_store_dword v[0:1], v2
	buffer_load_dword v0, off, s[0:3], s32 offset:888 ; 4-byte Folded Reload
	v_mov_b32_e32 v1, s10
	buffer_load_dword v2, off, s[0:3], s32 offset:932 ; 4-byte Folded Reload
	s_waitcnt vmcnt(0)
	v_add_co_u32_e32 v0, vcc, s7, v0
	v_addc_co_u32_e32 v1, vcc, v1, v2, vcc
	flat_store_dword v[0:1], v4
.LBB239_622:
	s_or_b64 exec, exec, s[8:9]
	buffer_load_dword v0, off, s[0:3], s32 offset:796 ; 4-byte Folded Reload
	s_ashr_i32 s21, s20, 31
	s_lshl_b64 s[8:9], s[20:21], 2
	s_getpc_b64 s[10:11]
	s_add_u32 s10, s10, llvm.amdgcn.dynlds.offset.table@rel32@lo+4
	s_addc_u32 s11, s11, llvm.amdgcn.dynlds.offset.table@rel32@hi+12
	s_add_u32 s8, s8, s10
	s_addc_u32 s9, s9, s11
	s_mov_b32 s12, 0
	v_mov_b32_e32 v4, 0
	v_mov_b32_e32 v5, 0
	v_mov_b32_e32 v6, 0
	v_mov_b32_e32 v7, 0
	v_mov_b32_e32 v8, 0
	v_mov_b32_e32 v9, 0
	v_mov_b32_e32 v14, 0
	v_mov_b32_e32 v15, 0
	v_mov_b32_e32 v18, 0
	v_mov_b32_e32 v19, 0
	v_mov_b32_e32 v16, 0
	v_mov_b32_e32 v17, 0
	v_mov_b32_e32 v20, 0
	v_mov_b32_e32 v21, 0
	v_mov_b32_e32 v26, 0
	v_mov_b32_e32 v27, 0
	v_mov_b32_e32 v50, 0
	v_mov_b32_e32 v51, 0
	v_mov_b32_e32 v48, 0
	v_mov_b32_e32 v49, 0
	v_mov_b32_e32 v32, 0
	v_mov_b32_e32 v33, 0
	v_mov_b32_e32 v38, 0
	v_mov_b32_e32 v39, 0
	s_waitcnt vmcnt(0)
	v_and_b32_e32 v37, 7, v0
	s_and_saveexec_b64 s[10:11], s[4:5]
	s_cbranch_execz .LBB239_1252
; %bb.623:
	buffer_store_dword v36, off, s[0:3], s32 offset:408 ; 4-byte Folded Spill
	buffer_store_dword v29, off, s[0:3], s32 offset:416 ; 4-byte Folded Spill
	;; [unrolled: 1-line block ×3, first 2 shown]
	s_load_dword s4, s[8:9], 0x0
	buffer_load_dword v5, off, s[0:3], s32 offset:900 ; 4-byte Folded Reload
	buffer_load_dword v1, off, s[0:3], s32 offset:920 ; 4-byte Folded Reload
	buffer_load_dword v0, off, s[0:3], s32 offset:884 ; 4-byte Folded Reload
	v_mov_b32_e32 v51, 0
	s_mov_b64 s[20:21], 0
	s_movk_i32 s7, 0x80
	s_movk_i32 s15, 0x7f
	s_brev_b32 s13, 1
	s_mov_b32 s23, 0x7f800001
	s_mov_b32 s34, 0xffffff
	v_mov_b32_e32 v9, 0
	v_mov_b32_e32 v8, 0
	;; [unrolled: 1-line block ×4, first 2 shown]
	s_waitcnt vmcnt(0)
	v_and_b32_e32 v4, 0xfc, v5
	v_add_co_u32_e32 v2, vcc, v0, v1
	buffer_load_dword v1, off, s[0:3], s32 offset:916 ; 4-byte Folded Reload
	buffer_load_dword v0, off, s[0:3], s32 offset:880 ; 4-byte Folded Reload
	v_and_b32_e32 v40, 28, v5
	s_waitcnt vmcnt(0)
	v_addc_co_u32_e32 v3, vcc, v0, v1, vcc
	buffer_store_dword v2, off, s[0:3], s32 offset:344 ; 4-byte Folded Spill
	s_nop 0
	buffer_store_dword v3, off, s[0:3], s32 offset:348 ; 4-byte Folded Spill
	buffer_load_dword v0, off, s[0:3], s32 offset:928 ; 4-byte Folded Reload
	v_or_b32_e32 v2, 0xf00, v5
	s_waitcnt vmcnt(0)
	v_add_u32_e32 v55, -1, v0
	buffer_load_dword v0, off, s[0:3], s32 offset:912 ; 4-byte Folded Reload
	buffer_load_dword v1, off, s[0:3], s32 offset:856 ; 4-byte Folded Reload
	s_nop 0
	buffer_store_dword v2, off, s[0:3], s32 offset:352 ; 4-byte Folded Spill
	s_nop 0
	buffer_store_dword v3, off, s[0:3], s32 offset:356 ; 4-byte Folded Spill
	v_or_b32_e32 v2, 0x1000, v4
	buffer_store_dword v2, off, s[0:3], s32 offset:360 ; 4-byte Folded Spill
	s_nop 0
	buffer_store_dword v3, off, s[0:3], s32 offset:364 ; 4-byte Folded Spill
	v_or_b32_e32 v2, 0x1100, v4
	s_waitcnt vmcnt(0)
	v_max_i32_e32 v1, v1, v0
	v_cvt_f32_u32_e32 v0, v1
	v_accvgpr_write_b32 a15, v1
	v_sub_u32_e32 v1, 0, v1
	buffer_store_dword v2, off, s[0:3], s32 offset:368 ; 4-byte Folded Spill
	s_nop 0
	buffer_store_dword v3, off, s[0:3], s32 offset:372 ; 4-byte Folded Spill
	v_rcp_iflag_f32_e32 v0, v0
	v_or_b32_e32 v2, 0x1200, v4
	buffer_store_dword v2, off, s[0:3], s32 offset:376 ; 4-byte Folded Spill
	s_nop 0
	buffer_store_dword v3, off, s[0:3], s32 offset:380 ; 4-byte Folded Spill
	v_mul_f32_e32 v0, 0x4f7ffffe, v0
	v_cvt_u32_f32_e32 v0, v0
	v_or_b32_e32 v2, 0x1300, v4
	v_accvgpr_write_b32 a56, v2
	v_or_b32_e32 v2, 0x1400, v4
	v_mul_lo_u32 v1, v1, v0
	v_mul_hi_u32 v1, v0, v1
	v_add_u32_e32 v0, v0, v1
	v_accvgpr_write_b32 a58, v2
	v_or_b32_e32 v2, 0x1500, v4
	buffer_store_dword v0, off, s[0:3], s32 offset:320 ; 4-byte Folded Spill
	s_nop 0
	buffer_store_dword v1, off, s[0:3], s32 offset:324 ; 4-byte Folded Spill
	v_accvgpr_write_b32 a60, v2
	v_or_b32_e32 v2, 0x1600, v4
	buffer_load_dword v0, off, s[0:3], s32 offset:196 ; 4-byte Folded Reload
	buffer_load_dword v1, off, s[0:3], s32 offset:200 ; 4-byte Folded Reload
	v_accvgpr_write_b32 a62, v2
	buffer_load_dword v2, off, s[0:3], s32 offset:904 ; 4-byte Folded Reload
	buffer_load_dword v3, off, s[0:3], s32 offset:908 ; 4-byte Folded Reload
	s_waitcnt vmcnt(0)
	v_lshlrev_b64 v[0:1], 2, v[0:1]
	buffer_store_dword v37, off, s[0:3], s32 offset:432 ; 4-byte Folded Spill
	v_add_co_u32_e32 v0, vcc, v2, v0
	buffer_load_dword v2, off, s[0:3], s32 offset:868 ; 4-byte Folded Reload
	v_addc_co_u32_e32 v1, vcc, v3, v1, vcc
	s_waitcnt vmcnt(0)
	v_add_co_u32_e32 v14, vcc, v2, v0
	buffer_load_dword v0, off, s[0:3], s32 offset:864 ; 4-byte Folded Reload
	s_waitcnt vmcnt(0)
	v_addc_co_u32_e32 v15, vcc, v0, v1, vcc
	buffer_load_dword v1, off, s[0:3], s32 offset:860 ; 4-byte Folded Reload
	v_lshlrev_b32_e32 v0, 4, v37
	s_waitcnt vmcnt(0)
	v_lshl_or_b32 v0, v1, 7, v0
	s_waitcnt lgkmcnt(0)
	v_add_u32_e32 v54, s4, v0
	v_mov_b32_e32 v1, 0
	v_mov_b32_e32 v0, 0
	buffer_store_dword v0, off, s[0:3], s32 offset:312 ; 4-byte Folded Spill
	s_nop 0
	buffer_store_dword v1, off, s[0:3], s32 offset:316 ; 4-byte Folded Spill
	v_mov_b32_e32 v1, 0
	v_mov_b32_e32 v0, 0
	buffer_store_dword v0, off, s[0:3], s32 offset:240 ; 4-byte Folded Spill
	s_nop 0
	buffer_store_dword v1, off, s[0:3], s32 offset:244 ; 4-byte Folded Spill
	;; [unrolled: 5-line block ×10, first 2 shown]
	v_mov_b32_e32 v0, v4
	buffer_store_dword v0, off, s[0:3], s32 offset:384 ; 4-byte Folded Spill
	s_nop 0
	buffer_store_dword v1, off, s[0:3], s32 offset:388 ; 4-byte Folded Spill
	v_or_b32_e32 v0, 0x1700, v4
	buffer_store_dword v0, off, s[0:3], s32 offset:392 ; 4-byte Folded Spill
	s_nop 0
	buffer_store_dword v1, off, s[0:3], s32 offset:396 ; 4-byte Folded Spill
	buffer_load_dword v1, off, s[0:3], s32 offset:924 ; 4-byte Folded Reload
	s_nop 0
	buffer_store_dword v55, off, s[0:3], s32 offset:400 ; 4-byte Folded Spill
	s_branch .LBB239_626
.LBB239_624:                            ;   in Loop: Header=BB239_626 Depth=1
	s_or_b64 exec, exec, s[4:5]
	v_mul_f32_e32 v13, v1, v13
	v_mul_f32_e32 v7, v1, v7
	v_fmac_f32_e32 v13, v0, v12
	v_fmac_f32_e32 v7, v0, v6
	v_fmac_f32_e32 v13, v2, v16
	v_fmac_f32_e32 v7, v2, v8
	v_fmac_f32_e32 v13, v3, v17
	v_fmac_f32_e32 v7, v3, v9
	v_mul_f32_e32 v9, v1, v25
	v_accvgpr_read_b32 v16, a18
	v_fmac_f32_e32 v9, v0, v24
	v_accvgpr_read_b32 v17, a19
	v_fmac_f32_e32 v9, v2, v10
	v_mul_f32_e32 v10, v1, v17
	v_fmac_f32_e32 v10, v0, v16
	v_accvgpr_read_b32 v16, a36
	v_accvgpr_read_b32 v17, a37
	v_fmac_f32_e32 v9, v3, v11
	v_mul_f32_e32 v11, v1, v17
	v_fmac_f32_e32 v11, v0, v16
	v_accvgpr_read_b32 v16, a20
	v_mul_f32_e32 v19, v1, v19
	v_accvgpr_read_b32 v17, a21
	v_fmac_f32_e32 v11, v2, v16
	v_fmac_f32_e32 v19, v0, v18
	;; [unrolled: 1-line block ×3, first 2 shown]
	v_accvgpr_read_b32 v16, a34
	v_fmac_f32_e32 v19, v2, v20
	v_accvgpr_read_b32 v17, a35
	v_fmac_f32_e32 v19, v3, v21
	v_mul_f32_e32 v12, v1, v17
	v_accvgpr_read_b32 v20, a30
	v_fmac_f32_e32 v12, v0, v16
	v_accvgpr_read_b32 v16, a42
	v_accvgpr_read_b32 v21, a31
	v_fmac_f32_e32 v12, v2, v16
	v_mul_f32_e32 v16, v1, v21
	v_fmac_f32_e32 v16, v0, v20
	v_accvgpr_read_b32 v20, a32
	v_accvgpr_read_b32 v21, a33
	v_fmac_f32_e32 v16, v2, v20
	v_fmac_f32_e32 v16, v3, v21
	v_accvgpr_read_b32 v20, a26
	v_accvgpr_read_b32 v17, a43
	;; [unrolled: 1-line block ×3, first 2 shown]
	v_fmac_f32_e32 v12, v3, v17
	v_mul_f32_e32 v17, v1, v21
	v_fmac_f32_e32 v17, v0, v20
	v_accvgpr_read_b32 v20, a28
	v_accvgpr_read_b32 v21, a29
	v_fmac_f32_e32 v17, v2, v20
	v_fmac_f32_e32 v17, v3, v21
	v_accvgpr_read_b32 v20, a22
	v_accvgpr_read_b32 v21, a23
	v_mul_f32_e32 v18, v1, v21
	v_accvgpr_read_b32 v24, a40
	v_fmac_f32_e32 v18, v0, v20
	v_accvgpr_read_b32 v20, a24
	v_accvgpr_read_b32 v25, a41
	v_fmac_f32_e32 v18, v2, v20
	v_mul_f32_e32 v20, v1, v25
	v_fmac_f32_e32 v20, v0, v24
	v_accvgpr_read_b32 v24, a38
	v_accvgpr_read_b32 v25, a39
	v_fmac_f32_e32 v20, v2, v24
	v_accvgpr_read_b32 v21, a25
	v_fmac_f32_e32 v20, v3, v25
	;; [unrolled: 2-line block ×3, first 2 shown]
	v_accvgpr_read_b32 v24, a16
	v_mul_f32_e32 v21, v1, v25
	v_fmac_f32_e32 v21, v0, v24
	buffer_load_dword v24, off, s[0:3], s32 offset:312 ; 4-byte Folded Reload
	buffer_load_dword v25, off, s[0:3], s32 offset:316 ; 4-byte Folded Reload
	v_mul_f32_e32 v23, v1, v23
	v_fmac_f32_e32 v23, v0, v22
	v_fmac_f32_e32 v23, v2, v28
	;; [unrolled: 1-line block ×3, first 2 shown]
	v_mul_f32_e32 v6, v1, v35
	v_fmac_f32_e32 v6, v0, v34
	v_fmac_f32_e32 v6, v2, v4
	;; [unrolled: 1-line block ×3, first 2 shown]
	v_mul_f32_e32 v4, v1, v37
	v_mul_f32_e32 v5, v1, v47
	v_fmac_f32_e32 v4, v0, v36
	v_fmac_f32_e32 v5, v0, v46
	;; [unrolled: 1-line block ×6, first 2 shown]
	v_mul_f32_e32 v8, v1, v43
	v_fmac_f32_e32 v8, v0, v42
	v_fmac_f32_e32 v8, v2, v44
	;; [unrolled: 1-line block ×5, first 2 shown]
	s_waitcnt vmcnt(1)
	v_add_f32_e32 v24, v24, v23
	buffer_load_dword v22, off, s[0:3], s32 offset:240 ; 4-byte Folded Reload
	buffer_load_dword v23, off, s[0:3], s32 offset:244 ; 4-byte Folded Reload
	s_waitcnt vmcnt(0)
	v_add_f32_e32 v23, v23, v19
	v_add_f32_e32 v22, v22, v13
	buffer_store_dword v22, off, s[0:3], s32 offset:240 ; 4-byte Folded Spill
	s_nop 0
	buffer_store_dword v23, off, s[0:3], s32 offset:244 ; 4-byte Folded Spill
	buffer_load_dword v22, off, s[0:3], s32 offset:248 ; 4-byte Folded Reload
	s_nop 0
	buffer_load_dword v23, off, s[0:3], s32 offset:252 ; 4-byte Folded Reload
	s_waitcnt vmcnt(0)
	v_add_f32_e32 v23, v23, v7
	v_add_f32_e32 v22, v22, v6
	buffer_store_dword v22, off, s[0:3], s32 offset:248 ; 4-byte Folded Spill
	s_nop 0
	buffer_store_dword v23, off, s[0:3], s32 offset:252 ; 4-byte Folded Spill
	buffer_load_dword v6, off, s[0:3], s32 offset:256 ; 4-byte Folded Reload
	buffer_load_dword v7, off, s[0:3], s32 offset:260 ; 4-byte Folded Reload
	s_waitcnt vmcnt(0)
	v_add_f32_e32 v7, v7, v4
	v_add_f32_e32 v6, v6, v5
	buffer_store_dword v6, off, s[0:3], s32 offset:256 ; 4-byte Folded Spill
	s_nop 0
	buffer_store_dword v7, off, s[0:3], s32 offset:260 ; 4-byte Folded Spill
	buffer_load_dword v4, off, s[0:3], s32 offset:264 ; 4-byte Folded Reload
	buffer_load_dword v5, off, s[0:3], s32 offset:268 ; 4-byte Folded Reload
	v_accvgpr_read_b32 v7, a1
	v_accvgpr_read_b32 v6, a0
	v_fmac_f32_e32 v21, v2, v6
	v_fmac_f32_e32 v21, v3, v7
	v_accvgpr_read_b32 v6, a54
	v_accvgpr_read_b32 v7, a55
	s_waitcnt vmcnt(0)
	v_add_f32_e32 v5, v5, v8
	v_add_f32_e32 v4, v4, v9
	buffer_store_dword v4, off, s[0:3], s32 offset:264 ; 4-byte Folded Spill
	s_nop 0
	buffer_store_dword v5, off, s[0:3], s32 offset:268 ; 4-byte Folded Spill
	buffer_load_dword v4, off, s[0:3], s32 offset:272 ; 4-byte Folded Reload
	s_nop 0
	buffer_load_dword v5, off, s[0:3], s32 offset:276 ; 4-byte Folded Reload
	s_waitcnt vmcnt(0)
	v_add_f32_e32 v5, v5, v10
	v_add_f32_e32 v4, v4, v11
	buffer_store_dword v4, off, s[0:3], s32 offset:272 ; 4-byte Folded Spill
	s_nop 0
	buffer_store_dword v5, off, s[0:3], s32 offset:276 ; 4-byte Folded Spill
	buffer_load_dword v4, off, s[0:3], s32 offset:280 ; 4-byte Folded Reload
	s_nop 0
	buffer_load_dword v5, off, s[0:3], s32 offset:284 ; 4-byte Folded Reload
	v_accvgpr_read_b32 v10, a50
	v_accvgpr_read_b32 v11, a51
	s_waitcnt vmcnt(0)
	v_add_f32_e32 v5, v5, v12
	v_add_f32_e32 v4, v4, v16
	buffer_store_dword v4, off, s[0:3], s32 offset:280 ; 4-byte Folded Spill
	s_nop 0
	buffer_store_dword v5, off, s[0:3], s32 offset:284 ; 4-byte Folded Spill
	buffer_load_dword v4, off, s[0:3], s32 offset:288 ; 4-byte Folded Reload
	s_nop 0
	buffer_load_dword v5, off, s[0:3], s32 offset:292 ; 4-byte Folded Reload
	s_waitcnt vmcnt(0)
	v_add_f32_e32 v5, v5, v17
	v_add_f32_e32 v4, v4, v18
	buffer_store_dword v4, off, s[0:3], s32 offset:288 ; 4-byte Folded Spill
	s_nop 0
	buffer_store_dword v5, off, s[0:3], s32 offset:292 ; 4-byte Folded Spill
	buffer_load_dword v4, off, s[0:3], s32 offset:304 ; 4-byte Folded Reload
	s_nop 0
	buffer_load_dword v5, off, s[0:3], s32 offset:308 ; 4-byte Folded Reload
	s_waitcnt vmcnt(0)
	v_add_f32_e32 v5, v5, v20
	v_add_f32_e32 v4, v4, v21
	buffer_store_dword v4, off, s[0:3], s32 offset:304 ; 4-byte Folded Spill
	s_nop 0
	buffer_store_dword v5, off, s[0:3], s32 offset:308 ; 4-byte Folded Spill
	buffer_load_dword v8, off, s[0:3], s32 offset:336 ; 4-byte Folded Reload
	buffer_load_dword v9, off, s[0:3], s32 offset:340 ; 4-byte Folded Reload
	v_mul_f32_e32 v4, v1, v7
	v_fmac_f32_e32 v4, v0, v6
	v_accvgpr_read_b32 v6, a8
	v_accvgpr_read_b32 v7, a9
	v_fmac_f32_e32 v4, v2, v6
	v_fmac_f32_e32 v4, v3, v7
	v_accvgpr_read_b32 v6, a6
	v_accvgpr_read_b32 v7, a7
	s_waitcnt vmcnt(0)
	v_add_f32_e32 v9, v9, v4
	v_mul_f32_e32 v4, v1, v7
	v_fmac_f32_e32 v4, v0, v6
	v_accvgpr_read_b32 v6, a52
	v_accvgpr_read_b32 v7, a53
	v_fmac_f32_e32 v4, v2, v6
	v_fmac_f32_e32 v4, v3, v7
	v_accvgpr_read_b32 v6, a46
	v_accvgpr_read_b32 v7, a47
	v_add_f32_e32 v8, v8, v4
	v_mul_f32_e32 v4, v1, v7
	v_fmac_f32_e32 v4, v0, v6
	v_accvgpr_read_b32 v6, a48
	v_accvgpr_read_b32 v7, a49
	v_fmac_f32_e32 v4, v2, v6
	v_fmac_f32_e32 v4, v3, v7
	buffer_load_dword v6, off, s[0:3], s32 offset:328 ; 4-byte Folded Reload
	buffer_load_dword v7, off, s[0:3], s32 offset:332 ; 4-byte Folded Reload
	s_waitcnt vmcnt(0)
	v_add_f32_e32 v7, v7, v4
	v_mul_f32_e32 v4, v1, v11
	v_fmac_f32_e32 v4, v0, v10
	v_accvgpr_read_b32 v10, a44
	v_accvgpr_read_b32 v11, a45
	v_fmac_f32_e32 v4, v2, v10
	v_fmac_f32_e32 v4, v3, v11
	v_accvgpr_read_b32 v11, a3
	v_add_f32_e32 v6, v6, v4
	v_accvgpr_read_b32 v10, a2
	v_mul_f32_e32 v4, v1, v11
	v_fmac_f32_e32 v4, v0, v10
	v_accvgpr_read_b32 v10, a10
	v_accvgpr_read_b32 v11, a11
	v_fmac_f32_e32 v4, v2, v10
	v_fmac_f32_e32 v4, v3, v11
	buffer_load_dword v10, off, s[0:3], s32 offset:296 ; 4-byte Folded Reload
	buffer_load_dword v11, off, s[0:3], s32 offset:300 ; 4-byte Folded Reload
	;; [unrolled: 1-line block ×4, first 2 shown]
	s_waitcnt vmcnt(2)
	v_add_f32_e32 v11, v11, v4
	s_waitcnt vmcnt(0)
	v_mul_f32_e32 v4, v1, v13
	v_fmac_f32_e32 v4, v0, v12
	v_accvgpr_read_b32 v13, a5
	v_mul_f32_e32 v1, v1, v53
	v_accvgpr_read_b32 v12, a4
	v_fmac_f32_e32 v1, v0, v52
	v_fmac_f32_e32 v4, v2, v12
	;; [unrolled: 1-line block ×5, first 2 shown]
	v_add_f32_e32 v10, v10, v4
	v_add_f32_e32 v25, v25, v1
	buffer_store_dword v10, off, s[0:3], s32 offset:296 ; 4-byte Folded Spill
	s_nop 0
	buffer_store_dword v11, off, s[0:3], s32 offset:300 ; 4-byte Folded Spill
	buffer_store_dword v24, off, s[0:3], s32 offset:312 ; 4-byte Folded Spill
	s_nop 0
	buffer_store_dword v25, off, s[0:3], s32 offset:316 ; 4-byte Folded Spill
.LBB239_625:                            ;   in Loop: Header=BB239_626 Depth=1
	s_or_b64 exec, exec, s[24:25]
	buffer_load_dword v2, off, s[0:3], s32 offset:196 ; 4-byte Folded Reload
	buffer_load_dword v3, off, s[0:3], s32 offset:200 ; 4-byte Folded Reload
	v_accvgpr_read_b32 v1, a13
	v_add_u32_e32 v1, 64, v1
	v_add_co_u32_e32 v14, vcc, 8, v14
	v_addc_co_u32_e32 v15, vcc, 0, v15, vcc
	v_add_u32_e32 v54, 0x100, v54
	s_waitcnt vmcnt(1)
	v_add_u32_e32 v2, 2, v2
	v_mov_b32_e32 v0, v2
	buffer_store_dword v0, off, s[0:3], s32 offset:196 ; 4-byte Folded Spill
	s_nop 0
	buffer_store_dword v1, off, s[0:3], s32 offset:200 ; 4-byte Folded Spill
	buffer_load_dword v0, off, s[0:3], s32 offset:228 ; 4-byte Folded Reload
	s_waitcnt vmcnt(0)
	v_cmp_ge_i32_e32 vcc, v2, v0
	s_or_b64 s[20:21], vcc, s[20:21]
	s_andn2_b64 exec, exec, s[20:21]
	s_cbranch_execz .LBB239_1251
.LBB239_626:                            ; =>This Inner Loop Header: Depth=1
	s_waitcnt vmcnt(1)
	v_ashrrev_i32_e32 v0, 31, v1
	v_mov_b32_e32 v2, v1
	buffer_load_dword v1, off, s[0:3], s32 offset:224 ; 4-byte Folded Reload
	buffer_load_dword v4, off, s[0:3], s32 offset:212 ; 4-byte Folded Reload
	v_accvgpr_write_b32 a13, v2
	s_waitcnt vmcnt(1)
	v_xor_b32_e32 v0, v0, v1
	v_sub_u32_e32 v1, 0, v2
	v_max_i32_e32 v1, v2, v1
	buffer_load_dword v2, off, s[0:3], s32 offset:236 ; 4-byte Folded Reload
	s_waitcnt vmcnt(0)
	v_mul_hi_u32 v2, v1, v2
	v_mul_lo_u32 v3, v2, v4
	v_sub_u32_e32 v1, v1, v3
	v_add_u32_e32 v3, 1, v2
	v_cmp_ge_u32_e32 vcc, v1, v4
	v_cndmask_b32_e32 v2, v2, v3, vcc
	v_sub_u32_e32 v3, v1, v4
	v_cndmask_b32_e32 v1, v1, v3, vcc
	v_add_u32_e32 v3, 1, v2
	v_cmp_ge_u32_e32 vcc, v1, v4
	v_cndmask_b32_e32 v1, v2, v3, vcc
	buffer_load_dword v2, off, s[0:3], s32 offset:216 ; 4-byte Folded Reload
	buffer_load_dword v3, off, s[0:3], s32 offset:220 ; 4-byte Folded Reload
	;; [unrolled: 1-line block ×4, first 2 shown]
	v_xor_b32_e32 v1, v1, v0
	v_sub_u32_e32 v0, v1, v0
	s_waitcnt vmcnt(3)
	v_add_u32_e32 v1, v0, v2
	s_waitcnt vmcnt(2)
	v_sub_u32_e32 v3, 0, v1
	v_ashrrev_i32_e32 v2, 31, v1
	v_max_i32_e32 v1, v1, v3
	s_waitcnt vmcnt(1)
	v_mul_hi_u32 v3, v1, v4
	v_accvgpr_read_b32 v4, a15
	v_mul_lo_u32 v3, v3, v4
	v_sub_u32_e32 v1, v1, v3
	v_sub_u32_e32 v3, v1, v4
	v_cmp_ge_u32_e32 vcc, v1, v4
	v_cndmask_b32_e32 v1, v1, v3, vcc
	v_sub_u32_e32 v3, v1, v4
	v_cmp_ge_u32_e32 vcc, v1, v4
	v_cndmask_b32_e32 v1, v1, v3, vcc
	v_xor_b32_e32 v1, v1, v2
	v_sub_u32_e32 v1, v1, v2
	v_cmp_eq_u32_e32 vcc, 0, v1
	buffer_load_dword v1, off, s[0:3], s32 offset:232 ; 4-byte Folded Reload
	s_waitcnt vmcnt(0)
	v_cmp_gt_i32_e64 s[4:5], v0, v1
	s_or_b64 s[4:5], vcc, s[4:5]
	s_and_saveexec_b64 s[24:25], s[4:5]
	s_cbranch_execz .LBB239_625
; %bb.627:                              ;   in Loop: Header=BB239_626 Depth=1
	buffer_store_dword v6, off, s[0:3], s32 offset:328 ; 4-byte Folded Spill
	s_nop 0
	buffer_store_dword v7, off, s[0:3], s32 offset:332 ; 4-byte Folded Spill
	buffer_store_dword v8, off, s[0:3], s32 offset:336 ; 4-byte Folded Spill
	s_nop 0
	buffer_store_dword v9, off, s[0:3], s32 offset:340 ; 4-byte Folded Spill
	flat_load_dword v0, v[14:15]
	buffer_load_dword v2, off, s[0:3], s32 offset:672 ; 4-byte Folded Reload
	buffer_load_dword v3, off, s[0:3], s32 offset:676 ; 4-byte Folded Reload
	;; [unrolled: 1-line block ×4, first 2 shown]
	v_pk_mov_b32 v[8:9], 0, 0
	v_pk_mov_b32 v[6:7], v[8:9], v[8:9] op_sel:[0,1]
	s_waitcnt vmcnt(0) lgkmcnt(0)
	v_mad_i64_i32 v[52:53], s[4:5], v0, v2, v[4:5]
	buffer_load_dword v0, off, s[0:3], s32 offset:384 ; 4-byte Folded Reload
	buffer_load_dword v1, off, s[0:3], s32 offset:388 ; 4-byte Folded Reload
	s_waitcnt vmcnt(1)
	v_add_co_u32_e32 v24, vcc, v52, v0
	v_addc_co_u32_e32 v25, vcc, 0, v53, vcc
	flat_load_dword v4, v[24:25]
	buffer_load_dword v0, off, s[0:3], s32 offset:800 ; 4-byte Folded Reload
	buffer_load_dword v1, off, s[0:3], s32 offset:804 ; 4-byte Folded Reload
	s_waitcnt vmcnt(0) lgkmcnt(0)
	v_cmp_ne_u16_sdwa s[26:27], v4, v51 src0_sel:BYTE_0 src1_sel:DWORD
	flat_load_dword v26, v[0:1]
	ds_read_b128 v[0:3], v54
	s_and_saveexec_b64 s[4:5], s[26:27]
	s_cbranch_execz .LBB239_633
; %bb.628:                              ;   in Loop: Header=BB239_626 Depth=1
	v_bfrev_b32_e32 v6, 1
	v_cmp_ne_u16_sdwa s[28:29], v4, s7 src0_sel:BYTE_0 src1_sel:DWORD
	v_mov_b32_e32 v7, 0
	s_and_saveexec_b64 s[26:27], s[28:29]
	s_cbranch_execz .LBB239_632
; %bb.629:                              ;   in Loop: Header=BB239_626 Depth=1
	v_and_b32_e32 v5, 0x7f, v4
	v_mov_b32_e32 v6, 0x7f800001
	v_cmp_ne_u32_e32 vcc, s15, v5
	v_mov_b32_e32 v7, 0
	s_and_saveexec_b64 s[28:29], vcc
	s_cbranch_execz .LBB239_631
; %bb.630:                              ;   in Loop: Header=BB239_626 Depth=1
	v_and_b32_e32 v10, 7, v4
	v_ffbh_u32_e32 v6, v10
	v_min_u32_e32 v12, 32, v6
	v_subrev_u32_e32 v6, 28, v12
	v_lshlrev_b64 v[6:7], v6, v[4:5]
	v_lshrrev_b32_e32 v11, 3, v5
	v_sub_u32_e32 v7, 29, v12
	v_and_b32_e32 v6, 7, v6
	v_cmp_gt_u32_e32 vcc, 8, v5
	v_cndmask_b32_e32 v5, v11, v7, vcc
	v_cndmask_b32_e32 v6, v10, v6, vcc
	v_bfrev_b32_e32 v10, 60
	v_lshlrev_b32_e32 v6, 20, v6
	v_and_b32_sdwa v7, sext(v4), s13 dst_sel:DWORD dst_unused:UNUSED_PAD src0_sel:BYTE_0 src1_sel:DWORD
	v_lshl_add_u32 v5, v5, 23, v10
	v_or3_b32 v50, v7, v5, v6
	v_pk_mov_b32 v[6:7], v[50:51], v[50:51] op_sel:[0,1]
.LBB239_631:                            ;   in Loop: Header=BB239_626 Depth=1
	s_or_b64 exec, exec, s[28:29]
.LBB239_632:                            ;   in Loop: Header=BB239_626 Depth=1
	s_or_b64 exec, exec, s[26:27]
.LBB239_633:                            ;   in Loop: Header=BB239_626 Depth=1
	s_or_b64 exec, exec, s[4:5]
	v_cmp_ne_u16_sdwa s[26:27], v4, v51 src0_sel:BYTE_1 src1_sel:DWORD
	s_and_saveexec_b64 s[4:5], s[26:27]
	s_cbranch_execz .LBB239_639
; %bb.634:                              ;   in Loop: Header=BB239_626 Depth=1
	v_cmp_ne_u16_sdwa s[28:29], v4, s7 src0_sel:BYTE_1 src1_sel:DWORD
	v_pk_mov_b32 v[8:9], s[12:13], s[12:13] op_sel:[0,1]
	s_and_saveexec_b64 s[26:27], s[28:29]
	s_cbranch_execz .LBB239_638
; %bb.635:                              ;   in Loop: Header=BB239_626 Depth=1
	v_and_b32_sdwa v5, v4, s15 dst_sel:DWORD dst_unused:UNUSED_PAD src0_sel:BYTE_1 src1_sel:DWORD
	s_mov_b32 s22, s12
	v_cmp_ne_u32_e32 vcc, s15, v5
	v_pk_mov_b32 v[8:9], s[22:23], s[22:23] op_sel:[0,1]
	s_and_saveexec_b64 s[28:29], vcc
	s_cbranch_execz .LBB239_637
; %bb.636:                              ;   in Loop: Header=BB239_626 Depth=1
	v_mov_b32_e32 v8, 7
	v_and_b32_sdwa v50, v4, v8 dst_sel:DWORD dst_unused:UNUSED_PAD src0_sel:BYTE_1 src1_sel:DWORD
	v_ffbh_u32_e32 v8, v50
	v_min_u32_e32 v11, 32, v8
	v_subrev_u32_e32 v8, 28, v11
	v_lshlrev_b64 v[8:9], v8, v[50:51]
	v_lshrrev_b32_e32 v10, 3, v5
	v_sub_u32_e32 v9, 29, v11
	v_cmp_gt_u32_e32 vcc, 8, v5
	v_and_b32_e32 v8, 7, v8
	v_cndmask_b32_e32 v5, v10, v9, vcc
	v_bfrev_b32_e32 v10, 60
	v_cndmask_b32_e32 v8, v50, v8, vcc
	v_lshlrev_b32_e32 v9, 16, v4
	v_lshl_add_u32 v5, v5, 23, v10
	v_and_or_b32 v5, v9, s13, v5
	v_lshlrev_b32_e32 v8, 20, v8
	v_or_b32_e32 v9, v5, v8
	v_mov_b32_e32 v8, v51
.LBB239_637:                            ;   in Loop: Header=BB239_626 Depth=1
	s_or_b64 exec, exec, s[28:29]
.LBB239_638:                            ;   in Loop: Header=BB239_626 Depth=1
	s_or_b64 exec, exec, s[26:27]
.LBB239_639:                            ;   in Loop: Header=BB239_626 Depth=1
	s_or_b64 exec, exec, s[4:5]
	v_lshrrev_b32_e32 v16, 16, v4
	v_pk_mov_b32 v[12:13], 0, 0
	v_cmp_ne_u16_sdwa s[26:27], v16, v51 src0_sel:BYTE_0 src1_sel:DWORD
	v_pk_mov_b32 v[10:11], v[12:13], v[12:13] op_sel:[0,1]
	s_and_saveexec_b64 s[4:5], s[26:27]
	s_cbranch_execz .LBB239_645
; %bb.640:                              ;   in Loop: Header=BB239_626 Depth=1
	v_bfrev_b32_e32 v10, 1
	v_cmp_ne_u16_sdwa s[28:29], v16, s7 src0_sel:BYTE_0 src1_sel:DWORD
	v_mov_b32_e32 v11, 0
	s_and_saveexec_b64 s[26:27], s[28:29]
	s_cbranch_execz .LBB239_644
; %bb.641:                              ;   in Loop: Header=BB239_626 Depth=1
	v_bfe_u32 v5, v4, 16, 7
	v_mov_b32_e32 v10, 0x7f800001
	v_cmp_ne_u32_e32 vcc, s15, v5
	v_mov_b32_e32 v11, 0
	s_and_saveexec_b64 s[28:29], vcc
	s_cbranch_execz .LBB239_643
; %bb.642:                              ;   in Loop: Header=BB239_626 Depth=1
	v_and_b32_e32 v17, 7, v16
	v_ffbh_u32_e32 v10, v17
	v_min_u32_e32 v19, 32, v10
	v_subrev_u32_e32 v10, 28, v19
	v_lshlrev_b64 v[10:11], v10, v[16:17]
	v_lshrrev_b32_e32 v18, 3, v5
	v_sub_u32_e32 v11, 29, v19
	v_and_b32_e32 v10, 7, v10
	v_cmp_gt_u32_e32 vcc, 8, v5
	v_cndmask_b32_e32 v5, v18, v11, vcc
	v_cndmask_b32_e32 v10, v17, v10, vcc
	v_and_b32_sdwa v11, sext(v16), s13 dst_sel:DWORD dst_unused:UNUSED_PAD src0_sel:BYTE_0 src1_sel:DWORD
	v_bfrev_b32_e32 v16, 60
	v_lshlrev_b32_e32 v10, 20, v10
	v_lshl_add_u32 v5, v5, 23, v16
	v_or3_b32 v50, v11, v5, v10
	v_pk_mov_b32 v[10:11], v[50:51], v[50:51] op_sel:[0,1]
.LBB239_643:                            ;   in Loop: Header=BB239_626 Depth=1
	s_or_b64 exec, exec, s[28:29]
.LBB239_644:                            ;   in Loop: Header=BB239_626 Depth=1
	s_or_b64 exec, exec, s[26:27]
.LBB239_645:                            ;   in Loop: Header=BB239_626 Depth=1
	s_or_b64 exec, exec, s[4:5]
	v_cmp_lt_u32_e32 vcc, s34, v4
	s_and_saveexec_b64 s[4:5], vcc
	s_cbranch_execz .LBB239_651
; %bb.646:                              ;   in Loop: Header=BB239_626 Depth=1
	v_cmp_ne_u32_sdwa s[28:29], v4, s7 src0_sel:BYTE_3 src1_sel:DWORD
	v_pk_mov_b32 v[12:13], s[12:13], s[12:13] op_sel:[0,1]
	s_and_saveexec_b64 s[26:27], s[28:29]
	s_cbranch_execz .LBB239_650
; %bb.647:                              ;   in Loop: Header=BB239_626 Depth=1
	v_bfe_u32 v5, v4, 24, 7
	s_mov_b32 s22, s12
	v_cmp_ne_u32_e32 vcc, s15, v5
	v_pk_mov_b32 v[12:13], s[22:23], s[22:23] op_sel:[0,1]
	s_and_saveexec_b64 s[28:29], vcc
	s_cbranch_execz .LBB239_649
; %bb.648:                              ;   in Loop: Header=BB239_626 Depth=1
	v_mov_b32_e32 v12, 7
	v_and_b32_sdwa v50, v4, v12 dst_sel:DWORD dst_unused:UNUSED_PAD src0_sel:BYTE_3 src1_sel:DWORD
	v_ffbh_u32_e32 v12, v50
	v_min_u32_e32 v17, 32, v12
	v_subrev_u32_e32 v12, 28, v17
	v_lshlrev_b64 v[12:13], v12, v[50:51]
	v_lshrrev_b32_e32 v16, 3, v5
	v_sub_u32_e32 v13, 29, v17
	v_cmp_gt_u32_e32 vcc, 8, v5
	v_cndmask_b32_e32 v5, v16, v13, vcc
	v_mov_b32_e32 v13, 24
	v_and_b32_e32 v12, 7, v12
	v_lshlrev_b32_sdwa v4, v13, v4 dst_sel:DWORD dst_unused:UNUSED_PAD src0_sel:DWORD src1_sel:BYTE_3
	v_bfrev_b32_e32 v13, 60
	v_cndmask_b32_e32 v12, v50, v12, vcc
	v_lshl_add_u32 v5, v5, 23, v13
	v_and_or_b32 v4, v4, s13, v5
	v_lshlrev_b32_e32 v5, 20, v12
	v_or_b32_e32 v13, v4, v5
	v_mov_b32_e32 v12, v51
.LBB239_649:                            ;   in Loop: Header=BB239_626 Depth=1
	s_or_b64 exec, exec, s[28:29]
.LBB239_650:                            ;   in Loop: Header=BB239_626 Depth=1
	s_or_b64 exec, exec, s[26:27]
.LBB239_651:                            ;   in Loop: Header=BB239_626 Depth=1
	s_or_b64 exec, exec, s[4:5]
	v_accvgpr_read_b32 v4, a13
	v_add_u32_e32 v16, v40, v4
	buffer_load_dword v4, off, s[0:3], s32 offset:196 ; 4-byte Folded Reload
	buffer_load_dword v5, off, s[0:3], s32 offset:200 ; 4-byte Folded Reload
	s_waitcnt vmcnt(0)
	v_or_b32_e32 v5, v9, v7
	v_accvgpr_write_b32 a57, v16
	v_cmp_eq_u32_e32 vcc, v55, v4
	v_or_b32_e32 v4, v8, v6
	s_waitcnt lgkmcnt(0)
	v_pk_mul_f32 v[4:5], v[26:27], v[4:5] op_sel_hi:[0,1]
	buffer_store_dword v4, off, s[0:3], s32 offset:204 ; 4-byte Folded Spill
	s_nop 0
	buffer_store_dword v5, off, s[0:3], s32 offset:208 ; 4-byte Folded Spill
	v_or_b32_e32 v5, v13, v11
	v_or_b32_e32 v4, v12, v10
	v_pk_mul_f32 v[4:5], v[26:27], v[4:5] op_sel_hi:[0,1]
	v_accvgpr_write_b32 a4, v4
	v_accvgpr_write_b32 a5, v5
	v_add_u32_e32 v4, 1, v16
	v_accvgpr_write_b32 a63, v4
	v_add_u32_e32 v4, 2, v16
	;; [unrolled: 2-line block ×3, first 2 shown]
	v_accvgpr_write_b32 a59, v4
	s_and_saveexec_b64 s[26:27], vcc
	s_cbranch_execz .LBB239_653
; %bb.652:                              ;   in Loop: Header=BB239_626 Depth=1
	v_accvgpr_read_b32 v4, a57
	v_cmp_lt_i32_e64 s[4:5], v4, v62
	buffer_load_dword v4, off, s[0:3], s32 offset:204 ; 4-byte Folded Reload
	buffer_load_dword v5, off, s[0:3], s32 offset:208 ; 4-byte Folded Reload
	v_accvgpr_read_b32 v6, a63
	s_waitcnt vmcnt(1)
	v_cndmask_b32_e64 v4, 0, v4, s[4:5]
	v_cmp_lt_i32_e64 s[4:5], v6, v62
	s_waitcnt vmcnt(0)
	v_cndmask_b32_e64 v5, 0, v5, s[4:5]
	buffer_store_dword v4, off, s[0:3], s32 offset:204 ; 4-byte Folded Spill
	s_nop 0
	buffer_store_dword v5, off, s[0:3], s32 offset:208 ; 4-byte Folded Spill
	v_accvgpr_read_b32 v4, a61
	v_cmp_lt_i32_e64 s[4:5], v4, v62
	v_accvgpr_read_b32 v4, a4
	v_accvgpr_read_b32 v6, a59
	;; [unrolled: 1-line block ×3, first 2 shown]
	v_cndmask_b32_e64 v4, 0, v4, s[4:5]
	v_cmp_lt_i32_e64 s[4:5], v6, v62
	v_cndmask_b32_e64 v5, 0, v5, s[4:5]
	v_accvgpr_write_b32 a4, v4
	v_accvgpr_write_b32 a5, v5
.LBB239_653:                            ;   in Loop: Header=BB239_626 Depth=1
	s_or_b64 exec, exec, s[26:27]
	flat_load_dword v4, v[24:25] offset:256
	v_pk_mov_b32 v[8:9], 0, 0
	v_pk_mov_b32 v[6:7], v[8:9], v[8:9] op_sel:[0,1]
	s_waitcnt vmcnt(0) lgkmcnt(0)
	v_cmp_ne_u16_sdwa s[4:5], v4, v51 src0_sel:BYTE_0 src1_sel:DWORD
	s_and_saveexec_b64 s[26:27], s[4:5]
	s_cbranch_execz .LBB239_659
; %bb.654:                              ;   in Loop: Header=BB239_626 Depth=1
	v_bfrev_b32_e32 v6, 1
	v_cmp_ne_u16_sdwa s[4:5], v4, s7 src0_sel:BYTE_0 src1_sel:DWORD
	v_mov_b32_e32 v7, 0
	s_and_saveexec_b64 s[28:29], s[4:5]
	s_cbranch_execz .LBB239_658
; %bb.655:                              ;   in Loop: Header=BB239_626 Depth=1
	v_and_b32_e32 v5, 0x7f, v4
	v_mov_b32_e32 v6, 0x7f800001
	v_cmp_ne_u32_e64 s[4:5], s15, v5
	v_mov_b32_e32 v7, 0
	s_and_saveexec_b64 s[30:31], s[4:5]
	s_cbranch_execz .LBB239_657
; %bb.656:                              ;   in Loop: Header=BB239_626 Depth=1
	v_and_b32_e32 v10, 7, v4
	v_ffbh_u32_e32 v6, v10
	v_min_u32_e32 v12, 32, v6
	v_subrev_u32_e32 v6, 28, v12
	v_lshlrev_b64 v[6:7], v6, v[4:5]
	v_lshrrev_b32_e32 v11, 3, v5
	v_sub_u32_e32 v7, 29, v12
	v_and_b32_e32 v6, 7, v6
	v_cmp_gt_u32_e64 s[4:5], 8, v5
	v_cndmask_b32_e64 v5, v11, v7, s[4:5]
	v_cndmask_b32_e64 v6, v10, v6, s[4:5]
	v_bfrev_b32_e32 v10, 60
	v_lshlrev_b32_e32 v6, 20, v6
	v_and_b32_sdwa v7, sext(v4), s13 dst_sel:DWORD dst_unused:UNUSED_PAD src0_sel:BYTE_0 src1_sel:DWORD
	v_lshl_add_u32 v5, v5, 23, v10
	v_or3_b32 v50, v7, v5, v6
	v_pk_mov_b32 v[6:7], v[50:51], v[50:51] op_sel:[0,1]
.LBB239_657:                            ;   in Loop: Header=BB239_626 Depth=1
	s_or_b64 exec, exec, s[30:31]
.LBB239_658:                            ;   in Loop: Header=BB239_626 Depth=1
	s_or_b64 exec, exec, s[28:29]
.LBB239_659:                            ;   in Loop: Header=BB239_626 Depth=1
	s_or_b64 exec, exec, s[26:27]
	v_cmp_ne_u16_sdwa s[4:5], v4, v51 src0_sel:BYTE_1 src1_sel:DWORD
	s_and_saveexec_b64 s[26:27], s[4:5]
	s_cbranch_execz .LBB239_665
; %bb.660:                              ;   in Loop: Header=BB239_626 Depth=1
	v_cmp_ne_u16_sdwa s[4:5], v4, s7 src0_sel:BYTE_1 src1_sel:DWORD
	v_pk_mov_b32 v[8:9], s[12:13], s[12:13] op_sel:[0,1]
	s_and_saveexec_b64 s[28:29], s[4:5]
	s_cbranch_execz .LBB239_664
; %bb.661:                              ;   in Loop: Header=BB239_626 Depth=1
	v_and_b32_sdwa v5, v4, s15 dst_sel:DWORD dst_unused:UNUSED_PAD src0_sel:BYTE_1 src1_sel:DWORD
	s_mov_b32 s22, s12
	v_cmp_ne_u32_e64 s[4:5], s15, v5
	v_pk_mov_b32 v[8:9], s[22:23], s[22:23] op_sel:[0,1]
	s_and_saveexec_b64 s[30:31], s[4:5]
	s_cbranch_execz .LBB239_663
; %bb.662:                              ;   in Loop: Header=BB239_626 Depth=1
	v_mov_b32_e32 v8, 7
	v_and_b32_sdwa v50, v4, v8 dst_sel:DWORD dst_unused:UNUSED_PAD src0_sel:BYTE_1 src1_sel:DWORD
	v_ffbh_u32_e32 v8, v50
	v_min_u32_e32 v11, 32, v8
	v_subrev_u32_e32 v8, 28, v11
	v_lshlrev_b64 v[8:9], v8, v[50:51]
	v_lshrrev_b32_e32 v10, 3, v5
	v_sub_u32_e32 v9, 29, v11
	v_cmp_gt_u32_e64 s[4:5], 8, v5
	v_and_b32_e32 v8, 7, v8
	v_cndmask_b32_e64 v5, v10, v9, s[4:5]
	v_bfrev_b32_e32 v10, 60
	v_cndmask_b32_e64 v8, v50, v8, s[4:5]
	v_lshlrev_b32_e32 v9, 16, v4
	v_lshl_add_u32 v5, v5, 23, v10
	v_and_or_b32 v5, v9, s13, v5
	v_lshlrev_b32_e32 v8, 20, v8
	v_or_b32_e32 v9, v5, v8
	v_mov_b32_e32 v8, v51
.LBB239_663:                            ;   in Loop: Header=BB239_626 Depth=1
	s_or_b64 exec, exec, s[30:31]
.LBB239_664:                            ;   in Loop: Header=BB239_626 Depth=1
	s_or_b64 exec, exec, s[28:29]
.LBB239_665:                            ;   in Loop: Header=BB239_626 Depth=1
	s_or_b64 exec, exec, s[26:27]
	v_lshrrev_b32_e32 v16, 16, v4
	v_pk_mov_b32 v[12:13], 0, 0
	v_cmp_ne_u16_sdwa s[4:5], v16, v51 src0_sel:BYTE_0 src1_sel:DWORD
	v_pk_mov_b32 v[10:11], v[12:13], v[12:13] op_sel:[0,1]
	s_and_saveexec_b64 s[26:27], s[4:5]
	s_cbranch_execz .LBB239_671
; %bb.666:                              ;   in Loop: Header=BB239_626 Depth=1
	v_bfrev_b32_e32 v10, 1
	v_cmp_ne_u16_sdwa s[4:5], v16, s7 src0_sel:BYTE_0 src1_sel:DWORD
	v_mov_b32_e32 v11, 0
	s_and_saveexec_b64 s[28:29], s[4:5]
	s_cbranch_execz .LBB239_670
; %bb.667:                              ;   in Loop: Header=BB239_626 Depth=1
	v_bfe_u32 v5, v4, 16, 7
	v_mov_b32_e32 v10, 0x7f800001
	v_cmp_ne_u32_e64 s[4:5], s15, v5
	v_mov_b32_e32 v11, 0
	s_and_saveexec_b64 s[30:31], s[4:5]
	s_cbranch_execz .LBB239_669
; %bb.668:                              ;   in Loop: Header=BB239_626 Depth=1
	v_and_b32_e32 v17, 7, v16
	v_ffbh_u32_e32 v10, v17
	v_min_u32_e32 v19, 32, v10
	v_subrev_u32_e32 v10, 28, v19
	v_lshlrev_b64 v[10:11], v10, v[16:17]
	v_lshrrev_b32_e32 v18, 3, v5
	v_sub_u32_e32 v11, 29, v19
	v_and_b32_e32 v10, 7, v10
	v_cmp_gt_u32_e64 s[4:5], 8, v5
	v_cndmask_b32_e64 v5, v18, v11, s[4:5]
	v_cndmask_b32_e64 v10, v17, v10, s[4:5]
	v_and_b32_sdwa v11, sext(v16), s13 dst_sel:DWORD dst_unused:UNUSED_PAD src0_sel:BYTE_0 src1_sel:DWORD
	v_bfrev_b32_e32 v16, 60
	v_lshlrev_b32_e32 v10, 20, v10
	v_lshl_add_u32 v5, v5, 23, v16
	v_or3_b32 v50, v11, v5, v10
	v_pk_mov_b32 v[10:11], v[50:51], v[50:51] op_sel:[0,1]
.LBB239_669:                            ;   in Loop: Header=BB239_626 Depth=1
	s_or_b64 exec, exec, s[30:31]
.LBB239_670:                            ;   in Loop: Header=BB239_626 Depth=1
	s_or_b64 exec, exec, s[28:29]
.LBB239_671:                            ;   in Loop: Header=BB239_626 Depth=1
	s_or_b64 exec, exec, s[26:27]
	v_cmp_lt_u32_e64 s[4:5], s34, v4
	s_and_saveexec_b64 s[26:27], s[4:5]
	s_cbranch_execz .LBB239_677
; %bb.672:                              ;   in Loop: Header=BB239_626 Depth=1
	v_cmp_ne_u32_sdwa s[4:5], v4, s7 src0_sel:BYTE_3 src1_sel:DWORD
	v_pk_mov_b32 v[12:13], s[12:13], s[12:13] op_sel:[0,1]
	s_and_saveexec_b64 s[28:29], s[4:5]
	s_cbranch_execz .LBB239_676
; %bb.673:                              ;   in Loop: Header=BB239_626 Depth=1
	v_bfe_u32 v5, v4, 24, 7
	s_mov_b32 s22, s12
	v_cmp_ne_u32_e64 s[4:5], s15, v5
	v_pk_mov_b32 v[12:13], s[22:23], s[22:23] op_sel:[0,1]
	s_and_saveexec_b64 s[30:31], s[4:5]
	s_cbranch_execz .LBB239_675
; %bb.674:                              ;   in Loop: Header=BB239_626 Depth=1
	v_mov_b32_e32 v12, 7
	v_and_b32_sdwa v50, v4, v12 dst_sel:DWORD dst_unused:UNUSED_PAD src0_sel:BYTE_3 src1_sel:DWORD
	v_ffbh_u32_e32 v12, v50
	v_min_u32_e32 v17, 32, v12
	v_subrev_u32_e32 v12, 28, v17
	v_lshlrev_b64 v[12:13], v12, v[50:51]
	v_lshrrev_b32_e32 v16, 3, v5
	v_sub_u32_e32 v13, 29, v17
	v_cmp_gt_u32_e64 s[4:5], 8, v5
	v_cndmask_b32_e64 v5, v16, v13, s[4:5]
	v_mov_b32_e32 v13, 24
	v_and_b32_e32 v12, 7, v12
	v_lshlrev_b32_sdwa v4, v13, v4 dst_sel:DWORD dst_unused:UNUSED_PAD src0_sel:DWORD src1_sel:BYTE_3
	v_bfrev_b32_e32 v13, 60
	v_cndmask_b32_e64 v12, v50, v12, s[4:5]
	v_lshl_add_u32 v5, v5, 23, v13
	v_and_or_b32 v4, v4, s13, v5
	v_lshlrev_b32_e32 v5, 20, v12
	v_or_b32_e32 v13, v4, v5
	v_mov_b32_e32 v12, v51
.LBB239_675:                            ;   in Loop: Header=BB239_626 Depth=1
	s_or_b64 exec, exec, s[30:31]
.LBB239_676:                            ;   in Loop: Header=BB239_626 Depth=1
	s_or_b64 exec, exec, s[28:29]
.LBB239_677:                            ;   in Loop: Header=BB239_626 Depth=1
	s_or_b64 exec, exec, s[26:27]
	v_mov_b32_e32 v27, v26
	v_or_b32_e32 v5, v9, v7
	v_or_b32_e32 v4, v8, v6
	v_pk_mul_f32 v[4:5], v[26:27], v[4:5]
	v_accvgpr_write_b32 a2, v4
	v_accvgpr_write_b32 a3, v5
	v_or_b32_e32 v5, v13, v11
	v_or_b32_e32 v4, v12, v10
	v_pk_mul_f32 v[4:5], v[26:27], v[4:5]
	v_accvgpr_write_b32 a11, v5
	v_accvgpr_write_b32 a10, v4
	s_and_saveexec_b64 s[26:27], vcc
	s_cbranch_execz .LBB239_679
; %bb.678:                              ;   in Loop: Header=BB239_626 Depth=1
	v_accvgpr_read_b32 v4, a57
	v_accvgpr_read_b32 v7, a3
	v_cmp_lt_i32_e64 s[4:5], v4, v62
	v_accvgpr_read_b32 v6, a2
	v_accvgpr_read_b32 v4, a63
	v_cndmask_b32_e64 v6, 0, v6, s[4:5]
	v_cmp_lt_i32_e64 s[4:5], v4, v62
	v_cndmask_b32_e64 v7, 0, v7, s[4:5]
	v_accvgpr_write_b32 a2, v6
	v_accvgpr_read_b32 v4, a61
	v_accvgpr_write_b32 a3, v7
	v_cmp_lt_i32_e64 s[4:5], v4, v62
	v_accvgpr_read_b32 v6, a10
	v_accvgpr_read_b32 v4, a59
	;; [unrolled: 1-line block ×3, first 2 shown]
	v_cndmask_b32_e64 v6, 0, v6, s[4:5]
	v_cmp_lt_i32_e64 s[4:5], v4, v62
	v_cndmask_b32_e64 v7, 0, v7, s[4:5]
	v_accvgpr_write_b32 a11, v7
	v_accvgpr_write_b32 a10, v6
.LBB239_679:                            ;   in Loop: Header=BB239_626 Depth=1
	s_or_b64 exec, exec, s[26:27]
	flat_load_dword v4, v[24:25] offset:512
	v_pk_mov_b32 v[8:9], 0, 0
	v_pk_mov_b32 v[6:7], v[8:9], v[8:9] op_sel:[0,1]
	s_waitcnt vmcnt(0) lgkmcnt(0)
	v_cmp_ne_u16_sdwa s[4:5], v4, v51 src0_sel:BYTE_0 src1_sel:DWORD
	s_and_saveexec_b64 s[26:27], s[4:5]
	s_cbranch_execz .LBB239_685
; %bb.680:                              ;   in Loop: Header=BB239_626 Depth=1
	v_bfrev_b32_e32 v6, 1
	v_cmp_ne_u16_sdwa s[4:5], v4, s7 src0_sel:BYTE_0 src1_sel:DWORD
	v_mov_b32_e32 v7, 0
	s_and_saveexec_b64 s[28:29], s[4:5]
	s_cbranch_execz .LBB239_684
; %bb.681:                              ;   in Loop: Header=BB239_626 Depth=1
	v_and_b32_e32 v5, 0x7f, v4
	v_mov_b32_e32 v6, 0x7f800001
	v_cmp_ne_u32_e64 s[4:5], s15, v5
	v_mov_b32_e32 v7, 0
	s_and_saveexec_b64 s[30:31], s[4:5]
	s_cbranch_execz .LBB239_683
; %bb.682:                              ;   in Loop: Header=BB239_626 Depth=1
	v_and_b32_e32 v10, 7, v4
	v_ffbh_u32_e32 v6, v10
	v_min_u32_e32 v12, 32, v6
	v_subrev_u32_e32 v6, 28, v12
	v_lshlrev_b64 v[6:7], v6, v[4:5]
	v_lshrrev_b32_e32 v11, 3, v5
	v_sub_u32_e32 v7, 29, v12
	v_and_b32_e32 v6, 7, v6
	v_cmp_gt_u32_e64 s[4:5], 8, v5
	v_cndmask_b32_e64 v5, v11, v7, s[4:5]
	v_cndmask_b32_e64 v6, v10, v6, s[4:5]
	v_bfrev_b32_e32 v10, 60
	v_lshlrev_b32_e32 v6, 20, v6
	v_and_b32_sdwa v7, sext(v4), s13 dst_sel:DWORD dst_unused:UNUSED_PAD src0_sel:BYTE_0 src1_sel:DWORD
	v_lshl_add_u32 v5, v5, 23, v10
	v_or3_b32 v50, v7, v5, v6
	v_pk_mov_b32 v[6:7], v[50:51], v[50:51] op_sel:[0,1]
.LBB239_683:                            ;   in Loop: Header=BB239_626 Depth=1
	s_or_b64 exec, exec, s[30:31]
.LBB239_684:                            ;   in Loop: Header=BB239_626 Depth=1
	s_or_b64 exec, exec, s[28:29]
.LBB239_685:                            ;   in Loop: Header=BB239_626 Depth=1
	s_or_b64 exec, exec, s[26:27]
	v_cmp_ne_u16_sdwa s[4:5], v4, v51 src0_sel:BYTE_1 src1_sel:DWORD
	s_and_saveexec_b64 s[26:27], s[4:5]
	s_cbranch_execz .LBB239_691
; %bb.686:                              ;   in Loop: Header=BB239_626 Depth=1
	v_cmp_ne_u16_sdwa s[4:5], v4, s7 src0_sel:BYTE_1 src1_sel:DWORD
	v_pk_mov_b32 v[8:9], s[12:13], s[12:13] op_sel:[0,1]
	s_and_saveexec_b64 s[28:29], s[4:5]
	s_cbranch_execz .LBB239_690
; %bb.687:                              ;   in Loop: Header=BB239_626 Depth=1
	v_and_b32_sdwa v5, v4, s15 dst_sel:DWORD dst_unused:UNUSED_PAD src0_sel:BYTE_1 src1_sel:DWORD
	s_mov_b32 s22, s12
	v_cmp_ne_u32_e64 s[4:5], s15, v5
	v_pk_mov_b32 v[8:9], s[22:23], s[22:23] op_sel:[0,1]
	s_and_saveexec_b64 s[30:31], s[4:5]
	s_cbranch_execz .LBB239_689
; %bb.688:                              ;   in Loop: Header=BB239_626 Depth=1
	v_mov_b32_e32 v8, 7
	v_and_b32_sdwa v50, v4, v8 dst_sel:DWORD dst_unused:UNUSED_PAD src0_sel:BYTE_1 src1_sel:DWORD
	v_ffbh_u32_e32 v8, v50
	v_min_u32_e32 v11, 32, v8
	v_subrev_u32_e32 v8, 28, v11
	v_lshlrev_b64 v[8:9], v8, v[50:51]
	v_lshrrev_b32_e32 v10, 3, v5
	v_sub_u32_e32 v9, 29, v11
	v_cmp_gt_u32_e64 s[4:5], 8, v5
	v_and_b32_e32 v8, 7, v8
	v_cndmask_b32_e64 v5, v10, v9, s[4:5]
	v_bfrev_b32_e32 v10, 60
	v_cndmask_b32_e64 v8, v50, v8, s[4:5]
	v_lshlrev_b32_e32 v9, 16, v4
	v_lshl_add_u32 v5, v5, 23, v10
	v_and_or_b32 v5, v9, s13, v5
	v_lshlrev_b32_e32 v8, 20, v8
	v_or_b32_e32 v9, v5, v8
	v_mov_b32_e32 v8, v51
.LBB239_689:                            ;   in Loop: Header=BB239_626 Depth=1
	s_or_b64 exec, exec, s[30:31]
.LBB239_690:                            ;   in Loop: Header=BB239_626 Depth=1
	s_or_b64 exec, exec, s[28:29]
.LBB239_691:                            ;   in Loop: Header=BB239_626 Depth=1
	s_or_b64 exec, exec, s[26:27]
	v_lshrrev_b32_e32 v16, 16, v4
	v_pk_mov_b32 v[12:13], 0, 0
	v_cmp_ne_u16_sdwa s[4:5], v16, v51 src0_sel:BYTE_0 src1_sel:DWORD
	v_pk_mov_b32 v[10:11], v[12:13], v[12:13] op_sel:[0,1]
	s_and_saveexec_b64 s[26:27], s[4:5]
	s_cbranch_execz .LBB239_697
; %bb.692:                              ;   in Loop: Header=BB239_626 Depth=1
	v_bfrev_b32_e32 v10, 1
	v_cmp_ne_u16_sdwa s[4:5], v16, s7 src0_sel:BYTE_0 src1_sel:DWORD
	v_mov_b32_e32 v11, 0
	s_and_saveexec_b64 s[28:29], s[4:5]
	s_cbranch_execz .LBB239_696
; %bb.693:                              ;   in Loop: Header=BB239_626 Depth=1
	v_bfe_u32 v5, v4, 16, 7
	v_mov_b32_e32 v10, 0x7f800001
	v_cmp_ne_u32_e64 s[4:5], s15, v5
	v_mov_b32_e32 v11, 0
	s_and_saveexec_b64 s[30:31], s[4:5]
	s_cbranch_execz .LBB239_695
; %bb.694:                              ;   in Loop: Header=BB239_626 Depth=1
	v_and_b32_e32 v17, 7, v16
	v_ffbh_u32_e32 v10, v17
	v_min_u32_e32 v19, 32, v10
	v_subrev_u32_e32 v10, 28, v19
	v_lshlrev_b64 v[10:11], v10, v[16:17]
	v_lshrrev_b32_e32 v18, 3, v5
	v_sub_u32_e32 v11, 29, v19
	v_and_b32_e32 v10, 7, v10
	v_cmp_gt_u32_e64 s[4:5], 8, v5
	v_cndmask_b32_e64 v5, v18, v11, s[4:5]
	v_cndmask_b32_e64 v10, v17, v10, s[4:5]
	v_and_b32_sdwa v11, sext(v16), s13 dst_sel:DWORD dst_unused:UNUSED_PAD src0_sel:BYTE_0 src1_sel:DWORD
	v_bfrev_b32_e32 v16, 60
	v_lshlrev_b32_e32 v10, 20, v10
	v_lshl_add_u32 v5, v5, 23, v16
	v_or3_b32 v50, v11, v5, v10
	v_pk_mov_b32 v[10:11], v[50:51], v[50:51] op_sel:[0,1]
.LBB239_695:                            ;   in Loop: Header=BB239_626 Depth=1
	s_or_b64 exec, exec, s[30:31]
.LBB239_696:                            ;   in Loop: Header=BB239_626 Depth=1
	s_or_b64 exec, exec, s[28:29]
.LBB239_697:                            ;   in Loop: Header=BB239_626 Depth=1
	s_or_b64 exec, exec, s[26:27]
	v_cmp_lt_u32_e64 s[4:5], s34, v4
	s_and_saveexec_b64 s[26:27], s[4:5]
	s_cbranch_execz .LBB239_703
; %bb.698:                              ;   in Loop: Header=BB239_626 Depth=1
	v_cmp_ne_u32_sdwa s[4:5], v4, s7 src0_sel:BYTE_3 src1_sel:DWORD
	v_pk_mov_b32 v[12:13], s[12:13], s[12:13] op_sel:[0,1]
	s_and_saveexec_b64 s[28:29], s[4:5]
	s_cbranch_execz .LBB239_702
; %bb.699:                              ;   in Loop: Header=BB239_626 Depth=1
	v_bfe_u32 v5, v4, 24, 7
	s_mov_b32 s22, s12
	v_cmp_ne_u32_e64 s[4:5], s15, v5
	v_pk_mov_b32 v[12:13], s[22:23], s[22:23] op_sel:[0,1]
	s_and_saveexec_b64 s[30:31], s[4:5]
	s_cbranch_execz .LBB239_701
; %bb.700:                              ;   in Loop: Header=BB239_626 Depth=1
	v_mov_b32_e32 v12, 7
	v_and_b32_sdwa v50, v4, v12 dst_sel:DWORD dst_unused:UNUSED_PAD src0_sel:BYTE_3 src1_sel:DWORD
	v_ffbh_u32_e32 v12, v50
	v_min_u32_e32 v17, 32, v12
	v_subrev_u32_e32 v12, 28, v17
	v_lshlrev_b64 v[12:13], v12, v[50:51]
	v_lshrrev_b32_e32 v16, 3, v5
	v_sub_u32_e32 v13, 29, v17
	v_cmp_gt_u32_e64 s[4:5], 8, v5
	v_cndmask_b32_e64 v5, v16, v13, s[4:5]
	v_mov_b32_e32 v13, 24
	v_and_b32_e32 v12, 7, v12
	v_lshlrev_b32_sdwa v4, v13, v4 dst_sel:DWORD dst_unused:UNUSED_PAD src0_sel:DWORD src1_sel:BYTE_3
	v_bfrev_b32_e32 v13, 60
	v_cndmask_b32_e64 v12, v50, v12, s[4:5]
	v_lshl_add_u32 v5, v5, 23, v13
	v_and_or_b32 v4, v4, s13, v5
	v_lshlrev_b32_e32 v5, 20, v12
	v_or_b32_e32 v13, v4, v5
	v_mov_b32_e32 v12, v51
.LBB239_701:                            ;   in Loop: Header=BB239_626 Depth=1
	s_or_b64 exec, exec, s[30:31]
.LBB239_702:                            ;   in Loop: Header=BB239_626 Depth=1
	s_or_b64 exec, exec, s[28:29]
.LBB239_703:                            ;   in Loop: Header=BB239_626 Depth=1
	s_or_b64 exec, exec, s[26:27]
	v_or_b32_e32 v5, v9, v7
	v_or_b32_e32 v4, v8, v6
	v_pk_mul_f32 v[4:5], v[26:27], v[4:5]
	v_accvgpr_write_b32 a51, v5
	v_accvgpr_write_b32 a50, v4
	v_or_b32_e32 v5, v13, v11
	v_or_b32_e32 v4, v12, v10
	v_pk_mul_f32 v[4:5], v[26:27], v[4:5]
	v_accvgpr_write_b32 a45, v5
	v_accvgpr_write_b32 a44, v4
	s_and_saveexec_b64 s[26:27], vcc
	s_cbranch_execz .LBB239_705
; %bb.704:                              ;   in Loop: Header=BB239_626 Depth=1
	v_accvgpr_read_b32 v4, a57
	v_cmp_lt_i32_e64 s[4:5], v4, v62
	v_accvgpr_read_b32 v6, a50
	v_accvgpr_read_b32 v4, a63
	;; [unrolled: 1-line block ×3, first 2 shown]
	v_cndmask_b32_e64 v6, 0, v6, s[4:5]
	v_cmp_lt_i32_e64 s[4:5], v4, v62
	v_cndmask_b32_e64 v7, 0, v7, s[4:5]
	v_accvgpr_write_b32 a51, v7
	v_accvgpr_read_b32 v4, a61
	v_accvgpr_write_b32 a50, v6
	v_cmp_lt_i32_e64 s[4:5], v4, v62
	v_accvgpr_read_b32 v6, a44
	v_accvgpr_read_b32 v4, a59
	;; [unrolled: 1-line block ×3, first 2 shown]
	v_cndmask_b32_e64 v6, 0, v6, s[4:5]
	v_cmp_lt_i32_e64 s[4:5], v4, v62
	v_cndmask_b32_e64 v7, 0, v7, s[4:5]
	v_accvgpr_write_b32 a45, v7
	v_accvgpr_write_b32 a44, v6
.LBB239_705:                            ;   in Loop: Header=BB239_626 Depth=1
	s_or_b64 exec, exec, s[26:27]
	flat_load_dword v4, v[24:25] offset:768
	v_pk_mov_b32 v[8:9], 0, 0
	v_pk_mov_b32 v[6:7], v[8:9], v[8:9] op_sel:[0,1]
	s_waitcnt vmcnt(0) lgkmcnt(0)
	v_cmp_ne_u16_sdwa s[4:5], v4, v51 src0_sel:BYTE_0 src1_sel:DWORD
	s_and_saveexec_b64 s[26:27], s[4:5]
	s_cbranch_execz .LBB239_711
; %bb.706:                              ;   in Loop: Header=BB239_626 Depth=1
	v_bfrev_b32_e32 v6, 1
	v_cmp_ne_u16_sdwa s[4:5], v4, s7 src0_sel:BYTE_0 src1_sel:DWORD
	v_mov_b32_e32 v7, 0
	s_and_saveexec_b64 s[28:29], s[4:5]
	s_cbranch_execz .LBB239_710
; %bb.707:                              ;   in Loop: Header=BB239_626 Depth=1
	v_and_b32_e32 v5, 0x7f, v4
	v_mov_b32_e32 v6, 0x7f800001
	v_cmp_ne_u32_e64 s[4:5], s15, v5
	v_mov_b32_e32 v7, 0
	s_and_saveexec_b64 s[30:31], s[4:5]
	s_cbranch_execz .LBB239_709
; %bb.708:                              ;   in Loop: Header=BB239_626 Depth=1
	v_and_b32_e32 v10, 7, v4
	v_ffbh_u32_e32 v6, v10
	v_min_u32_e32 v12, 32, v6
	v_subrev_u32_e32 v6, 28, v12
	v_lshlrev_b64 v[6:7], v6, v[4:5]
	v_lshrrev_b32_e32 v11, 3, v5
	v_sub_u32_e32 v7, 29, v12
	v_and_b32_e32 v6, 7, v6
	v_cmp_gt_u32_e64 s[4:5], 8, v5
	v_cndmask_b32_e64 v5, v11, v7, s[4:5]
	v_cndmask_b32_e64 v6, v10, v6, s[4:5]
	v_bfrev_b32_e32 v10, 60
	v_lshlrev_b32_e32 v6, 20, v6
	v_and_b32_sdwa v7, sext(v4), s13 dst_sel:DWORD dst_unused:UNUSED_PAD src0_sel:BYTE_0 src1_sel:DWORD
	v_lshl_add_u32 v5, v5, 23, v10
	v_or3_b32 v50, v7, v5, v6
	v_pk_mov_b32 v[6:7], v[50:51], v[50:51] op_sel:[0,1]
.LBB239_709:                            ;   in Loop: Header=BB239_626 Depth=1
	s_or_b64 exec, exec, s[30:31]
.LBB239_710:                            ;   in Loop: Header=BB239_626 Depth=1
	s_or_b64 exec, exec, s[28:29]
.LBB239_711:                            ;   in Loop: Header=BB239_626 Depth=1
	s_or_b64 exec, exec, s[26:27]
	v_cmp_ne_u16_sdwa s[4:5], v4, v51 src0_sel:BYTE_1 src1_sel:DWORD
	s_and_saveexec_b64 s[26:27], s[4:5]
	s_cbranch_execz .LBB239_717
; %bb.712:                              ;   in Loop: Header=BB239_626 Depth=1
	v_cmp_ne_u16_sdwa s[4:5], v4, s7 src0_sel:BYTE_1 src1_sel:DWORD
	v_pk_mov_b32 v[8:9], s[12:13], s[12:13] op_sel:[0,1]
	s_and_saveexec_b64 s[28:29], s[4:5]
	s_cbranch_execz .LBB239_716
; %bb.713:                              ;   in Loop: Header=BB239_626 Depth=1
	v_and_b32_sdwa v5, v4, s15 dst_sel:DWORD dst_unused:UNUSED_PAD src0_sel:BYTE_1 src1_sel:DWORD
	s_mov_b32 s22, s12
	v_cmp_ne_u32_e64 s[4:5], s15, v5
	v_pk_mov_b32 v[8:9], s[22:23], s[22:23] op_sel:[0,1]
	s_and_saveexec_b64 s[30:31], s[4:5]
	s_cbranch_execz .LBB239_715
; %bb.714:                              ;   in Loop: Header=BB239_626 Depth=1
	v_mov_b32_e32 v8, 7
	v_and_b32_sdwa v50, v4, v8 dst_sel:DWORD dst_unused:UNUSED_PAD src0_sel:BYTE_1 src1_sel:DWORD
	v_ffbh_u32_e32 v8, v50
	v_min_u32_e32 v11, 32, v8
	v_subrev_u32_e32 v8, 28, v11
	v_lshlrev_b64 v[8:9], v8, v[50:51]
	v_lshrrev_b32_e32 v10, 3, v5
	v_sub_u32_e32 v9, 29, v11
	v_cmp_gt_u32_e64 s[4:5], 8, v5
	v_and_b32_e32 v8, 7, v8
	v_cndmask_b32_e64 v5, v10, v9, s[4:5]
	v_bfrev_b32_e32 v10, 60
	v_cndmask_b32_e64 v8, v50, v8, s[4:5]
	v_lshlrev_b32_e32 v9, 16, v4
	v_lshl_add_u32 v5, v5, 23, v10
	v_and_or_b32 v5, v9, s13, v5
	v_lshlrev_b32_e32 v8, 20, v8
	v_or_b32_e32 v9, v5, v8
	v_mov_b32_e32 v8, v51
.LBB239_715:                            ;   in Loop: Header=BB239_626 Depth=1
	s_or_b64 exec, exec, s[30:31]
.LBB239_716:                            ;   in Loop: Header=BB239_626 Depth=1
	s_or_b64 exec, exec, s[28:29]
.LBB239_717:                            ;   in Loop: Header=BB239_626 Depth=1
	s_or_b64 exec, exec, s[26:27]
	v_lshrrev_b32_e32 v16, 16, v4
	v_pk_mov_b32 v[12:13], 0, 0
	v_cmp_ne_u16_sdwa s[4:5], v16, v51 src0_sel:BYTE_0 src1_sel:DWORD
	v_pk_mov_b32 v[10:11], v[12:13], v[12:13] op_sel:[0,1]
	s_and_saveexec_b64 s[26:27], s[4:5]
	s_cbranch_execz .LBB239_723
; %bb.718:                              ;   in Loop: Header=BB239_626 Depth=1
	v_bfrev_b32_e32 v10, 1
	v_cmp_ne_u16_sdwa s[4:5], v16, s7 src0_sel:BYTE_0 src1_sel:DWORD
	v_mov_b32_e32 v11, 0
	s_and_saveexec_b64 s[28:29], s[4:5]
	s_cbranch_execz .LBB239_722
; %bb.719:                              ;   in Loop: Header=BB239_626 Depth=1
	v_bfe_u32 v5, v4, 16, 7
	v_mov_b32_e32 v10, 0x7f800001
	v_cmp_ne_u32_e64 s[4:5], s15, v5
	v_mov_b32_e32 v11, 0
	s_and_saveexec_b64 s[30:31], s[4:5]
	s_cbranch_execz .LBB239_721
; %bb.720:                              ;   in Loop: Header=BB239_626 Depth=1
	v_and_b32_e32 v17, 7, v16
	v_ffbh_u32_e32 v10, v17
	v_min_u32_e32 v19, 32, v10
	v_subrev_u32_e32 v10, 28, v19
	v_lshlrev_b64 v[10:11], v10, v[16:17]
	v_lshrrev_b32_e32 v18, 3, v5
	v_sub_u32_e32 v11, 29, v19
	v_and_b32_e32 v10, 7, v10
	v_cmp_gt_u32_e64 s[4:5], 8, v5
	v_cndmask_b32_e64 v5, v18, v11, s[4:5]
	v_cndmask_b32_e64 v10, v17, v10, s[4:5]
	v_and_b32_sdwa v11, sext(v16), s13 dst_sel:DWORD dst_unused:UNUSED_PAD src0_sel:BYTE_0 src1_sel:DWORD
	v_bfrev_b32_e32 v16, 60
	v_lshlrev_b32_e32 v10, 20, v10
	v_lshl_add_u32 v5, v5, 23, v16
	v_or3_b32 v50, v11, v5, v10
	v_pk_mov_b32 v[10:11], v[50:51], v[50:51] op_sel:[0,1]
.LBB239_721:                            ;   in Loop: Header=BB239_626 Depth=1
	s_or_b64 exec, exec, s[30:31]
.LBB239_722:                            ;   in Loop: Header=BB239_626 Depth=1
	s_or_b64 exec, exec, s[28:29]
.LBB239_723:                            ;   in Loop: Header=BB239_626 Depth=1
	s_or_b64 exec, exec, s[26:27]
	v_cmp_lt_u32_e64 s[4:5], s34, v4
	s_and_saveexec_b64 s[26:27], s[4:5]
	s_cbranch_execz .LBB239_729
; %bb.724:                              ;   in Loop: Header=BB239_626 Depth=1
	v_cmp_ne_u32_sdwa s[4:5], v4, s7 src0_sel:BYTE_3 src1_sel:DWORD
	v_pk_mov_b32 v[12:13], s[12:13], s[12:13] op_sel:[0,1]
	s_and_saveexec_b64 s[28:29], s[4:5]
	s_cbranch_execz .LBB239_728
; %bb.725:                              ;   in Loop: Header=BB239_626 Depth=1
	v_bfe_u32 v5, v4, 24, 7
	s_mov_b32 s22, s12
	v_cmp_ne_u32_e64 s[4:5], s15, v5
	v_pk_mov_b32 v[12:13], s[22:23], s[22:23] op_sel:[0,1]
	s_and_saveexec_b64 s[30:31], s[4:5]
	s_cbranch_execz .LBB239_727
; %bb.726:                              ;   in Loop: Header=BB239_626 Depth=1
	v_mov_b32_e32 v12, 7
	v_and_b32_sdwa v50, v4, v12 dst_sel:DWORD dst_unused:UNUSED_PAD src0_sel:BYTE_3 src1_sel:DWORD
	v_ffbh_u32_e32 v12, v50
	v_min_u32_e32 v17, 32, v12
	v_subrev_u32_e32 v12, 28, v17
	v_lshlrev_b64 v[12:13], v12, v[50:51]
	v_lshrrev_b32_e32 v16, 3, v5
	v_sub_u32_e32 v13, 29, v17
	v_cmp_gt_u32_e64 s[4:5], 8, v5
	v_cndmask_b32_e64 v5, v16, v13, s[4:5]
	v_mov_b32_e32 v13, 24
	v_and_b32_e32 v12, 7, v12
	v_lshlrev_b32_sdwa v4, v13, v4 dst_sel:DWORD dst_unused:UNUSED_PAD src0_sel:DWORD src1_sel:BYTE_3
	v_bfrev_b32_e32 v13, 60
	v_cndmask_b32_e64 v12, v50, v12, s[4:5]
	v_lshl_add_u32 v5, v5, 23, v13
	v_and_or_b32 v4, v4, s13, v5
	v_lshlrev_b32_e32 v5, 20, v12
	v_or_b32_e32 v13, v4, v5
	v_mov_b32_e32 v12, v51
.LBB239_727:                            ;   in Loop: Header=BB239_626 Depth=1
	s_or_b64 exec, exec, s[30:31]
.LBB239_728:                            ;   in Loop: Header=BB239_626 Depth=1
	s_or_b64 exec, exec, s[28:29]
.LBB239_729:                            ;   in Loop: Header=BB239_626 Depth=1
	s_or_b64 exec, exec, s[26:27]
	v_or_b32_e32 v5, v9, v7
	v_or_b32_e32 v4, v8, v6
	v_pk_mul_f32 v[4:5], v[26:27], v[4:5]
	v_accvgpr_write_b32 a47, v5
	v_accvgpr_write_b32 a46, v4
	v_or_b32_e32 v5, v13, v11
	v_or_b32_e32 v4, v12, v10
	v_pk_mul_f32 v[4:5], v[26:27], v[4:5]
	v_accvgpr_write_b32 a49, v5
	v_accvgpr_write_b32 a48, v4
	s_and_saveexec_b64 s[26:27], vcc
	s_cbranch_execz .LBB239_731
; %bb.730:                              ;   in Loop: Header=BB239_626 Depth=1
	v_accvgpr_read_b32 v4, a57
	v_cmp_lt_i32_e64 s[4:5], v4, v62
	v_accvgpr_read_b32 v6, a46
	v_accvgpr_read_b32 v4, a63
	;; [unrolled: 1-line block ×3, first 2 shown]
	v_cndmask_b32_e64 v6, 0, v6, s[4:5]
	v_cmp_lt_i32_e64 s[4:5], v4, v62
	v_cndmask_b32_e64 v7, 0, v7, s[4:5]
	v_accvgpr_write_b32 a47, v7
	v_accvgpr_read_b32 v4, a61
	v_accvgpr_write_b32 a46, v6
	v_cmp_lt_i32_e64 s[4:5], v4, v62
	v_accvgpr_read_b32 v6, a48
	v_accvgpr_read_b32 v4, a59
	;; [unrolled: 1-line block ×3, first 2 shown]
	v_cndmask_b32_e64 v6, 0, v6, s[4:5]
	v_cmp_lt_i32_e64 s[4:5], v4, v62
	v_cndmask_b32_e64 v7, 0, v7, s[4:5]
	v_accvgpr_write_b32 a49, v7
	v_accvgpr_write_b32 a48, v6
.LBB239_731:                            ;   in Loop: Header=BB239_626 Depth=1
	s_or_b64 exec, exec, s[26:27]
	flat_load_dword v4, v[24:25] offset:1024
	v_pk_mov_b32 v[8:9], 0, 0
	v_pk_mov_b32 v[6:7], v[8:9], v[8:9] op_sel:[0,1]
	s_waitcnt vmcnt(0) lgkmcnt(0)
	v_cmp_ne_u16_sdwa s[4:5], v4, v51 src0_sel:BYTE_0 src1_sel:DWORD
	s_and_saveexec_b64 s[26:27], s[4:5]
	s_cbranch_execz .LBB239_737
; %bb.732:                              ;   in Loop: Header=BB239_626 Depth=1
	v_bfrev_b32_e32 v6, 1
	v_cmp_ne_u16_sdwa s[4:5], v4, s7 src0_sel:BYTE_0 src1_sel:DWORD
	v_mov_b32_e32 v7, 0
	s_and_saveexec_b64 s[28:29], s[4:5]
	s_cbranch_execz .LBB239_736
; %bb.733:                              ;   in Loop: Header=BB239_626 Depth=1
	v_and_b32_e32 v5, 0x7f, v4
	v_mov_b32_e32 v6, 0x7f800001
	v_cmp_ne_u32_e64 s[4:5], s15, v5
	v_mov_b32_e32 v7, 0
	s_and_saveexec_b64 s[30:31], s[4:5]
	s_cbranch_execz .LBB239_735
; %bb.734:                              ;   in Loop: Header=BB239_626 Depth=1
	v_and_b32_e32 v10, 7, v4
	v_ffbh_u32_e32 v6, v10
	v_min_u32_e32 v12, 32, v6
	v_subrev_u32_e32 v6, 28, v12
	v_lshlrev_b64 v[6:7], v6, v[4:5]
	v_lshrrev_b32_e32 v11, 3, v5
	v_sub_u32_e32 v7, 29, v12
	v_and_b32_e32 v6, 7, v6
	v_cmp_gt_u32_e64 s[4:5], 8, v5
	v_cndmask_b32_e64 v5, v11, v7, s[4:5]
	v_cndmask_b32_e64 v6, v10, v6, s[4:5]
	v_bfrev_b32_e32 v10, 60
	v_lshlrev_b32_e32 v6, 20, v6
	v_and_b32_sdwa v7, sext(v4), s13 dst_sel:DWORD dst_unused:UNUSED_PAD src0_sel:BYTE_0 src1_sel:DWORD
	v_lshl_add_u32 v5, v5, 23, v10
	v_or3_b32 v50, v7, v5, v6
	v_pk_mov_b32 v[6:7], v[50:51], v[50:51] op_sel:[0,1]
.LBB239_735:                            ;   in Loop: Header=BB239_626 Depth=1
	s_or_b64 exec, exec, s[30:31]
.LBB239_736:                            ;   in Loop: Header=BB239_626 Depth=1
	s_or_b64 exec, exec, s[28:29]
.LBB239_737:                            ;   in Loop: Header=BB239_626 Depth=1
	s_or_b64 exec, exec, s[26:27]
	v_cmp_ne_u16_sdwa s[4:5], v4, v51 src0_sel:BYTE_1 src1_sel:DWORD
	s_and_saveexec_b64 s[26:27], s[4:5]
	s_cbranch_execz .LBB239_743
; %bb.738:                              ;   in Loop: Header=BB239_626 Depth=1
	v_cmp_ne_u16_sdwa s[4:5], v4, s7 src0_sel:BYTE_1 src1_sel:DWORD
	v_pk_mov_b32 v[8:9], s[12:13], s[12:13] op_sel:[0,1]
	s_and_saveexec_b64 s[28:29], s[4:5]
	s_cbranch_execz .LBB239_742
; %bb.739:                              ;   in Loop: Header=BB239_626 Depth=1
	v_and_b32_sdwa v5, v4, s15 dst_sel:DWORD dst_unused:UNUSED_PAD src0_sel:BYTE_1 src1_sel:DWORD
	s_mov_b32 s22, s12
	v_cmp_ne_u32_e64 s[4:5], s15, v5
	v_pk_mov_b32 v[8:9], s[22:23], s[22:23] op_sel:[0,1]
	s_and_saveexec_b64 s[30:31], s[4:5]
	s_cbranch_execz .LBB239_741
; %bb.740:                              ;   in Loop: Header=BB239_626 Depth=1
	v_mov_b32_e32 v8, 7
	v_and_b32_sdwa v50, v4, v8 dst_sel:DWORD dst_unused:UNUSED_PAD src0_sel:BYTE_1 src1_sel:DWORD
	v_ffbh_u32_e32 v8, v50
	v_min_u32_e32 v11, 32, v8
	v_subrev_u32_e32 v8, 28, v11
	v_lshlrev_b64 v[8:9], v8, v[50:51]
	v_lshrrev_b32_e32 v10, 3, v5
	v_sub_u32_e32 v9, 29, v11
	v_cmp_gt_u32_e64 s[4:5], 8, v5
	v_and_b32_e32 v8, 7, v8
	v_cndmask_b32_e64 v5, v10, v9, s[4:5]
	v_bfrev_b32_e32 v10, 60
	v_cndmask_b32_e64 v8, v50, v8, s[4:5]
	v_lshlrev_b32_e32 v9, 16, v4
	v_lshl_add_u32 v5, v5, 23, v10
	v_and_or_b32 v5, v9, s13, v5
	v_lshlrev_b32_e32 v8, 20, v8
	v_or_b32_e32 v9, v5, v8
	v_mov_b32_e32 v8, v51
.LBB239_741:                            ;   in Loop: Header=BB239_626 Depth=1
	s_or_b64 exec, exec, s[30:31]
.LBB239_742:                            ;   in Loop: Header=BB239_626 Depth=1
	s_or_b64 exec, exec, s[28:29]
.LBB239_743:                            ;   in Loop: Header=BB239_626 Depth=1
	s_or_b64 exec, exec, s[26:27]
	v_lshrrev_b32_e32 v16, 16, v4
	v_pk_mov_b32 v[12:13], 0, 0
	v_cmp_ne_u16_sdwa s[4:5], v16, v51 src0_sel:BYTE_0 src1_sel:DWORD
	v_pk_mov_b32 v[10:11], v[12:13], v[12:13] op_sel:[0,1]
	s_and_saveexec_b64 s[26:27], s[4:5]
	s_cbranch_execz .LBB239_749
; %bb.744:                              ;   in Loop: Header=BB239_626 Depth=1
	v_bfrev_b32_e32 v10, 1
	v_cmp_ne_u16_sdwa s[4:5], v16, s7 src0_sel:BYTE_0 src1_sel:DWORD
	v_mov_b32_e32 v11, 0
	s_and_saveexec_b64 s[28:29], s[4:5]
	s_cbranch_execz .LBB239_748
; %bb.745:                              ;   in Loop: Header=BB239_626 Depth=1
	v_bfe_u32 v5, v4, 16, 7
	v_mov_b32_e32 v10, 0x7f800001
	v_cmp_ne_u32_e64 s[4:5], s15, v5
	v_mov_b32_e32 v11, 0
	s_and_saveexec_b64 s[30:31], s[4:5]
	s_cbranch_execz .LBB239_747
; %bb.746:                              ;   in Loop: Header=BB239_626 Depth=1
	v_and_b32_e32 v17, 7, v16
	v_ffbh_u32_e32 v10, v17
	v_min_u32_e32 v19, 32, v10
	v_subrev_u32_e32 v10, 28, v19
	v_lshlrev_b64 v[10:11], v10, v[16:17]
	v_lshrrev_b32_e32 v18, 3, v5
	v_sub_u32_e32 v11, 29, v19
	v_and_b32_e32 v10, 7, v10
	v_cmp_gt_u32_e64 s[4:5], 8, v5
	v_cndmask_b32_e64 v5, v18, v11, s[4:5]
	v_cndmask_b32_e64 v10, v17, v10, s[4:5]
	v_and_b32_sdwa v11, sext(v16), s13 dst_sel:DWORD dst_unused:UNUSED_PAD src0_sel:BYTE_0 src1_sel:DWORD
	v_bfrev_b32_e32 v16, 60
	v_lshlrev_b32_e32 v10, 20, v10
	v_lshl_add_u32 v5, v5, 23, v16
	v_or3_b32 v50, v11, v5, v10
	v_pk_mov_b32 v[10:11], v[50:51], v[50:51] op_sel:[0,1]
.LBB239_747:                            ;   in Loop: Header=BB239_626 Depth=1
	s_or_b64 exec, exec, s[30:31]
.LBB239_748:                            ;   in Loop: Header=BB239_626 Depth=1
	s_or_b64 exec, exec, s[28:29]
.LBB239_749:                            ;   in Loop: Header=BB239_626 Depth=1
	s_or_b64 exec, exec, s[26:27]
	v_cmp_lt_u32_e64 s[4:5], s34, v4
	s_and_saveexec_b64 s[26:27], s[4:5]
	s_cbranch_execz .LBB239_755
; %bb.750:                              ;   in Loop: Header=BB239_626 Depth=1
	v_cmp_ne_u32_sdwa s[4:5], v4, s7 src0_sel:BYTE_3 src1_sel:DWORD
	v_pk_mov_b32 v[12:13], s[12:13], s[12:13] op_sel:[0,1]
	s_and_saveexec_b64 s[28:29], s[4:5]
	s_cbranch_execz .LBB239_754
; %bb.751:                              ;   in Loop: Header=BB239_626 Depth=1
	v_bfe_u32 v5, v4, 24, 7
	s_mov_b32 s22, s12
	v_cmp_ne_u32_e64 s[4:5], s15, v5
	v_pk_mov_b32 v[12:13], s[22:23], s[22:23] op_sel:[0,1]
	s_and_saveexec_b64 s[30:31], s[4:5]
	s_cbranch_execz .LBB239_753
; %bb.752:                              ;   in Loop: Header=BB239_626 Depth=1
	v_mov_b32_e32 v12, 7
	v_and_b32_sdwa v50, v4, v12 dst_sel:DWORD dst_unused:UNUSED_PAD src0_sel:BYTE_3 src1_sel:DWORD
	v_ffbh_u32_e32 v12, v50
	v_min_u32_e32 v17, 32, v12
	v_subrev_u32_e32 v12, 28, v17
	v_lshlrev_b64 v[12:13], v12, v[50:51]
	v_lshrrev_b32_e32 v16, 3, v5
	v_sub_u32_e32 v13, 29, v17
	v_cmp_gt_u32_e64 s[4:5], 8, v5
	v_cndmask_b32_e64 v5, v16, v13, s[4:5]
	v_mov_b32_e32 v13, 24
	v_and_b32_e32 v12, 7, v12
	v_lshlrev_b32_sdwa v4, v13, v4 dst_sel:DWORD dst_unused:UNUSED_PAD src0_sel:DWORD src1_sel:BYTE_3
	v_bfrev_b32_e32 v13, 60
	v_cndmask_b32_e64 v12, v50, v12, s[4:5]
	v_lshl_add_u32 v5, v5, 23, v13
	v_and_or_b32 v4, v4, s13, v5
	v_lshlrev_b32_e32 v5, 20, v12
	v_or_b32_e32 v13, v4, v5
	v_mov_b32_e32 v12, v51
.LBB239_753:                            ;   in Loop: Header=BB239_626 Depth=1
	s_or_b64 exec, exec, s[30:31]
.LBB239_754:                            ;   in Loop: Header=BB239_626 Depth=1
	s_or_b64 exec, exec, s[28:29]
.LBB239_755:                            ;   in Loop: Header=BB239_626 Depth=1
	s_or_b64 exec, exec, s[26:27]
	v_or_b32_e32 v5, v9, v7
	v_or_b32_e32 v4, v8, v6
	v_pk_mul_f32 v[4:5], v[26:27], v[4:5]
	v_accvgpr_write_b32 a7, v5
	v_accvgpr_write_b32 a6, v4
	v_or_b32_e32 v5, v13, v11
	v_or_b32_e32 v4, v12, v10
	v_pk_mul_f32 v[4:5], v[26:27], v[4:5]
	v_accvgpr_write_b32 a53, v5
	v_accvgpr_write_b32 a52, v4
	s_and_saveexec_b64 s[26:27], vcc
	s_cbranch_execz .LBB239_757
; %bb.756:                              ;   in Loop: Header=BB239_626 Depth=1
	v_accvgpr_read_b32 v4, a57
	v_cmp_lt_i32_e64 s[4:5], v4, v62
	v_accvgpr_read_b32 v6, a6
	v_accvgpr_read_b32 v4, a63
	;; [unrolled: 1-line block ×3, first 2 shown]
	v_cndmask_b32_e64 v6, 0, v6, s[4:5]
	v_cmp_lt_i32_e64 s[4:5], v4, v62
	v_cndmask_b32_e64 v7, 0, v7, s[4:5]
	v_accvgpr_write_b32 a6, v6
	v_accvgpr_read_b32 v4, a61
	v_accvgpr_write_b32 a7, v7
	v_cmp_lt_i32_e64 s[4:5], v4, v62
	v_accvgpr_read_b32 v6, a52
	v_accvgpr_read_b32 v4, a59
	v_accvgpr_read_b32 v7, a53
	v_cndmask_b32_e64 v6, 0, v6, s[4:5]
	v_cmp_lt_i32_e64 s[4:5], v4, v62
	v_cndmask_b32_e64 v7, 0, v7, s[4:5]
	v_accvgpr_write_b32 a53, v7
	v_accvgpr_write_b32 a52, v6
.LBB239_757:                            ;   in Loop: Header=BB239_626 Depth=1
	s_or_b64 exec, exec, s[26:27]
	flat_load_dword v4, v[24:25] offset:1280
	v_pk_mov_b32 v[8:9], 0, 0
	v_pk_mov_b32 v[6:7], v[8:9], v[8:9] op_sel:[0,1]
	s_waitcnt vmcnt(0) lgkmcnt(0)
	v_cmp_ne_u16_sdwa s[4:5], v4, v51 src0_sel:BYTE_0 src1_sel:DWORD
	s_and_saveexec_b64 s[26:27], s[4:5]
	s_cbranch_execz .LBB239_763
; %bb.758:                              ;   in Loop: Header=BB239_626 Depth=1
	v_bfrev_b32_e32 v6, 1
	v_cmp_ne_u16_sdwa s[4:5], v4, s7 src0_sel:BYTE_0 src1_sel:DWORD
	v_mov_b32_e32 v7, 0
	s_and_saveexec_b64 s[28:29], s[4:5]
	s_cbranch_execz .LBB239_762
; %bb.759:                              ;   in Loop: Header=BB239_626 Depth=1
	v_and_b32_e32 v5, 0x7f, v4
	v_mov_b32_e32 v6, 0x7f800001
	v_cmp_ne_u32_e64 s[4:5], s15, v5
	v_mov_b32_e32 v7, 0
	s_and_saveexec_b64 s[30:31], s[4:5]
	s_cbranch_execz .LBB239_761
; %bb.760:                              ;   in Loop: Header=BB239_626 Depth=1
	v_and_b32_e32 v10, 7, v4
	v_ffbh_u32_e32 v6, v10
	v_min_u32_e32 v12, 32, v6
	v_subrev_u32_e32 v6, 28, v12
	v_lshlrev_b64 v[6:7], v6, v[4:5]
	v_lshrrev_b32_e32 v11, 3, v5
	v_sub_u32_e32 v7, 29, v12
	v_and_b32_e32 v6, 7, v6
	v_cmp_gt_u32_e64 s[4:5], 8, v5
	v_cndmask_b32_e64 v5, v11, v7, s[4:5]
	v_cndmask_b32_e64 v6, v10, v6, s[4:5]
	v_bfrev_b32_e32 v10, 60
	v_lshlrev_b32_e32 v6, 20, v6
	v_and_b32_sdwa v7, sext(v4), s13 dst_sel:DWORD dst_unused:UNUSED_PAD src0_sel:BYTE_0 src1_sel:DWORD
	v_lshl_add_u32 v5, v5, 23, v10
	v_or3_b32 v50, v7, v5, v6
	v_pk_mov_b32 v[6:7], v[50:51], v[50:51] op_sel:[0,1]
.LBB239_761:                            ;   in Loop: Header=BB239_626 Depth=1
	s_or_b64 exec, exec, s[30:31]
.LBB239_762:                            ;   in Loop: Header=BB239_626 Depth=1
	s_or_b64 exec, exec, s[28:29]
.LBB239_763:                            ;   in Loop: Header=BB239_626 Depth=1
	s_or_b64 exec, exec, s[26:27]
	v_cmp_ne_u16_sdwa s[4:5], v4, v51 src0_sel:BYTE_1 src1_sel:DWORD
	s_and_saveexec_b64 s[26:27], s[4:5]
	s_cbranch_execz .LBB239_769
; %bb.764:                              ;   in Loop: Header=BB239_626 Depth=1
	v_cmp_ne_u16_sdwa s[4:5], v4, s7 src0_sel:BYTE_1 src1_sel:DWORD
	v_pk_mov_b32 v[8:9], s[12:13], s[12:13] op_sel:[0,1]
	s_and_saveexec_b64 s[28:29], s[4:5]
	s_cbranch_execz .LBB239_768
; %bb.765:                              ;   in Loop: Header=BB239_626 Depth=1
	v_and_b32_sdwa v5, v4, s15 dst_sel:DWORD dst_unused:UNUSED_PAD src0_sel:BYTE_1 src1_sel:DWORD
	s_mov_b32 s22, s12
	v_cmp_ne_u32_e64 s[4:5], s15, v5
	v_pk_mov_b32 v[8:9], s[22:23], s[22:23] op_sel:[0,1]
	s_and_saveexec_b64 s[30:31], s[4:5]
	s_cbranch_execz .LBB239_767
; %bb.766:                              ;   in Loop: Header=BB239_626 Depth=1
	v_mov_b32_e32 v8, 7
	v_and_b32_sdwa v50, v4, v8 dst_sel:DWORD dst_unused:UNUSED_PAD src0_sel:BYTE_1 src1_sel:DWORD
	v_ffbh_u32_e32 v8, v50
	v_min_u32_e32 v11, 32, v8
	v_subrev_u32_e32 v8, 28, v11
	v_lshlrev_b64 v[8:9], v8, v[50:51]
	v_lshrrev_b32_e32 v10, 3, v5
	v_sub_u32_e32 v9, 29, v11
	v_cmp_gt_u32_e64 s[4:5], 8, v5
	v_and_b32_e32 v8, 7, v8
	v_cndmask_b32_e64 v5, v10, v9, s[4:5]
	v_bfrev_b32_e32 v10, 60
	v_cndmask_b32_e64 v8, v50, v8, s[4:5]
	v_lshlrev_b32_e32 v9, 16, v4
	v_lshl_add_u32 v5, v5, 23, v10
	v_and_or_b32 v5, v9, s13, v5
	v_lshlrev_b32_e32 v8, 20, v8
	v_or_b32_e32 v9, v5, v8
	v_mov_b32_e32 v8, v51
.LBB239_767:                            ;   in Loop: Header=BB239_626 Depth=1
	s_or_b64 exec, exec, s[30:31]
.LBB239_768:                            ;   in Loop: Header=BB239_626 Depth=1
	s_or_b64 exec, exec, s[28:29]
.LBB239_769:                            ;   in Loop: Header=BB239_626 Depth=1
	s_or_b64 exec, exec, s[26:27]
	v_lshrrev_b32_e32 v16, 16, v4
	v_pk_mov_b32 v[12:13], 0, 0
	v_cmp_ne_u16_sdwa s[4:5], v16, v51 src0_sel:BYTE_0 src1_sel:DWORD
	v_pk_mov_b32 v[10:11], v[12:13], v[12:13] op_sel:[0,1]
	s_and_saveexec_b64 s[26:27], s[4:5]
	s_cbranch_execz .LBB239_775
; %bb.770:                              ;   in Loop: Header=BB239_626 Depth=1
	v_bfrev_b32_e32 v10, 1
	v_cmp_ne_u16_sdwa s[4:5], v16, s7 src0_sel:BYTE_0 src1_sel:DWORD
	v_mov_b32_e32 v11, 0
	s_and_saveexec_b64 s[28:29], s[4:5]
	s_cbranch_execz .LBB239_774
; %bb.771:                              ;   in Loop: Header=BB239_626 Depth=1
	v_bfe_u32 v5, v4, 16, 7
	v_mov_b32_e32 v10, 0x7f800001
	v_cmp_ne_u32_e64 s[4:5], s15, v5
	v_mov_b32_e32 v11, 0
	s_and_saveexec_b64 s[30:31], s[4:5]
	s_cbranch_execz .LBB239_773
; %bb.772:                              ;   in Loop: Header=BB239_626 Depth=1
	v_and_b32_e32 v17, 7, v16
	v_ffbh_u32_e32 v10, v17
	v_min_u32_e32 v19, 32, v10
	v_subrev_u32_e32 v10, 28, v19
	v_lshlrev_b64 v[10:11], v10, v[16:17]
	v_lshrrev_b32_e32 v18, 3, v5
	v_sub_u32_e32 v11, 29, v19
	v_and_b32_e32 v10, 7, v10
	v_cmp_gt_u32_e64 s[4:5], 8, v5
	v_cndmask_b32_e64 v5, v18, v11, s[4:5]
	v_cndmask_b32_e64 v10, v17, v10, s[4:5]
	v_and_b32_sdwa v11, sext(v16), s13 dst_sel:DWORD dst_unused:UNUSED_PAD src0_sel:BYTE_0 src1_sel:DWORD
	v_bfrev_b32_e32 v16, 60
	v_lshlrev_b32_e32 v10, 20, v10
	v_lshl_add_u32 v5, v5, 23, v16
	v_or3_b32 v50, v11, v5, v10
	v_pk_mov_b32 v[10:11], v[50:51], v[50:51] op_sel:[0,1]
.LBB239_773:                            ;   in Loop: Header=BB239_626 Depth=1
	s_or_b64 exec, exec, s[30:31]
.LBB239_774:                            ;   in Loop: Header=BB239_626 Depth=1
	s_or_b64 exec, exec, s[28:29]
.LBB239_775:                            ;   in Loop: Header=BB239_626 Depth=1
	s_or_b64 exec, exec, s[26:27]
	v_cmp_lt_u32_e64 s[4:5], s34, v4
	s_and_saveexec_b64 s[26:27], s[4:5]
	s_cbranch_execz .LBB239_781
; %bb.776:                              ;   in Loop: Header=BB239_626 Depth=1
	v_cmp_ne_u32_sdwa s[4:5], v4, s7 src0_sel:BYTE_3 src1_sel:DWORD
	v_pk_mov_b32 v[12:13], s[12:13], s[12:13] op_sel:[0,1]
	s_and_saveexec_b64 s[28:29], s[4:5]
	s_cbranch_execz .LBB239_780
; %bb.777:                              ;   in Loop: Header=BB239_626 Depth=1
	v_bfe_u32 v5, v4, 24, 7
	s_mov_b32 s22, s12
	v_cmp_ne_u32_e64 s[4:5], s15, v5
	v_pk_mov_b32 v[12:13], s[22:23], s[22:23] op_sel:[0,1]
	s_and_saveexec_b64 s[30:31], s[4:5]
	s_cbranch_execz .LBB239_779
; %bb.778:                              ;   in Loop: Header=BB239_626 Depth=1
	v_mov_b32_e32 v12, 7
	v_and_b32_sdwa v50, v4, v12 dst_sel:DWORD dst_unused:UNUSED_PAD src0_sel:BYTE_3 src1_sel:DWORD
	v_ffbh_u32_e32 v12, v50
	v_min_u32_e32 v17, 32, v12
	v_subrev_u32_e32 v12, 28, v17
	v_lshlrev_b64 v[12:13], v12, v[50:51]
	v_lshrrev_b32_e32 v16, 3, v5
	v_sub_u32_e32 v13, 29, v17
	v_cmp_gt_u32_e64 s[4:5], 8, v5
	v_cndmask_b32_e64 v5, v16, v13, s[4:5]
	v_mov_b32_e32 v13, 24
	v_and_b32_e32 v12, 7, v12
	v_lshlrev_b32_sdwa v4, v13, v4 dst_sel:DWORD dst_unused:UNUSED_PAD src0_sel:DWORD src1_sel:BYTE_3
	v_bfrev_b32_e32 v13, 60
	v_cndmask_b32_e64 v12, v50, v12, s[4:5]
	v_lshl_add_u32 v5, v5, 23, v13
	v_and_or_b32 v4, v4, s13, v5
	v_lshlrev_b32_e32 v5, 20, v12
	v_or_b32_e32 v13, v4, v5
	v_mov_b32_e32 v12, v51
.LBB239_779:                            ;   in Loop: Header=BB239_626 Depth=1
	s_or_b64 exec, exec, s[30:31]
.LBB239_780:                            ;   in Loop: Header=BB239_626 Depth=1
	s_or_b64 exec, exec, s[28:29]
.LBB239_781:                            ;   in Loop: Header=BB239_626 Depth=1
	s_or_b64 exec, exec, s[26:27]
	v_or_b32_e32 v5, v9, v7
	v_or_b32_e32 v4, v8, v6
	v_pk_mul_f32 v[4:5], v[26:27], v[4:5]
	v_accvgpr_write_b32 a55, v5
	v_accvgpr_write_b32 a54, v4
	v_or_b32_e32 v5, v13, v11
	v_or_b32_e32 v4, v12, v10
	v_pk_mul_f32 v[4:5], v[26:27], v[4:5]
	v_accvgpr_write_b32 a9, v5
	v_accvgpr_write_b32 a8, v4
	s_and_saveexec_b64 s[26:27], vcc
	s_cbranch_execz .LBB239_783
; %bb.782:                              ;   in Loop: Header=BB239_626 Depth=1
	v_accvgpr_read_b32 v4, a57
	v_cmp_lt_i32_e64 s[4:5], v4, v62
	v_accvgpr_read_b32 v6, a54
	v_accvgpr_read_b32 v4, a63
	;; [unrolled: 1-line block ×3, first 2 shown]
	v_cndmask_b32_e64 v6, 0, v6, s[4:5]
	v_cmp_lt_i32_e64 s[4:5], v4, v62
	v_cndmask_b32_e64 v7, 0, v7, s[4:5]
	v_accvgpr_write_b32 a55, v7
	v_accvgpr_read_b32 v4, a61
	v_accvgpr_write_b32 a54, v6
	v_cmp_lt_i32_e64 s[4:5], v4, v62
	v_accvgpr_read_b32 v6, a8
	v_accvgpr_read_b32 v4, a59
	;; [unrolled: 1-line block ×3, first 2 shown]
	v_cndmask_b32_e64 v6, 0, v6, s[4:5]
	v_cmp_lt_i32_e64 s[4:5], v4, v62
	v_cndmask_b32_e64 v7, 0, v7, s[4:5]
	v_accvgpr_write_b32 a9, v7
	v_accvgpr_write_b32 a8, v6
.LBB239_783:                            ;   in Loop: Header=BB239_626 Depth=1
	s_or_b64 exec, exec, s[26:27]
	flat_load_dword v4, v[24:25] offset:1536
	v_pk_mov_b32 v[8:9], 0, 0
	v_pk_mov_b32 v[6:7], v[8:9], v[8:9] op_sel:[0,1]
	s_waitcnt vmcnt(0) lgkmcnt(0)
	v_cmp_ne_u16_sdwa s[4:5], v4, v51 src0_sel:BYTE_0 src1_sel:DWORD
	s_and_saveexec_b64 s[26:27], s[4:5]
	s_cbranch_execz .LBB239_789
; %bb.784:                              ;   in Loop: Header=BB239_626 Depth=1
	v_bfrev_b32_e32 v6, 1
	v_cmp_ne_u16_sdwa s[4:5], v4, s7 src0_sel:BYTE_0 src1_sel:DWORD
	v_mov_b32_e32 v7, 0
	s_and_saveexec_b64 s[28:29], s[4:5]
	s_cbranch_execz .LBB239_788
; %bb.785:                              ;   in Loop: Header=BB239_626 Depth=1
	v_and_b32_e32 v5, 0x7f, v4
	v_mov_b32_e32 v6, 0x7f800001
	v_cmp_ne_u32_e64 s[4:5], s15, v5
	v_mov_b32_e32 v7, 0
	s_and_saveexec_b64 s[30:31], s[4:5]
	s_cbranch_execz .LBB239_787
; %bb.786:                              ;   in Loop: Header=BB239_626 Depth=1
	v_and_b32_e32 v10, 7, v4
	v_ffbh_u32_e32 v6, v10
	v_min_u32_e32 v12, 32, v6
	v_subrev_u32_e32 v6, 28, v12
	v_lshlrev_b64 v[6:7], v6, v[4:5]
	v_lshrrev_b32_e32 v11, 3, v5
	v_sub_u32_e32 v7, 29, v12
	v_and_b32_e32 v6, 7, v6
	v_cmp_gt_u32_e64 s[4:5], 8, v5
	v_cndmask_b32_e64 v5, v11, v7, s[4:5]
	v_cndmask_b32_e64 v6, v10, v6, s[4:5]
	v_bfrev_b32_e32 v10, 60
	v_lshlrev_b32_e32 v6, 20, v6
	v_and_b32_sdwa v7, sext(v4), s13 dst_sel:DWORD dst_unused:UNUSED_PAD src0_sel:BYTE_0 src1_sel:DWORD
	v_lshl_add_u32 v5, v5, 23, v10
	v_or3_b32 v50, v7, v5, v6
	v_pk_mov_b32 v[6:7], v[50:51], v[50:51] op_sel:[0,1]
.LBB239_787:                            ;   in Loop: Header=BB239_626 Depth=1
	s_or_b64 exec, exec, s[30:31]
.LBB239_788:                            ;   in Loop: Header=BB239_626 Depth=1
	s_or_b64 exec, exec, s[28:29]
.LBB239_789:                            ;   in Loop: Header=BB239_626 Depth=1
	s_or_b64 exec, exec, s[26:27]
	v_cmp_ne_u16_sdwa s[4:5], v4, v51 src0_sel:BYTE_1 src1_sel:DWORD
	s_and_saveexec_b64 s[26:27], s[4:5]
	s_cbranch_execz .LBB239_795
; %bb.790:                              ;   in Loop: Header=BB239_626 Depth=1
	v_cmp_ne_u16_sdwa s[4:5], v4, s7 src0_sel:BYTE_1 src1_sel:DWORD
	v_pk_mov_b32 v[8:9], s[12:13], s[12:13] op_sel:[0,1]
	s_and_saveexec_b64 s[28:29], s[4:5]
	s_cbranch_execz .LBB239_794
; %bb.791:                              ;   in Loop: Header=BB239_626 Depth=1
	v_and_b32_sdwa v5, v4, s15 dst_sel:DWORD dst_unused:UNUSED_PAD src0_sel:BYTE_1 src1_sel:DWORD
	s_mov_b32 s22, s12
	v_cmp_ne_u32_e64 s[4:5], s15, v5
	v_pk_mov_b32 v[8:9], s[22:23], s[22:23] op_sel:[0,1]
	s_and_saveexec_b64 s[30:31], s[4:5]
	s_cbranch_execz .LBB239_793
; %bb.792:                              ;   in Loop: Header=BB239_626 Depth=1
	v_mov_b32_e32 v8, 7
	v_and_b32_sdwa v50, v4, v8 dst_sel:DWORD dst_unused:UNUSED_PAD src0_sel:BYTE_1 src1_sel:DWORD
	v_ffbh_u32_e32 v8, v50
	v_min_u32_e32 v11, 32, v8
	v_subrev_u32_e32 v8, 28, v11
	v_lshlrev_b64 v[8:9], v8, v[50:51]
	v_lshrrev_b32_e32 v10, 3, v5
	v_sub_u32_e32 v9, 29, v11
	v_cmp_gt_u32_e64 s[4:5], 8, v5
	v_and_b32_e32 v8, 7, v8
	v_cndmask_b32_e64 v5, v10, v9, s[4:5]
	v_bfrev_b32_e32 v10, 60
	v_cndmask_b32_e64 v8, v50, v8, s[4:5]
	v_lshlrev_b32_e32 v9, 16, v4
	v_lshl_add_u32 v5, v5, 23, v10
	v_and_or_b32 v5, v9, s13, v5
	v_lshlrev_b32_e32 v8, 20, v8
	v_or_b32_e32 v9, v5, v8
	v_mov_b32_e32 v8, v51
.LBB239_793:                            ;   in Loop: Header=BB239_626 Depth=1
	s_or_b64 exec, exec, s[30:31]
.LBB239_794:                            ;   in Loop: Header=BB239_626 Depth=1
	s_or_b64 exec, exec, s[28:29]
.LBB239_795:                            ;   in Loop: Header=BB239_626 Depth=1
	s_or_b64 exec, exec, s[26:27]
	v_lshrrev_b32_e32 v16, 16, v4
	v_pk_mov_b32 v[12:13], 0, 0
	v_cmp_ne_u16_sdwa s[4:5], v16, v51 src0_sel:BYTE_0 src1_sel:DWORD
	v_pk_mov_b32 v[10:11], v[12:13], v[12:13] op_sel:[0,1]
	s_and_saveexec_b64 s[26:27], s[4:5]
	s_cbranch_execz .LBB239_801
; %bb.796:                              ;   in Loop: Header=BB239_626 Depth=1
	v_bfrev_b32_e32 v10, 1
	v_cmp_ne_u16_sdwa s[4:5], v16, s7 src0_sel:BYTE_0 src1_sel:DWORD
	v_mov_b32_e32 v11, 0
	s_and_saveexec_b64 s[28:29], s[4:5]
	s_cbranch_execz .LBB239_800
; %bb.797:                              ;   in Loop: Header=BB239_626 Depth=1
	v_bfe_u32 v5, v4, 16, 7
	v_mov_b32_e32 v10, 0x7f800001
	v_cmp_ne_u32_e64 s[4:5], s15, v5
	v_mov_b32_e32 v11, 0
	s_and_saveexec_b64 s[30:31], s[4:5]
	s_cbranch_execz .LBB239_799
; %bb.798:                              ;   in Loop: Header=BB239_626 Depth=1
	v_and_b32_e32 v17, 7, v16
	v_ffbh_u32_e32 v10, v17
	v_min_u32_e32 v19, 32, v10
	v_subrev_u32_e32 v10, 28, v19
	v_lshlrev_b64 v[10:11], v10, v[16:17]
	v_lshrrev_b32_e32 v18, 3, v5
	v_sub_u32_e32 v11, 29, v19
	v_and_b32_e32 v10, 7, v10
	v_cmp_gt_u32_e64 s[4:5], 8, v5
	v_cndmask_b32_e64 v5, v18, v11, s[4:5]
	v_cndmask_b32_e64 v10, v17, v10, s[4:5]
	v_and_b32_sdwa v11, sext(v16), s13 dst_sel:DWORD dst_unused:UNUSED_PAD src0_sel:BYTE_0 src1_sel:DWORD
	v_bfrev_b32_e32 v16, 60
	v_lshlrev_b32_e32 v10, 20, v10
	v_lshl_add_u32 v5, v5, 23, v16
	v_or3_b32 v50, v11, v5, v10
	v_pk_mov_b32 v[10:11], v[50:51], v[50:51] op_sel:[0,1]
.LBB239_799:                            ;   in Loop: Header=BB239_626 Depth=1
	s_or_b64 exec, exec, s[30:31]
.LBB239_800:                            ;   in Loop: Header=BB239_626 Depth=1
	s_or_b64 exec, exec, s[28:29]
.LBB239_801:                            ;   in Loop: Header=BB239_626 Depth=1
	s_or_b64 exec, exec, s[26:27]
	v_cmp_lt_u32_e64 s[4:5], s34, v4
	s_and_saveexec_b64 s[26:27], s[4:5]
	s_cbranch_execz .LBB239_807
; %bb.802:                              ;   in Loop: Header=BB239_626 Depth=1
	v_cmp_ne_u32_sdwa s[4:5], v4, s7 src0_sel:BYTE_3 src1_sel:DWORD
	v_pk_mov_b32 v[12:13], s[12:13], s[12:13] op_sel:[0,1]
	s_and_saveexec_b64 s[28:29], s[4:5]
	s_cbranch_execz .LBB239_806
; %bb.803:                              ;   in Loop: Header=BB239_626 Depth=1
	v_bfe_u32 v5, v4, 24, 7
	s_mov_b32 s22, s12
	v_cmp_ne_u32_e64 s[4:5], s15, v5
	v_pk_mov_b32 v[12:13], s[22:23], s[22:23] op_sel:[0,1]
	s_and_saveexec_b64 s[30:31], s[4:5]
	s_cbranch_execz .LBB239_805
; %bb.804:                              ;   in Loop: Header=BB239_626 Depth=1
	v_mov_b32_e32 v12, 7
	v_and_b32_sdwa v50, v4, v12 dst_sel:DWORD dst_unused:UNUSED_PAD src0_sel:BYTE_3 src1_sel:DWORD
	v_ffbh_u32_e32 v12, v50
	v_min_u32_e32 v17, 32, v12
	v_subrev_u32_e32 v12, 28, v17
	v_lshlrev_b64 v[12:13], v12, v[50:51]
	v_lshrrev_b32_e32 v16, 3, v5
	v_sub_u32_e32 v13, 29, v17
	v_cmp_gt_u32_e64 s[4:5], 8, v5
	v_cndmask_b32_e64 v5, v16, v13, s[4:5]
	v_mov_b32_e32 v13, 24
	v_and_b32_e32 v12, 7, v12
	v_lshlrev_b32_sdwa v4, v13, v4 dst_sel:DWORD dst_unused:UNUSED_PAD src0_sel:DWORD src1_sel:BYTE_3
	v_bfrev_b32_e32 v13, 60
	v_cndmask_b32_e64 v12, v50, v12, s[4:5]
	v_lshl_add_u32 v5, v5, 23, v13
	v_and_or_b32 v4, v4, s13, v5
	v_lshlrev_b32_e32 v5, 20, v12
	v_or_b32_e32 v13, v4, v5
	v_mov_b32_e32 v12, v51
.LBB239_805:                            ;   in Loop: Header=BB239_626 Depth=1
	s_or_b64 exec, exec, s[30:31]
.LBB239_806:                            ;   in Loop: Header=BB239_626 Depth=1
	s_or_b64 exec, exec, s[28:29]
.LBB239_807:                            ;   in Loop: Header=BB239_626 Depth=1
	s_or_b64 exec, exec, s[26:27]
	v_or_b32_e32 v5, v9, v7
	v_or_b32_e32 v4, v8, v6
	v_pk_mul_f32 v[4:5], v[26:27], v[4:5]
	v_accvgpr_write_b32 a17, v5
	v_accvgpr_write_b32 a16, v4
	v_or_b32_e32 v5, v13, v11
	v_or_b32_e32 v4, v12, v10
	v_pk_mul_f32 v[4:5], v[26:27], v[4:5]
	v_accvgpr_write_b32 a0, v4
	v_accvgpr_write_b32 a1, v5
	s_and_saveexec_b64 s[26:27], vcc
	s_cbranch_execz .LBB239_809
; %bb.808:                              ;   in Loop: Header=BB239_626 Depth=1
	v_accvgpr_read_b32 v4, a57
	v_cmp_lt_i32_e64 s[4:5], v4, v62
	v_accvgpr_read_b32 v6, a16
	v_accvgpr_read_b32 v4, a63
	v_accvgpr_read_b32 v7, a17
	v_cndmask_b32_e64 v6, 0, v6, s[4:5]
	v_cmp_lt_i32_e64 s[4:5], v4, v62
	v_cndmask_b32_e64 v7, 0, v7, s[4:5]
	v_accvgpr_write_b32 a17, v7
	v_accvgpr_write_b32 a16, v6
	v_accvgpr_read_b32 v4, a61
	v_accvgpr_read_b32 v7, a1
	v_cmp_lt_i32_e64 s[4:5], v4, v62
	v_accvgpr_read_b32 v6, a0
	v_accvgpr_read_b32 v4, a59
	v_cndmask_b32_e64 v6, 0, v6, s[4:5]
	v_cmp_lt_i32_e64 s[4:5], v4, v62
	v_cndmask_b32_e64 v7, 0, v7, s[4:5]
	v_accvgpr_write_b32 a0, v6
	v_accvgpr_write_b32 a1, v7
.LBB239_809:                            ;   in Loop: Header=BB239_626 Depth=1
	s_or_b64 exec, exec, s[26:27]
	flat_load_dword v4, v[24:25] offset:1792
	v_pk_mov_b32 v[8:9], 0, 0
	v_pk_mov_b32 v[6:7], v[8:9], v[8:9] op_sel:[0,1]
	s_waitcnt vmcnt(0) lgkmcnt(0)
	v_cmp_ne_u16_sdwa s[4:5], v4, v51 src0_sel:BYTE_0 src1_sel:DWORD
	s_and_saveexec_b64 s[26:27], s[4:5]
	s_cbranch_execz .LBB239_815
; %bb.810:                              ;   in Loop: Header=BB239_626 Depth=1
	v_bfrev_b32_e32 v6, 1
	v_cmp_ne_u16_sdwa s[4:5], v4, s7 src0_sel:BYTE_0 src1_sel:DWORD
	v_mov_b32_e32 v7, 0
	s_and_saveexec_b64 s[28:29], s[4:5]
	s_cbranch_execz .LBB239_814
; %bb.811:                              ;   in Loop: Header=BB239_626 Depth=1
	v_and_b32_e32 v5, 0x7f, v4
	v_mov_b32_e32 v6, 0x7f800001
	v_cmp_ne_u32_e64 s[4:5], s15, v5
	v_mov_b32_e32 v7, 0
	s_and_saveexec_b64 s[30:31], s[4:5]
	s_cbranch_execz .LBB239_813
; %bb.812:                              ;   in Loop: Header=BB239_626 Depth=1
	v_and_b32_e32 v10, 7, v4
	v_ffbh_u32_e32 v6, v10
	v_min_u32_e32 v12, 32, v6
	v_subrev_u32_e32 v6, 28, v12
	v_lshlrev_b64 v[6:7], v6, v[4:5]
	v_lshrrev_b32_e32 v11, 3, v5
	v_sub_u32_e32 v7, 29, v12
	v_and_b32_e32 v6, 7, v6
	v_cmp_gt_u32_e64 s[4:5], 8, v5
	v_cndmask_b32_e64 v5, v11, v7, s[4:5]
	v_cndmask_b32_e64 v6, v10, v6, s[4:5]
	v_bfrev_b32_e32 v10, 60
	v_lshlrev_b32_e32 v6, 20, v6
	v_and_b32_sdwa v7, sext(v4), s13 dst_sel:DWORD dst_unused:UNUSED_PAD src0_sel:BYTE_0 src1_sel:DWORD
	v_lshl_add_u32 v5, v5, 23, v10
	v_or3_b32 v50, v7, v5, v6
	v_pk_mov_b32 v[6:7], v[50:51], v[50:51] op_sel:[0,1]
.LBB239_813:                            ;   in Loop: Header=BB239_626 Depth=1
	s_or_b64 exec, exec, s[30:31]
.LBB239_814:                            ;   in Loop: Header=BB239_626 Depth=1
	s_or_b64 exec, exec, s[28:29]
.LBB239_815:                            ;   in Loop: Header=BB239_626 Depth=1
	s_or_b64 exec, exec, s[26:27]
	v_cmp_ne_u16_sdwa s[4:5], v4, v51 src0_sel:BYTE_1 src1_sel:DWORD
	s_and_saveexec_b64 s[26:27], s[4:5]
	s_cbranch_execz .LBB239_821
; %bb.816:                              ;   in Loop: Header=BB239_626 Depth=1
	v_cmp_ne_u16_sdwa s[4:5], v4, s7 src0_sel:BYTE_1 src1_sel:DWORD
	v_pk_mov_b32 v[8:9], s[12:13], s[12:13] op_sel:[0,1]
	s_and_saveexec_b64 s[28:29], s[4:5]
	s_cbranch_execz .LBB239_820
; %bb.817:                              ;   in Loop: Header=BB239_626 Depth=1
	v_and_b32_sdwa v5, v4, s15 dst_sel:DWORD dst_unused:UNUSED_PAD src0_sel:BYTE_1 src1_sel:DWORD
	s_mov_b32 s22, s12
	v_cmp_ne_u32_e64 s[4:5], s15, v5
	v_pk_mov_b32 v[8:9], s[22:23], s[22:23] op_sel:[0,1]
	s_and_saveexec_b64 s[30:31], s[4:5]
	s_cbranch_execz .LBB239_819
; %bb.818:                              ;   in Loop: Header=BB239_626 Depth=1
	v_mov_b32_e32 v8, 7
	v_and_b32_sdwa v50, v4, v8 dst_sel:DWORD dst_unused:UNUSED_PAD src0_sel:BYTE_1 src1_sel:DWORD
	v_ffbh_u32_e32 v8, v50
	v_min_u32_e32 v11, 32, v8
	v_subrev_u32_e32 v8, 28, v11
	v_lshlrev_b64 v[8:9], v8, v[50:51]
	v_lshrrev_b32_e32 v10, 3, v5
	v_sub_u32_e32 v9, 29, v11
	v_cmp_gt_u32_e64 s[4:5], 8, v5
	v_and_b32_e32 v8, 7, v8
	v_cndmask_b32_e64 v5, v10, v9, s[4:5]
	v_bfrev_b32_e32 v10, 60
	v_cndmask_b32_e64 v8, v50, v8, s[4:5]
	v_lshlrev_b32_e32 v9, 16, v4
	v_lshl_add_u32 v5, v5, 23, v10
	v_and_or_b32 v5, v9, s13, v5
	v_lshlrev_b32_e32 v8, 20, v8
	v_or_b32_e32 v9, v5, v8
	v_mov_b32_e32 v8, v51
.LBB239_819:                            ;   in Loop: Header=BB239_626 Depth=1
	s_or_b64 exec, exec, s[30:31]
.LBB239_820:                            ;   in Loop: Header=BB239_626 Depth=1
	s_or_b64 exec, exec, s[28:29]
.LBB239_821:                            ;   in Loop: Header=BB239_626 Depth=1
	s_or_b64 exec, exec, s[26:27]
	v_lshrrev_b32_e32 v16, 16, v4
	v_pk_mov_b32 v[12:13], 0, 0
	v_cmp_ne_u16_sdwa s[4:5], v16, v51 src0_sel:BYTE_0 src1_sel:DWORD
	v_pk_mov_b32 v[10:11], v[12:13], v[12:13] op_sel:[0,1]
	s_and_saveexec_b64 s[26:27], s[4:5]
	s_cbranch_execz .LBB239_827
; %bb.822:                              ;   in Loop: Header=BB239_626 Depth=1
	v_bfrev_b32_e32 v10, 1
	v_cmp_ne_u16_sdwa s[4:5], v16, s7 src0_sel:BYTE_0 src1_sel:DWORD
	v_mov_b32_e32 v11, 0
	s_and_saveexec_b64 s[28:29], s[4:5]
	s_cbranch_execz .LBB239_826
; %bb.823:                              ;   in Loop: Header=BB239_626 Depth=1
	v_bfe_u32 v5, v4, 16, 7
	v_mov_b32_e32 v10, 0x7f800001
	v_cmp_ne_u32_e64 s[4:5], s15, v5
	v_mov_b32_e32 v11, 0
	s_and_saveexec_b64 s[30:31], s[4:5]
	s_cbranch_execz .LBB239_825
; %bb.824:                              ;   in Loop: Header=BB239_626 Depth=1
	v_and_b32_e32 v17, 7, v16
	v_ffbh_u32_e32 v10, v17
	v_min_u32_e32 v19, 32, v10
	v_subrev_u32_e32 v10, 28, v19
	v_lshlrev_b64 v[10:11], v10, v[16:17]
	v_lshrrev_b32_e32 v18, 3, v5
	v_sub_u32_e32 v11, 29, v19
	v_and_b32_e32 v10, 7, v10
	v_cmp_gt_u32_e64 s[4:5], 8, v5
	v_cndmask_b32_e64 v5, v18, v11, s[4:5]
	v_cndmask_b32_e64 v10, v17, v10, s[4:5]
	v_and_b32_sdwa v11, sext(v16), s13 dst_sel:DWORD dst_unused:UNUSED_PAD src0_sel:BYTE_0 src1_sel:DWORD
	v_bfrev_b32_e32 v16, 60
	v_lshlrev_b32_e32 v10, 20, v10
	v_lshl_add_u32 v5, v5, 23, v16
	v_or3_b32 v50, v11, v5, v10
	v_pk_mov_b32 v[10:11], v[50:51], v[50:51] op_sel:[0,1]
.LBB239_825:                            ;   in Loop: Header=BB239_626 Depth=1
	s_or_b64 exec, exec, s[30:31]
.LBB239_826:                            ;   in Loop: Header=BB239_626 Depth=1
	s_or_b64 exec, exec, s[28:29]
.LBB239_827:                            ;   in Loop: Header=BB239_626 Depth=1
	s_or_b64 exec, exec, s[26:27]
	v_cmp_lt_u32_e64 s[4:5], s34, v4
	s_and_saveexec_b64 s[26:27], s[4:5]
	s_cbranch_execz .LBB239_833
; %bb.828:                              ;   in Loop: Header=BB239_626 Depth=1
	v_cmp_ne_u32_sdwa s[4:5], v4, s7 src0_sel:BYTE_3 src1_sel:DWORD
	v_pk_mov_b32 v[12:13], s[12:13], s[12:13] op_sel:[0,1]
	s_and_saveexec_b64 s[28:29], s[4:5]
	s_cbranch_execz .LBB239_832
; %bb.829:                              ;   in Loop: Header=BB239_626 Depth=1
	v_bfe_u32 v5, v4, 24, 7
	s_mov_b32 s22, s12
	v_cmp_ne_u32_e64 s[4:5], s15, v5
	v_pk_mov_b32 v[12:13], s[22:23], s[22:23] op_sel:[0,1]
	s_and_saveexec_b64 s[30:31], s[4:5]
	s_cbranch_execz .LBB239_831
; %bb.830:                              ;   in Loop: Header=BB239_626 Depth=1
	v_mov_b32_e32 v12, 7
	v_and_b32_sdwa v50, v4, v12 dst_sel:DWORD dst_unused:UNUSED_PAD src0_sel:BYTE_3 src1_sel:DWORD
	v_ffbh_u32_e32 v12, v50
	v_min_u32_e32 v17, 32, v12
	v_subrev_u32_e32 v12, 28, v17
	v_lshlrev_b64 v[12:13], v12, v[50:51]
	v_lshrrev_b32_e32 v16, 3, v5
	v_sub_u32_e32 v13, 29, v17
	v_cmp_gt_u32_e64 s[4:5], 8, v5
	v_cndmask_b32_e64 v5, v16, v13, s[4:5]
	v_mov_b32_e32 v13, 24
	v_and_b32_e32 v12, 7, v12
	v_lshlrev_b32_sdwa v4, v13, v4 dst_sel:DWORD dst_unused:UNUSED_PAD src0_sel:DWORD src1_sel:BYTE_3
	v_bfrev_b32_e32 v13, 60
	v_cndmask_b32_e64 v12, v50, v12, s[4:5]
	v_lshl_add_u32 v5, v5, 23, v13
	v_and_or_b32 v4, v4, s13, v5
	v_lshlrev_b32_e32 v5, 20, v12
	v_or_b32_e32 v13, v4, v5
	v_mov_b32_e32 v12, v51
.LBB239_831:                            ;   in Loop: Header=BB239_626 Depth=1
	s_or_b64 exec, exec, s[30:31]
.LBB239_832:                            ;   in Loop: Header=BB239_626 Depth=1
	s_or_b64 exec, exec, s[28:29]
.LBB239_833:                            ;   in Loop: Header=BB239_626 Depth=1
	s_or_b64 exec, exec, s[26:27]
	v_or_b32_e32 v5, v9, v7
	v_or_b32_e32 v4, v8, v6
	v_pk_mul_f32 v[4:5], v[26:27], v[4:5]
	v_accvgpr_write_b32 a41, v5
	v_accvgpr_write_b32 a40, v4
	v_or_b32_e32 v5, v13, v11
	v_or_b32_e32 v4, v12, v10
	v_pk_mul_f32 v[4:5], v[26:27], v[4:5]
	v_accvgpr_write_b32 a39, v5
	v_accvgpr_write_b32 a38, v4
	s_and_saveexec_b64 s[26:27], vcc
	s_cbranch_execz .LBB239_835
; %bb.834:                              ;   in Loop: Header=BB239_626 Depth=1
	v_accvgpr_read_b32 v4, a57
	v_cmp_lt_i32_e64 s[4:5], v4, v62
	v_accvgpr_read_b32 v6, a40
	v_accvgpr_read_b32 v4, a63
	;; [unrolled: 1-line block ×3, first 2 shown]
	v_cndmask_b32_e64 v6, 0, v6, s[4:5]
	v_cmp_lt_i32_e64 s[4:5], v4, v62
	v_cndmask_b32_e64 v7, 0, v7, s[4:5]
	v_accvgpr_write_b32 a41, v7
	v_accvgpr_read_b32 v4, a61
	v_accvgpr_write_b32 a40, v6
	v_cmp_lt_i32_e64 s[4:5], v4, v62
	v_accvgpr_read_b32 v6, a38
	v_accvgpr_read_b32 v4, a59
	;; [unrolled: 1-line block ×3, first 2 shown]
	v_cndmask_b32_e64 v6, 0, v6, s[4:5]
	v_cmp_lt_i32_e64 s[4:5], v4, v62
	v_cndmask_b32_e64 v7, 0, v7, s[4:5]
	v_accvgpr_write_b32 a39, v7
	v_accvgpr_write_b32 a38, v6
.LBB239_835:                            ;   in Loop: Header=BB239_626 Depth=1
	s_or_b64 exec, exec, s[26:27]
	flat_load_dword v4, v[24:25] offset:2048
	v_pk_mov_b32 v[8:9], 0, 0
	v_pk_mov_b32 v[6:7], v[8:9], v[8:9] op_sel:[0,1]
	s_waitcnt vmcnt(0) lgkmcnt(0)
	v_cmp_ne_u16_sdwa s[4:5], v4, v51 src0_sel:BYTE_0 src1_sel:DWORD
	s_and_saveexec_b64 s[26:27], s[4:5]
	s_cbranch_execz .LBB239_841
; %bb.836:                              ;   in Loop: Header=BB239_626 Depth=1
	v_bfrev_b32_e32 v6, 1
	v_cmp_ne_u16_sdwa s[4:5], v4, s7 src0_sel:BYTE_0 src1_sel:DWORD
	v_mov_b32_e32 v7, 0
	s_and_saveexec_b64 s[28:29], s[4:5]
	s_cbranch_execz .LBB239_840
; %bb.837:                              ;   in Loop: Header=BB239_626 Depth=1
	v_and_b32_e32 v5, 0x7f, v4
	v_mov_b32_e32 v6, 0x7f800001
	v_cmp_ne_u32_e64 s[4:5], s15, v5
	v_mov_b32_e32 v7, 0
	s_and_saveexec_b64 s[30:31], s[4:5]
	s_cbranch_execz .LBB239_839
; %bb.838:                              ;   in Loop: Header=BB239_626 Depth=1
	v_and_b32_e32 v10, 7, v4
	v_ffbh_u32_e32 v6, v10
	v_min_u32_e32 v12, 32, v6
	v_subrev_u32_e32 v6, 28, v12
	v_lshlrev_b64 v[6:7], v6, v[4:5]
	v_lshrrev_b32_e32 v11, 3, v5
	v_sub_u32_e32 v7, 29, v12
	v_and_b32_e32 v6, 7, v6
	v_cmp_gt_u32_e64 s[4:5], 8, v5
	v_cndmask_b32_e64 v5, v11, v7, s[4:5]
	v_cndmask_b32_e64 v6, v10, v6, s[4:5]
	v_bfrev_b32_e32 v10, 60
	v_lshlrev_b32_e32 v6, 20, v6
	v_and_b32_sdwa v7, sext(v4), s13 dst_sel:DWORD dst_unused:UNUSED_PAD src0_sel:BYTE_0 src1_sel:DWORD
	v_lshl_add_u32 v5, v5, 23, v10
	v_or3_b32 v50, v7, v5, v6
	v_pk_mov_b32 v[6:7], v[50:51], v[50:51] op_sel:[0,1]
.LBB239_839:                            ;   in Loop: Header=BB239_626 Depth=1
	s_or_b64 exec, exec, s[30:31]
.LBB239_840:                            ;   in Loop: Header=BB239_626 Depth=1
	s_or_b64 exec, exec, s[28:29]
.LBB239_841:                            ;   in Loop: Header=BB239_626 Depth=1
	s_or_b64 exec, exec, s[26:27]
	v_cmp_ne_u16_sdwa s[4:5], v4, v51 src0_sel:BYTE_1 src1_sel:DWORD
	s_and_saveexec_b64 s[26:27], s[4:5]
	s_cbranch_execz .LBB239_847
; %bb.842:                              ;   in Loop: Header=BB239_626 Depth=1
	v_cmp_ne_u16_sdwa s[4:5], v4, s7 src0_sel:BYTE_1 src1_sel:DWORD
	v_pk_mov_b32 v[8:9], s[12:13], s[12:13] op_sel:[0,1]
	s_and_saveexec_b64 s[28:29], s[4:5]
	s_cbranch_execz .LBB239_846
; %bb.843:                              ;   in Loop: Header=BB239_626 Depth=1
	v_and_b32_sdwa v5, v4, s15 dst_sel:DWORD dst_unused:UNUSED_PAD src0_sel:BYTE_1 src1_sel:DWORD
	s_mov_b32 s22, s12
	v_cmp_ne_u32_e64 s[4:5], s15, v5
	v_pk_mov_b32 v[8:9], s[22:23], s[22:23] op_sel:[0,1]
	s_and_saveexec_b64 s[30:31], s[4:5]
	s_cbranch_execz .LBB239_845
; %bb.844:                              ;   in Loop: Header=BB239_626 Depth=1
	v_mov_b32_e32 v8, 7
	v_and_b32_sdwa v50, v4, v8 dst_sel:DWORD dst_unused:UNUSED_PAD src0_sel:BYTE_1 src1_sel:DWORD
	v_ffbh_u32_e32 v8, v50
	v_min_u32_e32 v11, 32, v8
	v_subrev_u32_e32 v8, 28, v11
	v_lshlrev_b64 v[8:9], v8, v[50:51]
	v_lshrrev_b32_e32 v10, 3, v5
	v_sub_u32_e32 v9, 29, v11
	v_cmp_gt_u32_e64 s[4:5], 8, v5
	v_and_b32_e32 v8, 7, v8
	v_cndmask_b32_e64 v5, v10, v9, s[4:5]
	v_bfrev_b32_e32 v10, 60
	v_cndmask_b32_e64 v8, v50, v8, s[4:5]
	v_lshlrev_b32_e32 v9, 16, v4
	v_lshl_add_u32 v5, v5, 23, v10
	v_and_or_b32 v5, v9, s13, v5
	v_lshlrev_b32_e32 v8, 20, v8
	v_or_b32_e32 v9, v5, v8
	v_mov_b32_e32 v8, v51
.LBB239_845:                            ;   in Loop: Header=BB239_626 Depth=1
	s_or_b64 exec, exec, s[30:31]
.LBB239_846:                            ;   in Loop: Header=BB239_626 Depth=1
	s_or_b64 exec, exec, s[28:29]
.LBB239_847:                            ;   in Loop: Header=BB239_626 Depth=1
	s_or_b64 exec, exec, s[26:27]
	v_lshrrev_b32_e32 v16, 16, v4
	v_pk_mov_b32 v[12:13], 0, 0
	v_cmp_ne_u16_sdwa s[4:5], v16, v51 src0_sel:BYTE_0 src1_sel:DWORD
	v_pk_mov_b32 v[10:11], v[12:13], v[12:13] op_sel:[0,1]
	s_and_saveexec_b64 s[26:27], s[4:5]
	s_cbranch_execz .LBB239_853
; %bb.848:                              ;   in Loop: Header=BB239_626 Depth=1
	v_bfrev_b32_e32 v10, 1
	v_cmp_ne_u16_sdwa s[4:5], v16, s7 src0_sel:BYTE_0 src1_sel:DWORD
	v_mov_b32_e32 v11, 0
	s_and_saveexec_b64 s[28:29], s[4:5]
	s_cbranch_execz .LBB239_852
; %bb.849:                              ;   in Loop: Header=BB239_626 Depth=1
	v_bfe_u32 v5, v4, 16, 7
	v_mov_b32_e32 v10, 0x7f800001
	v_cmp_ne_u32_e64 s[4:5], s15, v5
	v_mov_b32_e32 v11, 0
	s_and_saveexec_b64 s[30:31], s[4:5]
	s_cbranch_execz .LBB239_851
; %bb.850:                              ;   in Loop: Header=BB239_626 Depth=1
	v_and_b32_e32 v17, 7, v16
	v_ffbh_u32_e32 v10, v17
	v_min_u32_e32 v19, 32, v10
	v_subrev_u32_e32 v10, 28, v19
	v_lshlrev_b64 v[10:11], v10, v[16:17]
	v_lshrrev_b32_e32 v18, 3, v5
	v_sub_u32_e32 v11, 29, v19
	v_and_b32_e32 v10, 7, v10
	v_cmp_gt_u32_e64 s[4:5], 8, v5
	v_cndmask_b32_e64 v5, v18, v11, s[4:5]
	v_cndmask_b32_e64 v10, v17, v10, s[4:5]
	v_and_b32_sdwa v11, sext(v16), s13 dst_sel:DWORD dst_unused:UNUSED_PAD src0_sel:BYTE_0 src1_sel:DWORD
	v_bfrev_b32_e32 v16, 60
	v_lshlrev_b32_e32 v10, 20, v10
	v_lshl_add_u32 v5, v5, 23, v16
	v_or3_b32 v50, v11, v5, v10
	v_pk_mov_b32 v[10:11], v[50:51], v[50:51] op_sel:[0,1]
.LBB239_851:                            ;   in Loop: Header=BB239_626 Depth=1
	s_or_b64 exec, exec, s[30:31]
.LBB239_852:                            ;   in Loop: Header=BB239_626 Depth=1
	s_or_b64 exec, exec, s[28:29]
.LBB239_853:                            ;   in Loop: Header=BB239_626 Depth=1
	s_or_b64 exec, exec, s[26:27]
	v_cmp_lt_u32_e64 s[4:5], s34, v4
	s_and_saveexec_b64 s[26:27], s[4:5]
	s_cbranch_execz .LBB239_859
; %bb.854:                              ;   in Loop: Header=BB239_626 Depth=1
	v_cmp_ne_u32_sdwa s[4:5], v4, s7 src0_sel:BYTE_3 src1_sel:DWORD
	v_pk_mov_b32 v[12:13], s[12:13], s[12:13] op_sel:[0,1]
	s_and_saveexec_b64 s[28:29], s[4:5]
	s_cbranch_execz .LBB239_858
; %bb.855:                              ;   in Loop: Header=BB239_626 Depth=1
	v_bfe_u32 v5, v4, 24, 7
	s_mov_b32 s22, s12
	v_cmp_ne_u32_e64 s[4:5], s15, v5
	v_pk_mov_b32 v[12:13], s[22:23], s[22:23] op_sel:[0,1]
	s_and_saveexec_b64 s[30:31], s[4:5]
	s_cbranch_execz .LBB239_857
; %bb.856:                              ;   in Loop: Header=BB239_626 Depth=1
	v_mov_b32_e32 v12, 7
	v_and_b32_sdwa v50, v4, v12 dst_sel:DWORD dst_unused:UNUSED_PAD src0_sel:BYTE_3 src1_sel:DWORD
	v_ffbh_u32_e32 v12, v50
	v_min_u32_e32 v17, 32, v12
	v_subrev_u32_e32 v12, 28, v17
	v_lshlrev_b64 v[12:13], v12, v[50:51]
	v_lshrrev_b32_e32 v16, 3, v5
	v_sub_u32_e32 v13, 29, v17
	v_cmp_gt_u32_e64 s[4:5], 8, v5
	v_cndmask_b32_e64 v5, v16, v13, s[4:5]
	v_mov_b32_e32 v13, 24
	v_and_b32_e32 v12, 7, v12
	v_lshlrev_b32_sdwa v4, v13, v4 dst_sel:DWORD dst_unused:UNUSED_PAD src0_sel:DWORD src1_sel:BYTE_3
	v_bfrev_b32_e32 v13, 60
	v_cndmask_b32_e64 v12, v50, v12, s[4:5]
	v_lshl_add_u32 v5, v5, 23, v13
	v_and_or_b32 v4, v4, s13, v5
	v_lshlrev_b32_e32 v5, 20, v12
	v_or_b32_e32 v13, v4, v5
	v_mov_b32_e32 v12, v51
.LBB239_857:                            ;   in Loop: Header=BB239_626 Depth=1
	s_or_b64 exec, exec, s[30:31]
.LBB239_858:                            ;   in Loop: Header=BB239_626 Depth=1
	s_or_b64 exec, exec, s[28:29]
.LBB239_859:                            ;   in Loop: Header=BB239_626 Depth=1
	s_or_b64 exec, exec, s[26:27]
	v_or_b32_e32 v5, v9, v7
	v_or_b32_e32 v4, v8, v6
	v_pk_mul_f32 v[4:5], v[26:27], v[4:5]
	v_accvgpr_write_b32 a23, v5
	v_accvgpr_write_b32 a22, v4
	v_or_b32_e32 v5, v13, v11
	v_or_b32_e32 v4, v12, v10
	v_pk_mul_f32 v[4:5], v[26:27], v[4:5]
	v_accvgpr_write_b32 a25, v5
	v_accvgpr_write_b32 a24, v4
	s_and_saveexec_b64 s[26:27], vcc
	s_cbranch_execz .LBB239_861
; %bb.860:                              ;   in Loop: Header=BB239_626 Depth=1
	v_accvgpr_read_b32 v4, a57
	v_cmp_lt_i32_e64 s[4:5], v4, v62
	v_accvgpr_read_b32 v6, a22
	v_accvgpr_read_b32 v4, a63
	;; [unrolled: 1-line block ×3, first 2 shown]
	v_cndmask_b32_e64 v6, 0, v6, s[4:5]
	v_cmp_lt_i32_e64 s[4:5], v4, v62
	v_cndmask_b32_e64 v7, 0, v7, s[4:5]
	v_accvgpr_write_b32 a23, v7
	v_accvgpr_read_b32 v4, a61
	v_accvgpr_write_b32 a22, v6
	v_cmp_lt_i32_e64 s[4:5], v4, v62
	v_accvgpr_read_b32 v6, a24
	v_accvgpr_read_b32 v4, a59
	;; [unrolled: 1-line block ×3, first 2 shown]
	v_cndmask_b32_e64 v6, 0, v6, s[4:5]
	v_cmp_lt_i32_e64 s[4:5], v4, v62
	v_cndmask_b32_e64 v7, 0, v7, s[4:5]
	v_accvgpr_write_b32 a25, v7
	v_accvgpr_write_b32 a24, v6
.LBB239_861:                            ;   in Loop: Header=BB239_626 Depth=1
	s_or_b64 exec, exec, s[26:27]
	flat_load_dword v4, v[24:25] offset:2304
	v_pk_mov_b32 v[8:9], 0, 0
	v_pk_mov_b32 v[6:7], v[8:9], v[8:9] op_sel:[0,1]
	s_waitcnt vmcnt(0) lgkmcnt(0)
	v_cmp_ne_u16_sdwa s[4:5], v4, v51 src0_sel:BYTE_0 src1_sel:DWORD
	s_and_saveexec_b64 s[26:27], s[4:5]
	s_cbranch_execz .LBB239_867
; %bb.862:                              ;   in Loop: Header=BB239_626 Depth=1
	v_bfrev_b32_e32 v6, 1
	v_cmp_ne_u16_sdwa s[4:5], v4, s7 src0_sel:BYTE_0 src1_sel:DWORD
	v_mov_b32_e32 v7, 0
	s_and_saveexec_b64 s[28:29], s[4:5]
	s_cbranch_execz .LBB239_866
; %bb.863:                              ;   in Loop: Header=BB239_626 Depth=1
	v_and_b32_e32 v5, 0x7f, v4
	v_mov_b32_e32 v6, 0x7f800001
	v_cmp_ne_u32_e64 s[4:5], s15, v5
	v_mov_b32_e32 v7, 0
	s_and_saveexec_b64 s[30:31], s[4:5]
	s_cbranch_execz .LBB239_865
; %bb.864:                              ;   in Loop: Header=BB239_626 Depth=1
	v_and_b32_e32 v10, 7, v4
	v_ffbh_u32_e32 v6, v10
	v_min_u32_e32 v12, 32, v6
	v_subrev_u32_e32 v6, 28, v12
	v_lshlrev_b64 v[6:7], v6, v[4:5]
	v_lshrrev_b32_e32 v11, 3, v5
	v_sub_u32_e32 v7, 29, v12
	v_and_b32_e32 v6, 7, v6
	v_cmp_gt_u32_e64 s[4:5], 8, v5
	v_cndmask_b32_e64 v5, v11, v7, s[4:5]
	v_cndmask_b32_e64 v6, v10, v6, s[4:5]
	v_bfrev_b32_e32 v10, 60
	v_lshlrev_b32_e32 v6, 20, v6
	v_and_b32_sdwa v7, sext(v4), s13 dst_sel:DWORD dst_unused:UNUSED_PAD src0_sel:BYTE_0 src1_sel:DWORD
	v_lshl_add_u32 v5, v5, 23, v10
	v_or3_b32 v50, v7, v5, v6
	v_pk_mov_b32 v[6:7], v[50:51], v[50:51] op_sel:[0,1]
.LBB239_865:                            ;   in Loop: Header=BB239_626 Depth=1
	s_or_b64 exec, exec, s[30:31]
.LBB239_866:                            ;   in Loop: Header=BB239_626 Depth=1
	s_or_b64 exec, exec, s[28:29]
.LBB239_867:                            ;   in Loop: Header=BB239_626 Depth=1
	s_or_b64 exec, exec, s[26:27]
	v_cmp_ne_u16_sdwa s[4:5], v4, v51 src0_sel:BYTE_1 src1_sel:DWORD
	s_and_saveexec_b64 s[26:27], s[4:5]
	s_cbranch_execz .LBB239_873
; %bb.868:                              ;   in Loop: Header=BB239_626 Depth=1
	v_cmp_ne_u16_sdwa s[4:5], v4, s7 src0_sel:BYTE_1 src1_sel:DWORD
	v_pk_mov_b32 v[8:9], s[12:13], s[12:13] op_sel:[0,1]
	s_and_saveexec_b64 s[28:29], s[4:5]
	s_cbranch_execz .LBB239_872
; %bb.869:                              ;   in Loop: Header=BB239_626 Depth=1
	v_and_b32_sdwa v5, v4, s15 dst_sel:DWORD dst_unused:UNUSED_PAD src0_sel:BYTE_1 src1_sel:DWORD
	s_mov_b32 s22, s12
	v_cmp_ne_u32_e64 s[4:5], s15, v5
	v_pk_mov_b32 v[8:9], s[22:23], s[22:23] op_sel:[0,1]
	s_and_saveexec_b64 s[30:31], s[4:5]
	s_cbranch_execz .LBB239_871
; %bb.870:                              ;   in Loop: Header=BB239_626 Depth=1
	v_mov_b32_e32 v8, 7
	v_and_b32_sdwa v50, v4, v8 dst_sel:DWORD dst_unused:UNUSED_PAD src0_sel:BYTE_1 src1_sel:DWORD
	v_ffbh_u32_e32 v8, v50
	v_min_u32_e32 v11, 32, v8
	v_subrev_u32_e32 v8, 28, v11
	v_lshlrev_b64 v[8:9], v8, v[50:51]
	v_lshrrev_b32_e32 v10, 3, v5
	v_sub_u32_e32 v9, 29, v11
	v_cmp_gt_u32_e64 s[4:5], 8, v5
	v_and_b32_e32 v8, 7, v8
	v_cndmask_b32_e64 v5, v10, v9, s[4:5]
	v_bfrev_b32_e32 v10, 60
	v_cndmask_b32_e64 v8, v50, v8, s[4:5]
	v_lshlrev_b32_e32 v9, 16, v4
	v_lshl_add_u32 v5, v5, 23, v10
	v_and_or_b32 v5, v9, s13, v5
	v_lshlrev_b32_e32 v8, 20, v8
	v_or_b32_e32 v9, v5, v8
	v_mov_b32_e32 v8, v51
.LBB239_871:                            ;   in Loop: Header=BB239_626 Depth=1
	s_or_b64 exec, exec, s[30:31]
.LBB239_872:                            ;   in Loop: Header=BB239_626 Depth=1
	s_or_b64 exec, exec, s[28:29]
.LBB239_873:                            ;   in Loop: Header=BB239_626 Depth=1
	s_or_b64 exec, exec, s[26:27]
	v_lshrrev_b32_e32 v16, 16, v4
	v_pk_mov_b32 v[12:13], 0, 0
	v_cmp_ne_u16_sdwa s[4:5], v16, v51 src0_sel:BYTE_0 src1_sel:DWORD
	v_pk_mov_b32 v[10:11], v[12:13], v[12:13] op_sel:[0,1]
	s_and_saveexec_b64 s[26:27], s[4:5]
	s_cbranch_execz .LBB239_879
; %bb.874:                              ;   in Loop: Header=BB239_626 Depth=1
	v_bfrev_b32_e32 v10, 1
	v_cmp_ne_u16_sdwa s[4:5], v16, s7 src0_sel:BYTE_0 src1_sel:DWORD
	v_mov_b32_e32 v11, 0
	s_and_saveexec_b64 s[28:29], s[4:5]
	s_cbranch_execz .LBB239_878
; %bb.875:                              ;   in Loop: Header=BB239_626 Depth=1
	v_bfe_u32 v5, v4, 16, 7
	v_mov_b32_e32 v10, 0x7f800001
	v_cmp_ne_u32_e64 s[4:5], s15, v5
	v_mov_b32_e32 v11, 0
	s_and_saveexec_b64 s[30:31], s[4:5]
	s_cbranch_execz .LBB239_877
; %bb.876:                              ;   in Loop: Header=BB239_626 Depth=1
	v_and_b32_e32 v17, 7, v16
	v_lshrrev_b32_e32 v18, 3, v5
	v_cmp_gt_u32_e64 s[4:5], 8, v5
	v_ffbh_u32_e32 v5, v17
	v_min_u32_e32 v5, 32, v5
	v_subrev_u32_e32 v10, 28, v5
	v_lshlrev_b64 v[10:11], v10, v[16:17]
	v_sub_u32_e32 v5, 29, v5
	v_and_b32_e32 v10, 7, v10
	v_cndmask_b32_e64 v5, v18, v5, s[4:5]
	v_cndmask_b32_e64 v10, v17, v10, s[4:5]
	v_and_b32_sdwa v11, sext(v16), s13 dst_sel:DWORD dst_unused:UNUSED_PAD src0_sel:BYTE_0 src1_sel:DWORD
	v_bfrev_b32_e32 v16, 60
	v_lshlrev_b32_e32 v10, 20, v10
	v_lshl_add_u32 v5, v5, 23, v16
	v_or3_b32 v50, v11, v5, v10
	v_pk_mov_b32 v[10:11], v[50:51], v[50:51] op_sel:[0,1]
.LBB239_877:                            ;   in Loop: Header=BB239_626 Depth=1
	s_or_b64 exec, exec, s[30:31]
.LBB239_878:                            ;   in Loop: Header=BB239_626 Depth=1
	s_or_b64 exec, exec, s[28:29]
.LBB239_879:                            ;   in Loop: Header=BB239_626 Depth=1
	s_or_b64 exec, exec, s[26:27]
	v_cmp_lt_u32_e64 s[4:5], s34, v4
	s_and_saveexec_b64 s[26:27], s[4:5]
	s_cbranch_execz .LBB239_885
; %bb.880:                              ;   in Loop: Header=BB239_626 Depth=1
	v_cmp_ne_u32_sdwa s[4:5], v4, s7 src0_sel:BYTE_3 src1_sel:DWORD
	v_pk_mov_b32 v[12:13], s[12:13], s[12:13] op_sel:[0,1]
	s_and_saveexec_b64 s[28:29], s[4:5]
	s_cbranch_execz .LBB239_884
; %bb.881:                              ;   in Loop: Header=BB239_626 Depth=1
	v_bfe_u32 v5, v4, 24, 7
	s_mov_b32 s22, s12
	v_cmp_ne_u32_e64 s[4:5], s15, v5
	v_pk_mov_b32 v[12:13], s[22:23], s[22:23] op_sel:[0,1]
	s_and_saveexec_b64 s[30:31], s[4:5]
	s_cbranch_execz .LBB239_883
; %bb.882:                              ;   in Loop: Header=BB239_626 Depth=1
	v_mov_b32_e32 v12, 7
	v_and_b32_sdwa v50, v4, v12 dst_sel:DWORD dst_unused:UNUSED_PAD src0_sel:BYTE_3 src1_sel:DWORD
	v_lshrrev_b32_e32 v16, 3, v5
	v_cmp_gt_u32_e64 s[4:5], 8, v5
	v_ffbh_u32_e32 v5, v50
	v_min_u32_e32 v5, 32, v5
	v_subrev_u32_e32 v12, 28, v5
	v_lshlrev_b64 v[12:13], v12, v[50:51]
	v_sub_u32_e32 v5, 29, v5
	v_mov_b32_e32 v13, 24
	v_and_b32_e32 v12, 7, v12
	v_cndmask_b32_e64 v5, v16, v5, s[4:5]
	v_lshlrev_b32_sdwa v4, v13, v4 dst_sel:DWORD dst_unused:UNUSED_PAD src0_sel:DWORD src1_sel:BYTE_3
	v_bfrev_b32_e32 v13, 60
	v_cndmask_b32_e64 v12, v50, v12, s[4:5]
	v_lshl_add_u32 v5, v5, 23, v13
	v_and_or_b32 v4, v4, s13, v5
	v_lshlrev_b32_e32 v5, 20, v12
	v_or_b32_e32 v13, v4, v5
	v_mov_b32_e32 v12, v51
.LBB239_883:                            ;   in Loop: Header=BB239_626 Depth=1
	s_or_b64 exec, exec, s[30:31]
.LBB239_884:                            ;   in Loop: Header=BB239_626 Depth=1
	s_or_b64 exec, exec, s[28:29]
.LBB239_885:                            ;   in Loop: Header=BB239_626 Depth=1
	s_or_b64 exec, exec, s[26:27]
	v_or_b32_e32 v5, v9, v7
	v_or_b32_e32 v4, v8, v6
	v_pk_mul_f32 v[4:5], v[26:27], v[4:5]
	v_accvgpr_write_b32 a27, v5
	v_accvgpr_write_b32 a26, v4
	v_or_b32_e32 v5, v13, v11
	v_or_b32_e32 v4, v12, v10
	v_pk_mul_f32 v[4:5], v[26:27], v[4:5]
	v_accvgpr_write_b32 a29, v5
	v_accvgpr_write_b32 a28, v4
	s_and_saveexec_b64 s[26:27], vcc
	s_cbranch_execz .LBB239_887
; %bb.886:                              ;   in Loop: Header=BB239_626 Depth=1
	v_accvgpr_read_b32 v4, a57
	v_cmp_lt_i32_e64 s[4:5], v4, v62
	v_accvgpr_read_b32 v6, a26
	v_accvgpr_read_b32 v4, a63
	;; [unrolled: 1-line block ×3, first 2 shown]
	v_cndmask_b32_e64 v6, 0, v6, s[4:5]
	v_cmp_lt_i32_e64 s[4:5], v4, v62
	v_cndmask_b32_e64 v7, 0, v7, s[4:5]
	v_accvgpr_write_b32 a27, v7
	v_accvgpr_read_b32 v4, a61
	v_accvgpr_write_b32 a26, v6
	v_cmp_lt_i32_e64 s[4:5], v4, v62
	v_accvgpr_read_b32 v6, a28
	v_accvgpr_read_b32 v4, a59
	;; [unrolled: 1-line block ×3, first 2 shown]
	v_cndmask_b32_e64 v6, 0, v6, s[4:5]
	v_cmp_lt_i32_e64 s[4:5], v4, v62
	v_cndmask_b32_e64 v7, 0, v7, s[4:5]
	v_accvgpr_write_b32 a29, v7
	v_accvgpr_write_b32 a28, v6
.LBB239_887:                            ;   in Loop: Header=BB239_626 Depth=1
	s_or_b64 exec, exec, s[26:27]
	flat_load_dword v4, v[24:25] offset:2560
	v_pk_mov_b32 v[8:9], 0, 0
	v_pk_mov_b32 v[6:7], v[8:9], v[8:9] op_sel:[0,1]
	s_waitcnt vmcnt(0) lgkmcnt(0)
	v_cmp_ne_u16_sdwa s[4:5], v4, v51 src0_sel:BYTE_0 src1_sel:DWORD
	s_and_saveexec_b64 s[26:27], s[4:5]
	s_cbranch_execz .LBB239_893
; %bb.888:                              ;   in Loop: Header=BB239_626 Depth=1
	v_bfrev_b32_e32 v6, 1
	v_cmp_ne_u16_sdwa s[4:5], v4, s7 src0_sel:BYTE_0 src1_sel:DWORD
	v_mov_b32_e32 v7, 0
	s_and_saveexec_b64 s[28:29], s[4:5]
	s_cbranch_execz .LBB239_892
; %bb.889:                              ;   in Loop: Header=BB239_626 Depth=1
	v_and_b32_e32 v5, 0x7f, v4
	v_mov_b32_e32 v6, 0x7f800001
	v_cmp_ne_u32_e64 s[4:5], s15, v5
	v_mov_b32_e32 v7, 0
	s_and_saveexec_b64 s[30:31], s[4:5]
	s_cbranch_execz .LBB239_891
; %bb.890:                              ;   in Loop: Header=BB239_626 Depth=1
	v_and_b32_e32 v10, 7, v4
	v_lshrrev_b32_e32 v11, 3, v5
	v_cmp_gt_u32_e64 s[4:5], 8, v5
	v_ffbh_u32_e32 v5, v10
	v_min_u32_e32 v5, 32, v5
	v_subrev_u32_e32 v6, 28, v5
	v_lshlrev_b64 v[6:7], v6, v[4:5]
	v_sub_u32_e32 v5, 29, v5
	v_and_b32_e32 v6, 7, v6
	v_cndmask_b32_e64 v5, v11, v5, s[4:5]
	v_cndmask_b32_e64 v6, v10, v6, s[4:5]
	v_bfrev_b32_e32 v10, 60
	v_lshlrev_b32_e32 v6, 20, v6
	v_and_b32_sdwa v7, sext(v4), s13 dst_sel:DWORD dst_unused:UNUSED_PAD src0_sel:BYTE_0 src1_sel:DWORD
	v_lshl_add_u32 v5, v5, 23, v10
	v_or3_b32 v50, v7, v5, v6
	v_pk_mov_b32 v[6:7], v[50:51], v[50:51] op_sel:[0,1]
.LBB239_891:                            ;   in Loop: Header=BB239_626 Depth=1
	s_or_b64 exec, exec, s[30:31]
.LBB239_892:                            ;   in Loop: Header=BB239_626 Depth=1
	s_or_b64 exec, exec, s[28:29]
.LBB239_893:                            ;   in Loop: Header=BB239_626 Depth=1
	s_or_b64 exec, exec, s[26:27]
	v_cmp_ne_u16_sdwa s[4:5], v4, v51 src0_sel:BYTE_1 src1_sel:DWORD
	s_and_saveexec_b64 s[26:27], s[4:5]
	s_cbranch_execz .LBB239_899
; %bb.894:                              ;   in Loop: Header=BB239_626 Depth=1
	v_cmp_ne_u16_sdwa s[4:5], v4, s7 src0_sel:BYTE_1 src1_sel:DWORD
	v_pk_mov_b32 v[8:9], s[12:13], s[12:13] op_sel:[0,1]
	s_and_saveexec_b64 s[28:29], s[4:5]
	s_cbranch_execz .LBB239_898
; %bb.895:                              ;   in Loop: Header=BB239_626 Depth=1
	v_and_b32_sdwa v5, v4, s15 dst_sel:DWORD dst_unused:UNUSED_PAD src0_sel:BYTE_1 src1_sel:DWORD
	s_mov_b32 s22, s12
	v_cmp_ne_u32_e64 s[4:5], s15, v5
	v_pk_mov_b32 v[8:9], s[22:23], s[22:23] op_sel:[0,1]
	s_and_saveexec_b64 s[30:31], s[4:5]
	s_cbranch_execz .LBB239_897
; %bb.896:                              ;   in Loop: Header=BB239_626 Depth=1
	v_mov_b32_e32 v8, 7
	v_and_b32_sdwa v50, v4, v8 dst_sel:DWORD dst_unused:UNUSED_PAD src0_sel:BYTE_1 src1_sel:DWORD
	v_lshrrev_b32_e32 v10, 3, v5
	v_cmp_gt_u32_e64 s[4:5], 8, v5
	v_ffbh_u32_e32 v5, v50
	v_min_u32_e32 v5, 32, v5
	v_subrev_u32_e32 v8, 28, v5
	v_lshlrev_b64 v[8:9], v8, v[50:51]
	v_sub_u32_e32 v5, 29, v5
	v_and_b32_e32 v8, 7, v8
	v_cndmask_b32_e64 v5, v10, v5, s[4:5]
	v_bfrev_b32_e32 v10, 60
	v_cndmask_b32_e64 v8, v50, v8, s[4:5]
	v_lshlrev_b32_e32 v9, 16, v4
	v_lshl_add_u32 v5, v5, 23, v10
	v_and_or_b32 v5, v9, s13, v5
	v_lshlrev_b32_e32 v8, 20, v8
	v_or_b32_e32 v9, v5, v8
	v_mov_b32_e32 v8, v51
.LBB239_897:                            ;   in Loop: Header=BB239_626 Depth=1
	s_or_b64 exec, exec, s[30:31]
.LBB239_898:                            ;   in Loop: Header=BB239_626 Depth=1
	s_or_b64 exec, exec, s[28:29]
.LBB239_899:                            ;   in Loop: Header=BB239_626 Depth=1
	s_or_b64 exec, exec, s[26:27]
	v_lshrrev_b32_e32 v16, 16, v4
	v_pk_mov_b32 v[12:13], 0, 0
	v_cmp_ne_u16_sdwa s[4:5], v16, v51 src0_sel:BYTE_0 src1_sel:DWORD
	v_pk_mov_b32 v[10:11], v[12:13], v[12:13] op_sel:[0,1]
	s_and_saveexec_b64 s[26:27], s[4:5]
	s_cbranch_execz .LBB239_905
; %bb.900:                              ;   in Loop: Header=BB239_626 Depth=1
	v_bfrev_b32_e32 v10, 1
	v_cmp_ne_u16_sdwa s[4:5], v16, s7 src0_sel:BYTE_0 src1_sel:DWORD
	v_mov_b32_e32 v11, 0
	s_and_saveexec_b64 s[28:29], s[4:5]
	s_cbranch_execz .LBB239_904
; %bb.901:                              ;   in Loop: Header=BB239_626 Depth=1
	v_bfe_u32 v5, v4, 16, 7
	v_mov_b32_e32 v10, 0x7f800001
	v_cmp_ne_u32_e64 s[4:5], s15, v5
	v_mov_b32_e32 v11, 0
	s_and_saveexec_b64 s[30:31], s[4:5]
	s_cbranch_execz .LBB239_903
; %bb.902:                              ;   in Loop: Header=BB239_626 Depth=1
	v_and_b32_e32 v17, 7, v16
	v_lshrrev_b32_e32 v18, 3, v5
	v_cmp_gt_u32_e64 s[4:5], 8, v5
	v_ffbh_u32_e32 v5, v17
	v_min_u32_e32 v5, 32, v5
	v_subrev_u32_e32 v10, 28, v5
	v_lshlrev_b64 v[10:11], v10, v[16:17]
	v_sub_u32_e32 v5, 29, v5
	v_and_b32_e32 v10, 7, v10
	v_cndmask_b32_e64 v5, v18, v5, s[4:5]
	v_cndmask_b32_e64 v10, v17, v10, s[4:5]
	v_and_b32_sdwa v11, sext(v16), s13 dst_sel:DWORD dst_unused:UNUSED_PAD src0_sel:BYTE_0 src1_sel:DWORD
	v_bfrev_b32_e32 v16, 60
	v_lshlrev_b32_e32 v10, 20, v10
	v_lshl_add_u32 v5, v5, 23, v16
	v_or3_b32 v50, v11, v5, v10
	v_pk_mov_b32 v[10:11], v[50:51], v[50:51] op_sel:[0,1]
.LBB239_903:                            ;   in Loop: Header=BB239_626 Depth=1
	s_or_b64 exec, exec, s[30:31]
.LBB239_904:                            ;   in Loop: Header=BB239_626 Depth=1
	s_or_b64 exec, exec, s[28:29]
.LBB239_905:                            ;   in Loop: Header=BB239_626 Depth=1
	s_or_b64 exec, exec, s[26:27]
	v_cmp_lt_u32_e64 s[4:5], s34, v4
	s_and_saveexec_b64 s[26:27], s[4:5]
	s_cbranch_execz .LBB239_911
; %bb.906:                              ;   in Loop: Header=BB239_626 Depth=1
	v_cmp_ne_u32_sdwa s[4:5], v4, s7 src0_sel:BYTE_3 src1_sel:DWORD
	v_pk_mov_b32 v[12:13], s[12:13], s[12:13] op_sel:[0,1]
	s_and_saveexec_b64 s[28:29], s[4:5]
	s_cbranch_execz .LBB239_910
; %bb.907:                              ;   in Loop: Header=BB239_626 Depth=1
	v_bfe_u32 v5, v4, 24, 7
	s_mov_b32 s22, s12
	v_cmp_ne_u32_e64 s[4:5], s15, v5
	v_pk_mov_b32 v[12:13], s[22:23], s[22:23] op_sel:[0,1]
	s_and_saveexec_b64 s[30:31], s[4:5]
	s_cbranch_execz .LBB239_909
; %bb.908:                              ;   in Loop: Header=BB239_626 Depth=1
	v_mov_b32_e32 v12, 7
	v_and_b32_sdwa v50, v4, v12 dst_sel:DWORD dst_unused:UNUSED_PAD src0_sel:BYTE_3 src1_sel:DWORD
	v_lshrrev_b32_e32 v16, 3, v5
	v_cmp_gt_u32_e64 s[4:5], 8, v5
	v_ffbh_u32_e32 v5, v50
	v_min_u32_e32 v5, 32, v5
	v_subrev_u32_e32 v12, 28, v5
	v_lshlrev_b64 v[12:13], v12, v[50:51]
	v_sub_u32_e32 v5, 29, v5
	v_mov_b32_e32 v13, 24
	v_and_b32_e32 v12, 7, v12
	v_cndmask_b32_e64 v5, v16, v5, s[4:5]
	v_lshlrev_b32_sdwa v4, v13, v4 dst_sel:DWORD dst_unused:UNUSED_PAD src0_sel:DWORD src1_sel:BYTE_3
	v_bfrev_b32_e32 v13, 60
	v_cndmask_b32_e64 v12, v50, v12, s[4:5]
	v_lshl_add_u32 v5, v5, 23, v13
	v_and_or_b32 v4, v4, s13, v5
	v_lshlrev_b32_e32 v5, 20, v12
	v_or_b32_e32 v13, v4, v5
	v_mov_b32_e32 v12, v51
.LBB239_909:                            ;   in Loop: Header=BB239_626 Depth=1
	s_or_b64 exec, exec, s[30:31]
.LBB239_910:                            ;   in Loop: Header=BB239_626 Depth=1
	s_or_b64 exec, exec, s[28:29]
.LBB239_911:                            ;   in Loop: Header=BB239_626 Depth=1
	s_or_b64 exec, exec, s[26:27]
	v_or_b32_e32 v5, v9, v7
	v_or_b32_e32 v4, v8, v6
	v_pk_mul_f32 v[4:5], v[26:27], v[4:5]
	v_accvgpr_write_b32 a31, v5
	v_accvgpr_write_b32 a30, v4
	v_or_b32_e32 v5, v13, v11
	v_or_b32_e32 v4, v12, v10
	v_pk_mul_f32 v[4:5], v[26:27], v[4:5]
	v_accvgpr_write_b32 a33, v5
	v_accvgpr_write_b32 a32, v4
	s_and_saveexec_b64 s[26:27], vcc
	s_cbranch_execz .LBB239_913
; %bb.912:                              ;   in Loop: Header=BB239_626 Depth=1
	v_accvgpr_read_b32 v4, a57
	v_cmp_lt_i32_e64 s[4:5], v4, v62
	v_accvgpr_read_b32 v6, a30
	v_accvgpr_read_b32 v4, a63
	;; [unrolled: 1-line block ×3, first 2 shown]
	v_cndmask_b32_e64 v6, 0, v6, s[4:5]
	v_cmp_lt_i32_e64 s[4:5], v4, v62
	v_cndmask_b32_e64 v7, 0, v7, s[4:5]
	v_accvgpr_write_b32 a31, v7
	v_accvgpr_read_b32 v4, a61
	v_accvgpr_write_b32 a30, v6
	v_cmp_lt_i32_e64 s[4:5], v4, v62
	v_accvgpr_read_b32 v6, a32
	v_accvgpr_read_b32 v4, a59
	;; [unrolled: 1-line block ×3, first 2 shown]
	v_cndmask_b32_e64 v6, 0, v6, s[4:5]
	v_cmp_lt_i32_e64 s[4:5], v4, v62
	v_cndmask_b32_e64 v7, 0, v7, s[4:5]
	v_accvgpr_write_b32 a33, v7
	v_accvgpr_write_b32 a32, v6
.LBB239_913:                            ;   in Loop: Header=BB239_626 Depth=1
	s_or_b64 exec, exec, s[26:27]
	flat_load_dword v4, v[24:25] offset:2816
	v_pk_mov_b32 v[8:9], 0, 0
	v_pk_mov_b32 v[6:7], v[8:9], v[8:9] op_sel:[0,1]
	s_waitcnt vmcnt(0) lgkmcnt(0)
	v_cmp_ne_u16_sdwa s[4:5], v4, v51 src0_sel:BYTE_0 src1_sel:DWORD
	s_and_saveexec_b64 s[26:27], s[4:5]
	s_cbranch_execz .LBB239_919
; %bb.914:                              ;   in Loop: Header=BB239_626 Depth=1
	v_bfrev_b32_e32 v6, 1
	v_cmp_ne_u16_sdwa s[4:5], v4, s7 src0_sel:BYTE_0 src1_sel:DWORD
	v_mov_b32_e32 v7, 0
	s_and_saveexec_b64 s[28:29], s[4:5]
	s_cbranch_execz .LBB239_918
; %bb.915:                              ;   in Loop: Header=BB239_626 Depth=1
	v_and_b32_e32 v5, 0x7f, v4
	v_mov_b32_e32 v6, 0x7f800001
	v_cmp_ne_u32_e64 s[4:5], s15, v5
	v_mov_b32_e32 v7, 0
	s_and_saveexec_b64 s[30:31], s[4:5]
	s_cbranch_execz .LBB239_917
; %bb.916:                              ;   in Loop: Header=BB239_626 Depth=1
	v_and_b32_e32 v10, 7, v4
	v_lshrrev_b32_e32 v11, 3, v5
	v_cmp_gt_u32_e64 s[4:5], 8, v5
	v_ffbh_u32_e32 v5, v10
	v_min_u32_e32 v5, 32, v5
	v_subrev_u32_e32 v6, 28, v5
	v_lshlrev_b64 v[6:7], v6, v[4:5]
	v_sub_u32_e32 v5, 29, v5
	v_and_b32_e32 v6, 7, v6
	v_cndmask_b32_e64 v5, v11, v5, s[4:5]
	v_cndmask_b32_e64 v6, v10, v6, s[4:5]
	v_bfrev_b32_e32 v10, 60
	v_lshlrev_b32_e32 v6, 20, v6
	v_and_b32_sdwa v7, sext(v4), s13 dst_sel:DWORD dst_unused:UNUSED_PAD src0_sel:BYTE_0 src1_sel:DWORD
	v_lshl_add_u32 v5, v5, 23, v10
	v_or3_b32 v50, v7, v5, v6
	v_pk_mov_b32 v[6:7], v[50:51], v[50:51] op_sel:[0,1]
.LBB239_917:                            ;   in Loop: Header=BB239_626 Depth=1
	s_or_b64 exec, exec, s[30:31]
.LBB239_918:                            ;   in Loop: Header=BB239_626 Depth=1
	s_or_b64 exec, exec, s[28:29]
.LBB239_919:                            ;   in Loop: Header=BB239_626 Depth=1
	s_or_b64 exec, exec, s[26:27]
	v_cmp_ne_u16_sdwa s[4:5], v4, v51 src0_sel:BYTE_1 src1_sel:DWORD
	s_and_saveexec_b64 s[26:27], s[4:5]
	s_cbranch_execz .LBB239_925
; %bb.920:                              ;   in Loop: Header=BB239_626 Depth=1
	v_cmp_ne_u16_sdwa s[4:5], v4, s7 src0_sel:BYTE_1 src1_sel:DWORD
	v_pk_mov_b32 v[8:9], s[12:13], s[12:13] op_sel:[0,1]
	s_and_saveexec_b64 s[28:29], s[4:5]
	s_cbranch_execz .LBB239_924
; %bb.921:                              ;   in Loop: Header=BB239_626 Depth=1
	v_and_b32_sdwa v5, v4, s15 dst_sel:DWORD dst_unused:UNUSED_PAD src0_sel:BYTE_1 src1_sel:DWORD
	s_mov_b32 s22, s12
	v_cmp_ne_u32_e64 s[4:5], s15, v5
	v_pk_mov_b32 v[8:9], s[22:23], s[22:23] op_sel:[0,1]
	s_and_saveexec_b64 s[30:31], s[4:5]
	s_cbranch_execz .LBB239_923
; %bb.922:                              ;   in Loop: Header=BB239_626 Depth=1
	v_mov_b32_e32 v8, 7
	v_and_b32_sdwa v50, v4, v8 dst_sel:DWORD dst_unused:UNUSED_PAD src0_sel:BYTE_1 src1_sel:DWORD
	v_lshrrev_b32_e32 v10, 3, v5
	v_cmp_gt_u32_e64 s[4:5], 8, v5
	v_ffbh_u32_e32 v5, v50
	v_min_u32_e32 v5, 32, v5
	v_subrev_u32_e32 v8, 28, v5
	v_lshlrev_b64 v[8:9], v8, v[50:51]
	v_sub_u32_e32 v5, 29, v5
	v_and_b32_e32 v8, 7, v8
	v_cndmask_b32_e64 v5, v10, v5, s[4:5]
	v_bfrev_b32_e32 v10, 60
	v_cndmask_b32_e64 v8, v50, v8, s[4:5]
	v_lshlrev_b32_e32 v9, 16, v4
	v_lshl_add_u32 v5, v5, 23, v10
	v_and_or_b32 v5, v9, s13, v5
	v_lshlrev_b32_e32 v8, 20, v8
	v_or_b32_e32 v9, v5, v8
	v_mov_b32_e32 v8, v51
.LBB239_923:                            ;   in Loop: Header=BB239_626 Depth=1
	s_or_b64 exec, exec, s[30:31]
.LBB239_924:                            ;   in Loop: Header=BB239_626 Depth=1
	s_or_b64 exec, exec, s[28:29]
.LBB239_925:                            ;   in Loop: Header=BB239_626 Depth=1
	s_or_b64 exec, exec, s[26:27]
	v_lshrrev_b32_e32 v16, 16, v4
	v_pk_mov_b32 v[12:13], 0, 0
	v_cmp_ne_u16_sdwa s[4:5], v16, v51 src0_sel:BYTE_0 src1_sel:DWORD
	v_pk_mov_b32 v[10:11], v[12:13], v[12:13] op_sel:[0,1]
	s_and_saveexec_b64 s[26:27], s[4:5]
	s_cbranch_execz .LBB239_931
; %bb.926:                              ;   in Loop: Header=BB239_626 Depth=1
	v_bfrev_b32_e32 v10, 1
	v_cmp_ne_u16_sdwa s[4:5], v16, s7 src0_sel:BYTE_0 src1_sel:DWORD
	v_mov_b32_e32 v11, 0
	s_and_saveexec_b64 s[28:29], s[4:5]
	s_cbranch_execz .LBB239_930
; %bb.927:                              ;   in Loop: Header=BB239_626 Depth=1
	v_bfe_u32 v5, v4, 16, 7
	v_mov_b32_e32 v10, 0x7f800001
	v_cmp_ne_u32_e64 s[4:5], s15, v5
	v_mov_b32_e32 v11, 0
	s_and_saveexec_b64 s[30:31], s[4:5]
	s_cbranch_execz .LBB239_929
; %bb.928:                              ;   in Loop: Header=BB239_626 Depth=1
	v_and_b32_e32 v17, 7, v16
	v_lshrrev_b32_e32 v18, 3, v5
	v_cmp_gt_u32_e64 s[4:5], 8, v5
	v_ffbh_u32_e32 v5, v17
	v_min_u32_e32 v5, 32, v5
	v_subrev_u32_e32 v10, 28, v5
	v_lshlrev_b64 v[10:11], v10, v[16:17]
	v_sub_u32_e32 v5, 29, v5
	v_and_b32_e32 v10, 7, v10
	v_cndmask_b32_e64 v5, v18, v5, s[4:5]
	v_cndmask_b32_e64 v10, v17, v10, s[4:5]
	v_and_b32_sdwa v11, sext(v16), s13 dst_sel:DWORD dst_unused:UNUSED_PAD src0_sel:BYTE_0 src1_sel:DWORD
	v_bfrev_b32_e32 v16, 60
	v_lshlrev_b32_e32 v10, 20, v10
	v_lshl_add_u32 v5, v5, 23, v16
	v_or3_b32 v50, v11, v5, v10
	v_pk_mov_b32 v[10:11], v[50:51], v[50:51] op_sel:[0,1]
.LBB239_929:                            ;   in Loop: Header=BB239_626 Depth=1
	s_or_b64 exec, exec, s[30:31]
.LBB239_930:                            ;   in Loop: Header=BB239_626 Depth=1
	s_or_b64 exec, exec, s[28:29]
.LBB239_931:                            ;   in Loop: Header=BB239_626 Depth=1
	s_or_b64 exec, exec, s[26:27]
	v_cmp_lt_u32_e64 s[4:5], s34, v4
	s_and_saveexec_b64 s[26:27], s[4:5]
	s_cbranch_execz .LBB239_937
; %bb.932:                              ;   in Loop: Header=BB239_626 Depth=1
	v_cmp_ne_u32_sdwa s[4:5], v4, s7 src0_sel:BYTE_3 src1_sel:DWORD
	v_pk_mov_b32 v[12:13], s[12:13], s[12:13] op_sel:[0,1]
	s_and_saveexec_b64 s[28:29], s[4:5]
	s_cbranch_execz .LBB239_936
; %bb.933:                              ;   in Loop: Header=BB239_626 Depth=1
	v_bfe_u32 v5, v4, 24, 7
	s_mov_b32 s22, s12
	v_cmp_ne_u32_e64 s[4:5], s15, v5
	v_pk_mov_b32 v[12:13], s[22:23], s[22:23] op_sel:[0,1]
	s_and_saveexec_b64 s[30:31], s[4:5]
	s_cbranch_execz .LBB239_935
; %bb.934:                              ;   in Loop: Header=BB239_626 Depth=1
	v_mov_b32_e32 v12, 7
	v_and_b32_sdwa v50, v4, v12 dst_sel:DWORD dst_unused:UNUSED_PAD src0_sel:BYTE_3 src1_sel:DWORD
	v_lshrrev_b32_e32 v16, 3, v5
	v_cmp_gt_u32_e64 s[4:5], 8, v5
	v_ffbh_u32_e32 v5, v50
	v_min_u32_e32 v5, 32, v5
	v_subrev_u32_e32 v12, 28, v5
	v_lshlrev_b64 v[12:13], v12, v[50:51]
	v_sub_u32_e32 v5, 29, v5
	v_mov_b32_e32 v13, 24
	v_and_b32_e32 v12, 7, v12
	v_cndmask_b32_e64 v5, v16, v5, s[4:5]
	v_lshlrev_b32_sdwa v4, v13, v4 dst_sel:DWORD dst_unused:UNUSED_PAD src0_sel:DWORD src1_sel:BYTE_3
	v_bfrev_b32_e32 v13, 60
	v_cndmask_b32_e64 v12, v50, v12, s[4:5]
	v_lshl_add_u32 v5, v5, 23, v13
	v_and_or_b32 v4, v4, s13, v5
	v_lshlrev_b32_e32 v5, 20, v12
	v_or_b32_e32 v13, v4, v5
	v_mov_b32_e32 v12, v51
.LBB239_935:                            ;   in Loop: Header=BB239_626 Depth=1
	s_or_b64 exec, exec, s[30:31]
.LBB239_936:                            ;   in Loop: Header=BB239_626 Depth=1
	s_or_b64 exec, exec, s[28:29]
.LBB239_937:                            ;   in Loop: Header=BB239_626 Depth=1
	s_or_b64 exec, exec, s[26:27]
	v_or_b32_e32 v5, v9, v7
	v_or_b32_e32 v4, v8, v6
	v_pk_mul_f32 v[4:5], v[26:27], v[4:5]
	v_accvgpr_write_b32 a35, v5
	v_accvgpr_write_b32 a34, v4
	v_or_b32_e32 v5, v13, v11
	v_or_b32_e32 v4, v12, v10
	v_pk_mul_f32 v[4:5], v[26:27], v[4:5]
	v_accvgpr_write_b32 a43, v5
	v_accvgpr_write_b32 a42, v4
	s_and_saveexec_b64 s[26:27], vcc
	s_cbranch_execz .LBB239_939
; %bb.938:                              ;   in Loop: Header=BB239_626 Depth=1
	v_accvgpr_read_b32 v4, a57
	v_cmp_lt_i32_e64 s[4:5], v4, v62
	v_accvgpr_read_b32 v6, a34
	v_accvgpr_read_b32 v4, a63
	;; [unrolled: 1-line block ×3, first 2 shown]
	v_cndmask_b32_e64 v6, 0, v6, s[4:5]
	v_cmp_lt_i32_e64 s[4:5], v4, v62
	v_cndmask_b32_e64 v7, 0, v7, s[4:5]
	v_accvgpr_write_b32 a35, v7
	v_accvgpr_read_b32 v4, a61
	v_accvgpr_write_b32 a34, v6
	v_cmp_lt_i32_e64 s[4:5], v4, v62
	v_accvgpr_read_b32 v6, a42
	v_accvgpr_read_b32 v4, a59
	;; [unrolled: 1-line block ×3, first 2 shown]
	v_cndmask_b32_e64 v6, 0, v6, s[4:5]
	v_cmp_lt_i32_e64 s[4:5], v4, v62
	v_cndmask_b32_e64 v7, 0, v7, s[4:5]
	v_accvgpr_write_b32 a43, v7
	v_accvgpr_write_b32 a42, v6
.LBB239_939:                            ;   in Loop: Header=BB239_626 Depth=1
	s_or_b64 exec, exec, s[26:27]
	flat_load_dword v4, v[24:25] offset:3072
	v_pk_mov_b32 v[8:9], 0, 0
	v_pk_mov_b32 v[6:7], v[8:9], v[8:9] op_sel:[0,1]
	s_waitcnt vmcnt(0) lgkmcnt(0)
	v_cmp_ne_u16_sdwa s[4:5], v4, v51 src0_sel:BYTE_0 src1_sel:DWORD
	s_and_saveexec_b64 s[26:27], s[4:5]
	s_cbranch_execz .LBB239_945
; %bb.940:                              ;   in Loop: Header=BB239_626 Depth=1
	v_bfrev_b32_e32 v6, 1
	v_cmp_ne_u16_sdwa s[4:5], v4, s7 src0_sel:BYTE_0 src1_sel:DWORD
	v_mov_b32_e32 v7, 0
	s_and_saveexec_b64 s[28:29], s[4:5]
	s_cbranch_execz .LBB239_944
; %bb.941:                              ;   in Loop: Header=BB239_626 Depth=1
	v_and_b32_e32 v5, 0x7f, v4
	v_mov_b32_e32 v6, 0x7f800001
	v_cmp_ne_u32_e64 s[4:5], s15, v5
	v_mov_b32_e32 v7, 0
	s_and_saveexec_b64 s[30:31], s[4:5]
	s_cbranch_execz .LBB239_943
; %bb.942:                              ;   in Loop: Header=BB239_626 Depth=1
	v_and_b32_e32 v10, 7, v4
	v_lshrrev_b32_e32 v11, 3, v5
	v_cmp_gt_u32_e64 s[4:5], 8, v5
	v_ffbh_u32_e32 v5, v10
	v_min_u32_e32 v5, 32, v5
	v_subrev_u32_e32 v6, 28, v5
	v_lshlrev_b64 v[6:7], v6, v[4:5]
	v_sub_u32_e32 v5, 29, v5
	v_and_b32_e32 v6, 7, v6
	v_cndmask_b32_e64 v5, v11, v5, s[4:5]
	v_cndmask_b32_e64 v6, v10, v6, s[4:5]
	v_bfrev_b32_e32 v10, 60
	v_lshlrev_b32_e32 v6, 20, v6
	v_and_b32_sdwa v7, sext(v4), s13 dst_sel:DWORD dst_unused:UNUSED_PAD src0_sel:BYTE_0 src1_sel:DWORD
	v_lshl_add_u32 v5, v5, 23, v10
	v_or3_b32 v50, v7, v5, v6
	v_pk_mov_b32 v[6:7], v[50:51], v[50:51] op_sel:[0,1]
.LBB239_943:                            ;   in Loop: Header=BB239_626 Depth=1
	s_or_b64 exec, exec, s[30:31]
.LBB239_944:                            ;   in Loop: Header=BB239_626 Depth=1
	s_or_b64 exec, exec, s[28:29]
.LBB239_945:                            ;   in Loop: Header=BB239_626 Depth=1
	s_or_b64 exec, exec, s[26:27]
	v_cmp_ne_u16_sdwa s[4:5], v4, v51 src0_sel:BYTE_1 src1_sel:DWORD
	s_and_saveexec_b64 s[26:27], s[4:5]
	s_cbranch_execz .LBB239_951
; %bb.946:                              ;   in Loop: Header=BB239_626 Depth=1
	v_cmp_ne_u16_sdwa s[4:5], v4, s7 src0_sel:BYTE_1 src1_sel:DWORD
	v_pk_mov_b32 v[8:9], s[12:13], s[12:13] op_sel:[0,1]
	s_and_saveexec_b64 s[28:29], s[4:5]
	s_cbranch_execz .LBB239_950
; %bb.947:                              ;   in Loop: Header=BB239_626 Depth=1
	v_and_b32_sdwa v5, v4, s15 dst_sel:DWORD dst_unused:UNUSED_PAD src0_sel:BYTE_1 src1_sel:DWORD
	s_mov_b32 s22, s12
	v_cmp_ne_u32_e64 s[4:5], s15, v5
	v_pk_mov_b32 v[8:9], s[22:23], s[22:23] op_sel:[0,1]
	s_and_saveexec_b64 s[30:31], s[4:5]
	s_cbranch_execz .LBB239_949
; %bb.948:                              ;   in Loop: Header=BB239_626 Depth=1
	v_mov_b32_e32 v8, 7
	v_and_b32_sdwa v50, v4, v8 dst_sel:DWORD dst_unused:UNUSED_PAD src0_sel:BYTE_1 src1_sel:DWORD
	v_lshrrev_b32_e32 v10, 3, v5
	v_cmp_gt_u32_e64 s[4:5], 8, v5
	v_ffbh_u32_e32 v5, v50
	v_min_u32_e32 v5, 32, v5
	v_subrev_u32_e32 v8, 28, v5
	v_lshlrev_b64 v[8:9], v8, v[50:51]
	v_sub_u32_e32 v5, 29, v5
	v_and_b32_e32 v8, 7, v8
	v_cndmask_b32_e64 v5, v10, v5, s[4:5]
	v_bfrev_b32_e32 v10, 60
	v_cndmask_b32_e64 v8, v50, v8, s[4:5]
	v_lshlrev_b32_e32 v9, 16, v4
	v_lshl_add_u32 v5, v5, 23, v10
	v_and_or_b32 v5, v9, s13, v5
	v_lshlrev_b32_e32 v8, 20, v8
	v_or_b32_e32 v9, v5, v8
	v_mov_b32_e32 v8, v51
.LBB239_949:                            ;   in Loop: Header=BB239_626 Depth=1
	s_or_b64 exec, exec, s[30:31]
.LBB239_950:                            ;   in Loop: Header=BB239_626 Depth=1
	s_or_b64 exec, exec, s[28:29]
.LBB239_951:                            ;   in Loop: Header=BB239_626 Depth=1
	s_or_b64 exec, exec, s[26:27]
	v_lshrrev_b32_e32 v16, 16, v4
	v_pk_mov_b32 v[12:13], 0, 0
	v_cmp_ne_u16_sdwa s[4:5], v16, v51 src0_sel:BYTE_0 src1_sel:DWORD
	v_pk_mov_b32 v[10:11], v[12:13], v[12:13] op_sel:[0,1]
	s_and_saveexec_b64 s[26:27], s[4:5]
	s_cbranch_execz .LBB239_957
; %bb.952:                              ;   in Loop: Header=BB239_626 Depth=1
	v_bfrev_b32_e32 v10, 1
	v_cmp_ne_u16_sdwa s[4:5], v16, s7 src0_sel:BYTE_0 src1_sel:DWORD
	v_mov_b32_e32 v11, 0
	s_and_saveexec_b64 s[28:29], s[4:5]
	s_cbranch_execz .LBB239_956
; %bb.953:                              ;   in Loop: Header=BB239_626 Depth=1
	v_bfe_u32 v5, v4, 16, 7
	v_mov_b32_e32 v10, 0x7f800001
	v_cmp_ne_u32_e64 s[4:5], s15, v5
	v_mov_b32_e32 v11, 0
	s_and_saveexec_b64 s[30:31], s[4:5]
	s_cbranch_execz .LBB239_955
; %bb.954:                              ;   in Loop: Header=BB239_626 Depth=1
	v_and_b32_e32 v17, 7, v16
	v_lshrrev_b32_e32 v18, 3, v5
	v_cmp_gt_u32_e64 s[4:5], 8, v5
	v_ffbh_u32_e32 v5, v17
	v_min_u32_e32 v5, 32, v5
	v_subrev_u32_e32 v10, 28, v5
	v_lshlrev_b64 v[10:11], v10, v[16:17]
	v_sub_u32_e32 v5, 29, v5
	v_and_b32_e32 v10, 7, v10
	v_cndmask_b32_e64 v5, v18, v5, s[4:5]
	v_cndmask_b32_e64 v10, v17, v10, s[4:5]
	v_and_b32_sdwa v11, sext(v16), s13 dst_sel:DWORD dst_unused:UNUSED_PAD src0_sel:BYTE_0 src1_sel:DWORD
	v_bfrev_b32_e32 v16, 60
	v_lshlrev_b32_e32 v10, 20, v10
	v_lshl_add_u32 v5, v5, 23, v16
	v_or3_b32 v50, v11, v5, v10
	v_pk_mov_b32 v[10:11], v[50:51], v[50:51] op_sel:[0,1]
.LBB239_955:                            ;   in Loop: Header=BB239_626 Depth=1
	s_or_b64 exec, exec, s[30:31]
.LBB239_956:                            ;   in Loop: Header=BB239_626 Depth=1
	s_or_b64 exec, exec, s[28:29]
.LBB239_957:                            ;   in Loop: Header=BB239_626 Depth=1
	s_or_b64 exec, exec, s[26:27]
	v_cmp_lt_u32_e64 s[4:5], s34, v4
	s_and_saveexec_b64 s[26:27], s[4:5]
	s_cbranch_execz .LBB239_963
; %bb.958:                              ;   in Loop: Header=BB239_626 Depth=1
	v_cmp_ne_u32_sdwa s[4:5], v4, s7 src0_sel:BYTE_3 src1_sel:DWORD
	v_pk_mov_b32 v[12:13], s[12:13], s[12:13] op_sel:[0,1]
	s_and_saveexec_b64 s[28:29], s[4:5]
	s_cbranch_execz .LBB239_962
; %bb.959:                              ;   in Loop: Header=BB239_626 Depth=1
	v_bfe_u32 v5, v4, 24, 7
	s_mov_b32 s22, s12
	v_cmp_ne_u32_e64 s[4:5], s15, v5
	v_pk_mov_b32 v[12:13], s[22:23], s[22:23] op_sel:[0,1]
	s_and_saveexec_b64 s[30:31], s[4:5]
	s_cbranch_execz .LBB239_961
; %bb.960:                              ;   in Loop: Header=BB239_626 Depth=1
	v_mov_b32_e32 v12, 7
	v_and_b32_sdwa v50, v4, v12 dst_sel:DWORD dst_unused:UNUSED_PAD src0_sel:BYTE_3 src1_sel:DWORD
	v_lshrrev_b32_e32 v16, 3, v5
	v_cmp_gt_u32_e64 s[4:5], 8, v5
	v_ffbh_u32_e32 v5, v50
	v_min_u32_e32 v5, 32, v5
	v_subrev_u32_e32 v12, 28, v5
	v_lshlrev_b64 v[12:13], v12, v[50:51]
	v_sub_u32_e32 v5, 29, v5
	v_mov_b32_e32 v13, 24
	v_and_b32_e32 v12, 7, v12
	v_cndmask_b32_e64 v5, v16, v5, s[4:5]
	v_lshlrev_b32_sdwa v4, v13, v4 dst_sel:DWORD dst_unused:UNUSED_PAD src0_sel:DWORD src1_sel:BYTE_3
	v_bfrev_b32_e32 v13, 60
	v_cndmask_b32_e64 v12, v50, v12, s[4:5]
	v_lshl_add_u32 v5, v5, 23, v13
	v_and_or_b32 v4, v4, s13, v5
	v_lshlrev_b32_e32 v5, 20, v12
	v_or_b32_e32 v13, v4, v5
	v_mov_b32_e32 v12, v51
.LBB239_961:                            ;   in Loop: Header=BB239_626 Depth=1
	s_or_b64 exec, exec, s[30:31]
.LBB239_962:                            ;   in Loop: Header=BB239_626 Depth=1
	s_or_b64 exec, exec, s[28:29]
.LBB239_963:                            ;   in Loop: Header=BB239_626 Depth=1
	s_or_b64 exec, exec, s[26:27]
	v_or_b32_e32 v5, v9, v7
	v_or_b32_e32 v4, v8, v6
	v_pk_mul_f32 v[4:5], v[26:27], v[4:5]
	v_accvgpr_write_b32 a37, v5
	v_accvgpr_write_b32 a36, v4
	v_or_b32_e32 v5, v13, v11
	v_or_b32_e32 v4, v12, v10
	v_pk_mul_f32 v[4:5], v[26:27], v[4:5]
	v_accvgpr_write_b32 a21, v5
	v_accvgpr_write_b32 a20, v4
	s_and_saveexec_b64 s[26:27], vcc
	s_cbranch_execz .LBB239_965
; %bb.964:                              ;   in Loop: Header=BB239_626 Depth=1
	v_accvgpr_read_b32 v4, a57
	v_cmp_lt_i32_e64 s[4:5], v4, v62
	v_accvgpr_read_b32 v6, a36
	v_accvgpr_read_b32 v4, a63
	;; [unrolled: 1-line block ×3, first 2 shown]
	v_cndmask_b32_e64 v6, 0, v6, s[4:5]
	v_cmp_lt_i32_e64 s[4:5], v4, v62
	v_cndmask_b32_e64 v7, 0, v7, s[4:5]
	v_accvgpr_write_b32 a37, v7
	v_accvgpr_read_b32 v4, a61
	v_accvgpr_write_b32 a36, v6
	v_cmp_lt_i32_e64 s[4:5], v4, v62
	v_accvgpr_read_b32 v6, a20
	v_accvgpr_read_b32 v4, a59
	;; [unrolled: 1-line block ×3, first 2 shown]
	v_cndmask_b32_e64 v6, 0, v6, s[4:5]
	v_cmp_lt_i32_e64 s[4:5], v4, v62
	v_cndmask_b32_e64 v7, 0, v7, s[4:5]
	v_accvgpr_write_b32 a21, v7
	v_accvgpr_write_b32 a20, v6
.LBB239_965:                            ;   in Loop: Header=BB239_626 Depth=1
	s_or_b64 exec, exec, s[26:27]
	flat_load_dword v4, v[24:25] offset:3328
	v_pk_mov_b32 v[8:9], 0, 0
	v_pk_mov_b32 v[6:7], v[8:9], v[8:9] op_sel:[0,1]
	s_waitcnt vmcnt(0) lgkmcnt(0)
	v_cmp_ne_u16_sdwa s[4:5], v4, v51 src0_sel:BYTE_0 src1_sel:DWORD
	s_and_saveexec_b64 s[26:27], s[4:5]
	s_cbranch_execz .LBB239_971
; %bb.966:                              ;   in Loop: Header=BB239_626 Depth=1
	v_bfrev_b32_e32 v6, 1
	v_cmp_ne_u16_sdwa s[4:5], v4, s7 src0_sel:BYTE_0 src1_sel:DWORD
	v_mov_b32_e32 v7, 0
	s_and_saveexec_b64 s[28:29], s[4:5]
	s_cbranch_execz .LBB239_970
; %bb.967:                              ;   in Loop: Header=BB239_626 Depth=1
	v_and_b32_e32 v5, 0x7f, v4
	v_mov_b32_e32 v6, 0x7f800001
	v_cmp_ne_u32_e64 s[4:5], s15, v5
	v_mov_b32_e32 v7, 0
	s_and_saveexec_b64 s[30:31], s[4:5]
	s_cbranch_execz .LBB239_969
; %bb.968:                              ;   in Loop: Header=BB239_626 Depth=1
	v_and_b32_e32 v10, 7, v4
	v_lshrrev_b32_e32 v11, 3, v5
	v_cmp_gt_u32_e64 s[4:5], 8, v5
	v_ffbh_u32_e32 v5, v10
	v_min_u32_e32 v5, 32, v5
	v_subrev_u32_e32 v6, 28, v5
	v_lshlrev_b64 v[6:7], v6, v[4:5]
	v_sub_u32_e32 v5, 29, v5
	v_and_b32_e32 v6, 7, v6
	v_cndmask_b32_e64 v5, v11, v5, s[4:5]
	v_cndmask_b32_e64 v6, v10, v6, s[4:5]
	v_bfrev_b32_e32 v10, 60
	v_lshlrev_b32_e32 v6, 20, v6
	v_and_b32_sdwa v7, sext(v4), s13 dst_sel:DWORD dst_unused:UNUSED_PAD src0_sel:BYTE_0 src1_sel:DWORD
	v_lshl_add_u32 v5, v5, 23, v10
	v_or3_b32 v50, v7, v5, v6
	v_pk_mov_b32 v[6:7], v[50:51], v[50:51] op_sel:[0,1]
.LBB239_969:                            ;   in Loop: Header=BB239_626 Depth=1
	s_or_b64 exec, exec, s[30:31]
.LBB239_970:                            ;   in Loop: Header=BB239_626 Depth=1
	s_or_b64 exec, exec, s[28:29]
.LBB239_971:                            ;   in Loop: Header=BB239_626 Depth=1
	s_or_b64 exec, exec, s[26:27]
	v_cmp_ne_u16_sdwa s[4:5], v4, v51 src0_sel:BYTE_1 src1_sel:DWORD
	s_and_saveexec_b64 s[26:27], s[4:5]
	s_cbranch_execz .LBB239_977
; %bb.972:                              ;   in Loop: Header=BB239_626 Depth=1
	v_cmp_ne_u16_sdwa s[4:5], v4, s7 src0_sel:BYTE_1 src1_sel:DWORD
	v_pk_mov_b32 v[8:9], s[12:13], s[12:13] op_sel:[0,1]
	s_and_saveexec_b64 s[28:29], s[4:5]
	s_cbranch_execz .LBB239_976
; %bb.973:                              ;   in Loop: Header=BB239_626 Depth=1
	v_and_b32_sdwa v5, v4, s15 dst_sel:DWORD dst_unused:UNUSED_PAD src0_sel:BYTE_1 src1_sel:DWORD
	s_mov_b32 s22, s12
	v_cmp_ne_u32_e64 s[4:5], s15, v5
	v_pk_mov_b32 v[8:9], s[22:23], s[22:23] op_sel:[0,1]
	s_and_saveexec_b64 s[30:31], s[4:5]
	s_cbranch_execz .LBB239_975
; %bb.974:                              ;   in Loop: Header=BB239_626 Depth=1
	v_mov_b32_e32 v8, 7
	v_and_b32_sdwa v50, v4, v8 dst_sel:DWORD dst_unused:UNUSED_PAD src0_sel:BYTE_1 src1_sel:DWORD
	v_lshrrev_b32_e32 v10, 3, v5
	v_cmp_gt_u32_e64 s[4:5], 8, v5
	v_ffbh_u32_e32 v5, v50
	v_min_u32_e32 v5, 32, v5
	v_subrev_u32_e32 v8, 28, v5
	v_lshlrev_b64 v[8:9], v8, v[50:51]
	v_sub_u32_e32 v5, 29, v5
	v_and_b32_e32 v8, 7, v8
	v_cndmask_b32_e64 v5, v10, v5, s[4:5]
	v_bfrev_b32_e32 v10, 60
	v_cndmask_b32_e64 v8, v50, v8, s[4:5]
	v_lshlrev_b32_e32 v9, 16, v4
	v_lshl_add_u32 v5, v5, 23, v10
	v_and_or_b32 v5, v9, s13, v5
	v_lshlrev_b32_e32 v8, 20, v8
	v_or_b32_e32 v9, v5, v8
	v_mov_b32_e32 v8, v51
.LBB239_975:                            ;   in Loop: Header=BB239_626 Depth=1
	s_or_b64 exec, exec, s[30:31]
.LBB239_976:                            ;   in Loop: Header=BB239_626 Depth=1
	s_or_b64 exec, exec, s[28:29]
.LBB239_977:                            ;   in Loop: Header=BB239_626 Depth=1
	s_or_b64 exec, exec, s[26:27]
	v_lshrrev_b32_e32 v16, 16, v4
	v_pk_mov_b32 v[12:13], 0, 0
	v_cmp_ne_u16_sdwa s[4:5], v16, v51 src0_sel:BYTE_0 src1_sel:DWORD
	v_pk_mov_b32 v[10:11], v[12:13], v[12:13] op_sel:[0,1]
	s_and_saveexec_b64 s[26:27], s[4:5]
	s_cbranch_execz .LBB239_983
; %bb.978:                              ;   in Loop: Header=BB239_626 Depth=1
	v_bfrev_b32_e32 v10, 1
	v_cmp_ne_u16_sdwa s[4:5], v16, s7 src0_sel:BYTE_0 src1_sel:DWORD
	v_mov_b32_e32 v11, 0
	s_and_saveexec_b64 s[28:29], s[4:5]
	s_cbranch_execz .LBB239_982
; %bb.979:                              ;   in Loop: Header=BB239_626 Depth=1
	v_bfe_u32 v5, v4, 16, 7
	v_mov_b32_e32 v10, 0x7f800001
	v_cmp_ne_u32_e64 s[4:5], s15, v5
	v_mov_b32_e32 v11, 0
	s_and_saveexec_b64 s[30:31], s[4:5]
	s_cbranch_execz .LBB239_981
; %bb.980:                              ;   in Loop: Header=BB239_626 Depth=1
	v_and_b32_e32 v17, 7, v16
	v_lshrrev_b32_e32 v18, 3, v5
	v_cmp_gt_u32_e64 s[4:5], 8, v5
	v_ffbh_u32_e32 v5, v17
	v_min_u32_e32 v5, 32, v5
	v_subrev_u32_e32 v10, 28, v5
	v_lshlrev_b64 v[10:11], v10, v[16:17]
	v_sub_u32_e32 v5, 29, v5
	v_and_b32_e32 v10, 7, v10
	v_cndmask_b32_e64 v5, v18, v5, s[4:5]
	v_cndmask_b32_e64 v10, v17, v10, s[4:5]
	v_and_b32_sdwa v11, sext(v16), s13 dst_sel:DWORD dst_unused:UNUSED_PAD src0_sel:BYTE_0 src1_sel:DWORD
	v_bfrev_b32_e32 v16, 60
	v_lshlrev_b32_e32 v10, 20, v10
	v_lshl_add_u32 v5, v5, 23, v16
	v_or3_b32 v50, v11, v5, v10
	v_pk_mov_b32 v[10:11], v[50:51], v[50:51] op_sel:[0,1]
.LBB239_981:                            ;   in Loop: Header=BB239_626 Depth=1
	s_or_b64 exec, exec, s[30:31]
.LBB239_982:                            ;   in Loop: Header=BB239_626 Depth=1
	s_or_b64 exec, exec, s[28:29]
.LBB239_983:                            ;   in Loop: Header=BB239_626 Depth=1
	s_or_b64 exec, exec, s[26:27]
	v_cmp_lt_u32_e64 s[4:5], s34, v4
	s_and_saveexec_b64 s[26:27], s[4:5]
	s_cbranch_execz .LBB239_989
; %bb.984:                              ;   in Loop: Header=BB239_626 Depth=1
	v_cmp_ne_u32_sdwa s[4:5], v4, s7 src0_sel:BYTE_3 src1_sel:DWORD
	v_pk_mov_b32 v[12:13], s[12:13], s[12:13] op_sel:[0,1]
	s_and_saveexec_b64 s[28:29], s[4:5]
	s_cbranch_execz .LBB239_988
; %bb.985:                              ;   in Loop: Header=BB239_626 Depth=1
	v_bfe_u32 v5, v4, 24, 7
	s_mov_b32 s22, s12
	v_cmp_ne_u32_e64 s[4:5], s15, v5
	v_pk_mov_b32 v[12:13], s[22:23], s[22:23] op_sel:[0,1]
	s_and_saveexec_b64 s[30:31], s[4:5]
	s_cbranch_execz .LBB239_987
; %bb.986:                              ;   in Loop: Header=BB239_626 Depth=1
	v_mov_b32_e32 v12, 7
	v_and_b32_sdwa v50, v4, v12 dst_sel:DWORD dst_unused:UNUSED_PAD src0_sel:BYTE_3 src1_sel:DWORD
	v_lshrrev_b32_e32 v16, 3, v5
	v_cmp_gt_u32_e64 s[4:5], 8, v5
	v_ffbh_u32_e32 v5, v50
	v_min_u32_e32 v5, 32, v5
	v_subrev_u32_e32 v12, 28, v5
	v_lshlrev_b64 v[12:13], v12, v[50:51]
	v_sub_u32_e32 v5, 29, v5
	v_mov_b32_e32 v13, 24
	v_and_b32_e32 v12, 7, v12
	v_cndmask_b32_e64 v5, v16, v5, s[4:5]
	v_lshlrev_b32_sdwa v4, v13, v4 dst_sel:DWORD dst_unused:UNUSED_PAD src0_sel:DWORD src1_sel:BYTE_3
	v_bfrev_b32_e32 v13, 60
	v_cndmask_b32_e64 v12, v50, v12, s[4:5]
	v_lshl_add_u32 v5, v5, 23, v13
	v_and_or_b32 v4, v4, s13, v5
	v_lshlrev_b32_e32 v5, 20, v12
	v_or_b32_e32 v13, v4, v5
	v_mov_b32_e32 v12, v51
.LBB239_987:                            ;   in Loop: Header=BB239_626 Depth=1
	s_or_b64 exec, exec, s[30:31]
.LBB239_988:                            ;   in Loop: Header=BB239_626 Depth=1
	s_or_b64 exec, exec, s[28:29]
.LBB239_989:                            ;   in Loop: Header=BB239_626 Depth=1
	s_or_b64 exec, exec, s[26:27]
	v_or_b32_e32 v5, v9, v7
	v_or_b32_e32 v4, v8, v6
	v_pk_mul_f32 v[4:5], v[26:27], v[4:5]
	v_accvgpr_write_b32 a19, v5
	v_accvgpr_write_b32 a18, v4
	v_or_b32_e32 v5, v13, v11
	v_or_b32_e32 v4, v12, v10
	v_pk_mul_f32 v[60:61], v[26:27], v[4:5]
	s_and_saveexec_b64 s[26:27], vcc
	s_cbranch_execz .LBB239_991
; %bb.990:                              ;   in Loop: Header=BB239_626 Depth=1
	v_accvgpr_read_b32 v4, a57
	v_cmp_lt_i32_e64 s[4:5], v4, v62
	v_accvgpr_read_b32 v6, a18
	v_accvgpr_read_b32 v4, a63
	;; [unrolled: 1-line block ×3, first 2 shown]
	v_cndmask_b32_e64 v6, 0, v6, s[4:5]
	v_cmp_lt_i32_e64 s[4:5], v4, v62
	v_accvgpr_read_b32 v4, a61
	v_cndmask_b32_e64 v7, 0, v7, s[4:5]
	v_cmp_lt_i32_e64 s[4:5], v4, v62
	v_accvgpr_read_b32 v4, a59
	v_accvgpr_write_b32 a19, v7
	v_cndmask_b32_e64 v60, 0, v60, s[4:5]
	v_cmp_lt_i32_e64 s[4:5], v4, v62
	v_accvgpr_write_b32 a18, v6
	v_cndmask_b32_e64 v61, 0, v61, s[4:5]
.LBB239_991:                            ;   in Loop: Header=BB239_626 Depth=1
	s_or_b64 exec, exec, s[26:27]
	flat_load_dword v4, v[24:25] offset:3584
	v_pk_mov_b32 v[8:9], 0, 0
	v_pk_mov_b32 v[6:7], v[8:9], v[8:9] op_sel:[0,1]
	s_waitcnt vmcnt(0) lgkmcnt(0)
	v_cmp_ne_u16_sdwa s[4:5], v4, v51 src0_sel:BYTE_0 src1_sel:DWORD
	s_and_saveexec_b64 s[26:27], s[4:5]
	s_cbranch_execz .LBB239_997
; %bb.992:                              ;   in Loop: Header=BB239_626 Depth=1
	v_bfrev_b32_e32 v6, 1
	v_cmp_ne_u16_sdwa s[4:5], v4, s7 src0_sel:BYTE_0 src1_sel:DWORD
	v_mov_b32_e32 v7, 0
	s_and_saveexec_b64 s[28:29], s[4:5]
	s_cbranch_execz .LBB239_996
; %bb.993:                              ;   in Loop: Header=BB239_626 Depth=1
	v_and_b32_e32 v5, 0x7f, v4
	v_mov_b32_e32 v6, 0x7f800001
	v_cmp_ne_u32_e64 s[4:5], s15, v5
	v_mov_b32_e32 v7, 0
	s_and_saveexec_b64 s[30:31], s[4:5]
	s_cbranch_execz .LBB239_995
; %bb.994:                              ;   in Loop: Header=BB239_626 Depth=1
	v_and_b32_e32 v10, 7, v4
	v_lshrrev_b32_e32 v11, 3, v5
	v_cmp_gt_u32_e64 s[4:5], 8, v5
	v_ffbh_u32_e32 v5, v10
	v_min_u32_e32 v5, 32, v5
	v_subrev_u32_e32 v6, 28, v5
	v_lshlrev_b64 v[6:7], v6, v[4:5]
	v_sub_u32_e32 v5, 29, v5
	v_and_b32_e32 v6, 7, v6
	v_cndmask_b32_e64 v5, v11, v5, s[4:5]
	v_cndmask_b32_e64 v6, v10, v6, s[4:5]
	v_bfrev_b32_e32 v10, 60
	v_lshlrev_b32_e32 v6, 20, v6
	v_and_b32_sdwa v7, sext(v4), s13 dst_sel:DWORD dst_unused:UNUSED_PAD src0_sel:BYTE_0 src1_sel:DWORD
	v_lshl_add_u32 v5, v5, 23, v10
	v_or3_b32 v50, v7, v5, v6
	v_pk_mov_b32 v[6:7], v[50:51], v[50:51] op_sel:[0,1]
.LBB239_995:                            ;   in Loop: Header=BB239_626 Depth=1
	s_or_b64 exec, exec, s[30:31]
.LBB239_996:                            ;   in Loop: Header=BB239_626 Depth=1
	s_or_b64 exec, exec, s[28:29]
.LBB239_997:                            ;   in Loop: Header=BB239_626 Depth=1
	s_or_b64 exec, exec, s[26:27]
	v_cmp_ne_u16_sdwa s[4:5], v4, v51 src0_sel:BYTE_1 src1_sel:DWORD
	s_and_saveexec_b64 s[26:27], s[4:5]
	s_cbranch_execz .LBB239_1003
; %bb.998:                              ;   in Loop: Header=BB239_626 Depth=1
	v_cmp_ne_u16_sdwa s[4:5], v4, s7 src0_sel:BYTE_1 src1_sel:DWORD
	v_pk_mov_b32 v[8:9], s[12:13], s[12:13] op_sel:[0,1]
	s_and_saveexec_b64 s[28:29], s[4:5]
	s_cbranch_execz .LBB239_1002
; %bb.999:                              ;   in Loop: Header=BB239_626 Depth=1
	v_and_b32_sdwa v5, v4, s15 dst_sel:DWORD dst_unused:UNUSED_PAD src0_sel:BYTE_1 src1_sel:DWORD
	s_mov_b32 s22, s12
	v_cmp_ne_u32_e64 s[4:5], s15, v5
	v_pk_mov_b32 v[8:9], s[22:23], s[22:23] op_sel:[0,1]
	s_and_saveexec_b64 s[30:31], s[4:5]
	s_cbranch_execz .LBB239_1001
; %bb.1000:                             ;   in Loop: Header=BB239_626 Depth=1
	v_mov_b32_e32 v8, 7
	v_and_b32_sdwa v50, v4, v8 dst_sel:DWORD dst_unused:UNUSED_PAD src0_sel:BYTE_1 src1_sel:DWORD
	v_lshrrev_b32_e32 v10, 3, v5
	v_cmp_gt_u32_e64 s[4:5], 8, v5
	v_ffbh_u32_e32 v5, v50
	v_min_u32_e32 v5, 32, v5
	v_subrev_u32_e32 v8, 28, v5
	v_lshlrev_b64 v[8:9], v8, v[50:51]
	v_sub_u32_e32 v5, 29, v5
	v_and_b32_e32 v8, 7, v8
	v_cndmask_b32_e64 v5, v10, v5, s[4:5]
	v_bfrev_b32_e32 v10, 60
	v_cndmask_b32_e64 v8, v50, v8, s[4:5]
	v_lshlrev_b32_e32 v9, 16, v4
	v_lshl_add_u32 v5, v5, 23, v10
	v_and_or_b32 v5, v9, s13, v5
	v_lshlrev_b32_e32 v8, 20, v8
	v_or_b32_e32 v9, v5, v8
	v_mov_b32_e32 v8, v51
.LBB239_1001:                           ;   in Loop: Header=BB239_626 Depth=1
	s_or_b64 exec, exec, s[30:31]
.LBB239_1002:                           ;   in Loop: Header=BB239_626 Depth=1
	s_or_b64 exec, exec, s[28:29]
.LBB239_1003:                           ;   in Loop: Header=BB239_626 Depth=1
	s_or_b64 exec, exec, s[26:27]
	v_lshrrev_b32_e32 v16, 16, v4
	v_pk_mov_b32 v[12:13], 0, 0
	v_cmp_ne_u16_sdwa s[4:5], v16, v51 src0_sel:BYTE_0 src1_sel:DWORD
	v_pk_mov_b32 v[10:11], v[12:13], v[12:13] op_sel:[0,1]
	s_and_saveexec_b64 s[26:27], s[4:5]
	s_cbranch_execz .LBB239_1009
; %bb.1004:                             ;   in Loop: Header=BB239_626 Depth=1
	v_bfrev_b32_e32 v10, 1
	v_cmp_ne_u16_sdwa s[4:5], v16, s7 src0_sel:BYTE_0 src1_sel:DWORD
	v_mov_b32_e32 v11, 0
	s_and_saveexec_b64 s[28:29], s[4:5]
	s_cbranch_execz .LBB239_1008
; %bb.1005:                             ;   in Loop: Header=BB239_626 Depth=1
	v_bfe_u32 v5, v4, 16, 7
	v_mov_b32_e32 v10, 0x7f800001
	v_cmp_ne_u32_e64 s[4:5], s15, v5
	v_mov_b32_e32 v11, 0
	s_and_saveexec_b64 s[30:31], s[4:5]
	s_cbranch_execz .LBB239_1007
; %bb.1006:                             ;   in Loop: Header=BB239_626 Depth=1
	v_and_b32_e32 v17, 7, v16
	v_lshrrev_b32_e32 v18, 3, v5
	v_cmp_gt_u32_e64 s[4:5], 8, v5
	v_ffbh_u32_e32 v5, v17
	v_min_u32_e32 v5, 32, v5
	v_subrev_u32_e32 v10, 28, v5
	v_lshlrev_b64 v[10:11], v10, v[16:17]
	v_sub_u32_e32 v5, 29, v5
	v_and_b32_e32 v10, 7, v10
	v_cndmask_b32_e64 v5, v18, v5, s[4:5]
	v_cndmask_b32_e64 v10, v17, v10, s[4:5]
	v_and_b32_sdwa v11, sext(v16), s13 dst_sel:DWORD dst_unused:UNUSED_PAD src0_sel:BYTE_0 src1_sel:DWORD
	v_bfrev_b32_e32 v16, 60
	v_lshlrev_b32_e32 v10, 20, v10
	v_lshl_add_u32 v5, v5, 23, v16
	v_or3_b32 v50, v11, v5, v10
	v_pk_mov_b32 v[10:11], v[50:51], v[50:51] op_sel:[0,1]
.LBB239_1007:                           ;   in Loop: Header=BB239_626 Depth=1
	s_or_b64 exec, exec, s[30:31]
.LBB239_1008:                           ;   in Loop: Header=BB239_626 Depth=1
	s_or_b64 exec, exec, s[28:29]
.LBB239_1009:                           ;   in Loop: Header=BB239_626 Depth=1
	s_or_b64 exec, exec, s[26:27]
	v_cmp_lt_u32_e64 s[4:5], s34, v4
	s_and_saveexec_b64 s[26:27], s[4:5]
	s_cbranch_execz .LBB239_1015
; %bb.1010:                             ;   in Loop: Header=BB239_626 Depth=1
	v_cmp_ne_u32_sdwa s[4:5], v4, s7 src0_sel:BYTE_3 src1_sel:DWORD
	v_pk_mov_b32 v[12:13], s[12:13], s[12:13] op_sel:[0,1]
	s_and_saveexec_b64 s[28:29], s[4:5]
	s_cbranch_execz .LBB239_1014
; %bb.1011:                             ;   in Loop: Header=BB239_626 Depth=1
	v_bfe_u32 v5, v4, 24, 7
	s_mov_b32 s22, s12
	v_cmp_ne_u32_e64 s[4:5], s15, v5
	v_pk_mov_b32 v[12:13], s[22:23], s[22:23] op_sel:[0,1]
	s_and_saveexec_b64 s[30:31], s[4:5]
	s_cbranch_execz .LBB239_1013
; %bb.1012:                             ;   in Loop: Header=BB239_626 Depth=1
	v_mov_b32_e32 v12, 7
	v_and_b32_sdwa v50, v4, v12 dst_sel:DWORD dst_unused:UNUSED_PAD src0_sel:BYTE_3 src1_sel:DWORD
	v_lshrrev_b32_e32 v16, 3, v5
	v_cmp_gt_u32_e64 s[4:5], 8, v5
	v_ffbh_u32_e32 v5, v50
	v_min_u32_e32 v5, 32, v5
	v_subrev_u32_e32 v12, 28, v5
	v_lshlrev_b64 v[12:13], v12, v[50:51]
	v_sub_u32_e32 v5, 29, v5
	v_mov_b32_e32 v13, 24
	v_and_b32_e32 v12, 7, v12
	v_cndmask_b32_e64 v5, v16, v5, s[4:5]
	v_lshlrev_b32_sdwa v4, v13, v4 dst_sel:DWORD dst_unused:UNUSED_PAD src0_sel:DWORD src1_sel:BYTE_3
	v_bfrev_b32_e32 v13, 60
	v_cndmask_b32_e64 v12, v50, v12, s[4:5]
	v_lshl_add_u32 v5, v5, 23, v13
	v_and_or_b32 v4, v4, s13, v5
	v_lshlrev_b32_e32 v5, 20, v12
	v_or_b32_e32 v13, v4, v5
	v_mov_b32_e32 v12, v51
.LBB239_1013:                           ;   in Loop: Header=BB239_626 Depth=1
	s_or_b64 exec, exec, s[30:31]
.LBB239_1014:                           ;   in Loop: Header=BB239_626 Depth=1
	s_or_b64 exec, exec, s[28:29]
.LBB239_1015:                           ;   in Loop: Header=BB239_626 Depth=1
	s_or_b64 exec, exec, s[26:27]
	v_or_b32_e32 v5, v9, v7
	v_or_b32_e32 v4, v8, v6
	v_pk_mul_f32 v[24:25], v[26:27], v[4:5]
	v_or_b32_e32 v5, v13, v11
	v_or_b32_e32 v4, v12, v10
	v_pk_mul_f32 v[10:11], v[26:27], v[4:5]
	s_and_saveexec_b64 s[26:27], vcc
	s_cbranch_execz .LBB239_1017
; %bb.1016:                             ;   in Loop: Header=BB239_626 Depth=1
	v_accvgpr_read_b32 v4, a57
	v_cmp_lt_i32_e64 s[4:5], v4, v62
	v_accvgpr_read_b32 v4, a63
	v_cndmask_b32_e64 v24, 0, v24, s[4:5]
	v_cmp_lt_i32_e64 s[4:5], v4, v62
	v_accvgpr_read_b32 v4, a61
	v_cndmask_b32_e64 v25, 0, v25, s[4:5]
	;; [unrolled: 3-line block ×3, first 2 shown]
	v_cmp_lt_i32_e64 s[4:5], v4, v62
	v_cndmask_b32_e64 v11, 0, v11, s[4:5]
.LBB239_1017:                           ;   in Loop: Header=BB239_626 Depth=1
	s_or_b64 exec, exec, s[26:27]
	buffer_load_dword v4, off, s[0:3], s32 offset:352 ; 4-byte Folded Reload
	buffer_load_dword v5, off, s[0:3], s32 offset:356 ; 4-byte Folded Reload
	v_pk_mov_b32 v[8:9], 0, 0
	v_pk_mov_b32 v[6:7], v[8:9], v[8:9] op_sel:[0,1]
	s_waitcnt vmcnt(1)
	v_add_co_u32_e64 v4, s[4:5], v52, v4
	s_waitcnt vmcnt(0)
	v_addc_co_u32_e64 v5, s[4:5], 0, v53, s[4:5]
	flat_load_dword v4, v[4:5]
	s_waitcnt vmcnt(0) lgkmcnt(0)
	v_cmp_ne_u16_sdwa s[4:5], v4, v51 src0_sel:BYTE_0 src1_sel:DWORD
	s_and_saveexec_b64 s[26:27], s[4:5]
	s_cbranch_execz .LBB239_1023
; %bb.1018:                             ;   in Loop: Header=BB239_626 Depth=1
	v_bfrev_b32_e32 v6, 1
	v_cmp_ne_u16_sdwa s[4:5], v4, s7 src0_sel:BYTE_0 src1_sel:DWORD
	v_mov_b32_e32 v7, 0
	s_and_saveexec_b64 s[28:29], s[4:5]
	s_cbranch_execz .LBB239_1022
; %bb.1019:                             ;   in Loop: Header=BB239_626 Depth=1
	v_and_b32_e32 v5, 0x7f, v4
	v_mov_b32_e32 v6, 0x7f800001
	v_cmp_ne_u32_e64 s[4:5], s15, v5
	v_mov_b32_e32 v7, 0
	s_and_saveexec_b64 s[30:31], s[4:5]
	s_cbranch_execz .LBB239_1021
; %bb.1020:                             ;   in Loop: Header=BB239_626 Depth=1
	v_and_b32_e32 v12, 7, v4
	v_lshrrev_b32_e32 v13, 3, v5
	v_cmp_gt_u32_e64 s[4:5], 8, v5
	v_ffbh_u32_e32 v5, v12
	v_min_u32_e32 v5, 32, v5
	v_subrev_u32_e32 v6, 28, v5
	v_lshlrev_b64 v[6:7], v6, v[4:5]
	v_sub_u32_e32 v5, 29, v5
	v_and_b32_e32 v6, 7, v6
	v_cndmask_b32_e64 v5, v13, v5, s[4:5]
	v_cndmask_b32_e64 v6, v12, v6, s[4:5]
	v_bfrev_b32_e32 v12, 60
	v_lshlrev_b32_e32 v6, 20, v6
	v_and_b32_sdwa v7, sext(v4), s13 dst_sel:DWORD dst_unused:UNUSED_PAD src0_sel:BYTE_0 src1_sel:DWORD
	v_lshl_add_u32 v5, v5, 23, v12
	v_or3_b32 v50, v7, v5, v6
	v_pk_mov_b32 v[6:7], v[50:51], v[50:51] op_sel:[0,1]
.LBB239_1021:                           ;   in Loop: Header=BB239_626 Depth=1
	s_or_b64 exec, exec, s[30:31]
.LBB239_1022:                           ;   in Loop: Header=BB239_626 Depth=1
	s_or_b64 exec, exec, s[28:29]
.LBB239_1023:                           ;   in Loop: Header=BB239_626 Depth=1
	s_or_b64 exec, exec, s[26:27]
	v_cmp_ne_u16_sdwa s[4:5], v4, v51 src0_sel:BYTE_1 src1_sel:DWORD
	s_and_saveexec_b64 s[26:27], s[4:5]
	s_cbranch_execz .LBB239_1029
; %bb.1024:                             ;   in Loop: Header=BB239_626 Depth=1
	v_cmp_ne_u16_sdwa s[4:5], v4, s7 src0_sel:BYTE_1 src1_sel:DWORD
	v_pk_mov_b32 v[8:9], s[12:13], s[12:13] op_sel:[0,1]
	s_and_saveexec_b64 s[28:29], s[4:5]
	s_cbranch_execz .LBB239_1028
; %bb.1025:                             ;   in Loop: Header=BB239_626 Depth=1
	v_and_b32_sdwa v5, v4, s15 dst_sel:DWORD dst_unused:UNUSED_PAD src0_sel:BYTE_1 src1_sel:DWORD
	s_mov_b32 s22, s12
	v_cmp_ne_u32_e64 s[4:5], s15, v5
	v_pk_mov_b32 v[8:9], s[22:23], s[22:23] op_sel:[0,1]
	s_and_saveexec_b64 s[30:31], s[4:5]
	s_cbranch_execz .LBB239_1027
; %bb.1026:                             ;   in Loop: Header=BB239_626 Depth=1
	v_mov_b32_e32 v8, 7
	v_and_b32_sdwa v50, v4, v8 dst_sel:DWORD dst_unused:UNUSED_PAD src0_sel:BYTE_1 src1_sel:DWORD
	v_lshrrev_b32_e32 v12, 3, v5
	v_cmp_gt_u32_e64 s[4:5], 8, v5
	v_ffbh_u32_e32 v5, v50
	v_min_u32_e32 v5, 32, v5
	v_subrev_u32_e32 v8, 28, v5
	v_lshlrev_b64 v[8:9], v8, v[50:51]
	v_sub_u32_e32 v5, 29, v5
	v_and_b32_e32 v8, 7, v8
	v_cndmask_b32_e64 v5, v12, v5, s[4:5]
	v_bfrev_b32_e32 v12, 60
	v_cndmask_b32_e64 v8, v50, v8, s[4:5]
	v_lshlrev_b32_e32 v9, 16, v4
	v_lshl_add_u32 v5, v5, 23, v12
	v_and_or_b32 v5, v9, s13, v5
	v_lshlrev_b32_e32 v8, 20, v8
	v_or_b32_e32 v9, v5, v8
	v_mov_b32_e32 v8, v51
.LBB239_1027:                           ;   in Loop: Header=BB239_626 Depth=1
	s_or_b64 exec, exec, s[30:31]
.LBB239_1028:                           ;   in Loop: Header=BB239_626 Depth=1
	s_or_b64 exec, exec, s[28:29]
.LBB239_1029:                           ;   in Loop: Header=BB239_626 Depth=1
	s_or_b64 exec, exec, s[26:27]
	v_lshrrev_b32_e32 v18, 16, v4
	v_pk_mov_b32 v[16:17], 0, 0
	v_cmp_ne_u16_sdwa s[4:5], v18, v51 src0_sel:BYTE_0 src1_sel:DWORD
	v_pk_mov_b32 v[12:13], v[16:17], v[16:17] op_sel:[0,1]
	s_and_saveexec_b64 s[26:27], s[4:5]
	s_cbranch_execz .LBB239_1035
; %bb.1030:                             ;   in Loop: Header=BB239_626 Depth=1
	v_bfrev_b32_e32 v12, 1
	v_cmp_ne_u16_sdwa s[4:5], v18, s7 src0_sel:BYTE_0 src1_sel:DWORD
	v_mov_b32_e32 v13, 0
	s_and_saveexec_b64 s[28:29], s[4:5]
	s_cbranch_execz .LBB239_1034
; %bb.1031:                             ;   in Loop: Header=BB239_626 Depth=1
	v_bfe_u32 v5, v4, 16, 7
	v_mov_b32_e32 v12, 0x7f800001
	v_cmp_ne_u32_e64 s[4:5], s15, v5
	v_mov_b32_e32 v13, 0
	s_and_saveexec_b64 s[30:31], s[4:5]
	s_cbranch_execz .LBB239_1033
; %bb.1032:                             ;   in Loop: Header=BB239_626 Depth=1
	v_and_b32_e32 v19, 7, v18
	v_lshrrev_b32_e32 v20, 3, v5
	v_cmp_gt_u32_e64 s[4:5], 8, v5
	v_ffbh_u32_e32 v5, v19
	v_min_u32_e32 v5, 32, v5
	v_subrev_u32_e32 v12, 28, v5
	v_lshlrev_b64 v[12:13], v12, v[18:19]
	v_sub_u32_e32 v5, 29, v5
	v_and_b32_e32 v12, 7, v12
	v_cndmask_b32_e64 v5, v20, v5, s[4:5]
	v_cndmask_b32_e64 v12, v19, v12, s[4:5]
	v_and_b32_sdwa v13, sext(v18), s13 dst_sel:DWORD dst_unused:UNUSED_PAD src0_sel:BYTE_0 src1_sel:DWORD
	v_bfrev_b32_e32 v18, 60
	v_lshlrev_b32_e32 v12, 20, v12
	v_lshl_add_u32 v5, v5, 23, v18
	v_or3_b32 v50, v13, v5, v12
	v_pk_mov_b32 v[12:13], v[50:51], v[50:51] op_sel:[0,1]
.LBB239_1033:                           ;   in Loop: Header=BB239_626 Depth=1
	s_or_b64 exec, exec, s[30:31]
.LBB239_1034:                           ;   in Loop: Header=BB239_626 Depth=1
	s_or_b64 exec, exec, s[28:29]
.LBB239_1035:                           ;   in Loop: Header=BB239_626 Depth=1
	s_or_b64 exec, exec, s[26:27]
	v_cmp_lt_u32_e64 s[4:5], s34, v4
	s_and_saveexec_b64 s[26:27], s[4:5]
	s_cbranch_execz .LBB239_1041
; %bb.1036:                             ;   in Loop: Header=BB239_626 Depth=1
	v_cmp_ne_u32_sdwa s[4:5], v4, s7 src0_sel:BYTE_3 src1_sel:DWORD
	v_pk_mov_b32 v[16:17], s[12:13], s[12:13] op_sel:[0,1]
	s_and_saveexec_b64 s[28:29], s[4:5]
	s_cbranch_execz .LBB239_1040
; %bb.1037:                             ;   in Loop: Header=BB239_626 Depth=1
	v_bfe_u32 v5, v4, 24, 7
	s_mov_b32 s22, s12
	v_cmp_ne_u32_e64 s[4:5], s15, v5
	v_pk_mov_b32 v[16:17], s[22:23], s[22:23] op_sel:[0,1]
	s_and_saveexec_b64 s[30:31], s[4:5]
	s_cbranch_execz .LBB239_1039
; %bb.1038:                             ;   in Loop: Header=BB239_626 Depth=1
	v_mov_b32_e32 v16, 7
	v_and_b32_sdwa v50, v4, v16 dst_sel:DWORD dst_unused:UNUSED_PAD src0_sel:BYTE_3 src1_sel:DWORD
	v_lshrrev_b32_e32 v18, 3, v5
	v_cmp_gt_u32_e64 s[4:5], 8, v5
	v_ffbh_u32_e32 v5, v50
	v_min_u32_e32 v5, 32, v5
	v_subrev_u32_e32 v16, 28, v5
	v_lshlrev_b64 v[16:17], v16, v[50:51]
	v_sub_u32_e32 v5, 29, v5
	v_mov_b32_e32 v17, 24
	v_and_b32_e32 v16, 7, v16
	v_cndmask_b32_e64 v5, v18, v5, s[4:5]
	v_lshlrev_b32_sdwa v4, v17, v4 dst_sel:DWORD dst_unused:UNUSED_PAD src0_sel:DWORD src1_sel:BYTE_3
	v_bfrev_b32_e32 v17, 60
	v_cndmask_b32_e64 v16, v50, v16, s[4:5]
	v_lshl_add_u32 v5, v5, 23, v17
	v_and_or_b32 v4, v4, s13, v5
	v_lshlrev_b32_e32 v5, 20, v16
	v_or_b32_e32 v17, v4, v5
	v_mov_b32_e32 v16, v51
.LBB239_1039:                           ;   in Loop: Header=BB239_626 Depth=1
	s_or_b64 exec, exec, s[30:31]
.LBB239_1040:                           ;   in Loop: Header=BB239_626 Depth=1
	s_or_b64 exec, exec, s[28:29]
.LBB239_1041:                           ;   in Loop: Header=BB239_626 Depth=1
	s_or_b64 exec, exec, s[26:27]
	v_or_b32_e32 v5, v9, v7
	v_or_b32_e32 v4, v8, v6
	v_pk_mul_f32 v[42:43], v[26:27], v[4:5]
	v_or_b32_e32 v5, v17, v13
	v_or_b32_e32 v4, v16, v12
	v_pk_mul_f32 v[44:45], v[26:27], v[4:5]
	s_and_saveexec_b64 s[26:27], vcc
	s_cbranch_execz .LBB239_1043
; %bb.1042:                             ;   in Loop: Header=BB239_626 Depth=1
	v_accvgpr_read_b32 v4, a57
	v_cmp_lt_i32_e64 s[4:5], v4, v62
	v_accvgpr_read_b32 v4, a63
	v_cndmask_b32_e64 v42, 0, v42, s[4:5]
	v_cmp_lt_i32_e64 s[4:5], v4, v62
	v_accvgpr_read_b32 v4, a61
	v_cndmask_b32_e64 v43, 0, v43, s[4:5]
	;; [unrolled: 3-line block ×3, first 2 shown]
	v_cmp_lt_i32_e64 s[4:5], v4, v62
	v_cndmask_b32_e64 v45, 0, v45, s[4:5]
.LBB239_1043:                           ;   in Loop: Header=BB239_626 Depth=1
	s_or_b64 exec, exec, s[26:27]
	buffer_load_dword v4, off, s[0:3], s32 offset:360 ; 4-byte Folded Reload
	buffer_load_dword v5, off, s[0:3], s32 offset:364 ; 4-byte Folded Reload
	v_pk_mov_b32 v[8:9], 0, 0
	v_pk_mov_b32 v[6:7], v[8:9], v[8:9] op_sel:[0,1]
	s_waitcnt vmcnt(1)
	v_add_co_u32_e64 v4, s[4:5], v52, v4
	s_waitcnt vmcnt(0)
	v_addc_co_u32_e64 v5, s[4:5], 0, v53, s[4:5]
	flat_load_dword v4, v[4:5]
	s_waitcnt vmcnt(0) lgkmcnt(0)
	v_cmp_ne_u16_sdwa s[4:5], v4, v51 src0_sel:BYTE_0 src1_sel:DWORD
	s_and_saveexec_b64 s[26:27], s[4:5]
	s_cbranch_execz .LBB239_1049
; %bb.1044:                             ;   in Loop: Header=BB239_626 Depth=1
	v_bfrev_b32_e32 v6, 1
	v_cmp_ne_u16_sdwa s[4:5], v4, s7 src0_sel:BYTE_0 src1_sel:DWORD
	v_mov_b32_e32 v7, 0
	s_and_saveexec_b64 s[28:29], s[4:5]
	s_cbranch_execz .LBB239_1048
; %bb.1045:                             ;   in Loop: Header=BB239_626 Depth=1
	v_and_b32_e32 v5, 0x7f, v4
	v_mov_b32_e32 v6, 0x7f800001
	v_cmp_ne_u32_e64 s[4:5], s15, v5
	v_mov_b32_e32 v7, 0
	s_and_saveexec_b64 s[30:31], s[4:5]
	s_cbranch_execz .LBB239_1047
; %bb.1046:                             ;   in Loop: Header=BB239_626 Depth=1
	v_and_b32_e32 v12, 7, v4
	v_lshrrev_b32_e32 v13, 3, v5
	v_cmp_gt_u32_e64 s[4:5], 8, v5
	v_ffbh_u32_e32 v5, v12
	v_min_u32_e32 v5, 32, v5
	v_subrev_u32_e32 v6, 28, v5
	v_lshlrev_b64 v[6:7], v6, v[4:5]
	v_sub_u32_e32 v5, 29, v5
	v_and_b32_e32 v6, 7, v6
	v_cndmask_b32_e64 v5, v13, v5, s[4:5]
	v_cndmask_b32_e64 v6, v12, v6, s[4:5]
	v_bfrev_b32_e32 v12, 60
	v_lshlrev_b32_e32 v6, 20, v6
	v_and_b32_sdwa v7, sext(v4), s13 dst_sel:DWORD dst_unused:UNUSED_PAD src0_sel:BYTE_0 src1_sel:DWORD
	v_lshl_add_u32 v5, v5, 23, v12
	v_or3_b32 v50, v7, v5, v6
	v_pk_mov_b32 v[6:7], v[50:51], v[50:51] op_sel:[0,1]
.LBB239_1047:                           ;   in Loop: Header=BB239_626 Depth=1
	s_or_b64 exec, exec, s[30:31]
.LBB239_1048:                           ;   in Loop: Header=BB239_626 Depth=1
	s_or_b64 exec, exec, s[28:29]
.LBB239_1049:                           ;   in Loop: Header=BB239_626 Depth=1
	s_or_b64 exec, exec, s[26:27]
	v_cmp_ne_u16_sdwa s[4:5], v4, v51 src0_sel:BYTE_1 src1_sel:DWORD
	s_and_saveexec_b64 s[26:27], s[4:5]
	s_cbranch_execz .LBB239_1055
; %bb.1050:                             ;   in Loop: Header=BB239_626 Depth=1
	v_cmp_ne_u16_sdwa s[4:5], v4, s7 src0_sel:BYTE_1 src1_sel:DWORD
	v_pk_mov_b32 v[8:9], s[12:13], s[12:13] op_sel:[0,1]
	s_and_saveexec_b64 s[28:29], s[4:5]
	s_cbranch_execz .LBB239_1054
; %bb.1051:                             ;   in Loop: Header=BB239_626 Depth=1
	v_and_b32_sdwa v5, v4, s15 dst_sel:DWORD dst_unused:UNUSED_PAD src0_sel:BYTE_1 src1_sel:DWORD
	s_mov_b32 s22, s12
	v_cmp_ne_u32_e64 s[4:5], s15, v5
	v_pk_mov_b32 v[8:9], s[22:23], s[22:23] op_sel:[0,1]
	s_and_saveexec_b64 s[30:31], s[4:5]
	s_cbranch_execz .LBB239_1053
; %bb.1052:                             ;   in Loop: Header=BB239_626 Depth=1
	v_mov_b32_e32 v8, 7
	v_and_b32_sdwa v50, v4, v8 dst_sel:DWORD dst_unused:UNUSED_PAD src0_sel:BYTE_1 src1_sel:DWORD
	v_lshrrev_b32_e32 v12, 3, v5
	v_cmp_gt_u32_e64 s[4:5], 8, v5
	v_ffbh_u32_e32 v5, v50
	v_min_u32_e32 v5, 32, v5
	v_subrev_u32_e32 v8, 28, v5
	v_lshlrev_b64 v[8:9], v8, v[50:51]
	v_sub_u32_e32 v5, 29, v5
	v_and_b32_e32 v8, 7, v8
	v_cndmask_b32_e64 v5, v12, v5, s[4:5]
	v_bfrev_b32_e32 v12, 60
	v_cndmask_b32_e64 v8, v50, v8, s[4:5]
	v_lshlrev_b32_e32 v9, 16, v4
	v_lshl_add_u32 v5, v5, 23, v12
	v_and_or_b32 v5, v9, s13, v5
	v_lshlrev_b32_e32 v8, 20, v8
	v_or_b32_e32 v9, v5, v8
	v_mov_b32_e32 v8, v51
.LBB239_1053:                           ;   in Loop: Header=BB239_626 Depth=1
	s_or_b64 exec, exec, s[30:31]
.LBB239_1054:                           ;   in Loop: Header=BB239_626 Depth=1
	s_or_b64 exec, exec, s[28:29]
.LBB239_1055:                           ;   in Loop: Header=BB239_626 Depth=1
	s_or_b64 exec, exec, s[26:27]
	v_lshrrev_b32_e32 v18, 16, v4
	v_pk_mov_b32 v[16:17], 0, 0
	v_cmp_ne_u16_sdwa s[4:5], v18, v51 src0_sel:BYTE_0 src1_sel:DWORD
	v_pk_mov_b32 v[12:13], v[16:17], v[16:17] op_sel:[0,1]
	s_and_saveexec_b64 s[26:27], s[4:5]
	s_cbranch_execz .LBB239_1061
; %bb.1056:                             ;   in Loop: Header=BB239_626 Depth=1
	v_bfrev_b32_e32 v12, 1
	v_cmp_ne_u16_sdwa s[4:5], v18, s7 src0_sel:BYTE_0 src1_sel:DWORD
	v_mov_b32_e32 v13, 0
	s_and_saveexec_b64 s[28:29], s[4:5]
	s_cbranch_execz .LBB239_1060
; %bb.1057:                             ;   in Loop: Header=BB239_626 Depth=1
	v_bfe_u32 v5, v4, 16, 7
	v_mov_b32_e32 v12, 0x7f800001
	v_cmp_ne_u32_e64 s[4:5], s15, v5
	v_mov_b32_e32 v13, 0
	s_and_saveexec_b64 s[30:31], s[4:5]
	s_cbranch_execz .LBB239_1059
; %bb.1058:                             ;   in Loop: Header=BB239_626 Depth=1
	v_and_b32_e32 v19, 7, v18
	v_lshrrev_b32_e32 v20, 3, v5
	v_cmp_gt_u32_e64 s[4:5], 8, v5
	v_ffbh_u32_e32 v5, v19
	v_min_u32_e32 v5, 32, v5
	v_subrev_u32_e32 v12, 28, v5
	v_lshlrev_b64 v[12:13], v12, v[18:19]
	v_sub_u32_e32 v5, 29, v5
	v_and_b32_e32 v12, 7, v12
	v_cndmask_b32_e64 v5, v20, v5, s[4:5]
	v_cndmask_b32_e64 v12, v19, v12, s[4:5]
	v_and_b32_sdwa v13, sext(v18), s13 dst_sel:DWORD dst_unused:UNUSED_PAD src0_sel:BYTE_0 src1_sel:DWORD
	v_bfrev_b32_e32 v18, 60
	v_lshlrev_b32_e32 v12, 20, v12
	v_lshl_add_u32 v5, v5, 23, v18
	v_or3_b32 v50, v13, v5, v12
	v_pk_mov_b32 v[12:13], v[50:51], v[50:51] op_sel:[0,1]
.LBB239_1059:                           ;   in Loop: Header=BB239_626 Depth=1
	s_or_b64 exec, exec, s[30:31]
.LBB239_1060:                           ;   in Loop: Header=BB239_626 Depth=1
	s_or_b64 exec, exec, s[28:29]
.LBB239_1061:                           ;   in Loop: Header=BB239_626 Depth=1
	s_or_b64 exec, exec, s[26:27]
	v_cmp_lt_u32_e64 s[4:5], s34, v4
	s_and_saveexec_b64 s[26:27], s[4:5]
	s_cbranch_execz .LBB239_1067
; %bb.1062:                             ;   in Loop: Header=BB239_626 Depth=1
	v_cmp_ne_u32_sdwa s[4:5], v4, s7 src0_sel:BYTE_3 src1_sel:DWORD
	v_pk_mov_b32 v[16:17], s[12:13], s[12:13] op_sel:[0,1]
	s_and_saveexec_b64 s[28:29], s[4:5]
	s_cbranch_execz .LBB239_1066
; %bb.1063:                             ;   in Loop: Header=BB239_626 Depth=1
	v_bfe_u32 v5, v4, 24, 7
	s_mov_b32 s22, s12
	v_cmp_ne_u32_e64 s[4:5], s15, v5
	v_pk_mov_b32 v[16:17], s[22:23], s[22:23] op_sel:[0,1]
	s_and_saveexec_b64 s[30:31], s[4:5]
	s_cbranch_execz .LBB239_1065
; %bb.1064:                             ;   in Loop: Header=BB239_626 Depth=1
	v_mov_b32_e32 v16, 7
	v_and_b32_sdwa v50, v4, v16 dst_sel:DWORD dst_unused:UNUSED_PAD src0_sel:BYTE_3 src1_sel:DWORD
	v_lshrrev_b32_e32 v18, 3, v5
	v_cmp_gt_u32_e64 s[4:5], 8, v5
	v_ffbh_u32_e32 v5, v50
	v_min_u32_e32 v5, 32, v5
	v_subrev_u32_e32 v16, 28, v5
	v_lshlrev_b64 v[16:17], v16, v[50:51]
	v_sub_u32_e32 v5, 29, v5
	v_mov_b32_e32 v17, 24
	v_and_b32_e32 v16, 7, v16
	v_cndmask_b32_e64 v5, v18, v5, s[4:5]
	v_lshlrev_b32_sdwa v4, v17, v4 dst_sel:DWORD dst_unused:UNUSED_PAD src0_sel:DWORD src1_sel:BYTE_3
	v_bfrev_b32_e32 v17, 60
	v_cndmask_b32_e64 v16, v50, v16, s[4:5]
	v_lshl_add_u32 v5, v5, 23, v17
	v_and_or_b32 v4, v4, s13, v5
	v_lshlrev_b32_e32 v5, 20, v16
	v_or_b32_e32 v17, v4, v5
	v_mov_b32_e32 v16, v51
.LBB239_1065:                           ;   in Loop: Header=BB239_626 Depth=1
	s_or_b64 exec, exec, s[30:31]
.LBB239_1066:                           ;   in Loop: Header=BB239_626 Depth=1
	s_or_b64 exec, exec, s[28:29]
.LBB239_1067:                           ;   in Loop: Header=BB239_626 Depth=1
	s_or_b64 exec, exec, s[26:27]
	v_or_b32_e32 v5, v9, v7
	v_or_b32_e32 v4, v8, v6
	v_pk_mul_f32 v[46:47], v[26:27], v[4:5]
	v_or_b32_e32 v5, v17, v13
	v_or_b32_e32 v4, v16, v12
	v_pk_mul_f32 v[58:59], v[26:27], v[4:5]
	s_and_saveexec_b64 s[26:27], vcc
	s_cbranch_execz .LBB239_1069
; %bb.1068:                             ;   in Loop: Header=BB239_626 Depth=1
	v_accvgpr_read_b32 v4, a57
	v_cmp_lt_i32_e64 s[4:5], v4, v62
	v_accvgpr_read_b32 v4, a63
	v_cndmask_b32_e64 v46, 0, v46, s[4:5]
	v_cmp_lt_i32_e64 s[4:5], v4, v62
	v_accvgpr_read_b32 v4, a61
	v_cndmask_b32_e64 v47, 0, v47, s[4:5]
	;; [unrolled: 3-line block ×3, first 2 shown]
	v_cmp_lt_i32_e64 s[4:5], v4, v62
	v_cndmask_b32_e64 v59, 0, v59, s[4:5]
.LBB239_1069:                           ;   in Loop: Header=BB239_626 Depth=1
	s_or_b64 exec, exec, s[26:27]
	buffer_load_dword v4, off, s[0:3], s32 offset:368 ; 4-byte Folded Reload
	buffer_load_dword v5, off, s[0:3], s32 offset:372 ; 4-byte Folded Reload
	v_pk_mov_b32 v[8:9], 0, 0
	v_pk_mov_b32 v[6:7], v[8:9], v[8:9] op_sel:[0,1]
	s_waitcnt vmcnt(1)
	v_add_co_u32_e64 v4, s[4:5], v52, v4
	s_waitcnt vmcnt(0)
	v_addc_co_u32_e64 v5, s[4:5], 0, v53, s[4:5]
	flat_load_dword v4, v[4:5]
	s_waitcnt vmcnt(0) lgkmcnt(0)
	v_cmp_ne_u16_sdwa s[4:5], v4, v51 src0_sel:BYTE_0 src1_sel:DWORD
	s_and_saveexec_b64 s[26:27], s[4:5]
	s_cbranch_execz .LBB239_1075
; %bb.1070:                             ;   in Loop: Header=BB239_626 Depth=1
	v_bfrev_b32_e32 v6, 1
	v_cmp_ne_u16_sdwa s[4:5], v4, s7 src0_sel:BYTE_0 src1_sel:DWORD
	v_mov_b32_e32 v7, 0
	s_and_saveexec_b64 s[28:29], s[4:5]
	s_cbranch_execz .LBB239_1074
; %bb.1071:                             ;   in Loop: Header=BB239_626 Depth=1
	v_and_b32_e32 v5, 0x7f, v4
	v_mov_b32_e32 v6, 0x7f800001
	v_cmp_ne_u32_e64 s[4:5], s15, v5
	v_mov_b32_e32 v7, 0
	s_and_saveexec_b64 s[30:31], s[4:5]
	s_cbranch_execz .LBB239_1073
; %bb.1072:                             ;   in Loop: Header=BB239_626 Depth=1
	v_and_b32_e32 v12, 7, v4
	v_lshrrev_b32_e32 v13, 3, v5
	v_cmp_gt_u32_e64 s[4:5], 8, v5
	v_ffbh_u32_e32 v5, v12
	v_min_u32_e32 v5, 32, v5
	v_subrev_u32_e32 v6, 28, v5
	v_lshlrev_b64 v[6:7], v6, v[4:5]
	v_sub_u32_e32 v5, 29, v5
	v_and_b32_e32 v6, 7, v6
	v_cndmask_b32_e64 v5, v13, v5, s[4:5]
	v_cndmask_b32_e64 v6, v12, v6, s[4:5]
	v_bfrev_b32_e32 v12, 60
	v_lshlrev_b32_e32 v6, 20, v6
	v_and_b32_sdwa v7, sext(v4), s13 dst_sel:DWORD dst_unused:UNUSED_PAD src0_sel:BYTE_0 src1_sel:DWORD
	v_lshl_add_u32 v5, v5, 23, v12
	v_or3_b32 v50, v7, v5, v6
	v_pk_mov_b32 v[6:7], v[50:51], v[50:51] op_sel:[0,1]
.LBB239_1073:                           ;   in Loop: Header=BB239_626 Depth=1
	s_or_b64 exec, exec, s[30:31]
.LBB239_1074:                           ;   in Loop: Header=BB239_626 Depth=1
	s_or_b64 exec, exec, s[28:29]
.LBB239_1075:                           ;   in Loop: Header=BB239_626 Depth=1
	s_or_b64 exec, exec, s[26:27]
	v_cmp_ne_u16_sdwa s[4:5], v4, v51 src0_sel:BYTE_1 src1_sel:DWORD
	s_and_saveexec_b64 s[26:27], s[4:5]
	s_cbranch_execz .LBB239_1081
; %bb.1076:                             ;   in Loop: Header=BB239_626 Depth=1
	v_cmp_ne_u16_sdwa s[4:5], v4, s7 src0_sel:BYTE_1 src1_sel:DWORD
	v_pk_mov_b32 v[8:9], s[12:13], s[12:13] op_sel:[0,1]
	s_and_saveexec_b64 s[28:29], s[4:5]
	s_cbranch_execz .LBB239_1080
; %bb.1077:                             ;   in Loop: Header=BB239_626 Depth=1
	v_and_b32_sdwa v5, v4, s15 dst_sel:DWORD dst_unused:UNUSED_PAD src0_sel:BYTE_1 src1_sel:DWORD
	s_mov_b32 s22, s12
	v_cmp_ne_u32_e64 s[4:5], s15, v5
	v_pk_mov_b32 v[8:9], s[22:23], s[22:23] op_sel:[0,1]
	s_and_saveexec_b64 s[30:31], s[4:5]
	s_cbranch_execz .LBB239_1079
; %bb.1078:                             ;   in Loop: Header=BB239_626 Depth=1
	v_mov_b32_e32 v8, 7
	v_and_b32_sdwa v50, v4, v8 dst_sel:DWORD dst_unused:UNUSED_PAD src0_sel:BYTE_1 src1_sel:DWORD
	v_lshrrev_b32_e32 v12, 3, v5
	v_cmp_gt_u32_e64 s[4:5], 8, v5
	v_ffbh_u32_e32 v5, v50
	v_min_u32_e32 v5, 32, v5
	v_subrev_u32_e32 v8, 28, v5
	v_lshlrev_b64 v[8:9], v8, v[50:51]
	v_sub_u32_e32 v5, 29, v5
	v_and_b32_e32 v8, 7, v8
	v_cndmask_b32_e64 v5, v12, v5, s[4:5]
	v_bfrev_b32_e32 v12, 60
	v_cndmask_b32_e64 v8, v50, v8, s[4:5]
	v_lshlrev_b32_e32 v9, 16, v4
	v_lshl_add_u32 v5, v5, 23, v12
	v_and_or_b32 v5, v9, s13, v5
	v_lshlrev_b32_e32 v8, 20, v8
	v_or_b32_e32 v9, v5, v8
	v_mov_b32_e32 v8, v51
.LBB239_1079:                           ;   in Loop: Header=BB239_626 Depth=1
	s_or_b64 exec, exec, s[30:31]
.LBB239_1080:                           ;   in Loop: Header=BB239_626 Depth=1
	s_or_b64 exec, exec, s[28:29]
.LBB239_1081:                           ;   in Loop: Header=BB239_626 Depth=1
	s_or_b64 exec, exec, s[26:27]
	v_lshrrev_b32_e32 v18, 16, v4
	v_pk_mov_b32 v[16:17], 0, 0
	v_cmp_ne_u16_sdwa s[4:5], v18, v51 src0_sel:BYTE_0 src1_sel:DWORD
	v_pk_mov_b32 v[12:13], v[16:17], v[16:17] op_sel:[0,1]
	s_and_saveexec_b64 s[26:27], s[4:5]
	s_cbranch_execz .LBB239_1087
; %bb.1082:                             ;   in Loop: Header=BB239_626 Depth=1
	v_bfrev_b32_e32 v12, 1
	v_cmp_ne_u16_sdwa s[4:5], v18, s7 src0_sel:BYTE_0 src1_sel:DWORD
	v_mov_b32_e32 v13, 0
	s_and_saveexec_b64 s[28:29], s[4:5]
	s_cbranch_execz .LBB239_1086
; %bb.1083:                             ;   in Loop: Header=BB239_626 Depth=1
	v_bfe_u32 v5, v4, 16, 7
	v_mov_b32_e32 v12, 0x7f800001
	v_cmp_ne_u32_e64 s[4:5], s15, v5
	v_mov_b32_e32 v13, 0
	s_and_saveexec_b64 s[30:31], s[4:5]
	s_cbranch_execz .LBB239_1085
; %bb.1084:                             ;   in Loop: Header=BB239_626 Depth=1
	v_and_b32_e32 v19, 7, v18
	v_lshrrev_b32_e32 v20, 3, v5
	v_cmp_gt_u32_e64 s[4:5], 8, v5
	v_ffbh_u32_e32 v5, v19
	v_min_u32_e32 v5, 32, v5
	v_subrev_u32_e32 v12, 28, v5
	v_lshlrev_b64 v[12:13], v12, v[18:19]
	v_sub_u32_e32 v5, 29, v5
	v_and_b32_e32 v12, 7, v12
	v_cndmask_b32_e64 v5, v20, v5, s[4:5]
	v_cndmask_b32_e64 v12, v19, v12, s[4:5]
	v_and_b32_sdwa v13, sext(v18), s13 dst_sel:DWORD dst_unused:UNUSED_PAD src0_sel:BYTE_0 src1_sel:DWORD
	v_bfrev_b32_e32 v18, 60
	v_lshlrev_b32_e32 v12, 20, v12
	v_lshl_add_u32 v5, v5, 23, v18
	v_or3_b32 v50, v13, v5, v12
	v_pk_mov_b32 v[12:13], v[50:51], v[50:51] op_sel:[0,1]
.LBB239_1085:                           ;   in Loop: Header=BB239_626 Depth=1
	s_or_b64 exec, exec, s[30:31]
.LBB239_1086:                           ;   in Loop: Header=BB239_626 Depth=1
	s_or_b64 exec, exec, s[28:29]
.LBB239_1087:                           ;   in Loop: Header=BB239_626 Depth=1
	s_or_b64 exec, exec, s[26:27]
	v_cmp_lt_u32_e64 s[4:5], s34, v4
	s_and_saveexec_b64 s[26:27], s[4:5]
	s_cbranch_execz .LBB239_1093
; %bb.1088:                             ;   in Loop: Header=BB239_626 Depth=1
	v_cmp_ne_u32_sdwa s[4:5], v4, s7 src0_sel:BYTE_3 src1_sel:DWORD
	v_pk_mov_b32 v[16:17], s[12:13], s[12:13] op_sel:[0,1]
	s_and_saveexec_b64 s[28:29], s[4:5]
	s_cbranch_execz .LBB239_1092
; %bb.1089:                             ;   in Loop: Header=BB239_626 Depth=1
	v_bfe_u32 v5, v4, 24, 7
	s_mov_b32 s22, s12
	v_cmp_ne_u32_e64 s[4:5], s15, v5
	v_pk_mov_b32 v[16:17], s[22:23], s[22:23] op_sel:[0,1]
	s_and_saveexec_b64 s[30:31], s[4:5]
	s_cbranch_execz .LBB239_1091
; %bb.1090:                             ;   in Loop: Header=BB239_626 Depth=1
	v_mov_b32_e32 v16, 7
	v_and_b32_sdwa v50, v4, v16 dst_sel:DWORD dst_unused:UNUSED_PAD src0_sel:BYTE_3 src1_sel:DWORD
	v_lshrrev_b32_e32 v18, 3, v5
	v_cmp_gt_u32_e64 s[4:5], 8, v5
	v_ffbh_u32_e32 v5, v50
	v_min_u32_e32 v5, 32, v5
	v_subrev_u32_e32 v16, 28, v5
	v_lshlrev_b64 v[16:17], v16, v[50:51]
	v_sub_u32_e32 v5, 29, v5
	v_mov_b32_e32 v17, 24
	v_and_b32_e32 v16, 7, v16
	v_cndmask_b32_e64 v5, v18, v5, s[4:5]
	v_lshlrev_b32_sdwa v4, v17, v4 dst_sel:DWORD dst_unused:UNUSED_PAD src0_sel:DWORD src1_sel:BYTE_3
	v_bfrev_b32_e32 v17, 60
	v_cndmask_b32_e64 v16, v50, v16, s[4:5]
	v_lshl_add_u32 v5, v5, 23, v17
	v_and_or_b32 v4, v4, s13, v5
	v_lshlrev_b32_e32 v5, 20, v16
	v_or_b32_e32 v17, v4, v5
	v_mov_b32_e32 v16, v51
.LBB239_1091:                           ;   in Loop: Header=BB239_626 Depth=1
	s_or_b64 exec, exec, s[30:31]
.LBB239_1092:                           ;   in Loop: Header=BB239_626 Depth=1
	s_or_b64 exec, exec, s[28:29]
.LBB239_1093:                           ;   in Loop: Header=BB239_626 Depth=1
	s_or_b64 exec, exec, s[26:27]
	v_or_b32_e32 v5, v9, v7
	v_or_b32_e32 v4, v8, v6
	v_pk_mul_f32 v[36:37], v[26:27], v[4:5]
	v_or_b32_e32 v5, v17, v13
	v_or_b32_e32 v4, v16, v12
	v_pk_mul_f32 v[56:57], v[26:27], v[4:5]
	s_and_saveexec_b64 s[26:27], vcc
	s_cbranch_execz .LBB239_1095
; %bb.1094:                             ;   in Loop: Header=BB239_626 Depth=1
	v_accvgpr_read_b32 v4, a57
	v_cmp_lt_i32_e64 s[4:5], v4, v62
	v_accvgpr_read_b32 v4, a63
	v_cndmask_b32_e64 v36, 0, v36, s[4:5]
	v_cmp_lt_i32_e64 s[4:5], v4, v62
	v_accvgpr_read_b32 v4, a61
	v_cndmask_b32_e64 v37, 0, v37, s[4:5]
	;; [unrolled: 3-line block ×3, first 2 shown]
	v_cmp_lt_i32_e64 s[4:5], v4, v62
	v_cndmask_b32_e64 v57, 0, v57, s[4:5]
.LBB239_1095:                           ;   in Loop: Header=BB239_626 Depth=1
	s_or_b64 exec, exec, s[26:27]
	buffer_load_dword v4, off, s[0:3], s32 offset:376 ; 4-byte Folded Reload
	buffer_load_dword v5, off, s[0:3], s32 offset:380 ; 4-byte Folded Reload
	v_pk_mov_b32 v[8:9], 0, 0
	v_pk_mov_b32 v[6:7], v[8:9], v[8:9] op_sel:[0,1]
	s_waitcnt vmcnt(1)
	v_add_co_u32_e64 v4, s[4:5], v52, v4
	s_waitcnt vmcnt(0)
	v_addc_co_u32_e64 v5, s[4:5], 0, v53, s[4:5]
	flat_load_dword v4, v[4:5]
	s_waitcnt vmcnt(0) lgkmcnt(0)
	v_cmp_ne_u16_sdwa s[4:5], v4, v51 src0_sel:BYTE_0 src1_sel:DWORD
	s_and_saveexec_b64 s[26:27], s[4:5]
	s_cbranch_execz .LBB239_1101
; %bb.1096:                             ;   in Loop: Header=BB239_626 Depth=1
	v_bfrev_b32_e32 v6, 1
	v_cmp_ne_u16_sdwa s[4:5], v4, s7 src0_sel:BYTE_0 src1_sel:DWORD
	v_mov_b32_e32 v7, 0
	s_and_saveexec_b64 s[28:29], s[4:5]
	s_cbranch_execz .LBB239_1100
; %bb.1097:                             ;   in Loop: Header=BB239_626 Depth=1
	v_and_b32_e32 v5, 0x7f, v4
	v_mov_b32_e32 v6, 0x7f800001
	v_cmp_ne_u32_e64 s[4:5], s15, v5
	v_mov_b32_e32 v7, 0
	s_and_saveexec_b64 s[30:31], s[4:5]
	s_cbranch_execz .LBB239_1099
; %bb.1098:                             ;   in Loop: Header=BB239_626 Depth=1
	v_and_b32_e32 v12, 7, v4
	v_lshrrev_b32_e32 v13, 3, v5
	v_cmp_gt_u32_e64 s[4:5], 8, v5
	v_ffbh_u32_e32 v5, v12
	v_min_u32_e32 v5, 32, v5
	v_subrev_u32_e32 v6, 28, v5
	v_lshlrev_b64 v[6:7], v6, v[4:5]
	v_sub_u32_e32 v5, 29, v5
	v_and_b32_e32 v6, 7, v6
	v_cndmask_b32_e64 v5, v13, v5, s[4:5]
	v_cndmask_b32_e64 v6, v12, v6, s[4:5]
	v_bfrev_b32_e32 v12, 60
	v_lshlrev_b32_e32 v6, 20, v6
	v_and_b32_sdwa v7, sext(v4), s13 dst_sel:DWORD dst_unused:UNUSED_PAD src0_sel:BYTE_0 src1_sel:DWORD
	v_lshl_add_u32 v5, v5, 23, v12
	v_or3_b32 v50, v7, v5, v6
	v_pk_mov_b32 v[6:7], v[50:51], v[50:51] op_sel:[0,1]
.LBB239_1099:                           ;   in Loop: Header=BB239_626 Depth=1
	s_or_b64 exec, exec, s[30:31]
.LBB239_1100:                           ;   in Loop: Header=BB239_626 Depth=1
	s_or_b64 exec, exec, s[28:29]
.LBB239_1101:                           ;   in Loop: Header=BB239_626 Depth=1
	s_or_b64 exec, exec, s[26:27]
	v_cmp_ne_u16_sdwa s[4:5], v4, v51 src0_sel:BYTE_1 src1_sel:DWORD
	s_and_saveexec_b64 s[26:27], s[4:5]
	s_cbranch_execz .LBB239_1107
; %bb.1102:                             ;   in Loop: Header=BB239_626 Depth=1
	v_cmp_ne_u16_sdwa s[4:5], v4, s7 src0_sel:BYTE_1 src1_sel:DWORD
	v_pk_mov_b32 v[8:9], s[12:13], s[12:13] op_sel:[0,1]
	s_and_saveexec_b64 s[28:29], s[4:5]
	s_cbranch_execz .LBB239_1106
; %bb.1103:                             ;   in Loop: Header=BB239_626 Depth=1
	v_and_b32_sdwa v5, v4, s15 dst_sel:DWORD dst_unused:UNUSED_PAD src0_sel:BYTE_1 src1_sel:DWORD
	s_mov_b32 s22, s12
	v_cmp_ne_u32_e64 s[4:5], s15, v5
	v_pk_mov_b32 v[8:9], s[22:23], s[22:23] op_sel:[0,1]
	s_and_saveexec_b64 s[30:31], s[4:5]
	s_cbranch_execz .LBB239_1105
; %bb.1104:                             ;   in Loop: Header=BB239_626 Depth=1
	v_mov_b32_e32 v8, 7
	v_and_b32_sdwa v50, v4, v8 dst_sel:DWORD dst_unused:UNUSED_PAD src0_sel:BYTE_1 src1_sel:DWORD
	v_lshrrev_b32_e32 v12, 3, v5
	v_cmp_gt_u32_e64 s[4:5], 8, v5
	v_ffbh_u32_e32 v5, v50
	v_min_u32_e32 v5, 32, v5
	v_subrev_u32_e32 v8, 28, v5
	v_lshlrev_b64 v[8:9], v8, v[50:51]
	v_sub_u32_e32 v5, 29, v5
	v_and_b32_e32 v8, 7, v8
	v_cndmask_b32_e64 v5, v12, v5, s[4:5]
	v_bfrev_b32_e32 v12, 60
	v_cndmask_b32_e64 v8, v50, v8, s[4:5]
	v_lshlrev_b32_e32 v9, 16, v4
	v_lshl_add_u32 v5, v5, 23, v12
	v_and_or_b32 v5, v9, s13, v5
	v_lshlrev_b32_e32 v8, 20, v8
	v_or_b32_e32 v9, v5, v8
	v_mov_b32_e32 v8, v51
.LBB239_1105:                           ;   in Loop: Header=BB239_626 Depth=1
	s_or_b64 exec, exec, s[30:31]
.LBB239_1106:                           ;   in Loop: Header=BB239_626 Depth=1
	s_or_b64 exec, exec, s[28:29]
.LBB239_1107:                           ;   in Loop: Header=BB239_626 Depth=1
	s_or_b64 exec, exec, s[26:27]
	v_lshrrev_b32_e32 v18, 16, v4
	v_pk_mov_b32 v[16:17], 0, 0
	v_cmp_ne_u16_sdwa s[4:5], v18, v51 src0_sel:BYTE_0 src1_sel:DWORD
	v_pk_mov_b32 v[12:13], v[16:17], v[16:17] op_sel:[0,1]
	s_and_saveexec_b64 s[26:27], s[4:5]
	s_cbranch_execz .LBB239_1113
; %bb.1108:                             ;   in Loop: Header=BB239_626 Depth=1
	v_bfrev_b32_e32 v12, 1
	v_cmp_ne_u16_sdwa s[4:5], v18, s7 src0_sel:BYTE_0 src1_sel:DWORD
	v_mov_b32_e32 v13, 0
	s_and_saveexec_b64 s[28:29], s[4:5]
	s_cbranch_execz .LBB239_1112
; %bb.1109:                             ;   in Loop: Header=BB239_626 Depth=1
	v_bfe_u32 v5, v4, 16, 7
	v_mov_b32_e32 v12, 0x7f800001
	v_cmp_ne_u32_e64 s[4:5], s15, v5
	v_mov_b32_e32 v13, 0
	s_and_saveexec_b64 s[30:31], s[4:5]
	s_cbranch_execz .LBB239_1111
; %bb.1110:                             ;   in Loop: Header=BB239_626 Depth=1
	v_and_b32_e32 v19, 7, v18
	v_lshrrev_b32_e32 v20, 3, v5
	v_cmp_gt_u32_e64 s[4:5], 8, v5
	v_ffbh_u32_e32 v5, v19
	v_min_u32_e32 v5, 32, v5
	v_subrev_u32_e32 v12, 28, v5
	v_lshlrev_b64 v[12:13], v12, v[18:19]
	v_sub_u32_e32 v5, 29, v5
	v_and_b32_e32 v12, 7, v12
	v_cndmask_b32_e64 v5, v20, v5, s[4:5]
	v_cndmask_b32_e64 v12, v19, v12, s[4:5]
	v_and_b32_sdwa v13, sext(v18), s13 dst_sel:DWORD dst_unused:UNUSED_PAD src0_sel:BYTE_0 src1_sel:DWORD
	v_bfrev_b32_e32 v18, 60
	v_lshlrev_b32_e32 v12, 20, v12
	v_lshl_add_u32 v5, v5, 23, v18
	v_or3_b32 v50, v13, v5, v12
	v_pk_mov_b32 v[12:13], v[50:51], v[50:51] op_sel:[0,1]
.LBB239_1111:                           ;   in Loop: Header=BB239_626 Depth=1
	s_or_b64 exec, exec, s[30:31]
.LBB239_1112:                           ;   in Loop: Header=BB239_626 Depth=1
	s_or_b64 exec, exec, s[28:29]
.LBB239_1113:                           ;   in Loop: Header=BB239_626 Depth=1
	s_or_b64 exec, exec, s[26:27]
	v_cmp_lt_u32_e64 s[4:5], s34, v4
	s_and_saveexec_b64 s[26:27], s[4:5]
	s_cbranch_execz .LBB239_1119
; %bb.1114:                             ;   in Loop: Header=BB239_626 Depth=1
	v_cmp_ne_u32_sdwa s[4:5], v4, s7 src0_sel:BYTE_3 src1_sel:DWORD
	v_pk_mov_b32 v[16:17], s[12:13], s[12:13] op_sel:[0,1]
	s_and_saveexec_b64 s[28:29], s[4:5]
	s_cbranch_execz .LBB239_1118
; %bb.1115:                             ;   in Loop: Header=BB239_626 Depth=1
	v_bfe_u32 v5, v4, 24, 7
	s_mov_b32 s22, s12
	v_cmp_ne_u32_e64 s[4:5], s15, v5
	v_pk_mov_b32 v[16:17], s[22:23], s[22:23] op_sel:[0,1]
	s_and_saveexec_b64 s[30:31], s[4:5]
	s_cbranch_execz .LBB239_1117
; %bb.1116:                             ;   in Loop: Header=BB239_626 Depth=1
	v_mov_b32_e32 v16, 7
	v_and_b32_sdwa v50, v4, v16 dst_sel:DWORD dst_unused:UNUSED_PAD src0_sel:BYTE_3 src1_sel:DWORD
	v_lshrrev_b32_e32 v18, 3, v5
	v_cmp_gt_u32_e64 s[4:5], 8, v5
	v_ffbh_u32_e32 v5, v50
	v_min_u32_e32 v5, 32, v5
	v_subrev_u32_e32 v16, 28, v5
	v_lshlrev_b64 v[16:17], v16, v[50:51]
	v_sub_u32_e32 v5, 29, v5
	v_mov_b32_e32 v17, 24
	v_and_b32_e32 v16, 7, v16
	v_cndmask_b32_e64 v5, v18, v5, s[4:5]
	v_lshlrev_b32_sdwa v4, v17, v4 dst_sel:DWORD dst_unused:UNUSED_PAD src0_sel:DWORD src1_sel:BYTE_3
	v_bfrev_b32_e32 v17, 60
	v_cndmask_b32_e64 v16, v50, v16, s[4:5]
	v_lshl_add_u32 v5, v5, 23, v17
	v_and_or_b32 v4, v4, s13, v5
	v_lshlrev_b32_e32 v5, 20, v16
	v_or_b32_e32 v17, v4, v5
	v_mov_b32_e32 v16, v51
.LBB239_1117:                           ;   in Loop: Header=BB239_626 Depth=1
	s_or_b64 exec, exec, s[30:31]
.LBB239_1118:                           ;   in Loop: Header=BB239_626 Depth=1
	s_or_b64 exec, exec, s[28:29]
.LBB239_1119:                           ;   in Loop: Header=BB239_626 Depth=1
	s_or_b64 exec, exec, s[26:27]
	v_or_b32_e32 v5, v9, v7
	v_or_b32_e32 v4, v8, v6
	v_pk_mul_f32 v[34:35], v[26:27], v[4:5]
	v_or_b32_e32 v5, v17, v13
	v_or_b32_e32 v4, v16, v12
	v_pk_mul_f32 v[4:5], v[26:27], v[4:5]
	s_and_saveexec_b64 s[26:27], vcc
	s_cbranch_execz .LBB239_1121
; %bb.1120:                             ;   in Loop: Header=BB239_626 Depth=1
	v_accvgpr_read_b32 v6, a57
	v_cmp_lt_i32_e64 s[4:5], v6, v62
	v_accvgpr_read_b32 v6, a63
	v_cndmask_b32_e64 v34, 0, v34, s[4:5]
	v_cmp_lt_i32_e64 s[4:5], v6, v62
	v_accvgpr_read_b32 v6, a61
	v_cndmask_b32_e64 v35, 0, v35, s[4:5]
	;; [unrolled: 3-line block ×3, first 2 shown]
	v_cmp_lt_i32_e64 s[4:5], v6, v62
	v_cndmask_b32_e64 v5, 0, v5, s[4:5]
.LBB239_1121:                           ;   in Loop: Header=BB239_626 Depth=1
	s_or_b64 exec, exec, s[26:27]
	v_accvgpr_read_b32 v6, a56
	v_add_co_u32_e64 v6, s[4:5], v52, v6
	v_addc_co_u32_e64 v7, s[4:5], 0, v53, s[4:5]
	flat_load_dword v6, v[6:7]
	v_pk_mov_b32 v[12:13], 0, 0
	v_pk_mov_b32 v[8:9], v[12:13], v[12:13] op_sel:[0,1]
	s_waitcnt vmcnt(0) lgkmcnt(0)
	v_cmp_ne_u16_sdwa s[4:5], v6, v51 src0_sel:BYTE_0 src1_sel:DWORD
	s_and_saveexec_b64 s[26:27], s[4:5]
	s_cbranch_execz .LBB239_1127
; %bb.1122:                             ;   in Loop: Header=BB239_626 Depth=1
	v_bfrev_b32_e32 v8, 1
	v_cmp_ne_u16_sdwa s[4:5], v6, s7 src0_sel:BYTE_0 src1_sel:DWORD
	v_mov_b32_e32 v9, 0
	s_and_saveexec_b64 s[28:29], s[4:5]
	s_cbranch_execz .LBB239_1126
; %bb.1123:                             ;   in Loop: Header=BB239_626 Depth=1
	v_and_b32_e32 v7, 0x7f, v6
	v_mov_b32_e32 v8, 0x7f800001
	v_cmp_ne_u32_e64 s[4:5], s15, v7
	v_mov_b32_e32 v9, 0
	s_and_saveexec_b64 s[30:31], s[4:5]
	s_cbranch_execz .LBB239_1125
; %bb.1124:                             ;   in Loop: Header=BB239_626 Depth=1
	v_and_b32_e32 v16, 7, v6
	v_lshrrev_b32_e32 v17, 3, v7
	v_cmp_gt_u32_e64 s[4:5], 8, v7
	v_ffbh_u32_e32 v7, v16
	v_min_u32_e32 v7, 32, v7
	v_subrev_u32_e32 v8, 28, v7
	v_lshlrev_b64 v[8:9], v8, v[6:7]
	v_sub_u32_e32 v7, 29, v7
	v_and_b32_e32 v8, 7, v8
	v_cndmask_b32_e64 v7, v17, v7, s[4:5]
	v_cndmask_b32_e64 v8, v16, v8, s[4:5]
	v_bfrev_b32_e32 v16, 60
	v_lshlrev_b32_e32 v8, 20, v8
	v_and_b32_sdwa v9, sext(v6), s13 dst_sel:DWORD dst_unused:UNUSED_PAD src0_sel:BYTE_0 src1_sel:DWORD
	v_lshl_add_u32 v7, v7, 23, v16
	v_or3_b32 v50, v9, v7, v8
	v_pk_mov_b32 v[8:9], v[50:51], v[50:51] op_sel:[0,1]
.LBB239_1125:                           ;   in Loop: Header=BB239_626 Depth=1
	s_or_b64 exec, exec, s[30:31]
.LBB239_1126:                           ;   in Loop: Header=BB239_626 Depth=1
	s_or_b64 exec, exec, s[28:29]
.LBB239_1127:                           ;   in Loop: Header=BB239_626 Depth=1
	s_or_b64 exec, exec, s[26:27]
	v_cmp_ne_u16_sdwa s[4:5], v6, v51 src0_sel:BYTE_1 src1_sel:DWORD
	s_and_saveexec_b64 s[26:27], s[4:5]
	s_cbranch_execz .LBB239_1133
; %bb.1128:                             ;   in Loop: Header=BB239_626 Depth=1
	v_cmp_ne_u16_sdwa s[4:5], v6, s7 src0_sel:BYTE_1 src1_sel:DWORD
	v_pk_mov_b32 v[12:13], s[12:13], s[12:13] op_sel:[0,1]
	s_and_saveexec_b64 s[28:29], s[4:5]
	s_cbranch_execz .LBB239_1132
; %bb.1129:                             ;   in Loop: Header=BB239_626 Depth=1
	v_and_b32_sdwa v7, v6, s15 dst_sel:DWORD dst_unused:UNUSED_PAD src0_sel:BYTE_1 src1_sel:DWORD
	s_mov_b32 s22, s12
	v_cmp_ne_u32_e64 s[4:5], s15, v7
	v_pk_mov_b32 v[12:13], s[22:23], s[22:23] op_sel:[0,1]
	s_and_saveexec_b64 s[30:31], s[4:5]
	s_cbranch_execz .LBB239_1131
; %bb.1130:                             ;   in Loop: Header=BB239_626 Depth=1
	v_mov_b32_e32 v12, 7
	v_and_b32_sdwa v50, v6, v12 dst_sel:DWORD dst_unused:UNUSED_PAD src0_sel:BYTE_1 src1_sel:DWORD
	v_lshrrev_b32_e32 v16, 3, v7
	v_cmp_gt_u32_e64 s[4:5], 8, v7
	v_ffbh_u32_e32 v7, v50
	v_min_u32_e32 v7, 32, v7
	v_subrev_u32_e32 v12, 28, v7
	v_lshlrev_b64 v[12:13], v12, v[50:51]
	v_sub_u32_e32 v7, 29, v7
	v_and_b32_e32 v12, 7, v12
	v_cndmask_b32_e64 v7, v16, v7, s[4:5]
	v_bfrev_b32_e32 v16, 60
	v_cndmask_b32_e64 v12, v50, v12, s[4:5]
	v_lshlrev_b32_e32 v13, 16, v6
	v_lshl_add_u32 v7, v7, 23, v16
	v_and_or_b32 v7, v13, s13, v7
	v_lshlrev_b32_e32 v12, 20, v12
	v_or_b32_e32 v13, v7, v12
	v_mov_b32_e32 v12, v51
.LBB239_1131:                           ;   in Loop: Header=BB239_626 Depth=1
	s_or_b64 exec, exec, s[30:31]
.LBB239_1132:                           ;   in Loop: Header=BB239_626 Depth=1
	s_or_b64 exec, exec, s[28:29]
.LBB239_1133:                           ;   in Loop: Header=BB239_626 Depth=1
	s_or_b64 exec, exec, s[26:27]
	v_lshrrev_b32_e32 v20, 16, v6
	v_pk_mov_b32 v[18:19], 0, 0
	v_cmp_ne_u16_sdwa s[4:5], v20, v51 src0_sel:BYTE_0 src1_sel:DWORD
	v_pk_mov_b32 v[16:17], v[18:19], v[18:19] op_sel:[0,1]
	s_and_saveexec_b64 s[26:27], s[4:5]
	s_cbranch_execz .LBB239_1139
; %bb.1134:                             ;   in Loop: Header=BB239_626 Depth=1
	v_bfrev_b32_e32 v16, 1
	v_cmp_ne_u16_sdwa s[4:5], v20, s7 src0_sel:BYTE_0 src1_sel:DWORD
	v_mov_b32_e32 v17, 0
	s_and_saveexec_b64 s[28:29], s[4:5]
	s_cbranch_execz .LBB239_1138
; %bb.1135:                             ;   in Loop: Header=BB239_626 Depth=1
	v_bfe_u32 v7, v6, 16, 7
	v_mov_b32_e32 v16, 0x7f800001
	v_cmp_ne_u32_e64 s[4:5], s15, v7
	v_mov_b32_e32 v17, 0
	s_and_saveexec_b64 s[30:31], s[4:5]
	s_cbranch_execz .LBB239_1137
; %bb.1136:                             ;   in Loop: Header=BB239_626 Depth=1
	v_and_b32_e32 v21, 7, v20
	v_lshrrev_b32_e32 v22, 3, v7
	v_cmp_gt_u32_e64 s[4:5], 8, v7
	v_ffbh_u32_e32 v7, v21
	v_min_u32_e32 v7, 32, v7
	v_subrev_u32_e32 v16, 28, v7
	v_lshlrev_b64 v[16:17], v16, v[20:21]
	v_sub_u32_e32 v7, 29, v7
	v_and_b32_e32 v16, 7, v16
	v_cndmask_b32_e64 v7, v22, v7, s[4:5]
	v_cndmask_b32_e64 v16, v21, v16, s[4:5]
	v_and_b32_sdwa v17, sext(v20), s13 dst_sel:DWORD dst_unused:UNUSED_PAD src0_sel:BYTE_0 src1_sel:DWORD
	v_bfrev_b32_e32 v20, 60
	v_lshlrev_b32_e32 v16, 20, v16
	v_lshl_add_u32 v7, v7, 23, v20
	v_or3_b32 v50, v17, v7, v16
	v_pk_mov_b32 v[16:17], v[50:51], v[50:51] op_sel:[0,1]
.LBB239_1137:                           ;   in Loop: Header=BB239_626 Depth=1
	s_or_b64 exec, exec, s[30:31]
.LBB239_1138:                           ;   in Loop: Header=BB239_626 Depth=1
	s_or_b64 exec, exec, s[28:29]
.LBB239_1139:                           ;   in Loop: Header=BB239_626 Depth=1
	s_or_b64 exec, exec, s[26:27]
	v_cmp_lt_u32_e64 s[4:5], s34, v6
	s_and_saveexec_b64 s[26:27], s[4:5]
	s_cbranch_execz .LBB239_1145
; %bb.1140:                             ;   in Loop: Header=BB239_626 Depth=1
	v_cmp_ne_u32_sdwa s[4:5], v6, s7 src0_sel:BYTE_3 src1_sel:DWORD
	v_pk_mov_b32 v[18:19], s[12:13], s[12:13] op_sel:[0,1]
	s_and_saveexec_b64 s[28:29], s[4:5]
	s_cbranch_execz .LBB239_1144
; %bb.1141:                             ;   in Loop: Header=BB239_626 Depth=1
	v_bfe_u32 v7, v6, 24, 7
	s_mov_b32 s22, s12
	v_cmp_ne_u32_e64 s[4:5], s15, v7
	v_pk_mov_b32 v[18:19], s[22:23], s[22:23] op_sel:[0,1]
	s_and_saveexec_b64 s[30:31], s[4:5]
	s_cbranch_execz .LBB239_1143
; %bb.1142:                             ;   in Loop: Header=BB239_626 Depth=1
	v_mov_b32_e32 v18, 7
	v_and_b32_sdwa v50, v6, v18 dst_sel:DWORD dst_unused:UNUSED_PAD src0_sel:BYTE_3 src1_sel:DWORD
	v_lshrrev_b32_e32 v20, 3, v7
	v_cmp_gt_u32_e64 s[4:5], 8, v7
	v_ffbh_u32_e32 v7, v50
	v_min_u32_e32 v7, 32, v7
	v_subrev_u32_e32 v18, 28, v7
	v_lshlrev_b64 v[18:19], v18, v[50:51]
	v_sub_u32_e32 v7, 29, v7
	v_mov_b32_e32 v19, 24
	v_and_b32_e32 v18, 7, v18
	v_cndmask_b32_e64 v7, v20, v7, s[4:5]
	v_lshlrev_b32_sdwa v6, v19, v6 dst_sel:DWORD dst_unused:UNUSED_PAD src0_sel:DWORD src1_sel:BYTE_3
	v_bfrev_b32_e32 v19, 60
	v_cndmask_b32_e64 v18, v50, v18, s[4:5]
	v_lshl_add_u32 v7, v7, 23, v19
	v_and_or_b32 v6, v6, s13, v7
	v_lshlrev_b32_e32 v7, 20, v18
	v_or_b32_e32 v19, v6, v7
	v_mov_b32_e32 v18, v51
.LBB239_1143:                           ;   in Loop: Header=BB239_626 Depth=1
	s_or_b64 exec, exec, s[30:31]
.LBB239_1144:                           ;   in Loop: Header=BB239_626 Depth=1
	s_or_b64 exec, exec, s[28:29]
.LBB239_1145:                           ;   in Loop: Header=BB239_626 Depth=1
	s_or_b64 exec, exec, s[26:27]
	v_or_b32_e32 v7, v13, v9
	v_or_b32_e32 v6, v12, v8
	;; [unrolled: 1-line block ×4, first 2 shown]
	v_pk_mul_f32 v[6:7], v[26:27], v[6:7]
	v_pk_mul_f32 v[8:9], v[26:27], v[8:9]
	s_and_saveexec_b64 s[26:27], vcc
	s_cbranch_execz .LBB239_1147
; %bb.1146:                             ;   in Loop: Header=BB239_626 Depth=1
	v_accvgpr_read_b32 v12, a57
	v_cmp_lt_i32_e64 s[4:5], v12, v62
	v_accvgpr_read_b32 v12, a63
	v_cndmask_b32_e64 v6, 0, v6, s[4:5]
	v_cmp_lt_i32_e64 s[4:5], v12, v62
	v_accvgpr_read_b32 v12, a61
	v_cndmask_b32_e64 v7, 0, v7, s[4:5]
	;; [unrolled: 3-line block ×3, first 2 shown]
	v_cmp_lt_i32_e64 s[4:5], v12, v62
	v_cndmask_b32_e64 v9, 0, v9, s[4:5]
.LBB239_1147:                           ;   in Loop: Header=BB239_626 Depth=1
	s_or_b64 exec, exec, s[26:27]
	v_accvgpr_read_b32 v12, a58
	v_add_co_u32_e64 v12, s[4:5], v52, v12
	v_addc_co_u32_e64 v13, s[4:5], 0, v53, s[4:5]
	flat_load_dword v12, v[12:13]
	v_pk_mov_b32 v[18:19], 0, 0
	v_pk_mov_b32 v[16:17], v[18:19], v[18:19] op_sel:[0,1]
	s_waitcnt vmcnt(0) lgkmcnt(0)
	v_cmp_ne_u16_sdwa s[4:5], v12, v51 src0_sel:BYTE_0 src1_sel:DWORD
	s_and_saveexec_b64 s[26:27], s[4:5]
	s_cbranch_execz .LBB239_1153
; %bb.1148:                             ;   in Loop: Header=BB239_626 Depth=1
	v_bfrev_b32_e32 v16, 1
	v_cmp_ne_u16_sdwa s[4:5], v12, s7 src0_sel:BYTE_0 src1_sel:DWORD
	v_mov_b32_e32 v17, 0
	s_and_saveexec_b64 s[28:29], s[4:5]
	s_cbranch_execz .LBB239_1152
; %bb.1149:                             ;   in Loop: Header=BB239_626 Depth=1
	v_and_b32_e32 v13, 0x7f, v12
	v_mov_b32_e32 v16, 0x7f800001
	v_cmp_ne_u32_e64 s[4:5], s15, v13
	v_mov_b32_e32 v17, 0
	s_and_saveexec_b64 s[30:31], s[4:5]
	s_cbranch_execz .LBB239_1151
; %bb.1150:                             ;   in Loop: Header=BB239_626 Depth=1
	v_and_b32_e32 v20, 7, v12
	v_lshrrev_b32_e32 v21, 3, v13
	v_cmp_gt_u32_e64 s[4:5], 8, v13
	v_ffbh_u32_e32 v13, v20
	v_min_u32_e32 v13, 32, v13
	v_subrev_u32_e32 v16, 28, v13
	v_lshlrev_b64 v[16:17], v16, v[12:13]
	v_sub_u32_e32 v13, 29, v13
	v_and_b32_e32 v16, 7, v16
	v_cndmask_b32_e64 v13, v21, v13, s[4:5]
	v_cndmask_b32_e64 v16, v20, v16, s[4:5]
	v_bfrev_b32_e32 v20, 60
	v_lshlrev_b32_e32 v16, 20, v16
	v_and_b32_sdwa v17, sext(v12), s13 dst_sel:DWORD dst_unused:UNUSED_PAD src0_sel:BYTE_0 src1_sel:DWORD
	v_lshl_add_u32 v13, v13, 23, v20
	v_or3_b32 v50, v17, v13, v16
	v_pk_mov_b32 v[16:17], v[50:51], v[50:51] op_sel:[0,1]
.LBB239_1151:                           ;   in Loop: Header=BB239_626 Depth=1
	s_or_b64 exec, exec, s[30:31]
.LBB239_1152:                           ;   in Loop: Header=BB239_626 Depth=1
	s_or_b64 exec, exec, s[28:29]
.LBB239_1153:                           ;   in Loop: Header=BB239_626 Depth=1
	s_or_b64 exec, exec, s[26:27]
	v_cmp_ne_u16_sdwa s[4:5], v12, v51 src0_sel:BYTE_1 src1_sel:DWORD
	s_and_saveexec_b64 s[26:27], s[4:5]
	s_cbranch_execz .LBB239_1159
; %bb.1154:                             ;   in Loop: Header=BB239_626 Depth=1
	v_cmp_ne_u16_sdwa s[4:5], v12, s7 src0_sel:BYTE_1 src1_sel:DWORD
	v_pk_mov_b32 v[18:19], s[12:13], s[12:13] op_sel:[0,1]
	s_and_saveexec_b64 s[28:29], s[4:5]
	s_cbranch_execz .LBB239_1158
; %bb.1155:                             ;   in Loop: Header=BB239_626 Depth=1
	v_and_b32_sdwa v13, v12, s15 dst_sel:DWORD dst_unused:UNUSED_PAD src0_sel:BYTE_1 src1_sel:DWORD
	s_mov_b32 s22, s12
	v_cmp_ne_u32_e64 s[4:5], s15, v13
	v_pk_mov_b32 v[18:19], s[22:23], s[22:23] op_sel:[0,1]
	s_and_saveexec_b64 s[30:31], s[4:5]
	s_cbranch_execz .LBB239_1157
; %bb.1156:                             ;   in Loop: Header=BB239_626 Depth=1
	v_mov_b32_e32 v18, 7
	v_and_b32_sdwa v50, v12, v18 dst_sel:DWORD dst_unused:UNUSED_PAD src0_sel:BYTE_1 src1_sel:DWORD
	v_lshrrev_b32_e32 v20, 3, v13
	v_cmp_gt_u32_e64 s[4:5], 8, v13
	v_ffbh_u32_e32 v13, v50
	v_min_u32_e32 v13, 32, v13
	v_subrev_u32_e32 v18, 28, v13
	v_lshlrev_b64 v[18:19], v18, v[50:51]
	v_sub_u32_e32 v13, 29, v13
	v_and_b32_e32 v18, 7, v18
	v_cndmask_b32_e64 v13, v20, v13, s[4:5]
	v_bfrev_b32_e32 v20, 60
	v_cndmask_b32_e64 v18, v50, v18, s[4:5]
	v_lshlrev_b32_e32 v19, 16, v12
	v_lshl_add_u32 v13, v13, 23, v20
	v_and_or_b32 v13, v19, s13, v13
	v_lshlrev_b32_e32 v18, 20, v18
	v_or_b32_e32 v19, v13, v18
	v_mov_b32_e32 v18, v51
.LBB239_1157:                           ;   in Loop: Header=BB239_626 Depth=1
	s_or_b64 exec, exec, s[30:31]
.LBB239_1158:                           ;   in Loop: Header=BB239_626 Depth=1
	s_or_b64 exec, exec, s[28:29]
.LBB239_1159:                           ;   in Loop: Header=BB239_626 Depth=1
	s_or_b64 exec, exec, s[26:27]
	v_lshrrev_b32_e32 v28, 16, v12
	v_pk_mov_b32 v[22:23], 0, 0
	v_cmp_ne_u16_sdwa s[4:5], v28, v51 src0_sel:BYTE_0 src1_sel:DWORD
	v_pk_mov_b32 v[20:21], v[22:23], v[22:23] op_sel:[0,1]
	s_and_saveexec_b64 s[26:27], s[4:5]
	s_cbranch_execz .LBB239_1165
; %bb.1160:                             ;   in Loop: Header=BB239_626 Depth=1
	v_bfrev_b32_e32 v20, 1
	v_cmp_ne_u16_sdwa s[4:5], v28, s7 src0_sel:BYTE_0 src1_sel:DWORD
	v_mov_b32_e32 v21, 0
	s_and_saveexec_b64 s[28:29], s[4:5]
	s_cbranch_execz .LBB239_1164
; %bb.1161:                             ;   in Loop: Header=BB239_626 Depth=1
	v_bfe_u32 v13, v12, 16, 7
	v_mov_b32_e32 v20, 0x7f800001
	v_cmp_ne_u32_e64 s[4:5], s15, v13
	v_mov_b32_e32 v21, 0
	s_and_saveexec_b64 s[30:31], s[4:5]
	s_cbranch_execz .LBB239_1163
; %bb.1162:                             ;   in Loop: Header=BB239_626 Depth=1
	v_and_b32_e32 v29, 7, v28
	v_lshrrev_b32_e32 v30, 3, v13
	v_cmp_gt_u32_e64 s[4:5], 8, v13
	v_ffbh_u32_e32 v13, v29
	v_min_u32_e32 v13, 32, v13
	v_subrev_u32_e32 v20, 28, v13
	v_lshlrev_b64 v[20:21], v20, v[28:29]
	v_sub_u32_e32 v13, 29, v13
	v_and_b32_e32 v20, 7, v20
	v_cndmask_b32_e64 v13, v30, v13, s[4:5]
	v_cndmask_b32_e64 v20, v29, v20, s[4:5]
	v_and_b32_sdwa v21, sext(v28), s13 dst_sel:DWORD dst_unused:UNUSED_PAD src0_sel:BYTE_0 src1_sel:DWORD
	v_bfrev_b32_e32 v28, 60
	v_lshlrev_b32_e32 v20, 20, v20
	v_lshl_add_u32 v13, v13, 23, v28
	v_or3_b32 v50, v21, v13, v20
	v_pk_mov_b32 v[20:21], v[50:51], v[50:51] op_sel:[0,1]
.LBB239_1163:                           ;   in Loop: Header=BB239_626 Depth=1
	s_or_b64 exec, exec, s[30:31]
.LBB239_1164:                           ;   in Loop: Header=BB239_626 Depth=1
	s_or_b64 exec, exec, s[28:29]
.LBB239_1165:                           ;   in Loop: Header=BB239_626 Depth=1
	s_or_b64 exec, exec, s[26:27]
	v_cmp_lt_u32_e64 s[4:5], s34, v12
	s_and_saveexec_b64 s[26:27], s[4:5]
	s_cbranch_execz .LBB239_1171
; %bb.1166:                             ;   in Loop: Header=BB239_626 Depth=1
	v_cmp_ne_u32_sdwa s[4:5], v12, s7 src0_sel:BYTE_3 src1_sel:DWORD
	v_pk_mov_b32 v[22:23], s[12:13], s[12:13] op_sel:[0,1]
	s_and_saveexec_b64 s[28:29], s[4:5]
	s_cbranch_execz .LBB239_1170
; %bb.1167:                             ;   in Loop: Header=BB239_626 Depth=1
	v_bfe_u32 v13, v12, 24, 7
	s_mov_b32 s22, s12
	v_cmp_ne_u32_e64 s[4:5], s15, v13
	v_pk_mov_b32 v[22:23], s[22:23], s[22:23] op_sel:[0,1]
	s_and_saveexec_b64 s[30:31], s[4:5]
	s_cbranch_execz .LBB239_1169
; %bb.1168:                             ;   in Loop: Header=BB239_626 Depth=1
	v_mov_b32_e32 v22, 7
	v_and_b32_sdwa v50, v12, v22 dst_sel:DWORD dst_unused:UNUSED_PAD src0_sel:BYTE_3 src1_sel:DWORD
	v_lshrrev_b32_e32 v28, 3, v13
	v_cmp_gt_u32_e64 s[4:5], 8, v13
	v_ffbh_u32_e32 v13, v50
	v_min_u32_e32 v13, 32, v13
	v_subrev_u32_e32 v22, 28, v13
	v_lshlrev_b64 v[22:23], v22, v[50:51]
	v_sub_u32_e32 v13, 29, v13
	v_mov_b32_e32 v23, 24
	v_and_b32_e32 v22, 7, v22
	v_cndmask_b32_e64 v13, v28, v13, s[4:5]
	v_lshlrev_b32_sdwa v12, v23, v12 dst_sel:DWORD dst_unused:UNUSED_PAD src0_sel:DWORD src1_sel:BYTE_3
	v_bfrev_b32_e32 v23, 60
	v_cndmask_b32_e64 v22, v50, v22, s[4:5]
	v_lshl_add_u32 v13, v13, 23, v23
	v_and_or_b32 v12, v12, s13, v13
	v_lshlrev_b32_e32 v13, 20, v22
	v_or_b32_e32 v23, v12, v13
	v_mov_b32_e32 v22, v51
.LBB239_1169:                           ;   in Loop: Header=BB239_626 Depth=1
	s_or_b64 exec, exec, s[30:31]
.LBB239_1170:                           ;   in Loop: Header=BB239_626 Depth=1
	s_or_b64 exec, exec, s[28:29]
.LBB239_1171:                           ;   in Loop: Header=BB239_626 Depth=1
	s_or_b64 exec, exec, s[26:27]
	v_or_b32_e32 v13, v19, v17
	v_or_b32_e32 v12, v18, v16
	;; [unrolled: 1-line block ×4, first 2 shown]
	v_pk_mul_f32 v[12:13], v[26:27], v[12:13]
	v_pk_mul_f32 v[16:17], v[26:27], v[16:17]
	s_and_saveexec_b64 s[26:27], vcc
	s_cbranch_execz .LBB239_1173
; %bb.1172:                             ;   in Loop: Header=BB239_626 Depth=1
	v_accvgpr_read_b32 v18, a57
	v_cmp_lt_i32_e64 s[4:5], v18, v62
	v_accvgpr_read_b32 v18, a63
	v_cndmask_b32_e64 v12, 0, v12, s[4:5]
	v_cmp_lt_i32_e64 s[4:5], v18, v62
	v_accvgpr_read_b32 v18, a61
	v_cndmask_b32_e64 v13, 0, v13, s[4:5]
	;; [unrolled: 3-line block ×3, first 2 shown]
	v_cmp_lt_i32_e64 s[4:5], v18, v62
	v_cndmask_b32_e64 v17, 0, v17, s[4:5]
.LBB239_1173:                           ;   in Loop: Header=BB239_626 Depth=1
	s_or_b64 exec, exec, s[26:27]
	v_accvgpr_read_b32 v18, a60
	v_add_co_u32_e64 v18, s[4:5], v52, v18
	v_addc_co_u32_e64 v19, s[4:5], 0, v53, s[4:5]
	flat_load_dword v18, v[18:19]
	v_pk_mov_b32 v[22:23], 0, 0
	v_pk_mov_b32 v[20:21], v[22:23], v[22:23] op_sel:[0,1]
	s_waitcnt vmcnt(0) lgkmcnt(0)
	v_cmp_ne_u16_sdwa s[4:5], v18, v51 src0_sel:BYTE_0 src1_sel:DWORD
	s_and_saveexec_b64 s[26:27], s[4:5]
	s_cbranch_execz .LBB239_1179
; %bb.1174:                             ;   in Loop: Header=BB239_626 Depth=1
	v_bfrev_b32_e32 v20, 1
	v_cmp_ne_u16_sdwa s[4:5], v18, s7 src0_sel:BYTE_0 src1_sel:DWORD
	v_mov_b32_e32 v21, 0
	s_and_saveexec_b64 s[28:29], s[4:5]
	s_cbranch_execz .LBB239_1178
; %bb.1175:                             ;   in Loop: Header=BB239_626 Depth=1
	v_and_b32_e32 v19, 0x7f, v18
	v_mov_b32_e32 v20, 0x7f800001
	v_cmp_ne_u32_e64 s[4:5], s15, v19
	v_mov_b32_e32 v21, 0
	s_and_saveexec_b64 s[30:31], s[4:5]
	s_cbranch_execz .LBB239_1177
; %bb.1176:                             ;   in Loop: Header=BB239_626 Depth=1
	v_and_b32_e32 v28, 7, v18
	v_lshrrev_b32_e32 v29, 3, v19
	v_cmp_gt_u32_e64 s[4:5], 8, v19
	v_ffbh_u32_e32 v19, v28
	v_min_u32_e32 v19, 32, v19
	v_subrev_u32_e32 v20, 28, v19
	v_lshlrev_b64 v[20:21], v20, v[18:19]
	v_sub_u32_e32 v19, 29, v19
	v_and_b32_e32 v20, 7, v20
	v_cndmask_b32_e64 v19, v29, v19, s[4:5]
	v_cndmask_b32_e64 v20, v28, v20, s[4:5]
	v_bfrev_b32_e32 v28, 60
	v_lshlrev_b32_e32 v20, 20, v20
	v_and_b32_sdwa v21, sext(v18), s13 dst_sel:DWORD dst_unused:UNUSED_PAD src0_sel:BYTE_0 src1_sel:DWORD
	v_lshl_add_u32 v19, v19, 23, v28
	v_or3_b32 v50, v21, v19, v20
	v_pk_mov_b32 v[20:21], v[50:51], v[50:51] op_sel:[0,1]
.LBB239_1177:                           ;   in Loop: Header=BB239_626 Depth=1
	s_or_b64 exec, exec, s[30:31]
.LBB239_1178:                           ;   in Loop: Header=BB239_626 Depth=1
	s_or_b64 exec, exec, s[28:29]
.LBB239_1179:                           ;   in Loop: Header=BB239_626 Depth=1
	s_or_b64 exec, exec, s[26:27]
	v_cmp_ne_u16_sdwa s[4:5], v18, v51 src0_sel:BYTE_1 src1_sel:DWORD
	s_and_saveexec_b64 s[26:27], s[4:5]
	s_cbranch_execz .LBB239_1185
; %bb.1180:                             ;   in Loop: Header=BB239_626 Depth=1
	v_cmp_ne_u16_sdwa s[4:5], v18, s7 src0_sel:BYTE_1 src1_sel:DWORD
	v_pk_mov_b32 v[22:23], s[12:13], s[12:13] op_sel:[0,1]
	s_and_saveexec_b64 s[28:29], s[4:5]
	s_cbranch_execz .LBB239_1184
; %bb.1181:                             ;   in Loop: Header=BB239_626 Depth=1
	v_and_b32_sdwa v19, v18, s15 dst_sel:DWORD dst_unused:UNUSED_PAD src0_sel:BYTE_1 src1_sel:DWORD
	s_mov_b32 s22, s12
	v_cmp_ne_u32_e64 s[4:5], s15, v19
	v_pk_mov_b32 v[22:23], s[22:23], s[22:23] op_sel:[0,1]
	s_and_saveexec_b64 s[30:31], s[4:5]
	s_cbranch_execz .LBB239_1183
; %bb.1182:                             ;   in Loop: Header=BB239_626 Depth=1
	v_mov_b32_e32 v22, 7
	v_and_b32_sdwa v50, v18, v22 dst_sel:DWORD dst_unused:UNUSED_PAD src0_sel:BYTE_1 src1_sel:DWORD
	v_lshrrev_b32_e32 v28, 3, v19
	v_cmp_gt_u32_e64 s[4:5], 8, v19
	v_ffbh_u32_e32 v19, v50
	v_min_u32_e32 v19, 32, v19
	v_subrev_u32_e32 v22, 28, v19
	v_lshlrev_b64 v[22:23], v22, v[50:51]
	v_sub_u32_e32 v19, 29, v19
	v_and_b32_e32 v22, 7, v22
	v_cndmask_b32_e64 v19, v28, v19, s[4:5]
	v_bfrev_b32_e32 v28, 60
	v_cndmask_b32_e64 v22, v50, v22, s[4:5]
	v_lshlrev_b32_e32 v23, 16, v18
	v_lshl_add_u32 v19, v19, 23, v28
	v_and_or_b32 v19, v23, s13, v19
	v_lshlrev_b32_e32 v22, 20, v22
	v_or_b32_e32 v23, v19, v22
	v_mov_b32_e32 v22, v51
.LBB239_1183:                           ;   in Loop: Header=BB239_626 Depth=1
	s_or_b64 exec, exec, s[30:31]
.LBB239_1184:                           ;   in Loop: Header=BB239_626 Depth=1
	s_or_b64 exec, exec, s[28:29]
.LBB239_1185:                           ;   in Loop: Header=BB239_626 Depth=1
	s_or_b64 exec, exec, s[26:27]
	v_lshrrev_b32_e32 v32, 16, v18
	v_pk_mov_b32 v[30:31], 0, 0
	v_cmp_ne_u16_sdwa s[4:5], v32, v51 src0_sel:BYTE_0 src1_sel:DWORD
	v_pk_mov_b32 v[28:29], v[30:31], v[30:31] op_sel:[0,1]
	s_and_saveexec_b64 s[26:27], s[4:5]
	s_cbranch_execz .LBB239_1191
; %bb.1186:                             ;   in Loop: Header=BB239_626 Depth=1
	v_bfrev_b32_e32 v28, 1
	v_cmp_ne_u16_sdwa s[4:5], v32, s7 src0_sel:BYTE_0 src1_sel:DWORD
	v_mov_b32_e32 v29, 0
	s_and_saveexec_b64 s[28:29], s[4:5]
	s_cbranch_execz .LBB239_1190
; %bb.1187:                             ;   in Loop: Header=BB239_626 Depth=1
	v_bfe_u32 v19, v18, 16, 7
	v_mov_b32_e32 v28, 0x7f800001
	v_cmp_ne_u32_e64 s[4:5], s15, v19
	v_mov_b32_e32 v29, 0
	s_and_saveexec_b64 s[30:31], s[4:5]
	s_cbranch_execz .LBB239_1189
; %bb.1188:                             ;   in Loop: Header=BB239_626 Depth=1
	v_and_b32_e32 v33, 7, v32
	v_lshrrev_b32_e32 v38, 3, v19
	v_cmp_gt_u32_e64 s[4:5], 8, v19
	v_ffbh_u32_e32 v19, v33
	v_min_u32_e32 v19, 32, v19
	v_subrev_u32_e32 v28, 28, v19
	v_lshlrev_b64 v[28:29], v28, v[32:33]
	v_sub_u32_e32 v19, 29, v19
	v_and_b32_e32 v28, 7, v28
	v_cndmask_b32_e64 v19, v38, v19, s[4:5]
	v_cndmask_b32_e64 v28, v33, v28, s[4:5]
	v_and_b32_sdwa v29, sext(v32), s13 dst_sel:DWORD dst_unused:UNUSED_PAD src0_sel:BYTE_0 src1_sel:DWORD
	v_bfrev_b32_e32 v32, 60
	v_lshlrev_b32_e32 v28, 20, v28
	v_lshl_add_u32 v19, v19, 23, v32
	v_or3_b32 v50, v29, v19, v28
	v_pk_mov_b32 v[28:29], v[50:51], v[50:51] op_sel:[0,1]
.LBB239_1189:                           ;   in Loop: Header=BB239_626 Depth=1
	s_or_b64 exec, exec, s[30:31]
.LBB239_1190:                           ;   in Loop: Header=BB239_626 Depth=1
	s_or_b64 exec, exec, s[28:29]
.LBB239_1191:                           ;   in Loop: Header=BB239_626 Depth=1
	s_or_b64 exec, exec, s[26:27]
	v_cmp_lt_u32_e64 s[4:5], s34, v18
	s_and_saveexec_b64 s[26:27], s[4:5]
	s_cbranch_execz .LBB239_1197
; %bb.1192:                             ;   in Loop: Header=BB239_626 Depth=1
	v_cmp_ne_u32_sdwa s[4:5], v18, s7 src0_sel:BYTE_3 src1_sel:DWORD
	v_pk_mov_b32 v[30:31], s[12:13], s[12:13] op_sel:[0,1]
	s_and_saveexec_b64 s[28:29], s[4:5]
	s_cbranch_execz .LBB239_1196
; %bb.1193:                             ;   in Loop: Header=BB239_626 Depth=1
	v_bfe_u32 v19, v18, 24, 7
	s_mov_b32 s22, s12
	v_cmp_ne_u32_e64 s[4:5], s15, v19
	v_pk_mov_b32 v[30:31], s[22:23], s[22:23] op_sel:[0,1]
	s_and_saveexec_b64 s[30:31], s[4:5]
	s_cbranch_execz .LBB239_1195
; %bb.1194:                             ;   in Loop: Header=BB239_626 Depth=1
	v_mov_b32_e32 v30, 7
	v_and_b32_sdwa v50, v18, v30 dst_sel:DWORD dst_unused:UNUSED_PAD src0_sel:BYTE_3 src1_sel:DWORD
	v_lshrrev_b32_e32 v32, 3, v19
	v_cmp_gt_u32_e64 s[4:5], 8, v19
	v_ffbh_u32_e32 v19, v50
	v_min_u32_e32 v19, 32, v19
	v_subrev_u32_e32 v30, 28, v19
	v_lshlrev_b64 v[30:31], v30, v[50:51]
	v_sub_u32_e32 v19, 29, v19
	v_mov_b32_e32 v31, 24
	v_and_b32_e32 v30, 7, v30
	v_cndmask_b32_e64 v19, v32, v19, s[4:5]
	v_lshlrev_b32_sdwa v18, v31, v18 dst_sel:DWORD dst_unused:UNUSED_PAD src0_sel:DWORD src1_sel:BYTE_3
	v_bfrev_b32_e32 v31, 60
	v_cndmask_b32_e64 v30, v50, v30, s[4:5]
	v_lshl_add_u32 v19, v19, 23, v31
	v_and_or_b32 v18, v18, s13, v19
	v_lshlrev_b32_e32 v19, 20, v30
	v_or_b32_e32 v31, v18, v19
	v_mov_b32_e32 v30, v51
.LBB239_1195:                           ;   in Loop: Header=BB239_626 Depth=1
	s_or_b64 exec, exec, s[30:31]
.LBB239_1196:                           ;   in Loop: Header=BB239_626 Depth=1
	s_or_b64 exec, exec, s[28:29]
.LBB239_1197:                           ;   in Loop: Header=BB239_626 Depth=1
	s_or_b64 exec, exec, s[26:27]
	v_or_b32_e32 v19, v23, v21
	v_or_b32_e32 v18, v22, v20
	;; [unrolled: 1-line block ×4, first 2 shown]
	v_pk_mul_f32 v[18:19], v[26:27], v[18:19]
	v_pk_mul_f32 v[20:21], v[26:27], v[20:21]
	s_and_saveexec_b64 s[26:27], vcc
	s_cbranch_execz .LBB239_1199
; %bb.1198:                             ;   in Loop: Header=BB239_626 Depth=1
	v_accvgpr_read_b32 v22, a57
	v_cmp_lt_i32_e64 s[4:5], v22, v62
	v_accvgpr_read_b32 v22, a63
	v_cndmask_b32_e64 v18, 0, v18, s[4:5]
	v_cmp_lt_i32_e64 s[4:5], v22, v62
	v_accvgpr_read_b32 v22, a61
	v_cndmask_b32_e64 v19, 0, v19, s[4:5]
	;; [unrolled: 3-line block ×3, first 2 shown]
	v_cmp_lt_i32_e64 s[4:5], v22, v62
	v_cndmask_b32_e64 v21, 0, v21, s[4:5]
.LBB239_1199:                           ;   in Loop: Header=BB239_626 Depth=1
	s_or_b64 exec, exec, s[26:27]
	v_accvgpr_read_b32 v22, a62
	v_add_co_u32_e64 v22, s[4:5], v52, v22
	v_addc_co_u32_e64 v23, s[4:5], 0, v53, s[4:5]
	flat_load_dword v22, v[22:23]
	v_pk_mov_b32 v[28:29], 0, 0
	v_pk_mov_b32 v[30:31], v[28:29], v[28:29] op_sel:[0,1]
	s_waitcnt vmcnt(0) lgkmcnt(0)
	v_cmp_ne_u16_sdwa s[4:5], v22, v51 src0_sel:BYTE_0 src1_sel:DWORD
	s_and_saveexec_b64 s[26:27], s[4:5]
	s_cbranch_execz .LBB239_1205
; %bb.1200:                             ;   in Loop: Header=BB239_626 Depth=1
	v_bfrev_b32_e32 v30, 1
	v_cmp_ne_u16_sdwa s[4:5], v22, s7 src0_sel:BYTE_0 src1_sel:DWORD
	v_mov_b32_e32 v31, 0
	s_and_saveexec_b64 s[28:29], s[4:5]
	s_cbranch_execz .LBB239_1204
; %bb.1201:                             ;   in Loop: Header=BB239_626 Depth=1
	v_and_b32_e32 v23, 0x7f, v22
	v_mov_b32_e32 v30, 0x7f800001
	v_cmp_ne_u32_e64 s[4:5], s15, v23
	v_mov_b32_e32 v31, 0
	s_and_saveexec_b64 s[30:31], s[4:5]
	s_cbranch_execz .LBB239_1203
; %bb.1202:                             ;   in Loop: Header=BB239_626 Depth=1
	v_and_b32_e32 v32, 7, v22
	v_lshrrev_b32_e32 v33, 3, v23
	v_cmp_gt_u32_e64 s[4:5], 8, v23
	v_ffbh_u32_e32 v23, v32
	v_min_u32_e32 v23, 32, v23
	v_subrev_u32_e32 v30, 28, v23
	v_lshlrev_b64 v[30:31], v30, v[22:23]
	v_sub_u32_e32 v23, 29, v23
	v_and_b32_e32 v30, 7, v30
	v_cndmask_b32_e64 v23, v33, v23, s[4:5]
	v_cndmask_b32_e64 v30, v32, v30, s[4:5]
	v_bfrev_b32_e32 v32, 60
	v_lshlrev_b32_e32 v30, 20, v30
	v_and_b32_sdwa v31, sext(v22), s13 dst_sel:DWORD dst_unused:UNUSED_PAD src0_sel:BYTE_0 src1_sel:DWORD
	v_lshl_add_u32 v23, v23, 23, v32
	v_or3_b32 v50, v31, v23, v30
	v_pk_mov_b32 v[30:31], v[50:51], v[50:51] op_sel:[0,1]
.LBB239_1203:                           ;   in Loop: Header=BB239_626 Depth=1
	s_or_b64 exec, exec, s[30:31]
.LBB239_1204:                           ;   in Loop: Header=BB239_626 Depth=1
	s_or_b64 exec, exec, s[28:29]
.LBB239_1205:                           ;   in Loop: Header=BB239_626 Depth=1
	s_or_b64 exec, exec, s[26:27]
	v_cmp_ne_u16_sdwa s[4:5], v22, v51 src0_sel:BYTE_1 src1_sel:DWORD
	s_and_saveexec_b64 s[26:27], s[4:5]
	s_cbranch_execz .LBB239_1211
; %bb.1206:                             ;   in Loop: Header=BB239_626 Depth=1
	v_cmp_ne_u16_sdwa s[4:5], v22, s7 src0_sel:BYTE_1 src1_sel:DWORD
	v_pk_mov_b32 v[28:29], s[12:13], s[12:13] op_sel:[0,1]
	s_and_saveexec_b64 s[28:29], s[4:5]
	s_cbranch_execz .LBB239_1210
; %bb.1207:                             ;   in Loop: Header=BB239_626 Depth=1
	v_and_b32_sdwa v23, v22, s15 dst_sel:DWORD dst_unused:UNUSED_PAD src0_sel:BYTE_1 src1_sel:DWORD
	s_mov_b32 s22, s12
	v_cmp_ne_u32_e64 s[4:5], s15, v23
	v_pk_mov_b32 v[28:29], s[22:23], s[22:23] op_sel:[0,1]
	s_and_saveexec_b64 s[30:31], s[4:5]
	s_cbranch_execz .LBB239_1209
; %bb.1208:                             ;   in Loop: Header=BB239_626 Depth=1
	v_mov_b32_e32 v28, 7
	v_and_b32_sdwa v50, v22, v28 dst_sel:DWORD dst_unused:UNUSED_PAD src0_sel:BYTE_1 src1_sel:DWORD
	v_lshrrev_b32_e32 v32, 3, v23
	v_cmp_gt_u32_e64 s[4:5], 8, v23
	v_ffbh_u32_e32 v23, v50
	v_min_u32_e32 v23, 32, v23
	v_subrev_u32_e32 v28, 28, v23
	v_lshlrev_b64 v[28:29], v28, v[50:51]
	v_sub_u32_e32 v23, 29, v23
	v_and_b32_e32 v28, 7, v28
	v_cndmask_b32_e64 v23, v32, v23, s[4:5]
	v_bfrev_b32_e32 v32, 60
	v_cndmask_b32_e64 v28, v50, v28, s[4:5]
	v_lshlrev_b32_e32 v29, 16, v22
	v_lshl_add_u32 v23, v23, 23, v32
	v_and_or_b32 v23, v29, s13, v23
	v_lshlrev_b32_e32 v28, 20, v28
	v_or_b32_e32 v29, v23, v28
	v_mov_b32_e32 v28, v51
.LBB239_1209:                           ;   in Loop: Header=BB239_626 Depth=1
	s_or_b64 exec, exec, s[30:31]
.LBB239_1210:                           ;   in Loop: Header=BB239_626 Depth=1
	s_or_b64 exec, exec, s[28:29]
.LBB239_1211:                           ;   in Loop: Header=BB239_626 Depth=1
	s_or_b64 exec, exec, s[26:27]
	v_lshrrev_b32_e32 v48, 16, v22
	v_pk_mov_b32 v[38:39], 0, 0
	v_cmp_ne_u16_sdwa s[4:5], v48, v51 src0_sel:BYTE_0 src1_sel:DWORD
	v_pk_mov_b32 v[32:33], v[38:39], v[38:39] op_sel:[0,1]
	s_and_saveexec_b64 s[26:27], s[4:5]
	s_cbranch_execz .LBB239_1217
; %bb.1212:                             ;   in Loop: Header=BB239_626 Depth=1
	v_bfrev_b32_e32 v32, 1
	v_cmp_ne_u16_sdwa s[4:5], v48, s7 src0_sel:BYTE_0 src1_sel:DWORD
	v_mov_b32_e32 v33, 0
	s_and_saveexec_b64 s[28:29], s[4:5]
	s_cbranch_execz .LBB239_1216
; %bb.1213:                             ;   in Loop: Header=BB239_626 Depth=1
	v_bfe_u32 v23, v22, 16, 7
	v_mov_b32_e32 v32, 0x7f800001
	v_cmp_ne_u32_e64 s[4:5], s15, v23
	v_mov_b32_e32 v33, 0
	s_and_saveexec_b64 s[30:31], s[4:5]
	s_cbranch_execz .LBB239_1215
; %bb.1214:                             ;   in Loop: Header=BB239_626 Depth=1
	v_and_b32_e32 v49, 7, v48
	v_lshrrev_b32_e32 v50, 3, v23
	v_cmp_gt_u32_e64 s[4:5], 8, v23
	v_ffbh_u32_e32 v23, v49
	v_min_u32_e32 v23, 32, v23
	v_subrev_u32_e32 v32, 28, v23
	v_lshlrev_b64 v[32:33], v32, v[48:49]
	v_sub_u32_e32 v23, 29, v23
	v_and_b32_e32 v32, 7, v32
	v_cndmask_b32_e64 v23, v50, v23, s[4:5]
	v_cndmask_b32_e64 v32, v49, v32, s[4:5]
	v_and_b32_sdwa v33, sext(v48), s13 dst_sel:DWORD dst_unused:UNUSED_PAD src0_sel:BYTE_0 src1_sel:DWORD
	v_bfrev_b32_e32 v48, 60
	v_lshlrev_b32_e32 v32, 20, v32
	v_lshl_add_u32 v23, v23, 23, v48
	v_or3_b32 v50, v33, v23, v32
	v_pk_mov_b32 v[32:33], v[50:51], v[50:51] op_sel:[0,1]
.LBB239_1215:                           ;   in Loop: Header=BB239_626 Depth=1
	s_or_b64 exec, exec, s[30:31]
.LBB239_1216:                           ;   in Loop: Header=BB239_626 Depth=1
	s_or_b64 exec, exec, s[28:29]
.LBB239_1217:                           ;   in Loop: Header=BB239_626 Depth=1
	s_or_b64 exec, exec, s[26:27]
	v_cmp_lt_u32_e64 s[4:5], s34, v22
	s_and_saveexec_b64 s[26:27], s[4:5]
	s_cbranch_execz .LBB239_1223
; %bb.1218:                             ;   in Loop: Header=BB239_626 Depth=1
	v_cmp_ne_u32_sdwa s[4:5], v22, s7 src0_sel:BYTE_3 src1_sel:DWORD
	v_pk_mov_b32 v[38:39], s[12:13], s[12:13] op_sel:[0,1]
	s_and_saveexec_b64 s[28:29], s[4:5]
	s_cbranch_execz .LBB239_1222
; %bb.1219:                             ;   in Loop: Header=BB239_626 Depth=1
	v_bfe_u32 v23, v22, 24, 7
	s_mov_b32 s22, s12
	v_cmp_ne_u32_e64 s[4:5], s15, v23
	v_pk_mov_b32 v[38:39], s[22:23], s[22:23] op_sel:[0,1]
	s_and_saveexec_b64 s[30:31], s[4:5]
	s_cbranch_execz .LBB239_1221
; %bb.1220:                             ;   in Loop: Header=BB239_626 Depth=1
	v_mov_b32_e32 v38, 7
	v_and_b32_sdwa v50, v22, v38 dst_sel:DWORD dst_unused:UNUSED_PAD src0_sel:BYTE_3 src1_sel:DWORD
	v_lshrrev_b32_e32 v48, 3, v23
	v_cmp_gt_u32_e64 s[4:5], 8, v23
	v_ffbh_u32_e32 v23, v50
	v_min_u32_e32 v23, 32, v23
	v_subrev_u32_e32 v38, 28, v23
	v_lshlrev_b64 v[38:39], v38, v[50:51]
	v_sub_u32_e32 v23, 29, v23
	v_mov_b32_e32 v39, 24
	v_and_b32_e32 v38, 7, v38
	v_cndmask_b32_e64 v23, v48, v23, s[4:5]
	v_lshlrev_b32_sdwa v22, v39, v22 dst_sel:DWORD dst_unused:UNUSED_PAD src0_sel:DWORD src1_sel:BYTE_3
	v_bfrev_b32_e32 v39, 60
	v_cndmask_b32_e64 v38, v50, v38, s[4:5]
	v_lshl_add_u32 v23, v23, 23, v39
	v_and_or_b32 v22, v22, s13, v23
	v_lshlrev_b32_e32 v23, 20, v38
	v_or_b32_e32 v39, v22, v23
	v_mov_b32_e32 v38, v51
.LBB239_1221:                           ;   in Loop: Header=BB239_626 Depth=1
	s_or_b64 exec, exec, s[30:31]
.LBB239_1222:                           ;   in Loop: Header=BB239_626 Depth=1
	s_or_b64 exec, exec, s[28:29]
.LBB239_1223:                           ;   in Loop: Header=BB239_626 Depth=1
	s_or_b64 exec, exec, s[26:27]
	v_or_b32_e32 v23, v29, v31
	v_or_b32_e32 v22, v28, v30
	;; [unrolled: 1-line block ×4, first 2 shown]
	v_pk_mul_f32 v[22:23], v[26:27], v[22:23]
	v_pk_mul_f32 v[28:29], v[26:27], v[28:29]
	s_and_saveexec_b64 s[26:27], vcc
	s_cbranch_execz .LBB239_1225
; %bb.1224:                             ;   in Loop: Header=BB239_626 Depth=1
	v_accvgpr_read_b32 v30, a57
	v_cmp_lt_i32_e64 s[4:5], v30, v62
	v_accvgpr_read_b32 v30, a63
	v_cndmask_b32_e64 v22, 0, v22, s[4:5]
	v_cmp_lt_i32_e64 s[4:5], v30, v62
	v_accvgpr_read_b32 v30, a61
	v_cndmask_b32_e64 v23, 0, v23, s[4:5]
	;; [unrolled: 3-line block ×3, first 2 shown]
	v_cmp_lt_i32_e64 s[4:5], v30, v62
	v_cndmask_b32_e64 v29, 0, v29, s[4:5]
.LBB239_1225:                           ;   in Loop: Header=BB239_626 Depth=1
	s_or_b64 exec, exec, s[26:27]
	buffer_load_dword v30, off, s[0:3], s32 offset:392 ; 4-byte Folded Reload
	buffer_load_dword v31, off, s[0:3], s32 offset:396 ; 4-byte Folded Reload
	s_waitcnt vmcnt(1)
	v_add_co_u32_e64 v30, s[4:5], v52, v30
	s_waitcnt vmcnt(0)
	v_addc_co_u32_e64 v31, s[4:5], 0, v53, s[4:5]
	flat_load_dword v52, v[30:31]
	v_pk_mov_b32 v[30:31], 0, 0
	v_pk_mov_b32 v[32:33], v[30:31], v[30:31] op_sel:[0,1]
	s_waitcnt vmcnt(0) lgkmcnt(0)
	v_cmp_ne_u16_sdwa s[4:5], v52, v51 src0_sel:BYTE_0 src1_sel:DWORD
	s_and_saveexec_b64 s[26:27], s[4:5]
	s_cbranch_execz .LBB239_1231
; %bb.1226:                             ;   in Loop: Header=BB239_626 Depth=1
	v_bfrev_b32_e32 v32, 1
	v_cmp_ne_u16_sdwa s[4:5], v52, s7 src0_sel:BYTE_0 src1_sel:DWORD
	v_mov_b32_e32 v33, 0
	s_and_saveexec_b64 s[28:29], s[4:5]
	s_cbranch_execz .LBB239_1230
; %bb.1227:                             ;   in Loop: Header=BB239_626 Depth=1
	v_and_b32_e32 v38, 0x7f, v52
	v_mov_b32_e32 v32, 0x7f800001
	v_cmp_ne_u32_e64 s[4:5], s15, v38
	v_mov_b32_e32 v33, 0
	s_and_saveexec_b64 s[30:31], s[4:5]
	s_cbranch_execz .LBB239_1229
; %bb.1228:                             ;   in Loop: Header=BB239_626 Depth=1
	v_and_b32_e32 v39, 7, v52
	v_ffbh_u32_e32 v32, v39
	v_lshrrev_b32_e32 v48, 3, v38
	v_cmp_gt_u32_e64 s[4:5], 8, v38
	v_min_u32_e32 v38, 32, v32
	v_subrev_u32_e32 v32, 28, v38
	v_lshlrev_b64 v[32:33], v32, v[52:53]
	v_sub_u32_e32 v33, 29, v38
	v_and_b32_e32 v32, 7, v32
	v_cndmask_b32_e64 v33, v48, v33, s[4:5]
	v_cndmask_b32_e64 v32, v39, v32, s[4:5]
	v_bfrev_b32_e32 v39, 60
	v_lshlrev_b32_e32 v32, 20, v32
	v_and_b32_sdwa v38, sext(v52), s13 dst_sel:DWORD dst_unused:UNUSED_PAD src0_sel:BYTE_0 src1_sel:DWORD
	v_lshl_add_u32 v33, v33, 23, v39
	v_or3_b32 v50, v38, v33, v32
	v_pk_mov_b32 v[32:33], v[50:51], v[50:51] op_sel:[0,1]
.LBB239_1229:                           ;   in Loop: Header=BB239_626 Depth=1
	s_or_b64 exec, exec, s[30:31]
.LBB239_1230:                           ;   in Loop: Header=BB239_626 Depth=1
	s_or_b64 exec, exec, s[28:29]
.LBB239_1231:                           ;   in Loop: Header=BB239_626 Depth=1
	s_or_b64 exec, exec, s[26:27]
	v_cmp_ne_u16_sdwa s[4:5], v52, v51 src0_sel:BYTE_1 src1_sel:DWORD
	s_and_saveexec_b64 s[26:27], s[4:5]
	s_cbranch_execz .LBB239_1237
; %bb.1232:                             ;   in Loop: Header=BB239_626 Depth=1
	v_cmp_ne_u16_sdwa s[4:5], v52, s7 src0_sel:BYTE_1 src1_sel:DWORD
	v_pk_mov_b32 v[30:31], s[12:13], s[12:13] op_sel:[0,1]
	s_and_saveexec_b64 s[28:29], s[4:5]
	s_cbranch_execz .LBB239_1236
; %bb.1233:                             ;   in Loop: Header=BB239_626 Depth=1
	v_and_b32_sdwa v38, v52, s15 dst_sel:DWORD dst_unused:UNUSED_PAD src0_sel:BYTE_1 src1_sel:DWORD
	s_mov_b32 s22, s12
	v_cmp_ne_u32_e64 s[4:5], s15, v38
	v_pk_mov_b32 v[30:31], s[22:23], s[22:23] op_sel:[0,1]
	s_and_saveexec_b64 s[30:31], s[4:5]
	s_cbranch_execz .LBB239_1235
; %bb.1234:                             ;   in Loop: Header=BB239_626 Depth=1
	v_mov_b32_e32 v30, 7
	v_and_b32_sdwa v50, v52, v30 dst_sel:DWORD dst_unused:UNUSED_PAD src0_sel:BYTE_1 src1_sel:DWORD
	v_ffbh_u32_e32 v30, v50
	v_lshrrev_b32_e32 v39, 3, v38
	v_cmp_gt_u32_e64 s[4:5], 8, v38
	v_min_u32_e32 v38, 32, v30
	v_subrev_u32_e32 v30, 28, v38
	v_lshlrev_b64 v[30:31], v30, v[50:51]
	v_sub_u32_e32 v31, 29, v38
	v_and_b32_e32 v30, 7, v30
	v_cndmask_b32_e64 v31, v39, v31, s[4:5]
	v_bfrev_b32_e32 v39, 60
	v_cndmask_b32_e64 v30, v50, v30, s[4:5]
	v_lshlrev_b32_e32 v38, 16, v52
	v_lshl_add_u32 v31, v31, 23, v39
	v_and_or_b32 v31, v38, s13, v31
	v_lshlrev_b32_e32 v30, 20, v30
	v_or_b32_e32 v31, v31, v30
	v_mov_b32_e32 v30, v51
.LBB239_1235:                           ;   in Loop: Header=BB239_626 Depth=1
	s_or_b64 exec, exec, s[30:31]
.LBB239_1236:                           ;   in Loop: Header=BB239_626 Depth=1
	s_or_b64 exec, exec, s[28:29]
.LBB239_1237:                           ;   in Loop: Header=BB239_626 Depth=1
	s_or_b64 exec, exec, s[26:27]
	v_lshrrev_b32_e32 v50, 16, v52
	v_pk_mov_b32 v[38:39], 0, 0
	v_cmp_ne_u16_sdwa s[4:5], v50, v51 src0_sel:BYTE_0 src1_sel:DWORD
	v_pk_mov_b32 v[48:49], v[38:39], v[38:39] op_sel:[0,1]
	s_and_saveexec_b64 s[26:27], s[4:5]
	s_cbranch_execz .LBB239_1243
; %bb.1238:                             ;   in Loop: Header=BB239_626 Depth=1
	v_bfrev_b32_e32 v48, 1
	v_cmp_ne_u16_sdwa s[4:5], v50, s7 src0_sel:BYTE_0 src1_sel:DWORD
	v_mov_b32_e32 v49, 0
	s_and_saveexec_b64 s[28:29], s[4:5]
	s_cbranch_execz .LBB239_1242
; %bb.1239:                             ;   in Loop: Header=BB239_626 Depth=1
	v_bfe_u32 v53, v52, 16, 7
	v_mov_b32_e32 v48, 0x7f800001
	v_cmp_ne_u32_e64 s[4:5], s15, v53
	v_mov_b32_e32 v49, 0
	s_and_saveexec_b64 s[30:31], s[4:5]
	s_cbranch_execz .LBB239_1241
; %bb.1240:                             ;   in Loop: Header=BB239_626 Depth=1
	v_and_b32_e32 v55, 7, v50
	v_ffbh_u32_e32 v48, v55
	v_accvgpr_write_b32 a14, v40
	v_lshrrev_b32_e32 v40, 3, v53
	v_cmp_gt_u32_e64 s[4:5], 8, v53
	v_min_u32_e32 v53, 32, v48
	v_subrev_u32_e32 v48, 28, v53
	v_lshlrev_b64 v[48:49], v48, v[50:51]
	v_and_b32_e32 v48, 7, v48
	v_cndmask_b32_e64 v48, v55, v48, s[4:5]
	buffer_load_dword v55, off, s[0:3], s32 offset:400 ; 4-byte Folded Reload
	v_sub_u32_e32 v49, 29, v53
	v_cndmask_b32_e64 v49, v40, v49, s[4:5]
	v_bfrev_b32_e32 v53, 60
	v_lshlrev_b32_e32 v48, 20, v48
	v_and_b32_sdwa v50, sext(v50), s13 dst_sel:DWORD dst_unused:UNUSED_PAD src0_sel:BYTE_0 src1_sel:DWORD
	v_lshl_add_u32 v49, v49, 23, v53
	v_or3_b32 v50, v50, v49, v48
	v_accvgpr_read_b32 v40, a14
	v_pk_mov_b32 v[48:49], v[50:51], v[50:51] op_sel:[0,1]
.LBB239_1241:                           ;   in Loop: Header=BB239_626 Depth=1
	s_or_b64 exec, exec, s[30:31]
.LBB239_1242:                           ;   in Loop: Header=BB239_626 Depth=1
	s_or_b64 exec, exec, s[28:29]
.LBB239_1243:                           ;   in Loop: Header=BB239_626 Depth=1
	s_or_b64 exec, exec, s[26:27]
	v_cmp_lt_u32_e64 s[4:5], s34, v52
	s_and_saveexec_b64 s[26:27], s[4:5]
	s_cbranch_execz .LBB239_1249
; %bb.1244:                             ;   in Loop: Header=BB239_626 Depth=1
	v_cmp_ne_u32_sdwa s[4:5], v52, s7 src0_sel:BYTE_3 src1_sel:DWORD
	v_pk_mov_b32 v[38:39], s[12:13], s[12:13] op_sel:[0,1]
	s_and_saveexec_b64 s[28:29], s[4:5]
	s_cbranch_execz .LBB239_1248
; %bb.1245:                             ;   in Loop: Header=BB239_626 Depth=1
	v_bfe_u32 v53, v52, 24, 7
	s_mov_b32 s22, s12
	v_cmp_ne_u32_e64 s[4:5], s15, v53
	v_pk_mov_b32 v[38:39], s[22:23], s[22:23] op_sel:[0,1]
	s_and_saveexec_b64 s[30:31], s[4:5]
	s_cbranch_execz .LBB239_1247
; %bb.1246:                             ;   in Loop: Header=BB239_626 Depth=1
	v_mov_b32_e32 v38, 7
	v_and_b32_sdwa v50, v52, v38 dst_sel:DWORD dst_unused:UNUSED_PAD src0_sel:BYTE_3 src1_sel:DWORD
	v_ffbh_u32_e32 v38, v50
	s_waitcnt vmcnt(0)
	v_lshrrev_b32_e32 v55, 3, v53
	v_cmp_gt_u32_e64 s[4:5], 8, v53
	v_min_u32_e32 v53, 32, v38
	v_subrev_u32_e32 v38, 28, v53
	v_lshlrev_b64 v[38:39], v38, v[50:51]
	v_sub_u32_e32 v39, 29, v53
	v_cndmask_b32_e64 v39, v55, v39, s[4:5]
	buffer_load_dword v55, off, s[0:3], s32 offset:400 ; 4-byte Folded Reload
	v_and_b32_e32 v38, 7, v38
	v_cndmask_b32_e64 v38, v50, v38, s[4:5]
	v_mov_b32_e32 v50, 24
	v_lshlrev_b32_sdwa v50, v50, v52 dst_sel:DWORD dst_unused:UNUSED_PAD src0_sel:DWORD src1_sel:BYTE_3
	v_bfrev_b32_e32 v52, 60
	v_lshl_add_u32 v39, v39, 23, v52
	v_and_or_b32 v39, v50, s13, v39
	v_lshlrev_b32_e32 v38, 20, v38
	v_or_b32_e32 v39, v39, v38
	v_mov_b32_e32 v38, v51
.LBB239_1247:                           ;   in Loop: Header=BB239_626 Depth=1
	s_or_b64 exec, exec, s[30:31]
.LBB239_1248:                           ;   in Loop: Header=BB239_626 Depth=1
	s_or_b64 exec, exec, s[28:29]
.LBB239_1249:                           ;   in Loop: Header=BB239_626 Depth=1
	s_or_b64 exec, exec, s[26:27]
	v_or_b32_e32 v31, v31, v33
	v_or_b32_e32 v30, v30, v32
	v_pk_mul_f32 v[52:53], v[26:27], v[30:31]
	v_or_b32_e32 v31, v39, v49
	v_or_b32_e32 v30, v38, v48
	v_pk_mul_f32 v[26:27], v[26:27], v[30:31]
	s_and_saveexec_b64 s[4:5], vcc
	s_cbranch_execz .LBB239_624
; %bb.1250:                             ;   in Loop: Header=BB239_626 Depth=1
	v_accvgpr_read_b32 v30, a57
	v_cmp_lt_i32_e32 vcc, v30, v62
	v_accvgpr_read_b32 v30, a63
	v_cndmask_b32_e32 v52, 0, v52, vcc
	v_cmp_lt_i32_e32 vcc, v30, v62
	v_accvgpr_read_b32 v30, a61
	v_cndmask_b32_e32 v53, 0, v53, vcc
	;; [unrolled: 3-line block ×3, first 2 shown]
	v_cmp_lt_i32_e32 vcc, v30, v62
	v_cndmask_b32_e32 v27, 0, v27, vcc
	s_branch .LBB239_624
.LBB239_1251:
	s_or_b64 exec, exec, s[20:21]
	buffer_load_dword v35, off, s[0:3], s32 offset:424 ; 4-byte Folded Reload
	buffer_load_dword v29, off, s[0:3], s32 offset:416 ; 4-byte Folded Reload
	;; [unrolled: 1-line block ×24, first 2 shown]
.LBB239_1252:
	s_or_b64 exec, exec, s[10:11]
	s_waitcnt vmcnt(0)
	ds_bpermute_b32 v2, v29, v6
	ds_bpermute_b32 v3, v29, v7
	v_pk_mov_b32 v[10:11], v[8:9], v[8:9] op_sel:[0,1]
	ds_bpermute_b32 v0, v29, v4
	ds_bpermute_b32 v1, v29, v5
	;; [unrolled: 1-line block ×3, first 2 shown]
	s_waitcnt lgkmcnt(0)
	v_pk_add_f32 v[2:3], v[6:7], v[2:3]
	ds_bpermute_b32 v6, v35, v2
	ds_bpermute_b32 v7, v35, v3
	;; [unrolled: 1-line block ×3, first 2 shown]
	v_pk_add_f32 v[0:1], v[4:5], v[0:1]
	ds_bpermute_b32 v4, v35, v0
	ds_bpermute_b32 v5, v35, v1
	s_waitcnt lgkmcnt(3)
	v_pk_add_f32 v[2:3], v[2:3], v[6:7]
	s_waitcnt lgkmcnt(2)
	v_pk_add_f32 v[6:7], v[10:11], v[8:9]
	ds_bpermute_b32 v8, v35, v6
	ds_bpermute_b32 v9, v35, v7
	;; [unrolled: 1-line block ×4, first 2 shown]
	s_waitcnt lgkmcnt(4)
	v_pk_add_f32 v[0:1], v[0:1], v[4:5]
	ds_bpermute_b32 v4, v36, v0
	s_waitcnt lgkmcnt(3)
	v_pk_add_f32 v[6:7], v[6:7], v[8:9]
	ds_bpermute_b32 v5, v36, v1
	;; [unrolled: 3-line block ×3, first 2 shown]
	ds_bpermute_b32 v9, v36, v7
	ds_bpermute_b32 v14, v35, v12
	;; [unrolled: 1-line block ×5, first 2 shown]
	s_waitcnt lgkmcnt(6)
	v_pk_add_f32 v[4:5], v[0:1], v[4:5]
	s_waitcnt lgkmcnt(4)
	v_pk_add_f32 v[0:1], v[6:7], v[8:9]
	s_waitcnt lgkmcnt(2)
	v_pk_add_f32 v[6:7], v[12:13], v[14:15]
	ds_bpermute_b32 v12, v29, v16
	ds_bpermute_b32 v13, v29, v17
	s_waitcnt lgkmcnt(2)
	v_pk_add_f32 v[2:3], v[2:3], v[10:11]
	ds_bpermute_b32 v10, v29, v18
	ds_bpermute_b32 v11, v29, v19
	ds_bpermute_b32 v8, v36, v6
	s_waitcnt lgkmcnt(3)
	v_pk_add_f32 v[12:13], v[16:17], v[12:13]
	ds_bpermute_b32 v16, v35, v12
	ds_bpermute_b32 v17, v35, v13
	s_waitcnt lgkmcnt(3)
	v_pk_add_f32 v[10:11], v[18:19], v[10:11]
	ds_bpermute_b32 v18, v29, v20
	ds_bpermute_b32 v19, v29, v21
	;; [unrolled: 1-line block ×3, first 2 shown]
	s_waitcnt lgkmcnt(3)
	v_pk_add_f32 v[16:17], v[12:13], v[16:17]
	ds_bpermute_b32 v14, v35, v10
	ds_bpermute_b32 v15, v35, v11
	s_waitcnt lgkmcnt(3)
	v_pk_add_f32 v[12:13], v[20:21], v[18:19]
	ds_bpermute_b32 v18, v35, v12
	ds_bpermute_b32 v19, v35, v13
	;; [unrolled: 1-line block ×6, first 2 shown]
	s_waitcnt lgkmcnt(6)
	v_pk_add_f32 v[10:11], v[10:11], v[14:15]
	s_waitcnt lgkmcnt(4)
	v_pk_add_f32 v[18:19], v[12:13], v[18:19]
	v_pk_add_f32 v[12:13], v[6:7], v[8:9]
	s_waitcnt lgkmcnt(1)
	v_pk_add_f32 v[22:23], v[26:27], v[22:23]
	s_waitcnt lgkmcnt(0)
	v_pk_add_f32 v[8:9], v[16:17], v[20:21]
	ds_bpermute_b32 v20, v29, v48
	ds_bpermute_b32 v21, v29, v49
	;; [unrolled: 1-line block ×8, first 2 shown]
	s_waitcnt lgkmcnt(6)
	v_pk_add_f32 v[20:21], v[48:49], v[20:21]
	s_waitcnt lgkmcnt(4)
	v_pk_add_f32 v[10:11], v[10:11], v[14:15]
	;; [unrolled: 2-line block ×3, first 2 shown]
	ds_bpermute_b32 v24, v35, v20
	s_waitcnt lgkmcnt(1)
	v_pk_add_f32 v[14:15], v[22:23], v[26:27]
	ds_bpermute_b32 v25, v35, v21
	ds_bpermute_b32 v26, v29, v32
	;; [unrolled: 1-line block ×5, first 2 shown]
	s_waitcnt lgkmcnt(4)
	v_pk_add_f32 v[24:25], v[20:21], v[24:25]
	s_waitcnt lgkmcnt(0)
	v_pk_add_f32 v[20:21], v[32:33], v[26:27]
	ds_bpermute_b32 v26, v35, v20
	ds_bpermute_b32 v27, v35, v21
	s_barrier
	s_waitcnt lgkmcnt(0)
	ds_bpermute_b32 v18, v29, v50
	ds_bpermute_b32 v19, v29, v51
	v_pk_add_f32 v[26:27], v[20:21], v[26:27]
	ds_bpermute_b32 v32, v36, v26
	ds_bpermute_b32 v33, v36, v27
	v_pk_add_f32 v[20:21], v[14:15], v[16:17]
	s_waitcnt lgkmcnt(2)
	v_pk_add_f32 v[18:19], v[50:51], v[18:19]
	ds_bpermute_b32 v22, v35, v18
	ds_bpermute_b32 v23, v35, v19
	s_waitcnt lgkmcnt(2)
	v_pk_add_f32 v[14:15], v[26:27], v[32:33]
	buffer_load_dword v26, off, s[0:3], s32 offset:796 ; 4-byte Folded Reload
	ds_bpermute_b32 v30, v29, v38
	ds_bpermute_b32 v31, v29, v39
	s_waitcnt lgkmcnt(2)
	v_pk_add_f32 v[18:19], v[18:19], v[22:23]
	ds_bpermute_b32 v22, v36, v18
	ds_bpermute_b32 v23, v36, v19
	ds_bpermute_b32 v28, v36, v24
	s_waitcnt lgkmcnt(3)
	v_pk_add_f32 v[30:31], v[38:39], v[30:31]
	ds_bpermute_b32 v34, v35, v30
	ds_bpermute_b32 v35, v35, v31
	;; [unrolled: 1-line block ×3, first 2 shown]
	s_waitcnt lgkmcnt(4)
	v_pk_add_f32 v[18:19], v[18:19], v[22:23]
	s_waitcnt lgkmcnt(1)
	v_pk_add_f32 v[22:23], v[30:31], v[34:35]
	;; [unrolled: 2-line block ×3, first 2 shown]
	ds_bpermute_b32 v24, v36, v22
	ds_bpermute_b32 v25, v36, v23
	s_waitcnt vmcnt(0)
	v_and_b32_e32 v26, 0x3c7, v26
	v_cmp_ne_u32_e32 vcc, 64, v26
	s_and_saveexec_b64 s[4:5], vcc
	s_xor_b64 s[4:5], exec, s[4:5]
; %bb.1253:
                                        ; implicit-def: $vgpr41
; %bb.1254:
	s_or_saveexec_b64 s[4:5], s[4:5]
	s_waitcnt lgkmcnt(0)
	v_pk_add_f32 v[22:23], v[22:23], v[24:25]
	s_xor_b64 exec, exec, s[4:5]
	s_cbranch_execz .LBB239_1256
; %bb.1255:
	s_load_dword s7, s[8:9], 0x0
	v_lshrrev_b32_e32 v24, 1, v41
	s_waitcnt lgkmcnt(0)
	v_add_u32_e32 v24, s7, v24
	ds_write2_b32 v24, v4, v5 offset1:8
	ds_write2_b32 v24, v2, v3 offset0:16 offset1:24
	ds_write2_b32 v24, v0, v1 offset0:32 offset1:40
	;; [unrolled: 1-line block ×11, first 2 shown]
.LBB239_1256:
	s_or_b64 exec, exec, s[4:5]
	s_waitcnt lgkmcnt(0)
	s_barrier
	buffer_load_dword v24, off, s[0:3], s32 offset:796 ; 4-byte Folded Reload
	s_waitcnt vmcnt(0)
	v_cmp_gt_u32_e32 vcc, 64, v24
	s_and_saveexec_b64 s[4:5], vcc
	s_cbranch_execz .LBB239_1283
; %bb.1257:
	buffer_load_dword v24, off, s[0:3], s32 offset:796 ; 4-byte Folded Reload
	v_cmp_eq_u32_e32 vcc, 0, v37
	s_waitcnt vmcnt(0)
	v_lshrrev_b32_e32 v24, 3, v24
	s_and_saveexec_b64 s[10:11], vcc
	s_cbranch_execnz .LBB239_1286
; %bb.1258:
	s_or_b64 exec, exec, s[10:11]
	s_and_saveexec_b64 s[10:11], vcc
	s_cbranch_execnz .LBB239_1287
.LBB239_1259:
	s_or_b64 exec, exec, s[10:11]
	s_and_saveexec_b64 s[10:11], vcc
	s_cbranch_execnz .LBB239_1288
.LBB239_1260:
	s_or_b64 exec, exec, s[10:11]
	s_and_saveexec_b64 s[10:11], vcc
	s_cbranch_execnz .LBB239_1289
.LBB239_1261:
	s_or_b64 exec, exec, s[10:11]
	s_and_saveexec_b64 s[10:11], vcc
	s_cbranch_execnz .LBB239_1290
.LBB239_1262:
	s_or_b64 exec, exec, s[10:11]
	s_and_saveexec_b64 s[10:11], vcc
	s_cbranch_execnz .LBB239_1291
.LBB239_1263:
	s_or_b64 exec, exec, s[10:11]
	s_and_saveexec_b64 s[10:11], vcc
	s_cbranch_execnz .LBB239_1292
.LBB239_1264:
	s_or_b64 exec, exec, s[10:11]
	s_and_saveexec_b64 s[10:11], vcc
	s_cbranch_execnz .LBB239_1293
.LBB239_1265:
	s_or_b64 exec, exec, s[10:11]
	s_and_saveexec_b64 s[10:11], vcc
	s_cbranch_execnz .LBB239_1294
.LBB239_1266:
	s_or_b64 exec, exec, s[10:11]
	s_and_saveexec_b64 s[10:11], vcc
	s_cbranch_execnz .LBB239_1295
.LBB239_1267:
	s_or_b64 exec, exec, s[10:11]
	s_and_saveexec_b64 s[10:11], vcc
	s_cbranch_execnz .LBB239_1296
.LBB239_1268:
	s_or_b64 exec, exec, s[10:11]
	s_and_saveexec_b64 s[10:11], vcc
	s_cbranch_execnz .LBB239_1297
.LBB239_1269:
	s_or_b64 exec, exec, s[10:11]
	s_and_saveexec_b64 s[10:11], vcc
	s_cbranch_execnz .LBB239_1298
.LBB239_1270:
	s_or_b64 exec, exec, s[10:11]
	s_and_saveexec_b64 s[10:11], vcc
	s_cbranch_execnz .LBB239_1299
.LBB239_1271:
	s_or_b64 exec, exec, s[10:11]
	s_and_saveexec_b64 s[10:11], vcc
	s_cbranch_execnz .LBB239_1300
.LBB239_1272:
	s_or_b64 exec, exec, s[10:11]
	s_and_saveexec_b64 s[10:11], vcc
	s_cbranch_execnz .LBB239_1301
.LBB239_1273:
	s_or_b64 exec, exec, s[10:11]
	s_and_saveexec_b64 s[10:11], vcc
	s_cbranch_execnz .LBB239_1302
.LBB239_1274:
	s_or_b64 exec, exec, s[10:11]
	s_and_saveexec_b64 s[10:11], vcc
	s_cbranch_execnz .LBB239_1303
.LBB239_1275:
	s_or_b64 exec, exec, s[10:11]
	s_and_saveexec_b64 s[10:11], vcc
	s_cbranch_execnz .LBB239_1304
.LBB239_1276:
	s_or_b64 exec, exec, s[10:11]
	s_and_saveexec_b64 s[10:11], vcc
	s_cbranch_execnz .LBB239_1305
.LBB239_1277:
	s_or_b64 exec, exec, s[10:11]
	s_and_saveexec_b64 s[10:11], vcc
	s_cbranch_execnz .LBB239_1306
.LBB239_1278:
	s_or_b64 exec, exec, s[10:11]
	s_and_saveexec_b64 s[10:11], vcc
	s_cbranch_execnz .LBB239_1307
.LBB239_1279:
	s_or_b64 exec, exec, s[10:11]
	s_and_saveexec_b64 s[10:11], vcc
	s_cbranch_execnz .LBB239_1308
.LBB239_1280:
	s_or_b64 exec, exec, s[10:11]
	s_and_saveexec_b64 s[10:11], vcc
	s_cbranch_execz .LBB239_1282
.LBB239_1281:
	s_load_dword s7, s[8:9], 0x0
	s_waitcnt lgkmcnt(0)
	v_lshl_add_u32 v24, v24, 2, s7
	ds_read_b32 v24, v24 offset:736
	s_waitcnt lgkmcnt(0)
	v_add_f32_e32 v23, v24, v23
.LBB239_1282:
	s_or_b64 exec, exec, s[10:11]
.LBB239_1283:
	s_or_b64 exec, exec, s[4:5]
	v_cmp_eq_u32_e32 vcc, 0, v26
	s_barrier
	s_and_b64 exec, exec, vcc
	s_cbranch_execz .LBB239_1285
; %bb.1284:
	buffer_load_dword v25, off, s[0:3], s32 offset:876 ; 4-byte Folded Reload
	buffer_load_dword v26, off, s[0:3], s32 offset:872 ; 4-byte Folded Reload
	s_mul_i32 s4, s6, 0xc0
	s_mul_i32 s6, s18, s19
	;; [unrolled: 1-line block ×3, first 2 shown]
	s_ashr_i32 s5, s4, 31
	s_ashr_i32 s7, s6, 31
	;; [unrolled: 1-line block ×3, first 2 shown]
	s_lshl_b64 s[4:5], s[4:5], 2
	s_lshl_b64 s[6:7], s[6:7], 2
	;; [unrolled: 1-line block ×3, first 2 shown]
	s_add_u32 s6, s8, s6
	s_addc_u32 s7, s9, s7
	s_add_u32 s4, s6, s4
	s_addc_u32 s5, s7, s5
	v_mov_b32_e32 v24, s5
	s_waitcnt vmcnt(1)
	v_add_co_u32_e32 v25, vcc, s4, v25
	s_waitcnt vmcnt(0)
	v_addc_co_u32_e32 v26, vcc, v24, v26, vcc
	buffer_load_dword v24, off, s[0:3], s32 offset:796 ; 4-byte Folded Reload
	s_waitcnt vmcnt(0)
	v_lshrrev_b32_e32 v24, 1, v24
	v_add_co_u32_e32 v24, vcc, v25, v24
	v_addc_co_u32_e32 v25, vcc, 0, v26, vcc
	flat_store_dword v[24:25], v4
	flat_store_dword v[24:25], v5 offset:32
	flat_store_dword v[24:25], v2 offset:64
	;; [unrolled: 1-line block ×23, first 2 shown]
.LBB239_1285:
	s_or_b64 exec, exec, s[16:17]
	buffer_load_dword a63, off, s[0:3], s32 offset:8 ; 4-byte Folded Reload
	buffer_load_dword a62, off, s[0:3], s32 offset:12 ; 4-byte Folded Reload
	;; [unrolled: 1-line block ×47, first 2 shown]
	v_readlane_b32 s30, v63, 11
	v_readlane_b32 s31, v63, 12
	;; [unrolled: 1-line block ×13, first 2 shown]
	s_or_saveexec_b64 s[4:5], -1
	buffer_load_dword v63, off, s[0:3], s32 offset:936 ; 4-byte Folded Reload
	s_mov_b64 exec, s[4:5]
	s_waitcnt vmcnt(0) lgkmcnt(0)
	s_setpc_b64 s[30:31]
.LBB239_1286:
	s_load_dword s7, s[8:9], 0x0
	s_waitcnt lgkmcnt(0)
	v_lshl_add_u32 v25, v24, 2, s7
	ds_read_b32 v25, v25
	s_waitcnt lgkmcnt(0)
	v_add_f32_e32 v4, v25, v4
	s_or_b64 exec, exec, s[10:11]
	s_and_saveexec_b64 s[10:11], vcc
	s_cbranch_execz .LBB239_1259
.LBB239_1287:
	s_load_dword s7, s[8:9], 0x0
	s_waitcnt lgkmcnt(0)
	v_lshl_add_u32 v25, v24, 2, s7
	ds_read_b32 v25, v25 offset:32
	s_waitcnt lgkmcnt(0)
	v_add_f32_e32 v5, v25, v5
	s_or_b64 exec, exec, s[10:11]
	s_and_saveexec_b64 s[10:11], vcc
	s_cbranch_execz .LBB239_1260
.LBB239_1288:
	s_load_dword s7, s[8:9], 0x0
	s_waitcnt lgkmcnt(0)
	v_lshl_add_u32 v25, v24, 2, s7
	ds_read_b32 v25, v25 offset:64
	s_waitcnt lgkmcnt(0)
	v_add_f32_e32 v2, v25, v2
	s_or_b64 exec, exec, s[10:11]
	s_and_saveexec_b64 s[10:11], vcc
	s_cbranch_execz .LBB239_1261
.LBB239_1289:
	s_load_dword s7, s[8:9], 0x0
	s_waitcnt lgkmcnt(0)
	v_lshl_add_u32 v25, v24, 2, s7
	ds_read_b32 v25, v25 offset:96
	s_waitcnt lgkmcnt(0)
	v_add_f32_e32 v3, v25, v3
	s_or_b64 exec, exec, s[10:11]
	s_and_saveexec_b64 s[10:11], vcc
	s_cbranch_execz .LBB239_1262
.LBB239_1290:
	s_load_dword s7, s[8:9], 0x0
	s_waitcnt lgkmcnt(0)
	v_lshl_add_u32 v25, v24, 2, s7
	ds_read_b32 v25, v25 offset:128
	s_waitcnt lgkmcnt(0)
	v_add_f32_e32 v0, v25, v0
	s_or_b64 exec, exec, s[10:11]
	s_and_saveexec_b64 s[10:11], vcc
	s_cbranch_execz .LBB239_1263
.LBB239_1291:
	s_load_dword s7, s[8:9], 0x0
	s_waitcnt lgkmcnt(0)
	v_lshl_add_u32 v25, v24, 2, s7
	ds_read_b32 v25, v25 offset:160
	s_waitcnt lgkmcnt(0)
	v_add_f32_e32 v1, v25, v1
	s_or_b64 exec, exec, s[10:11]
	s_and_saveexec_b64 s[10:11], vcc
	s_cbranch_execz .LBB239_1264
.LBB239_1292:
	s_load_dword s7, s[8:9], 0x0
	s_waitcnt lgkmcnt(0)
	v_lshl_add_u32 v25, v24, 2, s7
	ds_read_b32 v25, v25 offset:192
	s_waitcnt lgkmcnt(0)
	v_add_f32_e32 v12, v25, v12
	s_or_b64 exec, exec, s[10:11]
	s_and_saveexec_b64 s[10:11], vcc
	s_cbranch_execz .LBB239_1265
.LBB239_1293:
	s_load_dword s7, s[8:9], 0x0
	s_waitcnt lgkmcnt(0)
	v_lshl_add_u32 v25, v24, 2, s7
	ds_read_b32 v25, v25 offset:224
	s_waitcnt lgkmcnt(0)
	v_add_f32_e32 v13, v25, v13
	s_or_b64 exec, exec, s[10:11]
	s_and_saveexec_b64 s[10:11], vcc
	s_cbranch_execz .LBB239_1266
.LBB239_1294:
	s_load_dword s7, s[8:9], 0x0
	s_waitcnt lgkmcnt(0)
	v_lshl_add_u32 v25, v24, 2, s7
	ds_read_b32 v25, v25 offset:256
	s_waitcnt lgkmcnt(0)
	v_add_f32_e32 v10, v25, v10
	s_or_b64 exec, exec, s[10:11]
	s_and_saveexec_b64 s[10:11], vcc
	s_cbranch_execz .LBB239_1267
.LBB239_1295:
	s_load_dword s7, s[8:9], 0x0
	s_waitcnt lgkmcnt(0)
	v_lshl_add_u32 v25, v24, 2, s7
	ds_read_b32 v25, v25 offset:288
	s_waitcnt lgkmcnt(0)
	v_add_f32_e32 v11, v25, v11
	s_or_b64 exec, exec, s[10:11]
	s_and_saveexec_b64 s[10:11], vcc
	s_cbranch_execz .LBB239_1268
.LBB239_1296:
	s_load_dword s7, s[8:9], 0x0
	s_waitcnt lgkmcnt(0)
	v_lshl_add_u32 v25, v24, 2, s7
	ds_read_b32 v25, v25 offset:320
	s_waitcnt lgkmcnt(0)
	v_add_f32_e32 v8, v25, v8
	s_or_b64 exec, exec, s[10:11]
	s_and_saveexec_b64 s[10:11], vcc
	s_cbranch_execz .LBB239_1269
.LBB239_1297:
	s_load_dword s7, s[8:9], 0x0
	s_waitcnt lgkmcnt(0)
	v_lshl_add_u32 v25, v24, 2, s7
	ds_read_b32 v25, v25 offset:352
	s_waitcnt lgkmcnt(0)
	v_add_f32_e32 v9, v25, v9
	s_or_b64 exec, exec, s[10:11]
	s_and_saveexec_b64 s[10:11], vcc
	s_cbranch_execz .LBB239_1270
.LBB239_1298:
	s_load_dword s7, s[8:9], 0x0
	s_waitcnt lgkmcnt(0)
	v_lshl_add_u32 v25, v24, 2, s7
	ds_read_b32 v25, v25 offset:384
	s_waitcnt lgkmcnt(0)
	v_add_f32_e32 v6, v25, v6
	s_or_b64 exec, exec, s[10:11]
	s_and_saveexec_b64 s[10:11], vcc
	s_cbranch_execz .LBB239_1271
.LBB239_1299:
	s_load_dword s7, s[8:9], 0x0
	s_waitcnt lgkmcnt(0)
	v_lshl_add_u32 v25, v24, 2, s7
	ds_read_b32 v25, v25 offset:416
	s_waitcnt lgkmcnt(0)
	v_add_f32_e32 v7, v25, v7
	s_or_b64 exec, exec, s[10:11]
	s_and_saveexec_b64 s[10:11], vcc
	s_cbranch_execz .LBB239_1272
.LBB239_1300:
	s_load_dword s7, s[8:9], 0x0
	s_waitcnt lgkmcnt(0)
	v_lshl_add_u32 v25, v24, 2, s7
	ds_read_b32 v25, v25 offset:448
	s_waitcnt lgkmcnt(0)
	v_add_f32_e32 v20, v25, v20
	s_or_b64 exec, exec, s[10:11]
	s_and_saveexec_b64 s[10:11], vcc
	s_cbranch_execz .LBB239_1273
.LBB239_1301:
	s_load_dword s7, s[8:9], 0x0
	s_waitcnt lgkmcnt(0)
	v_lshl_add_u32 v25, v24, 2, s7
	ds_read_b32 v25, v25 offset:480
	s_waitcnt lgkmcnt(0)
	v_add_f32_e32 v21, v25, v21
	s_or_b64 exec, exec, s[10:11]
	s_and_saveexec_b64 s[10:11], vcc
	s_cbranch_execz .LBB239_1274
.LBB239_1302:
	s_load_dword s7, s[8:9], 0x0
	s_waitcnt lgkmcnt(0)
	v_lshl_add_u32 v25, v24, 2, s7
	ds_read_b32 v25, v25 offset:512
	s_waitcnt lgkmcnt(0)
	v_add_f32_e32 v18, v25, v18
	s_or_b64 exec, exec, s[10:11]
	s_and_saveexec_b64 s[10:11], vcc
	s_cbranch_execz .LBB239_1275
.LBB239_1303:
	s_load_dword s7, s[8:9], 0x0
	s_waitcnt lgkmcnt(0)
	v_lshl_add_u32 v25, v24, 2, s7
	ds_read_b32 v25, v25 offset:544
	s_waitcnt lgkmcnt(0)
	v_add_f32_e32 v19, v25, v19
	s_or_b64 exec, exec, s[10:11]
	s_and_saveexec_b64 s[10:11], vcc
	s_cbranch_execz .LBB239_1276
.LBB239_1304:
	s_load_dword s7, s[8:9], 0x0
	s_waitcnt lgkmcnt(0)
	v_lshl_add_u32 v25, v24, 2, s7
	ds_read_b32 v25, v25 offset:576
	s_waitcnt lgkmcnt(0)
	v_add_f32_e32 v16, v25, v16
	s_or_b64 exec, exec, s[10:11]
	s_and_saveexec_b64 s[10:11], vcc
	s_cbranch_execz .LBB239_1277
.LBB239_1305:
	s_load_dword s7, s[8:9], 0x0
	s_waitcnt lgkmcnt(0)
	v_lshl_add_u32 v25, v24, 2, s7
	ds_read_b32 v25, v25 offset:608
	s_waitcnt lgkmcnt(0)
	v_add_f32_e32 v17, v25, v17
	s_or_b64 exec, exec, s[10:11]
	s_and_saveexec_b64 s[10:11], vcc
	s_cbranch_execz .LBB239_1278
.LBB239_1306:
	s_load_dword s7, s[8:9], 0x0
	s_waitcnt lgkmcnt(0)
	v_lshl_add_u32 v25, v24, 2, s7
	ds_read_b32 v25, v25 offset:640
	s_waitcnt lgkmcnt(0)
	v_add_f32_e32 v14, v25, v14
	s_or_b64 exec, exec, s[10:11]
	s_and_saveexec_b64 s[10:11], vcc
	s_cbranch_execz .LBB239_1279
.LBB239_1307:
	s_load_dword s7, s[8:9], 0x0
	s_waitcnt lgkmcnt(0)
	v_lshl_add_u32 v25, v24, 2, s7
	ds_read_b32 v25, v25 offset:672
	s_waitcnt lgkmcnt(0)
	v_add_f32_e32 v15, v25, v15
	s_or_b64 exec, exec, s[10:11]
	s_and_saveexec_b64 s[10:11], vcc
	s_cbranch_execz .LBB239_1280
.LBB239_1308:
	s_load_dword s7, s[8:9], 0x0
	s_waitcnt lgkmcnt(0)
	v_lshl_add_u32 v25, v24, 2, s7
	ds_read_b32 v25, v25 offset:704
	s_waitcnt lgkmcnt(0)
	v_add_f32_e32 v22, v25, v22
	s_or_b64 exec, exec, s[10:11]
	s_and_saveexec_b64 s[10:11], vcc
	s_cbranch_execnz .LBB239_1281
	s_branch .LBB239_1282
.Lfunc_end239:
	.size	_ZN4vllm22paged_attention_kernelIfhLi192ELi32ELi128ELNS_18Fp8KVCacheDataTypeE1ELb1ELi512EEEvPfS2_PT_PKS3_PKT0_S9_ifPKiSB_iPKfiiiSD_SD_iiiii, .Lfunc_end239-_ZN4vllm22paged_attention_kernelIfhLi192ELi32ELi128ELNS_18Fp8KVCacheDataTypeE1ELb1ELi512EEEvPfS2_PT_PKS3_PKT0_S9_ifPKiSB_iPKfiiiSD_SD_iiiii
                                        ; -- End function
	.section	.AMDGPU.csdata,"",@progbits
; Function info:
; codeLenInByte = 63344
; NumSgprs: 49
; NumVgprs: 64
; NumAgprs: 64
; TotalNumVgprs: 128
; ScratchSize: 944
; MemoryBound: 0
	.section	.text._ZN4vllm25paged_attention_v2_kernelIfhLi192ELi32ELi128ELNS_18Fp8KVCacheDataTypeE1ELb1ELi512EEEvPfS2_PT_PKS3_PKT0_S9_ifPKiSB_iPKfiiiSD_SD_iiiii,"axG",@progbits,_ZN4vllm25paged_attention_v2_kernelIfhLi192ELi32ELi128ELNS_18Fp8KVCacheDataTypeE1ELb1ELi512EEEvPfS2_PT_PKS3_PKT0_S9_ifPKiSB_iPKfiiiSD_SD_iiiii,comdat
	.protected	_ZN4vllm25paged_attention_v2_kernelIfhLi192ELi32ELi128ELNS_18Fp8KVCacheDataTypeE1ELb1ELi512EEEvPfS2_PT_PKS3_PKT0_S9_ifPKiSB_iPKfiiiSD_SD_iiiii ; -- Begin function _ZN4vllm25paged_attention_v2_kernelIfhLi192ELi32ELi128ELNS_18Fp8KVCacheDataTypeE1ELb1ELi512EEEvPfS2_PT_PKS3_PKT0_S9_ifPKiSB_iPKfiiiSD_SD_iiiii
	.globl	_ZN4vllm25paged_attention_v2_kernelIfhLi192ELi32ELi128ELNS_18Fp8KVCacheDataTypeE1ELb1ELi512EEEvPfS2_PT_PKS3_PKT0_S9_ifPKiSB_iPKfiiiSD_SD_iiiii
	.p2align	8
	.type	_ZN4vllm25paged_attention_v2_kernelIfhLi192ELi32ELi128ELNS_18Fp8KVCacheDataTypeE1ELb1ELi512EEEvPfS2_PT_PKS3_PKT0_S9_ifPKiSB_iPKfiiiSD_SD_iiiii,@function
_ZN4vllm25paged_attention_v2_kernelIfhLi192ELi32ELi128ELNS_18Fp8KVCacheDataTypeE1ELb1ELi512EEEvPfS2_PT_PKS3_PKT0_S9_ifPKiSB_iPKfiiiSD_SD_iiiii: ; @_ZN4vllm25paged_attention_v2_kernelIfhLi192ELi32ELi128ELNS_18Fp8KVCacheDataTypeE1ELb1ELi512EEEvPfS2_PT_PKS3_PKT0_S9_ifPKiSB_iPKfiiiSD_SD_iiiii
; %bb.0:
	s_add_u32 flat_scratch_lo, s6, s11
	s_addc_u32 flat_scratch_hi, s7, 0
	s_add_u32 s0, s0, s11
	s_mov_b32 s12, s8
	s_load_dwordx8 s[24:31], s[4:5], 0x0
	s_load_dwordx8 s[16:23], s[4:5], 0x20
	s_load_dwordx2 s[6:7], s[4:5], 0x40
	s_load_dwordx4 s[44:47], s[4:5], 0x78
	s_load_dwordx2 s[34:35], s[4:5], 0x50
	s_load_dword s11, s[4:5], 0x48
	s_load_dword s8, s[4:5], 0x88
	s_load_dwordx8 s[36:43], s[4:5], 0x58
	s_mov_b32 s32, 0
	s_addc_u32 s1, s1, 0
	s_waitcnt lgkmcnt(0)
	v_mov_b32_e32 v1, s47
	buffer_store_dword v1, off, s[0:3], s32
	v_mov_b32_e32 v1, s8
	s_add_u32 s8, s4, 0x90
	s_mov_b32 s13, s9
	buffer_store_dword v1, off, s[0:3], s32 offset:4
	s_addc_u32 s9, s5, 0
	s_mov_b32 s14, s10
	s_mov_b32 s15, 35
	v_mov_b32_e32 v31, v0
	v_mov_b32_e32 v0, s24
	;; [unrolled: 1-line block ×32, first 2 shown]
	s_getpc_b64 s[4:5]
	s_add_u32 s4, s4, _ZN4vllm22paged_attention_kernelIfhLi192ELi32ELi128ELNS_18Fp8KVCacheDataTypeE1ELb1ELi512EEEvPfS2_PT_PKS3_PKT0_S9_ifPKiSB_iPKfiiiSD_SD_iiiii@rel32@lo+4
	s_addc_u32 s5, s5, _ZN4vllm22paged_attention_kernelIfhLi192ELi32ELi128ELNS_18Fp8KVCacheDataTypeE1ELb1ELi512EEEvPfS2_PT_PKS3_PKT0_S9_ifPKiSB_iPKfiiiSD_SD_iiiii@rel32@hi+12
	s_swappc_b64 s[30:31], s[4:5]
	s_endpgm
	.section	.rodata,"a",@progbits
	.p2align	6, 0x0
	.amdhsa_kernel _ZN4vllm25paged_attention_v2_kernelIfhLi192ELi32ELi128ELNS_18Fp8KVCacheDataTypeE1ELb1ELi512EEEvPfS2_PT_PKS3_PKT0_S9_ifPKiSB_iPKfiiiSD_SD_iiiii
		.amdhsa_group_segment_fixed_size 784
		.amdhsa_private_segment_fixed_size 944
		.amdhsa_kernarg_size 400
		.amdhsa_user_sgpr_count 8
		.amdhsa_user_sgpr_private_segment_buffer 1
		.amdhsa_user_sgpr_dispatch_ptr 0
		.amdhsa_user_sgpr_queue_ptr 0
		.amdhsa_user_sgpr_kernarg_segment_ptr 1
		.amdhsa_user_sgpr_dispatch_id 0
		.amdhsa_user_sgpr_flat_scratch_init 1
		.amdhsa_user_sgpr_kernarg_preload_length 0
		.amdhsa_user_sgpr_kernarg_preload_offset 0
		.amdhsa_user_sgpr_private_segment_size 0
		.amdhsa_uses_dynamic_stack 0
		.amdhsa_system_sgpr_private_segment_wavefront_offset 1
		.amdhsa_system_sgpr_workgroup_id_x 1
		.amdhsa_system_sgpr_workgroup_id_y 1
		.amdhsa_system_sgpr_workgroup_id_z 1
		.amdhsa_system_sgpr_workgroup_info 0
		.amdhsa_system_vgpr_workitem_id 0
		.amdhsa_next_free_vgpr 128
		.amdhsa_next_free_sgpr 48
		.amdhsa_accum_offset 64
		.amdhsa_reserve_vcc 1
		.amdhsa_reserve_flat_scratch 1
		.amdhsa_float_round_mode_32 0
		.amdhsa_float_round_mode_16_64 0
		.amdhsa_float_denorm_mode_32 3
		.amdhsa_float_denorm_mode_16_64 3
		.amdhsa_dx10_clamp 1
		.amdhsa_ieee_mode 1
		.amdhsa_fp16_overflow 0
		.amdhsa_tg_split 0
		.amdhsa_exception_fp_ieee_invalid_op 0
		.amdhsa_exception_fp_denorm_src 0
		.amdhsa_exception_fp_ieee_div_zero 0
		.amdhsa_exception_fp_ieee_overflow 0
		.amdhsa_exception_fp_ieee_underflow 0
		.amdhsa_exception_fp_ieee_inexact 0
		.amdhsa_exception_int_div_zero 0
	.end_amdhsa_kernel
	.section	.text._ZN4vllm25paged_attention_v2_kernelIfhLi192ELi32ELi128ELNS_18Fp8KVCacheDataTypeE1ELb1ELi512EEEvPfS2_PT_PKS3_PKT0_S9_ifPKiSB_iPKfiiiSD_SD_iiiii,"axG",@progbits,_ZN4vllm25paged_attention_v2_kernelIfhLi192ELi32ELi128ELNS_18Fp8KVCacheDataTypeE1ELb1ELi512EEEvPfS2_PT_PKS3_PKT0_S9_ifPKiSB_iPKfiiiSD_SD_iiiii,comdat
.Lfunc_end240:
	.size	_ZN4vllm25paged_attention_v2_kernelIfhLi192ELi32ELi128ELNS_18Fp8KVCacheDataTypeE1ELb1ELi512EEEvPfS2_PT_PKS3_PKT0_S9_ifPKiSB_iPKfiiiSD_SD_iiiii, .Lfunc_end240-_ZN4vllm25paged_attention_v2_kernelIfhLi192ELi32ELi128ELNS_18Fp8KVCacheDataTypeE1ELb1ELi512EEEvPfS2_PT_PKS3_PKT0_S9_ifPKiSB_iPKfiiiSD_SD_iiiii
                                        ; -- End function
	.section	.AMDGPU.csdata,"",@progbits
; Kernel info:
; codeLenInByte = 296
; NumSgprs: 54
; NumVgprs: 64
; NumAgprs: 64
; TotalNumVgprs: 128
; ScratchSize: 944
; MemoryBound: 0
; FloatMode: 240
; IeeeMode: 1
; LDSByteSize: 784 bytes/workgroup (compile time only)
; SGPRBlocks: 6
; VGPRBlocks: 15
; NumSGPRsForWavesPerEU: 54
; NumVGPRsForWavesPerEU: 128
; AccumOffset: 64
; Occupancy: 4
; WaveLimiterHint : 1
; COMPUTE_PGM_RSRC2:SCRATCH_EN: 1
; COMPUTE_PGM_RSRC2:USER_SGPR: 8
; COMPUTE_PGM_RSRC2:TRAP_HANDLER: 0
; COMPUTE_PGM_RSRC2:TGID_X_EN: 1
; COMPUTE_PGM_RSRC2:TGID_Y_EN: 1
; COMPUTE_PGM_RSRC2:TGID_Z_EN: 1
; COMPUTE_PGM_RSRC2:TIDIG_COMP_CNT: 0
; COMPUTE_PGM_RSRC3_GFX90A:ACCUM_OFFSET: 15
; COMPUTE_PGM_RSRC3_GFX90A:TG_SPLIT: 0
	.text
	.p2align	2                               ; -- Begin function _ZN4vllm22paged_attention_kernelIfhLi256ELi32ELi128ELNS_18Fp8KVCacheDataTypeE1ELb1ELi512EEEvPfS2_PT_PKS3_PKT0_S9_ifPKiSB_iPKfiiiSD_SD_iiiii
	.type	_ZN4vllm22paged_attention_kernelIfhLi256ELi32ELi128ELNS_18Fp8KVCacheDataTypeE1ELb1ELi512EEEvPfS2_PT_PKS3_PKT0_S9_ifPKiSB_iPKfiiiSD_SD_iiiii,@function
_ZN4vllm22paged_attention_kernelIfhLi256ELi32ELi128ELNS_18Fp8KVCacheDataTypeE1ELb1ELi512EEEvPfS2_PT_PKS3_PKT0_S9_ifPKiSB_iPKfiiiSD_SD_iiiii: ; @_ZN4vllm22paged_attention_kernelIfhLi256ELi32ELi128ELNS_18Fp8KVCacheDataTypeE1ELb1ELi512EEEvPfS2_PT_PKS3_PKT0_S9_ifPKiSB_iPKfiiiSD_SD_iiiii
; %bb.0:
	s_waitcnt vmcnt(0) expcnt(0) lgkmcnt(0)
	s_or_saveexec_b64 s[4:5], -1
	buffer_store_dword v63, off, s[0:3], s32 offset:1192 ; 4-byte Folded Spill
	s_mov_b64 exec, s[4:5]
	buffer_store_dword v40, off, s[0:3], s32 offset:192 ; 4-byte Folded Spill
	buffer_store_dword v41, off, s[0:3], s32 offset:188 ; 4-byte Folded Spill
	;; [unrolled: 1-line block ×47, first 2 shown]
	v_writelane_b32 v63, s34, 0
	v_writelane_b32 v63, s35, 1
	;; [unrolled: 1-line block ×13, first 2 shown]
	s_mov_b32 s22, s13
	s_ashr_i32 s23, s13, 31
	s_lshl_b64 s[4:5], s[22:23], 2
	buffer_store_dword v30, off, s[0:3], s32 offset:1112 ; 4-byte Folded Spill
	buffer_store_dword v26, off, s[0:3], s32 offset:1056 ; 4-byte Folded Spill
	s_nop 0
	buffer_store_dword v27, off, s[0:3], s32 offset:1060 ; 4-byte Folded Spill
	buffer_store_dword v24, off, s[0:3], s32 offset:1064 ; 4-byte Folded Spill
	s_nop 0
	;; [unrolled: 3-line block ×3, first 2 shown]
	buffer_store_dword v23, off, s[0:3], s32 offset:852 ; 4-byte Folded Spill
	buffer_store_dword v15, off, s[0:3], s32 offset:1120 ; 4-byte Folded Spill
	;; [unrolled: 1-line block ×11, first 2 shown]
	v_mov_b32_e32 v0, s5
	v_add_co_u32_e32 v2, vcc, s4, v16
	v_addc_co_u32_e32 v3, vcc, v17, v0, vcc
	flat_load_dword v62, v[2:3]
	buffer_load_dword v4, off, s[0:3], s32 offset:4
	buffer_load_dword v5, off, s[0:3], s32
	s_lshl_b32 s23, s14, 9
	v_mov_b32_e32 v25, v20
	v_mov_b32_e32 v24, v19
	s_waitcnt vmcnt(0) lgkmcnt(0)
	v_cmp_lt_i32_e32 vcc, s23, v62
	s_and_saveexec_b64 s[16:17], vcc
	s_cbranch_execz .LBB241_1693
; %bb.1:
	v_sub_u32_e32 v0, 0, v12
	v_max_i32_e32 v0, v12, v0
	buffer_store_dword v1, off, s[0:3], s32 offset:1188 ; 4-byte Folded Spill
	v_cvt_f32_u32_e32 v1, v0
	s_load_dword s4, s[8:9], 0x10
	s_load_dword s6, s[8:9], 0x0
	v_sub_u32_e32 v3, 0, v0
	s_mov_b32 s20, s15
	v_rcp_iflag_f32_e32 v1, v1
	s_waitcnt lgkmcnt(0)
	s_lshr_b32 s4, s4, 16
	s_cmp_lg_u32 s4, 0
	s_cselect_b64 s[4:5], -1, 0
	v_mul_f32_e32 v1, 0x4f7ffffe, v1
	v_cvt_u32_f32_e32 v1, v1
	s_cmp_lg_u64 s[4:5], 0
	s_addc_u32 s15, s6, 0
	s_abs_i32 s4, s15
	v_mul_lo_u32 v3, v3, v1
	v_mul_hi_u32 v3, v1, v3
	v_add_u32_e32 v1, v1, v3
	v_mul_hi_u32 v1, s4, v1
	v_mul_lo_u32 v3, v1, v0
	v_sub_u32_e32 v3, s4, v3
	v_add_u32_e32 v10, 1, v1
	v_cmp_ge_u32_e32 vcc, v3, v0
	v_cndmask_b32_e32 v1, v1, v10, vcc
	v_sub_u32_e32 v10, v3, v0
	v_cndmask_b32_e32 v3, v3, v10, vcc
	v_xor_b32_e32 v2, s15, v12
	v_add_u32_e32 v10, 1, v1
	v_cmp_ge_u32_e32 vcc, v3, v0
	v_ashrrev_i32_e32 v2, 31, v2
	v_cndmask_b32_e32 v0, v1, v10, vcc
	v_xor_b32_e32 v0, v0, v2
	v_sub_u32_e32 v3, v0, v2
	v_sub_u32_e32 v0, 0, v3
	v_max_i32_e32 v2, v3, v0
	v_cvt_f32_u32_e32 v0, v2
	v_sub_u32_e32 v1, 0, v2
	s_abs_i32 s6, s12
	v_cmp_ne_u64_e32 vcc, 0, v[24:25]
	v_rcp_iflag_f32_e32 v0, v0
	v_mul_f32_e32 v0, 0x4f7ffffe, v0
	v_cvt_u32_f32_e32 v0, v0
	v_mul_lo_u32 v1, v1, v0
	v_mul_hi_u32 v1, v0, v1
	v_add_u32_e32 v0, v0, v1
	v_mad_u64_u32 v[0:1], s[4:5], s6, v0, 0
	v_mov_b32_e32 v0, 0
	buffer_store_dword v0, off, s[0:3], s32 offset:1096 ; 4-byte Folded Spill
	s_and_saveexec_b64 s[4:5], vcc
	s_cbranch_execz .LBB241_3
; %bb.2:
	s_ashr_i32 s13, s12, 31
	s_lshl_b64 s[10:11], s[12:13], 2
	v_mov_b32_e32 v0, s11
	v_add_co_u32_e32 v10, vcc, s10, v24
	v_addc_co_u32_e32 v11, vcc, v25, v0, vcc
	flat_load_dword v0, v[10:11]
	s_waitcnt vmcnt(0) lgkmcnt(0)
	buffer_store_dword v0, off, s[0:3], s32 offset:1096 ; 4-byte Folded Spill
.LBB241_3:
	s_or_b64 exec, exec, s[4:5]
	v_ashrrev_i32_e32 v0, 31, v3
	v_and_b32_e32 v3, 0x3ff, v31
	s_movk_i32 s4, 0x80
	s_ashr_i32 s7, s12, 31
	v_and_b32_e32 v10, 1, v3
	s_lshl_b32 s18, s12, 8
	v_cmp_gt_u32_e32 vcc, s4, v3
	buffer_store_dword v3, off, s[0:3], s32 offset:1052 ; 4-byte Folded Spill
	v_lshlrev_b32_e32 v3, 2, v3
	buffer_store_dword v3, off, s[0:3], s32 offset:1156 ; 4-byte Folded Spill
	s_and_saveexec_b64 s[4:5], vcc
	s_cbranch_execz .LBB241_5
; %bb.4:
	v_mul_lo_u32 v14, s22, v21
	v_ashrrev_i32_e32 v15, 31, v14
	v_lshlrev_b64 v[14:15], 2, v[14:15]
	v_add_co_u32_e32 v3, vcc, v6, v14
	s_ashr_i32 s19, s18, 31
	v_addc_co_u32_e32 v6, vcc, v7, v15, vcc
	s_lshl_b64 s[10:11], s[18:19], 2
	v_mov_b32_e32 v7, s11
	v_add_co_u32_e32 v3, vcc, s10, v3
	v_addc_co_u32_e32 v7, vcc, v6, v7, vcc
	buffer_load_dword v6, off, s[0:3], s32 offset:1052 ; 4-byte Folded Reload
	s_waitcnt vmcnt(0)
	v_lshlrev_b32_e32 v6, 3, v6
	v_add_co_u32_e32 v6, vcc, v3, v6
	buffer_load_dword v3, off, s[0:3], s32 offset:1156 ; 4-byte Folded Reload
	v_addc_co_u32_e32 v7, vcc, 0, v7, vcc
	flat_load_dwordx2 v[6:7], v[6:7]
	s_waitcnt vmcnt(0)
	v_and_b32_e32 v3, 0xff8, v3
	v_lshl_add_u32 v3, v10, 9, v3
	s_waitcnt lgkmcnt(0)
	ds_write_b64 v3, v[6:7]
.LBB241_5:
	s_or_b64 exec, exec, s[4:5]
	v_mul_lo_u32 v3, v1, v2
	v_sub_u32_e32 v3, s6, v3
	v_add_u32_e32 v6, 1, v1
	v_cmp_ge_u32_e32 vcc, v3, v2
	v_cndmask_b32_e32 v1, v1, v6, vcc
	v_sub_u32_e32 v6, v3, v2
	v_cndmask_b32_e32 v3, v3, v6, vcc
	v_cmp_ge_u32_e32 vcc, v3, v2
	v_sub_u32_e32 v2, 0, v5
	v_max_i32_e32 v3, v5, v2
	v_cvt_f32_u32_e32 v2, v3
	v_add_u32_e32 v6, 1, v1
	v_xor_b32_e32 v0, s7, v0
	v_cndmask_b32_e32 v1, v1, v6, vcc
	v_xor_b32_e32 v1, v1, v0
	v_sub_u32_e32 v0, v1, v0
	v_rcp_iflag_f32_e32 v1, v2
	s_waitcnt lgkmcnt(0)
	s_barrier
	v_mul_f32_e32 v1, 0x4f7ffffe, v1
	v_cvt_u32_f32_e32 v2, v1
	buffer_store_dword v3, off, s[0:3], s32 offset:204 ; 4-byte Folded Spill
	v_sub_u32_e32 v3, 0, v3
	v_add_u32_e32 v6, -1, v62
	v_mul_lo_u32 v3, v3, v2
	v_sub_u32_e32 v1, 0, v6
	v_mul_hi_u32 v3, v2, v3
	v_max_i32_e32 v1, v6, v1
	v_add_u32_e32 v2, v2, v3
	buffer_store_dword v2, off, s[0:3], s32 offset:224 ; 4-byte Folded Spill
	v_mad_u64_u32 v[2:3], s[4:5], v1, v2, 0
	v_cmp_gt_i32_e32 vcc, 0, v4
                                        ; implicit-def: $vgpr2
	buffer_store_dword v2, off, s[0:3], s32 offset:212 ; 4-byte Folded Spill
	s_nop 0
	buffer_store_dword v3, off, s[0:3], s32 offset:216 ; 4-byte Folded Spill
	s_and_saveexec_b64 s[4:5], vcc
	s_xor_b64 s[4:5], exec, s[4:5]
	s_cbranch_execz .LBB241_7
; %bb.6:
	v_mad_u64_u32 v[14:15], s[6:7], v28, v12, v[0:1]
	v_mul_lo_u32 v2, v14, v4
	v_sub_u32_e32 v2, 1, v2
	buffer_store_dword v2, off, s[0:3], s32 offset:212 ; 4-byte Folded Spill
	s_nop 0
	buffer_store_dword v3, off, s[0:3], s32 offset:216 ; 4-byte Folded Spill
                                        ; implicit-def: $vgpr28
                                        ; implicit-def: $vgpr4
.LBB241_7:
	s_or_saveexec_b64 s[4:5], s[4:5]
	v_ashrrev_i32_e32 v2, 31, v6
	v_ashrrev_i32_e32 v5, 31, v5
	buffer_store_dword v5, off, s[0:3], s32 offset:208 ; 4-byte Folded Spill
	s_xor_b64 exec, exec, s[4:5]
	s_cbranch_execz .LBB241_9
; %bb.8:
	v_mul_lo_u32 v5, s15, v28
	v_add_u32_e32 v5, s12, v5
	v_mad_u64_u32 v[4:5], s[6:7], v5, v4, 1
	buffer_store_dword v4, off, s[0:3], s32 offset:212 ; 4-byte Folded Spill
	s_nop 0
	buffer_store_dword v5, off, s[0:3], s32 offset:216 ; 4-byte Folded Spill
.LBB241_9:
	s_or_b64 exec, exec, s[4:5]
	s_load_dword s42, s[8:9], 0x14
	s_load_dword s13, s[8:9], 0x8
	buffer_load_dword v6, off, s[0:3], s32 offset:208 ; 4-byte Folded Reload
	buffer_load_dword v7, off, s[0:3], s32 offset:204 ; 4-byte Folded Reload
	s_lshl_b32 s19, s14, 4
	s_add_i32 s4, s19, 16
	v_mul_lo_u32 v0, v0, v23
	v_mul_lo_u32 v4, s22, v18
	v_ashrrev_i32_e32 v5, 31, v4
	v_mov_b32_e32 v13, 0xff7fffff
	s_waitcnt vmcnt(1)
	v_xor_b32_e32 v2, v2, v6
	s_waitcnt vmcnt(0)
	v_mul_lo_u32 v6, v3, v7
	v_sub_u32_e32 v1, v1, v6
	v_add_u32_e32 v6, 1, v3
	v_cmp_ge_u32_e32 vcc, v1, v7
	v_cndmask_b32_e32 v3, v3, v6, vcc
	v_sub_u32_e32 v6, v1, v7
	v_cndmask_b32_e32 v1, v1, v6, vcc
	v_add_u32_e32 v6, 1, v3
	v_cmp_ge_u32_e32 vcc, v1, v7
	v_cndmask_b32_e32 v1, v3, v6, vcc
	v_xor_b32_e32 v1, v1, v2
	v_sub_u32_e32 v1, v1, v2
	v_add_u32_e32 v2, 31, v62
	v_ashrrev_i32_e32 v3, 31, v2
	v_lshrrev_b32_e32 v3, 27, v3
	v_add_u32_e32 v2, v2, v3
	v_ashrrev_i32_e32 v2, 5, v2
	buffer_store_dword v2, off, s[0:3], s32 offset:1184 ; 4-byte Folded Spill
	v_min_i32_e32 v3, s4, v2
	buffer_load_dword v2, off, s[0:3], s32 offset:1052 ; 4-byte Folded Reload
	v_sub_u32_e32 v1, v1, v29
	buffer_store_dword v3, off, s[0:3], s32 offset:220 ; 4-byte Folded Spill
	buffer_store_dword v1, off, s[0:3], s32 offset:228 ; 4-byte Folded Spill
	s_waitcnt vmcnt(2)
	v_lshrrev_b32_e32 v6, 6, v2
	v_or_b32_e32 v2, s19, v6
	v_cmp_lt_i32_e64 s[4:5], v2, v3
	v_ashrrev_i32_e32 v3, 31, v2
	buffer_store_dword v2, off, s[0:3], s32 offset:196 ; 4-byte Folded Spill
	s_nop 0
	buffer_store_dword v3, off, s[0:3], s32 offset:200 ; 4-byte Folded Spill
	buffer_store_dword v0, off, s[0:3], s32 offset:1176 ; 4-byte Folded Spill
	v_ashrrev_i32_e32 v0, 31, v0
	buffer_store_dword v0, off, s[0:3], s32 offset:1172 ; 4-byte Folded Spill
	buffer_load_dword v0, off, s[0:3], s32 offset:1112 ; 4-byte Folded Reload
	s_waitcnt vmcnt(0)
	v_sub_u32_e32 v0, 0, v0
	buffer_store_dword v0, off, s[0:3], s32 offset:1168 ; 4-byte Folded Spill
	v_lshlrev_b64 v[0:1], 2, v[4:5]
	buffer_store_dword v0, off, s[0:3], s32 offset:1160 ; 4-byte Folded Spill
	s_nop 0
	buffer_store_dword v1, off, s[0:3], s32 offset:1164 ; 4-byte Folded Spill
	buffer_store_dword v6, off, s[0:3], s32 offset:1116 ; 4-byte Folded Spill
	v_lshl_add_u32 v0, v6, 5, s23
	buffer_store_dword v0, off, s[0:3], s32 offset:1180 ; 4-byte Folded Spill
	v_mbcnt_lo_u32_b32 v0, -1, 0
	s_and_saveexec_b64 s[24:25], s[4:5]
	s_cbranch_execz .LBB241_787
; %bb.10:
	v_mov_b32_e32 v11, v0
	buffer_load_dword v0, off, s[0:3], s32 offset:1052 ; 4-byte Folded Reload
	buffer_load_dword v1, off, s[0:3], s32 offset:1172 ; 4-byte Folded Reload
	s_ashr_i32 s21, s20, 31
	s_lshl_b64 s[10:11], s[20:21], 2
	s_getpc_b64 s[28:29]
	s_add_u32 s28, s28, llvm.amdgcn.dynlds.offset.table@rel32@lo+4
	s_addc_u32 s29, s29, llvm.amdgcn.dynlds.offset.table@rel32@hi+12
	s_add_u32 s28, s10, s28
	s_addc_u32 s29, s11, s29
	s_mov_b32 s26, 0
	s_brev_b32 s27, 1
	v_cmp_eq_u32_e64 s[6:7], 0, v10
	v_mov_b32_e32 v5, 0
	v_lshlrev_b32_e32 v48, 9, v10
	s_mov_b64 s[30:31], 0
	s_movk_i32 s43, 0x80
	s_movk_i32 s44, 0x7f
	s_mov_b32 s35, 0x7f800001
	s_waitcnt vmcnt(1)
	v_bfe_u32 v4, v0, 1, 5
	buffer_load_dword v0, off, s[0:3], s32 offset:1176 ; 4-byte Folded Reload
	v_lshlrev_b32_e32 v2, 4, v4
	s_waitcnt vmcnt(0)
	v_add_co_u32_e32 v0, vcc, v8, v0
	v_addc_co_u32_e32 v1, vcc, v9, v1, vcc
	v_add_co_u32_e32 v0, vcc, v0, v2
	v_addc_co_u32_e32 v1, vcc, 0, v1, vcc
	buffer_store_dword v0, off, s[0:3], s32 offset:1080 ; 4-byte Folded Spill
	s_nop 0
	buffer_store_dword v1, off, s[0:3], s32 offset:1084 ; 4-byte Folded Spill
	v_lshlrev_b32_e32 v0, 1, v10
	buffer_store_dword v0, off, s[0:3], s32 offset:1088 ; 4-byte Folded Spill
	s_nop 0
	buffer_store_dword v1, off, s[0:3], s32 offset:1092 ; 4-byte Folded Spill
	buffer_load_dword v1, off, s[0:3], s32 offset:1168 ; 4-byte Folded Reload
	s_nop 0
	buffer_load_dword v0, off, s[0:3], s32 offset:1112 ; 4-byte Folded Reload
	s_load_dword s21, s[28:29], 0x0
	s_waitcnt vmcnt(0)
	v_max_i32_e32 v2, v0, v1
	buffer_load_dword v1, off, s[0:3], s32 offset:1096 ; 4-byte Folded Reload
	v_cvt_f32_u32_e32 v0, v2
	buffer_store_dword v2, off, s[0:3], s32 offset:864 ; 4-byte Folded Spill
	v_rcp_iflag_f32_e32 v0, v0
	v_mul_f32_e32 v0, 0x4f7ffffe, v0
	v_cvt_u32_f32_e32 v0, v0
	s_waitcnt vmcnt(1)
	v_cmp_neq_f32_e64 s[8:9], 0, v1
	v_sub_u32_e32 v1, 0, v2
	v_mul_lo_u32 v1, v1, v0
	v_mul_hi_u32 v1, v0, v1
	v_add_u32_e32 v0, v0, v1
	buffer_store_dword v0, off, s[0:3], s32 offset:856 ; 4-byte Folded Spill
	s_nop 0
	buffer_store_dword v1, off, s[0:3], s32 offset:860 ; 4-byte Folded Spill
	buffer_load_dword v2, off, s[0:3], s32 offset:196 ; 4-byte Folded Reload
	buffer_load_dword v3, off, s[0:3], s32 offset:200 ; 4-byte Folded Reload
	;; [unrolled: 1-line block ×4, first 2 shown]
	s_waitcnt vmcnt(2)
	v_lshlrev_b64 v[0:1], 2, v[2:3]
	buffer_load_dword v3, off, s[0:3], s32 offset:1124 ; 4-byte Folded Reload
	s_waitcnt vmcnt(2)
	v_add_co_u32_e32 v0, vcc, v6, v0
	s_waitcnt vmcnt(1)
	v_addc_co_u32_e32 v1, vcc, v7, v1, vcc
	buffer_store_dword v4, off, s[0:3], s32 offset:1104 ; 4-byte Folded Spill
	s_waitcnt vmcnt(1)
	v_add_co_u32_e32 v6, vcc, v3, v0
	buffer_load_dword v0, off, s[0:3], s32 offset:1120 ; 4-byte Folded Reload
	s_waitcnt vmcnt(0)
	v_addc_co_u32_e32 v7, vcc, v0, v1, vcc
	buffer_load_dword v1, off, s[0:3], s32 offset:1116 ; 4-byte Folded Reload
	v_lshlrev_b32_e32 v0, 2, v4
	v_accvgpr_write_b32 a37, v7
	v_accvgpr_write_b32 a36, v6
	s_waitcnt vmcnt(0)
	v_lshl_or_b32 v0, v1, 7, v0
	v_accvgpr_write_b32 a35, v0
	v_sub_u32_e32 v0, v4, v62
	v_add_u32_e32 v0, 1, v0
	v_lshl_add_u32 v3, v1, 5, s23
	buffer_store_dword v0, off, s[0:3], s32 offset:1108 ; 4-byte Folded Spill
	v_mbcnt_hi_u32_b32 v0, -1, v11
	v_mov_b32_e32 v1, v3
	buffer_store_dword v0, off, s[0:3], s32 offset:1076 ; 4-byte Folded Spill
	v_mov_b32_e32 v0, 0xff7fffff
	buffer_store_dword v0, off, s[0:3], s32 offset:1072 ; 4-byte Folded Spill
	s_branch .LBB241_13
.LBB241_11:                             ;   in Loop: Header=BB241_13 Depth=1
	s_or_b64 exec, exec, s[36:37]
.LBB241_12:                             ;   in Loop: Header=BB241_13 Depth=1
	s_or_b64 exec, exec, s[10:11]
	s_waitcnt lgkmcnt(0)
	v_accvgpr_read_b32 v0, a36
	v_accvgpr_read_b32 v1, a37
	v_add_co_u32_e32 v0, vcc, 8, v0
	v_addc_co_u32_e32 v1, vcc, 0, v1, vcc
	buffer_load_dword v2, off, s[0:3], s32 offset:232 ; 4-byte Folded Reload
	v_accvgpr_write_b32 a37, v1
	v_accvgpr_write_b32 a36, v0
	buffer_load_dword v0, off, s[0:3], s32 offset:220 ; 4-byte Folded Reload
	v_accvgpr_read_b32 v1, a34
	v_add_u32_e32 v1, 64, v1
	s_waitcnt vmcnt(1)
	v_add_u32_e32 v2, 2, v2
	s_waitcnt vmcnt(0)
	v_cmp_ge_i32_e32 vcc, v2, v0
	v_accvgpr_read_b32 v0, a35
	v_add_u32_e32 v0, 0x100, v0
	s_or_b64 s[30:31], vcc, s[30:31]
	v_accvgpr_write_b32 a35, v0
	s_andn2_b64 exec, exec, s[30:31]
	s_cbranch_execz .LBB241_786
.LBB241_13:                             ; =>This Inner Loop Header: Depth=1
	buffer_store_dword v2, off, s[0:3], s32 offset:232 ; 4-byte Folded Spill
	v_ashrrev_i32_e32 v0, 31, v1
	v_mov_b32_e32 v2, v1
	buffer_load_dword v1, off, s[0:3], s32 offset:208 ; 4-byte Folded Reload
	buffer_load_dword v4, off, s[0:3], s32 offset:204 ; 4-byte Folded Reload
	v_accvgpr_write_b32 a34, v2
	s_waitcnt vmcnt(1)
	v_xor_b32_e32 v0, v0, v1
	v_sub_u32_e32 v1, 0, v2
	v_max_i32_e32 v1, v2, v1
	buffer_load_dword v2, off, s[0:3], s32 offset:224 ; 4-byte Folded Reload
	s_waitcnt vmcnt(0)
	v_mul_hi_u32 v2, v1, v2
	v_mul_lo_u32 v3, v2, v4
	v_sub_u32_e32 v1, v1, v3
	v_add_u32_e32 v3, 1, v2
	v_cmp_ge_u32_e32 vcc, v1, v4
	v_cndmask_b32_e32 v2, v2, v3, vcc
	v_sub_u32_e32 v3, v1, v4
	v_cndmask_b32_e32 v1, v1, v3, vcc
	v_add_u32_e32 v3, 1, v2
	v_cmp_ge_u32_e32 vcc, v1, v4
	v_cndmask_b32_e32 v1, v2, v3, vcc
	buffer_load_dword v2, off, s[0:3], s32 offset:212 ; 4-byte Folded Reload
	buffer_load_dword v3, off, s[0:3], s32 offset:216 ; 4-byte Folded Reload
	;; [unrolled: 1-line block ×5, first 2 shown]
	v_xor_b32_e32 v1, v1, v0
	v_sub_u32_e32 v0, v1, v0
	s_waitcnt vmcnt(4)
	v_add_u32_e32 v1, v0, v2
	s_waitcnt vmcnt(3)
	v_sub_u32_e32 v3, 0, v1
	v_ashrrev_i32_e32 v2, 31, v1
	v_max_i32_e32 v1, v1, v3
	s_waitcnt vmcnt(2)
	v_mul_hi_u32 v3, v1, v6
	s_waitcnt vmcnt(0)
	v_mul_lo_u32 v3, v3, v4
	v_sub_u32_e32 v1, v1, v3
	v_sub_u32_e32 v3, v1, v4
	v_cmp_ge_u32_e32 vcc, v1, v4
	v_cndmask_b32_e32 v1, v1, v3, vcc
	v_sub_u32_e32 v3, v1, v4
	v_cmp_ge_u32_e32 vcc, v1, v4
	v_cndmask_b32_e32 v1, v1, v3, vcc
	v_xor_b32_e32 v1, v1, v2
	v_sub_u32_e32 v1, v1, v2
	v_cmp_ne_u32_e32 vcc, 0, v1
	buffer_load_dword v1, off, s[0:3], s32 offset:228 ; 4-byte Folded Reload
	s_waitcnt vmcnt(0)
	v_cmp_le_i32_e64 s[10:11], v0, v1
	s_and_b64 s[10:11], vcc, s[10:11]
	s_and_b64 s[36:37], s[6:7], s[10:11]
	s_and_saveexec_b64 vcc, s[36:37]
	s_cbranch_execz .LBB241_15
; %bb.14:                               ;   in Loop: Header=BB241_13 Depth=1
	v_accvgpr_read_b32 v0, a35
	s_waitcnt lgkmcnt(0)
	v_add_u32_e32 v0, s21, v0
	v_mov_b32_e32 v1, 0xff7fffff
	ds_write_b32 v0, v1
.LBB241_15:                             ;   in Loop: Header=BB241_13 Depth=1
	s_or_b64 exec, exec, vcc
	s_xor_b64 vcc, s[10:11], -1
	s_and_saveexec_b64 s[10:11], vcc
	s_cbranch_execz .LBB241_12
; %bb.16:                               ;   in Loop: Header=BB241_13 Depth=1
	v_accvgpr_read_b32 v0, a36
	v_accvgpr_read_b32 v1, a37
	flat_load_dword v0, v[0:1]
	s_nop 0
	buffer_load_dword v2, off, s[0:3], s32 offset:848 ; 4-byte Folded Reload
	buffer_load_dword v3, off, s[0:3], s32 offset:852 ; 4-byte Folded Reload
	;; [unrolled: 1-line block ×4, first 2 shown]
	s_waitcnt vmcnt(0) lgkmcnt(0)
	v_mad_i64_i32 v[0:1], vcc, v0, v2, v[6:7]
	buffer_load_dword v2, off, s[0:3], s32 offset:1088 ; 4-byte Folded Reload
	buffer_load_dword v3, off, s[0:3], s32 offset:1092 ; 4-byte Folded Reload
	s_waitcnt vmcnt(1)
	v_add_co_u32_e32 v18, vcc, v0, v2
	v_addc_co_u32_e32 v19, vcc, 0, v1, vcc
	flat_load_ushort v1, v[18:19]
	buffer_load_dword v2, off, s[0:3], s32 offset:1064 ; 4-byte Folded Reload
	buffer_load_dword v3, off, s[0:3], s32 offset:1068 ; 4-byte Folded Reload
	s_waitcnt vmcnt(0) lgkmcnt(0)
	v_and_b32_e32 v0, 0xffff, v1
	flat_load_dword v20, v[2:3]
	ds_read_b128 v[26:29], v48
	ds_read_b128 v[6:9], v48 offset:16
	s_waitcnt lgkmcnt(0)
	buffer_store_dword v6, off, s[0:3], s32 offset:964 ; 4-byte Folded Spill
	s_nop 0
	buffer_store_dword v7, off, s[0:3], s32 offset:968 ; 4-byte Folded Spill
	buffer_store_dword v8, off, s[0:3], s32 offset:972 ; 4-byte Folded Spill
	buffer_store_dword v9, off, s[0:3], s32 offset:976 ; 4-byte Folded Spill
	ds_read_b128 v[6:9], v48 offset:32
	s_waitcnt lgkmcnt(0)
	buffer_store_dword v6, off, s[0:3], s32 offset:948 ; 4-byte Folded Spill
	s_nop 0
	buffer_store_dword v7, off, s[0:3], s32 offset:952 ; 4-byte Folded Spill
	buffer_store_dword v8, off, s[0:3], s32 offset:956 ; 4-byte Folded Spill
	buffer_store_dword v9, off, s[0:3], s32 offset:960 ; 4-byte Folded Spill
	;; [unrolled: 7-line block ×7, first 2 shown]
	ds_read_b64 v[2:3], v48 offset:192
	s_waitcnt lgkmcnt(0)
	buffer_store_dword v2, off, s[0:3], s32 offset:980 ; 4-byte Folded Spill
	s_nop 0
	buffer_store_dword v3, off, s[0:3], s32 offset:984 ; 4-byte Folded Spill
	v_pk_mov_b32 v[2:3], 0, 0
	buffer_store_dword v2, off, s[0:3], s32 offset:248 ; 4-byte Folded Spill
	s_nop 0
	buffer_store_dword v3, off, s[0:3], s32 offset:252 ; 4-byte Folded Spill
	buffer_store_dword v2, off, s[0:3], s32 offset:240 ; 4-byte Folded Spill
	s_nop 0
	buffer_store_dword v3, off, s[0:3], s32 offset:244 ; 4-byte Folded Spill
	ds_read_b128 v[6:9], v48 offset:128
	s_waitcnt lgkmcnt(0)
	buffer_store_dword v6, off, s[0:3], s32 offset:1036 ; 4-byte Folded Spill
	s_nop 0
	buffer_store_dword v7, off, s[0:3], s32 offset:1040 ; 4-byte Folded Spill
	buffer_store_dword v8, off, s[0:3], s32 offset:1044 ; 4-byte Folded Spill
	buffer_store_dword v9, off, s[0:3], s32 offset:1048 ; 4-byte Folded Spill
	ds_read_b128 v[6:9], v48 offset:144
	s_waitcnt lgkmcnt(0)
	buffer_store_dword v6, off, s[0:3], s32 offset:1020 ; 4-byte Folded Spill
	s_nop 0
	buffer_store_dword v7, off, s[0:3], s32 offset:1024 ; 4-byte Folded Spill
	buffer_store_dword v8, off, s[0:3], s32 offset:1028 ; 4-byte Folded Spill
	;; [unrolled: 7-line block ×3, first 2 shown]
	buffer_store_dword v9, off, s[0:3], s32 offset:1016 ; 4-byte Folded Spill
	ds_read_b128 v[6:9], v48 offset:176
	v_cmp_ne_u16_sdwa vcc, v1, v5 src0_sel:BYTE_0 src1_sel:DWORD
	s_waitcnt lgkmcnt(0)
	buffer_store_dword v6, off, s[0:3], s32 offset:988 ; 4-byte Folded Spill
	s_nop 0
	buffer_store_dword v7, off, s[0:3], s32 offset:992 ; 4-byte Folded Spill
	buffer_store_dword v8, off, s[0:3], s32 offset:996 ; 4-byte Folded Spill
	;; [unrolled: 1-line block ×3, first 2 shown]
	s_and_saveexec_b64 s[36:37], vcc
	s_cbranch_execz .LBB241_22
; %bb.17:                               ;   in Loop: Header=BB241_13 Depth=1
	v_bfrev_b32_e32 v2, 1
	v_cmp_ne_u16_sdwa vcc, v0, s43 src0_sel:BYTE_0 src1_sel:DWORD
	v_mov_b32_e32 v3, 0
	buffer_store_dword v2, off, s[0:3], s32 offset:240 ; 4-byte Folded Spill
	s_nop 0
	buffer_store_dword v3, off, s[0:3], s32 offset:244 ; 4-byte Folded Spill
	s_and_saveexec_b64 s[38:39], vcc
	s_cbranch_execz .LBB241_21
; %bb.18:                               ;   in Loop: Header=BB241_13 Depth=1
	v_and_b32_e32 v1, 0x7f, v0
	v_mov_b32_e32 v2, 0x7f800001
	v_cmp_ne_u32_e32 vcc, s44, v1
	v_mov_b32_e32 v3, 0
	buffer_store_dword v2, off, s[0:3], s32 offset:240 ; 4-byte Folded Spill
	s_nop 0
	buffer_store_dword v3, off, s[0:3], s32 offset:244 ; 4-byte Folded Spill
	s_and_saveexec_b64 s[40:41], vcc
	s_cbranch_execz .LBB241_20
; %bb.19:                               ;   in Loop: Header=BB241_13 Depth=1
	v_and_b32_e32 v4, 7, v0
	v_ffbh_u32_e32 v2, v4
	v_min_u32_e32 v7, 32, v2
	v_subrev_u32_e32 v2, 28, v7
	v_lshlrev_b64 v[2:3], v2, v[0:1]
	v_lshrrev_b32_e32 v6, 3, v1
	v_sub_u32_e32 v3, 29, v7
	v_and_b32_e32 v2, 7, v2
	v_cmp_gt_u32_e32 vcc, 8, v1
	v_cndmask_b32_e32 v1, v6, v3, vcc
	v_cndmask_b32_e32 v2, v4, v2, vcc
	v_bfrev_b32_e32 v4, 60
	v_lshlrev_b32_e32 v2, 20, v2
	v_and_b32_sdwa v3, sext(v0), s27 dst_sel:DWORD dst_unused:UNUSED_PAD src0_sel:BYTE_0 src1_sel:DWORD
	v_lshl_add_u32 v1, v1, 23, v4
	v_or3_b32 v4, v3, v1, v2
	buffer_store_dword v4, off, s[0:3], s32 offset:240 ; 4-byte Folded Spill
	s_nop 0
	buffer_store_dword v5, off, s[0:3], s32 offset:244 ; 4-byte Folded Spill
.LBB241_20:                             ;   in Loop: Header=BB241_13 Depth=1
	s_or_b64 exec, exec, s[40:41]
.LBB241_21:                             ;   in Loop: Header=BB241_13 Depth=1
	s_or_b64 exec, exec, s[38:39]
.LBB241_22:                             ;   in Loop: Header=BB241_13 Depth=1
	s_or_b64 exec, exec, s[36:37]
	v_cmp_ne_u16_sdwa vcc, v0, v5 src0_sel:BYTE_1 src1_sel:DWORD
	s_and_saveexec_b64 s[36:37], vcc
	s_cbranch_execz .LBB241_28
; %bb.23:                               ;   in Loop: Header=BB241_13 Depth=1
	v_cmp_ne_u16_sdwa vcc, v0, s43 src0_sel:BYTE_1 src1_sel:DWORD
	v_pk_mov_b32 v[2:3], s[26:27], s[26:27] op_sel:[0,1]
	buffer_store_dword v2, off, s[0:3], s32 offset:248 ; 4-byte Folded Spill
	s_nop 0
	buffer_store_dword v3, off, s[0:3], s32 offset:252 ; 4-byte Folded Spill
	s_and_saveexec_b64 s[38:39], vcc
	s_cbranch_execz .LBB241_27
; %bb.24:                               ;   in Loop: Header=BB241_13 Depth=1
	v_and_b32_sdwa v1, v0, s44 dst_sel:DWORD dst_unused:UNUSED_PAD src0_sel:BYTE_1 src1_sel:DWORD
	s_mov_b32 s34, s26
	v_cmp_ne_u32_e32 vcc, s44, v1
	v_pk_mov_b32 v[2:3], s[34:35], s[34:35] op_sel:[0,1]
	buffer_store_dword v2, off, s[0:3], s32 offset:248 ; 4-byte Folded Spill
	s_nop 0
	buffer_store_dword v3, off, s[0:3], s32 offset:252 ; 4-byte Folded Spill
	s_and_saveexec_b64 s[40:41], vcc
	s_cbranch_execz .LBB241_26
; %bb.25:                               ;   in Loop: Header=BB241_13 Depth=1
	v_mov_b32_e32 v2, 7
	v_and_b32_sdwa v4, v0, v2 dst_sel:DWORD dst_unused:UNUSED_PAD src0_sel:BYTE_1 src1_sel:DWORD
	v_ffbh_u32_e32 v2, v4
	v_min_u32_e32 v7, 32, v2
	v_subrev_u32_e32 v2, 28, v7
	v_lshlrev_b64 v[2:3], v2, v[4:5]
	v_lshrrev_b32_e32 v6, 3, v1
	v_sub_u32_e32 v3, 29, v7
	v_cmp_gt_u32_e32 vcc, 8, v1
	v_and_b32_e32 v2, 7, v2
	v_cndmask_b32_e32 v1, v6, v3, vcc
	v_bfrev_b32_e32 v3, 60
	v_cndmask_b32_e32 v2, v4, v2, vcc
	v_lshlrev_b32_e32 v0, 16, v0
	v_lshl_add_u32 v1, v1, 23, v3
	v_and_or_b32 v0, v0, s27, v1
	v_lshlrev_b32_e32 v1, 20, v2
	v_or_b32_e32 v1, v0, v1
	v_mov_b32_e32 v0, v5
	buffer_store_dword v0, off, s[0:3], s32 offset:248 ; 4-byte Folded Spill
	s_nop 0
	buffer_store_dword v1, off, s[0:3], s32 offset:252 ; 4-byte Folded Spill
.LBB241_26:                             ;   in Loop: Header=BB241_13 Depth=1
	s_or_b64 exec, exec, s[40:41]
.LBB241_27:                             ;   in Loop: Header=BB241_13 Depth=1
	s_or_b64 exec, exec, s[38:39]
.LBB241_28:                             ;   in Loop: Header=BB241_13 Depth=1
	s_or_b64 exec, exec, s[36:37]
	flat_load_ushort v1, v[18:19] offset:4
	v_pk_mov_b32 v[2:3], 0, 0
	buffer_store_dword v2, off, s[0:3], s32 offset:264 ; 4-byte Folded Spill
	s_nop 0
	buffer_store_dword v3, off, s[0:3], s32 offset:268 ; 4-byte Folded Spill
	buffer_store_dword v2, off, s[0:3], s32 offset:256 ; 4-byte Folded Spill
	s_nop 0
	buffer_store_dword v3, off, s[0:3], s32 offset:260 ; 4-byte Folded Spill
	s_waitcnt vmcnt(0) lgkmcnt(0)
	v_and_b32_e32 v0, 0xffff, v1
	v_cmp_ne_u16_sdwa vcc, v1, v5 src0_sel:BYTE_0 src1_sel:DWORD
	s_and_saveexec_b64 s[36:37], vcc
	s_cbranch_execz .LBB241_34
; %bb.29:                               ;   in Loop: Header=BB241_13 Depth=1
	v_bfrev_b32_e32 v2, 1
	v_cmp_ne_u16_sdwa vcc, v0, s43 src0_sel:BYTE_0 src1_sel:DWORD
	v_mov_b32_e32 v3, 0
	buffer_store_dword v2, off, s[0:3], s32 offset:256 ; 4-byte Folded Spill
	s_nop 0
	buffer_store_dword v3, off, s[0:3], s32 offset:260 ; 4-byte Folded Spill
	s_and_saveexec_b64 s[38:39], vcc
	s_cbranch_execz .LBB241_33
; %bb.30:                               ;   in Loop: Header=BB241_13 Depth=1
	v_and_b32_e32 v1, 0x7f, v0
	v_mov_b32_e32 v2, 0x7f800001
	v_cmp_ne_u32_e32 vcc, s44, v1
	v_mov_b32_e32 v3, 0
	buffer_store_dword v2, off, s[0:3], s32 offset:256 ; 4-byte Folded Spill
	s_nop 0
	buffer_store_dword v3, off, s[0:3], s32 offset:260 ; 4-byte Folded Spill
	s_and_saveexec_b64 s[40:41], vcc
	s_cbranch_execz .LBB241_32
; %bb.31:                               ;   in Loop: Header=BB241_13 Depth=1
	v_and_b32_e32 v4, 7, v0
	v_ffbh_u32_e32 v2, v4
	v_min_u32_e32 v7, 32, v2
	v_subrev_u32_e32 v2, 28, v7
	v_lshlrev_b64 v[2:3], v2, v[0:1]
	v_lshrrev_b32_e32 v6, 3, v1
	v_sub_u32_e32 v3, 29, v7
	v_and_b32_e32 v2, 7, v2
	v_cmp_gt_u32_e32 vcc, 8, v1
	v_cndmask_b32_e32 v1, v6, v3, vcc
	v_cndmask_b32_e32 v2, v4, v2, vcc
	v_bfrev_b32_e32 v4, 60
	v_lshlrev_b32_e32 v2, 20, v2
	v_and_b32_sdwa v3, sext(v0), s27 dst_sel:DWORD dst_unused:UNUSED_PAD src0_sel:BYTE_0 src1_sel:DWORD
	v_lshl_add_u32 v1, v1, 23, v4
	v_or3_b32 v4, v3, v1, v2
	buffer_store_dword v4, off, s[0:3], s32 offset:256 ; 4-byte Folded Spill
	s_nop 0
	buffer_store_dword v5, off, s[0:3], s32 offset:260 ; 4-byte Folded Spill
.LBB241_32:                             ;   in Loop: Header=BB241_13 Depth=1
	s_or_b64 exec, exec, s[40:41]
.LBB241_33:                             ;   in Loop: Header=BB241_13 Depth=1
	s_or_b64 exec, exec, s[38:39]
.LBB241_34:                             ;   in Loop: Header=BB241_13 Depth=1
	s_or_b64 exec, exec, s[36:37]
	v_cmp_ne_u16_sdwa vcc, v0, v5 src0_sel:BYTE_1 src1_sel:DWORD
	s_and_saveexec_b64 s[36:37], vcc
	s_cbranch_execz .LBB241_40
; %bb.35:                               ;   in Loop: Header=BB241_13 Depth=1
	v_cmp_ne_u16_sdwa vcc, v0, s43 src0_sel:BYTE_1 src1_sel:DWORD
	v_pk_mov_b32 v[2:3], s[26:27], s[26:27] op_sel:[0,1]
	buffer_store_dword v2, off, s[0:3], s32 offset:264 ; 4-byte Folded Spill
	s_nop 0
	buffer_store_dword v3, off, s[0:3], s32 offset:268 ; 4-byte Folded Spill
	s_and_saveexec_b64 s[38:39], vcc
	s_cbranch_execz .LBB241_39
; %bb.36:                               ;   in Loop: Header=BB241_13 Depth=1
	v_and_b32_sdwa v1, v0, s44 dst_sel:DWORD dst_unused:UNUSED_PAD src0_sel:BYTE_1 src1_sel:DWORD
	s_mov_b32 s34, s26
	v_cmp_ne_u32_e32 vcc, s44, v1
	v_pk_mov_b32 v[2:3], s[34:35], s[34:35] op_sel:[0,1]
	buffer_store_dword v2, off, s[0:3], s32 offset:264 ; 4-byte Folded Spill
	s_nop 0
	buffer_store_dword v3, off, s[0:3], s32 offset:268 ; 4-byte Folded Spill
	s_and_saveexec_b64 s[40:41], vcc
	s_cbranch_execz .LBB241_38
; %bb.37:                               ;   in Loop: Header=BB241_13 Depth=1
	v_mov_b32_e32 v2, 7
	v_and_b32_sdwa v4, v0, v2 dst_sel:DWORD dst_unused:UNUSED_PAD src0_sel:BYTE_1 src1_sel:DWORD
	v_ffbh_u32_e32 v2, v4
	v_min_u32_e32 v7, 32, v2
	v_subrev_u32_e32 v2, 28, v7
	v_lshlrev_b64 v[2:3], v2, v[4:5]
	v_lshrrev_b32_e32 v6, 3, v1
	v_sub_u32_e32 v3, 29, v7
	v_cmp_gt_u32_e32 vcc, 8, v1
	v_and_b32_e32 v2, 7, v2
	v_cndmask_b32_e32 v1, v6, v3, vcc
	v_bfrev_b32_e32 v3, 60
	v_cndmask_b32_e32 v2, v4, v2, vcc
	v_lshlrev_b32_e32 v0, 16, v0
	v_lshl_add_u32 v1, v1, 23, v3
	v_and_or_b32 v0, v0, s27, v1
	v_lshlrev_b32_e32 v1, 20, v2
	v_or_b32_e32 v1, v0, v1
	v_mov_b32_e32 v0, v5
	buffer_store_dword v0, off, s[0:3], s32 offset:264 ; 4-byte Folded Spill
	s_nop 0
	buffer_store_dword v1, off, s[0:3], s32 offset:268 ; 4-byte Folded Spill
.LBB241_38:                             ;   in Loop: Header=BB241_13 Depth=1
	s_or_b64 exec, exec, s[40:41]
.LBB241_39:                             ;   in Loop: Header=BB241_13 Depth=1
	s_or_b64 exec, exec, s[38:39]
.LBB241_40:                             ;   in Loop: Header=BB241_13 Depth=1
	s_or_b64 exec, exec, s[36:37]
	flat_load_ushort v1, v[18:19] offset:8
	v_pk_mov_b32 v[2:3], 0, 0
	buffer_store_dword v2, off, s[0:3], s32 offset:280 ; 4-byte Folded Spill
	s_nop 0
	buffer_store_dword v3, off, s[0:3], s32 offset:284 ; 4-byte Folded Spill
	buffer_store_dword v2, off, s[0:3], s32 offset:272 ; 4-byte Folded Spill
	s_nop 0
	buffer_store_dword v3, off, s[0:3], s32 offset:276 ; 4-byte Folded Spill
	s_waitcnt vmcnt(0) lgkmcnt(0)
	v_and_b32_e32 v0, 0xffff, v1
	v_cmp_ne_u16_sdwa vcc, v1, v5 src0_sel:BYTE_0 src1_sel:DWORD
	s_and_saveexec_b64 s[36:37], vcc
	s_cbranch_execz .LBB241_46
; %bb.41:                               ;   in Loop: Header=BB241_13 Depth=1
	v_bfrev_b32_e32 v2, 1
	v_cmp_ne_u16_sdwa vcc, v0, s43 src0_sel:BYTE_0 src1_sel:DWORD
	v_mov_b32_e32 v3, 0
	buffer_store_dword v2, off, s[0:3], s32 offset:272 ; 4-byte Folded Spill
	s_nop 0
	buffer_store_dword v3, off, s[0:3], s32 offset:276 ; 4-byte Folded Spill
	s_and_saveexec_b64 s[38:39], vcc
	s_cbranch_execz .LBB241_45
; %bb.42:                               ;   in Loop: Header=BB241_13 Depth=1
	v_and_b32_e32 v1, 0x7f, v0
	v_mov_b32_e32 v2, 0x7f800001
	v_cmp_ne_u32_e32 vcc, s44, v1
	v_mov_b32_e32 v3, 0
	buffer_store_dword v2, off, s[0:3], s32 offset:272 ; 4-byte Folded Spill
	s_nop 0
	buffer_store_dword v3, off, s[0:3], s32 offset:276 ; 4-byte Folded Spill
	s_and_saveexec_b64 s[40:41], vcc
	s_cbranch_execz .LBB241_44
; %bb.43:                               ;   in Loop: Header=BB241_13 Depth=1
	v_and_b32_e32 v4, 7, v0
	v_ffbh_u32_e32 v2, v4
	v_min_u32_e32 v7, 32, v2
	v_subrev_u32_e32 v2, 28, v7
	v_lshlrev_b64 v[2:3], v2, v[0:1]
	v_lshrrev_b32_e32 v6, 3, v1
	v_sub_u32_e32 v3, 29, v7
	v_and_b32_e32 v2, 7, v2
	v_cmp_gt_u32_e32 vcc, 8, v1
	v_cndmask_b32_e32 v1, v6, v3, vcc
	v_cndmask_b32_e32 v2, v4, v2, vcc
	v_bfrev_b32_e32 v4, 60
	v_lshlrev_b32_e32 v2, 20, v2
	v_and_b32_sdwa v3, sext(v0), s27 dst_sel:DWORD dst_unused:UNUSED_PAD src0_sel:BYTE_0 src1_sel:DWORD
	v_lshl_add_u32 v1, v1, 23, v4
	v_or3_b32 v4, v3, v1, v2
	buffer_store_dword v4, off, s[0:3], s32 offset:272 ; 4-byte Folded Spill
	s_nop 0
	buffer_store_dword v5, off, s[0:3], s32 offset:276 ; 4-byte Folded Spill
.LBB241_44:                             ;   in Loop: Header=BB241_13 Depth=1
	s_or_b64 exec, exec, s[40:41]
.LBB241_45:                             ;   in Loop: Header=BB241_13 Depth=1
	s_or_b64 exec, exec, s[38:39]
.LBB241_46:                             ;   in Loop: Header=BB241_13 Depth=1
	s_or_b64 exec, exec, s[36:37]
	v_cmp_ne_u16_sdwa vcc, v0, v5 src0_sel:BYTE_1 src1_sel:DWORD
	s_and_saveexec_b64 s[36:37], vcc
	s_cbranch_execz .LBB241_52
; %bb.47:                               ;   in Loop: Header=BB241_13 Depth=1
	v_cmp_ne_u16_sdwa vcc, v0, s43 src0_sel:BYTE_1 src1_sel:DWORD
	v_pk_mov_b32 v[2:3], s[26:27], s[26:27] op_sel:[0,1]
	buffer_store_dword v2, off, s[0:3], s32 offset:280 ; 4-byte Folded Spill
	s_nop 0
	buffer_store_dword v3, off, s[0:3], s32 offset:284 ; 4-byte Folded Spill
	s_and_saveexec_b64 s[38:39], vcc
	s_cbranch_execz .LBB241_51
; %bb.48:                               ;   in Loop: Header=BB241_13 Depth=1
	v_and_b32_sdwa v1, v0, s44 dst_sel:DWORD dst_unused:UNUSED_PAD src0_sel:BYTE_1 src1_sel:DWORD
	s_mov_b32 s34, s26
	v_cmp_ne_u32_e32 vcc, s44, v1
	v_pk_mov_b32 v[2:3], s[34:35], s[34:35] op_sel:[0,1]
	buffer_store_dword v2, off, s[0:3], s32 offset:280 ; 4-byte Folded Spill
	s_nop 0
	buffer_store_dword v3, off, s[0:3], s32 offset:284 ; 4-byte Folded Spill
	s_and_saveexec_b64 s[40:41], vcc
	s_cbranch_execz .LBB241_50
; %bb.49:                               ;   in Loop: Header=BB241_13 Depth=1
	v_mov_b32_e32 v2, 7
	v_and_b32_sdwa v4, v0, v2 dst_sel:DWORD dst_unused:UNUSED_PAD src0_sel:BYTE_1 src1_sel:DWORD
	v_ffbh_u32_e32 v2, v4
	v_min_u32_e32 v7, 32, v2
	v_subrev_u32_e32 v2, 28, v7
	v_lshlrev_b64 v[2:3], v2, v[4:5]
	v_lshrrev_b32_e32 v6, 3, v1
	v_sub_u32_e32 v3, 29, v7
	v_cmp_gt_u32_e32 vcc, 8, v1
	v_and_b32_e32 v2, 7, v2
	v_cndmask_b32_e32 v1, v6, v3, vcc
	v_bfrev_b32_e32 v3, 60
	v_cndmask_b32_e32 v2, v4, v2, vcc
	v_lshlrev_b32_e32 v0, 16, v0
	v_lshl_add_u32 v1, v1, 23, v3
	v_and_or_b32 v0, v0, s27, v1
	v_lshlrev_b32_e32 v1, 20, v2
	v_or_b32_e32 v1, v0, v1
	v_mov_b32_e32 v0, v5
	buffer_store_dword v0, off, s[0:3], s32 offset:280 ; 4-byte Folded Spill
	s_nop 0
	buffer_store_dword v1, off, s[0:3], s32 offset:284 ; 4-byte Folded Spill
.LBB241_50:                             ;   in Loop: Header=BB241_13 Depth=1
	s_or_b64 exec, exec, s[40:41]
.LBB241_51:                             ;   in Loop: Header=BB241_13 Depth=1
	s_or_b64 exec, exec, s[38:39]
.LBB241_52:                             ;   in Loop: Header=BB241_13 Depth=1
	s_or_b64 exec, exec, s[36:37]
	flat_load_ushort v1, v[18:19] offset:12
	v_pk_mov_b32 v[2:3], 0, 0
	v_pk_mov_b32 v[12:13], v[2:3], v[2:3] op_sel:[0,1]
	buffer_store_dword v2, off, s[0:3], s32 offset:288 ; 4-byte Folded Spill
	s_nop 0
	buffer_store_dword v3, off, s[0:3], s32 offset:292 ; 4-byte Folded Spill
	s_waitcnt vmcnt(0) lgkmcnt(0)
	v_and_b32_e32 v0, 0xffff, v1
	v_cmp_ne_u16_sdwa vcc, v1, v5 src0_sel:BYTE_0 src1_sel:DWORD
	s_and_saveexec_b64 s[36:37], vcc
	s_cbranch_execz .LBB241_58
; %bb.53:                               ;   in Loop: Header=BB241_13 Depth=1
	v_bfrev_b32_e32 v2, 1
	v_cmp_ne_u16_sdwa vcc, v0, s43 src0_sel:BYTE_0 src1_sel:DWORD
	v_mov_b32_e32 v3, 0
	buffer_store_dword v2, off, s[0:3], s32 offset:288 ; 4-byte Folded Spill
	s_nop 0
	buffer_store_dword v3, off, s[0:3], s32 offset:292 ; 4-byte Folded Spill
	s_and_saveexec_b64 s[38:39], vcc
	s_cbranch_execz .LBB241_57
; %bb.54:                               ;   in Loop: Header=BB241_13 Depth=1
	v_and_b32_e32 v1, 0x7f, v0
	v_mov_b32_e32 v2, 0x7f800001
	v_cmp_ne_u32_e32 vcc, s44, v1
	v_mov_b32_e32 v3, 0
	buffer_store_dword v2, off, s[0:3], s32 offset:288 ; 4-byte Folded Spill
	s_nop 0
	buffer_store_dword v3, off, s[0:3], s32 offset:292 ; 4-byte Folded Spill
	s_and_saveexec_b64 s[40:41], vcc
	s_cbranch_execz .LBB241_56
; %bb.55:                               ;   in Loop: Header=BB241_13 Depth=1
	v_and_b32_e32 v4, 7, v0
	v_lshrrev_b32_e32 v6, 3, v1
	v_cmp_gt_u32_e32 vcc, 8, v1
	v_ffbh_u32_e32 v1, v4
	v_min_u32_e32 v1, 32, v1
	v_subrev_u32_e32 v2, 28, v1
	v_lshlrev_b64 v[2:3], v2, v[0:1]
	v_sub_u32_e32 v1, 29, v1
	v_and_b32_e32 v2, 7, v2
	v_cndmask_b32_e32 v1, v6, v1, vcc
	v_cndmask_b32_e32 v2, v4, v2, vcc
	v_bfrev_b32_e32 v4, 60
	v_lshlrev_b32_e32 v2, 20, v2
	v_and_b32_sdwa v3, sext(v0), s27 dst_sel:DWORD dst_unused:UNUSED_PAD src0_sel:BYTE_0 src1_sel:DWORD
	v_lshl_add_u32 v1, v1, 23, v4
	v_or3_b32 v4, v3, v1, v2
	buffer_store_dword v4, off, s[0:3], s32 offset:288 ; 4-byte Folded Spill
	s_nop 0
	buffer_store_dword v5, off, s[0:3], s32 offset:292 ; 4-byte Folded Spill
.LBB241_56:                             ;   in Loop: Header=BB241_13 Depth=1
	s_or_b64 exec, exec, s[40:41]
.LBB241_57:                             ;   in Loop: Header=BB241_13 Depth=1
	s_or_b64 exec, exec, s[38:39]
.LBB241_58:                             ;   in Loop: Header=BB241_13 Depth=1
	s_or_b64 exec, exec, s[36:37]
	v_cmp_ne_u16_sdwa vcc, v0, v5 src0_sel:BYTE_1 src1_sel:DWORD
	s_and_saveexec_b64 s[36:37], vcc
	s_cbranch_execz .LBB241_64
; %bb.59:                               ;   in Loop: Header=BB241_13 Depth=1
	v_cmp_ne_u16_sdwa vcc, v0, s43 src0_sel:BYTE_1 src1_sel:DWORD
	v_pk_mov_b32 v[12:13], s[26:27], s[26:27] op_sel:[0,1]
	s_and_saveexec_b64 s[38:39], vcc
	s_cbranch_execz .LBB241_63
; %bb.60:                               ;   in Loop: Header=BB241_13 Depth=1
	v_and_b32_sdwa v1, v0, s44 dst_sel:DWORD dst_unused:UNUSED_PAD src0_sel:BYTE_1 src1_sel:DWORD
	s_mov_b32 s34, s26
	v_cmp_ne_u32_e32 vcc, s44, v1
	v_pk_mov_b32 v[12:13], s[34:35], s[34:35] op_sel:[0,1]
	s_and_saveexec_b64 s[40:41], vcc
	s_cbranch_execz .LBB241_62
; %bb.61:                               ;   in Loop: Header=BB241_13 Depth=1
	v_mov_b32_e32 v2, 7
	v_and_b32_sdwa v4, v0, v2 dst_sel:DWORD dst_unused:UNUSED_PAD src0_sel:BYTE_1 src1_sel:DWORD
	v_lshrrev_b32_e32 v6, 3, v1
	v_cmp_gt_u32_e32 vcc, 8, v1
	v_ffbh_u32_e32 v1, v4
	v_min_u32_e32 v1, 32, v1
	v_subrev_u32_e32 v2, 28, v1
	v_lshlrev_b64 v[2:3], v2, v[4:5]
	v_sub_u32_e32 v1, 29, v1
	v_and_b32_e32 v2, 7, v2
	v_cndmask_b32_e32 v1, v6, v1, vcc
	v_bfrev_b32_e32 v3, 60
	v_cndmask_b32_e32 v2, v4, v2, vcc
	v_lshlrev_b32_e32 v0, 16, v0
	v_lshl_add_u32 v1, v1, 23, v3
	v_and_or_b32 v0, v0, s27, v1
	v_lshlrev_b32_e32 v1, 20, v2
	v_or_b32_e32 v13, v0, v1
	v_mov_b32_e32 v12, v5
.LBB241_62:                             ;   in Loop: Header=BB241_13 Depth=1
	s_or_b64 exec, exec, s[40:41]
.LBB241_63:                             ;   in Loop: Header=BB241_13 Depth=1
	s_or_b64 exec, exec, s[38:39]
.LBB241_64:                             ;   in Loop: Header=BB241_13 Depth=1
	s_or_b64 exec, exec, s[36:37]
	flat_load_ushort v1, v[18:19] offset:512
	v_pk_mov_b32 v[2:3], 0, 0
	buffer_store_dword v2, off, s[0:3], s32 offset:304 ; 4-byte Folded Spill
	s_nop 0
	buffer_store_dword v3, off, s[0:3], s32 offset:308 ; 4-byte Folded Spill
	buffer_store_dword v2, off, s[0:3], s32 offset:296 ; 4-byte Folded Spill
	s_nop 0
	buffer_store_dword v3, off, s[0:3], s32 offset:300 ; 4-byte Folded Spill
	s_waitcnt vmcnt(0) lgkmcnt(0)
	v_and_b32_e32 v0, 0xffff, v1
	v_cmp_ne_u16_sdwa vcc, v1, v5 src0_sel:BYTE_0 src1_sel:DWORD
	s_and_saveexec_b64 s[36:37], vcc
	s_cbranch_execz .LBB241_70
; %bb.65:                               ;   in Loop: Header=BB241_13 Depth=1
	v_bfrev_b32_e32 v2, 1
	v_cmp_ne_u16_sdwa vcc, v0, s43 src0_sel:BYTE_0 src1_sel:DWORD
	v_mov_b32_e32 v3, 0
	buffer_store_dword v2, off, s[0:3], s32 offset:296 ; 4-byte Folded Spill
	s_nop 0
	buffer_store_dword v3, off, s[0:3], s32 offset:300 ; 4-byte Folded Spill
	s_and_saveexec_b64 s[38:39], vcc
	s_cbranch_execz .LBB241_69
; %bb.66:                               ;   in Loop: Header=BB241_13 Depth=1
	v_and_b32_e32 v1, 0x7f, v0
	v_mov_b32_e32 v2, 0x7f800001
	v_cmp_ne_u32_e32 vcc, s44, v1
	v_mov_b32_e32 v3, 0
	buffer_store_dword v2, off, s[0:3], s32 offset:296 ; 4-byte Folded Spill
	s_nop 0
	buffer_store_dword v3, off, s[0:3], s32 offset:300 ; 4-byte Folded Spill
	s_and_saveexec_b64 s[40:41], vcc
	s_cbranch_execz .LBB241_68
; %bb.67:                               ;   in Loop: Header=BB241_13 Depth=1
	v_and_b32_e32 v4, 7, v0
	v_lshrrev_b32_e32 v6, 3, v1
	v_cmp_gt_u32_e32 vcc, 8, v1
	v_ffbh_u32_e32 v1, v4
	v_min_u32_e32 v1, 32, v1
	v_subrev_u32_e32 v2, 28, v1
	v_lshlrev_b64 v[2:3], v2, v[0:1]
	v_sub_u32_e32 v1, 29, v1
	v_and_b32_e32 v2, 7, v2
	v_cndmask_b32_e32 v1, v6, v1, vcc
	v_cndmask_b32_e32 v2, v4, v2, vcc
	v_bfrev_b32_e32 v4, 60
	v_lshlrev_b32_e32 v2, 20, v2
	v_and_b32_sdwa v3, sext(v0), s27 dst_sel:DWORD dst_unused:UNUSED_PAD src0_sel:BYTE_0 src1_sel:DWORD
	v_lshl_add_u32 v1, v1, 23, v4
	v_or3_b32 v4, v3, v1, v2
	buffer_store_dword v4, off, s[0:3], s32 offset:296 ; 4-byte Folded Spill
	s_nop 0
	buffer_store_dword v5, off, s[0:3], s32 offset:300 ; 4-byte Folded Spill
.LBB241_68:                             ;   in Loop: Header=BB241_13 Depth=1
	s_or_b64 exec, exec, s[40:41]
.LBB241_69:                             ;   in Loop: Header=BB241_13 Depth=1
	s_or_b64 exec, exec, s[38:39]
.LBB241_70:                             ;   in Loop: Header=BB241_13 Depth=1
	s_or_b64 exec, exec, s[36:37]
	v_cmp_ne_u16_sdwa vcc, v0, v5 src0_sel:BYTE_1 src1_sel:DWORD
	s_and_saveexec_b64 s[36:37], vcc
	s_cbranch_execz .LBB241_76
; %bb.71:                               ;   in Loop: Header=BB241_13 Depth=1
	v_cmp_ne_u16_sdwa vcc, v0, s43 src0_sel:BYTE_1 src1_sel:DWORD
	v_pk_mov_b32 v[2:3], s[26:27], s[26:27] op_sel:[0,1]
	buffer_store_dword v2, off, s[0:3], s32 offset:304 ; 4-byte Folded Spill
	s_nop 0
	buffer_store_dword v3, off, s[0:3], s32 offset:308 ; 4-byte Folded Spill
	s_and_saveexec_b64 s[38:39], vcc
	s_cbranch_execz .LBB241_75
; %bb.72:                               ;   in Loop: Header=BB241_13 Depth=1
	v_and_b32_sdwa v1, v0, s44 dst_sel:DWORD dst_unused:UNUSED_PAD src0_sel:BYTE_1 src1_sel:DWORD
	s_mov_b32 s34, s26
	v_cmp_ne_u32_e32 vcc, s44, v1
	v_pk_mov_b32 v[2:3], s[34:35], s[34:35] op_sel:[0,1]
	buffer_store_dword v2, off, s[0:3], s32 offset:304 ; 4-byte Folded Spill
	s_nop 0
	buffer_store_dword v3, off, s[0:3], s32 offset:308 ; 4-byte Folded Spill
	s_and_saveexec_b64 s[40:41], vcc
	s_cbranch_execz .LBB241_74
; %bb.73:                               ;   in Loop: Header=BB241_13 Depth=1
	v_mov_b32_e32 v2, 7
	v_and_b32_sdwa v4, v0, v2 dst_sel:DWORD dst_unused:UNUSED_PAD src0_sel:BYTE_1 src1_sel:DWORD
	v_lshrrev_b32_e32 v6, 3, v1
	v_cmp_gt_u32_e32 vcc, 8, v1
	v_ffbh_u32_e32 v1, v4
	v_min_u32_e32 v1, 32, v1
	v_subrev_u32_e32 v2, 28, v1
	v_lshlrev_b64 v[2:3], v2, v[4:5]
	v_sub_u32_e32 v1, 29, v1
	v_and_b32_e32 v2, 7, v2
	v_cndmask_b32_e32 v1, v6, v1, vcc
	v_bfrev_b32_e32 v3, 60
	v_cndmask_b32_e32 v2, v4, v2, vcc
	v_lshlrev_b32_e32 v0, 16, v0
	v_lshl_add_u32 v1, v1, 23, v3
	v_and_or_b32 v0, v0, s27, v1
	v_lshlrev_b32_e32 v1, 20, v2
	v_or_b32_e32 v1, v0, v1
	v_mov_b32_e32 v0, v5
	buffer_store_dword v0, off, s[0:3], s32 offset:304 ; 4-byte Folded Spill
	s_nop 0
	buffer_store_dword v1, off, s[0:3], s32 offset:308 ; 4-byte Folded Spill
.LBB241_74:                             ;   in Loop: Header=BB241_13 Depth=1
	s_or_b64 exec, exec, s[40:41]
.LBB241_75:                             ;   in Loop: Header=BB241_13 Depth=1
	s_or_b64 exec, exec, s[38:39]
.LBB241_76:                             ;   in Loop: Header=BB241_13 Depth=1
	s_or_b64 exec, exec, s[36:37]
	flat_load_ushort v1, v[18:19] offset:516
	v_pk_mov_b32 v[2:3], 0, 0
	buffer_store_dword v2, off, s[0:3], s32 offset:320 ; 4-byte Folded Spill
	s_nop 0
	buffer_store_dword v3, off, s[0:3], s32 offset:324 ; 4-byte Folded Spill
	buffer_store_dword v2, off, s[0:3], s32 offset:312 ; 4-byte Folded Spill
	s_nop 0
	buffer_store_dword v3, off, s[0:3], s32 offset:316 ; 4-byte Folded Spill
	s_waitcnt vmcnt(0) lgkmcnt(0)
	v_and_b32_e32 v0, 0xffff, v1
	v_cmp_ne_u16_sdwa vcc, v1, v5 src0_sel:BYTE_0 src1_sel:DWORD
	s_and_saveexec_b64 s[36:37], vcc
	s_cbranch_execz .LBB241_82
; %bb.77:                               ;   in Loop: Header=BB241_13 Depth=1
	v_bfrev_b32_e32 v2, 1
	v_cmp_ne_u16_sdwa vcc, v0, s43 src0_sel:BYTE_0 src1_sel:DWORD
	v_mov_b32_e32 v3, 0
	buffer_store_dword v2, off, s[0:3], s32 offset:312 ; 4-byte Folded Spill
	s_nop 0
	buffer_store_dword v3, off, s[0:3], s32 offset:316 ; 4-byte Folded Spill
	s_and_saveexec_b64 s[38:39], vcc
	s_cbranch_execz .LBB241_81
; %bb.78:                               ;   in Loop: Header=BB241_13 Depth=1
	v_and_b32_e32 v1, 0x7f, v0
	v_mov_b32_e32 v2, 0x7f800001
	v_cmp_ne_u32_e32 vcc, s44, v1
	v_mov_b32_e32 v3, 0
	buffer_store_dword v2, off, s[0:3], s32 offset:312 ; 4-byte Folded Spill
	s_nop 0
	buffer_store_dword v3, off, s[0:3], s32 offset:316 ; 4-byte Folded Spill
	s_and_saveexec_b64 s[40:41], vcc
	s_cbranch_execz .LBB241_80
; %bb.79:                               ;   in Loop: Header=BB241_13 Depth=1
	v_and_b32_e32 v4, 7, v0
	v_lshrrev_b32_e32 v6, 3, v1
	v_cmp_gt_u32_e32 vcc, 8, v1
	v_ffbh_u32_e32 v1, v4
	v_min_u32_e32 v1, 32, v1
	v_subrev_u32_e32 v2, 28, v1
	v_lshlrev_b64 v[2:3], v2, v[0:1]
	v_sub_u32_e32 v1, 29, v1
	v_and_b32_e32 v2, 7, v2
	v_cndmask_b32_e32 v1, v6, v1, vcc
	v_cndmask_b32_e32 v2, v4, v2, vcc
	v_bfrev_b32_e32 v4, 60
	v_lshlrev_b32_e32 v2, 20, v2
	v_and_b32_sdwa v3, sext(v0), s27 dst_sel:DWORD dst_unused:UNUSED_PAD src0_sel:BYTE_0 src1_sel:DWORD
	v_lshl_add_u32 v1, v1, 23, v4
	v_or3_b32 v4, v3, v1, v2
	buffer_store_dword v4, off, s[0:3], s32 offset:312 ; 4-byte Folded Spill
	s_nop 0
	buffer_store_dword v5, off, s[0:3], s32 offset:316 ; 4-byte Folded Spill
.LBB241_80:                             ;   in Loop: Header=BB241_13 Depth=1
	s_or_b64 exec, exec, s[40:41]
.LBB241_81:                             ;   in Loop: Header=BB241_13 Depth=1
	s_or_b64 exec, exec, s[38:39]
.LBB241_82:                             ;   in Loop: Header=BB241_13 Depth=1
	s_or_b64 exec, exec, s[36:37]
	v_cmp_ne_u16_sdwa vcc, v0, v5 src0_sel:BYTE_1 src1_sel:DWORD
	s_and_saveexec_b64 s[36:37], vcc
	s_cbranch_execz .LBB241_88
; %bb.83:                               ;   in Loop: Header=BB241_13 Depth=1
	v_cmp_ne_u16_sdwa vcc, v0, s43 src0_sel:BYTE_1 src1_sel:DWORD
	v_pk_mov_b32 v[2:3], s[26:27], s[26:27] op_sel:[0,1]
	buffer_store_dword v2, off, s[0:3], s32 offset:320 ; 4-byte Folded Spill
	s_nop 0
	buffer_store_dword v3, off, s[0:3], s32 offset:324 ; 4-byte Folded Spill
	s_and_saveexec_b64 s[38:39], vcc
	s_cbranch_execz .LBB241_87
; %bb.84:                               ;   in Loop: Header=BB241_13 Depth=1
	v_and_b32_sdwa v1, v0, s44 dst_sel:DWORD dst_unused:UNUSED_PAD src0_sel:BYTE_1 src1_sel:DWORD
	s_mov_b32 s34, s26
	v_cmp_ne_u32_e32 vcc, s44, v1
	v_pk_mov_b32 v[2:3], s[34:35], s[34:35] op_sel:[0,1]
	buffer_store_dword v2, off, s[0:3], s32 offset:320 ; 4-byte Folded Spill
	s_nop 0
	buffer_store_dword v3, off, s[0:3], s32 offset:324 ; 4-byte Folded Spill
	s_and_saveexec_b64 s[40:41], vcc
	s_cbranch_execz .LBB241_86
; %bb.85:                               ;   in Loop: Header=BB241_13 Depth=1
	v_mov_b32_e32 v2, 7
	v_and_b32_sdwa v4, v0, v2 dst_sel:DWORD dst_unused:UNUSED_PAD src0_sel:BYTE_1 src1_sel:DWORD
	v_lshrrev_b32_e32 v6, 3, v1
	v_cmp_gt_u32_e32 vcc, 8, v1
	v_ffbh_u32_e32 v1, v4
	v_min_u32_e32 v1, 32, v1
	v_subrev_u32_e32 v2, 28, v1
	v_lshlrev_b64 v[2:3], v2, v[4:5]
	v_sub_u32_e32 v1, 29, v1
	v_and_b32_e32 v2, 7, v2
	v_cndmask_b32_e32 v1, v6, v1, vcc
	v_bfrev_b32_e32 v3, 60
	v_cndmask_b32_e32 v2, v4, v2, vcc
	v_lshlrev_b32_e32 v0, 16, v0
	v_lshl_add_u32 v1, v1, 23, v3
	v_and_or_b32 v0, v0, s27, v1
	v_lshlrev_b32_e32 v1, 20, v2
	v_or_b32_e32 v1, v0, v1
	v_mov_b32_e32 v0, v5
	buffer_store_dword v0, off, s[0:3], s32 offset:320 ; 4-byte Folded Spill
	s_nop 0
	buffer_store_dword v1, off, s[0:3], s32 offset:324 ; 4-byte Folded Spill
.LBB241_86:                             ;   in Loop: Header=BB241_13 Depth=1
	s_or_b64 exec, exec, s[40:41]
.LBB241_87:                             ;   in Loop: Header=BB241_13 Depth=1
	s_or_b64 exec, exec, s[38:39]
.LBB241_88:                             ;   in Loop: Header=BB241_13 Depth=1
	s_or_b64 exec, exec, s[36:37]
	v_add_co_u32_e32 v0, vcc, 0x200, v18
	v_addc_co_u32_e32 v1, vcc, 0, v19, vcc
	flat_load_ushort v3, v[0:1] offset:8
	v_pk_mov_b32 v[6:7], 0, 0
	buffer_store_dword v6, off, s[0:3], s32 offset:336 ; 4-byte Folded Spill
	s_nop 0
	buffer_store_dword v7, off, s[0:3], s32 offset:340 ; 4-byte Folded Spill
	buffer_store_dword v6, off, s[0:3], s32 offset:328 ; 4-byte Folded Spill
	s_nop 0
	buffer_store_dword v7, off, s[0:3], s32 offset:332 ; 4-byte Folded Spill
	s_waitcnt vmcnt(0) lgkmcnt(0)
	v_and_b32_e32 v2, 0xffff, v3
	v_cmp_ne_u16_sdwa vcc, v3, v5 src0_sel:BYTE_0 src1_sel:DWORD
	s_and_saveexec_b64 s[36:37], vcc
	s_cbranch_execz .LBB241_94
; %bb.89:                               ;   in Loop: Header=BB241_13 Depth=1
	v_bfrev_b32_e32 v6, 1
	v_cmp_ne_u16_sdwa vcc, v2, s43 src0_sel:BYTE_0 src1_sel:DWORD
	v_mov_b32_e32 v7, 0
	buffer_store_dword v6, off, s[0:3], s32 offset:328 ; 4-byte Folded Spill
	s_nop 0
	buffer_store_dword v7, off, s[0:3], s32 offset:332 ; 4-byte Folded Spill
	s_and_saveexec_b64 s[38:39], vcc
	s_cbranch_execz .LBB241_93
; %bb.90:                               ;   in Loop: Header=BB241_13 Depth=1
	v_and_b32_e32 v3, 0x7f, v2
	v_mov_b32_e32 v6, 0x7f800001
	v_cmp_ne_u32_e32 vcc, s44, v3
	v_mov_b32_e32 v7, 0
	buffer_store_dword v6, off, s[0:3], s32 offset:328 ; 4-byte Folded Spill
	s_nop 0
	buffer_store_dword v7, off, s[0:3], s32 offset:332 ; 4-byte Folded Spill
	s_and_saveexec_b64 s[40:41], vcc
	s_cbranch_execz .LBB241_92
; %bb.91:                               ;   in Loop: Header=BB241_13 Depth=1
	v_and_b32_e32 v4, 7, v2
	v_lshrrev_b32_e32 v8, 3, v3
	v_cmp_gt_u32_e32 vcc, 8, v3
	v_ffbh_u32_e32 v3, v4
	v_min_u32_e32 v3, 32, v3
	v_subrev_u32_e32 v6, 28, v3
	v_lshlrev_b64 v[6:7], v6, v[2:3]
	v_sub_u32_e32 v3, 29, v3
	v_and_b32_e32 v6, 7, v6
	v_cndmask_b32_e32 v3, v8, v3, vcc
	v_cndmask_b32_e32 v4, v4, v6, vcc
	v_bfrev_b32_e32 v7, 60
	v_lshlrev_b32_e32 v4, 20, v4
	v_and_b32_sdwa v6, sext(v2), s27 dst_sel:DWORD dst_unused:UNUSED_PAD src0_sel:BYTE_0 src1_sel:DWORD
	v_lshl_add_u32 v3, v3, 23, v7
	v_or3_b32 v4, v6, v3, v4
	buffer_store_dword v4, off, s[0:3], s32 offset:328 ; 4-byte Folded Spill
	s_nop 0
	buffer_store_dword v5, off, s[0:3], s32 offset:332 ; 4-byte Folded Spill
.LBB241_92:                             ;   in Loop: Header=BB241_13 Depth=1
	s_or_b64 exec, exec, s[40:41]
.LBB241_93:                             ;   in Loop: Header=BB241_13 Depth=1
	s_or_b64 exec, exec, s[38:39]
.LBB241_94:                             ;   in Loop: Header=BB241_13 Depth=1
	s_or_b64 exec, exec, s[36:37]
	v_cmp_ne_u16_sdwa vcc, v2, v5 src0_sel:BYTE_1 src1_sel:DWORD
	s_and_saveexec_b64 s[36:37], vcc
	s_cbranch_execz .LBB241_100
; %bb.95:                               ;   in Loop: Header=BB241_13 Depth=1
	v_cmp_ne_u16_sdwa vcc, v2, s43 src0_sel:BYTE_1 src1_sel:DWORD
	v_pk_mov_b32 v[6:7], s[26:27], s[26:27] op_sel:[0,1]
	buffer_store_dword v6, off, s[0:3], s32 offset:336 ; 4-byte Folded Spill
	s_nop 0
	buffer_store_dword v7, off, s[0:3], s32 offset:340 ; 4-byte Folded Spill
	s_and_saveexec_b64 s[38:39], vcc
	s_cbranch_execz .LBB241_99
; %bb.96:                               ;   in Loop: Header=BB241_13 Depth=1
	v_and_b32_sdwa v3, v2, s44 dst_sel:DWORD dst_unused:UNUSED_PAD src0_sel:BYTE_1 src1_sel:DWORD
	s_mov_b32 s34, s26
	v_cmp_ne_u32_e32 vcc, s44, v3
	v_pk_mov_b32 v[6:7], s[34:35], s[34:35] op_sel:[0,1]
	buffer_store_dword v6, off, s[0:3], s32 offset:336 ; 4-byte Folded Spill
	s_nop 0
	buffer_store_dword v7, off, s[0:3], s32 offset:340 ; 4-byte Folded Spill
	s_and_saveexec_b64 s[40:41], vcc
	s_cbranch_execz .LBB241_98
; %bb.97:                               ;   in Loop: Header=BB241_13 Depth=1
	v_mov_b32_e32 v4, 7
	v_and_b32_sdwa v4, v2, v4 dst_sel:DWORD dst_unused:UNUSED_PAD src0_sel:BYTE_1 src1_sel:DWORD
	v_lshrrev_b32_e32 v8, 3, v3
	v_cmp_gt_u32_e32 vcc, 8, v3
	v_ffbh_u32_e32 v3, v4
	v_min_u32_e32 v3, 32, v3
	v_subrev_u32_e32 v6, 28, v3
	v_lshlrev_b64 v[6:7], v6, v[4:5]
	v_sub_u32_e32 v3, 29, v3
	v_and_b32_e32 v6, 7, v6
	v_cndmask_b32_e32 v3, v8, v3, vcc
	v_cndmask_b32_e32 v4, v4, v6, vcc
	v_bfrev_b32_e32 v6, 60
	v_lshlrev_b32_e32 v2, 16, v2
	v_lshl_add_u32 v3, v3, 23, v6
	v_and_or_b32 v2, v2, s27, v3
	v_lshlrev_b32_e32 v3, 20, v4
	v_or_b32_e32 v3, v2, v3
	v_mov_b32_e32 v2, v5
	buffer_store_dword v2, off, s[0:3], s32 offset:336 ; 4-byte Folded Spill
	s_nop 0
	buffer_store_dword v3, off, s[0:3], s32 offset:340 ; 4-byte Folded Spill
.LBB241_98:                             ;   in Loop: Header=BB241_13 Depth=1
	s_or_b64 exec, exec, s[40:41]
.LBB241_99:                             ;   in Loop: Header=BB241_13 Depth=1
	s_or_b64 exec, exec, s[38:39]
.LBB241_100:                            ;   in Loop: Header=BB241_13 Depth=1
	s_or_b64 exec, exec, s[36:37]
	flat_load_ushort v1, v[0:1] offset:12
	v_pk_mov_b32 v[2:3], 0, 0
	buffer_store_dword v2, off, s[0:3], s32 offset:352 ; 4-byte Folded Spill
	s_nop 0
	buffer_store_dword v3, off, s[0:3], s32 offset:356 ; 4-byte Folded Spill
	buffer_store_dword v2, off, s[0:3], s32 offset:344 ; 4-byte Folded Spill
	s_nop 0
	buffer_store_dword v3, off, s[0:3], s32 offset:348 ; 4-byte Folded Spill
	s_waitcnt vmcnt(0) lgkmcnt(0)
	v_and_b32_e32 v0, 0xffff, v1
	v_cmp_ne_u16_sdwa vcc, v1, v5 src0_sel:BYTE_0 src1_sel:DWORD
	s_and_saveexec_b64 s[36:37], vcc
	s_cbranch_execz .LBB241_106
; %bb.101:                              ;   in Loop: Header=BB241_13 Depth=1
	v_bfrev_b32_e32 v2, 1
	v_cmp_ne_u16_sdwa vcc, v0, s43 src0_sel:BYTE_0 src1_sel:DWORD
	v_mov_b32_e32 v3, 0
	buffer_store_dword v2, off, s[0:3], s32 offset:344 ; 4-byte Folded Spill
	s_nop 0
	buffer_store_dword v3, off, s[0:3], s32 offset:348 ; 4-byte Folded Spill
	s_and_saveexec_b64 s[38:39], vcc
	s_cbranch_execz .LBB241_105
; %bb.102:                              ;   in Loop: Header=BB241_13 Depth=1
	v_and_b32_e32 v1, 0x7f, v0
	v_mov_b32_e32 v2, 0x7f800001
	v_cmp_ne_u32_e32 vcc, s44, v1
	v_mov_b32_e32 v3, 0
	buffer_store_dword v2, off, s[0:3], s32 offset:344 ; 4-byte Folded Spill
	s_nop 0
	buffer_store_dword v3, off, s[0:3], s32 offset:348 ; 4-byte Folded Spill
	s_and_saveexec_b64 s[40:41], vcc
	s_cbranch_execz .LBB241_104
; %bb.103:                              ;   in Loop: Header=BB241_13 Depth=1
	v_and_b32_e32 v4, 7, v0
	v_lshrrev_b32_e32 v6, 3, v1
	v_cmp_gt_u32_e32 vcc, 8, v1
	v_ffbh_u32_e32 v1, v4
	v_min_u32_e32 v1, 32, v1
	v_subrev_u32_e32 v2, 28, v1
	v_lshlrev_b64 v[2:3], v2, v[0:1]
	v_sub_u32_e32 v1, 29, v1
	v_and_b32_e32 v2, 7, v2
	v_cndmask_b32_e32 v1, v6, v1, vcc
	v_cndmask_b32_e32 v2, v4, v2, vcc
	v_bfrev_b32_e32 v4, 60
	v_lshlrev_b32_e32 v2, 20, v2
	v_and_b32_sdwa v3, sext(v0), s27 dst_sel:DWORD dst_unused:UNUSED_PAD src0_sel:BYTE_0 src1_sel:DWORD
	v_lshl_add_u32 v1, v1, 23, v4
	v_or3_b32 v4, v3, v1, v2
	buffer_store_dword v4, off, s[0:3], s32 offset:344 ; 4-byte Folded Spill
	s_nop 0
	buffer_store_dword v5, off, s[0:3], s32 offset:348 ; 4-byte Folded Spill
.LBB241_104:                            ;   in Loop: Header=BB241_13 Depth=1
	s_or_b64 exec, exec, s[40:41]
.LBB241_105:                            ;   in Loop: Header=BB241_13 Depth=1
	s_or_b64 exec, exec, s[38:39]
.LBB241_106:                            ;   in Loop: Header=BB241_13 Depth=1
	s_or_b64 exec, exec, s[36:37]
	v_cmp_ne_u16_sdwa vcc, v0, v5 src0_sel:BYTE_1 src1_sel:DWORD
	s_and_saveexec_b64 s[36:37], vcc
	s_cbranch_execz .LBB241_112
; %bb.107:                              ;   in Loop: Header=BB241_13 Depth=1
	v_cmp_ne_u16_sdwa vcc, v0, s43 src0_sel:BYTE_1 src1_sel:DWORD
	v_pk_mov_b32 v[2:3], s[26:27], s[26:27] op_sel:[0,1]
	buffer_store_dword v2, off, s[0:3], s32 offset:352 ; 4-byte Folded Spill
	s_nop 0
	buffer_store_dword v3, off, s[0:3], s32 offset:356 ; 4-byte Folded Spill
	s_and_saveexec_b64 s[38:39], vcc
	s_cbranch_execz .LBB241_111
; %bb.108:                              ;   in Loop: Header=BB241_13 Depth=1
	v_and_b32_sdwa v1, v0, s44 dst_sel:DWORD dst_unused:UNUSED_PAD src0_sel:BYTE_1 src1_sel:DWORD
	s_mov_b32 s34, s26
	v_cmp_ne_u32_e32 vcc, s44, v1
	v_pk_mov_b32 v[2:3], s[34:35], s[34:35] op_sel:[0,1]
	buffer_store_dword v2, off, s[0:3], s32 offset:352 ; 4-byte Folded Spill
	s_nop 0
	buffer_store_dword v3, off, s[0:3], s32 offset:356 ; 4-byte Folded Spill
	s_and_saveexec_b64 s[40:41], vcc
	s_cbranch_execz .LBB241_110
; %bb.109:                              ;   in Loop: Header=BB241_13 Depth=1
	v_mov_b32_e32 v2, 7
	v_and_b32_sdwa v4, v0, v2 dst_sel:DWORD dst_unused:UNUSED_PAD src0_sel:BYTE_1 src1_sel:DWORD
	v_lshrrev_b32_e32 v6, 3, v1
	v_cmp_gt_u32_e32 vcc, 8, v1
	v_ffbh_u32_e32 v1, v4
	v_min_u32_e32 v1, 32, v1
	v_subrev_u32_e32 v2, 28, v1
	v_lshlrev_b64 v[2:3], v2, v[4:5]
	v_sub_u32_e32 v1, 29, v1
	v_and_b32_e32 v2, 7, v2
	v_cndmask_b32_e32 v1, v6, v1, vcc
	v_bfrev_b32_e32 v3, 60
	v_cndmask_b32_e32 v2, v4, v2, vcc
	v_lshlrev_b32_e32 v0, 16, v0
	v_lshl_add_u32 v1, v1, 23, v3
	v_and_or_b32 v0, v0, s27, v1
	v_lshlrev_b32_e32 v1, 20, v2
	v_or_b32_e32 v1, v0, v1
	v_mov_b32_e32 v0, v5
	buffer_store_dword v0, off, s[0:3], s32 offset:352 ; 4-byte Folded Spill
	s_nop 0
	buffer_store_dword v1, off, s[0:3], s32 offset:356 ; 4-byte Folded Spill
.LBB241_110:                            ;   in Loop: Header=BB241_13 Depth=1
	s_or_b64 exec, exec, s[40:41]
.LBB241_111:                            ;   in Loop: Header=BB241_13 Depth=1
	s_or_b64 exec, exec, s[38:39]
.LBB241_112:                            ;   in Loop: Header=BB241_13 Depth=1
	s_or_b64 exec, exec, s[36:37]
	flat_load_ushort v1, v[18:19] offset:1024
	v_pk_mov_b32 v[2:3], 0, 0
	buffer_store_dword v2, off, s[0:3], s32 offset:368 ; 4-byte Folded Spill
	s_nop 0
	buffer_store_dword v3, off, s[0:3], s32 offset:372 ; 4-byte Folded Spill
	buffer_store_dword v2, off, s[0:3], s32 offset:360 ; 4-byte Folded Spill
	s_nop 0
	buffer_store_dword v3, off, s[0:3], s32 offset:364 ; 4-byte Folded Spill
	s_waitcnt vmcnt(0) lgkmcnt(0)
	v_and_b32_e32 v0, 0xffff, v1
	v_cmp_ne_u16_sdwa vcc, v1, v5 src0_sel:BYTE_0 src1_sel:DWORD
	s_and_saveexec_b64 s[36:37], vcc
	s_cbranch_execz .LBB241_118
; %bb.113:                              ;   in Loop: Header=BB241_13 Depth=1
	v_bfrev_b32_e32 v2, 1
	v_cmp_ne_u16_sdwa vcc, v0, s43 src0_sel:BYTE_0 src1_sel:DWORD
	v_mov_b32_e32 v3, 0
	buffer_store_dword v2, off, s[0:3], s32 offset:360 ; 4-byte Folded Spill
	s_nop 0
	buffer_store_dword v3, off, s[0:3], s32 offset:364 ; 4-byte Folded Spill
	s_and_saveexec_b64 s[38:39], vcc
	s_cbranch_execz .LBB241_117
; %bb.114:                              ;   in Loop: Header=BB241_13 Depth=1
	v_and_b32_e32 v1, 0x7f, v0
	v_mov_b32_e32 v2, 0x7f800001
	v_cmp_ne_u32_e32 vcc, s44, v1
	v_mov_b32_e32 v3, 0
	buffer_store_dword v2, off, s[0:3], s32 offset:360 ; 4-byte Folded Spill
	s_nop 0
	buffer_store_dword v3, off, s[0:3], s32 offset:364 ; 4-byte Folded Spill
	s_and_saveexec_b64 s[40:41], vcc
	s_cbranch_execz .LBB241_116
; %bb.115:                              ;   in Loop: Header=BB241_13 Depth=1
	v_and_b32_e32 v4, 7, v0
	v_lshrrev_b32_e32 v6, 3, v1
	v_cmp_gt_u32_e32 vcc, 8, v1
	v_ffbh_u32_e32 v1, v4
	v_min_u32_e32 v1, 32, v1
	v_subrev_u32_e32 v2, 28, v1
	v_lshlrev_b64 v[2:3], v2, v[0:1]
	v_sub_u32_e32 v1, 29, v1
	v_and_b32_e32 v2, 7, v2
	v_cndmask_b32_e32 v1, v6, v1, vcc
	v_cndmask_b32_e32 v2, v4, v2, vcc
	v_bfrev_b32_e32 v4, 60
	v_lshlrev_b32_e32 v2, 20, v2
	v_and_b32_sdwa v3, sext(v0), s27 dst_sel:DWORD dst_unused:UNUSED_PAD src0_sel:BYTE_0 src1_sel:DWORD
	v_lshl_add_u32 v1, v1, 23, v4
	v_or3_b32 v4, v3, v1, v2
	buffer_store_dword v4, off, s[0:3], s32 offset:360 ; 4-byte Folded Spill
	s_nop 0
	buffer_store_dword v5, off, s[0:3], s32 offset:364 ; 4-byte Folded Spill
.LBB241_116:                            ;   in Loop: Header=BB241_13 Depth=1
	s_or_b64 exec, exec, s[40:41]
.LBB241_117:                            ;   in Loop: Header=BB241_13 Depth=1
	s_or_b64 exec, exec, s[38:39]
.LBB241_118:                            ;   in Loop: Header=BB241_13 Depth=1
	s_or_b64 exec, exec, s[36:37]
	v_cmp_ne_u16_sdwa vcc, v0, v5 src0_sel:BYTE_1 src1_sel:DWORD
	s_and_saveexec_b64 s[36:37], vcc
	s_cbranch_execz .LBB241_124
; %bb.119:                              ;   in Loop: Header=BB241_13 Depth=1
	v_cmp_ne_u16_sdwa vcc, v0, s43 src0_sel:BYTE_1 src1_sel:DWORD
	v_pk_mov_b32 v[2:3], s[26:27], s[26:27] op_sel:[0,1]
	buffer_store_dword v2, off, s[0:3], s32 offset:368 ; 4-byte Folded Spill
	s_nop 0
	buffer_store_dword v3, off, s[0:3], s32 offset:372 ; 4-byte Folded Spill
	s_and_saveexec_b64 s[38:39], vcc
	s_cbranch_execz .LBB241_123
; %bb.120:                              ;   in Loop: Header=BB241_13 Depth=1
	v_and_b32_sdwa v1, v0, s44 dst_sel:DWORD dst_unused:UNUSED_PAD src0_sel:BYTE_1 src1_sel:DWORD
	s_mov_b32 s34, s26
	v_cmp_ne_u32_e32 vcc, s44, v1
	v_pk_mov_b32 v[2:3], s[34:35], s[34:35] op_sel:[0,1]
	buffer_store_dword v2, off, s[0:3], s32 offset:368 ; 4-byte Folded Spill
	s_nop 0
	buffer_store_dword v3, off, s[0:3], s32 offset:372 ; 4-byte Folded Spill
	s_and_saveexec_b64 s[40:41], vcc
	s_cbranch_execz .LBB241_122
; %bb.121:                              ;   in Loop: Header=BB241_13 Depth=1
	v_mov_b32_e32 v2, 7
	v_and_b32_sdwa v4, v0, v2 dst_sel:DWORD dst_unused:UNUSED_PAD src0_sel:BYTE_1 src1_sel:DWORD
	v_lshrrev_b32_e32 v6, 3, v1
	v_cmp_gt_u32_e32 vcc, 8, v1
	v_ffbh_u32_e32 v1, v4
	v_min_u32_e32 v1, 32, v1
	v_subrev_u32_e32 v2, 28, v1
	v_lshlrev_b64 v[2:3], v2, v[4:5]
	v_sub_u32_e32 v1, 29, v1
	v_and_b32_e32 v2, 7, v2
	v_cndmask_b32_e32 v1, v6, v1, vcc
	v_bfrev_b32_e32 v3, 60
	v_cndmask_b32_e32 v2, v4, v2, vcc
	v_lshlrev_b32_e32 v0, 16, v0
	v_lshl_add_u32 v1, v1, 23, v3
	v_and_or_b32 v0, v0, s27, v1
	v_lshlrev_b32_e32 v1, 20, v2
	v_or_b32_e32 v1, v0, v1
	v_mov_b32_e32 v0, v5
	buffer_store_dword v0, off, s[0:3], s32 offset:368 ; 4-byte Folded Spill
	s_nop 0
	buffer_store_dword v1, off, s[0:3], s32 offset:372 ; 4-byte Folded Spill
.LBB241_122:                            ;   in Loop: Header=BB241_13 Depth=1
	s_or_b64 exec, exec, s[40:41]
.LBB241_123:                            ;   in Loop: Header=BB241_13 Depth=1
	s_or_b64 exec, exec, s[38:39]
.LBB241_124:                            ;   in Loop: Header=BB241_13 Depth=1
	s_or_b64 exec, exec, s[36:37]
	flat_load_ushort v1, v[18:19] offset:1028
	v_pk_mov_b32 v[2:3], 0, 0
	buffer_store_dword v2, off, s[0:3], s32 offset:384 ; 4-byte Folded Spill
	s_nop 0
	buffer_store_dword v3, off, s[0:3], s32 offset:388 ; 4-byte Folded Spill
	buffer_store_dword v2, off, s[0:3], s32 offset:376 ; 4-byte Folded Spill
	s_nop 0
	buffer_store_dword v3, off, s[0:3], s32 offset:380 ; 4-byte Folded Spill
	s_waitcnt vmcnt(0) lgkmcnt(0)
	v_and_b32_e32 v0, 0xffff, v1
	v_cmp_ne_u16_sdwa vcc, v1, v5 src0_sel:BYTE_0 src1_sel:DWORD
	s_and_saveexec_b64 s[36:37], vcc
	s_cbranch_execz .LBB241_130
; %bb.125:                              ;   in Loop: Header=BB241_13 Depth=1
	v_bfrev_b32_e32 v2, 1
	v_cmp_ne_u16_sdwa vcc, v0, s43 src0_sel:BYTE_0 src1_sel:DWORD
	v_mov_b32_e32 v3, 0
	buffer_store_dword v2, off, s[0:3], s32 offset:376 ; 4-byte Folded Spill
	s_nop 0
	buffer_store_dword v3, off, s[0:3], s32 offset:380 ; 4-byte Folded Spill
	s_and_saveexec_b64 s[38:39], vcc
	s_cbranch_execz .LBB241_129
; %bb.126:                              ;   in Loop: Header=BB241_13 Depth=1
	v_and_b32_e32 v1, 0x7f, v0
	v_mov_b32_e32 v2, 0x7f800001
	v_cmp_ne_u32_e32 vcc, s44, v1
	v_mov_b32_e32 v3, 0
	buffer_store_dword v2, off, s[0:3], s32 offset:376 ; 4-byte Folded Spill
	s_nop 0
	buffer_store_dword v3, off, s[0:3], s32 offset:380 ; 4-byte Folded Spill
	s_and_saveexec_b64 s[40:41], vcc
	s_cbranch_execz .LBB241_128
; %bb.127:                              ;   in Loop: Header=BB241_13 Depth=1
	v_and_b32_e32 v4, 7, v0
	v_lshrrev_b32_e32 v6, 3, v1
	v_cmp_gt_u32_e32 vcc, 8, v1
	v_ffbh_u32_e32 v1, v4
	v_min_u32_e32 v1, 32, v1
	v_subrev_u32_e32 v2, 28, v1
	v_lshlrev_b64 v[2:3], v2, v[0:1]
	v_sub_u32_e32 v1, 29, v1
	v_and_b32_e32 v2, 7, v2
	v_cndmask_b32_e32 v1, v6, v1, vcc
	v_cndmask_b32_e32 v2, v4, v2, vcc
	v_bfrev_b32_e32 v4, 60
	v_lshlrev_b32_e32 v2, 20, v2
	v_and_b32_sdwa v3, sext(v0), s27 dst_sel:DWORD dst_unused:UNUSED_PAD src0_sel:BYTE_0 src1_sel:DWORD
	v_lshl_add_u32 v1, v1, 23, v4
	v_or3_b32 v4, v3, v1, v2
	buffer_store_dword v4, off, s[0:3], s32 offset:376 ; 4-byte Folded Spill
	s_nop 0
	buffer_store_dword v5, off, s[0:3], s32 offset:380 ; 4-byte Folded Spill
.LBB241_128:                            ;   in Loop: Header=BB241_13 Depth=1
	s_or_b64 exec, exec, s[40:41]
.LBB241_129:                            ;   in Loop: Header=BB241_13 Depth=1
	s_or_b64 exec, exec, s[38:39]
.LBB241_130:                            ;   in Loop: Header=BB241_13 Depth=1
	s_or_b64 exec, exec, s[36:37]
	v_cmp_ne_u16_sdwa vcc, v0, v5 src0_sel:BYTE_1 src1_sel:DWORD
	s_and_saveexec_b64 s[36:37], vcc
	s_cbranch_execz .LBB241_136
; %bb.131:                              ;   in Loop: Header=BB241_13 Depth=1
	v_cmp_ne_u16_sdwa vcc, v0, s43 src0_sel:BYTE_1 src1_sel:DWORD
	v_pk_mov_b32 v[2:3], s[26:27], s[26:27] op_sel:[0,1]
	buffer_store_dword v2, off, s[0:3], s32 offset:384 ; 4-byte Folded Spill
	s_nop 0
	buffer_store_dword v3, off, s[0:3], s32 offset:388 ; 4-byte Folded Spill
	s_and_saveexec_b64 s[38:39], vcc
	s_cbranch_execz .LBB241_135
; %bb.132:                              ;   in Loop: Header=BB241_13 Depth=1
	v_and_b32_sdwa v1, v0, s44 dst_sel:DWORD dst_unused:UNUSED_PAD src0_sel:BYTE_1 src1_sel:DWORD
	s_mov_b32 s34, s26
	v_cmp_ne_u32_e32 vcc, s44, v1
	v_pk_mov_b32 v[2:3], s[34:35], s[34:35] op_sel:[0,1]
	buffer_store_dword v2, off, s[0:3], s32 offset:384 ; 4-byte Folded Spill
	s_nop 0
	buffer_store_dword v3, off, s[0:3], s32 offset:388 ; 4-byte Folded Spill
	s_and_saveexec_b64 s[40:41], vcc
	s_cbranch_execz .LBB241_134
; %bb.133:                              ;   in Loop: Header=BB241_13 Depth=1
	v_mov_b32_e32 v2, 7
	v_and_b32_sdwa v4, v0, v2 dst_sel:DWORD dst_unused:UNUSED_PAD src0_sel:BYTE_1 src1_sel:DWORD
	v_lshrrev_b32_e32 v6, 3, v1
	v_cmp_gt_u32_e32 vcc, 8, v1
	v_ffbh_u32_e32 v1, v4
	v_min_u32_e32 v1, 32, v1
	v_subrev_u32_e32 v2, 28, v1
	v_lshlrev_b64 v[2:3], v2, v[4:5]
	v_sub_u32_e32 v1, 29, v1
	v_and_b32_e32 v2, 7, v2
	v_cndmask_b32_e32 v1, v6, v1, vcc
	v_bfrev_b32_e32 v3, 60
	v_cndmask_b32_e32 v2, v4, v2, vcc
	v_lshlrev_b32_e32 v0, 16, v0
	v_lshl_add_u32 v1, v1, 23, v3
	v_and_or_b32 v0, v0, s27, v1
	v_lshlrev_b32_e32 v1, 20, v2
	v_or_b32_e32 v1, v0, v1
	v_mov_b32_e32 v0, v5
	buffer_store_dword v0, off, s[0:3], s32 offset:384 ; 4-byte Folded Spill
	s_nop 0
	buffer_store_dword v1, off, s[0:3], s32 offset:388 ; 4-byte Folded Spill
.LBB241_134:                            ;   in Loop: Header=BB241_13 Depth=1
	s_or_b64 exec, exec, s[40:41]
.LBB241_135:                            ;   in Loop: Header=BB241_13 Depth=1
	s_or_b64 exec, exec, s[38:39]
.LBB241_136:                            ;   in Loop: Header=BB241_13 Depth=1
	s_or_b64 exec, exec, s[36:37]
	v_add_co_u32_e32 v0, vcc, 0x400, v18
	v_addc_co_u32_e32 v1, vcc, 0, v19, vcc
	flat_load_ushort v3, v[0:1] offset:8
	v_pk_mov_b32 v[6:7], 0, 0
	buffer_store_dword v6, off, s[0:3], s32 offset:400 ; 4-byte Folded Spill
	s_nop 0
	buffer_store_dword v7, off, s[0:3], s32 offset:404 ; 4-byte Folded Spill
	buffer_store_dword v6, off, s[0:3], s32 offset:392 ; 4-byte Folded Spill
	s_nop 0
	buffer_store_dword v7, off, s[0:3], s32 offset:396 ; 4-byte Folded Spill
	s_waitcnt vmcnt(0) lgkmcnt(0)
	v_and_b32_e32 v2, 0xffff, v3
	v_cmp_ne_u16_sdwa vcc, v3, v5 src0_sel:BYTE_0 src1_sel:DWORD
	s_and_saveexec_b64 s[36:37], vcc
	s_cbranch_execz .LBB241_142
; %bb.137:                              ;   in Loop: Header=BB241_13 Depth=1
	v_bfrev_b32_e32 v6, 1
	v_cmp_ne_u16_sdwa vcc, v2, s43 src0_sel:BYTE_0 src1_sel:DWORD
	v_mov_b32_e32 v7, 0
	buffer_store_dword v6, off, s[0:3], s32 offset:392 ; 4-byte Folded Spill
	s_nop 0
	buffer_store_dword v7, off, s[0:3], s32 offset:396 ; 4-byte Folded Spill
	s_and_saveexec_b64 s[38:39], vcc
	s_cbranch_execz .LBB241_141
; %bb.138:                              ;   in Loop: Header=BB241_13 Depth=1
	v_and_b32_e32 v3, 0x7f, v2
	v_mov_b32_e32 v6, 0x7f800001
	v_cmp_ne_u32_e32 vcc, s44, v3
	v_mov_b32_e32 v7, 0
	buffer_store_dword v6, off, s[0:3], s32 offset:392 ; 4-byte Folded Spill
	s_nop 0
	buffer_store_dword v7, off, s[0:3], s32 offset:396 ; 4-byte Folded Spill
	s_and_saveexec_b64 s[40:41], vcc
	s_cbranch_execz .LBB241_140
; %bb.139:                              ;   in Loop: Header=BB241_13 Depth=1
	v_and_b32_e32 v4, 7, v2
	v_lshrrev_b32_e32 v8, 3, v3
	v_cmp_gt_u32_e32 vcc, 8, v3
	v_ffbh_u32_e32 v3, v4
	v_min_u32_e32 v3, 32, v3
	v_subrev_u32_e32 v6, 28, v3
	v_lshlrev_b64 v[6:7], v6, v[2:3]
	v_sub_u32_e32 v3, 29, v3
	v_and_b32_e32 v6, 7, v6
	v_cndmask_b32_e32 v3, v8, v3, vcc
	v_cndmask_b32_e32 v4, v4, v6, vcc
	v_bfrev_b32_e32 v7, 60
	v_lshlrev_b32_e32 v4, 20, v4
	v_and_b32_sdwa v6, sext(v2), s27 dst_sel:DWORD dst_unused:UNUSED_PAD src0_sel:BYTE_0 src1_sel:DWORD
	v_lshl_add_u32 v3, v3, 23, v7
	v_or3_b32 v4, v6, v3, v4
	buffer_store_dword v4, off, s[0:3], s32 offset:392 ; 4-byte Folded Spill
	s_nop 0
	buffer_store_dword v5, off, s[0:3], s32 offset:396 ; 4-byte Folded Spill
.LBB241_140:                            ;   in Loop: Header=BB241_13 Depth=1
	s_or_b64 exec, exec, s[40:41]
.LBB241_141:                            ;   in Loop: Header=BB241_13 Depth=1
	s_or_b64 exec, exec, s[38:39]
.LBB241_142:                            ;   in Loop: Header=BB241_13 Depth=1
	s_or_b64 exec, exec, s[36:37]
	v_cmp_ne_u16_sdwa vcc, v2, v5 src0_sel:BYTE_1 src1_sel:DWORD
	s_and_saveexec_b64 s[36:37], vcc
	s_cbranch_execz .LBB241_148
; %bb.143:                              ;   in Loop: Header=BB241_13 Depth=1
	v_cmp_ne_u16_sdwa vcc, v2, s43 src0_sel:BYTE_1 src1_sel:DWORD
	v_pk_mov_b32 v[6:7], s[26:27], s[26:27] op_sel:[0,1]
	buffer_store_dword v6, off, s[0:3], s32 offset:400 ; 4-byte Folded Spill
	s_nop 0
	buffer_store_dword v7, off, s[0:3], s32 offset:404 ; 4-byte Folded Spill
	s_and_saveexec_b64 s[38:39], vcc
	s_cbranch_execz .LBB241_147
; %bb.144:                              ;   in Loop: Header=BB241_13 Depth=1
	v_and_b32_sdwa v3, v2, s44 dst_sel:DWORD dst_unused:UNUSED_PAD src0_sel:BYTE_1 src1_sel:DWORD
	s_mov_b32 s34, s26
	v_cmp_ne_u32_e32 vcc, s44, v3
	v_pk_mov_b32 v[6:7], s[34:35], s[34:35] op_sel:[0,1]
	buffer_store_dword v6, off, s[0:3], s32 offset:400 ; 4-byte Folded Spill
	s_nop 0
	buffer_store_dword v7, off, s[0:3], s32 offset:404 ; 4-byte Folded Spill
	s_and_saveexec_b64 s[40:41], vcc
	s_cbranch_execz .LBB241_146
; %bb.145:                              ;   in Loop: Header=BB241_13 Depth=1
	v_mov_b32_e32 v4, 7
	v_and_b32_sdwa v4, v2, v4 dst_sel:DWORD dst_unused:UNUSED_PAD src0_sel:BYTE_1 src1_sel:DWORD
	v_lshrrev_b32_e32 v8, 3, v3
	v_cmp_gt_u32_e32 vcc, 8, v3
	v_ffbh_u32_e32 v3, v4
	v_min_u32_e32 v3, 32, v3
	v_subrev_u32_e32 v6, 28, v3
	v_lshlrev_b64 v[6:7], v6, v[4:5]
	v_sub_u32_e32 v3, 29, v3
	v_and_b32_e32 v6, 7, v6
	v_cndmask_b32_e32 v3, v8, v3, vcc
	v_cndmask_b32_e32 v4, v4, v6, vcc
	v_bfrev_b32_e32 v6, 60
	v_lshlrev_b32_e32 v2, 16, v2
	v_lshl_add_u32 v3, v3, 23, v6
	v_and_or_b32 v2, v2, s27, v3
	v_lshlrev_b32_e32 v3, 20, v4
	v_or_b32_e32 v3, v2, v3
	v_mov_b32_e32 v2, v5
	buffer_store_dword v2, off, s[0:3], s32 offset:400 ; 4-byte Folded Spill
	s_nop 0
	buffer_store_dword v3, off, s[0:3], s32 offset:404 ; 4-byte Folded Spill
.LBB241_146:                            ;   in Loop: Header=BB241_13 Depth=1
	s_or_b64 exec, exec, s[40:41]
.LBB241_147:                            ;   in Loop: Header=BB241_13 Depth=1
	s_or_b64 exec, exec, s[38:39]
.LBB241_148:                            ;   in Loop: Header=BB241_13 Depth=1
	s_or_b64 exec, exec, s[36:37]
	flat_load_ushort v1, v[0:1] offset:12
	v_pk_mov_b32 v[2:3], 0, 0
	v_pk_mov_b32 v[46:47], v[2:3], v[2:3] op_sel:[0,1]
	buffer_store_dword v2, off, s[0:3], s32 offset:408 ; 4-byte Folded Spill
	s_nop 0
	buffer_store_dword v3, off, s[0:3], s32 offset:412 ; 4-byte Folded Spill
	s_waitcnt vmcnt(0) lgkmcnt(0)
	v_and_b32_e32 v0, 0xffff, v1
	v_cmp_ne_u16_sdwa vcc, v1, v5 src0_sel:BYTE_0 src1_sel:DWORD
	s_and_saveexec_b64 s[36:37], vcc
	s_cbranch_execz .LBB241_154
; %bb.149:                              ;   in Loop: Header=BB241_13 Depth=1
	v_bfrev_b32_e32 v2, 1
	v_cmp_ne_u16_sdwa vcc, v0, s43 src0_sel:BYTE_0 src1_sel:DWORD
	v_mov_b32_e32 v3, 0
	buffer_store_dword v2, off, s[0:3], s32 offset:408 ; 4-byte Folded Spill
	s_nop 0
	buffer_store_dword v3, off, s[0:3], s32 offset:412 ; 4-byte Folded Spill
	s_and_saveexec_b64 s[38:39], vcc
	s_cbranch_execz .LBB241_153
; %bb.150:                              ;   in Loop: Header=BB241_13 Depth=1
	v_and_b32_e32 v1, 0x7f, v0
	v_mov_b32_e32 v2, 0x7f800001
	v_cmp_ne_u32_e32 vcc, s44, v1
	v_mov_b32_e32 v3, 0
	buffer_store_dword v2, off, s[0:3], s32 offset:408 ; 4-byte Folded Spill
	s_nop 0
	buffer_store_dword v3, off, s[0:3], s32 offset:412 ; 4-byte Folded Spill
	s_and_saveexec_b64 s[40:41], vcc
	s_cbranch_execz .LBB241_152
; %bb.151:                              ;   in Loop: Header=BB241_13 Depth=1
	v_and_b32_e32 v4, 7, v0
	v_lshrrev_b32_e32 v6, 3, v1
	v_cmp_gt_u32_e32 vcc, 8, v1
	v_ffbh_u32_e32 v1, v4
	v_min_u32_e32 v1, 32, v1
	v_subrev_u32_e32 v2, 28, v1
	v_lshlrev_b64 v[2:3], v2, v[0:1]
	v_sub_u32_e32 v1, 29, v1
	v_and_b32_e32 v2, 7, v2
	v_cndmask_b32_e32 v1, v6, v1, vcc
	v_cndmask_b32_e32 v2, v4, v2, vcc
	v_bfrev_b32_e32 v4, 60
	v_lshlrev_b32_e32 v2, 20, v2
	v_and_b32_sdwa v3, sext(v0), s27 dst_sel:DWORD dst_unused:UNUSED_PAD src0_sel:BYTE_0 src1_sel:DWORD
	v_lshl_add_u32 v1, v1, 23, v4
	v_or3_b32 v4, v3, v1, v2
	buffer_store_dword v4, off, s[0:3], s32 offset:408 ; 4-byte Folded Spill
	s_nop 0
	buffer_store_dword v5, off, s[0:3], s32 offset:412 ; 4-byte Folded Spill
.LBB241_152:                            ;   in Loop: Header=BB241_13 Depth=1
	s_or_b64 exec, exec, s[40:41]
.LBB241_153:                            ;   in Loop: Header=BB241_13 Depth=1
	s_or_b64 exec, exec, s[38:39]
.LBB241_154:                            ;   in Loop: Header=BB241_13 Depth=1
	s_or_b64 exec, exec, s[36:37]
	v_cmp_ne_u16_sdwa vcc, v0, v5 src0_sel:BYTE_1 src1_sel:DWORD
	s_and_saveexec_b64 s[36:37], vcc
	s_cbranch_execz .LBB241_160
; %bb.155:                              ;   in Loop: Header=BB241_13 Depth=1
	v_cmp_ne_u16_sdwa vcc, v0, s43 src0_sel:BYTE_1 src1_sel:DWORD
	v_pk_mov_b32 v[46:47], s[26:27], s[26:27] op_sel:[0,1]
	s_and_saveexec_b64 s[38:39], vcc
	s_cbranch_execz .LBB241_159
; %bb.156:                              ;   in Loop: Header=BB241_13 Depth=1
	v_and_b32_sdwa v1, v0, s44 dst_sel:DWORD dst_unused:UNUSED_PAD src0_sel:BYTE_1 src1_sel:DWORD
	s_mov_b32 s34, s26
	v_cmp_ne_u32_e32 vcc, s44, v1
	v_pk_mov_b32 v[46:47], s[34:35], s[34:35] op_sel:[0,1]
	s_and_saveexec_b64 s[40:41], vcc
	s_cbranch_execz .LBB241_158
; %bb.157:                              ;   in Loop: Header=BB241_13 Depth=1
	v_mov_b32_e32 v2, 7
	v_and_b32_sdwa v4, v0, v2 dst_sel:DWORD dst_unused:UNUSED_PAD src0_sel:BYTE_1 src1_sel:DWORD
	v_lshrrev_b32_e32 v6, 3, v1
	v_cmp_gt_u32_e32 vcc, 8, v1
	v_ffbh_u32_e32 v1, v4
	v_min_u32_e32 v1, 32, v1
	v_subrev_u32_e32 v2, 28, v1
	v_lshlrev_b64 v[2:3], v2, v[4:5]
	v_sub_u32_e32 v1, 29, v1
	v_and_b32_e32 v2, 7, v2
	v_cndmask_b32_e32 v1, v6, v1, vcc
	v_bfrev_b32_e32 v3, 60
	v_cndmask_b32_e32 v2, v4, v2, vcc
	v_lshlrev_b32_e32 v0, 16, v0
	v_lshl_add_u32 v1, v1, 23, v3
	v_and_or_b32 v0, v0, s27, v1
	v_lshlrev_b32_e32 v1, 20, v2
	v_or_b32_e32 v47, v0, v1
	v_mov_b32_e32 v46, v5
.LBB241_158:                            ;   in Loop: Header=BB241_13 Depth=1
	s_or_b64 exec, exec, s[40:41]
.LBB241_159:                            ;   in Loop: Header=BB241_13 Depth=1
	s_or_b64 exec, exec, s[38:39]
.LBB241_160:                            ;   in Loop: Header=BB241_13 Depth=1
	s_or_b64 exec, exec, s[36:37]
	flat_load_ushort v1, v[18:19] offset:1536
	v_pk_mov_b32 v[2:3], 0, 0
	buffer_store_dword v2, off, s[0:3], s32 offset:424 ; 4-byte Folded Spill
	s_nop 0
	buffer_store_dword v3, off, s[0:3], s32 offset:428 ; 4-byte Folded Spill
	buffer_store_dword v2, off, s[0:3], s32 offset:416 ; 4-byte Folded Spill
	s_nop 0
	buffer_store_dword v3, off, s[0:3], s32 offset:420 ; 4-byte Folded Spill
	s_waitcnt vmcnt(0) lgkmcnt(0)
	v_and_b32_e32 v0, 0xffff, v1
	v_cmp_ne_u16_sdwa vcc, v1, v5 src0_sel:BYTE_0 src1_sel:DWORD
	s_and_saveexec_b64 s[36:37], vcc
	s_cbranch_execz .LBB241_166
; %bb.161:                              ;   in Loop: Header=BB241_13 Depth=1
	v_bfrev_b32_e32 v2, 1
	v_cmp_ne_u16_sdwa vcc, v0, s43 src0_sel:BYTE_0 src1_sel:DWORD
	v_mov_b32_e32 v3, 0
	buffer_store_dword v2, off, s[0:3], s32 offset:416 ; 4-byte Folded Spill
	s_nop 0
	buffer_store_dword v3, off, s[0:3], s32 offset:420 ; 4-byte Folded Spill
	s_and_saveexec_b64 s[38:39], vcc
	s_cbranch_execz .LBB241_165
; %bb.162:                              ;   in Loop: Header=BB241_13 Depth=1
	v_and_b32_e32 v1, 0x7f, v0
	v_mov_b32_e32 v2, 0x7f800001
	v_cmp_ne_u32_e32 vcc, s44, v1
	v_mov_b32_e32 v3, 0
	buffer_store_dword v2, off, s[0:3], s32 offset:416 ; 4-byte Folded Spill
	s_nop 0
	buffer_store_dword v3, off, s[0:3], s32 offset:420 ; 4-byte Folded Spill
	s_and_saveexec_b64 s[40:41], vcc
	s_cbranch_execz .LBB241_164
; %bb.163:                              ;   in Loop: Header=BB241_13 Depth=1
	v_and_b32_e32 v4, 7, v0
	v_lshrrev_b32_e32 v6, 3, v1
	v_cmp_gt_u32_e32 vcc, 8, v1
	v_ffbh_u32_e32 v1, v4
	v_min_u32_e32 v1, 32, v1
	v_subrev_u32_e32 v2, 28, v1
	v_lshlrev_b64 v[2:3], v2, v[0:1]
	v_sub_u32_e32 v1, 29, v1
	v_and_b32_e32 v2, 7, v2
	v_cndmask_b32_e32 v1, v6, v1, vcc
	v_cndmask_b32_e32 v2, v4, v2, vcc
	v_bfrev_b32_e32 v4, 60
	v_lshlrev_b32_e32 v2, 20, v2
	v_and_b32_sdwa v3, sext(v0), s27 dst_sel:DWORD dst_unused:UNUSED_PAD src0_sel:BYTE_0 src1_sel:DWORD
	v_lshl_add_u32 v1, v1, 23, v4
	v_or3_b32 v4, v3, v1, v2
	buffer_store_dword v4, off, s[0:3], s32 offset:416 ; 4-byte Folded Spill
	s_nop 0
	buffer_store_dword v5, off, s[0:3], s32 offset:420 ; 4-byte Folded Spill
.LBB241_164:                            ;   in Loop: Header=BB241_13 Depth=1
	s_or_b64 exec, exec, s[40:41]
.LBB241_165:                            ;   in Loop: Header=BB241_13 Depth=1
	s_or_b64 exec, exec, s[38:39]
.LBB241_166:                            ;   in Loop: Header=BB241_13 Depth=1
	s_or_b64 exec, exec, s[36:37]
	v_cmp_ne_u16_sdwa vcc, v0, v5 src0_sel:BYTE_1 src1_sel:DWORD
	s_and_saveexec_b64 s[36:37], vcc
	s_cbranch_execz .LBB241_172
; %bb.167:                              ;   in Loop: Header=BB241_13 Depth=1
	v_cmp_ne_u16_sdwa vcc, v0, s43 src0_sel:BYTE_1 src1_sel:DWORD
	v_pk_mov_b32 v[2:3], s[26:27], s[26:27] op_sel:[0,1]
	buffer_store_dword v2, off, s[0:3], s32 offset:424 ; 4-byte Folded Spill
	s_nop 0
	buffer_store_dword v3, off, s[0:3], s32 offset:428 ; 4-byte Folded Spill
	s_and_saveexec_b64 s[38:39], vcc
	s_cbranch_execz .LBB241_171
; %bb.168:                              ;   in Loop: Header=BB241_13 Depth=1
	v_and_b32_sdwa v1, v0, s44 dst_sel:DWORD dst_unused:UNUSED_PAD src0_sel:BYTE_1 src1_sel:DWORD
	s_mov_b32 s34, s26
	v_cmp_ne_u32_e32 vcc, s44, v1
	v_pk_mov_b32 v[2:3], s[34:35], s[34:35] op_sel:[0,1]
	buffer_store_dword v2, off, s[0:3], s32 offset:424 ; 4-byte Folded Spill
	s_nop 0
	buffer_store_dword v3, off, s[0:3], s32 offset:428 ; 4-byte Folded Spill
	s_and_saveexec_b64 s[40:41], vcc
	s_cbranch_execz .LBB241_170
; %bb.169:                              ;   in Loop: Header=BB241_13 Depth=1
	v_mov_b32_e32 v2, 7
	v_and_b32_sdwa v4, v0, v2 dst_sel:DWORD dst_unused:UNUSED_PAD src0_sel:BYTE_1 src1_sel:DWORD
	v_lshrrev_b32_e32 v6, 3, v1
	v_cmp_gt_u32_e32 vcc, 8, v1
	v_ffbh_u32_e32 v1, v4
	v_min_u32_e32 v1, 32, v1
	v_subrev_u32_e32 v2, 28, v1
	v_lshlrev_b64 v[2:3], v2, v[4:5]
	v_sub_u32_e32 v1, 29, v1
	v_and_b32_e32 v2, 7, v2
	v_cndmask_b32_e32 v1, v6, v1, vcc
	v_bfrev_b32_e32 v3, 60
	v_cndmask_b32_e32 v2, v4, v2, vcc
	v_lshlrev_b32_e32 v0, 16, v0
	v_lshl_add_u32 v1, v1, 23, v3
	v_and_or_b32 v0, v0, s27, v1
	v_lshlrev_b32_e32 v1, 20, v2
	v_or_b32_e32 v1, v0, v1
	v_mov_b32_e32 v0, v5
	buffer_store_dword v0, off, s[0:3], s32 offset:424 ; 4-byte Folded Spill
	s_nop 0
	buffer_store_dword v1, off, s[0:3], s32 offset:428 ; 4-byte Folded Spill
.LBB241_170:                            ;   in Loop: Header=BB241_13 Depth=1
	s_or_b64 exec, exec, s[40:41]
.LBB241_171:                            ;   in Loop: Header=BB241_13 Depth=1
	s_or_b64 exec, exec, s[38:39]
.LBB241_172:                            ;   in Loop: Header=BB241_13 Depth=1
	s_or_b64 exec, exec, s[36:37]
	flat_load_ushort v1, v[18:19] offset:1540
	v_pk_mov_b32 v[2:3], 0, 0
	buffer_store_dword v2, off, s[0:3], s32 offset:440 ; 4-byte Folded Spill
	s_nop 0
	buffer_store_dword v3, off, s[0:3], s32 offset:444 ; 4-byte Folded Spill
	buffer_store_dword v2, off, s[0:3], s32 offset:432 ; 4-byte Folded Spill
	s_nop 0
	buffer_store_dword v3, off, s[0:3], s32 offset:436 ; 4-byte Folded Spill
	s_waitcnt vmcnt(0) lgkmcnt(0)
	v_and_b32_e32 v0, 0xffff, v1
	v_cmp_ne_u16_sdwa vcc, v1, v5 src0_sel:BYTE_0 src1_sel:DWORD
	s_and_saveexec_b64 s[36:37], vcc
	s_cbranch_execz .LBB241_178
; %bb.173:                              ;   in Loop: Header=BB241_13 Depth=1
	v_bfrev_b32_e32 v2, 1
	v_cmp_ne_u16_sdwa vcc, v0, s43 src0_sel:BYTE_0 src1_sel:DWORD
	v_mov_b32_e32 v3, 0
	buffer_store_dword v2, off, s[0:3], s32 offset:432 ; 4-byte Folded Spill
	s_nop 0
	buffer_store_dword v3, off, s[0:3], s32 offset:436 ; 4-byte Folded Spill
	s_and_saveexec_b64 s[38:39], vcc
	s_cbranch_execz .LBB241_177
; %bb.174:                              ;   in Loop: Header=BB241_13 Depth=1
	v_and_b32_e32 v1, 0x7f, v0
	v_mov_b32_e32 v2, 0x7f800001
	v_cmp_ne_u32_e32 vcc, s44, v1
	v_mov_b32_e32 v3, 0
	buffer_store_dword v2, off, s[0:3], s32 offset:432 ; 4-byte Folded Spill
	s_nop 0
	buffer_store_dword v3, off, s[0:3], s32 offset:436 ; 4-byte Folded Spill
	s_and_saveexec_b64 s[40:41], vcc
	s_cbranch_execz .LBB241_176
; %bb.175:                              ;   in Loop: Header=BB241_13 Depth=1
	v_and_b32_e32 v4, 7, v0
	v_lshrrev_b32_e32 v6, 3, v1
	v_cmp_gt_u32_e32 vcc, 8, v1
	v_ffbh_u32_e32 v1, v4
	v_min_u32_e32 v1, 32, v1
	v_subrev_u32_e32 v2, 28, v1
	v_lshlrev_b64 v[2:3], v2, v[0:1]
	v_sub_u32_e32 v1, 29, v1
	v_and_b32_e32 v2, 7, v2
	v_cndmask_b32_e32 v1, v6, v1, vcc
	v_cndmask_b32_e32 v2, v4, v2, vcc
	v_bfrev_b32_e32 v4, 60
	v_lshlrev_b32_e32 v2, 20, v2
	v_and_b32_sdwa v3, sext(v0), s27 dst_sel:DWORD dst_unused:UNUSED_PAD src0_sel:BYTE_0 src1_sel:DWORD
	v_lshl_add_u32 v1, v1, 23, v4
	v_or3_b32 v4, v3, v1, v2
	buffer_store_dword v4, off, s[0:3], s32 offset:432 ; 4-byte Folded Spill
	s_nop 0
	buffer_store_dword v5, off, s[0:3], s32 offset:436 ; 4-byte Folded Spill
.LBB241_176:                            ;   in Loop: Header=BB241_13 Depth=1
	s_or_b64 exec, exec, s[40:41]
.LBB241_177:                            ;   in Loop: Header=BB241_13 Depth=1
	s_or_b64 exec, exec, s[38:39]
.LBB241_178:                            ;   in Loop: Header=BB241_13 Depth=1
	s_or_b64 exec, exec, s[36:37]
	v_cmp_ne_u16_sdwa vcc, v0, v5 src0_sel:BYTE_1 src1_sel:DWORD
	s_and_saveexec_b64 s[36:37], vcc
	s_cbranch_execz .LBB241_184
; %bb.179:                              ;   in Loop: Header=BB241_13 Depth=1
	v_cmp_ne_u16_sdwa vcc, v0, s43 src0_sel:BYTE_1 src1_sel:DWORD
	v_pk_mov_b32 v[2:3], s[26:27], s[26:27] op_sel:[0,1]
	buffer_store_dword v2, off, s[0:3], s32 offset:440 ; 4-byte Folded Spill
	s_nop 0
	buffer_store_dword v3, off, s[0:3], s32 offset:444 ; 4-byte Folded Spill
	s_and_saveexec_b64 s[38:39], vcc
	s_cbranch_execz .LBB241_183
; %bb.180:                              ;   in Loop: Header=BB241_13 Depth=1
	v_and_b32_sdwa v1, v0, s44 dst_sel:DWORD dst_unused:UNUSED_PAD src0_sel:BYTE_1 src1_sel:DWORD
	s_mov_b32 s34, s26
	v_cmp_ne_u32_e32 vcc, s44, v1
	v_pk_mov_b32 v[2:3], s[34:35], s[34:35] op_sel:[0,1]
	buffer_store_dword v2, off, s[0:3], s32 offset:440 ; 4-byte Folded Spill
	s_nop 0
	buffer_store_dword v3, off, s[0:3], s32 offset:444 ; 4-byte Folded Spill
	s_and_saveexec_b64 s[40:41], vcc
	s_cbranch_execz .LBB241_182
; %bb.181:                              ;   in Loop: Header=BB241_13 Depth=1
	v_mov_b32_e32 v2, 7
	v_and_b32_sdwa v4, v0, v2 dst_sel:DWORD dst_unused:UNUSED_PAD src0_sel:BYTE_1 src1_sel:DWORD
	v_lshrrev_b32_e32 v6, 3, v1
	v_cmp_gt_u32_e32 vcc, 8, v1
	v_ffbh_u32_e32 v1, v4
	v_min_u32_e32 v1, 32, v1
	v_subrev_u32_e32 v2, 28, v1
	v_lshlrev_b64 v[2:3], v2, v[4:5]
	v_sub_u32_e32 v1, 29, v1
	v_and_b32_e32 v2, 7, v2
	v_cndmask_b32_e32 v1, v6, v1, vcc
	v_bfrev_b32_e32 v3, 60
	v_cndmask_b32_e32 v2, v4, v2, vcc
	v_lshlrev_b32_e32 v0, 16, v0
	v_lshl_add_u32 v1, v1, 23, v3
	v_and_or_b32 v0, v0, s27, v1
	v_lshlrev_b32_e32 v1, 20, v2
	v_or_b32_e32 v1, v0, v1
	v_mov_b32_e32 v0, v5
	buffer_store_dword v0, off, s[0:3], s32 offset:440 ; 4-byte Folded Spill
	s_nop 0
	buffer_store_dword v1, off, s[0:3], s32 offset:444 ; 4-byte Folded Spill
.LBB241_182:                            ;   in Loop: Header=BB241_13 Depth=1
	s_or_b64 exec, exec, s[40:41]
.LBB241_183:                            ;   in Loop: Header=BB241_13 Depth=1
	s_or_b64 exec, exec, s[38:39]
.LBB241_184:                            ;   in Loop: Header=BB241_13 Depth=1
	s_or_b64 exec, exec, s[36:37]
	v_add_co_u32_e32 v0, vcc, 0x600, v18
	v_addc_co_u32_e32 v1, vcc, 0, v19, vcc
	flat_load_ushort v3, v[0:1] offset:8
	v_pk_mov_b32 v[6:7], 0, 0
	buffer_store_dword v6, off, s[0:3], s32 offset:456 ; 4-byte Folded Spill
	s_nop 0
	buffer_store_dword v7, off, s[0:3], s32 offset:460 ; 4-byte Folded Spill
	buffer_store_dword v6, off, s[0:3], s32 offset:448 ; 4-byte Folded Spill
	s_nop 0
	buffer_store_dword v7, off, s[0:3], s32 offset:452 ; 4-byte Folded Spill
	s_waitcnt vmcnt(0) lgkmcnt(0)
	v_and_b32_e32 v2, 0xffff, v3
	v_cmp_ne_u16_sdwa vcc, v3, v5 src0_sel:BYTE_0 src1_sel:DWORD
	s_and_saveexec_b64 s[36:37], vcc
	s_cbranch_execz .LBB241_190
; %bb.185:                              ;   in Loop: Header=BB241_13 Depth=1
	v_bfrev_b32_e32 v6, 1
	v_cmp_ne_u16_sdwa vcc, v2, s43 src0_sel:BYTE_0 src1_sel:DWORD
	v_mov_b32_e32 v7, 0
	buffer_store_dword v6, off, s[0:3], s32 offset:448 ; 4-byte Folded Spill
	s_nop 0
	buffer_store_dword v7, off, s[0:3], s32 offset:452 ; 4-byte Folded Spill
	s_and_saveexec_b64 s[38:39], vcc
	s_cbranch_execz .LBB241_189
; %bb.186:                              ;   in Loop: Header=BB241_13 Depth=1
	v_and_b32_e32 v3, 0x7f, v2
	v_mov_b32_e32 v6, 0x7f800001
	v_cmp_ne_u32_e32 vcc, s44, v3
	v_mov_b32_e32 v7, 0
	buffer_store_dword v6, off, s[0:3], s32 offset:448 ; 4-byte Folded Spill
	s_nop 0
	buffer_store_dword v7, off, s[0:3], s32 offset:452 ; 4-byte Folded Spill
	s_and_saveexec_b64 s[40:41], vcc
	s_cbranch_execz .LBB241_188
; %bb.187:                              ;   in Loop: Header=BB241_13 Depth=1
	v_and_b32_e32 v4, 7, v2
	v_lshrrev_b32_e32 v8, 3, v3
	v_cmp_gt_u32_e32 vcc, 8, v3
	v_ffbh_u32_e32 v3, v4
	v_min_u32_e32 v3, 32, v3
	v_subrev_u32_e32 v6, 28, v3
	v_lshlrev_b64 v[6:7], v6, v[2:3]
	v_sub_u32_e32 v3, 29, v3
	v_and_b32_e32 v6, 7, v6
	v_cndmask_b32_e32 v3, v8, v3, vcc
	v_cndmask_b32_e32 v4, v4, v6, vcc
	v_bfrev_b32_e32 v7, 60
	v_lshlrev_b32_e32 v4, 20, v4
	v_and_b32_sdwa v6, sext(v2), s27 dst_sel:DWORD dst_unused:UNUSED_PAD src0_sel:BYTE_0 src1_sel:DWORD
	v_lshl_add_u32 v3, v3, 23, v7
	v_or3_b32 v4, v6, v3, v4
	buffer_store_dword v4, off, s[0:3], s32 offset:448 ; 4-byte Folded Spill
	s_nop 0
	buffer_store_dword v5, off, s[0:3], s32 offset:452 ; 4-byte Folded Spill
.LBB241_188:                            ;   in Loop: Header=BB241_13 Depth=1
	s_or_b64 exec, exec, s[40:41]
.LBB241_189:                            ;   in Loop: Header=BB241_13 Depth=1
	s_or_b64 exec, exec, s[38:39]
.LBB241_190:                            ;   in Loop: Header=BB241_13 Depth=1
	s_or_b64 exec, exec, s[36:37]
	v_cmp_ne_u16_sdwa vcc, v2, v5 src0_sel:BYTE_1 src1_sel:DWORD
	s_and_saveexec_b64 s[36:37], vcc
	s_cbranch_execz .LBB241_196
; %bb.191:                              ;   in Loop: Header=BB241_13 Depth=1
	v_cmp_ne_u16_sdwa vcc, v2, s43 src0_sel:BYTE_1 src1_sel:DWORD
	v_pk_mov_b32 v[6:7], s[26:27], s[26:27] op_sel:[0,1]
	buffer_store_dword v6, off, s[0:3], s32 offset:456 ; 4-byte Folded Spill
	s_nop 0
	buffer_store_dword v7, off, s[0:3], s32 offset:460 ; 4-byte Folded Spill
	s_and_saveexec_b64 s[38:39], vcc
	s_cbranch_execz .LBB241_195
; %bb.192:                              ;   in Loop: Header=BB241_13 Depth=1
	v_and_b32_sdwa v3, v2, s44 dst_sel:DWORD dst_unused:UNUSED_PAD src0_sel:BYTE_1 src1_sel:DWORD
	s_mov_b32 s34, s26
	v_cmp_ne_u32_e32 vcc, s44, v3
	v_pk_mov_b32 v[6:7], s[34:35], s[34:35] op_sel:[0,1]
	buffer_store_dword v6, off, s[0:3], s32 offset:456 ; 4-byte Folded Spill
	s_nop 0
	buffer_store_dword v7, off, s[0:3], s32 offset:460 ; 4-byte Folded Spill
	s_and_saveexec_b64 s[40:41], vcc
	s_cbranch_execz .LBB241_194
; %bb.193:                              ;   in Loop: Header=BB241_13 Depth=1
	v_mov_b32_e32 v4, 7
	v_and_b32_sdwa v4, v2, v4 dst_sel:DWORD dst_unused:UNUSED_PAD src0_sel:BYTE_1 src1_sel:DWORD
	v_lshrrev_b32_e32 v8, 3, v3
	v_cmp_gt_u32_e32 vcc, 8, v3
	v_ffbh_u32_e32 v3, v4
	v_min_u32_e32 v3, 32, v3
	v_subrev_u32_e32 v6, 28, v3
	v_lshlrev_b64 v[6:7], v6, v[4:5]
	v_sub_u32_e32 v3, 29, v3
	v_and_b32_e32 v6, 7, v6
	v_cndmask_b32_e32 v3, v8, v3, vcc
	v_cndmask_b32_e32 v4, v4, v6, vcc
	v_bfrev_b32_e32 v6, 60
	v_lshlrev_b32_e32 v2, 16, v2
	v_lshl_add_u32 v3, v3, 23, v6
	v_and_or_b32 v2, v2, s27, v3
	v_lshlrev_b32_e32 v3, 20, v4
	v_or_b32_e32 v3, v2, v3
	v_mov_b32_e32 v2, v5
	buffer_store_dword v2, off, s[0:3], s32 offset:456 ; 4-byte Folded Spill
	s_nop 0
	buffer_store_dword v3, off, s[0:3], s32 offset:460 ; 4-byte Folded Spill
.LBB241_194:                            ;   in Loop: Header=BB241_13 Depth=1
	s_or_b64 exec, exec, s[40:41]
.LBB241_195:                            ;   in Loop: Header=BB241_13 Depth=1
	s_or_b64 exec, exec, s[38:39]
.LBB241_196:                            ;   in Loop: Header=BB241_13 Depth=1
	s_or_b64 exec, exec, s[36:37]
	flat_load_ushort v1, v[0:1] offset:12
	v_pk_mov_b32 v[2:3], 0, 0
	buffer_store_dword v2, off, s[0:3], s32 offset:472 ; 4-byte Folded Spill
	s_nop 0
	buffer_store_dword v3, off, s[0:3], s32 offset:476 ; 4-byte Folded Spill
	buffer_store_dword v2, off, s[0:3], s32 offset:464 ; 4-byte Folded Spill
	s_nop 0
	buffer_store_dword v3, off, s[0:3], s32 offset:468 ; 4-byte Folded Spill
	s_waitcnt vmcnt(0) lgkmcnt(0)
	v_and_b32_e32 v0, 0xffff, v1
	v_cmp_ne_u16_sdwa vcc, v1, v5 src0_sel:BYTE_0 src1_sel:DWORD
	s_and_saveexec_b64 s[36:37], vcc
	s_cbranch_execz .LBB241_202
; %bb.197:                              ;   in Loop: Header=BB241_13 Depth=1
	v_bfrev_b32_e32 v2, 1
	v_cmp_ne_u16_sdwa vcc, v0, s43 src0_sel:BYTE_0 src1_sel:DWORD
	v_mov_b32_e32 v3, 0
	buffer_store_dword v2, off, s[0:3], s32 offset:464 ; 4-byte Folded Spill
	s_nop 0
	buffer_store_dword v3, off, s[0:3], s32 offset:468 ; 4-byte Folded Spill
	s_and_saveexec_b64 s[38:39], vcc
	s_cbranch_execz .LBB241_201
; %bb.198:                              ;   in Loop: Header=BB241_13 Depth=1
	v_and_b32_e32 v1, 0x7f, v0
	v_mov_b32_e32 v2, 0x7f800001
	v_cmp_ne_u32_e32 vcc, s44, v1
	v_mov_b32_e32 v3, 0
	buffer_store_dword v2, off, s[0:3], s32 offset:464 ; 4-byte Folded Spill
	s_nop 0
	buffer_store_dword v3, off, s[0:3], s32 offset:468 ; 4-byte Folded Spill
	s_and_saveexec_b64 s[40:41], vcc
	s_cbranch_execz .LBB241_200
; %bb.199:                              ;   in Loop: Header=BB241_13 Depth=1
	v_and_b32_e32 v4, 7, v0
	v_lshrrev_b32_e32 v6, 3, v1
	v_cmp_gt_u32_e32 vcc, 8, v1
	v_ffbh_u32_e32 v1, v4
	v_min_u32_e32 v1, 32, v1
	v_subrev_u32_e32 v2, 28, v1
	v_lshlrev_b64 v[2:3], v2, v[0:1]
	v_sub_u32_e32 v1, 29, v1
	v_and_b32_e32 v2, 7, v2
	v_cndmask_b32_e32 v1, v6, v1, vcc
	v_cndmask_b32_e32 v2, v4, v2, vcc
	v_bfrev_b32_e32 v4, 60
	v_lshlrev_b32_e32 v2, 20, v2
	v_and_b32_sdwa v3, sext(v0), s27 dst_sel:DWORD dst_unused:UNUSED_PAD src0_sel:BYTE_0 src1_sel:DWORD
	v_lshl_add_u32 v1, v1, 23, v4
	v_or3_b32 v4, v3, v1, v2
	buffer_store_dword v4, off, s[0:3], s32 offset:464 ; 4-byte Folded Spill
	s_nop 0
	buffer_store_dword v5, off, s[0:3], s32 offset:468 ; 4-byte Folded Spill
.LBB241_200:                            ;   in Loop: Header=BB241_13 Depth=1
	s_or_b64 exec, exec, s[40:41]
.LBB241_201:                            ;   in Loop: Header=BB241_13 Depth=1
	s_or_b64 exec, exec, s[38:39]
.LBB241_202:                            ;   in Loop: Header=BB241_13 Depth=1
	s_or_b64 exec, exec, s[36:37]
	v_cmp_ne_u16_sdwa vcc, v0, v5 src0_sel:BYTE_1 src1_sel:DWORD
	s_and_saveexec_b64 s[36:37], vcc
	s_cbranch_execz .LBB241_208
; %bb.203:                              ;   in Loop: Header=BB241_13 Depth=1
	v_cmp_ne_u16_sdwa vcc, v0, s43 src0_sel:BYTE_1 src1_sel:DWORD
	v_pk_mov_b32 v[2:3], s[26:27], s[26:27] op_sel:[0,1]
	buffer_store_dword v2, off, s[0:3], s32 offset:472 ; 4-byte Folded Spill
	s_nop 0
	buffer_store_dword v3, off, s[0:3], s32 offset:476 ; 4-byte Folded Spill
	s_and_saveexec_b64 s[38:39], vcc
	s_cbranch_execz .LBB241_207
; %bb.204:                              ;   in Loop: Header=BB241_13 Depth=1
	v_and_b32_sdwa v1, v0, s44 dst_sel:DWORD dst_unused:UNUSED_PAD src0_sel:BYTE_1 src1_sel:DWORD
	s_mov_b32 s34, s26
	v_cmp_ne_u32_e32 vcc, s44, v1
	v_pk_mov_b32 v[2:3], s[34:35], s[34:35] op_sel:[0,1]
	buffer_store_dword v2, off, s[0:3], s32 offset:472 ; 4-byte Folded Spill
	s_nop 0
	buffer_store_dword v3, off, s[0:3], s32 offset:476 ; 4-byte Folded Spill
	s_and_saveexec_b64 s[40:41], vcc
	s_cbranch_execz .LBB241_206
; %bb.205:                              ;   in Loop: Header=BB241_13 Depth=1
	v_mov_b32_e32 v2, 7
	v_and_b32_sdwa v4, v0, v2 dst_sel:DWORD dst_unused:UNUSED_PAD src0_sel:BYTE_1 src1_sel:DWORD
	v_lshrrev_b32_e32 v6, 3, v1
	v_cmp_gt_u32_e32 vcc, 8, v1
	v_ffbh_u32_e32 v1, v4
	v_min_u32_e32 v1, 32, v1
	v_subrev_u32_e32 v2, 28, v1
	v_lshlrev_b64 v[2:3], v2, v[4:5]
	v_sub_u32_e32 v1, 29, v1
	v_and_b32_e32 v2, 7, v2
	v_cndmask_b32_e32 v1, v6, v1, vcc
	v_bfrev_b32_e32 v3, 60
	v_cndmask_b32_e32 v2, v4, v2, vcc
	v_lshlrev_b32_e32 v0, 16, v0
	v_lshl_add_u32 v1, v1, 23, v3
	v_and_or_b32 v0, v0, s27, v1
	v_lshlrev_b32_e32 v1, 20, v2
	v_or_b32_e32 v1, v0, v1
	v_mov_b32_e32 v0, v5
	buffer_store_dword v0, off, s[0:3], s32 offset:472 ; 4-byte Folded Spill
	s_nop 0
	buffer_store_dword v1, off, s[0:3], s32 offset:476 ; 4-byte Folded Spill
.LBB241_206:                            ;   in Loop: Header=BB241_13 Depth=1
	s_or_b64 exec, exec, s[40:41]
.LBB241_207:                            ;   in Loop: Header=BB241_13 Depth=1
	s_or_b64 exec, exec, s[38:39]
.LBB241_208:                            ;   in Loop: Header=BB241_13 Depth=1
	s_or_b64 exec, exec, s[36:37]
	flat_load_ushort v1, v[18:19] offset:2048
	v_pk_mov_b32 v[2:3], 0, 0
	buffer_store_dword v2, off, s[0:3], s32 offset:488 ; 4-byte Folded Spill
	s_nop 0
	buffer_store_dword v3, off, s[0:3], s32 offset:492 ; 4-byte Folded Spill
	buffer_store_dword v2, off, s[0:3], s32 offset:480 ; 4-byte Folded Spill
	s_nop 0
	buffer_store_dword v3, off, s[0:3], s32 offset:484 ; 4-byte Folded Spill
	s_waitcnt vmcnt(0) lgkmcnt(0)
	v_and_b32_e32 v0, 0xffff, v1
	v_cmp_ne_u16_sdwa vcc, v1, v5 src0_sel:BYTE_0 src1_sel:DWORD
	s_and_saveexec_b64 s[36:37], vcc
	s_cbranch_execz .LBB241_214
; %bb.209:                              ;   in Loop: Header=BB241_13 Depth=1
	v_bfrev_b32_e32 v2, 1
	v_cmp_ne_u16_sdwa vcc, v0, s43 src0_sel:BYTE_0 src1_sel:DWORD
	v_mov_b32_e32 v3, 0
	buffer_store_dword v2, off, s[0:3], s32 offset:480 ; 4-byte Folded Spill
	s_nop 0
	buffer_store_dword v3, off, s[0:3], s32 offset:484 ; 4-byte Folded Spill
	s_and_saveexec_b64 s[38:39], vcc
	s_cbranch_execz .LBB241_213
; %bb.210:                              ;   in Loop: Header=BB241_13 Depth=1
	v_and_b32_e32 v1, 0x7f, v0
	v_mov_b32_e32 v2, 0x7f800001
	v_cmp_ne_u32_e32 vcc, s44, v1
	v_mov_b32_e32 v3, 0
	buffer_store_dword v2, off, s[0:3], s32 offset:480 ; 4-byte Folded Spill
	s_nop 0
	buffer_store_dword v3, off, s[0:3], s32 offset:484 ; 4-byte Folded Spill
	s_and_saveexec_b64 s[40:41], vcc
	s_cbranch_execz .LBB241_212
; %bb.211:                              ;   in Loop: Header=BB241_13 Depth=1
	v_and_b32_e32 v4, 7, v0
	v_lshrrev_b32_e32 v6, 3, v1
	v_cmp_gt_u32_e32 vcc, 8, v1
	v_ffbh_u32_e32 v1, v4
	v_min_u32_e32 v1, 32, v1
	v_subrev_u32_e32 v2, 28, v1
	v_lshlrev_b64 v[2:3], v2, v[0:1]
	v_sub_u32_e32 v1, 29, v1
	v_and_b32_e32 v2, 7, v2
	v_cndmask_b32_e32 v1, v6, v1, vcc
	v_cndmask_b32_e32 v2, v4, v2, vcc
	v_bfrev_b32_e32 v4, 60
	v_lshlrev_b32_e32 v2, 20, v2
	v_and_b32_sdwa v3, sext(v0), s27 dst_sel:DWORD dst_unused:UNUSED_PAD src0_sel:BYTE_0 src1_sel:DWORD
	v_lshl_add_u32 v1, v1, 23, v4
	v_or3_b32 v4, v3, v1, v2
	buffer_store_dword v4, off, s[0:3], s32 offset:480 ; 4-byte Folded Spill
	s_nop 0
	buffer_store_dword v5, off, s[0:3], s32 offset:484 ; 4-byte Folded Spill
.LBB241_212:                            ;   in Loop: Header=BB241_13 Depth=1
	s_or_b64 exec, exec, s[40:41]
.LBB241_213:                            ;   in Loop: Header=BB241_13 Depth=1
	s_or_b64 exec, exec, s[38:39]
.LBB241_214:                            ;   in Loop: Header=BB241_13 Depth=1
	s_or_b64 exec, exec, s[36:37]
	v_cmp_ne_u16_sdwa vcc, v0, v5 src0_sel:BYTE_1 src1_sel:DWORD
	s_and_saveexec_b64 s[36:37], vcc
	s_cbranch_execz .LBB241_220
; %bb.215:                              ;   in Loop: Header=BB241_13 Depth=1
	v_cmp_ne_u16_sdwa vcc, v0, s43 src0_sel:BYTE_1 src1_sel:DWORD
	v_pk_mov_b32 v[2:3], s[26:27], s[26:27] op_sel:[0,1]
	buffer_store_dword v2, off, s[0:3], s32 offset:488 ; 4-byte Folded Spill
	s_nop 0
	buffer_store_dword v3, off, s[0:3], s32 offset:492 ; 4-byte Folded Spill
	s_and_saveexec_b64 s[38:39], vcc
	s_cbranch_execz .LBB241_219
; %bb.216:                              ;   in Loop: Header=BB241_13 Depth=1
	v_and_b32_sdwa v1, v0, s44 dst_sel:DWORD dst_unused:UNUSED_PAD src0_sel:BYTE_1 src1_sel:DWORD
	s_mov_b32 s34, s26
	v_cmp_ne_u32_e32 vcc, s44, v1
	v_pk_mov_b32 v[2:3], s[34:35], s[34:35] op_sel:[0,1]
	buffer_store_dword v2, off, s[0:3], s32 offset:488 ; 4-byte Folded Spill
	s_nop 0
	buffer_store_dword v3, off, s[0:3], s32 offset:492 ; 4-byte Folded Spill
	s_and_saveexec_b64 s[40:41], vcc
	s_cbranch_execz .LBB241_218
; %bb.217:                              ;   in Loop: Header=BB241_13 Depth=1
	v_mov_b32_e32 v2, 7
	v_and_b32_sdwa v4, v0, v2 dst_sel:DWORD dst_unused:UNUSED_PAD src0_sel:BYTE_1 src1_sel:DWORD
	v_lshrrev_b32_e32 v6, 3, v1
	v_cmp_gt_u32_e32 vcc, 8, v1
	v_ffbh_u32_e32 v1, v4
	v_min_u32_e32 v1, 32, v1
	v_subrev_u32_e32 v2, 28, v1
	v_lshlrev_b64 v[2:3], v2, v[4:5]
	v_sub_u32_e32 v1, 29, v1
	v_and_b32_e32 v2, 7, v2
	v_cndmask_b32_e32 v1, v6, v1, vcc
	v_bfrev_b32_e32 v3, 60
	v_cndmask_b32_e32 v2, v4, v2, vcc
	v_lshlrev_b32_e32 v0, 16, v0
	v_lshl_add_u32 v1, v1, 23, v3
	v_and_or_b32 v0, v0, s27, v1
	v_lshlrev_b32_e32 v1, 20, v2
	v_or_b32_e32 v1, v0, v1
	v_mov_b32_e32 v0, v5
	buffer_store_dword v0, off, s[0:3], s32 offset:488 ; 4-byte Folded Spill
	s_nop 0
	buffer_store_dword v1, off, s[0:3], s32 offset:492 ; 4-byte Folded Spill
.LBB241_218:                            ;   in Loop: Header=BB241_13 Depth=1
	s_or_b64 exec, exec, s[40:41]
.LBB241_219:                            ;   in Loop: Header=BB241_13 Depth=1
	s_or_b64 exec, exec, s[38:39]
.LBB241_220:                            ;   in Loop: Header=BB241_13 Depth=1
	s_or_b64 exec, exec, s[36:37]
	flat_load_ushort v1, v[18:19] offset:2052
	v_pk_mov_b32 v[2:3], 0, 0
	buffer_store_dword v2, off, s[0:3], s32 offset:504 ; 4-byte Folded Spill
	s_nop 0
	buffer_store_dword v3, off, s[0:3], s32 offset:508 ; 4-byte Folded Spill
	buffer_store_dword v2, off, s[0:3], s32 offset:496 ; 4-byte Folded Spill
	s_nop 0
	buffer_store_dword v3, off, s[0:3], s32 offset:500 ; 4-byte Folded Spill
	s_waitcnt vmcnt(0) lgkmcnt(0)
	v_and_b32_e32 v0, 0xffff, v1
	v_cmp_ne_u16_sdwa vcc, v1, v5 src0_sel:BYTE_0 src1_sel:DWORD
	s_and_saveexec_b64 s[36:37], vcc
	s_cbranch_execz .LBB241_226
; %bb.221:                              ;   in Loop: Header=BB241_13 Depth=1
	v_bfrev_b32_e32 v2, 1
	v_cmp_ne_u16_sdwa vcc, v0, s43 src0_sel:BYTE_0 src1_sel:DWORD
	v_mov_b32_e32 v3, 0
	buffer_store_dword v2, off, s[0:3], s32 offset:496 ; 4-byte Folded Spill
	s_nop 0
	buffer_store_dword v3, off, s[0:3], s32 offset:500 ; 4-byte Folded Spill
	s_and_saveexec_b64 s[38:39], vcc
	s_cbranch_execz .LBB241_225
; %bb.222:                              ;   in Loop: Header=BB241_13 Depth=1
	v_and_b32_e32 v1, 0x7f, v0
	v_mov_b32_e32 v2, 0x7f800001
	v_cmp_ne_u32_e32 vcc, s44, v1
	v_mov_b32_e32 v3, 0
	buffer_store_dword v2, off, s[0:3], s32 offset:496 ; 4-byte Folded Spill
	s_nop 0
	buffer_store_dword v3, off, s[0:3], s32 offset:500 ; 4-byte Folded Spill
	s_and_saveexec_b64 s[40:41], vcc
	s_cbranch_execz .LBB241_224
; %bb.223:                              ;   in Loop: Header=BB241_13 Depth=1
	v_and_b32_e32 v4, 7, v0
	v_lshrrev_b32_e32 v6, 3, v1
	v_cmp_gt_u32_e32 vcc, 8, v1
	v_ffbh_u32_e32 v1, v4
	v_min_u32_e32 v1, 32, v1
	v_subrev_u32_e32 v2, 28, v1
	v_lshlrev_b64 v[2:3], v2, v[0:1]
	v_sub_u32_e32 v1, 29, v1
	v_and_b32_e32 v2, 7, v2
	v_cndmask_b32_e32 v1, v6, v1, vcc
	v_cndmask_b32_e32 v2, v4, v2, vcc
	v_bfrev_b32_e32 v4, 60
	v_lshlrev_b32_e32 v2, 20, v2
	v_and_b32_sdwa v3, sext(v0), s27 dst_sel:DWORD dst_unused:UNUSED_PAD src0_sel:BYTE_0 src1_sel:DWORD
	v_lshl_add_u32 v1, v1, 23, v4
	v_or3_b32 v4, v3, v1, v2
	buffer_store_dword v4, off, s[0:3], s32 offset:496 ; 4-byte Folded Spill
	s_nop 0
	buffer_store_dword v5, off, s[0:3], s32 offset:500 ; 4-byte Folded Spill
.LBB241_224:                            ;   in Loop: Header=BB241_13 Depth=1
	s_or_b64 exec, exec, s[40:41]
.LBB241_225:                            ;   in Loop: Header=BB241_13 Depth=1
	s_or_b64 exec, exec, s[38:39]
.LBB241_226:                            ;   in Loop: Header=BB241_13 Depth=1
	s_or_b64 exec, exec, s[36:37]
	v_cmp_ne_u16_sdwa vcc, v0, v5 src0_sel:BYTE_1 src1_sel:DWORD
	s_and_saveexec_b64 s[36:37], vcc
	s_cbranch_execz .LBB241_232
; %bb.227:                              ;   in Loop: Header=BB241_13 Depth=1
	v_cmp_ne_u16_sdwa vcc, v0, s43 src0_sel:BYTE_1 src1_sel:DWORD
	v_pk_mov_b32 v[2:3], s[26:27], s[26:27] op_sel:[0,1]
	buffer_store_dword v2, off, s[0:3], s32 offset:504 ; 4-byte Folded Spill
	s_nop 0
	buffer_store_dword v3, off, s[0:3], s32 offset:508 ; 4-byte Folded Spill
	s_and_saveexec_b64 s[38:39], vcc
	s_cbranch_execz .LBB241_231
; %bb.228:                              ;   in Loop: Header=BB241_13 Depth=1
	v_and_b32_sdwa v1, v0, s44 dst_sel:DWORD dst_unused:UNUSED_PAD src0_sel:BYTE_1 src1_sel:DWORD
	s_mov_b32 s34, s26
	v_cmp_ne_u32_e32 vcc, s44, v1
	v_pk_mov_b32 v[2:3], s[34:35], s[34:35] op_sel:[0,1]
	buffer_store_dword v2, off, s[0:3], s32 offset:504 ; 4-byte Folded Spill
	s_nop 0
	buffer_store_dword v3, off, s[0:3], s32 offset:508 ; 4-byte Folded Spill
	s_and_saveexec_b64 s[40:41], vcc
	s_cbranch_execz .LBB241_230
; %bb.229:                              ;   in Loop: Header=BB241_13 Depth=1
	v_mov_b32_e32 v2, 7
	v_and_b32_sdwa v4, v0, v2 dst_sel:DWORD dst_unused:UNUSED_PAD src0_sel:BYTE_1 src1_sel:DWORD
	v_lshrrev_b32_e32 v6, 3, v1
	v_cmp_gt_u32_e32 vcc, 8, v1
	v_ffbh_u32_e32 v1, v4
	v_min_u32_e32 v1, 32, v1
	v_subrev_u32_e32 v2, 28, v1
	v_lshlrev_b64 v[2:3], v2, v[4:5]
	v_sub_u32_e32 v1, 29, v1
	v_and_b32_e32 v2, 7, v2
	v_cndmask_b32_e32 v1, v6, v1, vcc
	v_bfrev_b32_e32 v3, 60
	v_cndmask_b32_e32 v2, v4, v2, vcc
	v_lshlrev_b32_e32 v0, 16, v0
	v_lshl_add_u32 v1, v1, 23, v3
	v_and_or_b32 v0, v0, s27, v1
	v_lshlrev_b32_e32 v1, 20, v2
	v_or_b32_e32 v1, v0, v1
	v_mov_b32_e32 v0, v5
	buffer_store_dword v0, off, s[0:3], s32 offset:504 ; 4-byte Folded Spill
	s_nop 0
	buffer_store_dword v1, off, s[0:3], s32 offset:508 ; 4-byte Folded Spill
.LBB241_230:                            ;   in Loop: Header=BB241_13 Depth=1
	s_or_b64 exec, exec, s[40:41]
.LBB241_231:                            ;   in Loop: Header=BB241_13 Depth=1
	s_or_b64 exec, exec, s[38:39]
.LBB241_232:                            ;   in Loop: Header=BB241_13 Depth=1
	s_or_b64 exec, exec, s[36:37]
	v_add_co_u32_e32 v0, vcc, 0x800, v18
	v_addc_co_u32_e32 v1, vcc, 0, v19, vcc
	flat_load_ushort v3, v[0:1] offset:8
	v_pk_mov_b32 v[6:7], 0, 0
	buffer_store_dword v6, off, s[0:3], s32 offset:520 ; 4-byte Folded Spill
	s_nop 0
	buffer_store_dword v7, off, s[0:3], s32 offset:524 ; 4-byte Folded Spill
	buffer_store_dword v6, off, s[0:3], s32 offset:512 ; 4-byte Folded Spill
	s_nop 0
	buffer_store_dword v7, off, s[0:3], s32 offset:516 ; 4-byte Folded Spill
	s_waitcnt vmcnt(0) lgkmcnt(0)
	v_and_b32_e32 v2, 0xffff, v3
	v_cmp_ne_u16_sdwa vcc, v3, v5 src0_sel:BYTE_0 src1_sel:DWORD
	s_and_saveexec_b64 s[36:37], vcc
	s_cbranch_execz .LBB241_238
; %bb.233:                              ;   in Loop: Header=BB241_13 Depth=1
	v_bfrev_b32_e32 v6, 1
	v_cmp_ne_u16_sdwa vcc, v2, s43 src0_sel:BYTE_0 src1_sel:DWORD
	v_mov_b32_e32 v7, 0
	buffer_store_dword v6, off, s[0:3], s32 offset:512 ; 4-byte Folded Spill
	s_nop 0
	buffer_store_dword v7, off, s[0:3], s32 offset:516 ; 4-byte Folded Spill
	s_and_saveexec_b64 s[38:39], vcc
	s_cbranch_execz .LBB241_237
; %bb.234:                              ;   in Loop: Header=BB241_13 Depth=1
	v_and_b32_e32 v3, 0x7f, v2
	v_mov_b32_e32 v6, 0x7f800001
	v_cmp_ne_u32_e32 vcc, s44, v3
	v_mov_b32_e32 v7, 0
	buffer_store_dword v6, off, s[0:3], s32 offset:512 ; 4-byte Folded Spill
	s_nop 0
	buffer_store_dword v7, off, s[0:3], s32 offset:516 ; 4-byte Folded Spill
	s_and_saveexec_b64 s[40:41], vcc
	s_cbranch_execz .LBB241_236
; %bb.235:                              ;   in Loop: Header=BB241_13 Depth=1
	v_and_b32_e32 v4, 7, v2
	v_lshrrev_b32_e32 v8, 3, v3
	v_cmp_gt_u32_e32 vcc, 8, v3
	v_ffbh_u32_e32 v3, v4
	v_min_u32_e32 v3, 32, v3
	v_subrev_u32_e32 v6, 28, v3
	v_lshlrev_b64 v[6:7], v6, v[2:3]
	v_sub_u32_e32 v3, 29, v3
	v_and_b32_e32 v6, 7, v6
	v_cndmask_b32_e32 v3, v8, v3, vcc
	v_cndmask_b32_e32 v4, v4, v6, vcc
	v_bfrev_b32_e32 v7, 60
	v_lshlrev_b32_e32 v4, 20, v4
	v_and_b32_sdwa v6, sext(v2), s27 dst_sel:DWORD dst_unused:UNUSED_PAD src0_sel:BYTE_0 src1_sel:DWORD
	v_lshl_add_u32 v3, v3, 23, v7
	v_or3_b32 v4, v6, v3, v4
	buffer_store_dword v4, off, s[0:3], s32 offset:512 ; 4-byte Folded Spill
	s_nop 0
	buffer_store_dword v5, off, s[0:3], s32 offset:516 ; 4-byte Folded Spill
.LBB241_236:                            ;   in Loop: Header=BB241_13 Depth=1
	s_or_b64 exec, exec, s[40:41]
.LBB241_237:                            ;   in Loop: Header=BB241_13 Depth=1
	s_or_b64 exec, exec, s[38:39]
.LBB241_238:                            ;   in Loop: Header=BB241_13 Depth=1
	s_or_b64 exec, exec, s[36:37]
	v_cmp_ne_u16_sdwa vcc, v2, v5 src0_sel:BYTE_1 src1_sel:DWORD
	s_and_saveexec_b64 s[36:37], vcc
	s_cbranch_execz .LBB241_244
; %bb.239:                              ;   in Loop: Header=BB241_13 Depth=1
	v_cmp_ne_u16_sdwa vcc, v2, s43 src0_sel:BYTE_1 src1_sel:DWORD
	v_pk_mov_b32 v[6:7], s[26:27], s[26:27] op_sel:[0,1]
	buffer_store_dword v6, off, s[0:3], s32 offset:520 ; 4-byte Folded Spill
	s_nop 0
	buffer_store_dword v7, off, s[0:3], s32 offset:524 ; 4-byte Folded Spill
	s_and_saveexec_b64 s[38:39], vcc
	s_cbranch_execz .LBB241_243
; %bb.240:                              ;   in Loop: Header=BB241_13 Depth=1
	v_and_b32_sdwa v3, v2, s44 dst_sel:DWORD dst_unused:UNUSED_PAD src0_sel:BYTE_1 src1_sel:DWORD
	s_mov_b32 s34, s26
	v_cmp_ne_u32_e32 vcc, s44, v3
	v_pk_mov_b32 v[6:7], s[34:35], s[34:35] op_sel:[0,1]
	buffer_store_dword v6, off, s[0:3], s32 offset:520 ; 4-byte Folded Spill
	s_nop 0
	buffer_store_dword v7, off, s[0:3], s32 offset:524 ; 4-byte Folded Spill
	s_and_saveexec_b64 s[40:41], vcc
	s_cbranch_execz .LBB241_242
; %bb.241:                              ;   in Loop: Header=BB241_13 Depth=1
	v_mov_b32_e32 v4, 7
	v_and_b32_sdwa v4, v2, v4 dst_sel:DWORD dst_unused:UNUSED_PAD src0_sel:BYTE_1 src1_sel:DWORD
	v_lshrrev_b32_e32 v8, 3, v3
	v_cmp_gt_u32_e32 vcc, 8, v3
	v_ffbh_u32_e32 v3, v4
	v_min_u32_e32 v3, 32, v3
	v_subrev_u32_e32 v6, 28, v3
	v_lshlrev_b64 v[6:7], v6, v[4:5]
	v_sub_u32_e32 v3, 29, v3
	v_and_b32_e32 v6, 7, v6
	v_cndmask_b32_e32 v3, v8, v3, vcc
	v_cndmask_b32_e32 v4, v4, v6, vcc
	v_bfrev_b32_e32 v6, 60
	v_lshlrev_b32_e32 v2, 16, v2
	v_lshl_add_u32 v3, v3, 23, v6
	v_and_or_b32 v2, v2, s27, v3
	v_lshlrev_b32_e32 v3, 20, v4
	v_or_b32_e32 v3, v2, v3
	v_mov_b32_e32 v2, v5
	buffer_store_dword v2, off, s[0:3], s32 offset:520 ; 4-byte Folded Spill
	s_nop 0
	buffer_store_dword v3, off, s[0:3], s32 offset:524 ; 4-byte Folded Spill
.LBB241_242:                            ;   in Loop: Header=BB241_13 Depth=1
	s_or_b64 exec, exec, s[40:41]
.LBB241_243:                            ;   in Loop: Header=BB241_13 Depth=1
	s_or_b64 exec, exec, s[38:39]
.LBB241_244:                            ;   in Loop: Header=BB241_13 Depth=1
	s_or_b64 exec, exec, s[36:37]
	flat_load_ushort v1, v[0:1] offset:12
	v_pk_mov_b32 v[2:3], 0, 0
	buffer_store_dword v2, off, s[0:3], s32 offset:536 ; 4-byte Folded Spill
	s_nop 0
	buffer_store_dword v3, off, s[0:3], s32 offset:540 ; 4-byte Folded Spill
	buffer_store_dword v2, off, s[0:3], s32 offset:528 ; 4-byte Folded Spill
	s_nop 0
	buffer_store_dword v3, off, s[0:3], s32 offset:532 ; 4-byte Folded Spill
	s_waitcnt vmcnt(0) lgkmcnt(0)
	v_and_b32_e32 v0, 0xffff, v1
	v_cmp_ne_u16_sdwa vcc, v1, v5 src0_sel:BYTE_0 src1_sel:DWORD
	s_and_saveexec_b64 s[36:37], vcc
	s_cbranch_execz .LBB241_250
; %bb.245:                              ;   in Loop: Header=BB241_13 Depth=1
	v_bfrev_b32_e32 v2, 1
	v_cmp_ne_u16_sdwa vcc, v0, s43 src0_sel:BYTE_0 src1_sel:DWORD
	v_mov_b32_e32 v3, 0
	buffer_store_dword v2, off, s[0:3], s32 offset:528 ; 4-byte Folded Spill
	s_nop 0
	buffer_store_dword v3, off, s[0:3], s32 offset:532 ; 4-byte Folded Spill
	s_and_saveexec_b64 s[38:39], vcc
	s_cbranch_execz .LBB241_249
; %bb.246:                              ;   in Loop: Header=BB241_13 Depth=1
	v_and_b32_e32 v1, 0x7f, v0
	v_mov_b32_e32 v2, 0x7f800001
	v_cmp_ne_u32_e32 vcc, s44, v1
	v_mov_b32_e32 v3, 0
	buffer_store_dword v2, off, s[0:3], s32 offset:528 ; 4-byte Folded Spill
	s_nop 0
	buffer_store_dword v3, off, s[0:3], s32 offset:532 ; 4-byte Folded Spill
	s_and_saveexec_b64 s[40:41], vcc
	s_cbranch_execz .LBB241_248
; %bb.247:                              ;   in Loop: Header=BB241_13 Depth=1
	v_and_b32_e32 v4, 7, v0
	v_lshrrev_b32_e32 v6, 3, v1
	v_cmp_gt_u32_e32 vcc, 8, v1
	v_ffbh_u32_e32 v1, v4
	v_min_u32_e32 v1, 32, v1
	v_subrev_u32_e32 v2, 28, v1
	v_lshlrev_b64 v[2:3], v2, v[0:1]
	v_sub_u32_e32 v1, 29, v1
	v_and_b32_e32 v2, 7, v2
	v_cndmask_b32_e32 v1, v6, v1, vcc
	v_cndmask_b32_e32 v2, v4, v2, vcc
	v_bfrev_b32_e32 v4, 60
	v_lshlrev_b32_e32 v2, 20, v2
	v_and_b32_sdwa v3, sext(v0), s27 dst_sel:DWORD dst_unused:UNUSED_PAD src0_sel:BYTE_0 src1_sel:DWORD
	v_lshl_add_u32 v1, v1, 23, v4
	v_or3_b32 v4, v3, v1, v2
	buffer_store_dword v4, off, s[0:3], s32 offset:528 ; 4-byte Folded Spill
	s_nop 0
	buffer_store_dword v5, off, s[0:3], s32 offset:532 ; 4-byte Folded Spill
.LBB241_248:                            ;   in Loop: Header=BB241_13 Depth=1
	s_or_b64 exec, exec, s[40:41]
.LBB241_249:                            ;   in Loop: Header=BB241_13 Depth=1
	s_or_b64 exec, exec, s[38:39]
.LBB241_250:                            ;   in Loop: Header=BB241_13 Depth=1
	s_or_b64 exec, exec, s[36:37]
	v_cmp_ne_u16_sdwa vcc, v0, v5 src0_sel:BYTE_1 src1_sel:DWORD
	s_and_saveexec_b64 s[36:37], vcc
	s_cbranch_execz .LBB241_256
; %bb.251:                              ;   in Loop: Header=BB241_13 Depth=1
	v_cmp_ne_u16_sdwa vcc, v0, s43 src0_sel:BYTE_1 src1_sel:DWORD
	v_pk_mov_b32 v[2:3], s[26:27], s[26:27] op_sel:[0,1]
	buffer_store_dword v2, off, s[0:3], s32 offset:536 ; 4-byte Folded Spill
	s_nop 0
	buffer_store_dword v3, off, s[0:3], s32 offset:540 ; 4-byte Folded Spill
	s_and_saveexec_b64 s[38:39], vcc
	s_cbranch_execz .LBB241_255
; %bb.252:                              ;   in Loop: Header=BB241_13 Depth=1
	v_and_b32_sdwa v1, v0, s44 dst_sel:DWORD dst_unused:UNUSED_PAD src0_sel:BYTE_1 src1_sel:DWORD
	s_mov_b32 s34, s26
	v_cmp_ne_u32_e32 vcc, s44, v1
	v_pk_mov_b32 v[2:3], s[34:35], s[34:35] op_sel:[0,1]
	buffer_store_dword v2, off, s[0:3], s32 offset:536 ; 4-byte Folded Spill
	s_nop 0
	buffer_store_dword v3, off, s[0:3], s32 offset:540 ; 4-byte Folded Spill
	s_and_saveexec_b64 s[40:41], vcc
	s_cbranch_execz .LBB241_254
; %bb.253:                              ;   in Loop: Header=BB241_13 Depth=1
	v_mov_b32_e32 v2, 7
	v_and_b32_sdwa v4, v0, v2 dst_sel:DWORD dst_unused:UNUSED_PAD src0_sel:BYTE_1 src1_sel:DWORD
	v_lshrrev_b32_e32 v6, 3, v1
	v_cmp_gt_u32_e32 vcc, 8, v1
	v_ffbh_u32_e32 v1, v4
	v_min_u32_e32 v1, 32, v1
	v_subrev_u32_e32 v2, 28, v1
	v_lshlrev_b64 v[2:3], v2, v[4:5]
	v_sub_u32_e32 v1, 29, v1
	v_and_b32_e32 v2, 7, v2
	v_cndmask_b32_e32 v1, v6, v1, vcc
	v_bfrev_b32_e32 v3, 60
	v_cndmask_b32_e32 v2, v4, v2, vcc
	v_lshlrev_b32_e32 v0, 16, v0
	v_lshl_add_u32 v1, v1, 23, v3
	v_and_or_b32 v0, v0, s27, v1
	v_lshlrev_b32_e32 v1, 20, v2
	v_or_b32_e32 v1, v0, v1
	v_mov_b32_e32 v0, v5
	buffer_store_dword v0, off, s[0:3], s32 offset:536 ; 4-byte Folded Spill
	s_nop 0
	buffer_store_dword v1, off, s[0:3], s32 offset:540 ; 4-byte Folded Spill
.LBB241_254:                            ;   in Loop: Header=BB241_13 Depth=1
	s_or_b64 exec, exec, s[40:41]
.LBB241_255:                            ;   in Loop: Header=BB241_13 Depth=1
	s_or_b64 exec, exec, s[38:39]
.LBB241_256:                            ;   in Loop: Header=BB241_13 Depth=1
	s_or_b64 exec, exec, s[36:37]
	flat_load_ushort v1, v[18:19] offset:2560
	v_pk_mov_b32 v[2:3], 0, 0
	buffer_store_dword v2, off, s[0:3], s32 offset:552 ; 4-byte Folded Spill
	s_nop 0
	buffer_store_dword v3, off, s[0:3], s32 offset:556 ; 4-byte Folded Spill
	buffer_store_dword v2, off, s[0:3], s32 offset:544 ; 4-byte Folded Spill
	s_nop 0
	buffer_store_dword v3, off, s[0:3], s32 offset:548 ; 4-byte Folded Spill
	s_waitcnt vmcnt(0) lgkmcnt(0)
	v_and_b32_e32 v0, 0xffff, v1
	v_cmp_ne_u16_sdwa vcc, v1, v5 src0_sel:BYTE_0 src1_sel:DWORD
	s_and_saveexec_b64 s[36:37], vcc
	s_cbranch_execz .LBB241_262
; %bb.257:                              ;   in Loop: Header=BB241_13 Depth=1
	v_bfrev_b32_e32 v2, 1
	v_cmp_ne_u16_sdwa vcc, v0, s43 src0_sel:BYTE_0 src1_sel:DWORD
	v_mov_b32_e32 v3, 0
	buffer_store_dword v2, off, s[0:3], s32 offset:544 ; 4-byte Folded Spill
	s_nop 0
	buffer_store_dword v3, off, s[0:3], s32 offset:548 ; 4-byte Folded Spill
	s_and_saveexec_b64 s[38:39], vcc
	s_cbranch_execz .LBB241_261
; %bb.258:                              ;   in Loop: Header=BB241_13 Depth=1
	v_and_b32_e32 v1, 0x7f, v0
	v_mov_b32_e32 v2, 0x7f800001
	v_cmp_ne_u32_e32 vcc, s44, v1
	v_mov_b32_e32 v3, 0
	buffer_store_dword v2, off, s[0:3], s32 offset:544 ; 4-byte Folded Spill
	s_nop 0
	buffer_store_dword v3, off, s[0:3], s32 offset:548 ; 4-byte Folded Spill
	s_and_saveexec_b64 s[40:41], vcc
	s_cbranch_execz .LBB241_260
; %bb.259:                              ;   in Loop: Header=BB241_13 Depth=1
	v_and_b32_e32 v4, 7, v0
	v_lshrrev_b32_e32 v6, 3, v1
	v_cmp_gt_u32_e32 vcc, 8, v1
	v_ffbh_u32_e32 v1, v4
	v_min_u32_e32 v1, 32, v1
	v_subrev_u32_e32 v2, 28, v1
	v_lshlrev_b64 v[2:3], v2, v[0:1]
	v_sub_u32_e32 v1, 29, v1
	v_and_b32_e32 v2, 7, v2
	v_cndmask_b32_e32 v1, v6, v1, vcc
	v_cndmask_b32_e32 v2, v4, v2, vcc
	v_bfrev_b32_e32 v4, 60
	v_lshlrev_b32_e32 v2, 20, v2
	v_and_b32_sdwa v3, sext(v0), s27 dst_sel:DWORD dst_unused:UNUSED_PAD src0_sel:BYTE_0 src1_sel:DWORD
	v_lshl_add_u32 v1, v1, 23, v4
	v_or3_b32 v4, v3, v1, v2
	buffer_store_dword v4, off, s[0:3], s32 offset:544 ; 4-byte Folded Spill
	s_nop 0
	buffer_store_dword v5, off, s[0:3], s32 offset:548 ; 4-byte Folded Spill
.LBB241_260:                            ;   in Loop: Header=BB241_13 Depth=1
	s_or_b64 exec, exec, s[40:41]
.LBB241_261:                            ;   in Loop: Header=BB241_13 Depth=1
	s_or_b64 exec, exec, s[38:39]
.LBB241_262:                            ;   in Loop: Header=BB241_13 Depth=1
	s_or_b64 exec, exec, s[36:37]
	v_cmp_ne_u16_sdwa vcc, v0, v5 src0_sel:BYTE_1 src1_sel:DWORD
	s_and_saveexec_b64 s[36:37], vcc
	s_cbranch_execz .LBB241_268
; %bb.263:                              ;   in Loop: Header=BB241_13 Depth=1
	v_cmp_ne_u16_sdwa vcc, v0, s43 src0_sel:BYTE_1 src1_sel:DWORD
	v_pk_mov_b32 v[2:3], s[26:27], s[26:27] op_sel:[0,1]
	buffer_store_dword v2, off, s[0:3], s32 offset:552 ; 4-byte Folded Spill
	s_nop 0
	buffer_store_dword v3, off, s[0:3], s32 offset:556 ; 4-byte Folded Spill
	s_and_saveexec_b64 s[38:39], vcc
	s_cbranch_execz .LBB241_267
; %bb.264:                              ;   in Loop: Header=BB241_13 Depth=1
	v_and_b32_sdwa v1, v0, s44 dst_sel:DWORD dst_unused:UNUSED_PAD src0_sel:BYTE_1 src1_sel:DWORD
	s_mov_b32 s34, s26
	v_cmp_ne_u32_e32 vcc, s44, v1
	v_pk_mov_b32 v[2:3], s[34:35], s[34:35] op_sel:[0,1]
	buffer_store_dword v2, off, s[0:3], s32 offset:552 ; 4-byte Folded Spill
	s_nop 0
	buffer_store_dword v3, off, s[0:3], s32 offset:556 ; 4-byte Folded Spill
	s_and_saveexec_b64 s[40:41], vcc
	s_cbranch_execz .LBB241_266
; %bb.265:                              ;   in Loop: Header=BB241_13 Depth=1
	v_mov_b32_e32 v2, 7
	v_and_b32_sdwa v4, v0, v2 dst_sel:DWORD dst_unused:UNUSED_PAD src0_sel:BYTE_1 src1_sel:DWORD
	v_lshrrev_b32_e32 v6, 3, v1
	v_cmp_gt_u32_e32 vcc, 8, v1
	v_ffbh_u32_e32 v1, v4
	v_min_u32_e32 v1, 32, v1
	v_subrev_u32_e32 v2, 28, v1
	v_lshlrev_b64 v[2:3], v2, v[4:5]
	v_sub_u32_e32 v1, 29, v1
	v_and_b32_e32 v2, 7, v2
	v_cndmask_b32_e32 v1, v6, v1, vcc
	v_bfrev_b32_e32 v3, 60
	v_cndmask_b32_e32 v2, v4, v2, vcc
	v_lshlrev_b32_e32 v0, 16, v0
	v_lshl_add_u32 v1, v1, 23, v3
	v_and_or_b32 v0, v0, s27, v1
	v_lshlrev_b32_e32 v1, 20, v2
	v_or_b32_e32 v1, v0, v1
	v_mov_b32_e32 v0, v5
	buffer_store_dword v0, off, s[0:3], s32 offset:552 ; 4-byte Folded Spill
	s_nop 0
	buffer_store_dword v1, off, s[0:3], s32 offset:556 ; 4-byte Folded Spill
.LBB241_266:                            ;   in Loop: Header=BB241_13 Depth=1
	s_or_b64 exec, exec, s[40:41]
.LBB241_267:                            ;   in Loop: Header=BB241_13 Depth=1
	s_or_b64 exec, exec, s[38:39]
.LBB241_268:                            ;   in Loop: Header=BB241_13 Depth=1
	s_or_b64 exec, exec, s[36:37]
	flat_load_ushort v1, v[18:19] offset:2564
	v_pk_mov_b32 v[2:3], 0, 0
	buffer_store_dword v2, off, s[0:3], s32 offset:568 ; 4-byte Folded Spill
	s_nop 0
	buffer_store_dword v3, off, s[0:3], s32 offset:572 ; 4-byte Folded Spill
	buffer_store_dword v2, off, s[0:3], s32 offset:560 ; 4-byte Folded Spill
	s_nop 0
	buffer_store_dword v3, off, s[0:3], s32 offset:564 ; 4-byte Folded Spill
	s_waitcnt vmcnt(0) lgkmcnt(0)
	v_and_b32_e32 v0, 0xffff, v1
	v_cmp_ne_u16_sdwa vcc, v1, v5 src0_sel:BYTE_0 src1_sel:DWORD
	s_and_saveexec_b64 s[36:37], vcc
	s_cbranch_execz .LBB241_274
; %bb.269:                              ;   in Loop: Header=BB241_13 Depth=1
	v_bfrev_b32_e32 v2, 1
	v_cmp_ne_u16_sdwa vcc, v0, s43 src0_sel:BYTE_0 src1_sel:DWORD
	v_mov_b32_e32 v3, 0
	buffer_store_dword v2, off, s[0:3], s32 offset:560 ; 4-byte Folded Spill
	s_nop 0
	buffer_store_dword v3, off, s[0:3], s32 offset:564 ; 4-byte Folded Spill
	s_and_saveexec_b64 s[38:39], vcc
	s_cbranch_execz .LBB241_273
; %bb.270:                              ;   in Loop: Header=BB241_13 Depth=1
	v_and_b32_e32 v1, 0x7f, v0
	v_mov_b32_e32 v2, 0x7f800001
	v_cmp_ne_u32_e32 vcc, s44, v1
	v_mov_b32_e32 v3, 0
	buffer_store_dword v2, off, s[0:3], s32 offset:560 ; 4-byte Folded Spill
	s_nop 0
	buffer_store_dword v3, off, s[0:3], s32 offset:564 ; 4-byte Folded Spill
	s_and_saveexec_b64 s[40:41], vcc
	s_cbranch_execz .LBB241_272
; %bb.271:                              ;   in Loop: Header=BB241_13 Depth=1
	v_and_b32_e32 v4, 7, v0
	v_lshrrev_b32_e32 v6, 3, v1
	v_cmp_gt_u32_e32 vcc, 8, v1
	v_ffbh_u32_e32 v1, v4
	v_min_u32_e32 v1, 32, v1
	v_subrev_u32_e32 v2, 28, v1
	v_lshlrev_b64 v[2:3], v2, v[0:1]
	v_sub_u32_e32 v1, 29, v1
	v_and_b32_e32 v2, 7, v2
	v_cndmask_b32_e32 v1, v6, v1, vcc
	v_cndmask_b32_e32 v2, v4, v2, vcc
	v_bfrev_b32_e32 v4, 60
	v_lshlrev_b32_e32 v2, 20, v2
	v_and_b32_sdwa v3, sext(v0), s27 dst_sel:DWORD dst_unused:UNUSED_PAD src0_sel:BYTE_0 src1_sel:DWORD
	v_lshl_add_u32 v1, v1, 23, v4
	v_or3_b32 v4, v3, v1, v2
	buffer_store_dword v4, off, s[0:3], s32 offset:560 ; 4-byte Folded Spill
	s_nop 0
	buffer_store_dword v5, off, s[0:3], s32 offset:564 ; 4-byte Folded Spill
.LBB241_272:                            ;   in Loop: Header=BB241_13 Depth=1
	s_or_b64 exec, exec, s[40:41]
.LBB241_273:                            ;   in Loop: Header=BB241_13 Depth=1
	s_or_b64 exec, exec, s[38:39]
.LBB241_274:                            ;   in Loop: Header=BB241_13 Depth=1
	s_or_b64 exec, exec, s[36:37]
	v_cmp_ne_u16_sdwa vcc, v0, v5 src0_sel:BYTE_1 src1_sel:DWORD
	s_and_saveexec_b64 s[36:37], vcc
	s_cbranch_execz .LBB241_280
; %bb.275:                              ;   in Loop: Header=BB241_13 Depth=1
	v_cmp_ne_u16_sdwa vcc, v0, s43 src0_sel:BYTE_1 src1_sel:DWORD
	v_pk_mov_b32 v[2:3], s[26:27], s[26:27] op_sel:[0,1]
	buffer_store_dword v2, off, s[0:3], s32 offset:568 ; 4-byte Folded Spill
	s_nop 0
	buffer_store_dword v3, off, s[0:3], s32 offset:572 ; 4-byte Folded Spill
	s_and_saveexec_b64 s[38:39], vcc
	s_cbranch_execz .LBB241_279
; %bb.276:                              ;   in Loop: Header=BB241_13 Depth=1
	v_and_b32_sdwa v1, v0, s44 dst_sel:DWORD dst_unused:UNUSED_PAD src0_sel:BYTE_1 src1_sel:DWORD
	s_mov_b32 s34, s26
	v_cmp_ne_u32_e32 vcc, s44, v1
	v_pk_mov_b32 v[2:3], s[34:35], s[34:35] op_sel:[0,1]
	buffer_store_dword v2, off, s[0:3], s32 offset:568 ; 4-byte Folded Spill
	s_nop 0
	buffer_store_dword v3, off, s[0:3], s32 offset:572 ; 4-byte Folded Spill
	s_and_saveexec_b64 s[40:41], vcc
	s_cbranch_execz .LBB241_278
; %bb.277:                              ;   in Loop: Header=BB241_13 Depth=1
	v_mov_b32_e32 v2, 7
	v_and_b32_sdwa v4, v0, v2 dst_sel:DWORD dst_unused:UNUSED_PAD src0_sel:BYTE_1 src1_sel:DWORD
	v_lshrrev_b32_e32 v6, 3, v1
	v_cmp_gt_u32_e32 vcc, 8, v1
	v_ffbh_u32_e32 v1, v4
	v_min_u32_e32 v1, 32, v1
	v_subrev_u32_e32 v2, 28, v1
	v_lshlrev_b64 v[2:3], v2, v[4:5]
	v_sub_u32_e32 v1, 29, v1
	v_and_b32_e32 v2, 7, v2
	v_cndmask_b32_e32 v1, v6, v1, vcc
	v_bfrev_b32_e32 v3, 60
	v_cndmask_b32_e32 v2, v4, v2, vcc
	v_lshlrev_b32_e32 v0, 16, v0
	v_lshl_add_u32 v1, v1, 23, v3
	v_and_or_b32 v0, v0, s27, v1
	v_lshlrev_b32_e32 v1, 20, v2
	v_or_b32_e32 v1, v0, v1
	v_mov_b32_e32 v0, v5
	buffer_store_dword v0, off, s[0:3], s32 offset:568 ; 4-byte Folded Spill
	s_nop 0
	buffer_store_dword v1, off, s[0:3], s32 offset:572 ; 4-byte Folded Spill
.LBB241_278:                            ;   in Loop: Header=BB241_13 Depth=1
	s_or_b64 exec, exec, s[40:41]
.LBB241_279:                            ;   in Loop: Header=BB241_13 Depth=1
	s_or_b64 exec, exec, s[38:39]
.LBB241_280:                            ;   in Loop: Header=BB241_13 Depth=1
	s_or_b64 exec, exec, s[36:37]
	v_add_co_u32_e32 v0, vcc, 0xa00, v18
	v_addc_co_u32_e32 v1, vcc, 0, v19, vcc
	flat_load_ushort v3, v[0:1] offset:8
	v_pk_mov_b32 v[6:7], 0, 0
	buffer_store_dword v6, off, s[0:3], s32 offset:584 ; 4-byte Folded Spill
	s_nop 0
	buffer_store_dword v7, off, s[0:3], s32 offset:588 ; 4-byte Folded Spill
	buffer_store_dword v6, off, s[0:3], s32 offset:576 ; 4-byte Folded Spill
	s_nop 0
	buffer_store_dword v7, off, s[0:3], s32 offset:580 ; 4-byte Folded Spill
	s_waitcnt vmcnt(0) lgkmcnt(0)
	v_and_b32_e32 v2, 0xffff, v3
	v_cmp_ne_u16_sdwa vcc, v3, v5 src0_sel:BYTE_0 src1_sel:DWORD
	s_and_saveexec_b64 s[36:37], vcc
	s_cbranch_execz .LBB241_286
; %bb.281:                              ;   in Loop: Header=BB241_13 Depth=1
	v_bfrev_b32_e32 v6, 1
	v_cmp_ne_u16_sdwa vcc, v2, s43 src0_sel:BYTE_0 src1_sel:DWORD
	v_mov_b32_e32 v7, 0
	buffer_store_dword v6, off, s[0:3], s32 offset:576 ; 4-byte Folded Spill
	s_nop 0
	buffer_store_dword v7, off, s[0:3], s32 offset:580 ; 4-byte Folded Spill
	s_and_saveexec_b64 s[38:39], vcc
	s_cbranch_execz .LBB241_285
; %bb.282:                              ;   in Loop: Header=BB241_13 Depth=1
	v_and_b32_e32 v3, 0x7f, v2
	v_mov_b32_e32 v6, 0x7f800001
	v_cmp_ne_u32_e32 vcc, s44, v3
	v_mov_b32_e32 v7, 0
	buffer_store_dword v6, off, s[0:3], s32 offset:576 ; 4-byte Folded Spill
	s_nop 0
	buffer_store_dword v7, off, s[0:3], s32 offset:580 ; 4-byte Folded Spill
	s_and_saveexec_b64 s[40:41], vcc
	s_cbranch_execz .LBB241_284
; %bb.283:                              ;   in Loop: Header=BB241_13 Depth=1
	v_and_b32_e32 v4, 7, v2
	v_lshrrev_b32_e32 v8, 3, v3
	v_cmp_gt_u32_e32 vcc, 8, v3
	v_ffbh_u32_e32 v3, v4
	v_min_u32_e32 v3, 32, v3
	v_subrev_u32_e32 v6, 28, v3
	v_lshlrev_b64 v[6:7], v6, v[2:3]
	v_sub_u32_e32 v3, 29, v3
	v_and_b32_e32 v6, 7, v6
	v_cndmask_b32_e32 v3, v8, v3, vcc
	v_cndmask_b32_e32 v4, v4, v6, vcc
	v_bfrev_b32_e32 v7, 60
	v_lshlrev_b32_e32 v4, 20, v4
	v_and_b32_sdwa v6, sext(v2), s27 dst_sel:DWORD dst_unused:UNUSED_PAD src0_sel:BYTE_0 src1_sel:DWORD
	v_lshl_add_u32 v3, v3, 23, v7
	v_or3_b32 v4, v6, v3, v4
	buffer_store_dword v4, off, s[0:3], s32 offset:576 ; 4-byte Folded Spill
	s_nop 0
	buffer_store_dword v5, off, s[0:3], s32 offset:580 ; 4-byte Folded Spill
.LBB241_284:                            ;   in Loop: Header=BB241_13 Depth=1
	s_or_b64 exec, exec, s[40:41]
.LBB241_285:                            ;   in Loop: Header=BB241_13 Depth=1
	s_or_b64 exec, exec, s[38:39]
.LBB241_286:                            ;   in Loop: Header=BB241_13 Depth=1
	s_or_b64 exec, exec, s[36:37]
	v_cmp_ne_u16_sdwa vcc, v2, v5 src0_sel:BYTE_1 src1_sel:DWORD
	s_and_saveexec_b64 s[36:37], vcc
	s_cbranch_execz .LBB241_292
; %bb.287:                              ;   in Loop: Header=BB241_13 Depth=1
	v_cmp_ne_u16_sdwa vcc, v2, s43 src0_sel:BYTE_1 src1_sel:DWORD
	v_pk_mov_b32 v[6:7], s[26:27], s[26:27] op_sel:[0,1]
	buffer_store_dword v6, off, s[0:3], s32 offset:584 ; 4-byte Folded Spill
	s_nop 0
	buffer_store_dword v7, off, s[0:3], s32 offset:588 ; 4-byte Folded Spill
	s_and_saveexec_b64 s[38:39], vcc
	s_cbranch_execz .LBB241_291
; %bb.288:                              ;   in Loop: Header=BB241_13 Depth=1
	v_and_b32_sdwa v3, v2, s44 dst_sel:DWORD dst_unused:UNUSED_PAD src0_sel:BYTE_1 src1_sel:DWORD
	s_mov_b32 s34, s26
	v_cmp_ne_u32_e32 vcc, s44, v3
	v_pk_mov_b32 v[6:7], s[34:35], s[34:35] op_sel:[0,1]
	buffer_store_dword v6, off, s[0:3], s32 offset:584 ; 4-byte Folded Spill
	s_nop 0
	buffer_store_dword v7, off, s[0:3], s32 offset:588 ; 4-byte Folded Spill
	s_and_saveexec_b64 s[40:41], vcc
	s_cbranch_execz .LBB241_290
; %bb.289:                              ;   in Loop: Header=BB241_13 Depth=1
	v_mov_b32_e32 v4, 7
	v_and_b32_sdwa v4, v2, v4 dst_sel:DWORD dst_unused:UNUSED_PAD src0_sel:BYTE_1 src1_sel:DWORD
	v_lshrrev_b32_e32 v8, 3, v3
	v_cmp_gt_u32_e32 vcc, 8, v3
	v_ffbh_u32_e32 v3, v4
	v_min_u32_e32 v3, 32, v3
	v_subrev_u32_e32 v6, 28, v3
	v_lshlrev_b64 v[6:7], v6, v[4:5]
	v_sub_u32_e32 v3, 29, v3
	v_and_b32_e32 v6, 7, v6
	v_cndmask_b32_e32 v3, v8, v3, vcc
	v_cndmask_b32_e32 v4, v4, v6, vcc
	v_bfrev_b32_e32 v6, 60
	v_lshlrev_b32_e32 v2, 16, v2
	v_lshl_add_u32 v3, v3, 23, v6
	v_and_or_b32 v2, v2, s27, v3
	v_lshlrev_b32_e32 v3, 20, v4
	v_or_b32_e32 v3, v2, v3
	v_mov_b32_e32 v2, v5
	buffer_store_dword v2, off, s[0:3], s32 offset:584 ; 4-byte Folded Spill
	s_nop 0
	buffer_store_dword v3, off, s[0:3], s32 offset:588 ; 4-byte Folded Spill
.LBB241_290:                            ;   in Loop: Header=BB241_13 Depth=1
	s_or_b64 exec, exec, s[40:41]
.LBB241_291:                            ;   in Loop: Header=BB241_13 Depth=1
	s_or_b64 exec, exec, s[38:39]
.LBB241_292:                            ;   in Loop: Header=BB241_13 Depth=1
	s_or_b64 exec, exec, s[36:37]
	flat_load_ushort v1, v[0:1] offset:12
	v_pk_mov_b32 v[2:3], 0, 0
	buffer_store_dword v2, off, s[0:3], s32 offset:600 ; 4-byte Folded Spill
	s_nop 0
	buffer_store_dword v3, off, s[0:3], s32 offset:604 ; 4-byte Folded Spill
	buffer_store_dword v2, off, s[0:3], s32 offset:592 ; 4-byte Folded Spill
	s_nop 0
	buffer_store_dword v3, off, s[0:3], s32 offset:596 ; 4-byte Folded Spill
	s_waitcnt vmcnt(0) lgkmcnt(0)
	v_and_b32_e32 v0, 0xffff, v1
	v_cmp_ne_u16_sdwa vcc, v1, v5 src0_sel:BYTE_0 src1_sel:DWORD
	s_and_saveexec_b64 s[36:37], vcc
	s_cbranch_execz .LBB241_298
; %bb.293:                              ;   in Loop: Header=BB241_13 Depth=1
	v_bfrev_b32_e32 v2, 1
	v_cmp_ne_u16_sdwa vcc, v0, s43 src0_sel:BYTE_0 src1_sel:DWORD
	v_mov_b32_e32 v3, 0
	buffer_store_dword v2, off, s[0:3], s32 offset:592 ; 4-byte Folded Spill
	s_nop 0
	buffer_store_dword v3, off, s[0:3], s32 offset:596 ; 4-byte Folded Spill
	s_and_saveexec_b64 s[38:39], vcc
	s_cbranch_execz .LBB241_297
; %bb.294:                              ;   in Loop: Header=BB241_13 Depth=1
	v_and_b32_e32 v1, 0x7f, v0
	v_mov_b32_e32 v2, 0x7f800001
	v_cmp_ne_u32_e32 vcc, s44, v1
	v_mov_b32_e32 v3, 0
	buffer_store_dword v2, off, s[0:3], s32 offset:592 ; 4-byte Folded Spill
	s_nop 0
	buffer_store_dword v3, off, s[0:3], s32 offset:596 ; 4-byte Folded Spill
	s_and_saveexec_b64 s[40:41], vcc
	s_cbranch_execz .LBB241_296
; %bb.295:                              ;   in Loop: Header=BB241_13 Depth=1
	v_and_b32_e32 v4, 7, v0
	v_lshrrev_b32_e32 v6, 3, v1
	v_cmp_gt_u32_e32 vcc, 8, v1
	v_ffbh_u32_e32 v1, v4
	v_min_u32_e32 v1, 32, v1
	v_subrev_u32_e32 v2, 28, v1
	v_lshlrev_b64 v[2:3], v2, v[0:1]
	v_sub_u32_e32 v1, 29, v1
	v_and_b32_e32 v2, 7, v2
	v_cndmask_b32_e32 v1, v6, v1, vcc
	v_cndmask_b32_e32 v2, v4, v2, vcc
	v_bfrev_b32_e32 v4, 60
	v_lshlrev_b32_e32 v2, 20, v2
	v_and_b32_sdwa v3, sext(v0), s27 dst_sel:DWORD dst_unused:UNUSED_PAD src0_sel:BYTE_0 src1_sel:DWORD
	v_lshl_add_u32 v1, v1, 23, v4
	v_or3_b32 v4, v3, v1, v2
	buffer_store_dword v4, off, s[0:3], s32 offset:592 ; 4-byte Folded Spill
	s_nop 0
	buffer_store_dword v5, off, s[0:3], s32 offset:596 ; 4-byte Folded Spill
.LBB241_296:                            ;   in Loop: Header=BB241_13 Depth=1
	s_or_b64 exec, exec, s[40:41]
.LBB241_297:                            ;   in Loop: Header=BB241_13 Depth=1
	s_or_b64 exec, exec, s[38:39]
.LBB241_298:                            ;   in Loop: Header=BB241_13 Depth=1
	s_or_b64 exec, exec, s[36:37]
	v_cmp_ne_u16_sdwa vcc, v0, v5 src0_sel:BYTE_1 src1_sel:DWORD
	s_and_saveexec_b64 s[36:37], vcc
	s_cbranch_execz .LBB241_304
; %bb.299:                              ;   in Loop: Header=BB241_13 Depth=1
	v_cmp_ne_u16_sdwa vcc, v0, s43 src0_sel:BYTE_1 src1_sel:DWORD
	v_pk_mov_b32 v[2:3], s[26:27], s[26:27] op_sel:[0,1]
	buffer_store_dword v2, off, s[0:3], s32 offset:600 ; 4-byte Folded Spill
	s_nop 0
	buffer_store_dword v3, off, s[0:3], s32 offset:604 ; 4-byte Folded Spill
	s_and_saveexec_b64 s[38:39], vcc
	s_cbranch_execz .LBB241_303
; %bb.300:                              ;   in Loop: Header=BB241_13 Depth=1
	v_and_b32_sdwa v1, v0, s44 dst_sel:DWORD dst_unused:UNUSED_PAD src0_sel:BYTE_1 src1_sel:DWORD
	s_mov_b32 s34, s26
	v_cmp_ne_u32_e32 vcc, s44, v1
	v_pk_mov_b32 v[2:3], s[34:35], s[34:35] op_sel:[0,1]
	buffer_store_dword v2, off, s[0:3], s32 offset:600 ; 4-byte Folded Spill
	s_nop 0
	buffer_store_dword v3, off, s[0:3], s32 offset:604 ; 4-byte Folded Spill
	s_and_saveexec_b64 s[40:41], vcc
	s_cbranch_execz .LBB241_302
; %bb.301:                              ;   in Loop: Header=BB241_13 Depth=1
	v_mov_b32_e32 v2, 7
	v_and_b32_sdwa v4, v0, v2 dst_sel:DWORD dst_unused:UNUSED_PAD src0_sel:BYTE_1 src1_sel:DWORD
	v_lshrrev_b32_e32 v6, 3, v1
	v_cmp_gt_u32_e32 vcc, 8, v1
	v_ffbh_u32_e32 v1, v4
	v_min_u32_e32 v1, 32, v1
	v_subrev_u32_e32 v2, 28, v1
	v_lshlrev_b64 v[2:3], v2, v[4:5]
	v_sub_u32_e32 v1, 29, v1
	v_and_b32_e32 v2, 7, v2
	v_cndmask_b32_e32 v1, v6, v1, vcc
	v_bfrev_b32_e32 v3, 60
	v_cndmask_b32_e32 v2, v4, v2, vcc
	v_lshlrev_b32_e32 v0, 16, v0
	v_lshl_add_u32 v1, v1, 23, v3
	v_and_or_b32 v0, v0, s27, v1
	v_lshlrev_b32_e32 v1, 20, v2
	v_or_b32_e32 v1, v0, v1
	v_mov_b32_e32 v0, v5
	buffer_store_dword v0, off, s[0:3], s32 offset:600 ; 4-byte Folded Spill
	s_nop 0
	buffer_store_dword v1, off, s[0:3], s32 offset:604 ; 4-byte Folded Spill
.LBB241_302:                            ;   in Loop: Header=BB241_13 Depth=1
	s_or_b64 exec, exec, s[40:41]
.LBB241_303:                            ;   in Loop: Header=BB241_13 Depth=1
	s_or_b64 exec, exec, s[38:39]
.LBB241_304:                            ;   in Loop: Header=BB241_13 Depth=1
	s_or_b64 exec, exec, s[36:37]
	flat_load_ushort v1, v[18:19] offset:3072
	v_pk_mov_b32 v[2:3], 0, 0
	buffer_store_dword v2, off, s[0:3], s32 offset:616 ; 4-byte Folded Spill
	s_nop 0
	buffer_store_dword v3, off, s[0:3], s32 offset:620 ; 4-byte Folded Spill
	buffer_store_dword v2, off, s[0:3], s32 offset:608 ; 4-byte Folded Spill
	s_nop 0
	buffer_store_dword v3, off, s[0:3], s32 offset:612 ; 4-byte Folded Spill
	s_waitcnt vmcnt(0) lgkmcnt(0)
	v_and_b32_e32 v0, 0xffff, v1
	v_cmp_ne_u16_sdwa vcc, v1, v5 src0_sel:BYTE_0 src1_sel:DWORD
	s_and_saveexec_b64 s[36:37], vcc
	s_cbranch_execz .LBB241_310
; %bb.305:                              ;   in Loop: Header=BB241_13 Depth=1
	v_bfrev_b32_e32 v2, 1
	v_cmp_ne_u16_sdwa vcc, v0, s43 src0_sel:BYTE_0 src1_sel:DWORD
	v_mov_b32_e32 v3, 0
	buffer_store_dword v2, off, s[0:3], s32 offset:608 ; 4-byte Folded Spill
	s_nop 0
	buffer_store_dword v3, off, s[0:3], s32 offset:612 ; 4-byte Folded Spill
	s_and_saveexec_b64 s[38:39], vcc
	s_cbranch_execz .LBB241_309
; %bb.306:                              ;   in Loop: Header=BB241_13 Depth=1
	v_and_b32_e32 v1, 0x7f, v0
	v_mov_b32_e32 v2, 0x7f800001
	v_cmp_ne_u32_e32 vcc, s44, v1
	v_mov_b32_e32 v3, 0
	buffer_store_dword v2, off, s[0:3], s32 offset:608 ; 4-byte Folded Spill
	s_nop 0
	buffer_store_dword v3, off, s[0:3], s32 offset:612 ; 4-byte Folded Spill
	s_and_saveexec_b64 s[40:41], vcc
	s_cbranch_execz .LBB241_308
; %bb.307:                              ;   in Loop: Header=BB241_13 Depth=1
	v_and_b32_e32 v4, 7, v0
	v_lshrrev_b32_e32 v6, 3, v1
	v_cmp_gt_u32_e32 vcc, 8, v1
	v_ffbh_u32_e32 v1, v4
	v_min_u32_e32 v1, 32, v1
	v_subrev_u32_e32 v2, 28, v1
	v_lshlrev_b64 v[2:3], v2, v[0:1]
	v_sub_u32_e32 v1, 29, v1
	v_and_b32_e32 v2, 7, v2
	v_cndmask_b32_e32 v1, v6, v1, vcc
	v_cndmask_b32_e32 v2, v4, v2, vcc
	v_bfrev_b32_e32 v4, 60
	v_lshlrev_b32_e32 v2, 20, v2
	v_and_b32_sdwa v3, sext(v0), s27 dst_sel:DWORD dst_unused:UNUSED_PAD src0_sel:BYTE_0 src1_sel:DWORD
	v_lshl_add_u32 v1, v1, 23, v4
	v_or3_b32 v4, v3, v1, v2
	buffer_store_dword v4, off, s[0:3], s32 offset:608 ; 4-byte Folded Spill
	s_nop 0
	buffer_store_dword v5, off, s[0:3], s32 offset:612 ; 4-byte Folded Spill
.LBB241_308:                            ;   in Loop: Header=BB241_13 Depth=1
	s_or_b64 exec, exec, s[40:41]
.LBB241_309:                            ;   in Loop: Header=BB241_13 Depth=1
	s_or_b64 exec, exec, s[38:39]
.LBB241_310:                            ;   in Loop: Header=BB241_13 Depth=1
	s_or_b64 exec, exec, s[36:37]
	v_cmp_ne_u16_sdwa vcc, v0, v5 src0_sel:BYTE_1 src1_sel:DWORD
	s_and_saveexec_b64 s[36:37], vcc
	s_cbranch_execz .LBB241_316
; %bb.311:                              ;   in Loop: Header=BB241_13 Depth=1
	v_cmp_ne_u16_sdwa vcc, v0, s43 src0_sel:BYTE_1 src1_sel:DWORD
	v_pk_mov_b32 v[2:3], s[26:27], s[26:27] op_sel:[0,1]
	buffer_store_dword v2, off, s[0:3], s32 offset:616 ; 4-byte Folded Spill
	s_nop 0
	buffer_store_dword v3, off, s[0:3], s32 offset:620 ; 4-byte Folded Spill
	s_and_saveexec_b64 s[38:39], vcc
	s_cbranch_execz .LBB241_315
; %bb.312:                              ;   in Loop: Header=BB241_13 Depth=1
	v_and_b32_sdwa v1, v0, s44 dst_sel:DWORD dst_unused:UNUSED_PAD src0_sel:BYTE_1 src1_sel:DWORD
	s_mov_b32 s34, s26
	v_cmp_ne_u32_e32 vcc, s44, v1
	v_pk_mov_b32 v[2:3], s[34:35], s[34:35] op_sel:[0,1]
	buffer_store_dword v2, off, s[0:3], s32 offset:616 ; 4-byte Folded Spill
	s_nop 0
	buffer_store_dword v3, off, s[0:3], s32 offset:620 ; 4-byte Folded Spill
	s_and_saveexec_b64 s[40:41], vcc
	s_cbranch_execz .LBB241_314
; %bb.313:                              ;   in Loop: Header=BB241_13 Depth=1
	v_mov_b32_e32 v2, 7
	v_and_b32_sdwa v4, v0, v2 dst_sel:DWORD dst_unused:UNUSED_PAD src0_sel:BYTE_1 src1_sel:DWORD
	v_lshrrev_b32_e32 v6, 3, v1
	v_cmp_gt_u32_e32 vcc, 8, v1
	v_ffbh_u32_e32 v1, v4
	v_min_u32_e32 v1, 32, v1
	v_subrev_u32_e32 v2, 28, v1
	v_lshlrev_b64 v[2:3], v2, v[4:5]
	v_sub_u32_e32 v1, 29, v1
	v_and_b32_e32 v2, 7, v2
	v_cndmask_b32_e32 v1, v6, v1, vcc
	v_bfrev_b32_e32 v3, 60
	v_cndmask_b32_e32 v2, v4, v2, vcc
	v_lshlrev_b32_e32 v0, 16, v0
	v_lshl_add_u32 v1, v1, 23, v3
	v_and_or_b32 v0, v0, s27, v1
	v_lshlrev_b32_e32 v1, 20, v2
	v_or_b32_e32 v1, v0, v1
	v_mov_b32_e32 v0, v5
	buffer_store_dword v0, off, s[0:3], s32 offset:616 ; 4-byte Folded Spill
	s_nop 0
	buffer_store_dword v1, off, s[0:3], s32 offset:620 ; 4-byte Folded Spill
.LBB241_314:                            ;   in Loop: Header=BB241_13 Depth=1
	s_or_b64 exec, exec, s[40:41]
.LBB241_315:                            ;   in Loop: Header=BB241_13 Depth=1
	s_or_b64 exec, exec, s[38:39]
.LBB241_316:                            ;   in Loop: Header=BB241_13 Depth=1
	s_or_b64 exec, exec, s[36:37]
	flat_load_ushort v1, v[18:19] offset:3076
	v_pk_mov_b32 v[2:3], 0, 0
	buffer_store_dword v2, off, s[0:3], s32 offset:632 ; 4-byte Folded Spill
	s_nop 0
	buffer_store_dword v3, off, s[0:3], s32 offset:636 ; 4-byte Folded Spill
	buffer_store_dword v2, off, s[0:3], s32 offset:624 ; 4-byte Folded Spill
	s_nop 0
	buffer_store_dword v3, off, s[0:3], s32 offset:628 ; 4-byte Folded Spill
	s_waitcnt vmcnt(0) lgkmcnt(0)
	v_and_b32_e32 v0, 0xffff, v1
	v_cmp_ne_u16_sdwa vcc, v1, v5 src0_sel:BYTE_0 src1_sel:DWORD
	s_and_saveexec_b64 s[36:37], vcc
	s_cbranch_execz .LBB241_322
; %bb.317:                              ;   in Loop: Header=BB241_13 Depth=1
	v_bfrev_b32_e32 v2, 1
	v_cmp_ne_u16_sdwa vcc, v0, s43 src0_sel:BYTE_0 src1_sel:DWORD
	v_mov_b32_e32 v3, 0
	buffer_store_dword v2, off, s[0:3], s32 offset:624 ; 4-byte Folded Spill
	s_nop 0
	buffer_store_dword v3, off, s[0:3], s32 offset:628 ; 4-byte Folded Spill
	s_and_saveexec_b64 s[38:39], vcc
	s_cbranch_execz .LBB241_321
; %bb.318:                              ;   in Loop: Header=BB241_13 Depth=1
	v_and_b32_e32 v1, 0x7f, v0
	v_mov_b32_e32 v2, 0x7f800001
	v_cmp_ne_u32_e32 vcc, s44, v1
	v_mov_b32_e32 v3, 0
	buffer_store_dword v2, off, s[0:3], s32 offset:624 ; 4-byte Folded Spill
	s_nop 0
	buffer_store_dword v3, off, s[0:3], s32 offset:628 ; 4-byte Folded Spill
	s_and_saveexec_b64 s[40:41], vcc
	s_cbranch_execz .LBB241_320
; %bb.319:                              ;   in Loop: Header=BB241_13 Depth=1
	v_and_b32_e32 v4, 7, v0
	v_lshrrev_b32_e32 v6, 3, v1
	v_cmp_gt_u32_e32 vcc, 8, v1
	v_ffbh_u32_e32 v1, v4
	v_min_u32_e32 v1, 32, v1
	v_subrev_u32_e32 v2, 28, v1
	v_lshlrev_b64 v[2:3], v2, v[0:1]
	v_sub_u32_e32 v1, 29, v1
	v_and_b32_e32 v2, 7, v2
	v_cndmask_b32_e32 v1, v6, v1, vcc
	v_cndmask_b32_e32 v2, v4, v2, vcc
	v_bfrev_b32_e32 v4, 60
	v_lshlrev_b32_e32 v2, 20, v2
	v_and_b32_sdwa v3, sext(v0), s27 dst_sel:DWORD dst_unused:UNUSED_PAD src0_sel:BYTE_0 src1_sel:DWORD
	v_lshl_add_u32 v1, v1, 23, v4
	v_or3_b32 v4, v3, v1, v2
	buffer_store_dword v4, off, s[0:3], s32 offset:624 ; 4-byte Folded Spill
	s_nop 0
	buffer_store_dword v5, off, s[0:3], s32 offset:628 ; 4-byte Folded Spill
.LBB241_320:                            ;   in Loop: Header=BB241_13 Depth=1
	s_or_b64 exec, exec, s[40:41]
.LBB241_321:                            ;   in Loop: Header=BB241_13 Depth=1
	s_or_b64 exec, exec, s[38:39]
.LBB241_322:                            ;   in Loop: Header=BB241_13 Depth=1
	s_or_b64 exec, exec, s[36:37]
	v_cmp_ne_u16_sdwa vcc, v0, v5 src0_sel:BYTE_1 src1_sel:DWORD
	s_and_saveexec_b64 s[36:37], vcc
	s_cbranch_execz .LBB241_328
; %bb.323:                              ;   in Loop: Header=BB241_13 Depth=1
	v_cmp_ne_u16_sdwa vcc, v0, s43 src0_sel:BYTE_1 src1_sel:DWORD
	v_pk_mov_b32 v[2:3], s[26:27], s[26:27] op_sel:[0,1]
	buffer_store_dword v2, off, s[0:3], s32 offset:632 ; 4-byte Folded Spill
	s_nop 0
	buffer_store_dword v3, off, s[0:3], s32 offset:636 ; 4-byte Folded Spill
	s_and_saveexec_b64 s[38:39], vcc
	s_cbranch_execz .LBB241_327
; %bb.324:                              ;   in Loop: Header=BB241_13 Depth=1
	v_and_b32_sdwa v1, v0, s44 dst_sel:DWORD dst_unused:UNUSED_PAD src0_sel:BYTE_1 src1_sel:DWORD
	s_mov_b32 s34, s26
	v_cmp_ne_u32_e32 vcc, s44, v1
	v_pk_mov_b32 v[2:3], s[34:35], s[34:35] op_sel:[0,1]
	buffer_store_dword v2, off, s[0:3], s32 offset:632 ; 4-byte Folded Spill
	s_nop 0
	buffer_store_dword v3, off, s[0:3], s32 offset:636 ; 4-byte Folded Spill
	s_and_saveexec_b64 s[40:41], vcc
	s_cbranch_execz .LBB241_326
; %bb.325:                              ;   in Loop: Header=BB241_13 Depth=1
	v_mov_b32_e32 v2, 7
	v_and_b32_sdwa v4, v0, v2 dst_sel:DWORD dst_unused:UNUSED_PAD src0_sel:BYTE_1 src1_sel:DWORD
	v_lshrrev_b32_e32 v6, 3, v1
	v_cmp_gt_u32_e32 vcc, 8, v1
	v_ffbh_u32_e32 v1, v4
	v_min_u32_e32 v1, 32, v1
	v_subrev_u32_e32 v2, 28, v1
	v_lshlrev_b64 v[2:3], v2, v[4:5]
	v_sub_u32_e32 v1, 29, v1
	v_and_b32_e32 v2, 7, v2
	v_cndmask_b32_e32 v1, v6, v1, vcc
	v_bfrev_b32_e32 v3, 60
	v_cndmask_b32_e32 v2, v4, v2, vcc
	v_lshlrev_b32_e32 v0, 16, v0
	v_lshl_add_u32 v1, v1, 23, v3
	v_and_or_b32 v0, v0, s27, v1
	v_lshlrev_b32_e32 v1, 20, v2
	v_or_b32_e32 v1, v0, v1
	v_mov_b32_e32 v0, v5
	buffer_store_dword v0, off, s[0:3], s32 offset:632 ; 4-byte Folded Spill
	s_nop 0
	buffer_store_dword v1, off, s[0:3], s32 offset:636 ; 4-byte Folded Spill
.LBB241_326:                            ;   in Loop: Header=BB241_13 Depth=1
	s_or_b64 exec, exec, s[40:41]
.LBB241_327:                            ;   in Loop: Header=BB241_13 Depth=1
	s_or_b64 exec, exec, s[38:39]
.LBB241_328:                            ;   in Loop: Header=BB241_13 Depth=1
	s_or_b64 exec, exec, s[36:37]
	v_add_co_u32_e32 v0, vcc, 0xc00, v18
	v_addc_co_u32_e32 v1, vcc, 0, v19, vcc
	flat_load_ushort v3, v[0:1] offset:8
	v_pk_mov_b32 v[6:7], 0, 0
	buffer_store_dword v6, off, s[0:3], s32 offset:648 ; 4-byte Folded Spill
	s_nop 0
	buffer_store_dword v7, off, s[0:3], s32 offset:652 ; 4-byte Folded Spill
	buffer_store_dword v6, off, s[0:3], s32 offset:640 ; 4-byte Folded Spill
	s_nop 0
	buffer_store_dword v7, off, s[0:3], s32 offset:644 ; 4-byte Folded Spill
	s_waitcnt vmcnt(0) lgkmcnt(0)
	v_and_b32_e32 v2, 0xffff, v3
	v_cmp_ne_u16_sdwa vcc, v3, v5 src0_sel:BYTE_0 src1_sel:DWORD
	s_and_saveexec_b64 s[36:37], vcc
	s_cbranch_execz .LBB241_334
; %bb.329:                              ;   in Loop: Header=BB241_13 Depth=1
	v_bfrev_b32_e32 v6, 1
	v_cmp_ne_u16_sdwa vcc, v2, s43 src0_sel:BYTE_0 src1_sel:DWORD
	v_mov_b32_e32 v7, 0
	buffer_store_dword v6, off, s[0:3], s32 offset:640 ; 4-byte Folded Spill
	s_nop 0
	buffer_store_dword v7, off, s[0:3], s32 offset:644 ; 4-byte Folded Spill
	s_and_saveexec_b64 s[38:39], vcc
	s_cbranch_execz .LBB241_333
; %bb.330:                              ;   in Loop: Header=BB241_13 Depth=1
	v_and_b32_e32 v3, 0x7f, v2
	v_mov_b32_e32 v6, 0x7f800001
	v_cmp_ne_u32_e32 vcc, s44, v3
	v_mov_b32_e32 v7, 0
	buffer_store_dword v6, off, s[0:3], s32 offset:640 ; 4-byte Folded Spill
	s_nop 0
	buffer_store_dword v7, off, s[0:3], s32 offset:644 ; 4-byte Folded Spill
	s_and_saveexec_b64 s[40:41], vcc
	s_cbranch_execz .LBB241_332
; %bb.331:                              ;   in Loop: Header=BB241_13 Depth=1
	v_and_b32_e32 v4, 7, v2
	v_lshrrev_b32_e32 v8, 3, v3
	v_cmp_gt_u32_e32 vcc, 8, v3
	v_ffbh_u32_e32 v3, v4
	v_min_u32_e32 v3, 32, v3
	v_subrev_u32_e32 v6, 28, v3
	v_lshlrev_b64 v[6:7], v6, v[2:3]
	v_sub_u32_e32 v3, 29, v3
	v_and_b32_e32 v6, 7, v6
	v_cndmask_b32_e32 v3, v8, v3, vcc
	v_cndmask_b32_e32 v4, v4, v6, vcc
	v_bfrev_b32_e32 v7, 60
	v_lshlrev_b32_e32 v4, 20, v4
	v_and_b32_sdwa v6, sext(v2), s27 dst_sel:DWORD dst_unused:UNUSED_PAD src0_sel:BYTE_0 src1_sel:DWORD
	v_lshl_add_u32 v3, v3, 23, v7
	v_or3_b32 v4, v6, v3, v4
	buffer_store_dword v4, off, s[0:3], s32 offset:640 ; 4-byte Folded Spill
	s_nop 0
	buffer_store_dword v5, off, s[0:3], s32 offset:644 ; 4-byte Folded Spill
.LBB241_332:                            ;   in Loop: Header=BB241_13 Depth=1
	s_or_b64 exec, exec, s[40:41]
.LBB241_333:                            ;   in Loop: Header=BB241_13 Depth=1
	s_or_b64 exec, exec, s[38:39]
.LBB241_334:                            ;   in Loop: Header=BB241_13 Depth=1
	s_or_b64 exec, exec, s[36:37]
	v_cmp_ne_u16_sdwa vcc, v2, v5 src0_sel:BYTE_1 src1_sel:DWORD
	s_and_saveexec_b64 s[36:37], vcc
	s_cbranch_execz .LBB241_340
; %bb.335:                              ;   in Loop: Header=BB241_13 Depth=1
	v_cmp_ne_u16_sdwa vcc, v2, s43 src0_sel:BYTE_1 src1_sel:DWORD
	v_pk_mov_b32 v[6:7], s[26:27], s[26:27] op_sel:[0,1]
	buffer_store_dword v6, off, s[0:3], s32 offset:648 ; 4-byte Folded Spill
	s_nop 0
	buffer_store_dword v7, off, s[0:3], s32 offset:652 ; 4-byte Folded Spill
	s_and_saveexec_b64 s[38:39], vcc
	s_cbranch_execz .LBB241_339
; %bb.336:                              ;   in Loop: Header=BB241_13 Depth=1
	v_and_b32_sdwa v3, v2, s44 dst_sel:DWORD dst_unused:UNUSED_PAD src0_sel:BYTE_1 src1_sel:DWORD
	s_mov_b32 s34, s26
	v_cmp_ne_u32_e32 vcc, s44, v3
	v_pk_mov_b32 v[6:7], s[34:35], s[34:35] op_sel:[0,1]
	buffer_store_dword v6, off, s[0:3], s32 offset:648 ; 4-byte Folded Spill
	s_nop 0
	buffer_store_dword v7, off, s[0:3], s32 offset:652 ; 4-byte Folded Spill
	s_and_saveexec_b64 s[40:41], vcc
	s_cbranch_execz .LBB241_338
; %bb.337:                              ;   in Loop: Header=BB241_13 Depth=1
	v_mov_b32_e32 v4, 7
	v_and_b32_sdwa v4, v2, v4 dst_sel:DWORD dst_unused:UNUSED_PAD src0_sel:BYTE_1 src1_sel:DWORD
	v_lshrrev_b32_e32 v8, 3, v3
	v_cmp_gt_u32_e32 vcc, 8, v3
	v_ffbh_u32_e32 v3, v4
	v_min_u32_e32 v3, 32, v3
	v_subrev_u32_e32 v6, 28, v3
	v_lshlrev_b64 v[6:7], v6, v[4:5]
	v_sub_u32_e32 v3, 29, v3
	v_and_b32_e32 v6, 7, v6
	v_cndmask_b32_e32 v3, v8, v3, vcc
	v_cndmask_b32_e32 v4, v4, v6, vcc
	v_bfrev_b32_e32 v6, 60
	v_lshlrev_b32_e32 v2, 16, v2
	v_lshl_add_u32 v3, v3, 23, v6
	v_and_or_b32 v2, v2, s27, v3
	v_lshlrev_b32_e32 v3, 20, v4
	v_or_b32_e32 v3, v2, v3
	v_mov_b32_e32 v2, v5
	buffer_store_dword v2, off, s[0:3], s32 offset:648 ; 4-byte Folded Spill
	s_nop 0
	buffer_store_dword v3, off, s[0:3], s32 offset:652 ; 4-byte Folded Spill
.LBB241_338:                            ;   in Loop: Header=BB241_13 Depth=1
	s_or_b64 exec, exec, s[40:41]
.LBB241_339:                            ;   in Loop: Header=BB241_13 Depth=1
	s_or_b64 exec, exec, s[38:39]
.LBB241_340:                            ;   in Loop: Header=BB241_13 Depth=1
	s_or_b64 exec, exec, s[36:37]
	flat_load_ushort v1, v[0:1] offset:12
	v_pk_mov_b32 v[2:3], 0, 0
	buffer_store_dword v2, off, s[0:3], s32 offset:664 ; 4-byte Folded Spill
	s_nop 0
	buffer_store_dword v3, off, s[0:3], s32 offset:668 ; 4-byte Folded Spill
	buffer_store_dword v2, off, s[0:3], s32 offset:656 ; 4-byte Folded Spill
	s_nop 0
	buffer_store_dword v3, off, s[0:3], s32 offset:660 ; 4-byte Folded Spill
	s_waitcnt vmcnt(0) lgkmcnt(0)
	v_and_b32_e32 v0, 0xffff, v1
	v_cmp_ne_u16_sdwa vcc, v1, v5 src0_sel:BYTE_0 src1_sel:DWORD
	s_and_saveexec_b64 s[36:37], vcc
	s_cbranch_execz .LBB241_346
; %bb.341:                              ;   in Loop: Header=BB241_13 Depth=1
	v_bfrev_b32_e32 v2, 1
	v_cmp_ne_u16_sdwa vcc, v0, s43 src0_sel:BYTE_0 src1_sel:DWORD
	v_mov_b32_e32 v3, 0
	buffer_store_dword v2, off, s[0:3], s32 offset:656 ; 4-byte Folded Spill
	s_nop 0
	buffer_store_dword v3, off, s[0:3], s32 offset:660 ; 4-byte Folded Spill
	s_and_saveexec_b64 s[38:39], vcc
	s_cbranch_execz .LBB241_345
; %bb.342:                              ;   in Loop: Header=BB241_13 Depth=1
	v_and_b32_e32 v1, 0x7f, v0
	v_mov_b32_e32 v2, 0x7f800001
	v_cmp_ne_u32_e32 vcc, s44, v1
	v_mov_b32_e32 v3, 0
	buffer_store_dword v2, off, s[0:3], s32 offset:656 ; 4-byte Folded Spill
	s_nop 0
	buffer_store_dword v3, off, s[0:3], s32 offset:660 ; 4-byte Folded Spill
	s_and_saveexec_b64 s[40:41], vcc
	s_cbranch_execz .LBB241_344
; %bb.343:                              ;   in Loop: Header=BB241_13 Depth=1
	v_and_b32_e32 v4, 7, v0
	v_lshrrev_b32_e32 v6, 3, v1
	v_cmp_gt_u32_e32 vcc, 8, v1
	v_ffbh_u32_e32 v1, v4
	v_min_u32_e32 v1, 32, v1
	v_subrev_u32_e32 v2, 28, v1
	v_lshlrev_b64 v[2:3], v2, v[0:1]
	v_sub_u32_e32 v1, 29, v1
	v_and_b32_e32 v2, 7, v2
	v_cndmask_b32_e32 v1, v6, v1, vcc
	v_cndmask_b32_e32 v2, v4, v2, vcc
	v_bfrev_b32_e32 v4, 60
	v_lshlrev_b32_e32 v2, 20, v2
	v_and_b32_sdwa v3, sext(v0), s27 dst_sel:DWORD dst_unused:UNUSED_PAD src0_sel:BYTE_0 src1_sel:DWORD
	v_lshl_add_u32 v1, v1, 23, v4
	v_or3_b32 v4, v3, v1, v2
	buffer_store_dword v4, off, s[0:3], s32 offset:656 ; 4-byte Folded Spill
	s_nop 0
	buffer_store_dword v5, off, s[0:3], s32 offset:660 ; 4-byte Folded Spill
.LBB241_344:                            ;   in Loop: Header=BB241_13 Depth=1
	s_or_b64 exec, exec, s[40:41]
.LBB241_345:                            ;   in Loop: Header=BB241_13 Depth=1
	s_or_b64 exec, exec, s[38:39]
.LBB241_346:                            ;   in Loop: Header=BB241_13 Depth=1
	s_or_b64 exec, exec, s[36:37]
	v_cmp_ne_u16_sdwa vcc, v0, v5 src0_sel:BYTE_1 src1_sel:DWORD
	s_and_saveexec_b64 s[36:37], vcc
	s_cbranch_execz .LBB241_352
; %bb.347:                              ;   in Loop: Header=BB241_13 Depth=1
	v_cmp_ne_u16_sdwa vcc, v0, s43 src0_sel:BYTE_1 src1_sel:DWORD
	v_pk_mov_b32 v[2:3], s[26:27], s[26:27] op_sel:[0,1]
	buffer_store_dword v2, off, s[0:3], s32 offset:664 ; 4-byte Folded Spill
	s_nop 0
	buffer_store_dword v3, off, s[0:3], s32 offset:668 ; 4-byte Folded Spill
	s_and_saveexec_b64 s[38:39], vcc
	s_cbranch_execz .LBB241_351
; %bb.348:                              ;   in Loop: Header=BB241_13 Depth=1
	v_and_b32_sdwa v1, v0, s44 dst_sel:DWORD dst_unused:UNUSED_PAD src0_sel:BYTE_1 src1_sel:DWORD
	s_mov_b32 s34, s26
	v_cmp_ne_u32_e32 vcc, s44, v1
	v_pk_mov_b32 v[2:3], s[34:35], s[34:35] op_sel:[0,1]
	buffer_store_dword v2, off, s[0:3], s32 offset:664 ; 4-byte Folded Spill
	s_nop 0
	buffer_store_dword v3, off, s[0:3], s32 offset:668 ; 4-byte Folded Spill
	s_and_saveexec_b64 s[40:41], vcc
	s_cbranch_execz .LBB241_350
; %bb.349:                              ;   in Loop: Header=BB241_13 Depth=1
	v_mov_b32_e32 v2, 7
	v_and_b32_sdwa v4, v0, v2 dst_sel:DWORD dst_unused:UNUSED_PAD src0_sel:BYTE_1 src1_sel:DWORD
	v_lshrrev_b32_e32 v6, 3, v1
	v_cmp_gt_u32_e32 vcc, 8, v1
	v_ffbh_u32_e32 v1, v4
	v_min_u32_e32 v1, 32, v1
	v_subrev_u32_e32 v2, 28, v1
	v_lshlrev_b64 v[2:3], v2, v[4:5]
	v_sub_u32_e32 v1, 29, v1
	v_and_b32_e32 v2, 7, v2
	v_cndmask_b32_e32 v1, v6, v1, vcc
	v_bfrev_b32_e32 v3, 60
	v_cndmask_b32_e32 v2, v4, v2, vcc
	v_lshlrev_b32_e32 v0, 16, v0
	v_lshl_add_u32 v1, v1, 23, v3
	v_and_or_b32 v0, v0, s27, v1
	v_lshlrev_b32_e32 v1, 20, v2
	v_or_b32_e32 v1, v0, v1
	v_mov_b32_e32 v0, v5
	buffer_store_dword v0, off, s[0:3], s32 offset:664 ; 4-byte Folded Spill
	s_nop 0
	buffer_store_dword v1, off, s[0:3], s32 offset:668 ; 4-byte Folded Spill
.LBB241_350:                            ;   in Loop: Header=BB241_13 Depth=1
	s_or_b64 exec, exec, s[40:41]
.LBB241_351:                            ;   in Loop: Header=BB241_13 Depth=1
	s_or_b64 exec, exec, s[38:39]
.LBB241_352:                            ;   in Loop: Header=BB241_13 Depth=1
	s_or_b64 exec, exec, s[36:37]
	flat_load_ushort v1, v[18:19] offset:3584
	v_pk_mov_b32 v[2:3], 0, 0
	buffer_store_dword v2, off, s[0:3], s32 offset:680 ; 4-byte Folded Spill
	s_nop 0
	buffer_store_dword v3, off, s[0:3], s32 offset:684 ; 4-byte Folded Spill
	buffer_store_dword v2, off, s[0:3], s32 offset:672 ; 4-byte Folded Spill
	s_nop 0
	buffer_store_dword v3, off, s[0:3], s32 offset:676 ; 4-byte Folded Spill
	s_waitcnt vmcnt(0) lgkmcnt(0)
	v_and_b32_e32 v0, 0xffff, v1
	v_cmp_ne_u16_sdwa vcc, v1, v5 src0_sel:BYTE_0 src1_sel:DWORD
	s_and_saveexec_b64 s[36:37], vcc
	s_cbranch_execz .LBB241_358
; %bb.353:                              ;   in Loop: Header=BB241_13 Depth=1
	v_bfrev_b32_e32 v2, 1
	v_cmp_ne_u16_sdwa vcc, v0, s43 src0_sel:BYTE_0 src1_sel:DWORD
	v_mov_b32_e32 v3, 0
	buffer_store_dword v2, off, s[0:3], s32 offset:672 ; 4-byte Folded Spill
	s_nop 0
	buffer_store_dword v3, off, s[0:3], s32 offset:676 ; 4-byte Folded Spill
	s_and_saveexec_b64 s[38:39], vcc
	s_cbranch_execz .LBB241_357
; %bb.354:                              ;   in Loop: Header=BB241_13 Depth=1
	v_and_b32_e32 v1, 0x7f, v0
	v_mov_b32_e32 v2, 0x7f800001
	v_cmp_ne_u32_e32 vcc, s44, v1
	v_mov_b32_e32 v3, 0
	buffer_store_dword v2, off, s[0:3], s32 offset:672 ; 4-byte Folded Spill
	s_nop 0
	buffer_store_dword v3, off, s[0:3], s32 offset:676 ; 4-byte Folded Spill
	s_and_saveexec_b64 s[40:41], vcc
	s_cbranch_execz .LBB241_356
; %bb.355:                              ;   in Loop: Header=BB241_13 Depth=1
	v_and_b32_e32 v4, 7, v0
	v_lshrrev_b32_e32 v6, 3, v1
	v_cmp_gt_u32_e32 vcc, 8, v1
	v_ffbh_u32_e32 v1, v4
	v_min_u32_e32 v1, 32, v1
	v_subrev_u32_e32 v2, 28, v1
	v_lshlrev_b64 v[2:3], v2, v[0:1]
	v_sub_u32_e32 v1, 29, v1
	v_and_b32_e32 v2, 7, v2
	v_cndmask_b32_e32 v1, v6, v1, vcc
	v_cndmask_b32_e32 v2, v4, v2, vcc
	v_bfrev_b32_e32 v4, 60
	v_lshlrev_b32_e32 v2, 20, v2
	v_and_b32_sdwa v3, sext(v0), s27 dst_sel:DWORD dst_unused:UNUSED_PAD src0_sel:BYTE_0 src1_sel:DWORD
	v_lshl_add_u32 v1, v1, 23, v4
	v_or3_b32 v4, v3, v1, v2
	buffer_store_dword v4, off, s[0:3], s32 offset:672 ; 4-byte Folded Spill
	s_nop 0
	buffer_store_dword v5, off, s[0:3], s32 offset:676 ; 4-byte Folded Spill
.LBB241_356:                            ;   in Loop: Header=BB241_13 Depth=1
	s_or_b64 exec, exec, s[40:41]
.LBB241_357:                            ;   in Loop: Header=BB241_13 Depth=1
	s_or_b64 exec, exec, s[38:39]
.LBB241_358:                            ;   in Loop: Header=BB241_13 Depth=1
	s_or_b64 exec, exec, s[36:37]
	v_cmp_ne_u16_sdwa vcc, v0, v5 src0_sel:BYTE_1 src1_sel:DWORD
	s_and_saveexec_b64 s[36:37], vcc
	s_cbranch_execz .LBB241_364
; %bb.359:                              ;   in Loop: Header=BB241_13 Depth=1
	v_cmp_ne_u16_sdwa vcc, v0, s43 src0_sel:BYTE_1 src1_sel:DWORD
	v_pk_mov_b32 v[2:3], s[26:27], s[26:27] op_sel:[0,1]
	buffer_store_dword v2, off, s[0:3], s32 offset:680 ; 4-byte Folded Spill
	s_nop 0
	buffer_store_dword v3, off, s[0:3], s32 offset:684 ; 4-byte Folded Spill
	s_and_saveexec_b64 s[38:39], vcc
	s_cbranch_execz .LBB241_363
; %bb.360:                              ;   in Loop: Header=BB241_13 Depth=1
	v_and_b32_sdwa v1, v0, s44 dst_sel:DWORD dst_unused:UNUSED_PAD src0_sel:BYTE_1 src1_sel:DWORD
	s_mov_b32 s34, s26
	v_cmp_ne_u32_e32 vcc, s44, v1
	v_pk_mov_b32 v[2:3], s[34:35], s[34:35] op_sel:[0,1]
	buffer_store_dword v2, off, s[0:3], s32 offset:680 ; 4-byte Folded Spill
	s_nop 0
	buffer_store_dword v3, off, s[0:3], s32 offset:684 ; 4-byte Folded Spill
	s_and_saveexec_b64 s[40:41], vcc
	s_cbranch_execz .LBB241_362
; %bb.361:                              ;   in Loop: Header=BB241_13 Depth=1
	v_mov_b32_e32 v2, 7
	v_and_b32_sdwa v4, v0, v2 dst_sel:DWORD dst_unused:UNUSED_PAD src0_sel:BYTE_1 src1_sel:DWORD
	v_lshrrev_b32_e32 v6, 3, v1
	v_cmp_gt_u32_e32 vcc, 8, v1
	v_ffbh_u32_e32 v1, v4
	v_min_u32_e32 v1, 32, v1
	v_subrev_u32_e32 v2, 28, v1
	v_lshlrev_b64 v[2:3], v2, v[4:5]
	v_sub_u32_e32 v1, 29, v1
	v_and_b32_e32 v2, 7, v2
	v_cndmask_b32_e32 v1, v6, v1, vcc
	v_bfrev_b32_e32 v3, 60
	v_cndmask_b32_e32 v2, v4, v2, vcc
	v_lshlrev_b32_e32 v0, 16, v0
	v_lshl_add_u32 v1, v1, 23, v3
	v_and_or_b32 v0, v0, s27, v1
	v_lshlrev_b32_e32 v1, 20, v2
	v_or_b32_e32 v1, v0, v1
	v_mov_b32_e32 v0, v5
	buffer_store_dword v0, off, s[0:3], s32 offset:680 ; 4-byte Folded Spill
	s_nop 0
	buffer_store_dword v1, off, s[0:3], s32 offset:684 ; 4-byte Folded Spill
.LBB241_362:                            ;   in Loop: Header=BB241_13 Depth=1
	s_or_b64 exec, exec, s[40:41]
.LBB241_363:                            ;   in Loop: Header=BB241_13 Depth=1
	s_or_b64 exec, exec, s[38:39]
.LBB241_364:                            ;   in Loop: Header=BB241_13 Depth=1
	s_or_b64 exec, exec, s[36:37]
	flat_load_ushort v1, v[18:19] offset:3588
	v_pk_mov_b32 v[2:3], 0, 0
	buffer_store_dword v2, off, s[0:3], s32 offset:696 ; 4-byte Folded Spill
	s_nop 0
	buffer_store_dword v3, off, s[0:3], s32 offset:700 ; 4-byte Folded Spill
	buffer_store_dword v2, off, s[0:3], s32 offset:688 ; 4-byte Folded Spill
	s_nop 0
	buffer_store_dword v3, off, s[0:3], s32 offset:692 ; 4-byte Folded Spill
	s_waitcnt vmcnt(0) lgkmcnt(0)
	v_and_b32_e32 v0, 0xffff, v1
	v_cmp_ne_u16_sdwa vcc, v1, v5 src0_sel:BYTE_0 src1_sel:DWORD
	s_and_saveexec_b64 s[36:37], vcc
	s_cbranch_execz .LBB241_370
; %bb.365:                              ;   in Loop: Header=BB241_13 Depth=1
	v_bfrev_b32_e32 v2, 1
	v_cmp_ne_u16_sdwa vcc, v0, s43 src0_sel:BYTE_0 src1_sel:DWORD
	v_mov_b32_e32 v3, 0
	buffer_store_dword v2, off, s[0:3], s32 offset:688 ; 4-byte Folded Spill
	s_nop 0
	buffer_store_dword v3, off, s[0:3], s32 offset:692 ; 4-byte Folded Spill
	s_and_saveexec_b64 s[38:39], vcc
	s_cbranch_execz .LBB241_369
; %bb.366:                              ;   in Loop: Header=BB241_13 Depth=1
	v_and_b32_e32 v1, 0x7f, v0
	v_mov_b32_e32 v2, 0x7f800001
	v_cmp_ne_u32_e32 vcc, s44, v1
	v_mov_b32_e32 v3, 0
	buffer_store_dword v2, off, s[0:3], s32 offset:688 ; 4-byte Folded Spill
	s_nop 0
	buffer_store_dword v3, off, s[0:3], s32 offset:692 ; 4-byte Folded Spill
	s_and_saveexec_b64 s[40:41], vcc
	s_cbranch_execz .LBB241_368
; %bb.367:                              ;   in Loop: Header=BB241_13 Depth=1
	v_and_b32_e32 v4, 7, v0
	v_lshrrev_b32_e32 v6, 3, v1
	v_cmp_gt_u32_e32 vcc, 8, v1
	v_ffbh_u32_e32 v1, v4
	v_min_u32_e32 v1, 32, v1
	v_subrev_u32_e32 v2, 28, v1
	v_lshlrev_b64 v[2:3], v2, v[0:1]
	v_sub_u32_e32 v1, 29, v1
	v_and_b32_e32 v2, 7, v2
	v_cndmask_b32_e32 v1, v6, v1, vcc
	v_cndmask_b32_e32 v2, v4, v2, vcc
	v_bfrev_b32_e32 v4, 60
	v_lshlrev_b32_e32 v2, 20, v2
	v_and_b32_sdwa v3, sext(v0), s27 dst_sel:DWORD dst_unused:UNUSED_PAD src0_sel:BYTE_0 src1_sel:DWORD
	v_lshl_add_u32 v1, v1, 23, v4
	v_or3_b32 v4, v3, v1, v2
	buffer_store_dword v4, off, s[0:3], s32 offset:688 ; 4-byte Folded Spill
	s_nop 0
	buffer_store_dword v5, off, s[0:3], s32 offset:692 ; 4-byte Folded Spill
.LBB241_368:                            ;   in Loop: Header=BB241_13 Depth=1
	s_or_b64 exec, exec, s[40:41]
.LBB241_369:                            ;   in Loop: Header=BB241_13 Depth=1
	s_or_b64 exec, exec, s[38:39]
.LBB241_370:                            ;   in Loop: Header=BB241_13 Depth=1
	s_or_b64 exec, exec, s[36:37]
	v_cmp_ne_u16_sdwa vcc, v0, v5 src0_sel:BYTE_1 src1_sel:DWORD
	s_and_saveexec_b64 s[36:37], vcc
	s_cbranch_execz .LBB241_376
; %bb.371:                              ;   in Loop: Header=BB241_13 Depth=1
	v_cmp_ne_u16_sdwa vcc, v0, s43 src0_sel:BYTE_1 src1_sel:DWORD
	v_pk_mov_b32 v[2:3], s[26:27], s[26:27] op_sel:[0,1]
	buffer_store_dword v2, off, s[0:3], s32 offset:696 ; 4-byte Folded Spill
	s_nop 0
	buffer_store_dword v3, off, s[0:3], s32 offset:700 ; 4-byte Folded Spill
	s_and_saveexec_b64 s[38:39], vcc
	s_cbranch_execz .LBB241_375
; %bb.372:                              ;   in Loop: Header=BB241_13 Depth=1
	v_and_b32_sdwa v1, v0, s44 dst_sel:DWORD dst_unused:UNUSED_PAD src0_sel:BYTE_1 src1_sel:DWORD
	s_mov_b32 s34, s26
	v_cmp_ne_u32_e32 vcc, s44, v1
	v_pk_mov_b32 v[2:3], s[34:35], s[34:35] op_sel:[0,1]
	buffer_store_dword v2, off, s[0:3], s32 offset:696 ; 4-byte Folded Spill
	s_nop 0
	buffer_store_dword v3, off, s[0:3], s32 offset:700 ; 4-byte Folded Spill
	s_and_saveexec_b64 s[40:41], vcc
	s_cbranch_execz .LBB241_374
; %bb.373:                              ;   in Loop: Header=BB241_13 Depth=1
	v_mov_b32_e32 v2, 7
	v_and_b32_sdwa v4, v0, v2 dst_sel:DWORD dst_unused:UNUSED_PAD src0_sel:BYTE_1 src1_sel:DWORD
	v_lshrrev_b32_e32 v6, 3, v1
	v_cmp_gt_u32_e32 vcc, 8, v1
	v_ffbh_u32_e32 v1, v4
	v_min_u32_e32 v1, 32, v1
	v_subrev_u32_e32 v2, 28, v1
	v_lshlrev_b64 v[2:3], v2, v[4:5]
	v_sub_u32_e32 v1, 29, v1
	v_and_b32_e32 v2, 7, v2
	v_cndmask_b32_e32 v1, v6, v1, vcc
	v_bfrev_b32_e32 v3, 60
	v_cndmask_b32_e32 v2, v4, v2, vcc
	v_lshlrev_b32_e32 v0, 16, v0
	v_lshl_add_u32 v1, v1, 23, v3
	v_and_or_b32 v0, v0, s27, v1
	v_lshlrev_b32_e32 v1, 20, v2
	v_or_b32_e32 v1, v0, v1
	v_mov_b32_e32 v0, v5
	buffer_store_dword v0, off, s[0:3], s32 offset:696 ; 4-byte Folded Spill
	s_nop 0
	buffer_store_dword v1, off, s[0:3], s32 offset:700 ; 4-byte Folded Spill
.LBB241_374:                            ;   in Loop: Header=BB241_13 Depth=1
	s_or_b64 exec, exec, s[40:41]
.LBB241_375:                            ;   in Loop: Header=BB241_13 Depth=1
	s_or_b64 exec, exec, s[38:39]
.LBB241_376:                            ;   in Loop: Header=BB241_13 Depth=1
	s_or_b64 exec, exec, s[36:37]
	v_add_co_u32_e32 v0, vcc, 0xe00, v18
	v_addc_co_u32_e32 v1, vcc, 0, v19, vcc
	flat_load_ushort v3, v[0:1] offset:8
	v_pk_mov_b32 v[6:7], 0, 0
	buffer_store_dword v6, off, s[0:3], s32 offset:712 ; 4-byte Folded Spill
	s_nop 0
	buffer_store_dword v7, off, s[0:3], s32 offset:716 ; 4-byte Folded Spill
	buffer_store_dword v6, off, s[0:3], s32 offset:704 ; 4-byte Folded Spill
	s_nop 0
	buffer_store_dword v7, off, s[0:3], s32 offset:708 ; 4-byte Folded Spill
	s_waitcnt vmcnt(0) lgkmcnt(0)
	v_and_b32_e32 v2, 0xffff, v3
	v_cmp_ne_u16_sdwa vcc, v3, v5 src0_sel:BYTE_0 src1_sel:DWORD
	s_and_saveexec_b64 s[36:37], vcc
	s_cbranch_execz .LBB241_382
; %bb.377:                              ;   in Loop: Header=BB241_13 Depth=1
	v_bfrev_b32_e32 v6, 1
	v_cmp_ne_u16_sdwa vcc, v2, s43 src0_sel:BYTE_0 src1_sel:DWORD
	v_mov_b32_e32 v7, 0
	buffer_store_dword v6, off, s[0:3], s32 offset:704 ; 4-byte Folded Spill
	s_nop 0
	buffer_store_dword v7, off, s[0:3], s32 offset:708 ; 4-byte Folded Spill
	s_and_saveexec_b64 s[38:39], vcc
	s_cbranch_execz .LBB241_381
; %bb.378:                              ;   in Loop: Header=BB241_13 Depth=1
	v_and_b32_e32 v3, 0x7f, v2
	v_mov_b32_e32 v6, 0x7f800001
	v_cmp_ne_u32_e32 vcc, s44, v3
	v_mov_b32_e32 v7, 0
	buffer_store_dword v6, off, s[0:3], s32 offset:704 ; 4-byte Folded Spill
	s_nop 0
	buffer_store_dword v7, off, s[0:3], s32 offset:708 ; 4-byte Folded Spill
	s_and_saveexec_b64 s[40:41], vcc
	s_cbranch_execz .LBB241_380
; %bb.379:                              ;   in Loop: Header=BB241_13 Depth=1
	v_and_b32_e32 v4, 7, v2
	v_lshrrev_b32_e32 v8, 3, v3
	v_cmp_gt_u32_e32 vcc, 8, v3
	v_ffbh_u32_e32 v3, v4
	v_min_u32_e32 v3, 32, v3
	v_subrev_u32_e32 v6, 28, v3
	v_lshlrev_b64 v[6:7], v6, v[2:3]
	v_sub_u32_e32 v3, 29, v3
	v_and_b32_e32 v6, 7, v6
	v_cndmask_b32_e32 v3, v8, v3, vcc
	v_cndmask_b32_e32 v4, v4, v6, vcc
	v_bfrev_b32_e32 v7, 60
	v_lshlrev_b32_e32 v4, 20, v4
	v_and_b32_sdwa v6, sext(v2), s27 dst_sel:DWORD dst_unused:UNUSED_PAD src0_sel:BYTE_0 src1_sel:DWORD
	v_lshl_add_u32 v3, v3, 23, v7
	v_or3_b32 v4, v6, v3, v4
	buffer_store_dword v4, off, s[0:3], s32 offset:704 ; 4-byte Folded Spill
	s_nop 0
	buffer_store_dword v5, off, s[0:3], s32 offset:708 ; 4-byte Folded Spill
.LBB241_380:                            ;   in Loop: Header=BB241_13 Depth=1
	s_or_b64 exec, exec, s[40:41]
.LBB241_381:                            ;   in Loop: Header=BB241_13 Depth=1
	s_or_b64 exec, exec, s[38:39]
.LBB241_382:                            ;   in Loop: Header=BB241_13 Depth=1
	s_or_b64 exec, exec, s[36:37]
	v_cmp_ne_u16_sdwa vcc, v2, v5 src0_sel:BYTE_1 src1_sel:DWORD
	s_and_saveexec_b64 s[36:37], vcc
	s_cbranch_execz .LBB241_388
; %bb.383:                              ;   in Loop: Header=BB241_13 Depth=1
	v_cmp_ne_u16_sdwa vcc, v2, s43 src0_sel:BYTE_1 src1_sel:DWORD
	v_pk_mov_b32 v[6:7], s[26:27], s[26:27] op_sel:[0,1]
	buffer_store_dword v6, off, s[0:3], s32 offset:712 ; 4-byte Folded Spill
	s_nop 0
	buffer_store_dword v7, off, s[0:3], s32 offset:716 ; 4-byte Folded Spill
	s_and_saveexec_b64 s[38:39], vcc
	s_cbranch_execz .LBB241_387
; %bb.384:                              ;   in Loop: Header=BB241_13 Depth=1
	v_and_b32_sdwa v3, v2, s44 dst_sel:DWORD dst_unused:UNUSED_PAD src0_sel:BYTE_1 src1_sel:DWORD
	s_mov_b32 s34, s26
	v_cmp_ne_u32_e32 vcc, s44, v3
	v_pk_mov_b32 v[6:7], s[34:35], s[34:35] op_sel:[0,1]
	buffer_store_dword v6, off, s[0:3], s32 offset:712 ; 4-byte Folded Spill
	s_nop 0
	buffer_store_dword v7, off, s[0:3], s32 offset:716 ; 4-byte Folded Spill
	s_and_saveexec_b64 s[40:41], vcc
	s_cbranch_execz .LBB241_386
; %bb.385:                              ;   in Loop: Header=BB241_13 Depth=1
	v_mov_b32_e32 v4, 7
	v_and_b32_sdwa v4, v2, v4 dst_sel:DWORD dst_unused:UNUSED_PAD src0_sel:BYTE_1 src1_sel:DWORD
	v_lshrrev_b32_e32 v8, 3, v3
	v_cmp_gt_u32_e32 vcc, 8, v3
	v_ffbh_u32_e32 v3, v4
	v_min_u32_e32 v3, 32, v3
	v_subrev_u32_e32 v6, 28, v3
	v_lshlrev_b64 v[6:7], v6, v[4:5]
	v_sub_u32_e32 v3, 29, v3
	v_and_b32_e32 v6, 7, v6
	v_cndmask_b32_e32 v3, v8, v3, vcc
	v_cndmask_b32_e32 v4, v4, v6, vcc
	v_bfrev_b32_e32 v6, 60
	v_lshlrev_b32_e32 v2, 16, v2
	v_lshl_add_u32 v3, v3, 23, v6
	v_and_or_b32 v2, v2, s27, v3
	v_lshlrev_b32_e32 v3, 20, v4
	v_or_b32_e32 v3, v2, v3
	v_mov_b32_e32 v2, v5
	buffer_store_dword v2, off, s[0:3], s32 offset:712 ; 4-byte Folded Spill
	s_nop 0
	buffer_store_dword v3, off, s[0:3], s32 offset:716 ; 4-byte Folded Spill
.LBB241_386:                            ;   in Loop: Header=BB241_13 Depth=1
	s_or_b64 exec, exec, s[40:41]
.LBB241_387:                            ;   in Loop: Header=BB241_13 Depth=1
	s_or_b64 exec, exec, s[38:39]
.LBB241_388:                            ;   in Loop: Header=BB241_13 Depth=1
	s_or_b64 exec, exec, s[36:37]
	flat_load_ushort v1, v[0:1] offset:12
	v_pk_mov_b32 v[2:3], 0, 0
	buffer_store_dword v2, off, s[0:3], s32 offset:728 ; 4-byte Folded Spill
	s_nop 0
	buffer_store_dword v3, off, s[0:3], s32 offset:732 ; 4-byte Folded Spill
	buffer_store_dword v2, off, s[0:3], s32 offset:720 ; 4-byte Folded Spill
	s_nop 0
	buffer_store_dword v3, off, s[0:3], s32 offset:724 ; 4-byte Folded Spill
	s_waitcnt vmcnt(0) lgkmcnt(0)
	v_and_b32_e32 v0, 0xffff, v1
	v_cmp_ne_u16_sdwa vcc, v1, v5 src0_sel:BYTE_0 src1_sel:DWORD
	s_and_saveexec_b64 s[36:37], vcc
	s_cbranch_execz .LBB241_394
; %bb.389:                              ;   in Loop: Header=BB241_13 Depth=1
	v_bfrev_b32_e32 v2, 1
	v_cmp_ne_u16_sdwa vcc, v0, s43 src0_sel:BYTE_0 src1_sel:DWORD
	v_mov_b32_e32 v3, 0
	buffer_store_dword v2, off, s[0:3], s32 offset:720 ; 4-byte Folded Spill
	s_nop 0
	buffer_store_dword v3, off, s[0:3], s32 offset:724 ; 4-byte Folded Spill
	s_and_saveexec_b64 s[38:39], vcc
	s_cbranch_execz .LBB241_393
; %bb.390:                              ;   in Loop: Header=BB241_13 Depth=1
	v_and_b32_e32 v1, 0x7f, v0
	v_mov_b32_e32 v2, 0x7f800001
	v_cmp_ne_u32_e32 vcc, s44, v1
	v_mov_b32_e32 v3, 0
	buffer_store_dword v2, off, s[0:3], s32 offset:720 ; 4-byte Folded Spill
	s_nop 0
	buffer_store_dword v3, off, s[0:3], s32 offset:724 ; 4-byte Folded Spill
	s_and_saveexec_b64 s[40:41], vcc
	s_cbranch_execz .LBB241_392
; %bb.391:                              ;   in Loop: Header=BB241_13 Depth=1
	v_and_b32_e32 v4, 7, v0
	v_lshrrev_b32_e32 v6, 3, v1
	v_cmp_gt_u32_e32 vcc, 8, v1
	v_ffbh_u32_e32 v1, v4
	v_min_u32_e32 v1, 32, v1
	v_subrev_u32_e32 v2, 28, v1
	v_lshlrev_b64 v[2:3], v2, v[0:1]
	v_sub_u32_e32 v1, 29, v1
	v_and_b32_e32 v2, 7, v2
	v_cndmask_b32_e32 v1, v6, v1, vcc
	v_cndmask_b32_e32 v2, v4, v2, vcc
	v_bfrev_b32_e32 v4, 60
	v_lshlrev_b32_e32 v2, 20, v2
	v_and_b32_sdwa v3, sext(v0), s27 dst_sel:DWORD dst_unused:UNUSED_PAD src0_sel:BYTE_0 src1_sel:DWORD
	v_lshl_add_u32 v1, v1, 23, v4
	v_or3_b32 v4, v3, v1, v2
	buffer_store_dword v4, off, s[0:3], s32 offset:720 ; 4-byte Folded Spill
	s_nop 0
	buffer_store_dword v5, off, s[0:3], s32 offset:724 ; 4-byte Folded Spill
.LBB241_392:                            ;   in Loop: Header=BB241_13 Depth=1
	s_or_b64 exec, exec, s[40:41]
.LBB241_393:                            ;   in Loop: Header=BB241_13 Depth=1
	s_or_b64 exec, exec, s[38:39]
.LBB241_394:                            ;   in Loop: Header=BB241_13 Depth=1
	s_or_b64 exec, exec, s[36:37]
	v_cmp_ne_u16_sdwa vcc, v0, v5 src0_sel:BYTE_1 src1_sel:DWORD
	s_and_saveexec_b64 s[36:37], vcc
	s_cbranch_execz .LBB241_400
; %bb.395:                              ;   in Loop: Header=BB241_13 Depth=1
	v_cmp_ne_u16_sdwa vcc, v0, s43 src0_sel:BYTE_1 src1_sel:DWORD
	v_pk_mov_b32 v[2:3], s[26:27], s[26:27] op_sel:[0,1]
	buffer_store_dword v2, off, s[0:3], s32 offset:728 ; 4-byte Folded Spill
	s_nop 0
	buffer_store_dword v3, off, s[0:3], s32 offset:732 ; 4-byte Folded Spill
	s_and_saveexec_b64 s[38:39], vcc
	s_cbranch_execz .LBB241_399
; %bb.396:                              ;   in Loop: Header=BB241_13 Depth=1
	v_and_b32_sdwa v1, v0, s44 dst_sel:DWORD dst_unused:UNUSED_PAD src0_sel:BYTE_1 src1_sel:DWORD
	s_mov_b32 s34, s26
	v_cmp_ne_u32_e32 vcc, s44, v1
	v_pk_mov_b32 v[2:3], s[34:35], s[34:35] op_sel:[0,1]
	buffer_store_dword v2, off, s[0:3], s32 offset:728 ; 4-byte Folded Spill
	s_nop 0
	buffer_store_dword v3, off, s[0:3], s32 offset:732 ; 4-byte Folded Spill
	s_and_saveexec_b64 s[40:41], vcc
	s_cbranch_execz .LBB241_398
; %bb.397:                              ;   in Loop: Header=BB241_13 Depth=1
	v_mov_b32_e32 v2, 7
	v_and_b32_sdwa v4, v0, v2 dst_sel:DWORD dst_unused:UNUSED_PAD src0_sel:BYTE_1 src1_sel:DWORD
	v_lshrrev_b32_e32 v6, 3, v1
	v_cmp_gt_u32_e32 vcc, 8, v1
	v_ffbh_u32_e32 v1, v4
	v_min_u32_e32 v1, 32, v1
	v_subrev_u32_e32 v2, 28, v1
	v_lshlrev_b64 v[2:3], v2, v[4:5]
	v_sub_u32_e32 v1, 29, v1
	v_and_b32_e32 v2, 7, v2
	v_cndmask_b32_e32 v1, v6, v1, vcc
	v_bfrev_b32_e32 v3, 60
	v_cndmask_b32_e32 v2, v4, v2, vcc
	v_lshlrev_b32_e32 v0, 16, v0
	v_lshl_add_u32 v1, v1, 23, v3
	v_and_or_b32 v0, v0, s27, v1
	v_lshlrev_b32_e32 v1, 20, v2
	v_or_b32_e32 v1, v0, v1
	v_mov_b32_e32 v0, v5
	buffer_store_dword v0, off, s[0:3], s32 offset:728 ; 4-byte Folded Spill
	s_nop 0
	buffer_store_dword v1, off, s[0:3], s32 offset:732 ; 4-byte Folded Spill
.LBB241_398:                            ;   in Loop: Header=BB241_13 Depth=1
	s_or_b64 exec, exec, s[40:41]
.LBB241_399:                            ;   in Loop: Header=BB241_13 Depth=1
	s_or_b64 exec, exec, s[38:39]
.LBB241_400:                            ;   in Loop: Header=BB241_13 Depth=1
	s_or_b64 exec, exec, s[36:37]
	v_add_co_u32_e32 v0, vcc, 0x1000, v18
	v_addc_co_u32_e32 v1, vcc, 0, v19, vcc
	flat_load_ushort v1, v[0:1]
	v_pk_mov_b32 v[2:3], 0, 0
	buffer_store_dword v2, off, s[0:3], s32 offset:744 ; 4-byte Folded Spill
	s_nop 0
	buffer_store_dword v3, off, s[0:3], s32 offset:748 ; 4-byte Folded Spill
	buffer_store_dword v2, off, s[0:3], s32 offset:736 ; 4-byte Folded Spill
	s_nop 0
	buffer_store_dword v3, off, s[0:3], s32 offset:740 ; 4-byte Folded Spill
	s_waitcnt vmcnt(0) lgkmcnt(0)
	v_and_b32_e32 v0, 0xffff, v1
	v_cmp_ne_u16_sdwa vcc, v1, v5 src0_sel:BYTE_0 src1_sel:DWORD
	s_and_saveexec_b64 s[36:37], vcc
	s_cbranch_execz .LBB241_406
; %bb.401:                              ;   in Loop: Header=BB241_13 Depth=1
	v_bfrev_b32_e32 v2, 1
	v_cmp_ne_u16_sdwa vcc, v0, s43 src0_sel:BYTE_0 src1_sel:DWORD
	v_mov_b32_e32 v3, 0
	buffer_store_dword v2, off, s[0:3], s32 offset:736 ; 4-byte Folded Spill
	s_nop 0
	buffer_store_dword v3, off, s[0:3], s32 offset:740 ; 4-byte Folded Spill
	s_and_saveexec_b64 s[38:39], vcc
	s_cbranch_execz .LBB241_405
; %bb.402:                              ;   in Loop: Header=BB241_13 Depth=1
	v_and_b32_e32 v1, 0x7f, v0
	v_mov_b32_e32 v2, 0x7f800001
	v_cmp_ne_u32_e32 vcc, s44, v1
	v_mov_b32_e32 v3, 0
	buffer_store_dword v2, off, s[0:3], s32 offset:736 ; 4-byte Folded Spill
	s_nop 0
	buffer_store_dword v3, off, s[0:3], s32 offset:740 ; 4-byte Folded Spill
	s_and_saveexec_b64 s[40:41], vcc
	s_cbranch_execz .LBB241_404
; %bb.403:                              ;   in Loop: Header=BB241_13 Depth=1
	v_and_b32_e32 v4, 7, v0
	v_lshrrev_b32_e32 v6, 3, v1
	v_cmp_gt_u32_e32 vcc, 8, v1
	v_ffbh_u32_e32 v1, v4
	v_min_u32_e32 v1, 32, v1
	v_subrev_u32_e32 v2, 28, v1
	v_lshlrev_b64 v[2:3], v2, v[0:1]
	v_sub_u32_e32 v1, 29, v1
	v_and_b32_e32 v2, 7, v2
	v_cndmask_b32_e32 v1, v6, v1, vcc
	v_cndmask_b32_e32 v2, v4, v2, vcc
	v_bfrev_b32_e32 v4, 60
	v_lshlrev_b32_e32 v2, 20, v2
	v_and_b32_sdwa v3, sext(v0), s27 dst_sel:DWORD dst_unused:UNUSED_PAD src0_sel:BYTE_0 src1_sel:DWORD
	v_lshl_add_u32 v1, v1, 23, v4
	v_or3_b32 v4, v3, v1, v2
	buffer_store_dword v4, off, s[0:3], s32 offset:736 ; 4-byte Folded Spill
	s_nop 0
	buffer_store_dword v5, off, s[0:3], s32 offset:740 ; 4-byte Folded Spill
.LBB241_404:                            ;   in Loop: Header=BB241_13 Depth=1
	s_or_b64 exec, exec, s[40:41]
.LBB241_405:                            ;   in Loop: Header=BB241_13 Depth=1
	s_or_b64 exec, exec, s[38:39]
.LBB241_406:                            ;   in Loop: Header=BB241_13 Depth=1
	s_or_b64 exec, exec, s[36:37]
	v_cmp_ne_u16_sdwa vcc, v0, v5 src0_sel:BYTE_1 src1_sel:DWORD
	s_and_saveexec_b64 s[36:37], vcc
	s_cbranch_execz .LBB241_412
; %bb.407:                              ;   in Loop: Header=BB241_13 Depth=1
	v_cmp_ne_u16_sdwa vcc, v0, s43 src0_sel:BYTE_1 src1_sel:DWORD
	v_pk_mov_b32 v[2:3], s[26:27], s[26:27] op_sel:[0,1]
	buffer_store_dword v2, off, s[0:3], s32 offset:744 ; 4-byte Folded Spill
	s_nop 0
	buffer_store_dword v3, off, s[0:3], s32 offset:748 ; 4-byte Folded Spill
	s_and_saveexec_b64 s[38:39], vcc
	s_cbranch_execz .LBB241_411
; %bb.408:                              ;   in Loop: Header=BB241_13 Depth=1
	v_and_b32_sdwa v1, v0, s44 dst_sel:DWORD dst_unused:UNUSED_PAD src0_sel:BYTE_1 src1_sel:DWORD
	s_mov_b32 s34, s26
	v_cmp_ne_u32_e32 vcc, s44, v1
	v_pk_mov_b32 v[2:3], s[34:35], s[34:35] op_sel:[0,1]
	buffer_store_dword v2, off, s[0:3], s32 offset:744 ; 4-byte Folded Spill
	s_nop 0
	buffer_store_dword v3, off, s[0:3], s32 offset:748 ; 4-byte Folded Spill
	s_and_saveexec_b64 s[40:41], vcc
	s_cbranch_execz .LBB241_410
; %bb.409:                              ;   in Loop: Header=BB241_13 Depth=1
	v_mov_b32_e32 v2, 7
	v_and_b32_sdwa v4, v0, v2 dst_sel:DWORD dst_unused:UNUSED_PAD src0_sel:BYTE_1 src1_sel:DWORD
	v_lshrrev_b32_e32 v6, 3, v1
	v_cmp_gt_u32_e32 vcc, 8, v1
	v_ffbh_u32_e32 v1, v4
	v_min_u32_e32 v1, 32, v1
	v_subrev_u32_e32 v2, 28, v1
	v_lshlrev_b64 v[2:3], v2, v[4:5]
	v_sub_u32_e32 v1, 29, v1
	v_and_b32_e32 v2, 7, v2
	v_cndmask_b32_e32 v1, v6, v1, vcc
	v_bfrev_b32_e32 v3, 60
	v_cndmask_b32_e32 v2, v4, v2, vcc
	v_lshlrev_b32_e32 v0, 16, v0
	v_lshl_add_u32 v1, v1, 23, v3
	v_and_or_b32 v0, v0, s27, v1
	v_lshlrev_b32_e32 v1, 20, v2
	v_or_b32_e32 v1, v0, v1
	v_mov_b32_e32 v0, v5
	buffer_store_dword v0, off, s[0:3], s32 offset:744 ; 4-byte Folded Spill
	s_nop 0
	buffer_store_dword v1, off, s[0:3], s32 offset:748 ; 4-byte Folded Spill
.LBB241_410:                            ;   in Loop: Header=BB241_13 Depth=1
	s_or_b64 exec, exec, s[40:41]
.LBB241_411:                            ;   in Loop: Header=BB241_13 Depth=1
	s_or_b64 exec, exec, s[38:39]
.LBB241_412:                            ;   in Loop: Header=BB241_13 Depth=1
	s_or_b64 exec, exec, s[36:37]
	v_add_co_u32_e32 v0, vcc, 0x1000, v18
	v_addc_co_u32_e32 v1, vcc, 0, v19, vcc
	flat_load_ushort v3, v[0:1] offset:4
	v_pk_mov_b32 v[6:7], 0, 0
	buffer_store_dword v6, off, s[0:3], s32 offset:760 ; 4-byte Folded Spill
	s_nop 0
	buffer_store_dword v7, off, s[0:3], s32 offset:764 ; 4-byte Folded Spill
	buffer_store_dword v6, off, s[0:3], s32 offset:752 ; 4-byte Folded Spill
	s_nop 0
	buffer_store_dword v7, off, s[0:3], s32 offset:756 ; 4-byte Folded Spill
	s_waitcnt vmcnt(0) lgkmcnt(0)
	v_and_b32_e32 v2, 0xffff, v3
	v_cmp_ne_u16_sdwa vcc, v3, v5 src0_sel:BYTE_0 src1_sel:DWORD
	s_and_saveexec_b64 s[36:37], vcc
	s_cbranch_execz .LBB241_418
; %bb.413:                              ;   in Loop: Header=BB241_13 Depth=1
	v_bfrev_b32_e32 v6, 1
	v_cmp_ne_u16_sdwa vcc, v2, s43 src0_sel:BYTE_0 src1_sel:DWORD
	v_mov_b32_e32 v7, 0
	buffer_store_dword v6, off, s[0:3], s32 offset:752 ; 4-byte Folded Spill
	s_nop 0
	buffer_store_dword v7, off, s[0:3], s32 offset:756 ; 4-byte Folded Spill
	s_and_saveexec_b64 s[38:39], vcc
	s_cbranch_execz .LBB241_417
; %bb.414:                              ;   in Loop: Header=BB241_13 Depth=1
	v_and_b32_e32 v3, 0x7f, v2
	v_mov_b32_e32 v6, 0x7f800001
	v_cmp_ne_u32_e32 vcc, s44, v3
	v_mov_b32_e32 v7, 0
	buffer_store_dword v6, off, s[0:3], s32 offset:752 ; 4-byte Folded Spill
	s_nop 0
	buffer_store_dword v7, off, s[0:3], s32 offset:756 ; 4-byte Folded Spill
	s_and_saveexec_b64 s[40:41], vcc
	s_cbranch_execz .LBB241_416
; %bb.415:                              ;   in Loop: Header=BB241_13 Depth=1
	v_and_b32_e32 v4, 7, v2
	v_lshrrev_b32_e32 v8, 3, v3
	v_cmp_gt_u32_e32 vcc, 8, v3
	v_ffbh_u32_e32 v3, v4
	v_min_u32_e32 v3, 32, v3
	v_subrev_u32_e32 v6, 28, v3
	v_lshlrev_b64 v[6:7], v6, v[2:3]
	v_sub_u32_e32 v3, 29, v3
	v_and_b32_e32 v6, 7, v6
	v_cndmask_b32_e32 v3, v8, v3, vcc
	v_cndmask_b32_e32 v4, v4, v6, vcc
	v_bfrev_b32_e32 v7, 60
	v_lshlrev_b32_e32 v4, 20, v4
	v_and_b32_sdwa v6, sext(v2), s27 dst_sel:DWORD dst_unused:UNUSED_PAD src0_sel:BYTE_0 src1_sel:DWORD
	v_lshl_add_u32 v3, v3, 23, v7
	v_or3_b32 v4, v6, v3, v4
	buffer_store_dword v4, off, s[0:3], s32 offset:752 ; 4-byte Folded Spill
	s_nop 0
	buffer_store_dword v5, off, s[0:3], s32 offset:756 ; 4-byte Folded Spill
.LBB241_416:                            ;   in Loop: Header=BB241_13 Depth=1
	s_or_b64 exec, exec, s[40:41]
.LBB241_417:                            ;   in Loop: Header=BB241_13 Depth=1
	s_or_b64 exec, exec, s[38:39]
.LBB241_418:                            ;   in Loop: Header=BB241_13 Depth=1
	s_or_b64 exec, exec, s[36:37]
	v_cmp_ne_u16_sdwa vcc, v2, v5 src0_sel:BYTE_1 src1_sel:DWORD
	s_and_saveexec_b64 s[36:37], vcc
	s_cbranch_execz .LBB241_424
; %bb.419:                              ;   in Loop: Header=BB241_13 Depth=1
	v_cmp_ne_u16_sdwa vcc, v2, s43 src0_sel:BYTE_1 src1_sel:DWORD
	v_pk_mov_b32 v[6:7], s[26:27], s[26:27] op_sel:[0,1]
	buffer_store_dword v6, off, s[0:3], s32 offset:760 ; 4-byte Folded Spill
	s_nop 0
	buffer_store_dword v7, off, s[0:3], s32 offset:764 ; 4-byte Folded Spill
	s_and_saveexec_b64 s[38:39], vcc
	s_cbranch_execz .LBB241_423
; %bb.420:                              ;   in Loop: Header=BB241_13 Depth=1
	v_and_b32_sdwa v3, v2, s44 dst_sel:DWORD dst_unused:UNUSED_PAD src0_sel:BYTE_1 src1_sel:DWORD
	s_mov_b32 s34, s26
	v_cmp_ne_u32_e32 vcc, s44, v3
	v_pk_mov_b32 v[6:7], s[34:35], s[34:35] op_sel:[0,1]
	buffer_store_dword v6, off, s[0:3], s32 offset:760 ; 4-byte Folded Spill
	s_nop 0
	buffer_store_dword v7, off, s[0:3], s32 offset:764 ; 4-byte Folded Spill
	s_and_saveexec_b64 s[40:41], vcc
	s_cbranch_execz .LBB241_422
; %bb.421:                              ;   in Loop: Header=BB241_13 Depth=1
	v_mov_b32_e32 v4, 7
	v_and_b32_sdwa v4, v2, v4 dst_sel:DWORD dst_unused:UNUSED_PAD src0_sel:BYTE_1 src1_sel:DWORD
	v_lshrrev_b32_e32 v8, 3, v3
	v_cmp_gt_u32_e32 vcc, 8, v3
	v_ffbh_u32_e32 v3, v4
	v_min_u32_e32 v3, 32, v3
	v_subrev_u32_e32 v6, 28, v3
	v_lshlrev_b64 v[6:7], v6, v[4:5]
	v_sub_u32_e32 v3, 29, v3
	v_and_b32_e32 v6, 7, v6
	v_cndmask_b32_e32 v3, v8, v3, vcc
	v_cndmask_b32_e32 v4, v4, v6, vcc
	v_bfrev_b32_e32 v6, 60
	v_lshlrev_b32_e32 v2, 16, v2
	v_lshl_add_u32 v3, v3, 23, v6
	v_and_or_b32 v2, v2, s27, v3
	v_lshlrev_b32_e32 v3, 20, v4
	v_or_b32_e32 v3, v2, v3
	v_mov_b32_e32 v2, v5
	buffer_store_dword v2, off, s[0:3], s32 offset:760 ; 4-byte Folded Spill
	s_nop 0
	buffer_store_dword v3, off, s[0:3], s32 offset:764 ; 4-byte Folded Spill
.LBB241_422:                            ;   in Loop: Header=BB241_13 Depth=1
	s_or_b64 exec, exec, s[40:41]
.LBB241_423:                            ;   in Loop: Header=BB241_13 Depth=1
	s_or_b64 exec, exec, s[38:39]
.LBB241_424:                            ;   in Loop: Header=BB241_13 Depth=1
	s_or_b64 exec, exec, s[36:37]
	flat_load_ushort v3, v[0:1] offset:8
	v_pk_mov_b32 v[6:7], 0, 0
	buffer_store_dword v6, off, s[0:3], s32 offset:776 ; 4-byte Folded Spill
	s_nop 0
	buffer_store_dword v7, off, s[0:3], s32 offset:780 ; 4-byte Folded Spill
	buffer_store_dword v6, off, s[0:3], s32 offset:768 ; 4-byte Folded Spill
	s_nop 0
	buffer_store_dword v7, off, s[0:3], s32 offset:772 ; 4-byte Folded Spill
	s_waitcnt vmcnt(0) lgkmcnt(0)
	v_and_b32_e32 v2, 0xffff, v3
	v_cmp_ne_u16_sdwa vcc, v3, v5 src0_sel:BYTE_0 src1_sel:DWORD
	s_and_saveexec_b64 s[36:37], vcc
	s_cbranch_execz .LBB241_430
; %bb.425:                              ;   in Loop: Header=BB241_13 Depth=1
	v_bfrev_b32_e32 v6, 1
	v_cmp_ne_u16_sdwa vcc, v2, s43 src0_sel:BYTE_0 src1_sel:DWORD
	v_mov_b32_e32 v7, 0
	buffer_store_dword v6, off, s[0:3], s32 offset:768 ; 4-byte Folded Spill
	s_nop 0
	buffer_store_dword v7, off, s[0:3], s32 offset:772 ; 4-byte Folded Spill
	s_and_saveexec_b64 s[38:39], vcc
	s_cbranch_execz .LBB241_429
; %bb.426:                              ;   in Loop: Header=BB241_13 Depth=1
	v_and_b32_e32 v3, 0x7f, v2
	v_mov_b32_e32 v6, 0x7f800001
	v_cmp_ne_u32_e32 vcc, s44, v3
	v_mov_b32_e32 v7, 0
	buffer_store_dword v6, off, s[0:3], s32 offset:768 ; 4-byte Folded Spill
	s_nop 0
	buffer_store_dword v7, off, s[0:3], s32 offset:772 ; 4-byte Folded Spill
	s_and_saveexec_b64 s[40:41], vcc
	s_cbranch_execz .LBB241_428
; %bb.427:                              ;   in Loop: Header=BB241_13 Depth=1
	v_and_b32_e32 v4, 7, v2
	v_lshrrev_b32_e32 v8, 3, v3
	v_cmp_gt_u32_e32 vcc, 8, v3
	v_ffbh_u32_e32 v3, v4
	v_min_u32_e32 v3, 32, v3
	v_subrev_u32_e32 v6, 28, v3
	v_lshlrev_b64 v[6:7], v6, v[2:3]
	v_sub_u32_e32 v3, 29, v3
	v_and_b32_e32 v6, 7, v6
	v_cndmask_b32_e32 v3, v8, v3, vcc
	v_cndmask_b32_e32 v4, v4, v6, vcc
	v_bfrev_b32_e32 v7, 60
	v_lshlrev_b32_e32 v4, 20, v4
	v_and_b32_sdwa v6, sext(v2), s27 dst_sel:DWORD dst_unused:UNUSED_PAD src0_sel:BYTE_0 src1_sel:DWORD
	v_lshl_add_u32 v3, v3, 23, v7
	v_or3_b32 v4, v6, v3, v4
	buffer_store_dword v4, off, s[0:3], s32 offset:768 ; 4-byte Folded Spill
	s_nop 0
	buffer_store_dword v5, off, s[0:3], s32 offset:772 ; 4-byte Folded Spill
.LBB241_428:                            ;   in Loop: Header=BB241_13 Depth=1
	s_or_b64 exec, exec, s[40:41]
.LBB241_429:                            ;   in Loop: Header=BB241_13 Depth=1
	s_or_b64 exec, exec, s[38:39]
.LBB241_430:                            ;   in Loop: Header=BB241_13 Depth=1
	s_or_b64 exec, exec, s[36:37]
	v_cmp_ne_u16_sdwa vcc, v2, v5 src0_sel:BYTE_1 src1_sel:DWORD
	s_and_saveexec_b64 s[36:37], vcc
	s_cbranch_execz .LBB241_436
; %bb.431:                              ;   in Loop: Header=BB241_13 Depth=1
	v_cmp_ne_u16_sdwa vcc, v2, s43 src0_sel:BYTE_1 src1_sel:DWORD
	v_pk_mov_b32 v[6:7], s[26:27], s[26:27] op_sel:[0,1]
	buffer_store_dword v6, off, s[0:3], s32 offset:776 ; 4-byte Folded Spill
	s_nop 0
	buffer_store_dword v7, off, s[0:3], s32 offset:780 ; 4-byte Folded Spill
	s_and_saveexec_b64 s[38:39], vcc
	s_cbranch_execz .LBB241_435
; %bb.432:                              ;   in Loop: Header=BB241_13 Depth=1
	v_and_b32_sdwa v3, v2, s44 dst_sel:DWORD dst_unused:UNUSED_PAD src0_sel:BYTE_1 src1_sel:DWORD
	s_mov_b32 s34, s26
	v_cmp_ne_u32_e32 vcc, s44, v3
	v_pk_mov_b32 v[6:7], s[34:35], s[34:35] op_sel:[0,1]
	buffer_store_dword v6, off, s[0:3], s32 offset:776 ; 4-byte Folded Spill
	s_nop 0
	buffer_store_dword v7, off, s[0:3], s32 offset:780 ; 4-byte Folded Spill
	s_and_saveexec_b64 s[40:41], vcc
	s_cbranch_execz .LBB241_434
; %bb.433:                              ;   in Loop: Header=BB241_13 Depth=1
	v_mov_b32_e32 v4, 7
	v_and_b32_sdwa v4, v2, v4 dst_sel:DWORD dst_unused:UNUSED_PAD src0_sel:BYTE_1 src1_sel:DWORD
	v_lshrrev_b32_e32 v8, 3, v3
	v_cmp_gt_u32_e32 vcc, 8, v3
	v_ffbh_u32_e32 v3, v4
	v_min_u32_e32 v3, 32, v3
	v_subrev_u32_e32 v6, 28, v3
	v_lshlrev_b64 v[6:7], v6, v[4:5]
	v_sub_u32_e32 v3, 29, v3
	v_and_b32_e32 v6, 7, v6
	v_cndmask_b32_e32 v3, v8, v3, vcc
	v_cndmask_b32_e32 v4, v4, v6, vcc
	v_bfrev_b32_e32 v6, 60
	v_lshlrev_b32_e32 v2, 16, v2
	v_lshl_add_u32 v3, v3, 23, v6
	v_and_or_b32 v2, v2, s27, v3
	v_lshlrev_b32_e32 v3, 20, v4
	v_or_b32_e32 v3, v2, v3
	v_mov_b32_e32 v2, v5
	buffer_store_dword v2, off, s[0:3], s32 offset:776 ; 4-byte Folded Spill
	s_nop 0
	buffer_store_dword v3, off, s[0:3], s32 offset:780 ; 4-byte Folded Spill
.LBB241_434:                            ;   in Loop: Header=BB241_13 Depth=1
	s_or_b64 exec, exec, s[40:41]
.LBB241_435:                            ;   in Loop: Header=BB241_13 Depth=1
	s_or_b64 exec, exec, s[38:39]
.LBB241_436:                            ;   in Loop: Header=BB241_13 Depth=1
	s_or_b64 exec, exec, s[36:37]
	flat_load_ushort v1, v[0:1] offset:12
	v_pk_mov_b32 v[2:3], 0, 0
	buffer_store_dword v2, off, s[0:3], s32 offset:792 ; 4-byte Folded Spill
	s_nop 0
	buffer_store_dword v3, off, s[0:3], s32 offset:796 ; 4-byte Folded Spill
	buffer_store_dword v2, off, s[0:3], s32 offset:784 ; 4-byte Folded Spill
	s_nop 0
	buffer_store_dword v3, off, s[0:3], s32 offset:788 ; 4-byte Folded Spill
	s_waitcnt vmcnt(0) lgkmcnt(0)
	v_and_b32_e32 v0, 0xffff, v1
	v_cmp_ne_u16_sdwa vcc, v1, v5 src0_sel:BYTE_0 src1_sel:DWORD
	s_and_saveexec_b64 s[36:37], vcc
	s_cbranch_execz .LBB241_442
; %bb.437:                              ;   in Loop: Header=BB241_13 Depth=1
	v_bfrev_b32_e32 v2, 1
	v_cmp_ne_u16_sdwa vcc, v0, s43 src0_sel:BYTE_0 src1_sel:DWORD
	v_mov_b32_e32 v3, 0
	buffer_store_dword v2, off, s[0:3], s32 offset:784 ; 4-byte Folded Spill
	s_nop 0
	buffer_store_dword v3, off, s[0:3], s32 offset:788 ; 4-byte Folded Spill
	s_and_saveexec_b64 s[38:39], vcc
	s_cbranch_execz .LBB241_441
; %bb.438:                              ;   in Loop: Header=BB241_13 Depth=1
	v_and_b32_e32 v1, 0x7f, v0
	v_mov_b32_e32 v2, 0x7f800001
	v_cmp_ne_u32_e32 vcc, s44, v1
	v_mov_b32_e32 v3, 0
	buffer_store_dword v2, off, s[0:3], s32 offset:784 ; 4-byte Folded Spill
	s_nop 0
	buffer_store_dword v3, off, s[0:3], s32 offset:788 ; 4-byte Folded Spill
	s_and_saveexec_b64 s[40:41], vcc
	s_cbranch_execz .LBB241_440
; %bb.439:                              ;   in Loop: Header=BB241_13 Depth=1
	v_and_b32_e32 v4, 7, v0
	v_lshrrev_b32_e32 v6, 3, v1
	v_cmp_gt_u32_e32 vcc, 8, v1
	v_ffbh_u32_e32 v1, v4
	v_min_u32_e32 v1, 32, v1
	v_subrev_u32_e32 v2, 28, v1
	v_lshlrev_b64 v[2:3], v2, v[0:1]
	v_sub_u32_e32 v1, 29, v1
	v_and_b32_e32 v2, 7, v2
	v_cndmask_b32_e32 v1, v6, v1, vcc
	v_cndmask_b32_e32 v2, v4, v2, vcc
	v_bfrev_b32_e32 v4, 60
	v_lshlrev_b32_e32 v2, 20, v2
	v_and_b32_sdwa v3, sext(v0), s27 dst_sel:DWORD dst_unused:UNUSED_PAD src0_sel:BYTE_0 src1_sel:DWORD
	v_lshl_add_u32 v1, v1, 23, v4
	v_or3_b32 v4, v3, v1, v2
	buffer_store_dword v4, off, s[0:3], s32 offset:784 ; 4-byte Folded Spill
	s_nop 0
	buffer_store_dword v5, off, s[0:3], s32 offset:788 ; 4-byte Folded Spill
.LBB241_440:                            ;   in Loop: Header=BB241_13 Depth=1
	s_or_b64 exec, exec, s[40:41]
.LBB241_441:                            ;   in Loop: Header=BB241_13 Depth=1
	s_or_b64 exec, exec, s[38:39]
.LBB241_442:                            ;   in Loop: Header=BB241_13 Depth=1
	s_or_b64 exec, exec, s[36:37]
	v_cmp_ne_u16_sdwa vcc, v0, v5 src0_sel:BYTE_1 src1_sel:DWORD
	s_and_saveexec_b64 s[36:37], vcc
	s_cbranch_execz .LBB241_448
; %bb.443:                              ;   in Loop: Header=BB241_13 Depth=1
	v_cmp_ne_u16_sdwa vcc, v0, s43 src0_sel:BYTE_1 src1_sel:DWORD
	v_pk_mov_b32 v[2:3], s[26:27], s[26:27] op_sel:[0,1]
	buffer_store_dword v2, off, s[0:3], s32 offset:792 ; 4-byte Folded Spill
	s_nop 0
	buffer_store_dword v3, off, s[0:3], s32 offset:796 ; 4-byte Folded Spill
	s_and_saveexec_b64 s[38:39], vcc
	s_cbranch_execz .LBB241_447
; %bb.444:                              ;   in Loop: Header=BB241_13 Depth=1
	v_and_b32_sdwa v1, v0, s44 dst_sel:DWORD dst_unused:UNUSED_PAD src0_sel:BYTE_1 src1_sel:DWORD
	s_mov_b32 s34, s26
	v_cmp_ne_u32_e32 vcc, s44, v1
	v_pk_mov_b32 v[2:3], s[34:35], s[34:35] op_sel:[0,1]
	buffer_store_dword v2, off, s[0:3], s32 offset:792 ; 4-byte Folded Spill
	s_nop 0
	buffer_store_dword v3, off, s[0:3], s32 offset:796 ; 4-byte Folded Spill
	s_and_saveexec_b64 s[40:41], vcc
	s_cbranch_execz .LBB241_446
; %bb.445:                              ;   in Loop: Header=BB241_13 Depth=1
	v_mov_b32_e32 v2, 7
	v_and_b32_sdwa v4, v0, v2 dst_sel:DWORD dst_unused:UNUSED_PAD src0_sel:BYTE_1 src1_sel:DWORD
	v_lshrrev_b32_e32 v6, 3, v1
	v_cmp_gt_u32_e32 vcc, 8, v1
	v_ffbh_u32_e32 v1, v4
	v_min_u32_e32 v1, 32, v1
	v_subrev_u32_e32 v2, 28, v1
	v_lshlrev_b64 v[2:3], v2, v[4:5]
	v_sub_u32_e32 v1, 29, v1
	v_and_b32_e32 v2, 7, v2
	v_cndmask_b32_e32 v1, v6, v1, vcc
	v_bfrev_b32_e32 v3, 60
	v_cndmask_b32_e32 v2, v4, v2, vcc
	v_lshlrev_b32_e32 v0, 16, v0
	v_lshl_add_u32 v1, v1, 23, v3
	v_and_or_b32 v0, v0, s27, v1
	v_lshlrev_b32_e32 v1, 20, v2
	v_or_b32_e32 v1, v0, v1
	v_mov_b32_e32 v0, v5
	buffer_store_dword v0, off, s[0:3], s32 offset:792 ; 4-byte Folded Spill
	s_nop 0
	buffer_store_dword v1, off, s[0:3], s32 offset:796 ; 4-byte Folded Spill
.LBB241_446:                            ;   in Loop: Header=BB241_13 Depth=1
	s_or_b64 exec, exec, s[40:41]
.LBB241_447:                            ;   in Loop: Header=BB241_13 Depth=1
	s_or_b64 exec, exec, s[38:39]
.LBB241_448:                            ;   in Loop: Header=BB241_13 Depth=1
	s_or_b64 exec, exec, s[36:37]
	v_add_co_u32_e32 v0, vcc, 0x1000, v18
	v_addc_co_u32_e32 v1, vcc, 0, v19, vcc
	flat_load_ushort v1, v[0:1] offset:512
	v_pk_mov_b32 v[2:3], 0, 0
	buffer_store_dword v2, off, s[0:3], s32 offset:808 ; 4-byte Folded Spill
	s_nop 0
	buffer_store_dword v3, off, s[0:3], s32 offset:812 ; 4-byte Folded Spill
	buffer_store_dword v2, off, s[0:3], s32 offset:800 ; 4-byte Folded Spill
	s_nop 0
	buffer_store_dword v3, off, s[0:3], s32 offset:804 ; 4-byte Folded Spill
	s_waitcnt vmcnt(0) lgkmcnt(0)
	v_and_b32_e32 v0, 0xffff, v1
	v_cmp_ne_u16_sdwa vcc, v1, v5 src0_sel:BYTE_0 src1_sel:DWORD
	s_and_saveexec_b64 s[36:37], vcc
	s_cbranch_execz .LBB241_454
; %bb.449:                              ;   in Loop: Header=BB241_13 Depth=1
	v_bfrev_b32_e32 v2, 1
	v_cmp_ne_u16_sdwa vcc, v0, s43 src0_sel:BYTE_0 src1_sel:DWORD
	v_mov_b32_e32 v3, 0
	buffer_store_dword v2, off, s[0:3], s32 offset:800 ; 4-byte Folded Spill
	s_nop 0
	buffer_store_dword v3, off, s[0:3], s32 offset:804 ; 4-byte Folded Spill
	s_and_saveexec_b64 s[38:39], vcc
	s_cbranch_execz .LBB241_453
; %bb.450:                              ;   in Loop: Header=BB241_13 Depth=1
	v_and_b32_e32 v1, 0x7f, v0
	v_mov_b32_e32 v2, 0x7f800001
	v_cmp_ne_u32_e32 vcc, s44, v1
	v_mov_b32_e32 v3, 0
	buffer_store_dword v2, off, s[0:3], s32 offset:800 ; 4-byte Folded Spill
	s_nop 0
	buffer_store_dword v3, off, s[0:3], s32 offset:804 ; 4-byte Folded Spill
	s_and_saveexec_b64 s[40:41], vcc
	s_cbranch_execz .LBB241_452
; %bb.451:                              ;   in Loop: Header=BB241_13 Depth=1
	v_and_b32_e32 v4, 7, v0
	v_lshrrev_b32_e32 v6, 3, v1
	v_cmp_gt_u32_e32 vcc, 8, v1
	v_ffbh_u32_e32 v1, v4
	v_min_u32_e32 v1, 32, v1
	v_subrev_u32_e32 v2, 28, v1
	v_lshlrev_b64 v[2:3], v2, v[0:1]
	v_sub_u32_e32 v1, 29, v1
	v_and_b32_e32 v2, 7, v2
	v_cndmask_b32_e32 v1, v6, v1, vcc
	v_cndmask_b32_e32 v2, v4, v2, vcc
	v_bfrev_b32_e32 v4, 60
	v_lshlrev_b32_e32 v2, 20, v2
	v_and_b32_sdwa v3, sext(v0), s27 dst_sel:DWORD dst_unused:UNUSED_PAD src0_sel:BYTE_0 src1_sel:DWORD
	v_lshl_add_u32 v1, v1, 23, v4
	v_or3_b32 v4, v3, v1, v2
	buffer_store_dword v4, off, s[0:3], s32 offset:800 ; 4-byte Folded Spill
	s_nop 0
	buffer_store_dword v5, off, s[0:3], s32 offset:804 ; 4-byte Folded Spill
.LBB241_452:                            ;   in Loop: Header=BB241_13 Depth=1
	s_or_b64 exec, exec, s[40:41]
.LBB241_453:                            ;   in Loop: Header=BB241_13 Depth=1
	s_or_b64 exec, exec, s[38:39]
.LBB241_454:                            ;   in Loop: Header=BB241_13 Depth=1
	s_or_b64 exec, exec, s[36:37]
	v_cmp_ne_u16_sdwa vcc, v0, v5 src0_sel:BYTE_1 src1_sel:DWORD
	s_and_saveexec_b64 s[36:37], vcc
	s_cbranch_execz .LBB241_460
; %bb.455:                              ;   in Loop: Header=BB241_13 Depth=1
	v_cmp_ne_u16_sdwa vcc, v0, s43 src0_sel:BYTE_1 src1_sel:DWORD
	v_pk_mov_b32 v[2:3], s[26:27], s[26:27] op_sel:[0,1]
	buffer_store_dword v2, off, s[0:3], s32 offset:808 ; 4-byte Folded Spill
	s_nop 0
	buffer_store_dword v3, off, s[0:3], s32 offset:812 ; 4-byte Folded Spill
	s_and_saveexec_b64 s[38:39], vcc
	s_cbranch_execz .LBB241_459
; %bb.456:                              ;   in Loop: Header=BB241_13 Depth=1
	v_and_b32_sdwa v1, v0, s44 dst_sel:DWORD dst_unused:UNUSED_PAD src0_sel:BYTE_1 src1_sel:DWORD
	s_mov_b32 s34, s26
	v_cmp_ne_u32_e32 vcc, s44, v1
	v_pk_mov_b32 v[2:3], s[34:35], s[34:35] op_sel:[0,1]
	buffer_store_dword v2, off, s[0:3], s32 offset:808 ; 4-byte Folded Spill
	s_nop 0
	buffer_store_dword v3, off, s[0:3], s32 offset:812 ; 4-byte Folded Spill
	s_and_saveexec_b64 s[40:41], vcc
	s_cbranch_execz .LBB241_458
; %bb.457:                              ;   in Loop: Header=BB241_13 Depth=1
	v_mov_b32_e32 v2, 7
	v_and_b32_sdwa v4, v0, v2 dst_sel:DWORD dst_unused:UNUSED_PAD src0_sel:BYTE_1 src1_sel:DWORD
	v_lshrrev_b32_e32 v6, 3, v1
	v_cmp_gt_u32_e32 vcc, 8, v1
	v_ffbh_u32_e32 v1, v4
	v_min_u32_e32 v1, 32, v1
	v_subrev_u32_e32 v2, 28, v1
	v_lshlrev_b64 v[2:3], v2, v[4:5]
	v_sub_u32_e32 v1, 29, v1
	v_and_b32_e32 v2, 7, v2
	v_cndmask_b32_e32 v1, v6, v1, vcc
	v_bfrev_b32_e32 v3, 60
	v_cndmask_b32_e32 v2, v4, v2, vcc
	v_lshlrev_b32_e32 v0, 16, v0
	v_lshl_add_u32 v1, v1, 23, v3
	v_and_or_b32 v0, v0, s27, v1
	v_lshlrev_b32_e32 v1, 20, v2
	v_or_b32_e32 v1, v0, v1
	v_mov_b32_e32 v0, v5
	buffer_store_dword v0, off, s[0:3], s32 offset:808 ; 4-byte Folded Spill
	s_nop 0
	buffer_store_dword v1, off, s[0:3], s32 offset:812 ; 4-byte Folded Spill
.LBB241_458:                            ;   in Loop: Header=BB241_13 Depth=1
	s_or_b64 exec, exec, s[40:41]
.LBB241_459:                            ;   in Loop: Header=BB241_13 Depth=1
	s_or_b64 exec, exec, s[38:39]
.LBB241_460:                            ;   in Loop: Header=BB241_13 Depth=1
	s_or_b64 exec, exec, s[36:37]
	v_add_co_u32_e32 v0, vcc, 0x1200, v18
	v_addc_co_u32_e32 v1, vcc, 0, v19, vcc
	flat_load_ushort v3, v[0:1] offset:4
	v_pk_mov_b32 v[6:7], 0, 0
	buffer_store_dword v6, off, s[0:3], s32 offset:824 ; 4-byte Folded Spill
	s_nop 0
	buffer_store_dword v7, off, s[0:3], s32 offset:828 ; 4-byte Folded Spill
	buffer_store_dword v6, off, s[0:3], s32 offset:816 ; 4-byte Folded Spill
	s_nop 0
	buffer_store_dword v7, off, s[0:3], s32 offset:820 ; 4-byte Folded Spill
	s_waitcnt vmcnt(0) lgkmcnt(0)
	v_and_b32_e32 v2, 0xffff, v3
	v_cmp_ne_u16_sdwa vcc, v3, v5 src0_sel:BYTE_0 src1_sel:DWORD
	s_and_saveexec_b64 s[36:37], vcc
	s_cbranch_execz .LBB241_466
; %bb.461:                              ;   in Loop: Header=BB241_13 Depth=1
	v_bfrev_b32_e32 v6, 1
	v_cmp_ne_u16_sdwa vcc, v2, s43 src0_sel:BYTE_0 src1_sel:DWORD
	v_mov_b32_e32 v7, 0
	buffer_store_dword v6, off, s[0:3], s32 offset:816 ; 4-byte Folded Spill
	s_nop 0
	buffer_store_dword v7, off, s[0:3], s32 offset:820 ; 4-byte Folded Spill
	s_and_saveexec_b64 s[38:39], vcc
	s_cbranch_execz .LBB241_465
; %bb.462:                              ;   in Loop: Header=BB241_13 Depth=1
	v_and_b32_e32 v3, 0x7f, v2
	v_mov_b32_e32 v6, 0x7f800001
	v_cmp_ne_u32_e32 vcc, s44, v3
	v_mov_b32_e32 v7, 0
	buffer_store_dword v6, off, s[0:3], s32 offset:816 ; 4-byte Folded Spill
	s_nop 0
	buffer_store_dword v7, off, s[0:3], s32 offset:820 ; 4-byte Folded Spill
	s_and_saveexec_b64 s[40:41], vcc
	s_cbranch_execz .LBB241_464
; %bb.463:                              ;   in Loop: Header=BB241_13 Depth=1
	v_and_b32_e32 v4, 7, v2
	v_lshrrev_b32_e32 v8, 3, v3
	v_cmp_gt_u32_e32 vcc, 8, v3
	v_ffbh_u32_e32 v3, v4
	v_min_u32_e32 v3, 32, v3
	v_subrev_u32_e32 v6, 28, v3
	v_lshlrev_b64 v[6:7], v6, v[2:3]
	v_sub_u32_e32 v3, 29, v3
	v_and_b32_e32 v6, 7, v6
	v_cndmask_b32_e32 v3, v8, v3, vcc
	v_cndmask_b32_e32 v4, v4, v6, vcc
	v_bfrev_b32_e32 v7, 60
	v_lshlrev_b32_e32 v4, 20, v4
	v_and_b32_sdwa v6, sext(v2), s27 dst_sel:DWORD dst_unused:UNUSED_PAD src0_sel:BYTE_0 src1_sel:DWORD
	v_lshl_add_u32 v3, v3, 23, v7
	v_or3_b32 v4, v6, v3, v4
	buffer_store_dword v4, off, s[0:3], s32 offset:816 ; 4-byte Folded Spill
	s_nop 0
	buffer_store_dword v5, off, s[0:3], s32 offset:820 ; 4-byte Folded Spill
.LBB241_464:                            ;   in Loop: Header=BB241_13 Depth=1
	s_or_b64 exec, exec, s[40:41]
.LBB241_465:                            ;   in Loop: Header=BB241_13 Depth=1
	s_or_b64 exec, exec, s[38:39]
.LBB241_466:                            ;   in Loop: Header=BB241_13 Depth=1
	s_or_b64 exec, exec, s[36:37]
	v_cmp_ne_u16_sdwa vcc, v2, v5 src0_sel:BYTE_1 src1_sel:DWORD
	s_and_saveexec_b64 s[36:37], vcc
	s_cbranch_execz .LBB241_472
; %bb.467:                              ;   in Loop: Header=BB241_13 Depth=1
	v_cmp_ne_u16_sdwa vcc, v2, s43 src0_sel:BYTE_1 src1_sel:DWORD
	v_pk_mov_b32 v[6:7], s[26:27], s[26:27] op_sel:[0,1]
	buffer_store_dword v6, off, s[0:3], s32 offset:824 ; 4-byte Folded Spill
	s_nop 0
	buffer_store_dword v7, off, s[0:3], s32 offset:828 ; 4-byte Folded Spill
	s_and_saveexec_b64 s[38:39], vcc
	s_cbranch_execz .LBB241_471
; %bb.468:                              ;   in Loop: Header=BB241_13 Depth=1
	v_and_b32_sdwa v3, v2, s44 dst_sel:DWORD dst_unused:UNUSED_PAD src0_sel:BYTE_1 src1_sel:DWORD
	s_mov_b32 s34, s26
	v_cmp_ne_u32_e32 vcc, s44, v3
	v_pk_mov_b32 v[6:7], s[34:35], s[34:35] op_sel:[0,1]
	buffer_store_dword v6, off, s[0:3], s32 offset:824 ; 4-byte Folded Spill
	s_nop 0
	buffer_store_dword v7, off, s[0:3], s32 offset:828 ; 4-byte Folded Spill
	s_and_saveexec_b64 s[40:41], vcc
	s_cbranch_execz .LBB241_470
; %bb.469:                              ;   in Loop: Header=BB241_13 Depth=1
	v_mov_b32_e32 v4, 7
	v_and_b32_sdwa v4, v2, v4 dst_sel:DWORD dst_unused:UNUSED_PAD src0_sel:BYTE_1 src1_sel:DWORD
	v_lshrrev_b32_e32 v8, 3, v3
	v_cmp_gt_u32_e32 vcc, 8, v3
	v_ffbh_u32_e32 v3, v4
	v_min_u32_e32 v3, 32, v3
	v_subrev_u32_e32 v6, 28, v3
	v_lshlrev_b64 v[6:7], v6, v[4:5]
	v_sub_u32_e32 v3, 29, v3
	v_and_b32_e32 v6, 7, v6
	v_cndmask_b32_e32 v3, v8, v3, vcc
	v_cndmask_b32_e32 v4, v4, v6, vcc
	v_bfrev_b32_e32 v6, 60
	v_lshlrev_b32_e32 v2, 16, v2
	v_lshl_add_u32 v3, v3, 23, v6
	v_and_or_b32 v2, v2, s27, v3
	v_lshlrev_b32_e32 v3, 20, v4
	v_or_b32_e32 v3, v2, v3
	v_mov_b32_e32 v2, v5
	buffer_store_dword v2, off, s[0:3], s32 offset:824 ; 4-byte Folded Spill
	s_nop 0
	buffer_store_dword v3, off, s[0:3], s32 offset:828 ; 4-byte Folded Spill
.LBB241_470:                            ;   in Loop: Header=BB241_13 Depth=1
	s_or_b64 exec, exec, s[40:41]
.LBB241_471:                            ;   in Loop: Header=BB241_13 Depth=1
	s_or_b64 exec, exec, s[38:39]
.LBB241_472:                            ;   in Loop: Header=BB241_13 Depth=1
	s_or_b64 exec, exec, s[36:37]
	flat_load_ushort v3, v[0:1] offset:8
	v_pk_mov_b32 v[6:7], 0, 0
	buffer_store_dword v6, off, s[0:3], s32 offset:840 ; 4-byte Folded Spill
	s_nop 0
	buffer_store_dword v7, off, s[0:3], s32 offset:844 ; 4-byte Folded Spill
	buffer_store_dword v6, off, s[0:3], s32 offset:832 ; 4-byte Folded Spill
	s_nop 0
	buffer_store_dword v7, off, s[0:3], s32 offset:836 ; 4-byte Folded Spill
	s_waitcnt vmcnt(0) lgkmcnt(0)
	v_and_b32_e32 v2, 0xffff, v3
	v_cmp_ne_u16_sdwa vcc, v3, v5 src0_sel:BYTE_0 src1_sel:DWORD
	s_and_saveexec_b64 s[36:37], vcc
	s_cbranch_execz .LBB241_478
; %bb.473:                              ;   in Loop: Header=BB241_13 Depth=1
	v_bfrev_b32_e32 v6, 1
	v_cmp_ne_u16_sdwa vcc, v2, s43 src0_sel:BYTE_0 src1_sel:DWORD
	v_mov_b32_e32 v7, 0
	buffer_store_dword v6, off, s[0:3], s32 offset:832 ; 4-byte Folded Spill
	s_nop 0
	buffer_store_dword v7, off, s[0:3], s32 offset:836 ; 4-byte Folded Spill
	s_and_saveexec_b64 s[38:39], vcc
	s_cbranch_execz .LBB241_477
; %bb.474:                              ;   in Loop: Header=BB241_13 Depth=1
	v_and_b32_e32 v3, 0x7f, v2
	v_mov_b32_e32 v6, 0x7f800001
	v_cmp_ne_u32_e32 vcc, s44, v3
	v_mov_b32_e32 v7, 0
	buffer_store_dword v6, off, s[0:3], s32 offset:832 ; 4-byte Folded Spill
	s_nop 0
	buffer_store_dword v7, off, s[0:3], s32 offset:836 ; 4-byte Folded Spill
	s_and_saveexec_b64 s[40:41], vcc
	s_cbranch_execz .LBB241_476
; %bb.475:                              ;   in Loop: Header=BB241_13 Depth=1
	v_and_b32_e32 v4, 7, v2
	v_lshrrev_b32_e32 v8, 3, v3
	v_cmp_gt_u32_e32 vcc, 8, v3
	v_ffbh_u32_e32 v3, v4
	v_min_u32_e32 v3, 32, v3
	v_subrev_u32_e32 v6, 28, v3
	v_lshlrev_b64 v[6:7], v6, v[2:3]
	v_sub_u32_e32 v3, 29, v3
	v_and_b32_e32 v6, 7, v6
	v_cndmask_b32_e32 v3, v8, v3, vcc
	v_cndmask_b32_e32 v4, v4, v6, vcc
	v_bfrev_b32_e32 v7, 60
	v_lshlrev_b32_e32 v4, 20, v4
	v_and_b32_sdwa v6, sext(v2), s27 dst_sel:DWORD dst_unused:UNUSED_PAD src0_sel:BYTE_0 src1_sel:DWORD
	v_lshl_add_u32 v3, v3, 23, v7
	v_or3_b32 v4, v6, v3, v4
	buffer_store_dword v4, off, s[0:3], s32 offset:832 ; 4-byte Folded Spill
	s_nop 0
	buffer_store_dword v5, off, s[0:3], s32 offset:836 ; 4-byte Folded Spill
.LBB241_476:                            ;   in Loop: Header=BB241_13 Depth=1
	s_or_b64 exec, exec, s[40:41]
.LBB241_477:                            ;   in Loop: Header=BB241_13 Depth=1
	s_or_b64 exec, exec, s[38:39]
.LBB241_478:                            ;   in Loop: Header=BB241_13 Depth=1
	s_or_b64 exec, exec, s[36:37]
	v_cmp_ne_u16_sdwa vcc, v2, v5 src0_sel:BYTE_1 src1_sel:DWORD
	s_and_saveexec_b64 s[36:37], vcc
	s_cbranch_execz .LBB241_484
; %bb.479:                              ;   in Loop: Header=BB241_13 Depth=1
	v_cmp_ne_u16_sdwa vcc, v2, s43 src0_sel:BYTE_1 src1_sel:DWORD
	v_pk_mov_b32 v[6:7], s[26:27], s[26:27] op_sel:[0,1]
	buffer_store_dword v6, off, s[0:3], s32 offset:840 ; 4-byte Folded Spill
	s_nop 0
	buffer_store_dword v7, off, s[0:3], s32 offset:844 ; 4-byte Folded Spill
	s_and_saveexec_b64 s[38:39], vcc
	s_cbranch_execz .LBB241_483
; %bb.480:                              ;   in Loop: Header=BB241_13 Depth=1
	v_and_b32_sdwa v3, v2, s44 dst_sel:DWORD dst_unused:UNUSED_PAD src0_sel:BYTE_1 src1_sel:DWORD
	s_mov_b32 s34, s26
	v_cmp_ne_u32_e32 vcc, s44, v3
	v_pk_mov_b32 v[6:7], s[34:35], s[34:35] op_sel:[0,1]
	buffer_store_dword v6, off, s[0:3], s32 offset:840 ; 4-byte Folded Spill
	s_nop 0
	buffer_store_dword v7, off, s[0:3], s32 offset:844 ; 4-byte Folded Spill
	s_and_saveexec_b64 s[40:41], vcc
	s_cbranch_execz .LBB241_482
; %bb.481:                              ;   in Loop: Header=BB241_13 Depth=1
	v_mov_b32_e32 v4, 7
	v_and_b32_sdwa v4, v2, v4 dst_sel:DWORD dst_unused:UNUSED_PAD src0_sel:BYTE_1 src1_sel:DWORD
	v_lshrrev_b32_e32 v8, 3, v3
	v_cmp_gt_u32_e32 vcc, 8, v3
	v_ffbh_u32_e32 v3, v4
	v_min_u32_e32 v3, 32, v3
	v_subrev_u32_e32 v6, 28, v3
	v_lshlrev_b64 v[6:7], v6, v[4:5]
	v_sub_u32_e32 v3, 29, v3
	v_and_b32_e32 v6, 7, v6
	v_cndmask_b32_e32 v3, v8, v3, vcc
	v_cndmask_b32_e32 v4, v4, v6, vcc
	v_bfrev_b32_e32 v6, 60
	v_lshlrev_b32_e32 v2, 16, v2
	v_lshl_add_u32 v3, v3, 23, v6
	v_and_or_b32 v2, v2, s27, v3
	v_lshlrev_b32_e32 v3, 20, v4
	v_or_b32_e32 v3, v2, v3
	v_mov_b32_e32 v2, v5
	buffer_store_dword v2, off, s[0:3], s32 offset:840 ; 4-byte Folded Spill
	s_nop 0
	buffer_store_dword v3, off, s[0:3], s32 offset:844 ; 4-byte Folded Spill
.LBB241_482:                            ;   in Loop: Header=BB241_13 Depth=1
	s_or_b64 exec, exec, s[40:41]
.LBB241_483:                            ;   in Loop: Header=BB241_13 Depth=1
	s_or_b64 exec, exec, s[38:39]
.LBB241_484:                            ;   in Loop: Header=BB241_13 Depth=1
	s_or_b64 exec, exec, s[36:37]
	flat_load_ushort v1, v[0:1] offset:12
	v_pk_mov_b32 v[2:3], 0, 0
	v_accvgpr_write_b32 a17, v3
	v_accvgpr_write_b32 a11, v3
	;; [unrolled: 1-line block ×4, first 2 shown]
	s_waitcnt vmcnt(0) lgkmcnt(0)
	v_and_b32_e32 v0, 0xffff, v1
	v_cmp_ne_u16_sdwa vcc, v1, v5 src0_sel:BYTE_0 src1_sel:DWORD
	s_and_saveexec_b64 s[36:37], vcc
	s_cbranch_execz .LBB241_490
; %bb.485:                              ;   in Loop: Header=BB241_13 Depth=1
	v_bfrev_b32_e32 v2, 1
	v_mov_b32_e32 v3, 0
	v_accvgpr_write_b32 a11, v3
	v_cmp_ne_u16_sdwa vcc, v0, s43 src0_sel:BYTE_0 src1_sel:DWORD
	v_accvgpr_write_b32 a10, v2
	s_and_saveexec_b64 s[38:39], vcc
	s_cbranch_execz .LBB241_489
; %bb.486:                              ;   in Loop: Header=BB241_13 Depth=1
	v_mov_b32_e32 v2, 0x7f800001
	v_mov_b32_e32 v3, 0
	v_and_b32_e32 v1, 0x7f, v0
	v_accvgpr_write_b32 a11, v3
	v_cmp_ne_u32_e32 vcc, s44, v1
	v_accvgpr_write_b32 a10, v2
	s_and_saveexec_b64 s[40:41], vcc
	s_cbranch_execz .LBB241_488
; %bb.487:                              ;   in Loop: Header=BB241_13 Depth=1
	v_and_b32_e32 v4, 7, v0
	v_lshrrev_b32_e32 v6, 3, v1
	v_cmp_gt_u32_e32 vcc, 8, v1
	v_ffbh_u32_e32 v1, v4
	v_min_u32_e32 v1, 32, v1
	v_subrev_u32_e32 v2, 28, v1
	v_lshlrev_b64 v[2:3], v2, v[0:1]
	v_sub_u32_e32 v1, 29, v1
	v_and_b32_e32 v2, 7, v2
	v_cndmask_b32_e32 v1, v6, v1, vcc
	v_cndmask_b32_e32 v2, v4, v2, vcc
	v_bfrev_b32_e32 v4, 60
	v_lshlrev_b32_e32 v2, 20, v2
	v_and_b32_sdwa v3, sext(v0), s27 dst_sel:DWORD dst_unused:UNUSED_PAD src0_sel:BYTE_0 src1_sel:DWORD
	v_lshl_add_u32 v1, v1, 23, v4
	v_or3_b32 v4, v3, v1, v2
	v_accvgpr_write_b32 a11, v5
	v_accvgpr_write_b32 a10, v4
.LBB241_488:                            ;   in Loop: Header=BB241_13 Depth=1
	s_or_b64 exec, exec, s[40:41]
.LBB241_489:                            ;   in Loop: Header=BB241_13 Depth=1
	s_or_b64 exec, exec, s[38:39]
.LBB241_490:                            ;   in Loop: Header=BB241_13 Depth=1
	s_or_b64 exec, exec, s[36:37]
	v_cmp_ne_u16_sdwa vcc, v0, v5 src0_sel:BYTE_1 src1_sel:DWORD
	s_and_saveexec_b64 s[36:37], vcc
	s_cbranch_execz .LBB241_496
; %bb.491:                              ;   in Loop: Header=BB241_13 Depth=1
	v_accvgpr_write_b32 a16, s26
	v_cmp_ne_u16_sdwa vcc, v0, s43 src0_sel:BYTE_1 src1_sel:DWORD
	v_accvgpr_write_b32 a17, s27
	s_and_saveexec_b64 s[38:39], vcc
	s_cbranch_execz .LBB241_495
; %bb.492:                              ;   in Loop: Header=BB241_13 Depth=1
	s_mov_b32 s34, s26
	v_and_b32_sdwa v1, v0, s44 dst_sel:DWORD dst_unused:UNUSED_PAD src0_sel:BYTE_1 src1_sel:DWORD
	v_accvgpr_write_b32 a16, s34
	v_cmp_ne_u32_e32 vcc, s44, v1
	v_accvgpr_write_b32 a17, s35
	s_and_saveexec_b64 s[40:41], vcc
	s_cbranch_execz .LBB241_494
; %bb.493:                              ;   in Loop: Header=BB241_13 Depth=1
	v_mov_b32_e32 v2, 7
	v_and_b32_sdwa v4, v0, v2 dst_sel:DWORD dst_unused:UNUSED_PAD src0_sel:BYTE_1 src1_sel:DWORD
	v_lshrrev_b32_e32 v6, 3, v1
	v_cmp_gt_u32_e32 vcc, 8, v1
	v_ffbh_u32_e32 v1, v4
	v_min_u32_e32 v1, 32, v1
	v_subrev_u32_e32 v2, 28, v1
	v_lshlrev_b64 v[2:3], v2, v[4:5]
	v_sub_u32_e32 v1, 29, v1
	v_and_b32_e32 v2, 7, v2
	v_cndmask_b32_e32 v1, v6, v1, vcc
	v_bfrev_b32_e32 v3, 60
	v_cndmask_b32_e32 v2, v4, v2, vcc
	v_lshlrev_b32_e32 v0, 16, v0
	v_lshl_add_u32 v1, v1, 23, v3
	v_and_or_b32 v0, v0, s27, v1
	v_lshlrev_b32_e32 v1, 20, v2
	v_or_b32_e32 v1, v0, v1
	v_mov_b32_e32 v0, v5
	v_accvgpr_write_b32 a17, v1
	v_accvgpr_write_b32 a16, v0
.LBB241_494:                            ;   in Loop: Header=BB241_13 Depth=1
	s_or_b64 exec, exec, s[40:41]
.LBB241_495:                            ;   in Loop: Header=BB241_13 Depth=1
	s_or_b64 exec, exec, s[38:39]
.LBB241_496:                            ;   in Loop: Header=BB241_13 Depth=1
	s_or_b64 exec, exec, s[36:37]
	v_add_co_u32_e32 v0, vcc, 0x1000, v18
	v_addc_co_u32_e32 v1, vcc, 0, v19, vcc
	flat_load_ushort v1, v[0:1] offset:1024
	v_pk_mov_b32 v[2:3], 0, 0
	v_accvgpr_write_b32 a45, v3
	v_accvgpr_write_b32 a5, v3
	;; [unrolled: 1-line block ×4, first 2 shown]
	s_waitcnt vmcnt(0) lgkmcnt(0)
	v_and_b32_e32 v0, 0xffff, v1
	v_cmp_ne_u16_sdwa vcc, v1, v5 src0_sel:BYTE_0 src1_sel:DWORD
	s_and_saveexec_b64 s[36:37], vcc
	s_cbranch_execz .LBB241_502
; %bb.497:                              ;   in Loop: Header=BB241_13 Depth=1
	v_bfrev_b32_e32 v2, 1
	v_mov_b32_e32 v3, 0
	v_accvgpr_write_b32 a5, v3
	v_cmp_ne_u16_sdwa vcc, v0, s43 src0_sel:BYTE_0 src1_sel:DWORD
	v_accvgpr_write_b32 a4, v2
	s_and_saveexec_b64 s[38:39], vcc
	s_cbranch_execz .LBB241_501
; %bb.498:                              ;   in Loop: Header=BB241_13 Depth=1
	v_mov_b32_e32 v2, 0x7f800001
	v_mov_b32_e32 v3, 0
	v_and_b32_e32 v1, 0x7f, v0
	v_accvgpr_write_b32 a5, v3
	v_cmp_ne_u32_e32 vcc, s44, v1
	v_accvgpr_write_b32 a4, v2
	s_and_saveexec_b64 s[40:41], vcc
	s_cbranch_execz .LBB241_500
; %bb.499:                              ;   in Loop: Header=BB241_13 Depth=1
	v_and_b32_e32 v4, 7, v0
	v_lshrrev_b32_e32 v6, 3, v1
	v_cmp_gt_u32_e32 vcc, 8, v1
	v_ffbh_u32_e32 v1, v4
	v_min_u32_e32 v1, 32, v1
	v_subrev_u32_e32 v2, 28, v1
	v_lshlrev_b64 v[2:3], v2, v[0:1]
	v_sub_u32_e32 v1, 29, v1
	v_and_b32_e32 v2, 7, v2
	v_cndmask_b32_e32 v1, v6, v1, vcc
	v_cndmask_b32_e32 v2, v4, v2, vcc
	v_bfrev_b32_e32 v4, 60
	v_lshlrev_b32_e32 v2, 20, v2
	v_and_b32_sdwa v3, sext(v0), s27 dst_sel:DWORD dst_unused:UNUSED_PAD src0_sel:BYTE_0 src1_sel:DWORD
	v_lshl_add_u32 v1, v1, 23, v4
	v_or3_b32 v4, v3, v1, v2
	v_accvgpr_write_b32 a4, v4
	v_accvgpr_write_b32 a5, v5
.LBB241_500:                            ;   in Loop: Header=BB241_13 Depth=1
	s_or_b64 exec, exec, s[40:41]
.LBB241_501:                            ;   in Loop: Header=BB241_13 Depth=1
	s_or_b64 exec, exec, s[38:39]
.LBB241_502:                            ;   in Loop: Header=BB241_13 Depth=1
	s_or_b64 exec, exec, s[36:37]
	v_cmp_ne_u16_sdwa vcc, v0, v5 src0_sel:BYTE_1 src1_sel:DWORD
	s_and_saveexec_b64 s[36:37], vcc
	s_cbranch_execz .LBB241_508
; %bb.503:                              ;   in Loop: Header=BB241_13 Depth=1
	v_accvgpr_write_b32 a45, s27
	v_cmp_ne_u16_sdwa vcc, v0, s43 src0_sel:BYTE_1 src1_sel:DWORD
	v_accvgpr_write_b32 a44, s26
	s_and_saveexec_b64 s[38:39], vcc
	s_cbranch_execz .LBB241_507
; %bb.504:                              ;   in Loop: Header=BB241_13 Depth=1
	v_and_b32_sdwa v1, v0, s44 dst_sel:DWORD dst_unused:UNUSED_PAD src0_sel:BYTE_1 src1_sel:DWORD
	s_mov_b32 s34, s26
	v_accvgpr_write_b32 a45, s35
	v_cmp_ne_u32_e32 vcc, s44, v1
	v_accvgpr_write_b32 a44, s34
	s_and_saveexec_b64 s[40:41], vcc
	s_cbranch_execz .LBB241_506
; %bb.505:                              ;   in Loop: Header=BB241_13 Depth=1
	v_mov_b32_e32 v2, 7
	v_and_b32_sdwa v4, v0, v2 dst_sel:DWORD dst_unused:UNUSED_PAD src0_sel:BYTE_1 src1_sel:DWORD
	v_lshrrev_b32_e32 v6, 3, v1
	v_cmp_gt_u32_e32 vcc, 8, v1
	v_ffbh_u32_e32 v1, v4
	v_min_u32_e32 v1, 32, v1
	v_subrev_u32_e32 v2, 28, v1
	v_lshlrev_b64 v[2:3], v2, v[4:5]
	v_sub_u32_e32 v1, 29, v1
	v_and_b32_e32 v2, 7, v2
	v_cndmask_b32_e32 v1, v6, v1, vcc
	v_bfrev_b32_e32 v3, 60
	v_cndmask_b32_e32 v2, v4, v2, vcc
	v_lshlrev_b32_e32 v0, 16, v0
	v_lshl_add_u32 v1, v1, 23, v3
	v_and_or_b32 v0, v0, s27, v1
	v_lshlrev_b32_e32 v1, 20, v2
	v_or_b32_e32 v1, v0, v1
	v_mov_b32_e32 v0, v5
	v_accvgpr_write_b32 a45, v1
	v_accvgpr_write_b32 a44, v0
.LBB241_506:                            ;   in Loop: Header=BB241_13 Depth=1
	s_or_b64 exec, exec, s[40:41]
.LBB241_507:                            ;   in Loop: Header=BB241_13 Depth=1
	s_or_b64 exec, exec, s[38:39]
.LBB241_508:                            ;   in Loop: Header=BB241_13 Depth=1
	s_or_b64 exec, exec, s[36:37]
	v_add_co_u32_e32 v0, vcc, 0x1400, v18
	v_addc_co_u32_e32 v1, vcc, 0, v19, vcc
	flat_load_ushort v3, v[0:1] offset:4
	v_pk_mov_b32 v[6:7], 0, 0
	v_accvgpr_write_b32 a53, v7
	v_accvgpr_write_b32 a47, v7
	;; [unrolled: 1-line block ×4, first 2 shown]
	s_waitcnt vmcnt(0) lgkmcnt(0)
	v_and_b32_e32 v2, 0xffff, v3
	v_cmp_ne_u16_sdwa vcc, v3, v5 src0_sel:BYTE_0 src1_sel:DWORD
	s_and_saveexec_b64 s[36:37], vcc
	s_cbranch_execz .LBB241_514
; %bb.509:                              ;   in Loop: Header=BB241_13 Depth=1
	v_bfrev_b32_e32 v6, 1
	v_mov_b32_e32 v7, 0
	v_accvgpr_write_b32 a47, v7
	v_cmp_ne_u16_sdwa vcc, v2, s43 src0_sel:BYTE_0 src1_sel:DWORD
	v_accvgpr_write_b32 a46, v6
	s_and_saveexec_b64 s[38:39], vcc
	s_cbranch_execz .LBB241_513
; %bb.510:                              ;   in Loop: Header=BB241_13 Depth=1
	v_mov_b32_e32 v6, 0x7f800001
	v_mov_b32_e32 v7, 0
	v_and_b32_e32 v3, 0x7f, v2
	v_accvgpr_write_b32 a47, v7
	v_cmp_ne_u32_e32 vcc, s44, v3
	v_accvgpr_write_b32 a46, v6
	s_and_saveexec_b64 s[40:41], vcc
	s_cbranch_execz .LBB241_512
; %bb.511:                              ;   in Loop: Header=BB241_13 Depth=1
	v_and_b32_e32 v4, 7, v2
	v_lshrrev_b32_e32 v8, 3, v3
	v_cmp_gt_u32_e32 vcc, 8, v3
	v_ffbh_u32_e32 v3, v4
	v_min_u32_e32 v3, 32, v3
	v_subrev_u32_e32 v6, 28, v3
	v_lshlrev_b64 v[6:7], v6, v[2:3]
	v_sub_u32_e32 v3, 29, v3
	v_and_b32_e32 v6, 7, v6
	v_cndmask_b32_e32 v3, v8, v3, vcc
	v_cndmask_b32_e32 v4, v4, v6, vcc
	v_bfrev_b32_e32 v7, 60
	v_lshlrev_b32_e32 v4, 20, v4
	v_and_b32_sdwa v6, sext(v2), s27 dst_sel:DWORD dst_unused:UNUSED_PAD src0_sel:BYTE_0 src1_sel:DWORD
	v_lshl_add_u32 v3, v3, 23, v7
	v_or3_b32 v4, v6, v3, v4
	v_accvgpr_write_b32 a47, v5
	v_accvgpr_write_b32 a46, v4
.LBB241_512:                            ;   in Loop: Header=BB241_13 Depth=1
	s_or_b64 exec, exec, s[40:41]
.LBB241_513:                            ;   in Loop: Header=BB241_13 Depth=1
	s_or_b64 exec, exec, s[38:39]
.LBB241_514:                            ;   in Loop: Header=BB241_13 Depth=1
	s_or_b64 exec, exec, s[36:37]
	v_cmp_ne_u16_sdwa vcc, v2, v5 src0_sel:BYTE_1 src1_sel:DWORD
	s_and_saveexec_b64 s[36:37], vcc
	s_cbranch_execz .LBB241_520
; %bb.515:                              ;   in Loop: Header=BB241_13 Depth=1
	v_accvgpr_write_b32 a53, s27
	v_cmp_ne_u16_sdwa vcc, v2, s43 src0_sel:BYTE_1 src1_sel:DWORD
	v_accvgpr_write_b32 a52, s26
	s_and_saveexec_b64 s[38:39], vcc
	s_cbranch_execz .LBB241_519
; %bb.516:                              ;   in Loop: Header=BB241_13 Depth=1
	v_and_b32_sdwa v3, v2, s44 dst_sel:DWORD dst_unused:UNUSED_PAD src0_sel:BYTE_1 src1_sel:DWORD
	s_mov_b32 s34, s26
	v_accvgpr_write_b32 a53, s35
	v_cmp_ne_u32_e32 vcc, s44, v3
	v_accvgpr_write_b32 a52, s34
	s_and_saveexec_b64 s[40:41], vcc
	s_cbranch_execz .LBB241_518
; %bb.517:                              ;   in Loop: Header=BB241_13 Depth=1
	v_mov_b32_e32 v4, 7
	v_and_b32_sdwa v4, v2, v4 dst_sel:DWORD dst_unused:UNUSED_PAD src0_sel:BYTE_1 src1_sel:DWORD
	v_lshrrev_b32_e32 v8, 3, v3
	v_cmp_gt_u32_e32 vcc, 8, v3
	v_ffbh_u32_e32 v3, v4
	v_min_u32_e32 v3, 32, v3
	v_subrev_u32_e32 v6, 28, v3
	v_lshlrev_b64 v[6:7], v6, v[4:5]
	v_sub_u32_e32 v3, 29, v3
	v_and_b32_e32 v6, 7, v6
	v_cndmask_b32_e32 v3, v8, v3, vcc
	v_cndmask_b32_e32 v4, v4, v6, vcc
	v_bfrev_b32_e32 v6, 60
	v_lshlrev_b32_e32 v2, 16, v2
	v_lshl_add_u32 v3, v3, 23, v6
	v_and_or_b32 v2, v2, s27, v3
	v_lshlrev_b32_e32 v3, 20, v4
	v_or_b32_e32 v3, v2, v3
	v_mov_b32_e32 v2, v5
	v_accvgpr_write_b32 a53, v3
	v_accvgpr_write_b32 a52, v2
.LBB241_518:                            ;   in Loop: Header=BB241_13 Depth=1
	s_or_b64 exec, exec, s[40:41]
.LBB241_519:                            ;   in Loop: Header=BB241_13 Depth=1
	s_or_b64 exec, exec, s[38:39]
.LBB241_520:                            ;   in Loop: Header=BB241_13 Depth=1
	s_or_b64 exec, exec, s[36:37]
	flat_load_ushort v3, v[0:1] offset:8
	v_pk_mov_b32 v[6:7], 0, 0
	v_accvgpr_write_b32 a49, v7
	v_accvgpr_write_b32 a55, v7
	;; [unrolled: 1-line block ×4, first 2 shown]
	s_waitcnt vmcnt(0) lgkmcnt(0)
	v_and_b32_e32 v2, 0xffff, v3
	v_cmp_ne_u16_sdwa vcc, v3, v5 src0_sel:BYTE_0 src1_sel:DWORD
	s_and_saveexec_b64 s[36:37], vcc
	s_cbranch_execz .LBB241_526
; %bb.521:                              ;   in Loop: Header=BB241_13 Depth=1
	v_bfrev_b32_e32 v6, 1
	v_mov_b32_e32 v7, 0
	v_accvgpr_write_b32 a55, v7
	v_cmp_ne_u16_sdwa vcc, v2, s43 src0_sel:BYTE_0 src1_sel:DWORD
	v_accvgpr_write_b32 a54, v6
	s_and_saveexec_b64 s[38:39], vcc
	s_cbranch_execz .LBB241_525
; %bb.522:                              ;   in Loop: Header=BB241_13 Depth=1
	v_mov_b32_e32 v6, 0x7f800001
	v_mov_b32_e32 v7, 0
	v_and_b32_e32 v3, 0x7f, v2
	v_accvgpr_write_b32 a55, v7
	v_cmp_ne_u32_e32 vcc, s44, v3
	v_accvgpr_write_b32 a54, v6
	s_and_saveexec_b64 s[40:41], vcc
	s_cbranch_execz .LBB241_524
; %bb.523:                              ;   in Loop: Header=BB241_13 Depth=1
	v_and_b32_e32 v4, 7, v2
	v_lshrrev_b32_e32 v8, 3, v3
	v_cmp_gt_u32_e32 vcc, 8, v3
	v_ffbh_u32_e32 v3, v4
	v_min_u32_e32 v3, 32, v3
	v_subrev_u32_e32 v6, 28, v3
	v_lshlrev_b64 v[6:7], v6, v[2:3]
	v_sub_u32_e32 v3, 29, v3
	v_and_b32_e32 v6, 7, v6
	v_cndmask_b32_e32 v3, v8, v3, vcc
	v_cndmask_b32_e32 v4, v4, v6, vcc
	v_bfrev_b32_e32 v7, 60
	v_lshlrev_b32_e32 v4, 20, v4
	v_and_b32_sdwa v6, sext(v2), s27 dst_sel:DWORD dst_unused:UNUSED_PAD src0_sel:BYTE_0 src1_sel:DWORD
	v_lshl_add_u32 v3, v3, 23, v7
	v_or3_b32 v4, v6, v3, v4
	v_accvgpr_write_b32 a55, v5
	v_accvgpr_write_b32 a54, v4
.LBB241_524:                            ;   in Loop: Header=BB241_13 Depth=1
	s_or_b64 exec, exec, s[40:41]
.LBB241_525:                            ;   in Loop: Header=BB241_13 Depth=1
	s_or_b64 exec, exec, s[38:39]
.LBB241_526:                            ;   in Loop: Header=BB241_13 Depth=1
	s_or_b64 exec, exec, s[36:37]
	v_cmp_ne_u16_sdwa vcc, v2, v5 src0_sel:BYTE_1 src1_sel:DWORD
	s_and_saveexec_b64 s[36:37], vcc
	s_cbranch_execz .LBB241_532
; %bb.527:                              ;   in Loop: Header=BB241_13 Depth=1
	v_accvgpr_write_b32 a49, s27
	v_cmp_ne_u16_sdwa vcc, v2, s43 src0_sel:BYTE_1 src1_sel:DWORD
	v_accvgpr_write_b32 a48, s26
	s_and_saveexec_b64 s[38:39], vcc
	s_cbranch_execz .LBB241_531
; %bb.528:                              ;   in Loop: Header=BB241_13 Depth=1
	v_and_b32_sdwa v3, v2, s44 dst_sel:DWORD dst_unused:UNUSED_PAD src0_sel:BYTE_1 src1_sel:DWORD
	s_mov_b32 s34, s26
	v_accvgpr_write_b32 a49, s35
	v_cmp_ne_u32_e32 vcc, s44, v3
	v_accvgpr_write_b32 a48, s34
	s_and_saveexec_b64 s[40:41], vcc
	s_cbranch_execz .LBB241_530
; %bb.529:                              ;   in Loop: Header=BB241_13 Depth=1
	v_mov_b32_e32 v4, 7
	v_and_b32_sdwa v4, v2, v4 dst_sel:DWORD dst_unused:UNUSED_PAD src0_sel:BYTE_1 src1_sel:DWORD
	v_lshrrev_b32_e32 v8, 3, v3
	v_cmp_gt_u32_e32 vcc, 8, v3
	v_ffbh_u32_e32 v3, v4
	v_min_u32_e32 v3, 32, v3
	v_subrev_u32_e32 v6, 28, v3
	v_lshlrev_b64 v[6:7], v6, v[4:5]
	v_sub_u32_e32 v3, 29, v3
	v_and_b32_e32 v6, 7, v6
	v_cndmask_b32_e32 v3, v8, v3, vcc
	v_cndmask_b32_e32 v4, v4, v6, vcc
	v_bfrev_b32_e32 v6, 60
	v_lshlrev_b32_e32 v2, 16, v2
	v_lshl_add_u32 v3, v3, 23, v6
	v_and_or_b32 v2, v2, s27, v3
	v_lshlrev_b32_e32 v3, 20, v4
	v_or_b32_e32 v3, v2, v3
	v_mov_b32_e32 v2, v5
	v_accvgpr_write_b32 a49, v3
	v_accvgpr_write_b32 a48, v2
.LBB241_530:                            ;   in Loop: Header=BB241_13 Depth=1
	s_or_b64 exec, exec, s[40:41]
.LBB241_531:                            ;   in Loop: Header=BB241_13 Depth=1
	s_or_b64 exec, exec, s[38:39]
.LBB241_532:                            ;   in Loop: Header=BB241_13 Depth=1
	s_or_b64 exec, exec, s[36:37]
	flat_load_ushort v1, v[0:1] offset:12
	v_pk_mov_b32 v[2:3], 0, 0
	v_accvgpr_write_b32 a61, v3
	v_accvgpr_write_b32 a51, v3
	;; [unrolled: 1-line block ×4, first 2 shown]
	s_waitcnt vmcnt(0) lgkmcnt(0)
	v_and_b32_e32 v0, 0xffff, v1
	v_cmp_ne_u16_sdwa vcc, v1, v5 src0_sel:BYTE_0 src1_sel:DWORD
	s_and_saveexec_b64 s[36:37], vcc
	s_cbranch_execz .LBB241_538
; %bb.533:                              ;   in Loop: Header=BB241_13 Depth=1
	v_bfrev_b32_e32 v2, 1
	v_mov_b32_e32 v3, 0
	v_accvgpr_write_b32 a51, v3
	v_cmp_ne_u16_sdwa vcc, v0, s43 src0_sel:BYTE_0 src1_sel:DWORD
	v_accvgpr_write_b32 a50, v2
	s_and_saveexec_b64 s[38:39], vcc
	s_cbranch_execz .LBB241_537
; %bb.534:                              ;   in Loop: Header=BB241_13 Depth=1
	v_mov_b32_e32 v2, 0x7f800001
	v_mov_b32_e32 v3, 0
	v_and_b32_e32 v1, 0x7f, v0
	v_accvgpr_write_b32 a51, v3
	v_cmp_ne_u32_e32 vcc, s44, v1
	v_accvgpr_write_b32 a50, v2
	s_and_saveexec_b64 s[40:41], vcc
	s_cbranch_execz .LBB241_536
; %bb.535:                              ;   in Loop: Header=BB241_13 Depth=1
	v_and_b32_e32 v4, 7, v0
	v_lshrrev_b32_e32 v6, 3, v1
	v_cmp_gt_u32_e32 vcc, 8, v1
	v_ffbh_u32_e32 v1, v4
	v_min_u32_e32 v1, 32, v1
	v_subrev_u32_e32 v2, 28, v1
	v_lshlrev_b64 v[2:3], v2, v[0:1]
	v_sub_u32_e32 v1, 29, v1
	v_and_b32_e32 v2, 7, v2
	v_cndmask_b32_e32 v1, v6, v1, vcc
	v_cndmask_b32_e32 v2, v4, v2, vcc
	v_bfrev_b32_e32 v4, 60
	v_lshlrev_b32_e32 v2, 20, v2
	v_and_b32_sdwa v3, sext(v0), s27 dst_sel:DWORD dst_unused:UNUSED_PAD src0_sel:BYTE_0 src1_sel:DWORD
	v_lshl_add_u32 v1, v1, 23, v4
	v_or3_b32 v4, v3, v1, v2
	v_accvgpr_write_b32 a51, v5
	v_accvgpr_write_b32 a50, v4
.LBB241_536:                            ;   in Loop: Header=BB241_13 Depth=1
	s_or_b64 exec, exec, s[40:41]
.LBB241_537:                            ;   in Loop: Header=BB241_13 Depth=1
	s_or_b64 exec, exec, s[38:39]
.LBB241_538:                            ;   in Loop: Header=BB241_13 Depth=1
	s_or_b64 exec, exec, s[36:37]
	v_cmp_ne_u16_sdwa vcc, v0, v5 src0_sel:BYTE_1 src1_sel:DWORD
	s_and_saveexec_b64 s[36:37], vcc
	s_cbranch_execz .LBB241_544
; %bb.539:                              ;   in Loop: Header=BB241_13 Depth=1
	v_accvgpr_write_b32 a61, s27
	v_cmp_ne_u16_sdwa vcc, v0, s43 src0_sel:BYTE_1 src1_sel:DWORD
	v_accvgpr_write_b32 a60, s26
	s_and_saveexec_b64 s[38:39], vcc
	s_cbranch_execz .LBB241_543
; %bb.540:                              ;   in Loop: Header=BB241_13 Depth=1
	v_and_b32_sdwa v1, v0, s44 dst_sel:DWORD dst_unused:UNUSED_PAD src0_sel:BYTE_1 src1_sel:DWORD
	s_mov_b32 s34, s26
	v_accvgpr_write_b32 a61, s35
	v_cmp_ne_u32_e32 vcc, s44, v1
	v_accvgpr_write_b32 a60, s34
	s_and_saveexec_b64 s[40:41], vcc
	s_cbranch_execz .LBB241_542
; %bb.541:                              ;   in Loop: Header=BB241_13 Depth=1
	v_mov_b32_e32 v2, 7
	v_and_b32_sdwa v4, v0, v2 dst_sel:DWORD dst_unused:UNUSED_PAD src0_sel:BYTE_1 src1_sel:DWORD
	v_lshrrev_b32_e32 v6, 3, v1
	v_cmp_gt_u32_e32 vcc, 8, v1
	v_ffbh_u32_e32 v1, v4
	v_min_u32_e32 v1, 32, v1
	v_subrev_u32_e32 v2, 28, v1
	v_lshlrev_b64 v[2:3], v2, v[4:5]
	v_sub_u32_e32 v1, 29, v1
	v_and_b32_e32 v2, 7, v2
	v_cndmask_b32_e32 v1, v6, v1, vcc
	v_bfrev_b32_e32 v3, 60
	v_cndmask_b32_e32 v2, v4, v2, vcc
	v_lshlrev_b32_e32 v0, 16, v0
	v_lshl_add_u32 v1, v1, 23, v3
	v_and_or_b32 v0, v0, s27, v1
	v_lshlrev_b32_e32 v1, 20, v2
	v_or_b32_e32 v1, v0, v1
	v_mov_b32_e32 v0, v5
	v_accvgpr_write_b32 a61, v1
	v_accvgpr_write_b32 a60, v0
.LBB241_542:                            ;   in Loop: Header=BB241_13 Depth=1
	s_or_b64 exec, exec, s[40:41]
.LBB241_543:                            ;   in Loop: Header=BB241_13 Depth=1
	s_or_b64 exec, exec, s[38:39]
.LBB241_544:                            ;   in Loop: Header=BB241_13 Depth=1
	s_or_b64 exec, exec, s[36:37]
	v_add_co_u32_e32 v0, vcc, 0x1000, v18
	v_addc_co_u32_e32 v1, vcc, 0, v19, vcc
	flat_load_ushort v1, v[0:1] offset:1536
	v_pk_mov_b32 v[2:3], 0, 0
	v_accvgpr_write_b32 a43, v3
	v_accvgpr_write_b32 a63, v3
	;; [unrolled: 1-line block ×4, first 2 shown]
	s_waitcnt vmcnt(0) lgkmcnt(0)
	v_and_b32_e32 v0, 0xffff, v1
	v_cmp_ne_u16_sdwa vcc, v1, v5 src0_sel:BYTE_0 src1_sel:DWORD
	s_and_saveexec_b64 s[36:37], vcc
	s_cbranch_execz .LBB241_550
; %bb.545:                              ;   in Loop: Header=BB241_13 Depth=1
	v_bfrev_b32_e32 v2, 1
	v_mov_b32_e32 v3, 0
	v_accvgpr_write_b32 a63, v3
	v_cmp_ne_u16_sdwa vcc, v0, s43 src0_sel:BYTE_0 src1_sel:DWORD
	v_accvgpr_write_b32 a62, v2
	s_and_saveexec_b64 s[38:39], vcc
	s_cbranch_execz .LBB241_549
; %bb.546:                              ;   in Loop: Header=BB241_13 Depth=1
	v_mov_b32_e32 v2, 0x7f800001
	v_mov_b32_e32 v3, 0
	v_and_b32_e32 v1, 0x7f, v0
	v_accvgpr_write_b32 a63, v3
	v_cmp_ne_u32_e32 vcc, s44, v1
	v_accvgpr_write_b32 a62, v2
	s_and_saveexec_b64 s[40:41], vcc
	s_cbranch_execz .LBB241_548
; %bb.547:                              ;   in Loop: Header=BB241_13 Depth=1
	v_and_b32_e32 v4, 7, v0
	v_lshrrev_b32_e32 v6, 3, v1
	v_cmp_gt_u32_e32 vcc, 8, v1
	v_ffbh_u32_e32 v1, v4
	v_min_u32_e32 v1, 32, v1
	v_subrev_u32_e32 v2, 28, v1
	v_lshlrev_b64 v[2:3], v2, v[0:1]
	v_sub_u32_e32 v1, 29, v1
	v_and_b32_e32 v2, 7, v2
	v_cndmask_b32_e32 v1, v6, v1, vcc
	v_cndmask_b32_e32 v2, v4, v2, vcc
	v_bfrev_b32_e32 v4, 60
	v_lshlrev_b32_e32 v2, 20, v2
	v_and_b32_sdwa v3, sext(v0), s27 dst_sel:DWORD dst_unused:UNUSED_PAD src0_sel:BYTE_0 src1_sel:DWORD
	v_lshl_add_u32 v1, v1, 23, v4
	v_or3_b32 v4, v3, v1, v2
	v_accvgpr_write_b32 a63, v5
	v_accvgpr_write_b32 a62, v4
.LBB241_548:                            ;   in Loop: Header=BB241_13 Depth=1
	s_or_b64 exec, exec, s[40:41]
.LBB241_549:                            ;   in Loop: Header=BB241_13 Depth=1
	s_or_b64 exec, exec, s[38:39]
.LBB241_550:                            ;   in Loop: Header=BB241_13 Depth=1
	s_or_b64 exec, exec, s[36:37]
	v_cmp_ne_u16_sdwa vcc, v0, v5 src0_sel:BYTE_1 src1_sel:DWORD
	s_and_saveexec_b64 s[36:37], vcc
	s_cbranch_execz .LBB241_556
; %bb.551:                              ;   in Loop: Header=BB241_13 Depth=1
	v_accvgpr_write_b32 a43, s27
	v_cmp_ne_u16_sdwa vcc, v0, s43 src0_sel:BYTE_1 src1_sel:DWORD
	v_accvgpr_write_b32 a42, s26
	s_and_saveexec_b64 s[38:39], vcc
	s_cbranch_execz .LBB241_555
; %bb.552:                              ;   in Loop: Header=BB241_13 Depth=1
	v_and_b32_sdwa v1, v0, s44 dst_sel:DWORD dst_unused:UNUSED_PAD src0_sel:BYTE_1 src1_sel:DWORD
	s_mov_b32 s34, s26
	v_accvgpr_write_b32 a43, s35
	v_cmp_ne_u32_e32 vcc, s44, v1
	v_accvgpr_write_b32 a42, s34
	s_and_saveexec_b64 s[40:41], vcc
	s_cbranch_execz .LBB241_554
; %bb.553:                              ;   in Loop: Header=BB241_13 Depth=1
	v_mov_b32_e32 v2, 7
	v_and_b32_sdwa v4, v0, v2 dst_sel:DWORD dst_unused:UNUSED_PAD src0_sel:BYTE_1 src1_sel:DWORD
	v_lshrrev_b32_e32 v6, 3, v1
	v_cmp_gt_u32_e32 vcc, 8, v1
	v_ffbh_u32_e32 v1, v4
	v_min_u32_e32 v1, 32, v1
	v_subrev_u32_e32 v2, 28, v1
	v_lshlrev_b64 v[2:3], v2, v[4:5]
	v_sub_u32_e32 v1, 29, v1
	v_and_b32_e32 v2, 7, v2
	v_cndmask_b32_e32 v1, v6, v1, vcc
	v_bfrev_b32_e32 v3, 60
	v_cndmask_b32_e32 v2, v4, v2, vcc
	v_lshlrev_b32_e32 v0, 16, v0
	v_lshl_add_u32 v1, v1, 23, v3
	v_and_or_b32 v0, v0, s27, v1
	v_lshlrev_b32_e32 v1, 20, v2
	v_or_b32_e32 v1, v0, v1
	v_mov_b32_e32 v0, v5
	v_accvgpr_write_b32 a43, v1
	v_accvgpr_write_b32 a42, v0
.LBB241_554:                            ;   in Loop: Header=BB241_13 Depth=1
	s_or_b64 exec, exec, s[40:41]
.LBB241_555:                            ;   in Loop: Header=BB241_13 Depth=1
	s_or_b64 exec, exec, s[38:39]
.LBB241_556:                            ;   in Loop: Header=BB241_13 Depth=1
	s_or_b64 exec, exec, s[36:37]
	v_add_co_u32_e32 v0, vcc, 0x1600, v18
	v_addc_co_u32_e32 v1, vcc, 0, v19, vcc
	flat_load_ushort v3, v[0:1] offset:4
	v_pk_mov_b32 v[6:7], 0, 0
	v_accvgpr_write_b32 a15, v7
	v_accvgpr_write_b32 a6, v6
	v_accvgpr_write_b32 a14, v6
	v_accvgpr_write_b32 a7, v7
	s_waitcnt vmcnt(0) lgkmcnt(0)
	v_and_b32_e32 v2, 0xffff, v3
	v_cmp_ne_u16_sdwa vcc, v3, v5 src0_sel:BYTE_0 src1_sel:DWORD
	s_and_saveexec_b64 s[36:37], vcc
	s_cbranch_execz .LBB241_562
; %bb.557:                              ;   in Loop: Header=BB241_13 Depth=1
	v_bfrev_b32_e32 v6, 1
	v_mov_b32_e32 v7, 0
	v_accvgpr_write_b32 a6, v6
	v_cmp_ne_u16_sdwa vcc, v2, s43 src0_sel:BYTE_0 src1_sel:DWORD
	v_accvgpr_write_b32 a7, v7
	s_and_saveexec_b64 s[38:39], vcc
	s_cbranch_execz .LBB241_561
; %bb.558:                              ;   in Loop: Header=BB241_13 Depth=1
	v_mov_b32_e32 v6, 0x7f800001
	v_and_b32_e32 v3, 0x7f, v2
	v_mov_b32_e32 v7, 0
	v_accvgpr_write_b32 a6, v6
	v_cmp_ne_u32_e32 vcc, s44, v3
	v_accvgpr_write_b32 a7, v7
	s_and_saveexec_b64 s[40:41], vcc
	s_cbranch_execz .LBB241_560
; %bb.559:                              ;   in Loop: Header=BB241_13 Depth=1
	v_and_b32_e32 v4, 7, v2
	v_lshrrev_b32_e32 v8, 3, v3
	v_cmp_gt_u32_e32 vcc, 8, v3
	v_ffbh_u32_e32 v3, v4
	v_min_u32_e32 v3, 32, v3
	v_subrev_u32_e32 v6, 28, v3
	v_lshlrev_b64 v[6:7], v6, v[2:3]
	v_sub_u32_e32 v3, 29, v3
	v_and_b32_e32 v6, 7, v6
	v_cndmask_b32_e32 v3, v8, v3, vcc
	v_cndmask_b32_e32 v4, v4, v6, vcc
	v_bfrev_b32_e32 v7, 60
	v_lshlrev_b32_e32 v4, 20, v4
	v_and_b32_sdwa v6, sext(v2), s27 dst_sel:DWORD dst_unused:UNUSED_PAD src0_sel:BYTE_0 src1_sel:DWORD
	v_lshl_add_u32 v3, v3, 23, v7
	v_or3_b32 v4, v6, v3, v4
	v_accvgpr_write_b32 a7, v5
	v_accvgpr_write_b32 a6, v4
.LBB241_560:                            ;   in Loop: Header=BB241_13 Depth=1
	s_or_b64 exec, exec, s[40:41]
.LBB241_561:                            ;   in Loop: Header=BB241_13 Depth=1
	s_or_b64 exec, exec, s[38:39]
.LBB241_562:                            ;   in Loop: Header=BB241_13 Depth=1
	s_or_b64 exec, exec, s[36:37]
	v_cmp_ne_u16_sdwa vcc, v2, v5 src0_sel:BYTE_1 src1_sel:DWORD
	s_and_saveexec_b64 s[36:37], vcc
	s_cbranch_execz .LBB241_568
; %bb.563:                              ;   in Loop: Header=BB241_13 Depth=1
	v_accvgpr_write_b32 a14, s26
	v_cmp_ne_u16_sdwa vcc, v2, s43 src0_sel:BYTE_1 src1_sel:DWORD
	v_accvgpr_write_b32 a15, s27
	s_and_saveexec_b64 s[38:39], vcc
	s_cbranch_execz .LBB241_567
; %bb.564:                              ;   in Loop: Header=BB241_13 Depth=1
	s_mov_b32 s34, s26
	v_and_b32_sdwa v3, v2, s44 dst_sel:DWORD dst_unused:UNUSED_PAD src0_sel:BYTE_1 src1_sel:DWORD
	v_accvgpr_write_b32 a14, s34
	v_cmp_ne_u32_e32 vcc, s44, v3
	v_accvgpr_write_b32 a15, s35
	s_and_saveexec_b64 s[40:41], vcc
	s_cbranch_execz .LBB241_566
; %bb.565:                              ;   in Loop: Header=BB241_13 Depth=1
	v_mov_b32_e32 v4, 7
	v_and_b32_sdwa v4, v2, v4 dst_sel:DWORD dst_unused:UNUSED_PAD src0_sel:BYTE_1 src1_sel:DWORD
	v_lshrrev_b32_e32 v8, 3, v3
	v_cmp_gt_u32_e32 vcc, 8, v3
	v_ffbh_u32_e32 v3, v4
	v_min_u32_e32 v3, 32, v3
	v_subrev_u32_e32 v6, 28, v3
	v_lshlrev_b64 v[6:7], v6, v[4:5]
	v_sub_u32_e32 v3, 29, v3
	v_and_b32_e32 v6, 7, v6
	v_cndmask_b32_e32 v3, v8, v3, vcc
	v_cndmask_b32_e32 v4, v4, v6, vcc
	v_bfrev_b32_e32 v6, 60
	v_lshlrev_b32_e32 v2, 16, v2
	v_lshl_add_u32 v3, v3, 23, v6
	v_and_or_b32 v2, v2, s27, v3
	v_lshlrev_b32_e32 v3, 20, v4
	v_or_b32_e32 v3, v2, v3
	v_mov_b32_e32 v2, v5
	v_accvgpr_write_b32 a15, v3
	v_accvgpr_write_b32 a14, v2
.LBB241_566:                            ;   in Loop: Header=BB241_13 Depth=1
	s_or_b64 exec, exec, s[40:41]
.LBB241_567:                            ;   in Loop: Header=BB241_13 Depth=1
	s_or_b64 exec, exec, s[38:39]
.LBB241_568:                            ;   in Loop: Header=BB241_13 Depth=1
	s_or_b64 exec, exec, s[36:37]
	flat_load_ushort v3, v[0:1] offset:8
	v_pk_mov_b32 v[6:7], 0, 0
	v_accvgpr_write_b32 a9, v7
	v_accvgpr_write_b32 a59, v7
	;; [unrolled: 1-line block ×4, first 2 shown]
	s_waitcnt vmcnt(0) lgkmcnt(0)
	v_and_b32_e32 v2, 0xffff, v3
	v_cmp_ne_u16_sdwa vcc, v3, v5 src0_sel:BYTE_0 src1_sel:DWORD
	s_and_saveexec_b64 s[36:37], vcc
	s_cbranch_execz .LBB241_574
; %bb.569:                              ;   in Loop: Header=BB241_13 Depth=1
	v_bfrev_b32_e32 v6, 1
	v_mov_b32_e32 v7, 0
	v_accvgpr_write_b32 a59, v7
	v_cmp_ne_u16_sdwa vcc, v2, s43 src0_sel:BYTE_0 src1_sel:DWORD
	v_accvgpr_write_b32 a58, v6
	s_and_saveexec_b64 s[38:39], vcc
	s_cbranch_execz .LBB241_573
; %bb.570:                              ;   in Loop: Header=BB241_13 Depth=1
	v_mov_b32_e32 v6, 0x7f800001
	v_mov_b32_e32 v7, 0
	v_and_b32_e32 v3, 0x7f, v2
	v_accvgpr_write_b32 a59, v7
	v_cmp_ne_u32_e32 vcc, s44, v3
	v_accvgpr_write_b32 a58, v6
	s_and_saveexec_b64 s[40:41], vcc
	s_cbranch_execz .LBB241_572
; %bb.571:                              ;   in Loop: Header=BB241_13 Depth=1
	v_and_b32_e32 v4, 7, v2
	v_lshrrev_b32_e32 v8, 3, v3
	v_cmp_gt_u32_e32 vcc, 8, v3
	v_ffbh_u32_e32 v3, v4
	v_min_u32_e32 v3, 32, v3
	v_subrev_u32_e32 v6, 28, v3
	v_lshlrev_b64 v[6:7], v6, v[2:3]
	v_sub_u32_e32 v3, 29, v3
	v_and_b32_e32 v6, 7, v6
	v_cndmask_b32_e32 v3, v8, v3, vcc
	v_cndmask_b32_e32 v4, v4, v6, vcc
	v_bfrev_b32_e32 v7, 60
	v_lshlrev_b32_e32 v4, 20, v4
	v_and_b32_sdwa v6, sext(v2), s27 dst_sel:DWORD dst_unused:UNUSED_PAD src0_sel:BYTE_0 src1_sel:DWORD
	v_lshl_add_u32 v3, v3, 23, v7
	v_or3_b32 v4, v6, v3, v4
	v_accvgpr_write_b32 a59, v5
	v_accvgpr_write_b32 a58, v4
.LBB241_572:                            ;   in Loop: Header=BB241_13 Depth=1
	s_or_b64 exec, exec, s[40:41]
.LBB241_573:                            ;   in Loop: Header=BB241_13 Depth=1
	s_or_b64 exec, exec, s[38:39]
.LBB241_574:                            ;   in Loop: Header=BB241_13 Depth=1
	s_or_b64 exec, exec, s[36:37]
	v_cmp_ne_u16_sdwa vcc, v2, v5 src0_sel:BYTE_1 src1_sel:DWORD
	s_and_saveexec_b64 s[36:37], vcc
	s_cbranch_execz .LBB241_580
; %bb.575:                              ;   in Loop: Header=BB241_13 Depth=1
	v_accvgpr_write_b32 a8, s26
	v_cmp_ne_u16_sdwa vcc, v2, s43 src0_sel:BYTE_1 src1_sel:DWORD
	v_accvgpr_write_b32 a9, s27
	s_and_saveexec_b64 s[38:39], vcc
	s_cbranch_execz .LBB241_579
; %bb.576:                              ;   in Loop: Header=BB241_13 Depth=1
	s_mov_b32 s34, s26
	v_and_b32_sdwa v3, v2, s44 dst_sel:DWORD dst_unused:UNUSED_PAD src0_sel:BYTE_1 src1_sel:DWORD
	v_accvgpr_write_b32 a8, s34
	v_cmp_ne_u32_e32 vcc, s44, v3
	v_accvgpr_write_b32 a9, s35
	s_and_saveexec_b64 s[40:41], vcc
	s_cbranch_execz .LBB241_578
; %bb.577:                              ;   in Loop: Header=BB241_13 Depth=1
	v_mov_b32_e32 v4, 7
	v_and_b32_sdwa v4, v2, v4 dst_sel:DWORD dst_unused:UNUSED_PAD src0_sel:BYTE_1 src1_sel:DWORD
	v_lshrrev_b32_e32 v8, 3, v3
	v_cmp_gt_u32_e32 vcc, 8, v3
	v_ffbh_u32_e32 v3, v4
	v_min_u32_e32 v3, 32, v3
	v_subrev_u32_e32 v6, 28, v3
	v_lshlrev_b64 v[6:7], v6, v[4:5]
	v_sub_u32_e32 v3, 29, v3
	v_and_b32_e32 v6, 7, v6
	v_cndmask_b32_e32 v3, v8, v3, vcc
	v_cndmask_b32_e32 v4, v4, v6, vcc
	v_bfrev_b32_e32 v6, 60
	v_lshlrev_b32_e32 v2, 16, v2
	v_lshl_add_u32 v3, v3, 23, v6
	v_and_or_b32 v2, v2, s27, v3
	v_lshlrev_b32_e32 v3, 20, v4
	v_or_b32_e32 v3, v2, v3
	v_mov_b32_e32 v2, v5
	v_accvgpr_write_b32 a9, v3
	v_accvgpr_write_b32 a8, v2
.LBB241_578:                            ;   in Loop: Header=BB241_13 Depth=1
	s_or_b64 exec, exec, s[40:41]
.LBB241_579:                            ;   in Loop: Header=BB241_13 Depth=1
	s_or_b64 exec, exec, s[38:39]
.LBB241_580:                            ;   in Loop: Header=BB241_13 Depth=1
	s_or_b64 exec, exec, s[36:37]
	flat_load_ushort v1, v[0:1] offset:12
	v_pk_mov_b32 v[2:3], 0, 0
	v_accvgpr_write_b32 a41, v3
	v_accvgpr_write_b32 a57, v3
	;; [unrolled: 1-line block ×4, first 2 shown]
	s_waitcnt vmcnt(0) lgkmcnt(0)
	v_and_b32_e32 v0, 0xffff, v1
	v_cmp_ne_u16_sdwa vcc, v1, v5 src0_sel:BYTE_0 src1_sel:DWORD
	s_and_saveexec_b64 s[36:37], vcc
	s_cbranch_execz .LBB241_586
; %bb.581:                              ;   in Loop: Header=BB241_13 Depth=1
	v_bfrev_b32_e32 v2, 1
	v_mov_b32_e32 v3, 0
	v_accvgpr_write_b32 a57, v3
	v_cmp_ne_u16_sdwa vcc, v0, s43 src0_sel:BYTE_0 src1_sel:DWORD
	v_accvgpr_write_b32 a56, v2
	s_and_saveexec_b64 s[38:39], vcc
	s_cbranch_execz .LBB241_585
; %bb.582:                              ;   in Loop: Header=BB241_13 Depth=1
	v_mov_b32_e32 v2, 0x7f800001
	v_mov_b32_e32 v3, 0
	v_and_b32_e32 v1, 0x7f, v0
	v_accvgpr_write_b32 a57, v3
	v_cmp_ne_u32_e32 vcc, s44, v1
	v_accvgpr_write_b32 a56, v2
	s_and_saveexec_b64 s[40:41], vcc
	s_cbranch_execz .LBB241_584
; %bb.583:                              ;   in Loop: Header=BB241_13 Depth=1
	v_and_b32_e32 v4, 7, v0
	v_lshrrev_b32_e32 v6, 3, v1
	v_cmp_gt_u32_e32 vcc, 8, v1
	v_ffbh_u32_e32 v1, v4
	v_min_u32_e32 v1, 32, v1
	v_subrev_u32_e32 v2, 28, v1
	v_lshlrev_b64 v[2:3], v2, v[0:1]
	v_sub_u32_e32 v1, 29, v1
	v_and_b32_e32 v2, 7, v2
	v_cndmask_b32_e32 v1, v6, v1, vcc
	v_cndmask_b32_e32 v2, v4, v2, vcc
	v_bfrev_b32_e32 v4, 60
	v_lshlrev_b32_e32 v2, 20, v2
	v_and_b32_sdwa v3, sext(v0), s27 dst_sel:DWORD dst_unused:UNUSED_PAD src0_sel:BYTE_0 src1_sel:DWORD
	v_lshl_add_u32 v1, v1, 23, v4
	v_or3_b32 v4, v3, v1, v2
	v_accvgpr_write_b32 a57, v5
	v_accvgpr_write_b32 a56, v4
.LBB241_584:                            ;   in Loop: Header=BB241_13 Depth=1
	s_or_b64 exec, exec, s[40:41]
.LBB241_585:                            ;   in Loop: Header=BB241_13 Depth=1
	s_or_b64 exec, exec, s[38:39]
.LBB241_586:                            ;   in Loop: Header=BB241_13 Depth=1
	s_or_b64 exec, exec, s[36:37]
	v_cmp_ne_u16_sdwa vcc, v0, v5 src0_sel:BYTE_1 src1_sel:DWORD
	s_and_saveexec_b64 s[36:37], vcc
	s_cbranch_execz .LBB241_592
; %bb.587:                              ;   in Loop: Header=BB241_13 Depth=1
	v_accvgpr_write_b32 a41, s27
	v_cmp_ne_u16_sdwa vcc, v0, s43 src0_sel:BYTE_1 src1_sel:DWORD
	v_accvgpr_write_b32 a40, s26
	s_and_saveexec_b64 s[38:39], vcc
	s_cbranch_execz .LBB241_591
; %bb.588:                              ;   in Loop: Header=BB241_13 Depth=1
	v_and_b32_sdwa v1, v0, s44 dst_sel:DWORD dst_unused:UNUSED_PAD src0_sel:BYTE_1 src1_sel:DWORD
	s_mov_b32 s34, s26
	v_accvgpr_write_b32 a41, s35
	v_cmp_ne_u32_e32 vcc, s44, v1
	v_accvgpr_write_b32 a40, s34
	s_and_saveexec_b64 s[40:41], vcc
	s_cbranch_execz .LBB241_590
; %bb.589:                              ;   in Loop: Header=BB241_13 Depth=1
	v_mov_b32_e32 v2, 7
	v_and_b32_sdwa v4, v0, v2 dst_sel:DWORD dst_unused:UNUSED_PAD src0_sel:BYTE_1 src1_sel:DWORD
	v_lshrrev_b32_e32 v6, 3, v1
	v_cmp_gt_u32_e32 vcc, 8, v1
	v_ffbh_u32_e32 v1, v4
	v_min_u32_e32 v1, 32, v1
	v_subrev_u32_e32 v2, 28, v1
	v_lshlrev_b64 v[2:3], v2, v[4:5]
	v_sub_u32_e32 v1, 29, v1
	v_and_b32_e32 v2, 7, v2
	v_cndmask_b32_e32 v1, v6, v1, vcc
	v_bfrev_b32_e32 v3, 60
	v_cndmask_b32_e32 v2, v4, v2, vcc
	v_lshlrev_b32_e32 v0, 16, v0
	v_lshl_add_u32 v1, v1, 23, v3
	v_and_or_b32 v0, v0, s27, v1
	v_lshlrev_b32_e32 v1, 20, v2
	v_or_b32_e32 v1, v0, v1
	v_mov_b32_e32 v0, v5
	v_accvgpr_write_b32 a41, v1
	v_accvgpr_write_b32 a40, v0
.LBB241_590:                            ;   in Loop: Header=BB241_13 Depth=1
	s_or_b64 exec, exec, s[40:41]
.LBB241_591:                            ;   in Loop: Header=BB241_13 Depth=1
	s_or_b64 exec, exec, s[38:39]
.LBB241_592:                            ;   in Loop: Header=BB241_13 Depth=1
	s_or_b64 exec, exec, s[36:37]
	v_add_co_u32_e32 v0, vcc, 0x1000, v18
	v_addc_co_u32_e32 v1, vcc, 0, v19, vcc
	flat_load_ushort v1, v[0:1] offset:2048
	v_pk_mov_b32 v[2:3], 0, 0
	v_accvgpr_write_b32 a33, v3
	v_accvgpr_write_b32 a39, v3
	;; [unrolled: 1-line block ×4, first 2 shown]
	s_waitcnt vmcnt(0) lgkmcnt(0)
	v_and_b32_e32 v0, 0xffff, v1
	v_cmp_ne_u16_sdwa vcc, v1, v5 src0_sel:BYTE_0 src1_sel:DWORD
	s_and_saveexec_b64 s[36:37], vcc
	s_cbranch_execz .LBB241_598
; %bb.593:                              ;   in Loop: Header=BB241_13 Depth=1
	v_bfrev_b32_e32 v2, 1
	v_mov_b32_e32 v3, 0
	v_accvgpr_write_b32 a39, v3
	v_cmp_ne_u16_sdwa vcc, v0, s43 src0_sel:BYTE_0 src1_sel:DWORD
	v_accvgpr_write_b32 a38, v2
	s_and_saveexec_b64 s[38:39], vcc
	s_cbranch_execz .LBB241_597
; %bb.594:                              ;   in Loop: Header=BB241_13 Depth=1
	v_mov_b32_e32 v2, 0x7f800001
	v_mov_b32_e32 v3, 0
	v_and_b32_e32 v1, 0x7f, v0
	v_accvgpr_write_b32 a39, v3
	v_cmp_ne_u32_e32 vcc, s44, v1
	v_accvgpr_write_b32 a38, v2
	s_and_saveexec_b64 s[40:41], vcc
	s_cbranch_execz .LBB241_596
; %bb.595:                              ;   in Loop: Header=BB241_13 Depth=1
	v_and_b32_e32 v4, 7, v0
	v_lshrrev_b32_e32 v6, 3, v1
	v_cmp_gt_u32_e32 vcc, 8, v1
	v_ffbh_u32_e32 v1, v4
	v_min_u32_e32 v1, 32, v1
	v_subrev_u32_e32 v2, 28, v1
	v_lshlrev_b64 v[2:3], v2, v[0:1]
	v_sub_u32_e32 v1, 29, v1
	v_and_b32_e32 v2, 7, v2
	v_cndmask_b32_e32 v1, v6, v1, vcc
	v_cndmask_b32_e32 v2, v4, v2, vcc
	v_bfrev_b32_e32 v4, 60
	v_lshlrev_b32_e32 v2, 20, v2
	v_and_b32_sdwa v3, sext(v0), s27 dst_sel:DWORD dst_unused:UNUSED_PAD src0_sel:BYTE_0 src1_sel:DWORD
	v_lshl_add_u32 v1, v1, 23, v4
	v_or3_b32 v4, v3, v1, v2
	v_accvgpr_write_b32 a39, v5
	v_accvgpr_write_b32 a38, v4
.LBB241_596:                            ;   in Loop: Header=BB241_13 Depth=1
	s_or_b64 exec, exec, s[40:41]
.LBB241_597:                            ;   in Loop: Header=BB241_13 Depth=1
	s_or_b64 exec, exec, s[38:39]
.LBB241_598:                            ;   in Loop: Header=BB241_13 Depth=1
	s_or_b64 exec, exec, s[36:37]
	v_cmp_ne_u16_sdwa vcc, v0, v5 src0_sel:BYTE_1 src1_sel:DWORD
	s_and_saveexec_b64 s[36:37], vcc
	s_cbranch_execz .LBB241_604
; %bb.599:                              ;   in Loop: Header=BB241_13 Depth=1
	v_accvgpr_write_b32 a33, s27
	v_cmp_ne_u16_sdwa vcc, v0, s43 src0_sel:BYTE_1 src1_sel:DWORD
	v_accvgpr_write_b32 a32, s26
	s_and_saveexec_b64 s[38:39], vcc
	s_cbranch_execz .LBB241_603
; %bb.600:                              ;   in Loop: Header=BB241_13 Depth=1
	s_mov_b32 s34, s26
	v_and_b32_sdwa v1, v0, s44 dst_sel:DWORD dst_unused:UNUSED_PAD src0_sel:BYTE_1 src1_sel:DWORD
	v_accvgpr_write_b32 a32, s34
	v_cmp_ne_u32_e32 vcc, s44, v1
	v_accvgpr_write_b32 a33, s35
	s_and_saveexec_b64 s[40:41], vcc
	s_cbranch_execz .LBB241_602
; %bb.601:                              ;   in Loop: Header=BB241_13 Depth=1
	v_mov_b32_e32 v2, 7
	v_and_b32_sdwa v4, v0, v2 dst_sel:DWORD dst_unused:UNUSED_PAD src0_sel:BYTE_1 src1_sel:DWORD
	v_lshrrev_b32_e32 v6, 3, v1
	v_cmp_gt_u32_e32 vcc, 8, v1
	v_ffbh_u32_e32 v1, v4
	v_min_u32_e32 v1, 32, v1
	v_subrev_u32_e32 v2, 28, v1
	v_lshlrev_b64 v[2:3], v2, v[4:5]
	v_sub_u32_e32 v1, 29, v1
	v_and_b32_e32 v2, 7, v2
	v_cndmask_b32_e32 v1, v6, v1, vcc
	v_bfrev_b32_e32 v3, 60
	v_cndmask_b32_e32 v2, v4, v2, vcc
	v_lshlrev_b32_e32 v0, 16, v0
	v_lshl_add_u32 v1, v1, 23, v3
	v_and_or_b32 v0, v0, s27, v1
	v_lshlrev_b32_e32 v1, 20, v2
	v_or_b32_e32 v1, v0, v1
	v_mov_b32_e32 v0, v5
	v_accvgpr_write_b32 a33, v1
	v_accvgpr_write_b32 a32, v0
.LBB241_602:                            ;   in Loop: Header=BB241_13 Depth=1
	s_or_b64 exec, exec, s[40:41]
.LBB241_603:                            ;   in Loop: Header=BB241_13 Depth=1
	s_or_b64 exec, exec, s[38:39]
.LBB241_604:                            ;   in Loop: Header=BB241_13 Depth=1
	s_or_b64 exec, exec, s[36:37]
	v_add_co_u32_e32 v2, vcc, 0x1800, v18
	v_addc_co_u32_e32 v3, vcc, 0, v19, vcc
	flat_load_ushort v0, v[2:3] offset:4
	v_pk_mov_b32 v[8:9], 0, 0
	v_accvgpr_write_b32 a31, v9
	v_accvgpr_write_b32 a13, v9
	;; [unrolled: 1-line block ×4, first 2 shown]
	s_waitcnt vmcnt(0) lgkmcnt(0)
	v_and_b32_e32 v6, 0xffff, v0
	v_cmp_ne_u16_sdwa vcc, v0, v5 src0_sel:BYTE_0 src1_sel:DWORD
	s_and_saveexec_b64 s[36:37], vcc
	s_cbranch_execz .LBB241_610
; %bb.605:                              ;   in Loop: Header=BB241_13 Depth=1
	v_bfrev_b32_e32 v0, 1
	v_mov_b32_e32 v1, 0
	v_accvgpr_write_b32 a13, v1
	v_cmp_ne_u16_sdwa vcc, v6, s43 src0_sel:BYTE_0 src1_sel:DWORD
	v_accvgpr_write_b32 a12, v0
	s_and_saveexec_b64 s[38:39], vcc
	s_cbranch_execz .LBB241_609
; %bb.606:                              ;   in Loop: Header=BB241_13 Depth=1
	v_mov_b32_e32 v0, 0x7f800001
	v_mov_b32_e32 v1, 0
	v_and_b32_e32 v4, 0x7f, v6
	v_accvgpr_write_b32 a13, v1
	v_cmp_ne_u32_e32 vcc, s44, v4
	v_accvgpr_write_b32 a12, v0
	s_and_saveexec_b64 s[40:41], vcc
	s_cbranch_execz .LBB241_608
; %bb.607:                              ;   in Loop: Header=BB241_13 Depth=1
	v_and_b32_e32 v7, 7, v6
	v_ffbh_u32_e32 v0, v7
	v_lshrrev_b32_e32 v8, 3, v4
	v_cmp_gt_u32_e32 vcc, 8, v4
	v_min_u32_e32 v4, 32, v0
	v_subrev_u32_e32 v0, 28, v4
	v_lshlrev_b64 v[0:1], v0, v[6:7]
	v_sub_u32_e32 v1, 29, v4
	v_and_b32_e32 v0, 7, v0
	v_cndmask_b32_e32 v1, v8, v1, vcc
	v_cndmask_b32_e32 v0, v7, v0, vcc
	v_bfrev_b32_e32 v7, 60
	v_lshlrev_b32_e32 v0, 20, v0
	v_and_b32_sdwa v4, sext(v6), s27 dst_sel:DWORD dst_unused:UNUSED_PAD src0_sel:BYTE_0 src1_sel:DWORD
	v_lshl_add_u32 v1, v1, 23, v7
	v_or3_b32 v4, v4, v1, v0
	v_accvgpr_write_b32 a13, v5
	v_accvgpr_write_b32 a12, v4
.LBB241_608:                            ;   in Loop: Header=BB241_13 Depth=1
	s_or_b64 exec, exec, s[40:41]
.LBB241_609:                            ;   in Loop: Header=BB241_13 Depth=1
	s_or_b64 exec, exec, s[38:39]
.LBB241_610:                            ;   in Loop: Header=BB241_13 Depth=1
	s_or_b64 exec, exec, s[36:37]
	v_cmp_ne_u16_sdwa vcc, v6, v5 src0_sel:BYTE_1 src1_sel:DWORD
	s_and_saveexec_b64 s[36:37], vcc
	s_cbranch_execz .LBB241_616
; %bb.611:                              ;   in Loop: Header=BB241_13 Depth=1
	v_accvgpr_write_b32 a31, s27
	v_cmp_ne_u16_sdwa vcc, v6, s43 src0_sel:BYTE_1 src1_sel:DWORD
	v_accvgpr_write_b32 a30, s26
	s_and_saveexec_b64 s[38:39], vcc
	s_cbranch_execz .LBB241_615
; %bb.612:                              ;   in Loop: Header=BB241_13 Depth=1
	s_mov_b32 s34, s26
	v_and_b32_sdwa v7, v6, s44 dst_sel:DWORD dst_unused:UNUSED_PAD src0_sel:BYTE_1 src1_sel:DWORD
	v_accvgpr_write_b32 a30, s34
	v_cmp_ne_u32_e32 vcc, s44, v7
	v_accvgpr_write_b32 a31, s35
	s_and_saveexec_b64 s[40:41], vcc
	s_cbranch_execz .LBB241_614
; %bb.613:                              ;   in Loop: Header=BB241_13 Depth=1
	v_mov_b32_e32 v0, 7
	v_and_b32_sdwa v4, v6, v0 dst_sel:DWORD dst_unused:UNUSED_PAD src0_sel:BYTE_1 src1_sel:DWORD
	v_ffbh_u32_e32 v0, v4
	v_lshrrev_b32_e32 v8, 3, v7
	v_cmp_gt_u32_e32 vcc, 8, v7
	v_min_u32_e32 v7, 32, v0
	v_subrev_u32_e32 v0, 28, v7
	v_lshlrev_b64 v[0:1], v0, v[4:5]
	v_sub_u32_e32 v1, 29, v7
	v_and_b32_e32 v0, 7, v0
	v_cndmask_b32_e32 v1, v8, v1, vcc
	v_cndmask_b32_e32 v0, v4, v0, vcc
	v_lshlrev_b32_e32 v4, 16, v6
	v_bfrev_b32_e32 v6, 60
	v_lshl_add_u32 v1, v1, 23, v6
	v_and_or_b32 v1, v4, s27, v1
	v_lshlrev_b32_e32 v0, 20, v0
	v_or_b32_e32 v1, v1, v0
	v_mov_b32_e32 v0, v5
	v_accvgpr_write_b32 a31, v1
	v_accvgpr_write_b32 a30, v0
.LBB241_614:                            ;   in Loop: Header=BB241_13 Depth=1
	s_or_b64 exec, exec, s[40:41]
.LBB241_615:                            ;   in Loop: Header=BB241_13 Depth=1
	s_or_b64 exec, exec, s[38:39]
.LBB241_616:                            ;   in Loop: Header=BB241_13 Depth=1
	s_or_b64 exec, exec, s[36:37]
	flat_load_ushort v0, v[2:3] offset:8
	v_pk_mov_b32 v[8:9], 0, 0
	v_accvgpr_write_b32 a0, v8
	v_accvgpr_write_b32 a2, v8
	;; [unrolled: 1-line block ×4, first 2 shown]
	s_waitcnt vmcnt(0) lgkmcnt(0)
	v_and_b32_e32 v6, 0xffff, v0
	v_cmp_ne_u16_sdwa vcc, v0, v5 src0_sel:BYTE_0 src1_sel:DWORD
	s_and_saveexec_b64 s[36:37], vcc
	s_cbranch_execz .LBB241_622
; %bb.617:                              ;   in Loop: Header=BB241_13 Depth=1
	v_bfrev_b32_e32 v0, 1
	v_mov_b32_e32 v1, 0
	v_accvgpr_write_b32 a3, v1
	v_cmp_ne_u16_sdwa vcc, v6, s43 src0_sel:BYTE_0 src1_sel:DWORD
	v_accvgpr_write_b32 a2, v0
	s_and_saveexec_b64 s[38:39], vcc
	s_cbranch_execz .LBB241_621
; %bb.618:                              ;   in Loop: Header=BB241_13 Depth=1
	v_mov_b32_e32 v0, 0x7f800001
	v_mov_b32_e32 v1, 0
	v_and_b32_e32 v4, 0x7f, v6
	v_accvgpr_write_b32 a3, v1
	v_cmp_ne_u32_e32 vcc, s44, v4
	v_accvgpr_write_b32 a2, v0
	s_and_saveexec_b64 s[40:41], vcc
	s_cbranch_execz .LBB241_620
; %bb.619:                              ;   in Loop: Header=BB241_13 Depth=1
	v_and_b32_e32 v7, 7, v6
	v_ffbh_u32_e32 v0, v7
	v_lshrrev_b32_e32 v8, 3, v4
	v_cmp_gt_u32_e32 vcc, 8, v4
	v_min_u32_e32 v4, 32, v0
	v_subrev_u32_e32 v0, 28, v4
	v_lshlrev_b64 v[0:1], v0, v[6:7]
	v_sub_u32_e32 v1, 29, v4
	v_and_b32_e32 v0, 7, v0
	v_cndmask_b32_e32 v1, v8, v1, vcc
	v_cndmask_b32_e32 v0, v7, v0, vcc
	v_bfrev_b32_e32 v7, 60
	v_lshlrev_b32_e32 v0, 20, v0
	v_and_b32_sdwa v4, sext(v6), s27 dst_sel:DWORD dst_unused:UNUSED_PAD src0_sel:BYTE_0 src1_sel:DWORD
	v_lshl_add_u32 v1, v1, 23, v7
	v_or3_b32 v4, v4, v1, v0
	v_accvgpr_write_b32 a2, v4
	v_accvgpr_write_b32 a3, v5
.LBB241_620:                            ;   in Loop: Header=BB241_13 Depth=1
	s_or_b64 exec, exec, s[40:41]
.LBB241_621:                            ;   in Loop: Header=BB241_13 Depth=1
	s_or_b64 exec, exec, s[38:39]
.LBB241_622:                            ;   in Loop: Header=BB241_13 Depth=1
	s_or_b64 exec, exec, s[36:37]
	v_cmp_ne_u16_sdwa vcc, v6, v5 src0_sel:BYTE_1 src1_sel:DWORD
	s_and_saveexec_b64 s[36:37], vcc
	s_cbranch_execz .LBB241_628
; %bb.623:                              ;   in Loop: Header=BB241_13 Depth=1
	v_accvgpr_write_b32 a0, s26
	v_cmp_ne_u16_sdwa vcc, v6, s43 src0_sel:BYTE_1 src1_sel:DWORD
	v_accvgpr_write_b32 a1, s27
	s_and_saveexec_b64 s[38:39], vcc
	s_cbranch_execz .LBB241_627
; %bb.624:                              ;   in Loop: Header=BB241_13 Depth=1
	s_mov_b32 s34, s26
	v_and_b32_sdwa v7, v6, s44 dst_sel:DWORD dst_unused:UNUSED_PAD src0_sel:BYTE_1 src1_sel:DWORD
	v_accvgpr_write_b32 a0, s34
	v_cmp_ne_u32_e32 vcc, s44, v7
	v_accvgpr_write_b32 a1, s35
	s_and_saveexec_b64 s[40:41], vcc
	s_cbranch_execz .LBB241_626
; %bb.625:                              ;   in Loop: Header=BB241_13 Depth=1
	v_mov_b32_e32 v0, 7
	v_and_b32_sdwa v4, v6, v0 dst_sel:DWORD dst_unused:UNUSED_PAD src0_sel:BYTE_1 src1_sel:DWORD
	v_ffbh_u32_e32 v0, v4
	v_lshrrev_b32_e32 v8, 3, v7
	v_cmp_gt_u32_e32 vcc, 8, v7
	v_min_u32_e32 v7, 32, v0
	v_subrev_u32_e32 v0, 28, v7
	v_lshlrev_b64 v[0:1], v0, v[4:5]
	v_sub_u32_e32 v1, 29, v7
	v_and_b32_e32 v0, 7, v0
	v_cndmask_b32_e32 v1, v8, v1, vcc
	v_cndmask_b32_e32 v0, v4, v0, vcc
	v_lshlrev_b32_e32 v4, 16, v6
	v_bfrev_b32_e32 v6, 60
	v_lshl_add_u32 v1, v1, 23, v6
	v_and_or_b32 v1, v4, s27, v1
	v_lshlrev_b32_e32 v0, 20, v0
	v_or_b32_e32 v1, v1, v0
	v_mov_b32_e32 v0, v5
	v_accvgpr_write_b32 a0, v0
	v_accvgpr_write_b32 a1, v1
.LBB241_626:                            ;   in Loop: Header=BB241_13 Depth=1
	s_or_b64 exec, exec, s[40:41]
.LBB241_627:                            ;   in Loop: Header=BB241_13 Depth=1
	s_or_b64 exec, exec, s[38:39]
.LBB241_628:                            ;   in Loop: Header=BB241_13 Depth=1
	s_or_b64 exec, exec, s[36:37]
	flat_load_ushort v0, v[2:3] offset:12
	v_pk_mov_b32 v[52:53], 0, 0
	v_accvgpr_write_b32 a28, v52
	v_accvgpr_write_b32 a29, v53
	s_waitcnt vmcnt(0) lgkmcnt(0)
	v_and_b32_e32 v2, 0xffff, v0
	v_cmp_ne_u16_sdwa vcc, v0, v5 src0_sel:BYTE_0 src1_sel:DWORD
	s_and_saveexec_b64 s[36:37], vcc
	s_cbranch_execz .LBB241_634
; %bb.629:                              ;   in Loop: Header=BB241_13 Depth=1
	v_bfrev_b32_e32 v0, 1
	v_mov_b32_e32 v1, 0
	v_accvgpr_write_b32 a29, v1
	v_cmp_ne_u16_sdwa vcc, v2, s43 src0_sel:BYTE_0 src1_sel:DWORD
	v_accvgpr_write_b32 a28, v0
	s_and_saveexec_b64 s[38:39], vcc
	s_cbranch_execz .LBB241_633
; %bb.630:                              ;   in Loop: Header=BB241_13 Depth=1
	v_mov_b32_e32 v0, 0x7f800001
	v_mov_b32_e32 v1, 0
	v_and_b32_e32 v3, 0x7f, v2
	v_accvgpr_write_b32 a29, v1
	v_cmp_ne_u32_e32 vcc, s44, v3
	v_accvgpr_write_b32 a28, v0
	s_and_saveexec_b64 s[40:41], vcc
	s_cbranch_execz .LBB241_632
; %bb.631:                              ;   in Loop: Header=BB241_13 Depth=1
	v_and_b32_e32 v4, 7, v2
	v_ffbh_u32_e32 v0, v4
	v_lshrrev_b32_e32 v6, 3, v3
	v_cmp_gt_u32_e32 vcc, 8, v3
	v_min_u32_e32 v3, 32, v0
	v_subrev_u32_e32 v0, 28, v3
	v_lshlrev_b64 v[0:1], v0, v[2:3]
	v_sub_u32_e32 v1, 29, v3
	v_and_b32_e32 v0, 7, v0
	v_cndmask_b32_e32 v1, v6, v1, vcc
	v_cndmask_b32_e32 v0, v4, v0, vcc
	v_bfrev_b32_e32 v4, 60
	v_lshlrev_b32_e32 v0, 20, v0
	v_and_b32_sdwa v3, sext(v2), s27 dst_sel:DWORD dst_unused:UNUSED_PAD src0_sel:BYTE_0 src1_sel:DWORD
	v_lshl_add_u32 v1, v1, 23, v4
	v_or3_b32 v4, v3, v1, v0
	v_accvgpr_write_b32 a29, v5
	v_accvgpr_write_b32 a28, v4
.LBB241_632:                            ;   in Loop: Header=BB241_13 Depth=1
	s_or_b64 exec, exec, s[40:41]
.LBB241_633:                            ;   in Loop: Header=BB241_13 Depth=1
	s_or_b64 exec, exec, s[38:39]
.LBB241_634:                            ;   in Loop: Header=BB241_13 Depth=1
	s_or_b64 exec, exec, s[36:37]
	v_cmp_ne_u16_sdwa vcc, v2, v5 src0_sel:BYTE_1 src1_sel:DWORD
	s_and_saveexec_b64 s[36:37], vcc
	s_cbranch_execz .LBB241_640
; %bb.635:                              ;   in Loop: Header=BB241_13 Depth=1
	v_cmp_ne_u16_sdwa vcc, v2, s43 src0_sel:BYTE_1 src1_sel:DWORD
	v_pk_mov_b32 v[52:53], s[26:27], s[26:27] op_sel:[0,1]
	s_and_saveexec_b64 s[38:39], vcc
	s_cbranch_execz .LBB241_639
; %bb.636:                              ;   in Loop: Header=BB241_13 Depth=1
	v_and_b32_sdwa v3, v2, s44 dst_sel:DWORD dst_unused:UNUSED_PAD src0_sel:BYTE_1 src1_sel:DWORD
	s_mov_b32 s34, s26
	v_cmp_ne_u32_e32 vcc, s44, v3
	v_pk_mov_b32 v[52:53], s[34:35], s[34:35] op_sel:[0,1]
	s_and_saveexec_b64 s[40:41], vcc
	s_cbranch_execz .LBB241_638
; %bb.637:                              ;   in Loop: Header=BB241_13 Depth=1
	v_mov_b32_e32 v0, 7
	v_and_b32_sdwa v4, v2, v0 dst_sel:DWORD dst_unused:UNUSED_PAD src0_sel:BYTE_1 src1_sel:DWORD
	v_ffbh_u32_e32 v0, v4
	v_lshrrev_b32_e32 v6, 3, v3
	v_cmp_gt_u32_e32 vcc, 8, v3
	v_min_u32_e32 v3, 32, v0
	v_subrev_u32_e32 v0, 28, v3
	v_lshlrev_b64 v[0:1], v0, v[4:5]
	v_sub_u32_e32 v1, 29, v3
	v_and_b32_e32 v0, 7, v0
	v_cndmask_b32_e32 v1, v6, v1, vcc
	v_bfrev_b32_e32 v3, 60
	v_cndmask_b32_e32 v0, v4, v0, vcc
	v_lshlrev_b32_e32 v2, 16, v2
	v_lshl_add_u32 v1, v1, 23, v3
	v_and_or_b32 v1, v2, s27, v1
	v_lshlrev_b32_e32 v0, 20, v0
	v_or_b32_e32 v53, v1, v0
	v_mov_b32_e32 v52, v5
.LBB241_638:                            ;   in Loop: Header=BB241_13 Depth=1
	s_or_b64 exec, exec, s[40:41]
.LBB241_639:                            ;   in Loop: Header=BB241_13 Depth=1
	s_or_b64 exec, exec, s[38:39]
.LBB241_640:                            ;   in Loop: Header=BB241_13 Depth=1
	s_or_b64 exec, exec, s[36:37]
	v_add_co_u32_e32 v0, vcc, 0x1000, v18
	v_addc_co_u32_e32 v1, vcc, 0, v19, vcc
	flat_load_ushort v0, v[0:1] offset:2560
	v_pk_mov_b32 v[60:61], 0, 0
	v_accvgpr_write_b32 a22, v60
	v_accvgpr_write_b32 a23, v61
	s_waitcnt vmcnt(0) lgkmcnt(0)
	v_and_b32_e32 v2, 0xffff, v0
	v_cmp_ne_u16_sdwa vcc, v0, v5 src0_sel:BYTE_0 src1_sel:DWORD
	s_and_saveexec_b64 s[36:37], vcc
	s_cbranch_execz .LBB241_646
; %bb.641:                              ;   in Loop: Header=BB241_13 Depth=1
	v_bfrev_b32_e32 v0, 1
	v_mov_b32_e32 v1, 0
	v_accvgpr_write_b32 a23, v1
	v_cmp_ne_u16_sdwa vcc, v2, s43 src0_sel:BYTE_0 src1_sel:DWORD
	v_accvgpr_write_b32 a22, v0
	s_and_saveexec_b64 s[38:39], vcc
	s_cbranch_execz .LBB241_645
; %bb.642:                              ;   in Loop: Header=BB241_13 Depth=1
	v_mov_b32_e32 v0, 0x7f800001
	v_mov_b32_e32 v1, 0
	v_and_b32_e32 v3, 0x7f, v2
	v_accvgpr_write_b32 a23, v1
	v_cmp_ne_u32_e32 vcc, s44, v3
	v_accvgpr_write_b32 a22, v0
	s_and_saveexec_b64 s[40:41], vcc
	s_cbranch_execz .LBB241_644
; %bb.643:                              ;   in Loop: Header=BB241_13 Depth=1
	v_and_b32_e32 v4, 7, v2
	v_ffbh_u32_e32 v0, v4
	v_lshrrev_b32_e32 v6, 3, v3
	v_cmp_gt_u32_e32 vcc, 8, v3
	v_min_u32_e32 v3, 32, v0
	v_subrev_u32_e32 v0, 28, v3
	v_lshlrev_b64 v[0:1], v0, v[2:3]
	v_sub_u32_e32 v1, 29, v3
	v_and_b32_e32 v0, 7, v0
	v_cndmask_b32_e32 v1, v6, v1, vcc
	v_cndmask_b32_e32 v0, v4, v0, vcc
	v_bfrev_b32_e32 v4, 60
	v_lshlrev_b32_e32 v0, 20, v0
	v_and_b32_sdwa v3, sext(v2), s27 dst_sel:DWORD dst_unused:UNUSED_PAD src0_sel:BYTE_0 src1_sel:DWORD
	v_lshl_add_u32 v1, v1, 23, v4
	v_or3_b32 v4, v3, v1, v0
	v_accvgpr_write_b32 a23, v5
	v_accvgpr_write_b32 a22, v4
.LBB241_644:                            ;   in Loop: Header=BB241_13 Depth=1
	s_or_b64 exec, exec, s[40:41]
.LBB241_645:                            ;   in Loop: Header=BB241_13 Depth=1
	s_or_b64 exec, exec, s[38:39]
.LBB241_646:                            ;   in Loop: Header=BB241_13 Depth=1
	s_or_b64 exec, exec, s[36:37]
	v_cmp_ne_u16_sdwa vcc, v2, v5 src0_sel:BYTE_1 src1_sel:DWORD
	s_and_saveexec_b64 s[36:37], vcc
	s_cbranch_execz .LBB241_652
; %bb.647:                              ;   in Loop: Header=BB241_13 Depth=1
	v_cmp_ne_u16_sdwa vcc, v2, s43 src0_sel:BYTE_1 src1_sel:DWORD
	v_pk_mov_b32 v[60:61], s[26:27], s[26:27] op_sel:[0,1]
	s_and_saveexec_b64 s[38:39], vcc
	s_cbranch_execz .LBB241_651
; %bb.648:                              ;   in Loop: Header=BB241_13 Depth=1
	v_and_b32_sdwa v3, v2, s44 dst_sel:DWORD dst_unused:UNUSED_PAD src0_sel:BYTE_1 src1_sel:DWORD
	s_mov_b32 s34, s26
	v_cmp_ne_u32_e32 vcc, s44, v3
	v_pk_mov_b32 v[60:61], s[34:35], s[34:35] op_sel:[0,1]
	s_and_saveexec_b64 s[40:41], vcc
	s_cbranch_execz .LBB241_650
; %bb.649:                              ;   in Loop: Header=BB241_13 Depth=1
	v_mov_b32_e32 v0, 7
	v_and_b32_sdwa v4, v2, v0 dst_sel:DWORD dst_unused:UNUSED_PAD src0_sel:BYTE_1 src1_sel:DWORD
	v_ffbh_u32_e32 v0, v4
	v_lshrrev_b32_e32 v6, 3, v3
	v_cmp_gt_u32_e32 vcc, 8, v3
	v_min_u32_e32 v3, 32, v0
	v_subrev_u32_e32 v0, 28, v3
	v_lshlrev_b64 v[0:1], v0, v[4:5]
	v_sub_u32_e32 v1, 29, v3
	v_and_b32_e32 v0, 7, v0
	v_cndmask_b32_e32 v1, v6, v1, vcc
	v_bfrev_b32_e32 v3, 60
	v_cndmask_b32_e32 v0, v4, v0, vcc
	v_lshlrev_b32_e32 v2, 16, v2
	v_lshl_add_u32 v1, v1, 23, v3
	v_and_or_b32 v1, v2, s27, v1
	v_lshlrev_b32_e32 v0, 20, v0
	v_or_b32_e32 v61, v1, v0
	v_mov_b32_e32 v60, v5
.LBB241_650:                            ;   in Loop: Header=BB241_13 Depth=1
	s_or_b64 exec, exec, s[40:41]
.LBB241_651:                            ;   in Loop: Header=BB241_13 Depth=1
	s_or_b64 exec, exec, s[38:39]
.LBB241_652:                            ;   in Loop: Header=BB241_13 Depth=1
	s_or_b64 exec, exec, s[36:37]
	v_add_co_u32_e32 v2, vcc, 0x1a00, v18
	v_addc_co_u32_e32 v3, vcc, 0, v19, vcc
	flat_load_ushort v0, v[2:3] offset:4
	v_pk_mov_b32 v[44:45], 0, 0
	v_accvgpr_write_b32 a26, v44
	v_accvgpr_write_b32 a27, v45
	s_waitcnt vmcnt(0) lgkmcnt(0)
	v_and_b32_e32 v6, 0xffff, v0
	v_cmp_ne_u16_sdwa vcc, v0, v5 src0_sel:BYTE_0 src1_sel:DWORD
	s_and_saveexec_b64 s[36:37], vcc
	s_cbranch_execz .LBB241_658
; %bb.653:                              ;   in Loop: Header=BB241_13 Depth=1
	v_bfrev_b32_e32 v0, 1
	v_mov_b32_e32 v1, 0
	v_accvgpr_write_b32 a27, v1
	v_cmp_ne_u16_sdwa vcc, v6, s43 src0_sel:BYTE_0 src1_sel:DWORD
	v_accvgpr_write_b32 a26, v0
	s_and_saveexec_b64 s[38:39], vcc
	s_cbranch_execz .LBB241_657
; %bb.654:                              ;   in Loop: Header=BB241_13 Depth=1
	v_mov_b32_e32 v0, 0x7f800001
	v_mov_b32_e32 v1, 0
	v_and_b32_e32 v4, 0x7f, v6
	v_accvgpr_write_b32 a27, v1
	v_cmp_ne_u32_e32 vcc, s44, v4
	v_accvgpr_write_b32 a26, v0
	s_and_saveexec_b64 s[40:41], vcc
	s_cbranch_execz .LBB241_656
; %bb.655:                              ;   in Loop: Header=BB241_13 Depth=1
	v_and_b32_e32 v7, 7, v6
	v_ffbh_u32_e32 v0, v7
	v_lshrrev_b32_e32 v8, 3, v4
	v_cmp_gt_u32_e32 vcc, 8, v4
	v_min_u32_e32 v4, 32, v0
	v_subrev_u32_e32 v0, 28, v4
	v_lshlrev_b64 v[0:1], v0, v[6:7]
	v_sub_u32_e32 v1, 29, v4
	v_and_b32_e32 v0, 7, v0
	v_cndmask_b32_e32 v1, v8, v1, vcc
	v_cndmask_b32_e32 v0, v7, v0, vcc
	v_bfrev_b32_e32 v7, 60
	v_lshlrev_b32_e32 v0, 20, v0
	v_and_b32_sdwa v4, sext(v6), s27 dst_sel:DWORD dst_unused:UNUSED_PAD src0_sel:BYTE_0 src1_sel:DWORD
	v_lshl_add_u32 v1, v1, 23, v7
	v_or3_b32 v4, v4, v1, v0
	v_accvgpr_write_b32 a27, v5
	v_accvgpr_write_b32 a26, v4
.LBB241_656:                            ;   in Loop: Header=BB241_13 Depth=1
	s_or_b64 exec, exec, s[40:41]
.LBB241_657:                            ;   in Loop: Header=BB241_13 Depth=1
	s_or_b64 exec, exec, s[38:39]
.LBB241_658:                            ;   in Loop: Header=BB241_13 Depth=1
	s_or_b64 exec, exec, s[36:37]
	v_cmp_ne_u16_sdwa vcc, v6, v5 src0_sel:BYTE_1 src1_sel:DWORD
	s_and_saveexec_b64 s[36:37], vcc
	s_cbranch_execz .LBB241_664
; %bb.659:                              ;   in Loop: Header=BB241_13 Depth=1
	v_cmp_ne_u16_sdwa vcc, v6, s43 src0_sel:BYTE_1 src1_sel:DWORD
	v_pk_mov_b32 v[44:45], s[26:27], s[26:27] op_sel:[0,1]
	s_and_saveexec_b64 s[38:39], vcc
	s_cbranch_execz .LBB241_663
; %bb.660:                              ;   in Loop: Header=BB241_13 Depth=1
	v_and_b32_sdwa v7, v6, s44 dst_sel:DWORD dst_unused:UNUSED_PAD src0_sel:BYTE_1 src1_sel:DWORD
	s_mov_b32 s34, s26
	v_cmp_ne_u32_e32 vcc, s44, v7
	v_pk_mov_b32 v[44:45], s[34:35], s[34:35] op_sel:[0,1]
	s_and_saveexec_b64 s[40:41], vcc
	s_cbranch_execz .LBB241_662
; %bb.661:                              ;   in Loop: Header=BB241_13 Depth=1
	v_mov_b32_e32 v0, 7
	v_and_b32_sdwa v4, v6, v0 dst_sel:DWORD dst_unused:UNUSED_PAD src0_sel:BYTE_1 src1_sel:DWORD
	v_ffbh_u32_e32 v0, v4
	v_lshrrev_b32_e32 v8, 3, v7
	v_cmp_gt_u32_e32 vcc, 8, v7
	v_min_u32_e32 v7, 32, v0
	v_subrev_u32_e32 v0, 28, v7
	v_lshlrev_b64 v[0:1], v0, v[4:5]
	v_sub_u32_e32 v1, 29, v7
	v_and_b32_e32 v0, 7, v0
	v_cndmask_b32_e32 v1, v8, v1, vcc
	v_cndmask_b32_e32 v0, v4, v0, vcc
	v_lshlrev_b32_e32 v4, 16, v6
	v_bfrev_b32_e32 v6, 60
	v_lshl_add_u32 v1, v1, 23, v6
	v_and_or_b32 v1, v4, s27, v1
	v_lshlrev_b32_e32 v0, 20, v0
	v_or_b32_e32 v45, v1, v0
	v_mov_b32_e32 v44, v5
.LBB241_662:                            ;   in Loop: Header=BB241_13 Depth=1
	s_or_b64 exec, exec, s[40:41]
.LBB241_663:                            ;   in Loop: Header=BB241_13 Depth=1
	s_or_b64 exec, exec, s[38:39]
.LBB241_664:                            ;   in Loop: Header=BB241_13 Depth=1
	s_or_b64 exec, exec, s[36:37]
	flat_load_ushort v0, v[2:3] offset:8
	v_pk_mov_b32 v[58:59], 0, 0
	v_accvgpr_write_b32 a20, v58
	v_accvgpr_write_b32 a21, v59
	s_waitcnt vmcnt(0) lgkmcnt(0)
	v_and_b32_e32 v6, 0xffff, v0
	v_cmp_ne_u16_sdwa vcc, v0, v5 src0_sel:BYTE_0 src1_sel:DWORD
	s_and_saveexec_b64 s[36:37], vcc
	s_cbranch_execz .LBB241_670
; %bb.665:                              ;   in Loop: Header=BB241_13 Depth=1
	v_bfrev_b32_e32 v0, 1
	v_mov_b32_e32 v1, 0
	v_accvgpr_write_b32 a21, v1
	v_cmp_ne_u16_sdwa vcc, v6, s43 src0_sel:BYTE_0 src1_sel:DWORD
	v_accvgpr_write_b32 a20, v0
	s_and_saveexec_b64 s[38:39], vcc
	s_cbranch_execz .LBB241_669
; %bb.666:                              ;   in Loop: Header=BB241_13 Depth=1
	v_mov_b32_e32 v0, 0x7f800001
	v_mov_b32_e32 v1, 0
	v_and_b32_e32 v4, 0x7f, v6
	v_accvgpr_write_b32 a21, v1
	v_cmp_ne_u32_e32 vcc, s44, v4
	v_accvgpr_write_b32 a20, v0
	s_and_saveexec_b64 s[40:41], vcc
	s_cbranch_execz .LBB241_668
; %bb.667:                              ;   in Loop: Header=BB241_13 Depth=1
	v_and_b32_e32 v7, 7, v6
	v_ffbh_u32_e32 v0, v7
	v_lshrrev_b32_e32 v8, 3, v4
	v_cmp_gt_u32_e32 vcc, 8, v4
	v_min_u32_e32 v4, 32, v0
	v_subrev_u32_e32 v0, 28, v4
	v_lshlrev_b64 v[0:1], v0, v[6:7]
	v_sub_u32_e32 v1, 29, v4
	v_and_b32_e32 v0, 7, v0
	v_cndmask_b32_e32 v1, v8, v1, vcc
	v_cndmask_b32_e32 v0, v7, v0, vcc
	v_bfrev_b32_e32 v7, 60
	v_lshlrev_b32_e32 v0, 20, v0
	v_and_b32_sdwa v4, sext(v6), s27 dst_sel:DWORD dst_unused:UNUSED_PAD src0_sel:BYTE_0 src1_sel:DWORD
	v_lshl_add_u32 v1, v1, 23, v7
	v_or3_b32 v4, v4, v1, v0
	v_accvgpr_write_b32 a21, v5
	v_accvgpr_write_b32 a20, v4
.LBB241_668:                            ;   in Loop: Header=BB241_13 Depth=1
	s_or_b64 exec, exec, s[40:41]
.LBB241_669:                            ;   in Loop: Header=BB241_13 Depth=1
	s_or_b64 exec, exec, s[38:39]
.LBB241_670:                            ;   in Loop: Header=BB241_13 Depth=1
	s_or_b64 exec, exec, s[36:37]
	v_cmp_ne_u16_sdwa vcc, v6, v5 src0_sel:BYTE_1 src1_sel:DWORD
	s_and_saveexec_b64 s[36:37], vcc
	s_cbranch_execz .LBB241_676
; %bb.671:                              ;   in Loop: Header=BB241_13 Depth=1
	v_cmp_ne_u16_sdwa vcc, v6, s43 src0_sel:BYTE_1 src1_sel:DWORD
	v_pk_mov_b32 v[58:59], s[26:27], s[26:27] op_sel:[0,1]
	s_and_saveexec_b64 s[38:39], vcc
	s_cbranch_execz .LBB241_675
; %bb.672:                              ;   in Loop: Header=BB241_13 Depth=1
	v_and_b32_sdwa v7, v6, s44 dst_sel:DWORD dst_unused:UNUSED_PAD src0_sel:BYTE_1 src1_sel:DWORD
	s_mov_b32 s34, s26
	v_cmp_ne_u32_e32 vcc, s44, v7
	v_pk_mov_b32 v[58:59], s[34:35], s[34:35] op_sel:[0,1]
	s_and_saveexec_b64 s[40:41], vcc
	s_cbranch_execz .LBB241_674
; %bb.673:                              ;   in Loop: Header=BB241_13 Depth=1
	v_mov_b32_e32 v0, 7
	v_and_b32_sdwa v4, v6, v0 dst_sel:DWORD dst_unused:UNUSED_PAD src0_sel:BYTE_1 src1_sel:DWORD
	v_ffbh_u32_e32 v1, v4
	v_min_u32_e32 v1, 32, v1
	v_lshrrev_b32_e32 v0, 3, v7
	v_cmp_gt_u32_e32 vcc, 8, v7
	v_subrev_u32_e32 v7, 28, v1
	v_lshlrev_b64 v[8:9], v7, v[4:5]
	v_sub_u32_e32 v1, 29, v1
	v_and_b32_e32 v7, 7, v8
	v_cndmask_b32_e32 v0, v0, v1, vcc
	v_cndmask_b32_e32 v1, v4, v7, vcc
	v_lshlrev_b32_e32 v4, 16, v6
	v_bfrev_b32_e32 v6, 60
	v_lshl_add_u32 v0, v0, 23, v6
	v_and_or_b32 v0, v4, s27, v0
	v_lshlrev_b32_e32 v1, 20, v1
	v_or_b32_e32 v59, v0, v1
	v_mov_b32_e32 v58, v5
.LBB241_674:                            ;   in Loop: Header=BB241_13 Depth=1
	s_or_b64 exec, exec, s[40:41]
.LBB241_675:                            ;   in Loop: Header=BB241_13 Depth=1
	s_or_b64 exec, exec, s[38:39]
.LBB241_676:                            ;   in Loop: Header=BB241_13 Depth=1
	s_or_b64 exec, exec, s[36:37]
	flat_load_ushort v0, v[2:3] offset:12
	v_pk_mov_b32 v[50:51], 0, 0
	v_accvgpr_write_b32 a18, v50
	v_accvgpr_write_b32 a19, v51
	s_waitcnt vmcnt(0) lgkmcnt(0)
	v_and_b32_e32 v2, 0xffff, v0
	v_cmp_ne_u16_sdwa vcc, v0, v5 src0_sel:BYTE_0 src1_sel:DWORD
	s_and_saveexec_b64 s[36:37], vcc
	s_cbranch_execz .LBB241_682
; %bb.677:                              ;   in Loop: Header=BB241_13 Depth=1
	v_bfrev_b32_e32 v0, 1
	v_mov_b32_e32 v1, 0
	v_accvgpr_write_b32 a19, v1
	v_cmp_ne_u16_sdwa vcc, v2, s43 src0_sel:BYTE_0 src1_sel:DWORD
	v_accvgpr_write_b32 a18, v0
	s_and_saveexec_b64 s[38:39], vcc
	s_cbranch_execz .LBB241_681
; %bb.678:                              ;   in Loop: Header=BB241_13 Depth=1
	v_mov_b32_e32 v0, 0x7f800001
	v_mov_b32_e32 v1, 0
	v_and_b32_e32 v3, 0x7f, v2
	v_accvgpr_write_b32 a19, v1
	v_cmp_ne_u32_e32 vcc, s44, v3
	v_accvgpr_write_b32 a18, v0
	s_and_saveexec_b64 s[40:41], vcc
	s_cbranch_execz .LBB241_680
; %bb.679:                              ;   in Loop: Header=BB241_13 Depth=1
	v_and_b32_e32 v0, 7, v2
	v_lshrrev_b32_e32 v1, 3, v3
	v_cmp_gt_u32_e32 vcc, 8, v3
	v_ffbh_u32_e32 v3, v0
	v_min_u32_e32 v3, 32, v3
	v_subrev_u32_e32 v4, 28, v3
	v_lshlrev_b64 v[6:7], v4, v[2:3]
	v_sub_u32_e32 v3, 29, v3
	v_and_b32_e32 v4, 7, v6
	v_cndmask_b32_e32 v1, v1, v3, vcc
	v_cndmask_b32_e32 v0, v0, v4, vcc
	v_bfrev_b32_e32 v4, 60
	v_lshlrev_b32_e32 v0, 20, v0
	v_and_b32_sdwa v3, sext(v2), s27 dst_sel:DWORD dst_unused:UNUSED_PAD src0_sel:BYTE_0 src1_sel:DWORD
	v_lshl_add_u32 v1, v1, 23, v4
	v_or3_b32 v4, v3, v1, v0
	v_accvgpr_write_b32 a19, v5
	v_accvgpr_write_b32 a18, v4
.LBB241_680:                            ;   in Loop: Header=BB241_13 Depth=1
	s_or_b64 exec, exec, s[40:41]
.LBB241_681:                            ;   in Loop: Header=BB241_13 Depth=1
	s_or_b64 exec, exec, s[38:39]
.LBB241_682:                            ;   in Loop: Header=BB241_13 Depth=1
	s_or_b64 exec, exec, s[36:37]
	v_cmp_ne_u16_sdwa vcc, v2, v5 src0_sel:BYTE_1 src1_sel:DWORD
	s_and_saveexec_b64 s[36:37], vcc
	s_cbranch_execz .LBB241_688
; %bb.683:                              ;   in Loop: Header=BB241_13 Depth=1
	v_cmp_ne_u16_sdwa vcc, v2, s43 src0_sel:BYTE_1 src1_sel:DWORD
	v_pk_mov_b32 v[50:51], s[26:27], s[26:27] op_sel:[0,1]
	s_and_saveexec_b64 s[38:39], vcc
	s_cbranch_execz .LBB241_687
; %bb.684:                              ;   in Loop: Header=BB241_13 Depth=1
	v_and_b32_sdwa v3, v2, s44 dst_sel:DWORD dst_unused:UNUSED_PAD src0_sel:BYTE_1 src1_sel:DWORD
	s_mov_b32 s34, s26
	v_cmp_ne_u32_e32 vcc, s44, v3
	v_pk_mov_b32 v[50:51], s[34:35], s[34:35] op_sel:[0,1]
	s_and_saveexec_b64 s[40:41], vcc
	s_cbranch_execz .LBB241_686
; %bb.685:                              ;   in Loop: Header=BB241_13 Depth=1
	v_mov_b32_e32 v0, 7
	v_and_b32_sdwa v4, v2, v0 dst_sel:DWORD dst_unused:UNUSED_PAD src0_sel:BYTE_1 src1_sel:DWORD
	v_ffbh_u32_e32 v1, v4
	v_min_u32_e32 v1, 32, v1
	v_lshrrev_b32_e32 v0, 3, v3
	v_cmp_gt_u32_e32 vcc, 8, v3
	v_subrev_u32_e32 v3, 28, v1
	v_lshlrev_b64 v[6:7], v3, v[4:5]
	v_sub_u32_e32 v1, 29, v1
	v_and_b32_e32 v3, 7, v6
	v_cndmask_b32_e32 v0, v0, v1, vcc
	v_cndmask_b32_e32 v1, v4, v3, vcc
	v_bfrev_b32_e32 v3, 60
	v_lshlrev_b32_e32 v2, 16, v2
	v_lshl_add_u32 v0, v0, 23, v3
	v_and_or_b32 v0, v2, s27, v0
	v_lshlrev_b32_e32 v1, 20, v1
	v_or_b32_e32 v51, v0, v1
	v_mov_b32_e32 v50, v5
.LBB241_686:                            ;   in Loop: Header=BB241_13 Depth=1
	s_or_b64 exec, exec, s[40:41]
.LBB241_687:                            ;   in Loop: Header=BB241_13 Depth=1
	s_or_b64 exec, exec, s[38:39]
.LBB241_688:                            ;   in Loop: Header=BB241_13 Depth=1
	s_or_b64 exec, exec, s[36:37]
	v_add_co_u32_e32 v2, vcc, 0x1000, v18
	v_addc_co_u32_e32 v3, vcc, 0, v19, vcc
	flat_load_ushort v0, v[2:3] offset:3072
	v_pk_mov_b32 v[22:23], 0, 0
	v_pk_mov_b32 v[34:35], v[22:23], v[22:23] op_sel:[0,1]
	s_waitcnt vmcnt(0) lgkmcnt(0)
	v_and_b32_e32 v2, 0xffff, v0
	v_cmp_ne_u16_sdwa vcc, v0, v5 src0_sel:BYTE_0 src1_sel:DWORD
	s_and_saveexec_b64 s[36:37], vcc
	s_cbranch_execz .LBB241_694
; %bb.689:                              ;   in Loop: Header=BB241_13 Depth=1
	v_bfrev_b32_e32 v34, 1
	v_cmp_ne_u16_sdwa vcc, v2, s43 src0_sel:BYTE_0 src1_sel:DWORD
	v_mov_b32_e32 v35, 0
	s_and_saveexec_b64 s[38:39], vcc
	s_cbranch_execz .LBB241_693
; %bb.690:                              ;   in Loop: Header=BB241_13 Depth=1
	v_and_b32_e32 v3, 0x7f, v2
	v_mov_b32_e32 v34, 0x7f800001
	v_cmp_ne_u32_e32 vcc, s44, v3
	v_mov_b32_e32 v35, 0
	s_and_saveexec_b64 s[40:41], vcc
	s_cbranch_execz .LBB241_692
; %bb.691:                              ;   in Loop: Header=BB241_13 Depth=1
	v_and_b32_e32 v0, 7, v2
	v_lshrrev_b32_e32 v1, 3, v3
	v_cmp_gt_u32_e32 vcc, 8, v3
	v_ffbh_u32_e32 v3, v0
	v_min_u32_e32 v3, 32, v3
	v_subrev_u32_e32 v4, 28, v3
	v_lshlrev_b64 v[6:7], v4, v[2:3]
	v_sub_u32_e32 v3, 29, v3
	v_and_b32_e32 v4, 7, v6
	v_cndmask_b32_e32 v1, v1, v3, vcc
	v_cndmask_b32_e32 v0, v0, v4, vcc
	v_bfrev_b32_e32 v4, 60
	v_lshlrev_b32_e32 v0, 20, v0
	v_and_b32_sdwa v3, sext(v2), s27 dst_sel:DWORD dst_unused:UNUSED_PAD src0_sel:BYTE_0 src1_sel:DWORD
	v_lshl_add_u32 v1, v1, 23, v4
	v_or3_b32 v4, v3, v1, v0
	v_pk_mov_b32 v[34:35], v[4:5], v[4:5] op_sel:[0,1]
.LBB241_692:                            ;   in Loop: Header=BB241_13 Depth=1
	s_or_b64 exec, exec, s[40:41]
.LBB241_693:                            ;   in Loop: Header=BB241_13 Depth=1
	s_or_b64 exec, exec, s[38:39]
.LBB241_694:                            ;   in Loop: Header=BB241_13 Depth=1
	s_or_b64 exec, exec, s[36:37]
	v_cmp_ne_u16_sdwa vcc, v2, v5 src0_sel:BYTE_1 src1_sel:DWORD
	s_and_saveexec_b64 s[36:37], vcc
	s_cbranch_execz .LBB241_700
; %bb.695:                              ;   in Loop: Header=BB241_13 Depth=1
	v_cmp_ne_u16_sdwa vcc, v2, s43 src0_sel:BYTE_1 src1_sel:DWORD
	v_pk_mov_b32 v[22:23], s[26:27], s[26:27] op_sel:[0,1]
	s_and_saveexec_b64 s[38:39], vcc
	s_cbranch_execz .LBB241_699
; %bb.696:                              ;   in Loop: Header=BB241_13 Depth=1
	v_and_b32_sdwa v3, v2, s44 dst_sel:DWORD dst_unused:UNUSED_PAD src0_sel:BYTE_1 src1_sel:DWORD
	s_mov_b32 s34, s26
	v_cmp_ne_u32_e32 vcc, s44, v3
	v_pk_mov_b32 v[22:23], s[34:35], s[34:35] op_sel:[0,1]
	s_and_saveexec_b64 s[40:41], vcc
	s_cbranch_execz .LBB241_698
; %bb.697:                              ;   in Loop: Header=BB241_13 Depth=1
	v_mov_b32_e32 v0, 7
	v_and_b32_sdwa v4, v2, v0 dst_sel:DWORD dst_unused:UNUSED_PAD src0_sel:BYTE_1 src1_sel:DWORD
	v_ffbh_u32_e32 v1, v4
	v_min_u32_e32 v1, 32, v1
	v_lshrrev_b32_e32 v0, 3, v3
	v_cmp_gt_u32_e32 vcc, 8, v3
	v_subrev_u32_e32 v3, 28, v1
	v_lshlrev_b64 v[6:7], v3, v[4:5]
	v_sub_u32_e32 v1, 29, v1
	v_and_b32_e32 v3, 7, v6
	v_cndmask_b32_e32 v0, v0, v1, vcc
	v_cndmask_b32_e32 v1, v4, v3, vcc
	v_bfrev_b32_e32 v3, 60
	v_lshlrev_b32_e32 v2, 16, v2
	v_lshl_add_u32 v0, v0, 23, v3
	v_and_or_b32 v0, v2, s27, v0
	v_lshlrev_b32_e32 v1, 20, v1
	v_or_b32_e32 v23, v0, v1
	v_mov_b32_e32 v22, v5
.LBB241_698:                            ;   in Loop: Header=BB241_13 Depth=1
	s_or_b64 exec, exec, s[40:41]
.LBB241_699:                            ;   in Loop: Header=BB241_13 Depth=1
	s_or_b64 exec, exec, s[38:39]
.LBB241_700:                            ;   in Loop: Header=BB241_13 Depth=1
	s_or_b64 exec, exec, s[36:37]
	v_add_co_u32_e32 v10, vcc, 0x1c00, v18
	v_addc_co_u32_e32 v11, vcc, 0, v19, vcc
	flat_load_ushort v0, v[10:11] offset:4
	v_pk_mov_b32 v[56:57], 0, 0
	v_pk_mov_b32 v[54:55], v[56:57], v[56:57] op_sel:[0,1]
	s_waitcnt vmcnt(0) lgkmcnt(0)
	v_and_b32_e32 v2, 0xffff, v0
	v_cmp_ne_u16_sdwa vcc, v0, v5 src0_sel:BYTE_0 src1_sel:DWORD
	s_and_saveexec_b64 s[36:37], vcc
	s_cbranch_execz .LBB241_706
; %bb.701:                              ;   in Loop: Header=BB241_13 Depth=1
	v_bfrev_b32_e32 v54, 1
	v_cmp_ne_u16_sdwa vcc, v2, s43 src0_sel:BYTE_0 src1_sel:DWORD
	v_mov_b32_e32 v55, 0
	s_and_saveexec_b64 s[38:39], vcc
	s_cbranch_execz .LBB241_705
; %bb.702:                              ;   in Loop: Header=BB241_13 Depth=1
	v_and_b32_e32 v3, 0x7f, v2
	v_mov_b32_e32 v54, 0x7f800001
	v_cmp_ne_u32_e32 vcc, s44, v3
	v_mov_b32_e32 v55, 0
	s_and_saveexec_b64 s[40:41], vcc
	s_cbranch_execz .LBB241_704
; %bb.703:                              ;   in Loop: Header=BB241_13 Depth=1
	v_and_b32_e32 v0, 7, v2
	v_lshrrev_b32_e32 v1, 3, v3
	v_cmp_gt_u32_e32 vcc, 8, v3
	v_ffbh_u32_e32 v3, v0
	v_min_u32_e32 v3, 32, v3
	v_subrev_u32_e32 v4, 28, v3
	v_lshlrev_b64 v[6:7], v4, v[2:3]
	v_sub_u32_e32 v3, 29, v3
	v_and_b32_e32 v4, 7, v6
	v_cndmask_b32_e32 v1, v1, v3, vcc
	v_cndmask_b32_e32 v0, v0, v4, vcc
	v_bfrev_b32_e32 v4, 60
	v_lshlrev_b32_e32 v0, 20, v0
	v_and_b32_sdwa v3, sext(v2), s27 dst_sel:DWORD dst_unused:UNUSED_PAD src0_sel:BYTE_0 src1_sel:DWORD
	v_lshl_add_u32 v1, v1, 23, v4
	v_or3_b32 v4, v3, v1, v0
	v_pk_mov_b32 v[54:55], v[4:5], v[4:5] op_sel:[0,1]
.LBB241_704:                            ;   in Loop: Header=BB241_13 Depth=1
	s_or_b64 exec, exec, s[40:41]
.LBB241_705:                            ;   in Loop: Header=BB241_13 Depth=1
	s_or_b64 exec, exec, s[38:39]
.LBB241_706:                            ;   in Loop: Header=BB241_13 Depth=1
	s_or_b64 exec, exec, s[36:37]
	v_cmp_ne_u16_sdwa vcc, v2, v5 src0_sel:BYTE_1 src1_sel:DWORD
	s_and_saveexec_b64 s[36:37], vcc
	s_cbranch_execz .LBB241_712
; %bb.707:                              ;   in Loop: Header=BB241_13 Depth=1
	v_cmp_ne_u16_sdwa vcc, v2, s43 src0_sel:BYTE_1 src1_sel:DWORD
	v_pk_mov_b32 v[56:57], s[26:27], s[26:27] op_sel:[0,1]
	s_and_saveexec_b64 s[38:39], vcc
	s_cbranch_execz .LBB241_711
; %bb.708:                              ;   in Loop: Header=BB241_13 Depth=1
	v_and_b32_sdwa v3, v2, s44 dst_sel:DWORD dst_unused:UNUSED_PAD src0_sel:BYTE_1 src1_sel:DWORD
	s_mov_b32 s34, s26
	v_cmp_ne_u32_e32 vcc, s44, v3
	v_pk_mov_b32 v[56:57], s[34:35], s[34:35] op_sel:[0,1]
	s_and_saveexec_b64 s[40:41], vcc
	s_cbranch_execz .LBB241_710
; %bb.709:                              ;   in Loop: Header=BB241_13 Depth=1
	v_mov_b32_e32 v0, 7
	v_and_b32_sdwa v4, v2, v0 dst_sel:DWORD dst_unused:UNUSED_PAD src0_sel:BYTE_1 src1_sel:DWORD
	v_ffbh_u32_e32 v1, v4
	v_min_u32_e32 v1, 32, v1
	v_lshrrev_b32_e32 v0, 3, v3
	v_cmp_gt_u32_e32 vcc, 8, v3
	v_subrev_u32_e32 v3, 28, v1
	v_lshlrev_b64 v[6:7], v3, v[4:5]
	v_sub_u32_e32 v1, 29, v1
	v_and_b32_e32 v3, 7, v6
	v_cndmask_b32_e32 v0, v0, v1, vcc
	v_cndmask_b32_e32 v1, v4, v3, vcc
	v_bfrev_b32_e32 v3, 60
	v_lshlrev_b32_e32 v2, 16, v2
	v_lshl_add_u32 v0, v0, 23, v3
	v_and_or_b32 v0, v2, s27, v0
	v_lshlrev_b32_e32 v1, 20, v1
	v_or_b32_e32 v57, v0, v1
	v_mov_b32_e32 v56, v5
.LBB241_710:                            ;   in Loop: Header=BB241_13 Depth=1
	s_or_b64 exec, exec, s[40:41]
.LBB241_711:                            ;   in Loop: Header=BB241_13 Depth=1
	s_or_b64 exec, exec, s[38:39]
.LBB241_712:                            ;   in Loop: Header=BB241_13 Depth=1
	s_or_b64 exec, exec, s[36:37]
	flat_load_ushort v0, v[10:11] offset:8
	v_pk_mov_b32 v[14:15], 0, 0
	v_pk_mov_b32 v[2:3], v[14:15], v[14:15] op_sel:[0,1]
	s_waitcnt vmcnt(0) lgkmcnt(0)
	v_and_b32_e32 v6, 0xffff, v0
	v_cmp_ne_u16_sdwa vcc, v0, v5 src0_sel:BYTE_0 src1_sel:DWORD
	s_and_saveexec_b64 s[36:37], vcc
	s_cbranch_execz .LBB241_718
; %bb.713:                              ;   in Loop: Header=BB241_13 Depth=1
	v_bfrev_b32_e32 v2, 1
	v_cmp_ne_u16_sdwa vcc, v6, s43 src0_sel:BYTE_0 src1_sel:DWORD
	v_mov_b32_e32 v3, 0
	s_and_saveexec_b64 s[38:39], vcc
	s_cbranch_execz .LBB241_717
; %bb.714:                              ;   in Loop: Header=BB241_13 Depth=1
	v_and_b32_e32 v4, 0x7f, v6
	v_mov_b32_e32 v2, 0x7f800001
	v_cmp_ne_u32_e32 vcc, s44, v4
	v_mov_b32_e32 v3, 0
	s_and_saveexec_b64 s[40:41], vcc
	s_cbranch_execz .LBB241_716
; %bb.715:                              ;   in Loop: Header=BB241_13 Depth=1
	v_and_b32_e32 v0, 7, v6
	v_ffbh_u32_e32 v2, v0
	v_lshrrev_b32_e32 v1, 3, v4
	v_cmp_gt_u32_e32 vcc, 8, v4
	v_min_u32_e32 v4, 32, v2
	v_subrev_u32_e32 v2, 28, v4
	v_lshlrev_b64 v[2:3], v2, v[6:7]
	v_sub_u32_e32 v3, 29, v4
	v_and_b32_e32 v2, 7, v2
	v_cndmask_b32_e32 v1, v1, v3, vcc
	v_cndmask_b32_e32 v0, v0, v2, vcc
	v_bfrev_b32_e32 v3, 60
	v_lshlrev_b32_e32 v0, 20, v0
	v_and_b32_sdwa v2, sext(v6), s27 dst_sel:DWORD dst_unused:UNUSED_PAD src0_sel:BYTE_0 src1_sel:DWORD
	v_lshl_add_u32 v1, v1, 23, v3
	v_or3_b32 v4, v2, v1, v0
	v_pk_mov_b32 v[2:3], v[4:5], v[4:5] op_sel:[0,1]
.LBB241_716:                            ;   in Loop: Header=BB241_13 Depth=1
	s_or_b64 exec, exec, s[40:41]
.LBB241_717:                            ;   in Loop: Header=BB241_13 Depth=1
	s_or_b64 exec, exec, s[38:39]
.LBB241_718:                            ;   in Loop: Header=BB241_13 Depth=1
	s_or_b64 exec, exec, s[36:37]
	v_cmp_ne_u16_sdwa vcc, v6, v5 src0_sel:BYTE_1 src1_sel:DWORD
	s_and_saveexec_b64 s[36:37], vcc
	s_cbranch_execz .LBB241_724
; %bb.719:                              ;   in Loop: Header=BB241_13 Depth=1
	v_cmp_ne_u16_sdwa vcc, v6, s43 src0_sel:BYTE_1 src1_sel:DWORD
	v_pk_mov_b32 v[14:15], s[26:27], s[26:27] op_sel:[0,1]
	s_and_saveexec_b64 s[38:39], vcc
	s_cbranch_execz .LBB241_723
; %bb.720:                              ;   in Loop: Header=BB241_13 Depth=1
	v_and_b32_sdwa v7, v6, s44 dst_sel:DWORD dst_unused:UNUSED_PAD src0_sel:BYTE_1 src1_sel:DWORD
	s_mov_b32 s34, s26
	v_cmp_ne_u32_e32 vcc, s44, v7
	v_pk_mov_b32 v[14:15], s[34:35], s[34:35] op_sel:[0,1]
	s_and_saveexec_b64 s[40:41], vcc
	s_cbranch_execz .LBB241_722
; %bb.721:                              ;   in Loop: Header=BB241_13 Depth=1
	v_mov_b32_e32 v0, 7
	v_and_b32_sdwa v4, v6, v0 dst_sel:DWORD dst_unused:UNUSED_PAD src0_sel:BYTE_1 src1_sel:DWORD
	v_ffbh_u32_e32 v1, v4
	v_min_u32_e32 v1, 32, v1
	v_lshrrev_b32_e32 v0, 3, v7
	v_cmp_gt_u32_e32 vcc, 8, v7
	v_subrev_u32_e32 v7, 28, v1
	v_lshlrev_b64 v[8:9], v7, v[4:5]
	v_sub_u32_e32 v1, 29, v1
	v_and_b32_e32 v7, 7, v8
	v_cndmask_b32_e32 v0, v0, v1, vcc
	v_cndmask_b32_e32 v1, v4, v7, vcc
	v_lshlrev_b32_e32 v4, 16, v6
	v_bfrev_b32_e32 v6, 60
	v_lshl_add_u32 v0, v0, 23, v6
	v_and_or_b32 v0, v4, s27, v0
	v_lshlrev_b32_e32 v1, 20, v1
	v_or_b32_e32 v15, v0, v1
	v_mov_b32_e32 v14, v5
.LBB241_722:                            ;   in Loop: Header=BB241_13 Depth=1
	s_or_b64 exec, exec, s[40:41]
.LBB241_723:                            ;   in Loop: Header=BB241_13 Depth=1
	s_or_b64 exec, exec, s[38:39]
.LBB241_724:                            ;   in Loop: Header=BB241_13 Depth=1
	s_or_b64 exec, exec, s[36:37]
	flat_load_ushort v0, v[10:11] offset:12
	v_pk_mov_b32 v[38:39], 0, 0
	v_pk_mov_b32 v[10:11], v[38:39], v[38:39] op_sel:[0,1]
	s_waitcnt vmcnt(0) lgkmcnt(0)
	v_and_b32_e32 v6, 0xffff, v0
	v_cmp_ne_u16_sdwa vcc, v0, v5 src0_sel:BYTE_0 src1_sel:DWORD
	s_and_saveexec_b64 s[36:37], vcc
	s_cbranch_execz .LBB241_730
; %bb.725:                              ;   in Loop: Header=BB241_13 Depth=1
	v_bfrev_b32_e32 v10, 1
	v_cmp_ne_u16_sdwa vcc, v6, s43 src0_sel:BYTE_0 src1_sel:DWORD
	v_mov_b32_e32 v11, 0
	s_and_saveexec_b64 s[38:39], vcc
	s_cbranch_execz .LBB241_729
; %bb.726:                              ;   in Loop: Header=BB241_13 Depth=1
	v_and_b32_e32 v4, 0x7f, v6
	v_mov_b32_e32 v10, 0x7f800001
	v_cmp_ne_u32_e32 vcc, s44, v4
	v_mov_b32_e32 v11, 0
	s_and_saveexec_b64 s[40:41], vcc
	s_cbranch_execz .LBB241_728
; %bb.727:                              ;   in Loop: Header=BB241_13 Depth=1
	v_and_b32_e32 v0, 7, v6
	v_lshrrev_b32_e32 v1, 3, v4
	v_cmp_gt_u32_e32 vcc, 8, v4
	v_ffbh_u32_e32 v4, v0
	v_min_u32_e32 v4, 32, v4
	v_subrev_u32_e32 v7, 28, v4
	v_lshlrev_b64 v[8:9], v7, v[6:7]
	v_sub_u32_e32 v4, 29, v4
	v_and_b32_e32 v7, 7, v8
	v_cndmask_b32_e32 v1, v1, v4, vcc
	v_cndmask_b32_e32 v0, v0, v7, vcc
	v_bfrev_b32_e32 v7, 60
	v_lshlrev_b32_e32 v0, 20, v0
	v_and_b32_sdwa v4, sext(v6), s27 dst_sel:DWORD dst_unused:UNUSED_PAD src0_sel:BYTE_0 src1_sel:DWORD
	v_lshl_add_u32 v1, v1, 23, v7
	v_or3_b32 v4, v4, v1, v0
	v_pk_mov_b32 v[10:11], v[4:5], v[4:5] op_sel:[0,1]
.LBB241_728:                            ;   in Loop: Header=BB241_13 Depth=1
	s_or_b64 exec, exec, s[40:41]
.LBB241_729:                            ;   in Loop: Header=BB241_13 Depth=1
	s_or_b64 exec, exec, s[38:39]
.LBB241_730:                            ;   in Loop: Header=BB241_13 Depth=1
	s_or_b64 exec, exec, s[36:37]
	v_cmp_ne_u16_sdwa vcc, v6, v5 src0_sel:BYTE_1 src1_sel:DWORD
	s_and_saveexec_b64 s[36:37], vcc
	s_cbranch_execz .LBB241_736
; %bb.731:                              ;   in Loop: Header=BB241_13 Depth=1
	v_cmp_ne_u16_sdwa vcc, v6, s43 src0_sel:BYTE_1 src1_sel:DWORD
	v_pk_mov_b32 v[38:39], s[26:27], s[26:27] op_sel:[0,1]
	s_and_saveexec_b64 s[38:39], vcc
	s_cbranch_execz .LBB241_735
; %bb.732:                              ;   in Loop: Header=BB241_13 Depth=1
	v_and_b32_sdwa v7, v6, s44 dst_sel:DWORD dst_unused:UNUSED_PAD src0_sel:BYTE_1 src1_sel:DWORD
	s_mov_b32 s34, s26
	v_cmp_ne_u32_e32 vcc, s44, v7
	v_pk_mov_b32 v[38:39], s[34:35], s[34:35] op_sel:[0,1]
	s_and_saveexec_b64 s[40:41], vcc
	s_cbranch_execz .LBB241_734
; %bb.733:                              ;   in Loop: Header=BB241_13 Depth=1
	v_mov_b32_e32 v0, 7
	v_and_b32_sdwa v4, v6, v0 dst_sel:DWORD dst_unused:UNUSED_PAD src0_sel:BYTE_1 src1_sel:DWORD
	v_ffbh_u32_e32 v1, v4
	v_min_u32_e32 v1, 32, v1
	v_lshrrev_b32_e32 v0, 3, v7
	v_cmp_gt_u32_e32 vcc, 8, v7
	v_subrev_u32_e32 v7, 28, v1
	v_lshlrev_b64 v[8:9], v7, v[4:5]
	v_sub_u32_e32 v1, 29, v1
	v_and_b32_e32 v7, 7, v8
	v_cndmask_b32_e32 v0, v0, v1, vcc
	v_cndmask_b32_e32 v1, v4, v7, vcc
	v_lshlrev_b32_e32 v4, 16, v6
	v_bfrev_b32_e32 v6, 60
	v_lshl_add_u32 v0, v0, 23, v6
	v_and_or_b32 v0, v4, s27, v0
	v_lshlrev_b32_e32 v1, 20, v1
	v_or_b32_e32 v39, v0, v1
	v_mov_b32_e32 v38, v5
.LBB241_734:                            ;   in Loop: Header=BB241_13 Depth=1
	s_or_b64 exec, exec, s[40:41]
.LBB241_735:                            ;   in Loop: Header=BB241_13 Depth=1
	s_or_b64 exec, exec, s[38:39]
.LBB241_736:                            ;   in Loop: Header=BB241_13 Depth=1
	s_or_b64 exec, exec, s[36:37]
	v_add_co_u32_e32 v6, vcc, 0x1000, v18
	v_addc_co_u32_e32 v7, vcc, 0, v19, vcc
	flat_load_ushort v0, v[6:7] offset:3584
	v_pk_mov_b32 v[24:25], 0, 0
	v_pk_mov_b32 v[16:17], v[24:25], v[24:25] op_sel:[0,1]
	s_waitcnt vmcnt(0) lgkmcnt(0)
	v_and_b32_e32 v6, 0xffff, v0
	v_cmp_ne_u16_sdwa vcc, v0, v5 src0_sel:BYTE_0 src1_sel:DWORD
	s_and_saveexec_b64 s[36:37], vcc
	s_cbranch_execz .LBB241_742
; %bb.737:                              ;   in Loop: Header=BB241_13 Depth=1
	v_bfrev_b32_e32 v16, 1
	v_cmp_ne_u16_sdwa vcc, v6, s43 src0_sel:BYTE_0 src1_sel:DWORD
	v_mov_b32_e32 v17, 0
	s_and_saveexec_b64 s[38:39], vcc
	s_cbranch_execz .LBB241_741
; %bb.738:                              ;   in Loop: Header=BB241_13 Depth=1
	v_and_b32_e32 v4, 0x7f, v6
	v_mov_b32_e32 v16, 0x7f800001
	v_cmp_ne_u32_e32 vcc, s44, v4
	v_mov_b32_e32 v17, 0
	s_and_saveexec_b64 s[40:41], vcc
	s_cbranch_execz .LBB241_740
; %bb.739:                              ;   in Loop: Header=BB241_13 Depth=1
	v_and_b32_e32 v0, 7, v6
	v_lshrrev_b32_e32 v1, 3, v4
	v_cmp_gt_u32_e32 vcc, 8, v4
	v_ffbh_u32_e32 v4, v0
	v_min_u32_e32 v4, 32, v4
	v_subrev_u32_e32 v7, 28, v4
	v_lshlrev_b64 v[8:9], v7, v[6:7]
	v_sub_u32_e32 v4, 29, v4
	v_and_b32_e32 v7, 7, v8
	v_cndmask_b32_e32 v1, v1, v4, vcc
	v_cndmask_b32_e32 v0, v0, v7, vcc
	v_bfrev_b32_e32 v7, 60
	v_lshlrev_b32_e32 v0, 20, v0
	v_and_b32_sdwa v4, sext(v6), s27 dst_sel:DWORD dst_unused:UNUSED_PAD src0_sel:BYTE_0 src1_sel:DWORD
	v_lshl_add_u32 v1, v1, 23, v7
	v_or3_b32 v4, v4, v1, v0
	v_pk_mov_b32 v[16:17], v[4:5], v[4:5] op_sel:[0,1]
.LBB241_740:                            ;   in Loop: Header=BB241_13 Depth=1
	s_or_b64 exec, exec, s[40:41]
.LBB241_741:                            ;   in Loop: Header=BB241_13 Depth=1
	s_or_b64 exec, exec, s[38:39]
.LBB241_742:                            ;   in Loop: Header=BB241_13 Depth=1
	s_or_b64 exec, exec, s[36:37]
	v_cmp_ne_u16_sdwa vcc, v6, v5 src0_sel:BYTE_1 src1_sel:DWORD
	s_and_saveexec_b64 s[36:37], vcc
	s_cbranch_execz .LBB241_748
; %bb.743:                              ;   in Loop: Header=BB241_13 Depth=1
	v_cmp_ne_u16_sdwa vcc, v6, s43 src0_sel:BYTE_1 src1_sel:DWORD
	v_pk_mov_b32 v[24:25], s[26:27], s[26:27] op_sel:[0,1]
	s_and_saveexec_b64 s[38:39], vcc
	s_cbranch_execz .LBB241_747
; %bb.744:                              ;   in Loop: Header=BB241_13 Depth=1
	v_and_b32_sdwa v7, v6, s44 dst_sel:DWORD dst_unused:UNUSED_PAD src0_sel:BYTE_1 src1_sel:DWORD
	s_mov_b32 s34, s26
	v_cmp_ne_u32_e32 vcc, s44, v7
	v_pk_mov_b32 v[24:25], s[34:35], s[34:35] op_sel:[0,1]
	s_and_saveexec_b64 s[40:41], vcc
	s_cbranch_execz .LBB241_746
; %bb.745:                              ;   in Loop: Header=BB241_13 Depth=1
	v_mov_b32_e32 v0, 7
	v_and_b32_sdwa v4, v6, v0 dst_sel:DWORD dst_unused:UNUSED_PAD src0_sel:BYTE_1 src1_sel:DWORD
	v_ffbh_u32_e32 v1, v4
	v_min_u32_e32 v1, 32, v1
	v_lshrrev_b32_e32 v0, 3, v7
	v_cmp_gt_u32_e32 vcc, 8, v7
	v_subrev_u32_e32 v7, 28, v1
	v_lshlrev_b64 v[8:9], v7, v[4:5]
	v_sub_u32_e32 v1, 29, v1
	v_and_b32_e32 v7, 7, v8
	v_cndmask_b32_e32 v0, v0, v1, vcc
	v_cndmask_b32_e32 v1, v4, v7, vcc
	v_lshlrev_b32_e32 v4, 16, v6
	v_bfrev_b32_e32 v6, 60
	v_lshl_add_u32 v0, v0, 23, v6
	v_and_or_b32 v0, v4, s27, v0
	v_lshlrev_b32_e32 v1, 20, v1
	v_or_b32_e32 v25, v0, v1
	v_mov_b32_e32 v24, v5
.LBB241_746:                            ;   in Loop: Header=BB241_13 Depth=1
	s_or_b64 exec, exec, s[40:41]
.LBB241_747:                            ;   in Loop: Header=BB241_13 Depth=1
	s_or_b64 exec, exec, s[38:39]
.LBB241_748:                            ;   in Loop: Header=BB241_13 Depth=1
	s_or_b64 exec, exec, s[36:37]
	v_add_co_u32_e32 v36, vcc, 0x1e00, v18
	v_addc_co_u32_e32 v37, vcc, 0, v19, vcc
	flat_load_ushort v0, v[36:37] offset:4
	v_pk_mov_b32 v[18:19], 0, 0
	v_pk_mov_b32 v[40:41], v[18:19], v[18:19] op_sel:[0,1]
	s_waitcnt vmcnt(0) lgkmcnt(0)
	v_and_b32_e32 v6, 0xffff, v0
	v_cmp_ne_u16_sdwa vcc, v0, v5 src0_sel:BYTE_0 src1_sel:DWORD
	s_and_saveexec_b64 s[36:37], vcc
	s_cbranch_execz .LBB241_754
; %bb.749:                              ;   in Loop: Header=BB241_13 Depth=1
	v_bfrev_b32_e32 v40, 1
	v_cmp_ne_u16_sdwa vcc, v6, s43 src0_sel:BYTE_0 src1_sel:DWORD
	v_mov_b32_e32 v41, 0
	s_and_saveexec_b64 s[38:39], vcc
	s_cbranch_execz .LBB241_753
; %bb.750:                              ;   in Loop: Header=BB241_13 Depth=1
	v_and_b32_e32 v4, 0x7f, v6
	v_mov_b32_e32 v40, 0x7f800001
	v_cmp_ne_u32_e32 vcc, s44, v4
	v_mov_b32_e32 v41, 0
	s_and_saveexec_b64 s[40:41], vcc
	s_cbranch_execz .LBB241_752
; %bb.751:                              ;   in Loop: Header=BB241_13 Depth=1
	v_and_b32_e32 v0, 7, v6
	v_lshrrev_b32_e32 v1, 3, v4
	v_cmp_gt_u32_e32 vcc, 8, v4
	v_ffbh_u32_e32 v4, v0
	v_min_u32_e32 v4, 32, v4
	v_subrev_u32_e32 v7, 28, v4
	v_lshlrev_b64 v[8:9], v7, v[6:7]
	v_sub_u32_e32 v4, 29, v4
	v_and_b32_e32 v7, 7, v8
	v_cndmask_b32_e32 v1, v1, v4, vcc
	v_cndmask_b32_e32 v0, v0, v7, vcc
	v_bfrev_b32_e32 v7, 60
	v_lshlrev_b32_e32 v0, 20, v0
	v_and_b32_sdwa v4, sext(v6), s27 dst_sel:DWORD dst_unused:UNUSED_PAD src0_sel:BYTE_0 src1_sel:DWORD
	v_lshl_add_u32 v1, v1, 23, v7
	v_or3_b32 v4, v4, v1, v0
	v_pk_mov_b32 v[40:41], v[4:5], v[4:5] op_sel:[0,1]
.LBB241_752:                            ;   in Loop: Header=BB241_13 Depth=1
	s_or_b64 exec, exec, s[40:41]
.LBB241_753:                            ;   in Loop: Header=BB241_13 Depth=1
	s_or_b64 exec, exec, s[38:39]
.LBB241_754:                            ;   in Loop: Header=BB241_13 Depth=1
	s_or_b64 exec, exec, s[36:37]
	v_cmp_ne_u16_sdwa vcc, v6, v5 src0_sel:BYTE_1 src1_sel:DWORD
	s_and_saveexec_b64 s[36:37], vcc
	s_cbranch_execz .LBB241_760
; %bb.755:                              ;   in Loop: Header=BB241_13 Depth=1
	v_cmp_ne_u16_sdwa vcc, v6, s43 src0_sel:BYTE_1 src1_sel:DWORD
	v_pk_mov_b32 v[18:19], s[26:27], s[26:27] op_sel:[0,1]
	s_and_saveexec_b64 s[38:39], vcc
	s_cbranch_execz .LBB241_759
; %bb.756:                              ;   in Loop: Header=BB241_13 Depth=1
	v_and_b32_sdwa v7, v6, s44 dst_sel:DWORD dst_unused:UNUSED_PAD src0_sel:BYTE_1 src1_sel:DWORD
	s_mov_b32 s34, s26
	v_cmp_ne_u32_e32 vcc, s44, v7
	v_pk_mov_b32 v[18:19], s[34:35], s[34:35] op_sel:[0,1]
	s_and_saveexec_b64 s[40:41], vcc
	s_cbranch_execz .LBB241_758
; %bb.757:                              ;   in Loop: Header=BB241_13 Depth=1
	v_mov_b32_e32 v0, 7
	v_and_b32_sdwa v4, v6, v0 dst_sel:DWORD dst_unused:UNUSED_PAD src0_sel:BYTE_1 src1_sel:DWORD
	v_ffbh_u32_e32 v1, v4
	v_min_u32_e32 v1, 32, v1
	v_lshrrev_b32_e32 v0, 3, v7
	v_cmp_gt_u32_e32 vcc, 8, v7
	v_subrev_u32_e32 v7, 28, v1
	v_lshlrev_b64 v[8:9], v7, v[4:5]
	v_sub_u32_e32 v1, 29, v1
	v_and_b32_e32 v7, 7, v8
	v_cndmask_b32_e32 v0, v0, v1, vcc
	v_cndmask_b32_e32 v1, v4, v7, vcc
	v_lshlrev_b32_e32 v4, 16, v6
	v_bfrev_b32_e32 v6, 60
	v_lshl_add_u32 v0, v0, 23, v6
	v_and_or_b32 v0, v4, s27, v0
	v_lshlrev_b32_e32 v1, 20, v1
	v_or_b32_e32 v19, v0, v1
	v_mov_b32_e32 v18, v5
.LBB241_758:                            ;   in Loop: Header=BB241_13 Depth=1
	s_or_b64 exec, exec, s[40:41]
.LBB241_759:                            ;   in Loop: Header=BB241_13 Depth=1
	s_or_b64 exec, exec, s[38:39]
.LBB241_760:                            ;   in Loop: Header=BB241_13 Depth=1
	s_or_b64 exec, exec, s[36:37]
	flat_load_ushort v0, v[36:37] offset:8
	v_pk_mov_b32 v[32:33], 0, 0
	v_pk_mov_b32 v[42:43], v[32:33], v[32:33] op_sel:[0,1]
	s_waitcnt vmcnt(0) lgkmcnt(0)
	v_and_b32_e32 v6, 0xffff, v0
	v_cmp_ne_u16_sdwa vcc, v0, v5 src0_sel:BYTE_0 src1_sel:DWORD
	s_and_saveexec_b64 s[36:37], vcc
	s_cbranch_execz .LBB241_766
; %bb.761:                              ;   in Loop: Header=BB241_13 Depth=1
	v_bfrev_b32_e32 v42, 1
	v_cmp_ne_u16_sdwa vcc, v6, s43 src0_sel:BYTE_0 src1_sel:DWORD
	v_mov_b32_e32 v43, 0
	s_and_saveexec_b64 s[38:39], vcc
	s_cbranch_execz .LBB241_765
; %bb.762:                              ;   in Loop: Header=BB241_13 Depth=1
	v_and_b32_e32 v4, 0x7f, v6
	v_mov_b32_e32 v42, 0x7f800001
	v_cmp_ne_u32_e32 vcc, s44, v4
	v_mov_b32_e32 v43, 0
	s_and_saveexec_b64 s[40:41], vcc
	s_cbranch_execz .LBB241_764
; %bb.763:                              ;   in Loop: Header=BB241_13 Depth=1
	v_and_b32_e32 v0, 7, v6
	v_lshrrev_b32_e32 v1, 3, v4
	v_cmp_gt_u32_e32 vcc, 8, v4
	v_ffbh_u32_e32 v4, v0
	v_min_u32_e32 v4, 32, v4
	v_subrev_u32_e32 v7, 28, v4
	v_lshlrev_b64 v[8:9], v7, v[6:7]
	v_sub_u32_e32 v4, 29, v4
	v_and_b32_e32 v7, 7, v8
	v_cndmask_b32_e32 v1, v1, v4, vcc
	v_cndmask_b32_e32 v0, v0, v7, vcc
	v_bfrev_b32_e32 v7, 60
	v_lshlrev_b32_e32 v0, 20, v0
	v_and_b32_sdwa v4, sext(v6), s27 dst_sel:DWORD dst_unused:UNUSED_PAD src0_sel:BYTE_0 src1_sel:DWORD
	v_lshl_add_u32 v1, v1, 23, v7
	v_or3_b32 v4, v4, v1, v0
	v_pk_mov_b32 v[42:43], v[4:5], v[4:5] op_sel:[0,1]
.LBB241_764:                            ;   in Loop: Header=BB241_13 Depth=1
	s_or_b64 exec, exec, s[40:41]
.LBB241_765:                            ;   in Loop: Header=BB241_13 Depth=1
	s_or_b64 exec, exec, s[38:39]
.LBB241_766:                            ;   in Loop: Header=BB241_13 Depth=1
	s_or_b64 exec, exec, s[36:37]
	v_cmp_ne_u16_sdwa vcc, v6, v5 src0_sel:BYTE_1 src1_sel:DWORD
	s_and_saveexec_b64 s[36:37], vcc
	s_cbranch_execz .LBB241_772
; %bb.767:                              ;   in Loop: Header=BB241_13 Depth=1
	v_cmp_ne_u16_sdwa vcc, v6, s43 src0_sel:BYTE_1 src1_sel:DWORD
	v_pk_mov_b32 v[32:33], s[26:27], s[26:27] op_sel:[0,1]
	s_and_saveexec_b64 s[38:39], vcc
	s_cbranch_execz .LBB241_771
; %bb.768:                              ;   in Loop: Header=BB241_13 Depth=1
	v_and_b32_sdwa v7, v6, s44 dst_sel:DWORD dst_unused:UNUSED_PAD src0_sel:BYTE_1 src1_sel:DWORD
	s_mov_b32 s34, s26
	v_cmp_ne_u32_e32 vcc, s44, v7
	v_pk_mov_b32 v[32:33], s[34:35], s[34:35] op_sel:[0,1]
	s_and_saveexec_b64 s[40:41], vcc
	s_cbranch_execz .LBB241_770
; %bb.769:                              ;   in Loop: Header=BB241_13 Depth=1
	v_mov_b32_e32 v0, 7
	v_and_b32_sdwa v4, v6, v0 dst_sel:DWORD dst_unused:UNUSED_PAD src0_sel:BYTE_1 src1_sel:DWORD
	v_ffbh_u32_e32 v1, v4
	v_min_u32_e32 v1, 32, v1
	v_lshrrev_b32_e32 v0, 3, v7
	v_cmp_gt_u32_e32 vcc, 8, v7
	v_subrev_u32_e32 v7, 28, v1
	v_lshlrev_b64 v[8:9], v7, v[4:5]
	v_sub_u32_e32 v1, 29, v1
	v_and_b32_e32 v7, 7, v8
	v_cndmask_b32_e32 v0, v0, v1, vcc
	v_cndmask_b32_e32 v1, v4, v7, vcc
	v_lshlrev_b32_e32 v4, 16, v6
	v_bfrev_b32_e32 v6, 60
	v_lshl_add_u32 v0, v0, 23, v6
	v_and_or_b32 v0, v4, s27, v0
	v_lshlrev_b32_e32 v1, 20, v1
	v_or_b32_e32 v33, v0, v1
	v_mov_b32_e32 v32, v5
.LBB241_770:                            ;   in Loop: Header=BB241_13 Depth=1
	s_or_b64 exec, exec, s[40:41]
.LBB241_771:                            ;   in Loop: Header=BB241_13 Depth=1
	s_or_b64 exec, exec, s[38:39]
.LBB241_772:                            ;   in Loop: Header=BB241_13 Depth=1
	s_or_b64 exec, exec, s[36:37]
	flat_load_ushort v0, v[36:37] offset:12
	v_pk_mov_b32 v[30:31], 0, 0
	s_waitcnt vmcnt(0) lgkmcnt(0)
	v_and_b32_e32 v6, 0xffff, v0
	v_cmp_ne_u16_sdwa vcc, v0, v5 src0_sel:BYTE_0 src1_sel:DWORD
	v_pk_mov_b32 v[0:1], v[30:31], v[30:31] op_sel:[0,1]
	s_and_saveexec_b64 s[36:37], vcc
	s_cbranch_execz .LBB241_778
; %bb.773:                              ;   in Loop: Header=BB241_13 Depth=1
	v_bfrev_b32_e32 v0, 1
	v_cmp_ne_u16_sdwa vcc, v6, s43 src0_sel:BYTE_0 src1_sel:DWORD
	v_mov_b32_e32 v1, 0
	s_and_saveexec_b64 s[38:39], vcc
	s_cbranch_execz .LBB241_777
; %bb.774:                              ;   in Loop: Header=BB241_13 Depth=1
	v_and_b32_e32 v4, 0x7f, v6
	v_mov_b32_e32 v0, 0x7f800001
	v_cmp_ne_u32_e32 vcc, s44, v4
	v_mov_b32_e32 v1, 0
	s_and_saveexec_b64 s[40:41], vcc
	s_cbranch_execz .LBB241_776
; %bb.775:                              ;   in Loop: Header=BB241_13 Depth=1
	v_and_b32_e32 v0, 7, v6
	v_lshrrev_b32_e32 v1, 3, v4
	v_cmp_gt_u32_e32 vcc, 8, v4
	v_ffbh_u32_e32 v4, v0
	v_min_u32_e32 v4, 32, v4
	v_subrev_u32_e32 v7, 28, v4
	v_lshlrev_b64 v[8:9], v7, v[6:7]
	v_sub_u32_e32 v4, 29, v4
	v_and_b32_e32 v7, 7, v8
	v_cndmask_b32_e32 v1, v1, v4, vcc
	v_cndmask_b32_e32 v0, v0, v7, vcc
	v_bfrev_b32_e32 v7, 60
	v_lshlrev_b32_e32 v0, 20, v0
	v_and_b32_sdwa v4, sext(v6), s27 dst_sel:DWORD dst_unused:UNUSED_PAD src0_sel:BYTE_0 src1_sel:DWORD
	v_lshl_add_u32 v1, v1, 23, v7
	v_or3_b32 v4, v4, v1, v0
	v_pk_mov_b32 v[0:1], v[4:5], v[4:5] op_sel:[0,1]
.LBB241_776:                            ;   in Loop: Header=BB241_13 Depth=1
	s_or_b64 exec, exec, s[40:41]
.LBB241_777:                            ;   in Loop: Header=BB241_13 Depth=1
	s_or_b64 exec, exec, s[38:39]
.LBB241_778:                            ;   in Loop: Header=BB241_13 Depth=1
	s_or_b64 exec, exec, s[36:37]
	v_accvgpr_write_b32 a25, v1
	v_accvgpr_write_b32 a24, v0
	v_cmp_ne_u16_sdwa vcc, v6, v5 src0_sel:BYTE_1 src1_sel:DWORD
	s_and_saveexec_b64 s[36:37], vcc
	s_cbranch_execz .LBB241_784
; %bb.779:                              ;   in Loop: Header=BB241_13 Depth=1
	v_cmp_ne_u16_sdwa vcc, v6, s43 src0_sel:BYTE_1 src1_sel:DWORD
	v_pk_mov_b32 v[30:31], s[26:27], s[26:27] op_sel:[0,1]
	s_and_saveexec_b64 s[38:39], vcc
	s_cbranch_execz .LBB241_783
; %bb.780:                              ;   in Loop: Header=BB241_13 Depth=1
	v_and_b32_sdwa v7, v6, s44 dst_sel:DWORD dst_unused:UNUSED_PAD src0_sel:BYTE_1 src1_sel:DWORD
	s_mov_b32 s34, s26
	v_cmp_ne_u32_e32 vcc, s44, v7
	v_pk_mov_b32 v[30:31], s[34:35], s[34:35] op_sel:[0,1]
	s_and_saveexec_b64 s[40:41], vcc
	s_cbranch_execz .LBB241_782
; %bb.781:                              ;   in Loop: Header=BB241_13 Depth=1
	v_mov_b32_e32 v0, 7
	v_and_b32_sdwa v4, v6, v0 dst_sel:DWORD dst_unused:UNUSED_PAD src0_sel:BYTE_1 src1_sel:DWORD
	v_ffbh_u32_e32 v1, v4
	v_min_u32_e32 v1, 32, v1
	v_lshrrev_b32_e32 v0, 3, v7
	v_cmp_gt_u32_e32 vcc, 8, v7
	v_subrev_u32_e32 v7, 28, v1
	v_lshlrev_b64 v[8:9], v7, v[4:5]
	v_sub_u32_e32 v1, 29, v1
	v_and_b32_e32 v7, 7, v8
	v_cndmask_b32_e32 v0, v0, v1, vcc
	v_cndmask_b32_e32 v1, v4, v7, vcc
	v_lshlrev_b32_e32 v4, 16, v6
	v_bfrev_b32_e32 v6, 60
	v_lshl_add_u32 v0, v0, 23, v6
	v_and_or_b32 v0, v4, s27, v0
	v_lshlrev_b32_e32 v1, 20, v1
	v_or_b32_e32 v31, v0, v1
	v_mov_b32_e32 v30, v5
.LBB241_782:                            ;   in Loop: Header=BB241_13 Depth=1
	s_or_b64 exec, exec, s[40:41]
.LBB241_783:                            ;   in Loop: Header=BB241_13 Depth=1
	s_or_b64 exec, exec, s[38:39]
.LBB241_784:                            ;   in Loop: Header=BB241_13 Depth=1
	s_or_b64 exec, exec, s[36:37]
	buffer_load_dword v0, off, s[0:3], s32 offset:264 ; 4-byte Folded Reload
	buffer_load_dword v1, off, s[0:3], s32 offset:268 ; 4-byte Folded Reload
	;; [unrolled: 1-line block ×4, first 2 shown]
	v_or_b32_e32 v23, v23, v35
	v_or_b32_e32 v22, v22, v34
	;; [unrolled: 1-line block ×10, first 2 shown]
	v_accvgpr_read_b32 v2, a2
	v_accvgpr_read_b32 v3, a3
	v_or_b32_e32 v33, v33, v43
	v_or_b32_e32 v32, v32, v42
	;; [unrolled: 1-line block ×4, first 2 shown]
	v_accvgpr_read_b32 v55, a11
	v_accvgpr_read_b32 v54, a10
	s_waitcnt vmcnt(0)
	v_or_b32_e32 v7, v1, v7
	v_or_b32_e32 v6, v0, v6
	buffer_load_dword v0, off, s[0:3], s32 offset:240 ; 4-byte Folded Reload
	buffer_load_dword v1, off, s[0:3], s32 offset:244 ; 4-byte Folded Reload
	;; [unrolled: 1-line block ×4, first 2 shown]
	v_pk_mul_f32 v[6:7], v[20:21], v[6:7] op_sel_hi:[0,1]
	v_mul_f32_e32 v21, v29, v7
	v_mul_f32_e32 v4, v28, v6
	s_waitcnt vmcnt(0)
	v_or_b32_e32 v9, v9, v1
	v_or_b32_e32 v8, v8, v0
	buffer_load_dword v0, off, s[0:3], s32 offset:288 ; 4-byte Folded Reload
	buffer_load_dword v1, off, s[0:3], s32 offset:292 ; 4-byte Folded Reload
	v_pk_mul_f32 v[6:7], v[20:21], v[8:9] op_sel_hi:[0,1]
	v_fmac_f32_e32 v4, v26, v6
	v_fmac_f32_e32 v21, v27, v7
	s_waitcnt vmcnt(0)
	v_or_b32_e32 v7, v13, v1
	v_or_b32_e32 v6, v12, v0
	buffer_load_dword v0, off, s[0:3], s32 offset:280 ; 4-byte Folded Reload
	buffer_load_dword v1, off, s[0:3], s32 offset:284 ; 4-byte Folded Reload
	;; [unrolled: 1-line block ×8, first 2 shown]
	v_mov_b32_e32 v12, v48
	s_waitcnt vmcnt(4)
	v_or_b32_e32 v9, v1, v9
	v_or_b32_e32 v8, v0, v8
	v_pk_mul_f32 v[8:9], v[20:21], v[8:9] op_sel_hi:[0,1]
	s_waitcnt vmcnt(2)
	v_fmac_f32_e32 v21, v27, v9
	v_fmac_f32_e32 v4, v26, v8
	v_pk_mul_f32 v[6:7], v[20:21], v[6:7] op_sel_hi:[0,1]
	s_waitcnt vmcnt(1)
	v_fmac_f32_e32 v4, v28, v6
	s_waitcnt vmcnt(0)
	v_fmac_f32_e32 v21, v29, v7
	buffer_load_dword v0, off, s[0:3], s32 offset:320 ; 4-byte Folded Reload
	buffer_load_dword v1, off, s[0:3], s32 offset:324 ; 4-byte Folded Reload
	buffer_load_dword v6, off, s[0:3], s32 offset:312 ; 4-byte Folded Reload
	buffer_load_dword v7, off, s[0:3], s32 offset:316 ; 4-byte Folded Reload
	s_waitcnt vmcnt(0)
	v_or_b32_e32 v7, v1, v7
	v_or_b32_e32 v6, v0, v6
	buffer_load_dword v0, off, s[0:3], s32 offset:304 ; 4-byte Folded Reload
	buffer_load_dword v1, off, s[0:3], s32 offset:308 ; 4-byte Folded Reload
	buffer_load_dword v8, off, s[0:3], s32 offset:296 ; 4-byte Folded Reload
	buffer_load_dword v9, off, s[0:3], s32 offset:300 ; 4-byte Folded Reload
	buffer_load_dword v26, off, s[0:3], s32 offset:948 ; 4-byte Folded Reload
	buffer_load_dword v27, off, s[0:3], s32 offset:952 ; 4-byte Folded Reload
	buffer_load_dword v28, off, s[0:3], s32 offset:956 ; 4-byte Folded Reload
	buffer_load_dword v29, off, s[0:3], s32 offset:960 ; 4-byte Folded Reload
	s_waitcnt vmcnt(4)
	v_or_b32_e32 v9, v1, v9
	v_or_b32_e32 v8, v0, v8
	v_pk_mul_f32 v[8:9], v[20:21], v[8:9] op_sel_hi:[0,1]
	s_waitcnt vmcnt(2)
	v_fmac_f32_e32 v21, v27, v9
	v_fmac_f32_e32 v4, v26, v8
	v_pk_mul_f32 v[6:7], v[20:21], v[6:7] op_sel_hi:[0,1]
	s_waitcnt vmcnt(1)
	v_fmac_f32_e32 v4, v28, v6
	s_waitcnt vmcnt(0)
	v_fmac_f32_e32 v21, v29, v7
	buffer_load_dword v0, off, s[0:3], s32 offset:352 ; 4-byte Folded Reload
	buffer_load_dword v1, off, s[0:3], s32 offset:356 ; 4-byte Folded Reload
	buffer_load_dword v6, off, s[0:3], s32 offset:344 ; 4-byte Folded Reload
	buffer_load_dword v7, off, s[0:3], s32 offset:348 ; 4-byte Folded Reload
	s_waitcnt vmcnt(0)
	v_or_b32_e32 v7, v1, v7
	v_or_b32_e32 v6, v0, v6
	buffer_load_dword v0, off, s[0:3], s32 offset:336 ; 4-byte Folded Reload
	buffer_load_dword v1, off, s[0:3], s32 offset:340 ; 4-byte Folded Reload
	buffer_load_dword v8, off, s[0:3], s32 offset:328 ; 4-byte Folded Reload
	buffer_load_dword v9, off, s[0:3], s32 offset:332 ; 4-byte Folded Reload
	buffer_load_dword v26, off, s[0:3], s32 offset:932 ; 4-byte Folded Reload
	buffer_load_dword v27, off, s[0:3], s32 offset:936 ; 4-byte Folded Reload
	buffer_load_dword v28, off, s[0:3], s32 offset:940 ; 4-byte Folded Reload
	buffer_load_dword v29, off, s[0:3], s32 offset:944 ; 4-byte Folded Reload
	;; [unrolled: 27-line block ×3, first 2 shown]
	s_waitcnt vmcnt(4)
	v_or_b32_e32 v9, v1, v9
	v_or_b32_e32 v8, v0, v8
	buffer_load_dword v0, off, s[0:3], s32 offset:408 ; 4-byte Folded Reload
	buffer_load_dword v1, off, s[0:3], s32 offset:412 ; 4-byte Folded Reload
	v_pk_mul_f32 v[8:9], v[20:21], v[8:9] op_sel_hi:[0,1]
	s_waitcnt vmcnt(4)
	v_fmac_f32_e32 v21, v27, v9
	v_fmac_f32_e32 v4, v26, v8
	v_pk_mul_f32 v[6:7], v[20:21], v[6:7] op_sel_hi:[0,1]
	s_waitcnt vmcnt(3)
	v_fmac_f32_e32 v4, v28, v6
	s_waitcnt vmcnt(2)
	v_fmac_f32_e32 v21, v29, v7
	s_waitcnt vmcnt(0)
	v_or_b32_e32 v7, v47, v1
	v_or_b32_e32 v6, v46, v0
	buffer_load_dword v0, off, s[0:3], s32 offset:400 ; 4-byte Folded Reload
	buffer_load_dword v1, off, s[0:3], s32 offset:404 ; 4-byte Folded Reload
	buffer_load_dword v8, off, s[0:3], s32 offset:392 ; 4-byte Folded Reload
	buffer_load_dword v9, off, s[0:3], s32 offset:396 ; 4-byte Folded Reload
	buffer_load_dword v26, off, s[0:3], s32 offset:900 ; 4-byte Folded Reload
	buffer_load_dword v27, off, s[0:3], s32 offset:904 ; 4-byte Folded Reload
	buffer_load_dword v28, off, s[0:3], s32 offset:908 ; 4-byte Folded Reload
	buffer_load_dword v29, off, s[0:3], s32 offset:912 ; 4-byte Folded Reload
	s_waitcnt vmcnt(4)
	v_or_b32_e32 v9, v1, v9
	v_or_b32_e32 v8, v0, v8
	v_pk_mul_f32 v[8:9], v[20:21], v[8:9] op_sel_hi:[0,1]
	s_waitcnt vmcnt(2)
	v_fmac_f32_e32 v21, v27, v9
	v_fmac_f32_e32 v4, v26, v8
	v_pk_mul_f32 v[6:7], v[20:21], v[6:7] op_sel_hi:[0,1]
	s_waitcnt vmcnt(1)
	v_fmac_f32_e32 v4, v28, v6
	s_waitcnt vmcnt(0)
	v_fmac_f32_e32 v21, v29, v7
	buffer_load_dword v0, off, s[0:3], s32 offset:440 ; 4-byte Folded Reload
	buffer_load_dword v1, off, s[0:3], s32 offset:444 ; 4-byte Folded Reload
	buffer_load_dword v6, off, s[0:3], s32 offset:432 ; 4-byte Folded Reload
	buffer_load_dword v7, off, s[0:3], s32 offset:436 ; 4-byte Folded Reload
	s_waitcnt vmcnt(0)
	v_or_b32_e32 v7, v1, v7
	v_or_b32_e32 v6, v0, v6
	buffer_load_dword v0, off, s[0:3], s32 offset:424 ; 4-byte Folded Reload
	buffer_load_dword v1, off, s[0:3], s32 offset:428 ; 4-byte Folded Reload
	buffer_load_dword v8, off, s[0:3], s32 offset:416 ; 4-byte Folded Reload
	buffer_load_dword v9, off, s[0:3], s32 offset:420 ; 4-byte Folded Reload
	buffer_load_dword v26, off, s[0:3], s32 offset:884 ; 4-byte Folded Reload
	buffer_load_dword v27, off, s[0:3], s32 offset:888 ; 4-byte Folded Reload
	buffer_load_dword v28, off, s[0:3], s32 offset:892 ; 4-byte Folded Reload
	buffer_load_dword v29, off, s[0:3], s32 offset:896 ; 4-byte Folded Reload
	s_waitcnt vmcnt(4)
	v_or_b32_e32 v9, v1, v9
	v_or_b32_e32 v8, v0, v8
	v_pk_mul_f32 v[8:9], v[20:21], v[8:9] op_sel_hi:[0,1]
	s_waitcnt vmcnt(2)
	v_fmac_f32_e32 v21, v27, v9
	v_fmac_f32_e32 v4, v26, v8
	v_pk_mul_f32 v[6:7], v[20:21], v[6:7] op_sel_hi:[0,1]
	s_waitcnt vmcnt(1)
	v_fmac_f32_e32 v4, v28, v6
	s_waitcnt vmcnt(0)
	v_fmac_f32_e32 v21, v29, v7
	buffer_load_dword v0, off, s[0:3], s32 offset:472 ; 4-byte Folded Reload
	buffer_load_dword v1, off, s[0:3], s32 offset:476 ; 4-byte Folded Reload
	buffer_load_dword v6, off, s[0:3], s32 offset:464 ; 4-byte Folded Reload
	buffer_load_dword v7, off, s[0:3], s32 offset:468 ; 4-byte Folded Reload
	;; [unrolled: 27-line block ×7, first 2 shown]
	s_waitcnt vmcnt(0)
	v_or_b32_e32 v27, v1, v7
	v_or_b32_e32 v26, v0, v6
	buffer_load_dword v0, off, s[0:3], s32 offset:632 ; 4-byte Folded Reload
	buffer_load_dword v1, off, s[0:3], s32 offset:636 ; 4-byte Folded Reload
	;; [unrolled: 1-line block ×4, first 2 shown]
	s_waitcnt vmcnt(0)
	v_or_b32_e32 v7, v1, v7
	v_or_b32_e32 v6, v0, v6
	buffer_load_dword v0, off, s[0:3], s32 offset:616 ; 4-byte Folded Reload
	buffer_load_dword v1, off, s[0:3], s32 offset:620 ; 4-byte Folded Reload
	;; [unrolled: 1-line block ×4, first 2 shown]
	s_waitcnt vmcnt(0)
	v_or_b32_e32 v9, v1, v9
	v_or_b32_e32 v8, v0, v8
	buffer_load_dword v0, off, s[0:3], s32 offset:980 ; 4-byte Folded Reload
	buffer_load_dword v1, off, s[0:3], s32 offset:984 ; 4-byte Folded Reload
	v_pk_mul_f32 v[8:9], v[20:21], v[8:9] op_sel_hi:[0,1]
	s_waitcnt vmcnt(0)
	v_fmac_f32_e32 v21, v1, v9
	v_fmac_f32_e32 v4, v0, v8
	v_pk_mul_f32 v[0:1], v[20:21], v[6:7] op_sel_hi:[0,1]
	ds_read2_b64 v[6:9], v48 offset0:25 offset1:26
	ds_read2_b64 v[46:49], v48 offset0:27 offset1:28
	s_waitcnt lgkmcnt(1)
	v_fmac_f32_e32 v21, v7, v1
	v_fmac_f32_e32 v4, v6, v0
	v_pk_mul_f32 v[0:1], v[20:21], v[26:27] op_sel_hi:[0,1]
	v_fmac_f32_e32 v4, v8, v0
	v_fmac_f32_e32 v21, v9, v1
	buffer_load_dword v0, off, s[0:3], s32 offset:680 ; 4-byte Folded Reload
	buffer_load_dword v1, off, s[0:3], s32 offset:684 ; 4-byte Folded Reload
	buffer_load_dword v6, off, s[0:3], s32 offset:672 ; 4-byte Folded Reload
	buffer_load_dword v7, off, s[0:3], s32 offset:676 ; 4-byte Folded Reload
	s_waitcnt vmcnt(0)
	v_or_b32_e32 v1, v1, v7
	v_or_b32_e32 v0, v0, v6
	buffer_load_dword v6, off, s[0:3], s32 offset:664 ; 4-byte Folded Reload
	buffer_load_dword v7, off, s[0:3], s32 offset:668 ; 4-byte Folded Reload
	buffer_load_dword v8, off, s[0:3], s32 offset:656 ; 4-byte Folded Reload
	buffer_load_dword v9, off, s[0:3], s32 offset:660 ; 4-byte Folded Reload
	s_waitcnt vmcnt(0)
	v_or_b32_e32 v7, v7, v9
	v_or_b32_e32 v6, v6, v8
	v_pk_mul_f32 v[6:7], v[20:21], v[6:7] op_sel_hi:[0,1]
	s_waitcnt lgkmcnt(0)
	v_fmac_f32_e32 v21, v47, v7
	v_fmac_f32_e32 v4, v46, v6
	v_pk_mul_f32 v[0:1], v[20:21], v[0:1] op_sel_hi:[0,1]
	v_fmac_f32_e32 v4, v48, v0
	v_fmac_f32_e32 v21, v49, v1
	buffer_load_dword v0, off, s[0:3], s32 offset:712 ; 4-byte Folded Reload
	buffer_load_dword v1, off, s[0:3], s32 offset:716 ; 4-byte Folded Reload
	buffer_load_dword v6, off, s[0:3], s32 offset:704 ; 4-byte Folded Reload
	buffer_load_dword v7, off, s[0:3], s32 offset:708 ; 4-byte Folded Reload
	s_waitcnt vmcnt(0)
	v_or_b32_e32 v1, v1, v7
	v_or_b32_e32 v0, v0, v6
	buffer_load_dword v6, off, s[0:3], s32 offset:696 ; 4-byte Folded Reload
	buffer_load_dword v7, off, s[0:3], s32 offset:700 ; 4-byte Folded Reload
	buffer_load_dword v8, off, s[0:3], s32 offset:688 ; 4-byte Folded Reload
	buffer_load_dword v9, off, s[0:3], s32 offset:692 ; 4-byte Folded Reload
	s_waitcnt vmcnt(0)
	v_or_b32_e32 v7, v7, v9
	v_or_b32_e32 v6, v6, v8
	v_pk_mul_f32 v[26:27], v[20:21], v[6:7] op_sel_hi:[0,1]
	ds_read2_b64 v[6:9], v12 offset0:29 offset1:30
	ds_read2_b64 v[46:49], v12 offset0:31 offset1:32
	s_waitcnt lgkmcnt(1)
	v_fmac_f32_e32 v21, v7, v27
	v_fmac_f32_e32 v4, v6, v26
	v_pk_mul_f32 v[0:1], v[20:21], v[0:1] op_sel_hi:[0,1]
	v_fmac_f32_e32 v4, v8, v0
	v_fmac_f32_e32 v21, v9, v1
	buffer_load_dword v0, off, s[0:3], s32 offset:744 ; 4-byte Folded Reload
	buffer_load_dword v1, off, s[0:3], s32 offset:748 ; 4-byte Folded Reload
	buffer_load_dword v6, off, s[0:3], s32 offset:736 ; 4-byte Folded Reload
	buffer_load_dword v7, off, s[0:3], s32 offset:740 ; 4-byte Folded Reload
	s_waitcnt vmcnt(0)
	v_or_b32_e32 v1, v1, v7
	v_or_b32_e32 v0, v0, v6
	buffer_load_dword v6, off, s[0:3], s32 offset:728 ; 4-byte Folded Reload
	buffer_load_dword v7, off, s[0:3], s32 offset:732 ; 4-byte Folded Reload
	buffer_load_dword v8, off, s[0:3], s32 offset:720 ; 4-byte Folded Reload
	buffer_load_dword v9, off, s[0:3], s32 offset:724 ; 4-byte Folded Reload
	s_waitcnt vmcnt(0)
	v_or_b32_e32 v7, v7, v9
	v_or_b32_e32 v6, v6, v8
	v_pk_mul_f32 v[6:7], v[20:21], v[6:7] op_sel_hi:[0,1]
	s_waitcnt lgkmcnt(0)
	v_fmac_f32_e32 v21, v47, v7
	v_fmac_f32_e32 v4, v46, v6
	v_pk_mul_f32 v[0:1], v[20:21], v[0:1] op_sel_hi:[0,1]
	v_fmac_f32_e32 v4, v48, v0
	v_fmac_f32_e32 v21, v49, v1
	buffer_load_dword v0, off, s[0:3], s32 offset:776 ; 4-byte Folded Reload
	buffer_load_dword v1, off, s[0:3], s32 offset:780 ; 4-byte Folded Reload
	buffer_load_dword v6, off, s[0:3], s32 offset:768 ; 4-byte Folded Reload
	buffer_load_dword v7, off, s[0:3], s32 offset:772 ; 4-byte Folded Reload
	s_waitcnt vmcnt(0)
	v_or_b32_e32 v1, v1, v7
	v_or_b32_e32 v0, v0, v6
	buffer_load_dword v6, off, s[0:3], s32 offset:760 ; 4-byte Folded Reload
	buffer_load_dword v7, off, s[0:3], s32 offset:764 ; 4-byte Folded Reload
	buffer_load_dword v8, off, s[0:3], s32 offset:752 ; 4-byte Folded Reload
	buffer_load_dword v9, off, s[0:3], s32 offset:756 ; 4-byte Folded Reload
	s_waitcnt vmcnt(0)
	v_or_b32_e32 v7, v7, v9
	v_or_b32_e32 v6, v6, v8
	v_pk_mul_f32 v[26:27], v[20:21], v[6:7] op_sel_hi:[0,1]
	ds_read2_b64 v[6:9], v12 offset0:33 offset1:34
	ds_read2_b64 v[46:49], v12 offset0:35 offset1:36
	s_waitcnt lgkmcnt(1)
	v_fmac_f32_e32 v21, v7, v27
	v_fmac_f32_e32 v4, v6, v26
	v_pk_mul_f32 v[0:1], v[20:21], v[0:1] op_sel_hi:[0,1]
	v_fmac_f32_e32 v4, v8, v0
	v_fmac_f32_e32 v21, v9, v1
	buffer_load_dword v0, off, s[0:3], s32 offset:808 ; 4-byte Folded Reload
	buffer_load_dword v1, off, s[0:3], s32 offset:812 ; 4-byte Folded Reload
	buffer_load_dword v6, off, s[0:3], s32 offset:800 ; 4-byte Folded Reload
	buffer_load_dword v7, off, s[0:3], s32 offset:804 ; 4-byte Folded Reload
	s_waitcnt vmcnt(0)
	v_or_b32_e32 v1, v1, v7
	v_or_b32_e32 v0, v0, v6
	buffer_load_dword v6, off, s[0:3], s32 offset:792 ; 4-byte Folded Reload
	buffer_load_dword v7, off, s[0:3], s32 offset:796 ; 4-byte Folded Reload
	buffer_load_dword v8, off, s[0:3], s32 offset:784 ; 4-byte Folded Reload
	buffer_load_dword v9, off, s[0:3], s32 offset:788 ; 4-byte Folded Reload
	s_waitcnt vmcnt(0)
	v_or_b32_e32 v7, v7, v9
	v_or_b32_e32 v6, v6, v8
	v_pk_mul_f32 v[6:7], v[20:21], v[6:7] op_sel_hi:[0,1]
	s_waitcnt lgkmcnt(0)
	v_fmac_f32_e32 v21, v47, v7
	v_fmac_f32_e32 v4, v46, v6
	v_pk_mul_f32 v[0:1], v[20:21], v[0:1] op_sel_hi:[0,1]
	v_fmac_f32_e32 v4, v48, v0
	v_fmac_f32_e32 v21, v49, v1
	buffer_load_dword v0, off, s[0:3], s32 offset:840 ; 4-byte Folded Reload
	buffer_load_dword v1, off, s[0:3], s32 offset:844 ; 4-byte Folded Reload
	buffer_load_dword v6, off, s[0:3], s32 offset:832 ; 4-byte Folded Reload
	buffer_load_dword v7, off, s[0:3], s32 offset:836 ; 4-byte Folded Reload
	s_waitcnt vmcnt(0)
	v_or_b32_e32 v1, v1, v7
	v_or_b32_e32 v0, v0, v6
	buffer_load_dword v6, off, s[0:3], s32 offset:824 ; 4-byte Folded Reload
	buffer_load_dword v7, off, s[0:3], s32 offset:828 ; 4-byte Folded Reload
	buffer_load_dword v8, off, s[0:3], s32 offset:816 ; 4-byte Folded Reload
	buffer_load_dword v9, off, s[0:3], s32 offset:820 ; 4-byte Folded Reload
	s_waitcnt vmcnt(0)
	v_or_b32_e32 v7, v7, v9
	v_or_b32_e32 v6, v6, v8
	v_pk_mul_f32 v[26:27], v[20:21], v[6:7] op_sel_hi:[0,1]
	ds_read2_b64 v[46:49], v12 offset0:37 offset1:38
	ds_read2_b64 v[6:9], v12 offset0:39 offset1:40
	s_waitcnt lgkmcnt(1)
	v_fmac_f32_e32 v21, v47, v27
	v_fmac_f32_e32 v4, v46, v26
	v_pk_mul_f32 v[0:1], v[20:21], v[0:1] op_sel_hi:[0,1]
	v_fmac_f32_e32 v4, v48, v0
	v_fmac_f32_e32 v21, v49, v1
	v_accvgpr_read_b32 v0, a18
	v_accvgpr_read_b32 v1, a19
	v_or_b32_e32 v29, v51, v1
	v_or_b32_e32 v28, v50, v0
	v_accvgpr_read_b32 v0, a20
	v_accvgpr_read_b32 v1, a21
	v_or_b32_e32 v35, v59, v1
	v_or_b32_e32 v34, v58, v0
	;; [unrolled: 4-line block ×6, first 2 shown]
	v_accvgpr_read_b32 v0, a30
	v_accvgpr_read_b32 v2, a12
	v_accvgpr_read_b32 v1, a31
	v_accvgpr_read_b32 v3, a13
	v_or_b32_e32 v45, v1, v3
	v_or_b32_e32 v44, v0, v2
	v_accvgpr_read_b32 v0, a32
	v_accvgpr_read_b32 v2, a38
	v_accvgpr_read_b32 v1, a33
	v_accvgpr_read_b32 v3, a39
	v_or_b32_e32 v47, v1, v3
	v_or_b32_e32 v46, v0, v2
	;; [unrolled: 6-line block ×10, first 2 shown]
	v_accvgpr_read_b32 v2, a16
	v_accvgpr_read_b32 v3, a17
	v_pk_mul_f32 v[16:17], v[20:21], v[16:17] op_sel_hi:[0,1]
	v_or_b32_e32 v55, v3, v55
	v_or_b32_e32 v54, v2, v54
	v_accvgpr_write_b32 a4, v16
	v_accvgpr_write_b32 a5, v17
	v_pk_mul_f32 v[16:17], v[20:21], v[24:25] op_sel_hi:[0,1]
	v_pk_mul_f32 v[24:25], v[20:21], v[34:35] op_sel_hi:[0,1]
	;; [unrolled: 1-line block ×5, first 2 shown]
	s_waitcnt lgkmcnt(0)
	v_fmac_f32_e32 v4, v6, v26
	buffer_load_dword v26, off, s[0:3], s32 offset:1076 ; 4-byte Folded Reload
	v_accvgpr_read_b32 v2, a24
	v_accvgpr_read_b32 v3, a25
	v_or_b32_e32 v3, v31, v3
	v_or_b32_e32 v2, v30, v2
	v_pk_mul_f32 v[30:31], v[20:21], v[32:33] op_sel_hi:[0,1]
	v_pk_mul_f32 v[18:19], v[20:21], v[18:19] op_sel_hi:[0,1]
	v_accvgpr_write_b32 a0, v30
	v_accvgpr_write_b32 a2, v18
	;; [unrolled: 1-line block ×6, first 2 shown]
	v_pk_mul_f32 v[30:31], v[20:21], v[38:39] op_sel_hi:[0,1]
	v_pk_mul_f32 v[18:19], v[20:21], v[36:37] op_sel_hi:[0,1]
	;; [unrolled: 1-line block ×16, first 2 shown]
	v_fmac_f32_e32 v21, v7, v27
	ds_read2_b64 v[44:47], v12 offset0:41 offset1:42
	v_fmac_f32_e32 v21, v9, v15
	v_fmac_f32_e32 v4, v8, v14
	ds_read2_b64 v[52:55], v12 offset0:45 offset1:46
	s_waitcnt vmcnt(0)
	v_and_b32_e32 v7, 64, v26
	v_xor_b32_e32 v6, 1, v26
	v_add_u32_e32 v7, 64, v7
	v_cmp_lt_i32_e32 vcc, v6, v7
	v_cndmask_b32_e32 v6, v26, v6, vcc
	v_pk_mul_f32 v[26:27], v[20:21], v[2:3] op_sel_hi:[0,1]
	v_lshlrev_b32_e32 v2, 2, v6
	ds_read2_b64 v[6:9], v12 offset0:43 offset1:44
	s_waitcnt lgkmcnt(2)
	v_fmac_f32_e32 v4, v44, v0
	v_fmac_f32_e32 v21, v45, v1
	;; [unrolled: 1-line block ×4, first 2 shown]
	s_waitcnt lgkmcnt(0)
	v_fmac_f32_e32 v4, v6, v42
	v_fmac_f32_e32 v21, v7, v43
	;; [unrolled: 1-line block ×4, first 2 shown]
	ds_read2_b64 v[6:9], v12 offset0:47 offset1:48
	v_fmac_f32_e32 v4, v52, v58
	v_fmac_f32_e32 v21, v53, v59
	v_fmac_f32_e32 v4, v54, v56
	v_fmac_f32_e32 v21, v55, v57
	ds_read2_b64 v[52:55], v12 offset0:49 offset1:50
	s_waitcnt lgkmcnt(1)
	v_fmac_f32_e32 v4, v6, v50
	v_fmac_f32_e32 v21, v7, v51
	v_fmac_f32_e32 v4, v8, v48
	v_fmac_f32_e32 v21, v9, v49
	ds_read2_b64 v[6:9], v12 offset0:51 offset1:52
	s_waitcnt lgkmcnt(1)
	;; [unrolled: 6-line block ×6, first 2 shown]
	v_fmac_f32_e32 v4, v32, v18
	v_fmac_f32_e32 v21, v33, v19
	v_accvgpr_read_b32 v0, a6
	v_fmac_f32_e32 v4, v34, v30
	v_fmac_f32_e32 v21, v35, v31
	v_accvgpr_read_b32 v1, a7
	ds_read2_b64 v[14:17], v12 offset0:61 offset1:62
	s_waitcnt lgkmcnt(1)
	v_fmac_f32_e32 v4, v6, v0
	v_fmac_f32_e32 v21, v7, v1
	v_accvgpr_read_b32 v0, a4
	v_accvgpr_read_b32 v1, a5
	v_fmac_f32_e32 v4, v8, v0
	v_fmac_f32_e32 v21, v9, v1
	ds_read_b64 v[0:1], v12 offset:504
	v_accvgpr_read_b32 v7, a3
	v_accvgpr_read_b32 v6, a2
	s_waitcnt lgkmcnt(1)
	v_fmac_f32_e32 v4, v14, v6
	v_fmac_f32_e32 v21, v15, v7
	v_accvgpr_read_b32 v7, a1
	v_accvgpr_read_b32 v6, a0
	v_fmac_f32_e32 v4, v16, v6
	v_fmac_f32_e32 v21, v17, v7
	s_waitcnt lgkmcnt(0)
	v_fmac_f32_e32 v4, v0, v26
	v_fmac_f32_e32 v21, v1, v27
	v_add_f32_e32 v0, v4, v21
	ds_bpermute_b32 v1, v2, v0
	v_mov_b32_e32 v48, v12
	s_and_saveexec_b64 s[36:37], s[6:7]
	s_cbranch_execz .LBB241_11
; %bb.785:                              ;   in Loop: Header=BB241_13 Depth=1
	buffer_load_dword v2, off, s[0:3], s32 offset:1108 ; 4-byte Folded Reload
	buffer_load_dword v3, off, s[0:3], s32 offset:1104 ; 4-byte Folded Reload
	v_accvgpr_read_b32 v4, a34
	s_waitcnt lgkmcnt(0)
	v_add_f32_e32 v0, v0, v1
	s_load_dword vcc_lo, s[28:29], 0x0
	buffer_load_dword v1, off, s[0:3], s32 offset:1100 ; 4-byte Folded Reload
	s_waitcnt vmcnt(2)
	v_add_u32_e32 v2, v2, v4
	s_waitcnt vmcnt(1)
	v_add_u32_e32 v3, v3, v4
	buffer_load_dword v4, off, s[0:3], s32 offset:1096 ; 4-byte Folded Reload
	v_cvt_f32_i32_e32 v2, v2
	s_waitcnt vmcnt(0)
	v_mul_f32_e32 v2, v4, v2
	v_cndmask_b32_e64 v2, 0, v2, s[8:9]
	v_fmac_f32_e32 v2, v0, v1
	buffer_load_dword v1, off, s[0:3], s32 offset:1072 ; 4-byte Folded Reload
	v_accvgpr_read_b32 v4, a35
	s_waitcnt lgkmcnt(0)
	v_add_u32_e32 v4, vcc_lo, v4
	v_cmp_lt_i32_e32 vcc, v3, v62
	v_cndmask_b32_e32 v0, 0, v2, vcc
	ds_write_b32 v4, v0
	s_waitcnt vmcnt(0)
	v_max_f32_e32 v0, v1, v1
	v_max_f32_e32 v0, v0, v2
	v_cndmask_b32_e32 v1, v1, v0, vcc
	buffer_store_dword v1, off, s[0:3], s32 offset:1072 ; 4-byte Folded Spill
	s_branch .LBB241_11
.LBB241_786:
	s_or_b64 exec, exec, s[30:31]
	buffer_load_dword v13, off, s[0:3], s32 offset:1072 ; 4-byte Folded Reload
	v_mbcnt_lo_u32_b32 v0, -1, 0
.LBB241_787:
	s_or_b64 exec, exec, s[24:25]
	v_mbcnt_hi_u32_b32 v2, -1, v0
	v_and_b32_e32 v0, 64, v2
	v_add_u32_e32 v3, 64, v0
	v_xor_b32_e32 v0, 32, v2
	v_cmp_lt_i32_e32 vcc, v0, v3
	v_cndmask_b32_e32 v0, v2, v0, vcc
	v_lshlrev_b32_e32 v0, 2, v0
	s_waitcnt vmcnt(0)
	ds_bpermute_b32 v1, v0, v13
	v_xor_b32_e32 v5, 16, v2
	v_max_f32_e32 v4, v13, v13
	v_cmp_lt_i32_e32 vcc, v5, v3
	v_xor_b32_e32 v6, 8, v2
	s_waitcnt lgkmcnt(0)
	v_max_f32_e32 v1, v1, v1
	v_max_f32_e32 v4, v4, v1
	v_cndmask_b32_e32 v1, v2, v5, vcc
	v_lshlrev_b32_e32 v1, 2, v1
	ds_bpermute_b32 v5, v1, v4
	v_cmp_lt_i32_e32 vcc, v6, v3
	v_xor_b32_e32 v7, 4, v2
	s_lshr_b32 s28, s42, 16
	s_waitcnt lgkmcnt(0)
	v_max_f32_e32 v5, v5, v5
	v_max_f32_e32 v5, v4, v5
	v_cndmask_b32_e32 v4, v2, v6, vcc
	v_lshlrev_b32_e32 v4, 2, v4
	ds_bpermute_b32 v6, v4, v5
	v_cmp_lt_i32_e32 vcc, v7, v3
	s_waitcnt lgkmcnt(0)
	v_max_f32_e32 v6, v6, v6
	v_max_f32_e32 v5, v5, v6
	v_cndmask_b32_e32 v6, v2, v7, vcc
	v_lshlrev_b32_e32 v23, 2, v6
	ds_bpermute_b32 v6, v23, v5
	v_xor_b32_e32 v7, 2, v2
	v_cmp_lt_i32_e32 vcc, v7, v3
	s_waitcnt lgkmcnt(0)
	v_max_f32_e32 v6, v6, v6
	v_max_f32_e32 v6, v5, v6
	v_cndmask_b32_e32 v5, v2, v7, vcc
	v_lshlrev_b32_e32 v21, 2, v5
	buffer_load_dword v5, off, s[0:3], s32 offset:1052 ; 4-byte Folded Reload
	ds_bpermute_b32 v7, v21, v6
	s_waitcnt vmcnt(0)
	v_and_b32_e32 v18, 63, v5
	buffer_load_dword v5, off, s[0:3], s32 offset:1116 ; 4-byte Folded Reload
	v_cmp_eq_u32_e32 vcc, 0, v18
	s_waitcnt vmcnt(0)
	v_lshlrev_b32_e32 v5, 2, v5
	s_and_saveexec_b64 s[6:7], vcc
	s_cbranch_execz .LBB241_789
; %bb.788:
	s_waitcnt lgkmcnt(0)
	v_max_f32_e32 v7, v7, v7
	v_max_f32_e32 v6, v6, v6
	;; [unrolled: 1-line block ×3, first 2 shown]
	ds_write_b32 v5, v6 offset:1024
.LBB241_789:
	s_or_b64 exec, exec, s[6:7]
	v_cmp_gt_u32_e64 s[6:7], 2, v18
	s_waitcnt lgkmcnt(0)
	v_mov_b32_e32 v7, 0xff7fffff
	v_lshlrev_b32_e32 v6, 2, v18
	s_barrier
	s_and_saveexec_b64 s[8:9], s[6:7]
	s_cbranch_execz .LBB241_791
; %bb.790:
	ds_read_b32 v7, v6 offset:1024
.LBB241_791:
	s_or_b64 exec, exec, s[8:9]
	v_xor_b32_e32 v8, 1, v2
	v_cmp_lt_i32_e64 s[8:9], v8, v3
	v_cndmask_b32_e64 v3, v2, v8, s[8:9]
	buffer_load_dword v8, off, s[0:3], s32 offset:220 ; 4-byte Folded Reload
	v_lshlrev_b32_e32 v14, 2, v3
	s_waitcnt lgkmcnt(0)
	ds_bpermute_b32 v3, v14, v7
	v_max_f32_e32 v7, v7, v7
	v_lshlrev_b32_e32 v2, 2, v2
	s_waitcnt lgkmcnt(0)
	v_max_f32_e32 v3, v3, v3
	v_max_f32_e32 v3, v7, v3
	s_waitcnt vmcnt(0)
	v_subrev_u32_e32 v8, s19, v8
	v_lshl_add_u32 v9, v8, 5, s23
	v_min_i32_e32 v7, v9, v62
	buffer_load_dword v9, off, s[0:3], s32 offset:1052 ; 4-byte Folded Reload
	v_and_b32_e32 v8, 0x100, v2
	ds_bpermute_b32 v2, v8, v3
	v_subrev_u32_e32 v3, s23, v7
	s_waitcnt vmcnt(0)
	v_cmp_lt_i32_e64 s[8:9], v9, v3
	v_mov_b32_e32 v9, 0
	s_and_saveexec_b64 s[24:25], s[8:9]
	s_cbranch_execz .LBB241_795
; %bb.792:
	buffer_load_dword v11, off, s[0:3], s32 offset:1052 ; 4-byte Folded Reload
	s_ashr_i32 s21, s20, 31
	s_lshl_b64 s[10:11], s[20:21], 2
	s_getpc_b64 s[26:27]
	s_add_u32 s26, s26, llvm.amdgcn.dynlds.offset.table@rel32@lo+4
	s_addc_u32 s27, s27, llvm.amdgcn.dynlds.offset.table@rel32@hi+12
	s_add_u32 s10, s10, s26
	s_addc_u32 s11, s11, s27
	s_load_dword s10, s[10:11], 0x0
	s_mov_b64 s[26:27], 0
	v_mov_b32_e32 v9, 0
	s_waitcnt vmcnt(0) lgkmcnt(0)
	v_lshl_add_u32 v10, v11, 2, s10
.LBB241_793:                            ; =>This Inner Loop Header: Depth=1
	ds_read_b32 v12, v10
	v_add_u32_e32 v11, 0x80, v11
	v_cmp_ge_i32_e64 s[10:11], v11, v3
	s_or_b64 s[26:27], s[10:11], s[26:27]
	s_waitcnt lgkmcnt(0)
	v_sub_f32_e32 v12, v12, v2
	v_mul_f32_e32 v12, 0x3fb8aa3b, v12
	v_exp_f32_e32 v12, v12
	ds_write_b32 v10, v12
	v_add_f32_e32 v9, v9, v12
	v_add_u32_e32 v10, 0x200, v10
	s_andn2_b64 exec, exec, s[26:27]
	s_cbranch_execnz .LBB241_793
; %bb.794:
	s_or_b64 exec, exec, s[26:27]
.LBB241_795:
	s_or_b64 exec, exec, s[24:25]
	ds_bpermute_b32 v0, v0, v9
	s_waitcnt lgkmcnt(0)
	v_add_f32_e32 v0, v9, v0
	ds_bpermute_b32 v1, v1, v0
	s_waitcnt lgkmcnt(0)
	v_add_f32_e32 v0, v0, v1
	;; [unrolled: 3-line block ×6, first 2 shown]
	s_and_saveexec_b64 s[10:11], vcc
	s_cbranch_execz .LBB241_797
; %bb.796:
	ds_write_b32 v5, v0 offset:1032
.LBB241_797:
	s_or_b64 exec, exec, s[10:11]
	s_waitcnt lgkmcnt(0)
	s_barrier
	s_and_saveexec_b64 s[10:11], s[6:7]
	s_cbranch_execz .LBB241_799
; %bb.798:
	ds_read_b32 v0, v6 offset:1032
.LBB241_799:
	s_or_b64 exec, exec, s[10:11]
	s_waitcnt lgkmcnt(0)
	ds_bpermute_b32 v1, v14, v0
	s_waitcnt lgkmcnt(0)
	v_add_f32_e32 v0, v0, v1
	ds_bpermute_b32 v4, v8, v0
	s_and_saveexec_b64 s[6:7], s[8:9]
	s_cbranch_execz .LBB241_812
; %bb.800:
	s_waitcnt lgkmcnt(0)
	v_add_f32_e32 v0, 0x358637bd, v4
	v_div_scale_f32 v1, s[8:9], v0, v0, 1.0
	v_rcp_f32_e32 v5, v1
	v_div_scale_f32 v6, vcc, 1.0, v0, 1.0
	s_movk_i32 s8, 0x7f
	v_fma_f32 v8, -v1, v5, 1.0
	v_fmac_f32_e32 v5, v8, v5
	v_mul_f32_e32 v8, v6, v5
	v_fma_f32 v9, -v1, v8, v6
	v_fmac_f32_e32 v8, v9, v5
	v_fma_f32 v1, -v1, v8, v6
	buffer_load_dword v6, off, s[0:3], s32 offset:1052 ; 4-byte Folded Reload
	v_div_fmas_f32 v1, v1, v5, v8
	v_div_fixup_f32 v0, v1, v0, 1.0
	s_mov_b64 s[10:11], -1
	s_waitcnt vmcnt(0)
	v_xad_u32 v1, v6, -1, v7
	v_subrev_u32_e32 v5, s23, v1
	v_cmp_lt_u32_e32 vcc, s8, v5
	v_mov_b32_e32 v1, v6
	s_and_saveexec_b64 s[8:9], vcc
	s_cbranch_execz .LBB241_809
; %bb.801:
	v_lshrrev_b32_e32 v5, 7, v5
	v_add_u32_e32 v7, -1, v5
	v_lshrrev_b32_e32 v6, 1, v7
	v_mov_b32_e32 v1, v0
	v_add_u32_e32 v6, 1, v6
	v_cmp_lt_u32_e32 vcc, 13, v7
	v_mov_b32_e32 v9, 0
	s_and_saveexec_b64 s[10:11], vcc
	s_cbranch_execz .LBB241_805
; %bb.802:
	buffer_load_dword v8, off, s[0:3], s32 offset:1052 ; 4-byte Folded Reload
	s_ashr_i32 s21, s20, 31
	s_lshl_b64 s[24:25], s[20:21], 2
	s_getpc_b64 s[26:27]
	s_add_u32 s26, s26, llvm.amdgcn.dynlds.offset.table@rel32@lo+4
	s_addc_u32 s27, s27, llvm.amdgcn.dynlds.offset.table@rel32@hi+12
	s_add_u32 s24, s24, s26
	s_addc_u32 s25, s25, s27
	s_load_dword s21, s[24:25], 0x0
	v_mov_b32_e32 v19, v14
	v_and_b32_e32 v7, -8, v6
	s_mov_b32 s19, 0
	s_mov_b64 s[24:25], 0
	s_waitcnt vmcnt(0) lgkmcnt(0)
	v_lshl_add_u32 v8, v8, 2, s21
.LBB241_803:                            ; =>This Inner Loop Header: Depth=1
	ds_read2st64_b32 v[10:11], v8 offset1:2
	ds_read2st64_b32 v[12:13], v8 offset0:4 offset1:6
	ds_read2st64_b32 v[14:15], v8 offset0:8 offset1:10
	ds_read2st64_b32 v[16:17], v8 offset0:12 offset1:14
	v_add_u32_e32 v7, -8, v7
	s_waitcnt lgkmcnt(3)
	v_pk_mul_f32 v[10:11], v[0:1], v[10:11]
	s_waitcnt lgkmcnt(2)
	v_pk_mul_f32 v[12:13], v[0:1], v[12:13]
	ds_write2st64_b32 v8, v10, v11 offset1:2
	ds_write2st64_b32 v8, v12, v13 offset0:4 offset1:6
	ds_read2st64_b32 v[12:13], v8 offset0:16 offset1:18
	s_waitcnt lgkmcnt(4)
	v_pk_mul_f32 v[10:11], v[0:1], v[14:15]
	ds_write2st64_b32 v8, v10, v11 offset0:8 offset1:10
	s_waitcnt lgkmcnt(4)
	v_pk_mul_f32 v[10:11], v[0:1], v[16:17]
	ds_write2st64_b32 v8, v10, v11 offset0:12 offset1:14
	ds_read2st64_b32 v[10:11], v8 offset0:20 offset1:22
	s_waitcnt lgkmcnt(3)
	v_pk_mul_f32 v[12:13], v[0:1], v[12:13]
	ds_read2st64_b32 v[14:15], v8 offset0:24 offset1:26
	ds_write2st64_b32 v8, v12, v13 offset0:16 offset1:18
	ds_read2st64_b32 v[12:13], v8 offset0:28 offset1:30
	s_waitcnt lgkmcnt(3)
	v_pk_mul_f32 v[10:11], v[0:1], v[10:11]
	ds_write2st64_b32 v8, v10, v11 offset0:20 offset1:22
	s_waitcnt lgkmcnt(3)
	v_pk_mul_f32 v[10:11], v[0:1], v[14:15]
	ds_write2st64_b32 v8, v10, v11 offset0:24 offset1:26
	s_waitcnt lgkmcnt(2)
	v_pk_mul_f32 v[10:11], v[0:1], v[12:13]
	s_add_i32 s19, s19, 16
	v_cmp_eq_u32_e32 vcc, 0, v7
	ds_write2st64_b32 v8, v10, v11 offset0:28 offset1:30
	v_add_u32_e32 v8, 0x2000, v8
	s_or_b64 s[24:25], vcc, s[24:25]
	v_mov_b32_e32 v9, s19
	s_andn2_b64 exec, exec, s[24:25]
	s_cbranch_execnz .LBB241_803
; %bb.804:
	s_or_b64 exec, exec, s[24:25]
	v_mov_b32_e32 v14, v19
.LBB241_805:
	s_or_b64 exec, exec, s[10:11]
	v_and_b32_e32 v6, 7, v6
	v_cmp_ne_u32_e32 vcc, 0, v6
	s_and_saveexec_b64 s[10:11], vcc
	s_cbranch_execz .LBB241_808
; %bb.806:
	buffer_load_dword v8, off, s[0:3], s32 offset:1156 ; 4-byte Folded Reload
	s_ashr_i32 s21, s20, 31
	s_lshl_b64 s[24:25], s[20:21], 2
	s_getpc_b64 s[26:27]
	s_add_u32 s26, s26, llvm.amdgcn.dynlds.offset.table@rel32@lo+4
	s_addc_u32 s27, s27, llvm.amdgcn.dynlds.offset.table@rel32@hi+12
	s_add_u32 s24, s24, s26
	s_addc_u32 s25, s25, s27
	s_load_dword s19, s[24:25], 0x0
	v_lshlrev_b32_e32 v7, 9, v9
	s_mov_b64 s[24:25], 0
	s_waitcnt vmcnt(0) lgkmcnt(0)
	v_add3_u32 v7, v7, v8, s19
.LBB241_807:                            ; =>This Inner Loop Header: Depth=1
	ds_read2st64_b32 v[8:9], v7 offset1:2
	v_add_u32_e32 v6, -1, v6
	v_cmp_eq_u32_e32 vcc, 0, v6
	s_or_b64 s[24:25], vcc, s[24:25]
	s_waitcnt lgkmcnt(0)
	v_pk_mul_f32 v[8:9], v[0:1], v[8:9]
	ds_write2st64_b32 v7, v8, v9 offset1:2
	v_add_u32_e32 v7, 0x400, v7
	s_andn2_b64 exec, exec, s[24:25]
	s_cbranch_execnz .LBB241_807
.LBB241_808:
	s_or_b64 exec, exec, s[10:11]
	buffer_load_dword v1, off, s[0:3], s32 offset:1052 ; 4-byte Folded Reload
	v_add_u32_e32 v5, 1, v5
	v_and_b32_e32 v6, 0x3fffffe, v5
	v_cmp_ne_u32_e32 vcc, v5, v6
	s_orn2_b64 s[10:11], vcc, exec
	s_waitcnt vmcnt(0)
	v_lshl_add_u32 v1, v6, 7, v1
.LBB241_809:
	s_or_b64 exec, exec, s[8:9]
	s_and_b64 exec, exec, s[10:11]
	s_cbranch_execz .LBB241_812
; %bb.810:
	s_ashr_i32 s21, s20, 31
	s_lshl_b64 s[8:9], s[20:21], 2
	s_getpc_b64 s[10:11]
	s_add_u32 s10, s10, llvm.amdgcn.dynlds.offset.table@rel32@lo+4
	s_addc_u32 s11, s11, llvm.amdgcn.dynlds.offset.table@rel32@hi+12
	s_add_u32 s8, s8, s10
	s_addc_u32 s9, s9, s11
	s_load_dword s8, s[8:9], 0x0
	s_waitcnt lgkmcnt(0)
	v_lshl_add_u32 v5, v1, 2, s8
	s_mov_b64 s[8:9], 0
.LBB241_811:                            ; =>This Inner Loop Header: Depth=1
	ds_read_b32 v6, v5
	v_add_u32_e32 v1, 0x80, v1
	v_cmp_ge_i32_e32 vcc, v1, v3
	s_or_b64 s[8:9], vcc, s[8:9]
	s_waitcnt lgkmcnt(0)
	v_mul_f32_e32 v6, v0, v6
	ds_write_b32 v5, v6
	v_add_u32_e32 v5, 0x200, v5
	s_andn2_b64 exec, exec, s[8:9]
	s_cbranch_execnz .LBB241_811
.LBB241_812:
	s_or_b64 exec, exec, s[6:7]
	s_waitcnt lgkmcnt(0)
	s_barrier
	buffer_load_dword v0, off, s[0:3], s32 offset:1052 ; 4-byte Folded Reload
	v_cmp_ne_u16_e64 s[6:7], s28, 0
	s_cmp_lg_u64 s[6:7], 0
	s_addc_u32 s19, s13, 0
	s_mul_i32 s6, s19, s22
	s_mul_i32 s6, s6, s15
	s_waitcnt vmcnt(0)
	v_cmp_eq_u32_e32 vcc, 0, v0
	s_and_saveexec_b64 s[8:9], vcc
	s_cbranch_execz .LBB241_814
; %bb.813:
	buffer_load_dword v0, off, s[0:3], s32 offset:1148 ; 4-byte Folded Reload
	buffer_load_dword v3, off, s[0:3], s32 offset:1144 ; 4-byte Folded Reload
	s_mul_i32 s12, s19, s12
	s_ashr_i32 s7, s6, 31
	s_ashr_i32 s13, s12, 31
	;; [unrolled: 1-line block ×3, first 2 shown]
	s_lshl_b64 s[10:11], s[6:7], 2
	s_lshl_b64 s[12:13], s[12:13], 2
	;; [unrolled: 1-line block ×3, first 2 shown]
	s_add_u32 s7, s22, s12
	s_addc_u32 s12, s23, s13
	s_add_u32 s7, s7, s10
	s_addc_u32 s10, s12, s11
	v_mov_b32_e32 v1, s10
	s_waitcnt vmcnt(1)
	v_add_co_u32_e32 v0, vcc, s7, v0
	s_waitcnt vmcnt(0)
	v_addc_co_u32_e32 v1, vcc, v1, v3, vcc
	flat_store_dword v[0:1], v2
	buffer_load_dword v0, off, s[0:3], s32 offset:1152 ; 4-byte Folded Reload
	v_mov_b32_e32 v1, s10
	buffer_load_dword v2, off, s[0:3], s32 offset:1188 ; 4-byte Folded Reload
	s_waitcnt vmcnt(0)
	v_add_co_u32_e32 v0, vcc, s7, v0
	v_addc_co_u32_e32 v1, vcc, v1, v2, vcc
	flat_store_dword v[0:1], v4
.LBB241_814:
	s_or_b64 exec, exec, s[8:9]
	buffer_load_dword v0, off, s[0:3], s32 offset:1052 ; 4-byte Folded Reload
	v_mov_b32_e32 v2, 0
	v_mov_b32_e32 v3, 0
	;; [unrolled: 1-line block ×3, first 2 shown]
	buffer_store_dword v18, off, s[0:3], s32 offset:640 ; 4-byte Folded Spill
	s_ashr_i32 s21, s20, 31
	s_lshl_b64 s[8:9], s[20:21], 2
	s_getpc_b64 s[10:11]
	s_add_u32 s10, s10, llvm.amdgcn.dynlds.offset.table@rel32@lo+4
	s_addc_u32 s11, s11, llvm.amdgcn.dynlds.offset.table@rel32@hi+12
	s_add_u32 s8, s8, s10
	s_addc_u32 s9, s9, s11
	s_mov_b32 s12, 0
	v_mov_b32_e32 v10, 0
	v_mov_b32_e32 v11, 0
	;; [unrolled: 1-line block ×6, first 2 shown]
	s_waitcnt vmcnt(0)
	v_and_b32_e32 v0, 7, v0
	buffer_store_dword v0, off, s[0:3], s32 offset:632 ; 4-byte Folded Spill
	v_mov_b32_e32 v0, 0
	buffer_store_dword v2, off, s[0:3], s32 offset:448 ; 4-byte Folded Spill
	s_nop 0
	buffer_store_dword v3, off, s[0:3], s32 offset:452 ; 4-byte Folded Spill
	buffer_store_dword v0, off, s[0:3], s32 offset:440 ; 4-byte Folded Spill
	s_nop 0
	buffer_store_dword v1, off, s[0:3], s32 offset:444 ; 4-byte Folded Spill
	v_mov_b32_e32 v0, 0
	v_mov_b32_e32 v1, 0
	buffer_store_dword v0, off, s[0:3], s32 offset:432 ; 4-byte Folded Spill
	s_nop 0
	buffer_store_dword v1, off, s[0:3], s32 offset:436 ; 4-byte Folded Spill
	v_mov_b32_e32 v0, 0
	v_mov_b32_e32 v1, 0
	;; [unrolled: 5-line block ×10, first 2 shown]
	v_mov_b32_e32 v0, 0
	v_mov_b32_e32 v1, 0
	buffer_store_dword v0, off, s[0:3], s32 offset:376 ; 4-byte Folded Spill
	s_nop 0
	buffer_store_dword v1, off, s[0:3], s32 offset:380 ; 4-byte Folded Spill
	s_and_saveexec_b64 s[10:11], s[4:5]
	s_cbranch_execz .LBB241_1652
; %bb.815:
	buffer_store_dword v14, off, s[0:3], s32 offset:664 ; 4-byte Folded Spill
	buffer_store_dword v23, off, s[0:3], s32 offset:648 ; 4-byte Folded Spill
	;; [unrolled: 1-line block ×3, first 2 shown]
	buffer_load_dword v6, off, s[0:3], s32 offset:1156 ; 4-byte Folded Reload
	s_load_dword s4, s[8:9], 0x0
	v_mov_b32_e32 v23, 0
	s_mov_b64 s[20:21], 0
	s_movk_i32 s7, 0x80
	s_movk_i32 s15, 0x7f
	s_brev_b32 s13, 1
	s_mov_b32 s23, 0x7f800001
	s_mov_b32 s34, 0xffffff
	v_mov_b32_e32 v7, 0
	v_mov_b32_e32 v9, 0
	;; [unrolled: 1-line block ×5, first 2 shown]
	s_waitcnt vmcnt(0)
	v_and_b32_e32 v0, 28, v6
	buffer_store_dword v0, off, s[0:3], s32 offset:592 ; 4-byte Folded Spill
	buffer_load_dword v0, off, s[0:3], s32 offset:1168 ; 4-byte Folded Reload
	s_nop 0
	buffer_load_dword v1, off, s[0:3], s32 offset:1112 ; 4-byte Folded Reload
	s_waitcnt vmcnt(0)
	v_max_i32_e32 v3, v1, v0
	buffer_load_dword v2, off, s[0:3], s32 offset:1176 ; 4-byte Folded Reload
	buffer_load_dword v1, off, s[0:3], s32 offset:1140 ; 4-byte Folded Reload
	v_cvt_f32_u32_e32 v0, v3
	v_rcp_iflag_f32_e32 v0, v0
	v_mul_f32_e32 v0, 0x4f7ffffe, v0
	v_cvt_u32_f32_e32 v0, v0
	s_waitcnt vmcnt(0)
	v_add_co_u32_e32 v4, vcc, v1, v2
	buffer_load_dword v2, off, s[0:3], s32 offset:1172 ; 4-byte Folded Reload
	buffer_load_dword v1, off, s[0:3], s32 offset:1136 ; 4-byte Folded Reload
	s_waitcnt vmcnt(0)
	v_addc_co_u32_e32 v5, vcc, v1, v2, vcc
	buffer_store_dword v4, off, s[0:3], s32 offset:504 ; 4-byte Folded Spill
	s_nop 0
	buffer_store_dword v5, off, s[0:3], s32 offset:508 ; 4-byte Folded Spill
	buffer_load_dword v1, off, s[0:3], s32 offset:1184 ; 4-byte Folded Reload
	v_or_b32_e32 v2, 0xf00, v6
	v_and_b32_e32 v4, 0xfc, v6
	v_accvgpr_write_b32 a40, v4
	s_waitcnt vmcnt(0)
	v_add_u32_e32 v1, -1, v1
	buffer_store_dword v1, off, s[0:3], s32 offset:600 ; 4-byte Folded Spill
	buffer_store_dword v2, off, s[0:3], s32 offset:512 ; 4-byte Folded Spill
	s_nop 0
	buffer_store_dword v3, off, s[0:3], s32 offset:516 ; 4-byte Folded Spill
	v_or_b32_e32 v2, 0x1000, v4
	buffer_store_dword v2, off, s[0:3], s32 offset:520 ; 4-byte Folded Spill
	s_nop 0
	buffer_store_dword v3, off, s[0:3], s32 offset:524 ; 4-byte Folded Spill
	v_or_b32_e32 v2, 0x1100, v4
	v_accvgpr_write_b32 a62, v2
	v_or_b32_e32 v2, 0x1f00, v6
	v_mov_b32_e32 v6, 0
	buffer_store_dword v2, off, s[0:3], s32 offset:528 ; 4-byte Folded Spill
	s_nop 0
	buffer_store_dword v3, off, s[0:3], s32 offset:532 ; 4-byte Folded Spill
	buffer_store_dword v3, off, s[0:3], s32 offset:472 ; 4-byte Folded Spill
	v_sub_u32_e32 v1, 0, v3
	v_mul_lo_u32 v1, v1, v0
	v_mul_hi_u32 v1, v0, v1
	v_add_u32_e32 v0, v0, v1
	buffer_store_dword v0, off, s[0:3], s32 offset:464 ; 4-byte Folded Spill
	s_nop 0
	buffer_store_dword v1, off, s[0:3], s32 offset:468 ; 4-byte Folded Spill
	buffer_load_dword v0, off, s[0:3], s32 offset:196 ; 4-byte Folded Reload
	s_nop 0
	buffer_load_dword v1, off, s[0:3], s32 offset:200 ; 4-byte Folded Reload
	buffer_load_dword v2, off, s[0:3], s32 offset:1160 ; 4-byte Folded Reload
	;; [unrolled: 1-line block ×3, first 2 shown]
	s_waitcnt vmcnt(0)
	v_lshlrev_b64 v[0:1], 2, v[0:1]
	v_add_co_u32_e32 v0, vcc, v2, v0
	buffer_load_dword v2, off, s[0:3], s32 offset:1124 ; 4-byte Folded Reload
	v_addc_co_u32_e32 v1, vcc, v3, v1, vcc
	s_waitcnt vmcnt(0)
	v_add_co_u32_e32 v14, vcc, v2, v0
	buffer_load_dword v0, off, s[0:3], s32 offset:1120 ; 4-byte Folded Reload
	s_waitcnt vmcnt(0)
	v_addc_co_u32_e32 v15, vcc, v0, v1, vcc
	buffer_load_dword v0, off, s[0:3], s32 offset:632 ; 4-byte Folded Reload
	buffer_load_dword v1, off, s[0:3], s32 offset:1116 ; 4-byte Folded Reload
	s_waitcnt vmcnt(0)
	v_lshlrev_b32_e32 v0, 4, v0
	v_lshl_or_b32 v0, v1, 7, v0
	s_waitcnt lgkmcnt(0)
	v_add_u32_e32 v0, s4, v0
	v_accvgpr_write_b32 a63, v0
	v_mov_b32_e32 v1, 0
	v_mov_b32_e32 v0, 0
	buffer_store_dword v0, off, s[0:3], s32 offset:376 ; 4-byte Folded Spill
	s_nop 0
	buffer_store_dword v1, off, s[0:3], s32 offset:380 ; 4-byte Folded Spill
	v_mov_b32_e32 v1, 0
	v_mov_b32_e32 v0, 0
	buffer_store_dword v0, off, s[0:3], s32 offset:360 ; 4-byte Folded Spill
	s_nop 0
	buffer_store_dword v1, off, s[0:3], s32 offset:364 ; 4-byte Folded Spill
	;; [unrolled: 5-line block ×13, first 2 shown]
	v_or_b32_e32 v0, 0x1200, v4
	buffer_store_dword v0, off, s[0:3], s32 offset:536 ; 4-byte Folded Spill
	s_nop 0
	buffer_store_dword v1, off, s[0:3], s32 offset:540 ; 4-byte Folded Spill
	v_or_b32_e32 v0, 0x1300, v4
	buffer_store_dword v0, off, s[0:3], s32 offset:544 ; 4-byte Folded Spill
	s_nop 0
	buffer_store_dword v1, off, s[0:3], s32 offset:548 ; 4-byte Folded Spill
	;; [unrolled: 4-line block ×9, first 2 shown]
	v_or_b32_e32 v0, 0x1b00, v4
	v_accvgpr_write_b32 a16, v0
	v_or_b32_e32 v0, 0x1c00, v4
	v_accvgpr_write_b32 a0, v0
	v_or_b32_e32 v0, 0x1d00, v4
	buffer_store_dword v0, off, s[0:3], s32 offset:624 ; 4-byte Folded Spill
	s_nop 0
	buffer_store_dword v1, off, s[0:3], s32 offset:628 ; 4-byte Folded Spill
	buffer_load_dword v1, off, s[0:3], s32 offset:1180 ; 4-byte Folded Reload
	v_or_b32_e32 v0, 0x1e00, v4
	v_accvgpr_write_b32 a4, v0
	s_branch .LBB241_818
.LBB241_816:                            ;   in Loop: Header=BB241_818 Depth=1
	s_or_b64 exec, exec, s[4:5]
	v_accvgpr_read_b32 v18, a28
	v_accvgpr_read_b32 v19, a29
	v_mul_f32_e32 v16, v1, v19
	v_fmac_f32_e32 v16, v0, v18
	v_accvgpr_read_b32 v18, a24
	v_accvgpr_read_b32 v19, a25
	v_fmac_f32_e32 v16, v2, v18
	v_fmac_f32_e32 v16, v3, v19
	v_accvgpr_read_b32 v18, a32
	v_accvgpr_read_b32 v19, a33
	v_mul_f32_e32 v17, v1, v19
	v_accvgpr_read_b32 v20, a22
	v_fmac_f32_e32 v17, v0, v18
	v_accvgpr_read_b32 v18, a26
	v_accvgpr_read_b32 v21, a23
	v_fmac_f32_e32 v17, v2, v18
	v_mul_f32_e32 v18, v1, v21
	v_fmac_f32_e32 v18, v0, v20
	v_accvgpr_read_b32 v20, a20
	v_accvgpr_read_b32 v21, a21
	v_fmac_f32_e32 v18, v2, v20
	v_accvgpr_read_b32 v19, a27
	v_fmac_f32_e32 v18, v3, v21
	;; [unrolled: 2-line block ×3, first 2 shown]
	v_accvgpr_read_b32 v20, a18
	v_mul_f32_e32 v19, v1, v21
	v_fmac_f32_e32 v19, v0, v20
	v_accvgpr_read_b32 v20, a30
	v_accvgpr_read_b32 v25, a15
	v_fmac_f32_e32 v19, v2, v20
	v_accvgpr_read_b32 v24, a14
	v_mul_f32_e32 v20, v1, v25
	v_fmac_f32_e32 v20, v0, v24
	v_accvgpr_read_b32 v25, a9
	v_accvgpr_read_b32 v24, a8
	v_fmac_f32_e32 v20, v2, v24
	v_fmac_f32_e32 v20, v3, v25
	v_accvgpr_read_b32 v24, a60
	v_accvgpr_read_b32 v21, a31
	v_accvgpr_read_b32 v25, a61
	v_fmac_f32_e32 v19, v3, v21
	v_mul_f32_e32 v21, v1, v25
	v_mul_f32_e32 v7, v1, v7
	v_fmac_f32_e32 v21, v0, v24
	v_accvgpr_read_b32 v25, a7
	v_fmac_f32_e32 v7, v0, v6
	v_accvgpr_read_b32 v24, a6
	v_fmac_f32_e32 v7, v2, v8
	v_fmac_f32_e32 v21, v2, v24
	;; [unrolled: 1-line block ×3, first 2 shown]
	v_mul_f32_e32 v9, v1, v49
	v_fmac_f32_e32 v21, v3, v25
	v_accvgpr_read_b32 v24, a56
	v_fmac_f32_e32 v9, v0, v48
	v_accvgpr_read_b32 v25, a57
	v_fmac_f32_e32 v9, v2, v26
	v_mul_f32_e32 v22, v1, v25
	v_fmac_f32_e32 v9, v3, v27
	v_fmac_f32_e32 v22, v0, v24
	v_accvgpr_read_b32 v24, a58
	v_accvgpr_read_b32 v27, a3
	v_fmac_f32_e32 v22, v2, v24
	v_accvgpr_read_b32 v26, a2
	v_mul_f32_e32 v24, v1, v27
	v_fmac_f32_e32 v24, v0, v26
	v_accvgpr_read_b32 v27, a11
	v_accvgpr_read_b32 v26, a10
	v_fmac_f32_e32 v24, v2, v26
	v_mul_f32_e32 v13, v1, v13
	v_fmac_f32_e32 v24, v3, v27
	v_accvgpr_read_b32 v26, a52
	v_fmac_f32_e32 v13, v0, v12
	v_mul_f32_e32 v12, v1, v29
	v_accvgpr_read_b32 v25, a59
	v_accvgpr_read_b32 v27, a53
	v_fmac_f32_e32 v12, v0, v28
	v_fmac_f32_e32 v22, v3, v25
	v_mul_f32_e32 v25, v1, v27
	v_accvgpr_read_b32 v28, a48
	v_fmac_f32_e32 v25, v0, v26
	v_accvgpr_read_b32 v26, a54
	v_accvgpr_read_b32 v29, a49
	v_fmac_f32_e32 v25, v2, v26
	v_mul_f32_e32 v26, v1, v29
	v_fmac_f32_e32 v26, v0, v28
	v_accvgpr_read_b32 v28, a50
	v_accvgpr_read_b32 v29, a51
	v_fmac_f32_e32 v26, v2, v28
	v_fmac_f32_e32 v26, v3, v29
	v_accvgpr_read_b32 v28, a44
	v_fmac_f32_e32 v12, v2, v30
	v_accvgpr_read_b32 v27, a55
	v_accvgpr_read_b32 v29, a45
	v_fmac_f32_e32 v12, v3, v31
	v_fmac_f32_e32 v25, v3, v27
	v_mul_f32_e32 v27, v1, v29
	v_accvgpr_read_b32 v30, a36
	v_fmac_f32_e32 v27, v0, v28
	v_accvgpr_read_b32 v28, a46
	v_accvgpr_read_b32 v31, a37
	v_fmac_f32_e32 v27, v2, v28
	v_mul_f32_e32 v28, v1, v31
	v_fmac_f32_e32 v28, v0, v30
	v_accvgpr_read_b32 v30, a42
	v_accvgpr_read_b32 v31, a43
	v_fmac_f32_e32 v28, v2, v30
	v_fmac_f32_e32 v13, v2, v10
	;; [unrolled: 1-line block ×3, first 2 shown]
	buffer_load_dword v30, off, s[0:3], s32 offset:352 ; 4-byte Folded Reload
	buffer_load_dword v31, off, s[0:3], s32 offset:356 ; 4-byte Folded Reload
	v_fmac_f32_e32 v13, v3, v11
	v_mul_f32_e32 v11, v1, v33
	v_fmac_f32_e32 v11, v0, v32
	buffer_load_dword v32, off, s[0:3], s32 offset:336 ; 4-byte Folded Reload
	buffer_load_dword v33, off, s[0:3], s32 offset:340 ; 4-byte Folded Reload
	v_accvgpr_read_b32 v29, a47
	v_fmac_f32_e32 v27, v3, v29
	v_fmac_f32_e32 v11, v2, v34
	v_fmac_f32_e32 v11, v3, v35
	v_mul_f32_e32 v10, v1, v37
	v_fmac_f32_e32 v10, v0, v36
	v_mul_f32_e32 v6, v1, v51
	v_fmac_f32_e32 v6, v0, v50
	v_fmac_f32_e32 v6, v2, v4
	;; [unrolled: 1-line block ×3, first 2 shown]
	v_mul_f32_e32 v4, v1, v57
	v_mul_f32_e32 v5, v1, v41
	v_fmac_f32_e32 v4, v0, v56
	v_fmac_f32_e32 v5, v0, v40
	;; [unrolled: 1-line block ×6, first 2 shown]
	v_mul_f32_e32 v8, v1, v45
	v_fmac_f32_e32 v8, v0, v44
	v_fmac_f32_e32 v8, v2, v58
	;; [unrolled: 1-line block ×5, first 2 shown]
	s_waitcnt vmcnt(2)
	v_mul_f32_e32 v29, v1, v31
	v_fmac_f32_e32 v29, v0, v30
	v_accvgpr_read_b32 v30, a34
	v_fmac_f32_e32 v29, v2, v30
	s_waitcnt vmcnt(0)
	v_mul_f32_e32 v30, v1, v33
	v_fmac_f32_e32 v30, v0, v32
	buffer_load_dword v32, off, s[0:3], s32 offset:344 ; 4-byte Folded Reload
	buffer_load_dword v33, off, s[0:3], s32 offset:348 ; 4-byte Folded Reload
	v_accvgpr_read_b32 v31, a35
	v_fmac_f32_e32 v29, v3, v31
	s_waitcnt vmcnt(1)
	v_fmac_f32_e32 v30, v2, v32
	s_waitcnt vmcnt(0)
	v_fmac_f32_e32 v30, v3, v33
	buffer_load_dword v32, off, s[0:3], s32 offset:320 ; 4-byte Folded Reload
	buffer_load_dword v33, off, s[0:3], s32 offset:324 ; 4-byte Folded Reload
	s_waitcnt vmcnt(0)
	v_mul_f32_e32 v31, v1, v33
	v_fmac_f32_e32 v31, v0, v32
	buffer_load_dword v32, off, s[0:3], s32 offset:328 ; 4-byte Folded Reload
	buffer_load_dword v33, off, s[0:3], s32 offset:332 ; 4-byte Folded Reload
	;; [unrolled: 1-line block ×4, first 2 shown]
	s_waitcnt vmcnt(3)
	v_fmac_f32_e32 v31, v2, v32
	s_waitcnt vmcnt(0)
	v_mul_f32_e32 v32, v1, v35
	v_fmac_f32_e32 v32, v0, v34
	buffer_load_dword v34, off, s[0:3], s32 offset:312 ; 4-byte Folded Reload
	buffer_load_dword v35, off, s[0:3], s32 offset:316 ; 4-byte Folded Reload
	v_fmac_f32_e32 v31, v3, v33
	s_waitcnt vmcnt(1)
	v_fmac_f32_e32 v32, v2, v34
	s_waitcnt vmcnt(0)
	v_fmac_f32_e32 v32, v3, v35
	buffer_load_dword v34, off, s[0:3], s32 offset:296 ; 4-byte Folded Reload
	buffer_load_dword v35, off, s[0:3], s32 offset:300 ; 4-byte Folded Reload
	s_waitcnt vmcnt(0)
	v_mul_f32_e32 v33, v1, v35
	v_fmac_f32_e32 v33, v0, v34
	buffer_load_dword v34, off, s[0:3], s32 offset:376 ; 4-byte Folded Reload
	buffer_load_dword v35, off, s[0:3], s32 offset:380 ; 4-byte Folded Reload
	;; [unrolled: 1-line block ×4, first 2 shown]
	s_waitcnt vmcnt(3)
	v_add_f32_e32 v34, v34, v13
	s_waitcnt vmcnt(0)
	v_add_f32_e32 v37, v37, v7
	v_add_f32_e32 v36, v36, v6
	buffer_store_dword v36, off, s[0:3], s32 offset:360 ; 4-byte Folded Spill
	s_nop 0
	buffer_store_dword v37, off, s[0:3], s32 offset:364 ; 4-byte Folded Spill
	buffer_load_dword v6, off, s[0:3], s32 offset:496 ; 4-byte Folded Reload
	buffer_load_dword v7, off, s[0:3], s32 offset:500 ; 4-byte Folded Reload
	s_waitcnt vmcnt(0)
	v_add_f32_e32 v7, v7, v4
	v_add_f32_e32 v6, v6, v5
	buffer_load_dword v4, off, s[0:3], s32 offset:368 ; 4-byte Folded Reload
	buffer_load_dword v5, off, s[0:3], s32 offset:372 ; 4-byte Folded Reload
	s_waitcnt vmcnt(0)
	v_add_f32_e32 v5, v5, v8
	v_add_f32_e32 v4, v4, v9
	buffer_store_dword v4, off, s[0:3], s32 offset:368 ; 4-byte Folded Spill
	s_nop 0
	buffer_store_dword v5, off, s[0:3], s32 offset:372 ; 4-byte Folded Spill
	buffer_load_dword v8, off, s[0:3], s32 offset:488 ; 4-byte Folded Reload
	buffer_load_dword v9, off, s[0:3], s32 offset:492 ; 4-byte Folded Reload
	s_waitcnt vmcnt(0)
	v_add_f32_e32 v9, v9, v10
	v_add_f32_e32 v8, v8, v11
	buffer_load_dword v10, off, s[0:3], s32 offset:480 ; 4-byte Folded Reload
	buffer_load_dword v11, off, s[0:3], s32 offset:484 ; 4-byte Folded Reload
	;; [unrolled: 1-line block ×4, first 2 shown]
	s_waitcnt vmcnt(2)
	v_add_f32_e32 v11, v11, v12
	s_waitcnt vmcnt(0)
	v_add_f32_e32 v5, v5, v17
	v_add_f32_e32 v4, v4, v18
	buffer_store_dword v4, off, s[0:3], s32 offset:384 ; 4-byte Folded Spill
	s_nop 0
	buffer_store_dword v5, off, s[0:3], s32 offset:388 ; 4-byte Folded Spill
	buffer_load_dword v4, off, s[0:3], s32 offset:392 ; 4-byte Folded Reload
	s_nop 0
	buffer_load_dword v5, off, s[0:3], s32 offset:396 ; 4-byte Folded Reload
	v_add_f32_e32 v10, v10, v16
	s_waitcnt vmcnt(0)
	v_add_f32_e32 v5, v5, v19
	v_add_f32_e32 v4, v4, v20
	buffer_store_dword v4, off, s[0:3], s32 offset:392 ; 4-byte Folded Spill
	s_nop 0
	buffer_store_dword v5, off, s[0:3], s32 offset:396 ; 4-byte Folded Spill
	buffer_load_dword v4, off, s[0:3], s32 offset:400 ; 4-byte Folded Reload
	s_nop 0
	buffer_load_dword v5, off, s[0:3], s32 offset:404 ; 4-byte Folded Reload
	s_waitcnt vmcnt(0)
	v_add_f32_e32 v5, v5, v21
	v_add_f32_e32 v4, v4, v22
	buffer_store_dword v4, off, s[0:3], s32 offset:400 ; 4-byte Folded Spill
	s_nop 0
	buffer_store_dword v5, off, s[0:3], s32 offset:404 ; 4-byte Folded Spill
	buffer_load_dword v4, off, s[0:3], s32 offset:408 ; 4-byte Folded Reload
	s_nop 0
	buffer_load_dword v5, off, s[0:3], s32 offset:412 ; 4-byte Folded Reload
	;; [unrolled: 9-line block ×6, first 2 shown]
	buffer_load_dword v12, off, s[0:3], s32 offset:288 ; 4-byte Folded Reload
	buffer_load_dword v13, off, s[0:3], s32 offset:292 ; 4-byte Folded Reload
	s_waitcnt vmcnt(2)
	v_add_f32_e32 v5, v5, v32
	s_waitcnt vmcnt(1)
	v_fmac_f32_e32 v33, v2, v12
	s_waitcnt vmcnt(0)
	v_fmac_f32_e32 v33, v3, v13
	v_add_f32_e32 v4, v4, v33
	buffer_store_dword v4, off, s[0:3], s32 offset:440 ; 4-byte Folded Spill
	s_nop 0
	buffer_store_dword v5, off, s[0:3], s32 offset:444 ; 4-byte Folded Spill
	buffer_load_dword v12, off, s[0:3], s32 offset:272 ; 4-byte Folded Reload
	buffer_load_dword v13, off, s[0:3], s32 offset:276 ; 4-byte Folded Reload
	s_waitcnt vmcnt(0)
	v_mul_f32_e32 v4, v1, v13
	v_fmac_f32_e32 v4, v0, v12
	buffer_load_dword v12, off, s[0:3], s32 offset:280 ; 4-byte Folded Reload
	buffer_load_dword v13, off, s[0:3], s32 offset:284 ; 4-byte Folded Reload
	s_waitcnt vmcnt(1)
	v_fmac_f32_e32 v4, v2, v12
	s_waitcnt vmcnt(0)
	v_fmac_f32_e32 v4, v3, v13
	buffer_load_dword v12, off, s[0:3], s32 offset:456 ; 4-byte Folded Reload
	buffer_load_dword v13, off, s[0:3], s32 offset:460 ; 4-byte Folded Reload
	;; [unrolled: 1-line block ×4, first 2 shown]
	s_waitcnt vmcnt(2)
	v_add_f32_e32 v13, v13, v4
	s_waitcnt vmcnt(0)
	v_mul_f32_e32 v4, v1, v17
	v_fmac_f32_e32 v4, v0, v16
	buffer_load_dword v16, off, s[0:3], s32 offset:264 ; 4-byte Folded Reload
	buffer_load_dword v17, off, s[0:3], s32 offset:268 ; 4-byte Folded Reload
	s_waitcnt vmcnt(1)
	v_fmac_f32_e32 v4, v2, v16
	s_waitcnt vmcnt(0)
	v_fmac_f32_e32 v4, v3, v17
	v_add_f32_e32 v12, v12, v4
	buffer_store_dword v12, off, s[0:3], s32 offset:456 ; 4-byte Folded Spill
	s_nop 0
	buffer_store_dword v13, off, s[0:3], s32 offset:460 ; 4-byte Folded Spill
	buffer_load_dword v12, off, s[0:3], s32 offset:240 ; 4-byte Folded Reload
	s_nop 0
	buffer_load_dword v13, off, s[0:3], s32 offset:244 ; 4-byte Folded Reload
	v_accvgpr_read_b32 v16, a38
	v_accvgpr_read_b32 v17, a39
	s_waitcnt vmcnt(0)
	v_mul_f32_e32 v4, v1, v13
	v_fmac_f32_e32 v4, v0, v12
	buffer_load_dword v12, off, s[0:3], s32 offset:248 ; 4-byte Folded Reload
	buffer_load_dword v13, off, s[0:3], s32 offset:252 ; 4-byte Folded Reload
	s_waitcnt vmcnt(1)
	v_fmac_f32_e32 v4, v2, v12
	s_waitcnt vmcnt(0)
	v_fmac_f32_e32 v4, v3, v13
	buffer_load_dword v12, off, s[0:3], s32 offset:448 ; 4-byte Folded Reload
	buffer_load_dword v13, off, s[0:3], s32 offset:452 ; 4-byte Folded Reload
	s_waitcnt vmcnt(0)
	v_add_f32_e32 v13, v13, v4
	v_mul_f32_e32 v4, v1, v17
	v_fmac_f32_e32 v4, v0, v16
	buffer_load_dword v16, off, s[0:3], s32 offset:232 ; 4-byte Folded Reload
	buffer_load_dword v17, off, s[0:3], s32 offset:236 ; 4-byte Folded Reload
	v_mul_f32_e32 v1, v1, v43
	v_fmac_f32_e32 v1, v0, v42
	v_fmac_f32_e32 v1, v2, v46
	;; [unrolled: 1-line block ×3, first 2 shown]
	v_add_f32_e32 v35, v35, v1
	s_waitcnt vmcnt(1)
	v_fmac_f32_e32 v4, v2, v16
	s_waitcnt vmcnt(0)
	v_fmac_f32_e32 v4, v3, v17
	v_add_f32_e32 v12, v12, v4
	buffer_store_dword v12, off, s[0:3], s32 offset:448 ; 4-byte Folded Spill
	s_nop 0
	buffer_store_dword v13, off, s[0:3], s32 offset:452 ; 4-byte Folded Spill
	buffer_store_dword v34, off, s[0:3], s32 offset:376 ; 4-byte Folded Spill
	s_nop 0
	buffer_store_dword v35, off, s[0:3], s32 offset:380 ; 4-byte Folded Spill
.LBB241_817:                            ;   in Loop: Header=BB241_818 Depth=1
	s_or_b64 exec, exec, s[24:25]
	buffer_load_dword v2, off, s[0:3], s32 offset:196 ; 4-byte Folded Reload
	buffer_load_dword v3, off, s[0:3], s32 offset:200 ; 4-byte Folded Reload
	v_accvgpr_read_b32 v1, a13
	v_add_u32_e32 v1, 64, v1
	v_add_co_u32_e32 v14, vcc, 8, v14
	v_addc_co_u32_e32 v15, vcc, 0, v15, vcc
	s_waitcnt vmcnt(1)
	v_add_u32_e32 v2, 2, v2
	v_mov_b32_e32 v0, v2
	buffer_store_dword v0, off, s[0:3], s32 offset:196 ; 4-byte Folded Spill
	s_nop 0
	buffer_store_dword v1, off, s[0:3], s32 offset:200 ; 4-byte Folded Spill
	buffer_load_dword v0, off, s[0:3], s32 offset:220 ; 4-byte Folded Reload
	s_waitcnt vmcnt(0)
	v_cmp_ge_i32_e32 vcc, v2, v0
	v_accvgpr_read_b32 v0, a63
	v_add_u32_e32 v0, 0x100, v0
	s_or_b64 s[20:21], vcc, s[20:21]
	v_accvgpr_write_b32 a63, v0
	s_andn2_b64 exec, exec, s[20:21]
	s_cbranch_execz .LBB241_1651
.LBB241_818:                            ; =>This Inner Loop Header: Depth=1
	s_waitcnt vmcnt(0)
	v_ashrrev_i32_e32 v0, 31, v1
	v_mov_b32_e32 v2, v1
	buffer_load_dword v1, off, s[0:3], s32 offset:208 ; 4-byte Folded Reload
	buffer_load_dword v4, off, s[0:3], s32 offset:204 ; 4-byte Folded Reload
	v_accvgpr_write_b32 a13, v2
	s_waitcnt vmcnt(1)
	v_xor_b32_e32 v0, v0, v1
	v_sub_u32_e32 v1, 0, v2
	v_max_i32_e32 v1, v2, v1
	buffer_load_dword v2, off, s[0:3], s32 offset:224 ; 4-byte Folded Reload
	s_waitcnt vmcnt(0)
	v_mul_hi_u32 v2, v1, v2
	v_mul_lo_u32 v3, v2, v4
	v_sub_u32_e32 v1, v1, v3
	v_add_u32_e32 v3, 1, v2
	v_cmp_ge_u32_e32 vcc, v1, v4
	v_cndmask_b32_e32 v2, v2, v3, vcc
	v_sub_u32_e32 v3, v1, v4
	v_cndmask_b32_e32 v1, v1, v3, vcc
	v_add_u32_e32 v3, 1, v2
	v_cmp_ge_u32_e32 vcc, v1, v4
	v_cndmask_b32_e32 v1, v2, v3, vcc
	buffer_load_dword v2, off, s[0:3], s32 offset:212 ; 4-byte Folded Reload
	buffer_load_dword v3, off, s[0:3], s32 offset:216 ; 4-byte Folded Reload
	;; [unrolled: 1-line block ×4, first 2 shown]
	v_xor_b32_e32 v1, v1, v0
	v_sub_u32_e32 v0, v1, v0
	s_waitcnt vmcnt(3)
	v_add_u32_e32 v1, v0, v2
	s_waitcnt vmcnt(2)
	v_sub_u32_e32 v3, 0, v1
	v_ashrrev_i32_e32 v2, 31, v1
	v_max_i32_e32 v1, v1, v3
	s_waitcnt vmcnt(1)
	v_mul_hi_u32 v3, v1, v4
	buffer_load_dword v4, off, s[0:3], s32 offset:472 ; 4-byte Folded Reload
	s_waitcnt vmcnt(0)
	v_mul_lo_u32 v3, v3, v4
	v_sub_u32_e32 v1, v1, v3
	v_sub_u32_e32 v3, v1, v4
	v_cmp_ge_u32_e32 vcc, v1, v4
	v_cndmask_b32_e32 v1, v1, v3, vcc
	v_sub_u32_e32 v3, v1, v4
	v_cmp_ge_u32_e32 vcc, v1, v4
	v_cndmask_b32_e32 v1, v1, v3, vcc
	v_xor_b32_e32 v1, v1, v2
	v_sub_u32_e32 v1, v1, v2
	v_cmp_eq_u32_e32 vcc, 0, v1
	buffer_load_dword v1, off, s[0:3], s32 offset:228 ; 4-byte Folded Reload
	s_waitcnt vmcnt(0)
	v_cmp_gt_i32_e64 s[4:5], v0, v1
	s_or_b64 s[4:5], vcc, s[4:5]
	s_and_saveexec_b64 s[24:25], s[4:5]
	s_cbranch_execz .LBB241_817
; %bb.819:                              ;   in Loop: Header=BB241_818 Depth=1
	buffer_store_dword v10, off, s[0:3], s32 offset:480 ; 4-byte Folded Spill
	s_nop 0
	buffer_store_dword v11, off, s[0:3], s32 offset:484 ; 4-byte Folded Spill
	buffer_store_dword v8, off, s[0:3], s32 offset:488 ; 4-byte Folded Spill
	s_nop 0
	buffer_store_dword v9, off, s[0:3], s32 offset:492 ; 4-byte Folded Spill
	;; [unrolled: 3-line block ×3, first 2 shown]
	flat_load_dword v0, v[14:15]
	buffer_load_dword v4, off, s[0:3], s32 offset:504 ; 4-byte Folded Reload
	buffer_load_dword v5, off, s[0:3], s32 offset:508 ; 4-byte Folded Reload
	;; [unrolled: 1-line block ×4, first 2 shown]
	v_pk_mov_b32 v[10:11], 0, 0
	v_pk_mov_b32 v[8:9], v[10:11], v[10:11] op_sel:[0,1]
	s_waitcnt vmcnt(0) lgkmcnt(0)
	v_mad_i64_i32 v[42:43], s[4:5], v0, v2, v[4:5]
	v_accvgpr_read_b32 v0, a40
	v_add_co_u32_e32 v4, vcc, v42, v0
	v_addc_co_u32_e32 v5, vcc, 0, v43, vcc
	flat_load_dword v6, v[4:5]
	buffer_load_dword v0, off, s[0:3], s32 offset:1056 ; 4-byte Folded Reload
	buffer_load_dword v1, off, s[0:3], s32 offset:1060 ; 4-byte Folded Reload
	s_waitcnt vmcnt(0) lgkmcnt(0)
	v_cmp_ne_u16_sdwa s[26:27], v6, v23 src0_sel:BYTE_0 src1_sel:DWORD
	flat_load_dword v46, v[0:1]
	v_accvgpr_read_b32 v0, a63
	ds_read_b128 v[0:3], v0
	s_and_saveexec_b64 s[4:5], s[26:27]
	s_cbranch_execz .LBB241_825
; %bb.820:                              ;   in Loop: Header=BB241_818 Depth=1
	v_bfrev_b32_e32 v8, 1
	v_cmp_ne_u16_sdwa s[28:29], v6, s7 src0_sel:BYTE_0 src1_sel:DWORD
	v_mov_b32_e32 v9, 0
	s_and_saveexec_b64 s[26:27], s[28:29]
	s_cbranch_execz .LBB241_824
; %bb.821:                              ;   in Loop: Header=BB241_818 Depth=1
	v_and_b32_e32 v7, 0x7f, v6
	v_mov_b32_e32 v8, 0x7f800001
	v_cmp_ne_u32_e32 vcc, s15, v7
	v_mov_b32_e32 v9, 0
	s_and_saveexec_b64 s[28:29], vcc
	s_cbranch_execz .LBB241_823
; %bb.822:                              ;   in Loop: Header=BB241_818 Depth=1
	v_and_b32_e32 v12, 7, v6
	v_ffbh_u32_e32 v8, v12
	v_min_u32_e32 v16, 32, v8
	v_subrev_u32_e32 v8, 28, v16
	v_lshlrev_b64 v[8:9], v8, v[6:7]
	v_lshrrev_b32_e32 v13, 3, v7
	v_sub_u32_e32 v9, 29, v16
	v_and_b32_e32 v8, 7, v8
	v_cmp_gt_u32_e32 vcc, 8, v7
	v_cndmask_b32_e32 v7, v13, v9, vcc
	v_cndmask_b32_e32 v8, v12, v8, vcc
	v_bfrev_b32_e32 v12, 60
	v_lshlrev_b32_e32 v8, 20, v8
	v_and_b32_sdwa v9, sext(v6), s13 dst_sel:DWORD dst_unused:UNUSED_PAD src0_sel:BYTE_0 src1_sel:DWORD
	v_lshl_add_u32 v7, v7, 23, v12
	v_or3_b32 v22, v9, v7, v8
	v_pk_mov_b32 v[8:9], v[22:23], v[22:23] op_sel:[0,1]
.LBB241_823:                            ;   in Loop: Header=BB241_818 Depth=1
	s_or_b64 exec, exec, s[28:29]
.LBB241_824:                            ;   in Loop: Header=BB241_818 Depth=1
	s_or_b64 exec, exec, s[26:27]
.LBB241_825:                            ;   in Loop: Header=BB241_818 Depth=1
	s_or_b64 exec, exec, s[4:5]
	v_cmp_ne_u16_sdwa s[26:27], v6, v23 src0_sel:BYTE_1 src1_sel:DWORD
	s_and_saveexec_b64 s[4:5], s[26:27]
	s_cbranch_execz .LBB241_831
; %bb.826:                              ;   in Loop: Header=BB241_818 Depth=1
	v_cmp_ne_u16_sdwa s[28:29], v6, s7 src0_sel:BYTE_1 src1_sel:DWORD
	v_pk_mov_b32 v[10:11], s[12:13], s[12:13] op_sel:[0,1]
	s_and_saveexec_b64 s[26:27], s[28:29]
	s_cbranch_execz .LBB241_830
; %bb.827:                              ;   in Loop: Header=BB241_818 Depth=1
	v_and_b32_sdwa v7, v6, s15 dst_sel:DWORD dst_unused:UNUSED_PAD src0_sel:BYTE_1 src1_sel:DWORD
	s_mov_b32 s22, s12
	v_cmp_ne_u32_e32 vcc, s15, v7
	v_pk_mov_b32 v[10:11], s[22:23], s[22:23] op_sel:[0,1]
	s_and_saveexec_b64 s[28:29], vcc
	s_cbranch_execz .LBB241_829
; %bb.828:                              ;   in Loop: Header=BB241_818 Depth=1
	v_mov_b32_e32 v10, 7
	v_and_b32_sdwa v22, v6, v10 dst_sel:DWORD dst_unused:UNUSED_PAD src0_sel:BYTE_1 src1_sel:DWORD
	v_ffbh_u32_e32 v10, v22
	v_min_u32_e32 v13, 32, v10
	v_subrev_u32_e32 v10, 28, v13
	v_lshlrev_b64 v[10:11], v10, v[22:23]
	v_lshrrev_b32_e32 v12, 3, v7
	v_sub_u32_e32 v11, 29, v13
	v_cmp_gt_u32_e32 vcc, 8, v7
	v_and_b32_e32 v10, 7, v10
	v_cndmask_b32_e32 v7, v12, v11, vcc
	v_bfrev_b32_e32 v12, 60
	v_cndmask_b32_e32 v10, v22, v10, vcc
	v_lshlrev_b32_e32 v11, 16, v6
	v_lshl_add_u32 v7, v7, 23, v12
	v_and_or_b32 v7, v11, s13, v7
	v_lshlrev_b32_e32 v10, 20, v10
	v_or_b32_e32 v11, v7, v10
	v_mov_b32_e32 v10, v23
.LBB241_829:                            ;   in Loop: Header=BB241_818 Depth=1
	s_or_b64 exec, exec, s[28:29]
.LBB241_830:                            ;   in Loop: Header=BB241_818 Depth=1
	s_or_b64 exec, exec, s[26:27]
.LBB241_831:                            ;   in Loop: Header=BB241_818 Depth=1
	s_or_b64 exec, exec, s[4:5]
	v_lshrrev_b32_e32 v18, 16, v6
	v_pk_mov_b32 v[16:17], 0, 0
	v_cmp_ne_u16_sdwa s[26:27], v18, v23 src0_sel:BYTE_0 src1_sel:DWORD
	v_pk_mov_b32 v[12:13], v[16:17], v[16:17] op_sel:[0,1]
	s_and_saveexec_b64 s[4:5], s[26:27]
	s_cbranch_execz .LBB241_837
; %bb.832:                              ;   in Loop: Header=BB241_818 Depth=1
	v_bfrev_b32_e32 v12, 1
	v_cmp_ne_u16_sdwa s[28:29], v18, s7 src0_sel:BYTE_0 src1_sel:DWORD
	v_mov_b32_e32 v13, 0
	s_and_saveexec_b64 s[26:27], s[28:29]
	s_cbranch_execz .LBB241_836
; %bb.833:                              ;   in Loop: Header=BB241_818 Depth=1
	v_bfe_u32 v7, v6, 16, 7
	v_mov_b32_e32 v12, 0x7f800001
	v_cmp_ne_u32_e32 vcc, s15, v7
	v_mov_b32_e32 v13, 0
	s_and_saveexec_b64 s[28:29], vcc
	s_cbranch_execz .LBB241_835
; %bb.834:                              ;   in Loop: Header=BB241_818 Depth=1
	v_and_b32_e32 v19, 7, v18
	v_ffbh_u32_e32 v12, v19
	v_min_u32_e32 v21, 32, v12
	v_subrev_u32_e32 v12, 28, v21
	v_lshlrev_b64 v[12:13], v12, v[18:19]
	v_lshrrev_b32_e32 v20, 3, v7
	v_sub_u32_e32 v13, 29, v21
	v_and_b32_e32 v12, 7, v12
	v_cmp_gt_u32_e32 vcc, 8, v7
	v_cndmask_b32_e32 v7, v20, v13, vcc
	v_cndmask_b32_e32 v12, v19, v12, vcc
	v_and_b32_sdwa v13, sext(v18), s13 dst_sel:DWORD dst_unused:UNUSED_PAD src0_sel:BYTE_0 src1_sel:DWORD
	v_bfrev_b32_e32 v18, 60
	v_lshlrev_b32_e32 v12, 20, v12
	v_lshl_add_u32 v7, v7, 23, v18
	v_or3_b32 v22, v13, v7, v12
	v_pk_mov_b32 v[12:13], v[22:23], v[22:23] op_sel:[0,1]
.LBB241_835:                            ;   in Loop: Header=BB241_818 Depth=1
	s_or_b64 exec, exec, s[28:29]
.LBB241_836:                            ;   in Loop: Header=BB241_818 Depth=1
	s_or_b64 exec, exec, s[26:27]
.LBB241_837:                            ;   in Loop: Header=BB241_818 Depth=1
	s_or_b64 exec, exec, s[4:5]
	v_cmp_lt_u32_e32 vcc, s34, v6
	s_and_saveexec_b64 s[4:5], vcc
	s_cbranch_execz .LBB241_843
; %bb.838:                              ;   in Loop: Header=BB241_818 Depth=1
	v_cmp_ne_u32_sdwa s[28:29], v6, s7 src0_sel:BYTE_3 src1_sel:DWORD
	v_pk_mov_b32 v[16:17], s[12:13], s[12:13] op_sel:[0,1]
	s_and_saveexec_b64 s[26:27], s[28:29]
	s_cbranch_execz .LBB241_842
; %bb.839:                              ;   in Loop: Header=BB241_818 Depth=1
	v_bfe_u32 v7, v6, 24, 7
	s_mov_b32 s22, s12
	v_cmp_ne_u32_e32 vcc, s15, v7
	v_pk_mov_b32 v[16:17], s[22:23], s[22:23] op_sel:[0,1]
	s_and_saveexec_b64 s[28:29], vcc
	s_cbranch_execz .LBB241_841
; %bb.840:                              ;   in Loop: Header=BB241_818 Depth=1
	v_mov_b32_e32 v16, 7
	v_and_b32_sdwa v22, v6, v16 dst_sel:DWORD dst_unused:UNUSED_PAD src0_sel:BYTE_3 src1_sel:DWORD
	v_ffbh_u32_e32 v16, v22
	v_min_u32_e32 v19, 32, v16
	v_subrev_u32_e32 v16, 28, v19
	v_lshlrev_b64 v[16:17], v16, v[22:23]
	v_lshrrev_b32_e32 v18, 3, v7
	v_sub_u32_e32 v17, 29, v19
	v_cmp_gt_u32_e32 vcc, 8, v7
	v_cndmask_b32_e32 v7, v18, v17, vcc
	v_mov_b32_e32 v17, 24
	v_and_b32_e32 v16, 7, v16
	v_lshlrev_b32_sdwa v6, v17, v6 dst_sel:DWORD dst_unused:UNUSED_PAD src0_sel:DWORD src1_sel:BYTE_3
	v_bfrev_b32_e32 v17, 60
	v_cndmask_b32_e32 v16, v22, v16, vcc
	v_lshl_add_u32 v7, v7, 23, v17
	v_and_or_b32 v6, v6, s13, v7
	v_lshlrev_b32_e32 v7, 20, v16
	v_or_b32_e32 v17, v6, v7
	v_mov_b32_e32 v16, v23
.LBB241_841:                            ;   in Loop: Header=BB241_818 Depth=1
	s_or_b64 exec, exec, s[28:29]
.LBB241_842:                            ;   in Loop: Header=BB241_818 Depth=1
	s_or_b64 exec, exec, s[26:27]
.LBB241_843:                            ;   in Loop: Header=BB241_818 Depth=1
	s_or_b64 exec, exec, s[4:5]
	buffer_load_dword v7, off, s[0:3], s32 offset:592 ; 4-byte Folded Reload
	v_accvgpr_read_b32 v6, a13
	s_waitcnt vmcnt(0)
	v_add_u32_e32 v18, v7, v6
	buffer_load_dword v7, off, s[0:3], s32 offset:600 ; 4-byte Folded Reload
	buffer_load_dword v20, off, s[0:3], s32 offset:196 ; 4-byte Folded Reload
	;; [unrolled: 1-line block ×3, first 2 shown]
	v_or_b32_e32 v6, v10, v8
	v_accvgpr_write_b32 a17, v18
	s_waitcnt vmcnt(0)
	v_cmp_eq_u32_e32 vcc, v7, v20
	v_or_b32_e32 v7, v11, v9
	s_waitcnt lgkmcnt(0)
	v_pk_mul_f32 v[24:25], v[46:47], v[6:7] op_sel_hi:[0,1]
	v_or_b32_e32 v7, v17, v13
	v_or_b32_e32 v6, v16, v12
	v_pk_mul_f32 v[6:7], v[46:47], v[6:7] op_sel_hi:[0,1]
	buffer_store_dword v6, off, s[0:3], s32 offset:232 ; 4-byte Folded Spill
	s_nop 0
	buffer_store_dword v7, off, s[0:3], s32 offset:236 ; 4-byte Folded Spill
	v_add_u32_e32 v6, 1, v18
	v_accvgpr_write_b32 a5, v6
	v_add_u32_e32 v6, 2, v18
	v_accvgpr_write_b32 a41, v6
	;; [unrolled: 2-line block ×3, first 2 shown]
	s_and_saveexec_b64 s[26:27], vcc
	s_cbranch_execz .LBB241_845
; %bb.844:                              ;   in Loop: Header=BB241_818 Depth=1
	v_accvgpr_read_b32 v6, a17
	v_cmp_lt_i32_e64 s[4:5], v6, v62
	v_accvgpr_read_b32 v6, a5
	v_cndmask_b32_e64 v24, 0, v24, s[4:5]
	v_cmp_lt_i32_e64 s[4:5], v6, v62
	v_accvgpr_read_b32 v6, a41
	v_cndmask_b32_e64 v25, 0, v25, s[4:5]
	v_cmp_lt_i32_e64 s[4:5], v6, v62
	buffer_load_dword v6, off, s[0:3], s32 offset:232 ; 4-byte Folded Reload
	buffer_load_dword v7, off, s[0:3], s32 offset:236 ; 4-byte Folded Reload
	v_accvgpr_read_b32 v8, a1
	s_waitcnt vmcnt(1)
	v_cndmask_b32_e64 v6, 0, v6, s[4:5]
	v_cmp_lt_i32_e64 s[4:5], v8, v62
	s_waitcnt vmcnt(0)
	v_cndmask_b32_e64 v7, 0, v7, s[4:5]
	buffer_store_dword v6, off, s[0:3], s32 offset:232 ; 4-byte Folded Spill
	s_nop 0
	buffer_store_dword v7, off, s[0:3], s32 offset:236 ; 4-byte Folded Spill
.LBB241_845:                            ;   in Loop: Header=BB241_818 Depth=1
	s_or_b64 exec, exec, s[26:27]
	flat_load_dword v6, v[4:5] offset:256
	v_pk_mov_b32 v[10:11], 0, 0
	v_pk_mov_b32 v[8:9], v[10:11], v[10:11] op_sel:[0,1]
	s_waitcnt vmcnt(0) lgkmcnt(0)
	v_cmp_ne_u16_sdwa s[4:5], v6, v23 src0_sel:BYTE_0 src1_sel:DWORD
	s_and_saveexec_b64 s[26:27], s[4:5]
	s_cbranch_execz .LBB241_851
; %bb.846:                              ;   in Loop: Header=BB241_818 Depth=1
	v_bfrev_b32_e32 v8, 1
	v_cmp_ne_u16_sdwa s[4:5], v6, s7 src0_sel:BYTE_0 src1_sel:DWORD
	v_mov_b32_e32 v9, 0
	s_and_saveexec_b64 s[28:29], s[4:5]
	s_cbranch_execz .LBB241_850
; %bb.847:                              ;   in Loop: Header=BB241_818 Depth=1
	v_and_b32_e32 v7, 0x7f, v6
	v_mov_b32_e32 v8, 0x7f800001
	v_cmp_ne_u32_e64 s[4:5], s15, v7
	v_mov_b32_e32 v9, 0
	s_and_saveexec_b64 s[30:31], s[4:5]
	s_cbranch_execz .LBB241_849
; %bb.848:                              ;   in Loop: Header=BB241_818 Depth=1
	v_and_b32_e32 v12, 7, v6
	v_ffbh_u32_e32 v8, v12
	v_min_u32_e32 v16, 32, v8
	v_subrev_u32_e32 v8, 28, v16
	v_lshlrev_b64 v[8:9], v8, v[6:7]
	v_lshrrev_b32_e32 v13, 3, v7
	v_sub_u32_e32 v9, 29, v16
	v_and_b32_e32 v8, 7, v8
	v_cmp_gt_u32_e64 s[4:5], 8, v7
	v_cndmask_b32_e64 v7, v13, v9, s[4:5]
	v_cndmask_b32_e64 v8, v12, v8, s[4:5]
	v_bfrev_b32_e32 v12, 60
	v_lshlrev_b32_e32 v8, 20, v8
	v_and_b32_sdwa v9, sext(v6), s13 dst_sel:DWORD dst_unused:UNUSED_PAD src0_sel:BYTE_0 src1_sel:DWORD
	v_lshl_add_u32 v7, v7, 23, v12
	v_or3_b32 v22, v9, v7, v8
	v_pk_mov_b32 v[8:9], v[22:23], v[22:23] op_sel:[0,1]
.LBB241_849:                            ;   in Loop: Header=BB241_818 Depth=1
	s_or_b64 exec, exec, s[30:31]
.LBB241_850:                            ;   in Loop: Header=BB241_818 Depth=1
	s_or_b64 exec, exec, s[28:29]
.LBB241_851:                            ;   in Loop: Header=BB241_818 Depth=1
	s_or_b64 exec, exec, s[26:27]
	v_cmp_ne_u16_sdwa s[4:5], v6, v23 src0_sel:BYTE_1 src1_sel:DWORD
	s_and_saveexec_b64 s[26:27], s[4:5]
	s_cbranch_execz .LBB241_857
; %bb.852:                              ;   in Loop: Header=BB241_818 Depth=1
	v_cmp_ne_u16_sdwa s[4:5], v6, s7 src0_sel:BYTE_1 src1_sel:DWORD
	v_pk_mov_b32 v[10:11], s[12:13], s[12:13] op_sel:[0,1]
	s_and_saveexec_b64 s[28:29], s[4:5]
	s_cbranch_execz .LBB241_856
; %bb.853:                              ;   in Loop: Header=BB241_818 Depth=1
	v_and_b32_sdwa v7, v6, s15 dst_sel:DWORD dst_unused:UNUSED_PAD src0_sel:BYTE_1 src1_sel:DWORD
	s_mov_b32 s22, s12
	v_cmp_ne_u32_e64 s[4:5], s15, v7
	v_pk_mov_b32 v[10:11], s[22:23], s[22:23] op_sel:[0,1]
	s_and_saveexec_b64 s[30:31], s[4:5]
	s_cbranch_execz .LBB241_855
; %bb.854:                              ;   in Loop: Header=BB241_818 Depth=1
	v_mov_b32_e32 v10, 7
	v_and_b32_sdwa v22, v6, v10 dst_sel:DWORD dst_unused:UNUSED_PAD src0_sel:BYTE_1 src1_sel:DWORD
	v_ffbh_u32_e32 v10, v22
	v_min_u32_e32 v13, 32, v10
	v_subrev_u32_e32 v10, 28, v13
	v_lshlrev_b64 v[10:11], v10, v[22:23]
	v_lshrrev_b32_e32 v12, 3, v7
	v_sub_u32_e32 v11, 29, v13
	v_cmp_gt_u32_e64 s[4:5], 8, v7
	v_and_b32_e32 v10, 7, v10
	v_cndmask_b32_e64 v7, v12, v11, s[4:5]
	v_bfrev_b32_e32 v12, 60
	v_cndmask_b32_e64 v10, v22, v10, s[4:5]
	v_lshlrev_b32_e32 v11, 16, v6
	v_lshl_add_u32 v7, v7, 23, v12
	v_and_or_b32 v7, v11, s13, v7
	v_lshlrev_b32_e32 v10, 20, v10
	v_or_b32_e32 v11, v7, v10
	v_mov_b32_e32 v10, v23
.LBB241_855:                            ;   in Loop: Header=BB241_818 Depth=1
	s_or_b64 exec, exec, s[30:31]
.LBB241_856:                            ;   in Loop: Header=BB241_818 Depth=1
	s_or_b64 exec, exec, s[28:29]
.LBB241_857:                            ;   in Loop: Header=BB241_818 Depth=1
	s_or_b64 exec, exec, s[26:27]
	v_lshrrev_b32_e32 v18, 16, v6
	v_pk_mov_b32 v[16:17], 0, 0
	v_cmp_ne_u16_sdwa s[4:5], v18, v23 src0_sel:BYTE_0 src1_sel:DWORD
	v_pk_mov_b32 v[12:13], v[16:17], v[16:17] op_sel:[0,1]
	s_and_saveexec_b64 s[26:27], s[4:5]
	s_cbranch_execz .LBB241_863
; %bb.858:                              ;   in Loop: Header=BB241_818 Depth=1
	v_bfrev_b32_e32 v12, 1
	v_cmp_ne_u16_sdwa s[4:5], v18, s7 src0_sel:BYTE_0 src1_sel:DWORD
	v_mov_b32_e32 v13, 0
	s_and_saveexec_b64 s[28:29], s[4:5]
	s_cbranch_execz .LBB241_862
; %bb.859:                              ;   in Loop: Header=BB241_818 Depth=1
	v_bfe_u32 v7, v6, 16, 7
	v_mov_b32_e32 v12, 0x7f800001
	v_cmp_ne_u32_e64 s[4:5], s15, v7
	v_mov_b32_e32 v13, 0
	s_and_saveexec_b64 s[30:31], s[4:5]
	s_cbranch_execz .LBB241_861
; %bb.860:                              ;   in Loop: Header=BB241_818 Depth=1
	v_and_b32_e32 v19, 7, v18
	v_ffbh_u32_e32 v12, v19
	v_min_u32_e32 v21, 32, v12
	v_subrev_u32_e32 v12, 28, v21
	v_lshlrev_b64 v[12:13], v12, v[18:19]
	v_lshrrev_b32_e32 v20, 3, v7
	v_sub_u32_e32 v13, 29, v21
	v_and_b32_e32 v12, 7, v12
	v_cmp_gt_u32_e64 s[4:5], 8, v7
	v_cndmask_b32_e64 v7, v20, v13, s[4:5]
	v_cndmask_b32_e64 v12, v19, v12, s[4:5]
	v_and_b32_sdwa v13, sext(v18), s13 dst_sel:DWORD dst_unused:UNUSED_PAD src0_sel:BYTE_0 src1_sel:DWORD
	v_bfrev_b32_e32 v18, 60
	v_lshlrev_b32_e32 v12, 20, v12
	v_lshl_add_u32 v7, v7, 23, v18
	v_or3_b32 v22, v13, v7, v12
	v_pk_mov_b32 v[12:13], v[22:23], v[22:23] op_sel:[0,1]
.LBB241_861:                            ;   in Loop: Header=BB241_818 Depth=1
	s_or_b64 exec, exec, s[30:31]
.LBB241_862:                            ;   in Loop: Header=BB241_818 Depth=1
	s_or_b64 exec, exec, s[28:29]
.LBB241_863:                            ;   in Loop: Header=BB241_818 Depth=1
	s_or_b64 exec, exec, s[26:27]
	v_cmp_lt_u32_e64 s[4:5], s34, v6
	s_and_saveexec_b64 s[26:27], s[4:5]
	s_cbranch_execz .LBB241_869
; %bb.864:                              ;   in Loop: Header=BB241_818 Depth=1
	v_cmp_ne_u32_sdwa s[4:5], v6, s7 src0_sel:BYTE_3 src1_sel:DWORD
	v_pk_mov_b32 v[16:17], s[12:13], s[12:13] op_sel:[0,1]
	s_and_saveexec_b64 s[28:29], s[4:5]
	s_cbranch_execz .LBB241_868
; %bb.865:                              ;   in Loop: Header=BB241_818 Depth=1
	v_bfe_u32 v7, v6, 24, 7
	s_mov_b32 s22, s12
	v_cmp_ne_u32_e64 s[4:5], s15, v7
	v_pk_mov_b32 v[16:17], s[22:23], s[22:23] op_sel:[0,1]
	s_and_saveexec_b64 s[30:31], s[4:5]
	s_cbranch_execz .LBB241_867
; %bb.866:                              ;   in Loop: Header=BB241_818 Depth=1
	v_mov_b32_e32 v16, 7
	v_and_b32_sdwa v22, v6, v16 dst_sel:DWORD dst_unused:UNUSED_PAD src0_sel:BYTE_3 src1_sel:DWORD
	v_ffbh_u32_e32 v16, v22
	v_min_u32_e32 v19, 32, v16
	v_subrev_u32_e32 v16, 28, v19
	v_lshlrev_b64 v[16:17], v16, v[22:23]
	v_lshrrev_b32_e32 v18, 3, v7
	v_sub_u32_e32 v17, 29, v19
	v_cmp_gt_u32_e64 s[4:5], 8, v7
	v_cndmask_b32_e64 v7, v18, v17, s[4:5]
	v_mov_b32_e32 v17, 24
	v_and_b32_e32 v16, 7, v16
	v_lshlrev_b32_sdwa v6, v17, v6 dst_sel:DWORD dst_unused:UNUSED_PAD src0_sel:DWORD src1_sel:BYTE_3
	v_bfrev_b32_e32 v17, 60
	v_cndmask_b32_e64 v16, v22, v16, s[4:5]
	v_lshl_add_u32 v7, v7, 23, v17
	v_and_or_b32 v6, v6, s13, v7
	v_lshlrev_b32_e32 v7, 20, v16
	v_or_b32_e32 v17, v6, v7
	v_mov_b32_e32 v16, v23
.LBB241_867:                            ;   in Loop: Header=BB241_818 Depth=1
	s_or_b64 exec, exec, s[30:31]
.LBB241_868:                            ;   in Loop: Header=BB241_818 Depth=1
	s_or_b64 exec, exec, s[28:29]
.LBB241_869:                            ;   in Loop: Header=BB241_818 Depth=1
	s_or_b64 exec, exec, s[26:27]
	v_mov_b32_e32 v47, v46
	v_or_b32_e32 v7, v11, v9
	v_or_b32_e32 v6, v10, v8
	v_pk_mul_f32 v[6:7], v[46:47], v[6:7]
	buffer_store_dword v6, off, s[0:3], s32 offset:240 ; 4-byte Folded Spill
	s_nop 0
	buffer_store_dword v7, off, s[0:3], s32 offset:244 ; 4-byte Folded Spill
	v_or_b32_e32 v7, v17, v13
	v_or_b32_e32 v6, v16, v12
	v_pk_mul_f32 v[6:7], v[46:47], v[6:7]
	buffer_store_dword v6, off, s[0:3], s32 offset:248 ; 4-byte Folded Spill
	s_nop 0
	buffer_store_dword v7, off, s[0:3], s32 offset:252 ; 4-byte Folded Spill
	s_and_saveexec_b64 s[26:27], vcc
	s_cbranch_execz .LBB241_871
; %bb.870:                              ;   in Loop: Header=BB241_818 Depth=1
	v_accvgpr_read_b32 v6, a17
	v_cmp_lt_i32_e64 s[4:5], v6, v62
	buffer_load_dword v6, off, s[0:3], s32 offset:240 ; 4-byte Folded Reload
	buffer_load_dword v7, off, s[0:3], s32 offset:244 ; 4-byte Folded Reload
	v_accvgpr_read_b32 v8, a5
	s_waitcnt vmcnt(1)
	v_cndmask_b32_e64 v6, 0, v6, s[4:5]
	v_cmp_lt_i32_e64 s[4:5], v8, v62
	s_waitcnt vmcnt(0)
	v_cndmask_b32_e64 v7, 0, v7, s[4:5]
	buffer_store_dword v6, off, s[0:3], s32 offset:240 ; 4-byte Folded Spill
	s_nop 0
	buffer_store_dword v7, off, s[0:3], s32 offset:244 ; 4-byte Folded Spill
	v_accvgpr_read_b32 v6, a41
	v_cmp_lt_i32_e64 s[4:5], v6, v62
	buffer_load_dword v6, off, s[0:3], s32 offset:248 ; 4-byte Folded Reload
	buffer_load_dword v7, off, s[0:3], s32 offset:252 ; 4-byte Folded Reload
	v_accvgpr_read_b32 v8, a1
	s_waitcnt vmcnt(1)
	v_cndmask_b32_e64 v6, 0, v6, s[4:5]
	v_cmp_lt_i32_e64 s[4:5], v8, v62
	s_waitcnt vmcnt(0)
	v_cndmask_b32_e64 v7, 0, v7, s[4:5]
	buffer_store_dword v6, off, s[0:3], s32 offset:248 ; 4-byte Folded Spill
	s_nop 0
	buffer_store_dword v7, off, s[0:3], s32 offset:252 ; 4-byte Folded Spill
.LBB241_871:                            ;   in Loop: Header=BB241_818 Depth=1
	s_or_b64 exec, exec, s[26:27]
	flat_load_dword v6, v[4:5] offset:512
	v_pk_mov_b32 v[10:11], 0, 0
	v_pk_mov_b32 v[8:9], v[10:11], v[10:11] op_sel:[0,1]
	s_waitcnt vmcnt(0) lgkmcnt(0)
	v_cmp_ne_u16_sdwa s[4:5], v6, v23 src0_sel:BYTE_0 src1_sel:DWORD
	s_and_saveexec_b64 s[26:27], s[4:5]
	s_cbranch_execz .LBB241_877
; %bb.872:                              ;   in Loop: Header=BB241_818 Depth=1
	v_bfrev_b32_e32 v8, 1
	v_cmp_ne_u16_sdwa s[4:5], v6, s7 src0_sel:BYTE_0 src1_sel:DWORD
	v_mov_b32_e32 v9, 0
	s_and_saveexec_b64 s[28:29], s[4:5]
	s_cbranch_execz .LBB241_876
; %bb.873:                              ;   in Loop: Header=BB241_818 Depth=1
	v_and_b32_e32 v7, 0x7f, v6
	v_mov_b32_e32 v8, 0x7f800001
	v_cmp_ne_u32_e64 s[4:5], s15, v7
	v_mov_b32_e32 v9, 0
	s_and_saveexec_b64 s[30:31], s[4:5]
	s_cbranch_execz .LBB241_875
; %bb.874:                              ;   in Loop: Header=BB241_818 Depth=1
	v_and_b32_e32 v12, 7, v6
	v_ffbh_u32_e32 v8, v12
	v_min_u32_e32 v16, 32, v8
	v_subrev_u32_e32 v8, 28, v16
	v_lshlrev_b64 v[8:9], v8, v[6:7]
	v_lshrrev_b32_e32 v13, 3, v7
	v_sub_u32_e32 v9, 29, v16
	v_and_b32_e32 v8, 7, v8
	v_cmp_gt_u32_e64 s[4:5], 8, v7
	v_cndmask_b32_e64 v7, v13, v9, s[4:5]
	v_cndmask_b32_e64 v8, v12, v8, s[4:5]
	v_bfrev_b32_e32 v12, 60
	v_lshlrev_b32_e32 v8, 20, v8
	v_and_b32_sdwa v9, sext(v6), s13 dst_sel:DWORD dst_unused:UNUSED_PAD src0_sel:BYTE_0 src1_sel:DWORD
	v_lshl_add_u32 v7, v7, 23, v12
	v_or3_b32 v22, v9, v7, v8
	v_pk_mov_b32 v[8:9], v[22:23], v[22:23] op_sel:[0,1]
.LBB241_875:                            ;   in Loop: Header=BB241_818 Depth=1
	s_or_b64 exec, exec, s[30:31]
.LBB241_876:                            ;   in Loop: Header=BB241_818 Depth=1
	s_or_b64 exec, exec, s[28:29]
.LBB241_877:                            ;   in Loop: Header=BB241_818 Depth=1
	s_or_b64 exec, exec, s[26:27]
	v_cmp_ne_u16_sdwa s[4:5], v6, v23 src0_sel:BYTE_1 src1_sel:DWORD
	s_and_saveexec_b64 s[26:27], s[4:5]
	s_cbranch_execz .LBB241_883
; %bb.878:                              ;   in Loop: Header=BB241_818 Depth=1
	v_cmp_ne_u16_sdwa s[4:5], v6, s7 src0_sel:BYTE_1 src1_sel:DWORD
	v_pk_mov_b32 v[10:11], s[12:13], s[12:13] op_sel:[0,1]
	s_and_saveexec_b64 s[28:29], s[4:5]
	s_cbranch_execz .LBB241_882
; %bb.879:                              ;   in Loop: Header=BB241_818 Depth=1
	v_and_b32_sdwa v7, v6, s15 dst_sel:DWORD dst_unused:UNUSED_PAD src0_sel:BYTE_1 src1_sel:DWORD
	s_mov_b32 s22, s12
	v_cmp_ne_u32_e64 s[4:5], s15, v7
	v_pk_mov_b32 v[10:11], s[22:23], s[22:23] op_sel:[0,1]
	s_and_saveexec_b64 s[30:31], s[4:5]
	s_cbranch_execz .LBB241_881
; %bb.880:                              ;   in Loop: Header=BB241_818 Depth=1
	v_mov_b32_e32 v10, 7
	v_and_b32_sdwa v22, v6, v10 dst_sel:DWORD dst_unused:UNUSED_PAD src0_sel:BYTE_1 src1_sel:DWORD
	v_ffbh_u32_e32 v10, v22
	v_min_u32_e32 v13, 32, v10
	v_subrev_u32_e32 v10, 28, v13
	v_lshlrev_b64 v[10:11], v10, v[22:23]
	v_lshrrev_b32_e32 v12, 3, v7
	v_sub_u32_e32 v11, 29, v13
	v_cmp_gt_u32_e64 s[4:5], 8, v7
	v_and_b32_e32 v10, 7, v10
	v_cndmask_b32_e64 v7, v12, v11, s[4:5]
	v_bfrev_b32_e32 v12, 60
	v_cndmask_b32_e64 v10, v22, v10, s[4:5]
	v_lshlrev_b32_e32 v11, 16, v6
	v_lshl_add_u32 v7, v7, 23, v12
	v_and_or_b32 v7, v11, s13, v7
	v_lshlrev_b32_e32 v10, 20, v10
	v_or_b32_e32 v11, v7, v10
	v_mov_b32_e32 v10, v23
.LBB241_881:                            ;   in Loop: Header=BB241_818 Depth=1
	s_or_b64 exec, exec, s[30:31]
.LBB241_882:                            ;   in Loop: Header=BB241_818 Depth=1
	s_or_b64 exec, exec, s[28:29]
.LBB241_883:                            ;   in Loop: Header=BB241_818 Depth=1
	s_or_b64 exec, exec, s[26:27]
	v_lshrrev_b32_e32 v18, 16, v6
	v_pk_mov_b32 v[16:17], 0, 0
	v_cmp_ne_u16_sdwa s[4:5], v18, v23 src0_sel:BYTE_0 src1_sel:DWORD
	v_pk_mov_b32 v[12:13], v[16:17], v[16:17] op_sel:[0,1]
	s_and_saveexec_b64 s[26:27], s[4:5]
	s_cbranch_execz .LBB241_889
; %bb.884:                              ;   in Loop: Header=BB241_818 Depth=1
	v_bfrev_b32_e32 v12, 1
	v_cmp_ne_u16_sdwa s[4:5], v18, s7 src0_sel:BYTE_0 src1_sel:DWORD
	v_mov_b32_e32 v13, 0
	s_and_saveexec_b64 s[28:29], s[4:5]
	s_cbranch_execz .LBB241_888
; %bb.885:                              ;   in Loop: Header=BB241_818 Depth=1
	v_bfe_u32 v7, v6, 16, 7
	v_mov_b32_e32 v12, 0x7f800001
	v_cmp_ne_u32_e64 s[4:5], s15, v7
	v_mov_b32_e32 v13, 0
	s_and_saveexec_b64 s[30:31], s[4:5]
	s_cbranch_execz .LBB241_887
; %bb.886:                              ;   in Loop: Header=BB241_818 Depth=1
	v_and_b32_e32 v19, 7, v18
	v_ffbh_u32_e32 v12, v19
	v_min_u32_e32 v21, 32, v12
	v_subrev_u32_e32 v12, 28, v21
	v_lshlrev_b64 v[12:13], v12, v[18:19]
	v_lshrrev_b32_e32 v20, 3, v7
	v_sub_u32_e32 v13, 29, v21
	v_and_b32_e32 v12, 7, v12
	v_cmp_gt_u32_e64 s[4:5], 8, v7
	v_cndmask_b32_e64 v7, v20, v13, s[4:5]
	v_cndmask_b32_e64 v12, v19, v12, s[4:5]
	v_and_b32_sdwa v13, sext(v18), s13 dst_sel:DWORD dst_unused:UNUSED_PAD src0_sel:BYTE_0 src1_sel:DWORD
	v_bfrev_b32_e32 v18, 60
	v_lshlrev_b32_e32 v12, 20, v12
	v_lshl_add_u32 v7, v7, 23, v18
	v_or3_b32 v22, v13, v7, v12
	v_pk_mov_b32 v[12:13], v[22:23], v[22:23] op_sel:[0,1]
.LBB241_887:                            ;   in Loop: Header=BB241_818 Depth=1
	s_or_b64 exec, exec, s[30:31]
.LBB241_888:                            ;   in Loop: Header=BB241_818 Depth=1
	s_or_b64 exec, exec, s[28:29]
.LBB241_889:                            ;   in Loop: Header=BB241_818 Depth=1
	s_or_b64 exec, exec, s[26:27]
	v_cmp_lt_u32_e64 s[4:5], s34, v6
	s_and_saveexec_b64 s[26:27], s[4:5]
	s_cbranch_execz .LBB241_895
; %bb.890:                              ;   in Loop: Header=BB241_818 Depth=1
	v_cmp_ne_u32_sdwa s[4:5], v6, s7 src0_sel:BYTE_3 src1_sel:DWORD
	v_pk_mov_b32 v[16:17], s[12:13], s[12:13] op_sel:[0,1]
	s_and_saveexec_b64 s[28:29], s[4:5]
	s_cbranch_execz .LBB241_894
; %bb.891:                              ;   in Loop: Header=BB241_818 Depth=1
	v_bfe_u32 v7, v6, 24, 7
	s_mov_b32 s22, s12
	v_cmp_ne_u32_e64 s[4:5], s15, v7
	v_pk_mov_b32 v[16:17], s[22:23], s[22:23] op_sel:[0,1]
	s_and_saveexec_b64 s[30:31], s[4:5]
	s_cbranch_execz .LBB241_893
; %bb.892:                              ;   in Loop: Header=BB241_818 Depth=1
	v_mov_b32_e32 v16, 7
	v_and_b32_sdwa v22, v6, v16 dst_sel:DWORD dst_unused:UNUSED_PAD src0_sel:BYTE_3 src1_sel:DWORD
	v_ffbh_u32_e32 v16, v22
	v_min_u32_e32 v19, 32, v16
	v_subrev_u32_e32 v16, 28, v19
	v_lshlrev_b64 v[16:17], v16, v[22:23]
	v_lshrrev_b32_e32 v18, 3, v7
	v_sub_u32_e32 v17, 29, v19
	v_cmp_gt_u32_e64 s[4:5], 8, v7
	v_cndmask_b32_e64 v7, v18, v17, s[4:5]
	v_mov_b32_e32 v17, 24
	v_and_b32_e32 v16, 7, v16
	v_lshlrev_b32_sdwa v6, v17, v6 dst_sel:DWORD dst_unused:UNUSED_PAD src0_sel:DWORD src1_sel:BYTE_3
	v_bfrev_b32_e32 v17, 60
	v_cndmask_b32_e64 v16, v22, v16, s[4:5]
	v_lshl_add_u32 v7, v7, 23, v17
	v_and_or_b32 v6, v6, s13, v7
	v_lshlrev_b32_e32 v7, 20, v16
	v_or_b32_e32 v17, v6, v7
	v_mov_b32_e32 v16, v23
.LBB241_893:                            ;   in Loop: Header=BB241_818 Depth=1
	s_or_b64 exec, exec, s[30:31]
.LBB241_894:                            ;   in Loop: Header=BB241_818 Depth=1
	s_or_b64 exec, exec, s[28:29]
.LBB241_895:                            ;   in Loop: Header=BB241_818 Depth=1
	s_or_b64 exec, exec, s[26:27]
	v_or_b32_e32 v7, v11, v9
	v_or_b32_e32 v6, v10, v8
	v_pk_mul_f32 v[6:7], v[46:47], v[6:7]
	buffer_store_dword v6, off, s[0:3], s32 offset:256 ; 4-byte Folded Spill
	s_nop 0
	buffer_store_dword v7, off, s[0:3], s32 offset:260 ; 4-byte Folded Spill
	v_or_b32_e32 v7, v17, v13
	v_or_b32_e32 v6, v16, v12
	v_pk_mul_f32 v[6:7], v[46:47], v[6:7]
	buffer_store_dword v6, off, s[0:3], s32 offset:264 ; 4-byte Folded Spill
	s_nop 0
	buffer_store_dword v7, off, s[0:3], s32 offset:268 ; 4-byte Folded Spill
	s_and_saveexec_b64 s[26:27], vcc
	s_cbranch_execz .LBB241_897
; %bb.896:                              ;   in Loop: Header=BB241_818 Depth=1
	buffer_load_dword v8, off, s[0:3], s32 offset:256 ; 4-byte Folded Reload
	buffer_load_dword v9, off, s[0:3], s32 offset:260 ; 4-byte Folded Reload
	v_accvgpr_read_b32 v6, a17
	v_cmp_lt_i32_e64 s[4:5], v6, v62
	v_accvgpr_read_b32 v6, a5
	s_waitcnt vmcnt(1)
	v_cndmask_b32_e64 v8, 0, v8, s[4:5]
	v_cmp_lt_i32_e64 s[4:5], v6, v62
	s_waitcnt vmcnt(0)
	v_cndmask_b32_e64 v9, 0, v9, s[4:5]
	buffer_store_dword v8, off, s[0:3], s32 offset:256 ; 4-byte Folded Spill
	s_nop 0
	buffer_store_dword v9, off, s[0:3], s32 offset:260 ; 4-byte Folded Spill
	buffer_load_dword v8, off, s[0:3], s32 offset:264 ; 4-byte Folded Reload
	s_nop 0
	buffer_load_dword v9, off, s[0:3], s32 offset:268 ; 4-byte Folded Reload
	v_accvgpr_read_b32 v6, a41
	v_cmp_lt_i32_e64 s[4:5], v6, v62
	v_accvgpr_read_b32 v6, a1
	s_waitcnt vmcnt(1)
	v_cndmask_b32_e64 v8, 0, v8, s[4:5]
	v_cmp_lt_i32_e64 s[4:5], v6, v62
	s_waitcnt vmcnt(0)
	v_cndmask_b32_e64 v9, 0, v9, s[4:5]
	buffer_store_dword v8, off, s[0:3], s32 offset:264 ; 4-byte Folded Spill
	s_nop 0
	buffer_store_dword v9, off, s[0:3], s32 offset:268 ; 4-byte Folded Spill
.LBB241_897:                            ;   in Loop: Header=BB241_818 Depth=1
	s_or_b64 exec, exec, s[26:27]
	flat_load_dword v6, v[4:5] offset:768
	v_pk_mov_b32 v[10:11], 0, 0
	v_pk_mov_b32 v[8:9], v[10:11], v[10:11] op_sel:[0,1]
	s_waitcnt vmcnt(0) lgkmcnt(0)
	v_cmp_ne_u16_sdwa s[4:5], v6, v23 src0_sel:BYTE_0 src1_sel:DWORD
	s_and_saveexec_b64 s[26:27], s[4:5]
	s_cbranch_execz .LBB241_903
; %bb.898:                              ;   in Loop: Header=BB241_818 Depth=1
	v_bfrev_b32_e32 v8, 1
	v_cmp_ne_u16_sdwa s[4:5], v6, s7 src0_sel:BYTE_0 src1_sel:DWORD
	v_mov_b32_e32 v9, 0
	s_and_saveexec_b64 s[28:29], s[4:5]
	s_cbranch_execz .LBB241_902
; %bb.899:                              ;   in Loop: Header=BB241_818 Depth=1
	v_and_b32_e32 v7, 0x7f, v6
	v_mov_b32_e32 v8, 0x7f800001
	v_cmp_ne_u32_e64 s[4:5], s15, v7
	v_mov_b32_e32 v9, 0
	s_and_saveexec_b64 s[30:31], s[4:5]
	s_cbranch_execz .LBB241_901
; %bb.900:                              ;   in Loop: Header=BB241_818 Depth=1
	v_and_b32_e32 v12, 7, v6
	v_ffbh_u32_e32 v8, v12
	v_min_u32_e32 v16, 32, v8
	v_subrev_u32_e32 v8, 28, v16
	v_lshlrev_b64 v[8:9], v8, v[6:7]
	v_lshrrev_b32_e32 v13, 3, v7
	v_sub_u32_e32 v9, 29, v16
	v_and_b32_e32 v8, 7, v8
	v_cmp_gt_u32_e64 s[4:5], 8, v7
	v_cndmask_b32_e64 v7, v13, v9, s[4:5]
	v_cndmask_b32_e64 v8, v12, v8, s[4:5]
	v_bfrev_b32_e32 v12, 60
	v_lshlrev_b32_e32 v8, 20, v8
	v_and_b32_sdwa v9, sext(v6), s13 dst_sel:DWORD dst_unused:UNUSED_PAD src0_sel:BYTE_0 src1_sel:DWORD
	v_lshl_add_u32 v7, v7, 23, v12
	v_or3_b32 v22, v9, v7, v8
	v_pk_mov_b32 v[8:9], v[22:23], v[22:23] op_sel:[0,1]
.LBB241_901:                            ;   in Loop: Header=BB241_818 Depth=1
	s_or_b64 exec, exec, s[30:31]
.LBB241_902:                            ;   in Loop: Header=BB241_818 Depth=1
	s_or_b64 exec, exec, s[28:29]
.LBB241_903:                            ;   in Loop: Header=BB241_818 Depth=1
	s_or_b64 exec, exec, s[26:27]
	v_cmp_ne_u16_sdwa s[4:5], v6, v23 src0_sel:BYTE_1 src1_sel:DWORD
	s_and_saveexec_b64 s[26:27], s[4:5]
	s_cbranch_execz .LBB241_909
; %bb.904:                              ;   in Loop: Header=BB241_818 Depth=1
	v_cmp_ne_u16_sdwa s[4:5], v6, s7 src0_sel:BYTE_1 src1_sel:DWORD
	v_pk_mov_b32 v[10:11], s[12:13], s[12:13] op_sel:[0,1]
	s_and_saveexec_b64 s[28:29], s[4:5]
	s_cbranch_execz .LBB241_908
; %bb.905:                              ;   in Loop: Header=BB241_818 Depth=1
	v_and_b32_sdwa v7, v6, s15 dst_sel:DWORD dst_unused:UNUSED_PAD src0_sel:BYTE_1 src1_sel:DWORD
	s_mov_b32 s22, s12
	v_cmp_ne_u32_e64 s[4:5], s15, v7
	v_pk_mov_b32 v[10:11], s[22:23], s[22:23] op_sel:[0,1]
	s_and_saveexec_b64 s[30:31], s[4:5]
	s_cbranch_execz .LBB241_907
; %bb.906:                              ;   in Loop: Header=BB241_818 Depth=1
	v_mov_b32_e32 v10, 7
	v_and_b32_sdwa v22, v6, v10 dst_sel:DWORD dst_unused:UNUSED_PAD src0_sel:BYTE_1 src1_sel:DWORD
	v_ffbh_u32_e32 v10, v22
	v_min_u32_e32 v13, 32, v10
	v_subrev_u32_e32 v10, 28, v13
	v_lshlrev_b64 v[10:11], v10, v[22:23]
	v_lshrrev_b32_e32 v12, 3, v7
	v_sub_u32_e32 v11, 29, v13
	v_cmp_gt_u32_e64 s[4:5], 8, v7
	v_and_b32_e32 v10, 7, v10
	v_cndmask_b32_e64 v7, v12, v11, s[4:5]
	v_bfrev_b32_e32 v12, 60
	v_cndmask_b32_e64 v10, v22, v10, s[4:5]
	v_lshlrev_b32_e32 v11, 16, v6
	v_lshl_add_u32 v7, v7, 23, v12
	v_and_or_b32 v7, v11, s13, v7
	v_lshlrev_b32_e32 v10, 20, v10
	v_or_b32_e32 v11, v7, v10
	v_mov_b32_e32 v10, v23
.LBB241_907:                            ;   in Loop: Header=BB241_818 Depth=1
	s_or_b64 exec, exec, s[30:31]
.LBB241_908:                            ;   in Loop: Header=BB241_818 Depth=1
	s_or_b64 exec, exec, s[28:29]
.LBB241_909:                            ;   in Loop: Header=BB241_818 Depth=1
	s_or_b64 exec, exec, s[26:27]
	v_lshrrev_b32_e32 v18, 16, v6
	v_pk_mov_b32 v[16:17], 0, 0
	v_cmp_ne_u16_sdwa s[4:5], v18, v23 src0_sel:BYTE_0 src1_sel:DWORD
	v_pk_mov_b32 v[12:13], v[16:17], v[16:17] op_sel:[0,1]
	s_and_saveexec_b64 s[26:27], s[4:5]
	s_cbranch_execz .LBB241_915
; %bb.910:                              ;   in Loop: Header=BB241_818 Depth=1
	v_bfrev_b32_e32 v12, 1
	v_cmp_ne_u16_sdwa s[4:5], v18, s7 src0_sel:BYTE_0 src1_sel:DWORD
	v_mov_b32_e32 v13, 0
	s_and_saveexec_b64 s[28:29], s[4:5]
	s_cbranch_execz .LBB241_914
; %bb.911:                              ;   in Loop: Header=BB241_818 Depth=1
	v_bfe_u32 v7, v6, 16, 7
	v_mov_b32_e32 v12, 0x7f800001
	v_cmp_ne_u32_e64 s[4:5], s15, v7
	v_mov_b32_e32 v13, 0
	s_and_saveexec_b64 s[30:31], s[4:5]
	s_cbranch_execz .LBB241_913
; %bb.912:                              ;   in Loop: Header=BB241_818 Depth=1
	v_and_b32_e32 v19, 7, v18
	v_ffbh_u32_e32 v12, v19
	v_min_u32_e32 v21, 32, v12
	v_subrev_u32_e32 v12, 28, v21
	v_lshlrev_b64 v[12:13], v12, v[18:19]
	v_lshrrev_b32_e32 v20, 3, v7
	v_sub_u32_e32 v13, 29, v21
	v_and_b32_e32 v12, 7, v12
	v_cmp_gt_u32_e64 s[4:5], 8, v7
	v_cndmask_b32_e64 v7, v20, v13, s[4:5]
	v_cndmask_b32_e64 v12, v19, v12, s[4:5]
	v_and_b32_sdwa v13, sext(v18), s13 dst_sel:DWORD dst_unused:UNUSED_PAD src0_sel:BYTE_0 src1_sel:DWORD
	v_bfrev_b32_e32 v18, 60
	v_lshlrev_b32_e32 v12, 20, v12
	v_lshl_add_u32 v7, v7, 23, v18
	v_or3_b32 v22, v13, v7, v12
	v_pk_mov_b32 v[12:13], v[22:23], v[22:23] op_sel:[0,1]
.LBB241_913:                            ;   in Loop: Header=BB241_818 Depth=1
	s_or_b64 exec, exec, s[30:31]
.LBB241_914:                            ;   in Loop: Header=BB241_818 Depth=1
	s_or_b64 exec, exec, s[28:29]
.LBB241_915:                            ;   in Loop: Header=BB241_818 Depth=1
	s_or_b64 exec, exec, s[26:27]
	v_cmp_lt_u32_e64 s[4:5], s34, v6
	s_and_saveexec_b64 s[26:27], s[4:5]
	s_cbranch_execz .LBB241_921
; %bb.916:                              ;   in Loop: Header=BB241_818 Depth=1
	v_cmp_ne_u32_sdwa s[4:5], v6, s7 src0_sel:BYTE_3 src1_sel:DWORD
	v_pk_mov_b32 v[16:17], s[12:13], s[12:13] op_sel:[0,1]
	s_and_saveexec_b64 s[28:29], s[4:5]
	s_cbranch_execz .LBB241_920
; %bb.917:                              ;   in Loop: Header=BB241_818 Depth=1
	v_bfe_u32 v7, v6, 24, 7
	s_mov_b32 s22, s12
	v_cmp_ne_u32_e64 s[4:5], s15, v7
	v_pk_mov_b32 v[16:17], s[22:23], s[22:23] op_sel:[0,1]
	s_and_saveexec_b64 s[30:31], s[4:5]
	s_cbranch_execz .LBB241_919
; %bb.918:                              ;   in Loop: Header=BB241_818 Depth=1
	v_mov_b32_e32 v16, 7
	v_and_b32_sdwa v22, v6, v16 dst_sel:DWORD dst_unused:UNUSED_PAD src0_sel:BYTE_3 src1_sel:DWORD
	v_ffbh_u32_e32 v16, v22
	v_min_u32_e32 v19, 32, v16
	v_subrev_u32_e32 v16, 28, v19
	v_lshlrev_b64 v[16:17], v16, v[22:23]
	v_lshrrev_b32_e32 v18, 3, v7
	v_sub_u32_e32 v17, 29, v19
	v_cmp_gt_u32_e64 s[4:5], 8, v7
	v_cndmask_b32_e64 v7, v18, v17, s[4:5]
	v_mov_b32_e32 v17, 24
	v_and_b32_e32 v16, 7, v16
	v_lshlrev_b32_sdwa v6, v17, v6 dst_sel:DWORD dst_unused:UNUSED_PAD src0_sel:DWORD src1_sel:BYTE_3
	v_bfrev_b32_e32 v17, 60
	v_cndmask_b32_e64 v16, v22, v16, s[4:5]
	v_lshl_add_u32 v7, v7, 23, v17
	v_and_or_b32 v6, v6, s13, v7
	v_lshlrev_b32_e32 v7, 20, v16
	v_or_b32_e32 v17, v6, v7
	v_mov_b32_e32 v16, v23
.LBB241_919:                            ;   in Loop: Header=BB241_818 Depth=1
	s_or_b64 exec, exec, s[30:31]
.LBB241_920:                            ;   in Loop: Header=BB241_818 Depth=1
	s_or_b64 exec, exec, s[28:29]
.LBB241_921:                            ;   in Loop: Header=BB241_818 Depth=1
	s_or_b64 exec, exec, s[26:27]
	v_or_b32_e32 v7, v11, v9
	v_or_b32_e32 v6, v10, v8
	v_pk_mul_f32 v[6:7], v[46:47], v[6:7]
	buffer_store_dword v6, off, s[0:3], s32 offset:272 ; 4-byte Folded Spill
	s_nop 0
	buffer_store_dword v7, off, s[0:3], s32 offset:276 ; 4-byte Folded Spill
	v_or_b32_e32 v7, v17, v13
	v_or_b32_e32 v6, v16, v12
	v_pk_mul_f32 v[6:7], v[46:47], v[6:7]
	buffer_store_dword v6, off, s[0:3], s32 offset:280 ; 4-byte Folded Spill
	s_nop 0
	buffer_store_dword v7, off, s[0:3], s32 offset:284 ; 4-byte Folded Spill
	s_and_saveexec_b64 s[26:27], vcc
	s_cbranch_execz .LBB241_923
; %bb.922:                              ;   in Loop: Header=BB241_818 Depth=1
	buffer_load_dword v8, off, s[0:3], s32 offset:272 ; 4-byte Folded Reload
	buffer_load_dword v9, off, s[0:3], s32 offset:276 ; 4-byte Folded Reload
	v_accvgpr_read_b32 v6, a17
	v_cmp_lt_i32_e64 s[4:5], v6, v62
	v_accvgpr_read_b32 v6, a5
	s_waitcnt vmcnt(1)
	v_cndmask_b32_e64 v8, 0, v8, s[4:5]
	v_cmp_lt_i32_e64 s[4:5], v6, v62
	s_waitcnt vmcnt(0)
	v_cndmask_b32_e64 v9, 0, v9, s[4:5]
	buffer_store_dword v8, off, s[0:3], s32 offset:272 ; 4-byte Folded Spill
	s_nop 0
	buffer_store_dword v9, off, s[0:3], s32 offset:276 ; 4-byte Folded Spill
	buffer_load_dword v8, off, s[0:3], s32 offset:280 ; 4-byte Folded Reload
	s_nop 0
	buffer_load_dword v9, off, s[0:3], s32 offset:284 ; 4-byte Folded Reload
	v_accvgpr_read_b32 v6, a41
	v_cmp_lt_i32_e64 s[4:5], v6, v62
	v_accvgpr_read_b32 v6, a1
	s_waitcnt vmcnt(1)
	v_cndmask_b32_e64 v8, 0, v8, s[4:5]
	v_cmp_lt_i32_e64 s[4:5], v6, v62
	s_waitcnt vmcnt(0)
	v_cndmask_b32_e64 v9, 0, v9, s[4:5]
	buffer_store_dword v8, off, s[0:3], s32 offset:280 ; 4-byte Folded Spill
	s_nop 0
	buffer_store_dword v9, off, s[0:3], s32 offset:284 ; 4-byte Folded Spill
.LBB241_923:                            ;   in Loop: Header=BB241_818 Depth=1
	s_or_b64 exec, exec, s[26:27]
	flat_load_dword v6, v[4:5] offset:1024
	v_pk_mov_b32 v[10:11], 0, 0
	v_pk_mov_b32 v[8:9], v[10:11], v[10:11] op_sel:[0,1]
	s_waitcnt vmcnt(0) lgkmcnt(0)
	v_cmp_ne_u16_sdwa s[4:5], v6, v23 src0_sel:BYTE_0 src1_sel:DWORD
	s_and_saveexec_b64 s[26:27], s[4:5]
	s_cbranch_execz .LBB241_929
; %bb.924:                              ;   in Loop: Header=BB241_818 Depth=1
	v_bfrev_b32_e32 v8, 1
	v_cmp_ne_u16_sdwa s[4:5], v6, s7 src0_sel:BYTE_0 src1_sel:DWORD
	v_mov_b32_e32 v9, 0
	s_and_saveexec_b64 s[28:29], s[4:5]
	s_cbranch_execz .LBB241_928
; %bb.925:                              ;   in Loop: Header=BB241_818 Depth=1
	v_and_b32_e32 v7, 0x7f, v6
	v_mov_b32_e32 v8, 0x7f800001
	v_cmp_ne_u32_e64 s[4:5], s15, v7
	v_mov_b32_e32 v9, 0
	s_and_saveexec_b64 s[30:31], s[4:5]
	s_cbranch_execz .LBB241_927
; %bb.926:                              ;   in Loop: Header=BB241_818 Depth=1
	v_and_b32_e32 v12, 7, v6
	v_ffbh_u32_e32 v8, v12
	v_min_u32_e32 v16, 32, v8
	v_subrev_u32_e32 v8, 28, v16
	v_lshlrev_b64 v[8:9], v8, v[6:7]
	v_lshrrev_b32_e32 v13, 3, v7
	v_sub_u32_e32 v9, 29, v16
	v_and_b32_e32 v8, 7, v8
	v_cmp_gt_u32_e64 s[4:5], 8, v7
	v_cndmask_b32_e64 v7, v13, v9, s[4:5]
	v_cndmask_b32_e64 v8, v12, v8, s[4:5]
	v_bfrev_b32_e32 v12, 60
	v_lshlrev_b32_e32 v8, 20, v8
	v_and_b32_sdwa v9, sext(v6), s13 dst_sel:DWORD dst_unused:UNUSED_PAD src0_sel:BYTE_0 src1_sel:DWORD
	v_lshl_add_u32 v7, v7, 23, v12
	v_or3_b32 v22, v9, v7, v8
	v_pk_mov_b32 v[8:9], v[22:23], v[22:23] op_sel:[0,1]
.LBB241_927:                            ;   in Loop: Header=BB241_818 Depth=1
	s_or_b64 exec, exec, s[30:31]
.LBB241_928:                            ;   in Loop: Header=BB241_818 Depth=1
	s_or_b64 exec, exec, s[28:29]
.LBB241_929:                            ;   in Loop: Header=BB241_818 Depth=1
	s_or_b64 exec, exec, s[26:27]
	v_cmp_ne_u16_sdwa s[4:5], v6, v23 src0_sel:BYTE_1 src1_sel:DWORD
	s_and_saveexec_b64 s[26:27], s[4:5]
	s_cbranch_execz .LBB241_935
; %bb.930:                              ;   in Loop: Header=BB241_818 Depth=1
	v_cmp_ne_u16_sdwa s[4:5], v6, s7 src0_sel:BYTE_1 src1_sel:DWORD
	v_pk_mov_b32 v[10:11], s[12:13], s[12:13] op_sel:[0,1]
	s_and_saveexec_b64 s[28:29], s[4:5]
	s_cbranch_execz .LBB241_934
; %bb.931:                              ;   in Loop: Header=BB241_818 Depth=1
	v_and_b32_sdwa v7, v6, s15 dst_sel:DWORD dst_unused:UNUSED_PAD src0_sel:BYTE_1 src1_sel:DWORD
	s_mov_b32 s22, s12
	v_cmp_ne_u32_e64 s[4:5], s15, v7
	v_pk_mov_b32 v[10:11], s[22:23], s[22:23] op_sel:[0,1]
	s_and_saveexec_b64 s[30:31], s[4:5]
	s_cbranch_execz .LBB241_933
; %bb.932:                              ;   in Loop: Header=BB241_818 Depth=1
	v_mov_b32_e32 v10, 7
	v_and_b32_sdwa v22, v6, v10 dst_sel:DWORD dst_unused:UNUSED_PAD src0_sel:BYTE_1 src1_sel:DWORD
	v_ffbh_u32_e32 v10, v22
	v_min_u32_e32 v13, 32, v10
	v_subrev_u32_e32 v10, 28, v13
	v_lshlrev_b64 v[10:11], v10, v[22:23]
	v_lshrrev_b32_e32 v12, 3, v7
	v_sub_u32_e32 v11, 29, v13
	v_cmp_gt_u32_e64 s[4:5], 8, v7
	v_and_b32_e32 v10, 7, v10
	v_cndmask_b32_e64 v7, v12, v11, s[4:5]
	v_bfrev_b32_e32 v12, 60
	v_cndmask_b32_e64 v10, v22, v10, s[4:5]
	v_lshlrev_b32_e32 v11, 16, v6
	v_lshl_add_u32 v7, v7, 23, v12
	v_and_or_b32 v7, v11, s13, v7
	v_lshlrev_b32_e32 v10, 20, v10
	v_or_b32_e32 v11, v7, v10
	v_mov_b32_e32 v10, v23
.LBB241_933:                            ;   in Loop: Header=BB241_818 Depth=1
	s_or_b64 exec, exec, s[30:31]
.LBB241_934:                            ;   in Loop: Header=BB241_818 Depth=1
	s_or_b64 exec, exec, s[28:29]
.LBB241_935:                            ;   in Loop: Header=BB241_818 Depth=1
	s_or_b64 exec, exec, s[26:27]
	v_lshrrev_b32_e32 v18, 16, v6
	v_pk_mov_b32 v[16:17], 0, 0
	v_cmp_ne_u16_sdwa s[4:5], v18, v23 src0_sel:BYTE_0 src1_sel:DWORD
	v_pk_mov_b32 v[12:13], v[16:17], v[16:17] op_sel:[0,1]
	s_and_saveexec_b64 s[26:27], s[4:5]
	s_cbranch_execz .LBB241_941
; %bb.936:                              ;   in Loop: Header=BB241_818 Depth=1
	v_bfrev_b32_e32 v12, 1
	v_cmp_ne_u16_sdwa s[4:5], v18, s7 src0_sel:BYTE_0 src1_sel:DWORD
	v_mov_b32_e32 v13, 0
	s_and_saveexec_b64 s[28:29], s[4:5]
	s_cbranch_execz .LBB241_940
; %bb.937:                              ;   in Loop: Header=BB241_818 Depth=1
	v_bfe_u32 v7, v6, 16, 7
	v_mov_b32_e32 v12, 0x7f800001
	v_cmp_ne_u32_e64 s[4:5], s15, v7
	v_mov_b32_e32 v13, 0
	s_and_saveexec_b64 s[30:31], s[4:5]
	s_cbranch_execz .LBB241_939
; %bb.938:                              ;   in Loop: Header=BB241_818 Depth=1
	v_and_b32_e32 v19, 7, v18
	v_ffbh_u32_e32 v12, v19
	v_min_u32_e32 v21, 32, v12
	v_subrev_u32_e32 v12, 28, v21
	v_lshlrev_b64 v[12:13], v12, v[18:19]
	v_lshrrev_b32_e32 v20, 3, v7
	v_sub_u32_e32 v13, 29, v21
	v_and_b32_e32 v12, 7, v12
	v_cmp_gt_u32_e64 s[4:5], 8, v7
	v_cndmask_b32_e64 v7, v20, v13, s[4:5]
	v_cndmask_b32_e64 v12, v19, v12, s[4:5]
	v_and_b32_sdwa v13, sext(v18), s13 dst_sel:DWORD dst_unused:UNUSED_PAD src0_sel:BYTE_0 src1_sel:DWORD
	v_bfrev_b32_e32 v18, 60
	v_lshlrev_b32_e32 v12, 20, v12
	v_lshl_add_u32 v7, v7, 23, v18
	v_or3_b32 v22, v13, v7, v12
	v_pk_mov_b32 v[12:13], v[22:23], v[22:23] op_sel:[0,1]
.LBB241_939:                            ;   in Loop: Header=BB241_818 Depth=1
	s_or_b64 exec, exec, s[30:31]
.LBB241_940:                            ;   in Loop: Header=BB241_818 Depth=1
	s_or_b64 exec, exec, s[28:29]
.LBB241_941:                            ;   in Loop: Header=BB241_818 Depth=1
	s_or_b64 exec, exec, s[26:27]
	v_cmp_lt_u32_e64 s[4:5], s34, v6
	s_and_saveexec_b64 s[26:27], s[4:5]
	s_cbranch_execz .LBB241_947
; %bb.942:                              ;   in Loop: Header=BB241_818 Depth=1
	v_cmp_ne_u32_sdwa s[4:5], v6, s7 src0_sel:BYTE_3 src1_sel:DWORD
	v_pk_mov_b32 v[16:17], s[12:13], s[12:13] op_sel:[0,1]
	s_and_saveexec_b64 s[28:29], s[4:5]
	s_cbranch_execz .LBB241_946
; %bb.943:                              ;   in Loop: Header=BB241_818 Depth=1
	v_bfe_u32 v7, v6, 24, 7
	s_mov_b32 s22, s12
	v_cmp_ne_u32_e64 s[4:5], s15, v7
	v_pk_mov_b32 v[16:17], s[22:23], s[22:23] op_sel:[0,1]
	s_and_saveexec_b64 s[30:31], s[4:5]
	s_cbranch_execz .LBB241_945
; %bb.944:                              ;   in Loop: Header=BB241_818 Depth=1
	v_mov_b32_e32 v16, 7
	v_and_b32_sdwa v22, v6, v16 dst_sel:DWORD dst_unused:UNUSED_PAD src0_sel:BYTE_3 src1_sel:DWORD
	v_ffbh_u32_e32 v16, v22
	v_min_u32_e32 v19, 32, v16
	v_subrev_u32_e32 v16, 28, v19
	v_lshlrev_b64 v[16:17], v16, v[22:23]
	v_lshrrev_b32_e32 v18, 3, v7
	v_sub_u32_e32 v17, 29, v19
	v_cmp_gt_u32_e64 s[4:5], 8, v7
	v_cndmask_b32_e64 v7, v18, v17, s[4:5]
	v_mov_b32_e32 v17, 24
	v_and_b32_e32 v16, 7, v16
	v_lshlrev_b32_sdwa v6, v17, v6 dst_sel:DWORD dst_unused:UNUSED_PAD src0_sel:DWORD src1_sel:BYTE_3
	v_bfrev_b32_e32 v17, 60
	v_cndmask_b32_e64 v16, v22, v16, s[4:5]
	v_lshl_add_u32 v7, v7, 23, v17
	v_and_or_b32 v6, v6, s13, v7
	v_lshlrev_b32_e32 v7, 20, v16
	v_or_b32_e32 v17, v6, v7
	v_mov_b32_e32 v16, v23
.LBB241_945:                            ;   in Loop: Header=BB241_818 Depth=1
	s_or_b64 exec, exec, s[30:31]
.LBB241_946:                            ;   in Loop: Header=BB241_818 Depth=1
	s_or_b64 exec, exec, s[28:29]
.LBB241_947:                            ;   in Loop: Header=BB241_818 Depth=1
	s_or_b64 exec, exec, s[26:27]
	v_or_b32_e32 v7, v11, v9
	v_or_b32_e32 v6, v10, v8
	v_pk_mul_f32 v[6:7], v[46:47], v[6:7]
	buffer_store_dword v6, off, s[0:3], s32 offset:296 ; 4-byte Folded Spill
	s_nop 0
	buffer_store_dword v7, off, s[0:3], s32 offset:300 ; 4-byte Folded Spill
	v_or_b32_e32 v7, v17, v13
	v_or_b32_e32 v6, v16, v12
	v_pk_mul_f32 v[6:7], v[46:47], v[6:7]
	buffer_store_dword v6, off, s[0:3], s32 offset:288 ; 4-byte Folded Spill
	s_nop 0
	buffer_store_dword v7, off, s[0:3], s32 offset:292 ; 4-byte Folded Spill
	s_and_saveexec_b64 s[26:27], vcc
	s_cbranch_execz .LBB241_949
; %bb.948:                              ;   in Loop: Header=BB241_818 Depth=1
	buffer_load_dword v8, off, s[0:3], s32 offset:296 ; 4-byte Folded Reload
	buffer_load_dword v9, off, s[0:3], s32 offset:300 ; 4-byte Folded Reload
	v_accvgpr_read_b32 v6, a17
	v_cmp_lt_i32_e64 s[4:5], v6, v62
	v_accvgpr_read_b32 v6, a5
	s_waitcnt vmcnt(1)
	v_cndmask_b32_e64 v8, 0, v8, s[4:5]
	v_cmp_lt_i32_e64 s[4:5], v6, v62
	s_waitcnt vmcnt(0)
	v_cndmask_b32_e64 v9, 0, v9, s[4:5]
	buffer_store_dword v8, off, s[0:3], s32 offset:296 ; 4-byte Folded Spill
	s_nop 0
	buffer_store_dword v9, off, s[0:3], s32 offset:300 ; 4-byte Folded Spill
	buffer_load_dword v8, off, s[0:3], s32 offset:288 ; 4-byte Folded Reload
	s_nop 0
	buffer_load_dword v9, off, s[0:3], s32 offset:292 ; 4-byte Folded Reload
	v_accvgpr_read_b32 v6, a41
	v_cmp_lt_i32_e64 s[4:5], v6, v62
	v_accvgpr_read_b32 v6, a1
	s_waitcnt vmcnt(1)
	v_cndmask_b32_e64 v8, 0, v8, s[4:5]
	v_cmp_lt_i32_e64 s[4:5], v6, v62
	s_waitcnt vmcnt(0)
	v_cndmask_b32_e64 v9, 0, v9, s[4:5]
	buffer_store_dword v8, off, s[0:3], s32 offset:288 ; 4-byte Folded Spill
	s_nop 0
	buffer_store_dword v9, off, s[0:3], s32 offset:292 ; 4-byte Folded Spill
.LBB241_949:                            ;   in Loop: Header=BB241_818 Depth=1
	s_or_b64 exec, exec, s[26:27]
	flat_load_dword v6, v[4:5] offset:1280
	v_pk_mov_b32 v[10:11], 0, 0
	v_pk_mov_b32 v[8:9], v[10:11], v[10:11] op_sel:[0,1]
	s_waitcnt vmcnt(0) lgkmcnt(0)
	v_cmp_ne_u16_sdwa s[4:5], v6, v23 src0_sel:BYTE_0 src1_sel:DWORD
	s_and_saveexec_b64 s[26:27], s[4:5]
	s_cbranch_execz .LBB241_955
; %bb.950:                              ;   in Loop: Header=BB241_818 Depth=1
	v_bfrev_b32_e32 v8, 1
	v_cmp_ne_u16_sdwa s[4:5], v6, s7 src0_sel:BYTE_0 src1_sel:DWORD
	v_mov_b32_e32 v9, 0
	s_and_saveexec_b64 s[28:29], s[4:5]
	s_cbranch_execz .LBB241_954
; %bb.951:                              ;   in Loop: Header=BB241_818 Depth=1
	v_and_b32_e32 v7, 0x7f, v6
	v_mov_b32_e32 v8, 0x7f800001
	v_cmp_ne_u32_e64 s[4:5], s15, v7
	v_mov_b32_e32 v9, 0
	s_and_saveexec_b64 s[30:31], s[4:5]
	s_cbranch_execz .LBB241_953
; %bb.952:                              ;   in Loop: Header=BB241_818 Depth=1
	v_and_b32_e32 v12, 7, v6
	v_ffbh_u32_e32 v8, v12
	v_min_u32_e32 v16, 32, v8
	v_subrev_u32_e32 v8, 28, v16
	v_lshlrev_b64 v[8:9], v8, v[6:7]
	v_lshrrev_b32_e32 v13, 3, v7
	v_sub_u32_e32 v9, 29, v16
	v_and_b32_e32 v8, 7, v8
	v_cmp_gt_u32_e64 s[4:5], 8, v7
	v_cndmask_b32_e64 v7, v13, v9, s[4:5]
	v_cndmask_b32_e64 v8, v12, v8, s[4:5]
	v_bfrev_b32_e32 v12, 60
	v_lshlrev_b32_e32 v8, 20, v8
	v_and_b32_sdwa v9, sext(v6), s13 dst_sel:DWORD dst_unused:UNUSED_PAD src0_sel:BYTE_0 src1_sel:DWORD
	v_lshl_add_u32 v7, v7, 23, v12
	v_or3_b32 v22, v9, v7, v8
	v_pk_mov_b32 v[8:9], v[22:23], v[22:23] op_sel:[0,1]
.LBB241_953:                            ;   in Loop: Header=BB241_818 Depth=1
	s_or_b64 exec, exec, s[30:31]
.LBB241_954:                            ;   in Loop: Header=BB241_818 Depth=1
	s_or_b64 exec, exec, s[28:29]
.LBB241_955:                            ;   in Loop: Header=BB241_818 Depth=1
	s_or_b64 exec, exec, s[26:27]
	v_cmp_ne_u16_sdwa s[4:5], v6, v23 src0_sel:BYTE_1 src1_sel:DWORD
	s_and_saveexec_b64 s[26:27], s[4:5]
	s_cbranch_execz .LBB241_961
; %bb.956:                              ;   in Loop: Header=BB241_818 Depth=1
	v_cmp_ne_u16_sdwa s[4:5], v6, s7 src0_sel:BYTE_1 src1_sel:DWORD
	v_pk_mov_b32 v[10:11], s[12:13], s[12:13] op_sel:[0,1]
	s_and_saveexec_b64 s[28:29], s[4:5]
	s_cbranch_execz .LBB241_960
; %bb.957:                              ;   in Loop: Header=BB241_818 Depth=1
	v_and_b32_sdwa v7, v6, s15 dst_sel:DWORD dst_unused:UNUSED_PAD src0_sel:BYTE_1 src1_sel:DWORD
	s_mov_b32 s22, s12
	v_cmp_ne_u32_e64 s[4:5], s15, v7
	v_pk_mov_b32 v[10:11], s[22:23], s[22:23] op_sel:[0,1]
	s_and_saveexec_b64 s[30:31], s[4:5]
	s_cbranch_execz .LBB241_959
; %bb.958:                              ;   in Loop: Header=BB241_818 Depth=1
	v_mov_b32_e32 v10, 7
	v_and_b32_sdwa v22, v6, v10 dst_sel:DWORD dst_unused:UNUSED_PAD src0_sel:BYTE_1 src1_sel:DWORD
	v_ffbh_u32_e32 v10, v22
	v_min_u32_e32 v13, 32, v10
	v_subrev_u32_e32 v10, 28, v13
	v_lshlrev_b64 v[10:11], v10, v[22:23]
	v_lshrrev_b32_e32 v12, 3, v7
	v_sub_u32_e32 v11, 29, v13
	v_cmp_gt_u32_e64 s[4:5], 8, v7
	v_and_b32_e32 v10, 7, v10
	v_cndmask_b32_e64 v7, v12, v11, s[4:5]
	v_bfrev_b32_e32 v12, 60
	v_cndmask_b32_e64 v10, v22, v10, s[4:5]
	v_lshlrev_b32_e32 v11, 16, v6
	v_lshl_add_u32 v7, v7, 23, v12
	v_and_or_b32 v7, v11, s13, v7
	v_lshlrev_b32_e32 v10, 20, v10
	v_or_b32_e32 v11, v7, v10
	v_mov_b32_e32 v10, v23
.LBB241_959:                            ;   in Loop: Header=BB241_818 Depth=1
	s_or_b64 exec, exec, s[30:31]
.LBB241_960:                            ;   in Loop: Header=BB241_818 Depth=1
	s_or_b64 exec, exec, s[28:29]
.LBB241_961:                            ;   in Loop: Header=BB241_818 Depth=1
	s_or_b64 exec, exec, s[26:27]
	v_lshrrev_b32_e32 v18, 16, v6
	v_pk_mov_b32 v[16:17], 0, 0
	v_cmp_ne_u16_sdwa s[4:5], v18, v23 src0_sel:BYTE_0 src1_sel:DWORD
	v_pk_mov_b32 v[12:13], v[16:17], v[16:17] op_sel:[0,1]
	s_and_saveexec_b64 s[26:27], s[4:5]
	s_cbranch_execz .LBB241_967
; %bb.962:                              ;   in Loop: Header=BB241_818 Depth=1
	v_bfrev_b32_e32 v12, 1
	v_cmp_ne_u16_sdwa s[4:5], v18, s7 src0_sel:BYTE_0 src1_sel:DWORD
	v_mov_b32_e32 v13, 0
	s_and_saveexec_b64 s[28:29], s[4:5]
	s_cbranch_execz .LBB241_966
; %bb.963:                              ;   in Loop: Header=BB241_818 Depth=1
	v_bfe_u32 v7, v6, 16, 7
	v_mov_b32_e32 v12, 0x7f800001
	v_cmp_ne_u32_e64 s[4:5], s15, v7
	v_mov_b32_e32 v13, 0
	s_and_saveexec_b64 s[30:31], s[4:5]
	s_cbranch_execz .LBB241_965
; %bb.964:                              ;   in Loop: Header=BB241_818 Depth=1
	v_and_b32_e32 v19, 7, v18
	v_lshrrev_b32_e32 v20, 3, v7
	v_cmp_gt_u32_e64 s[4:5], 8, v7
	v_ffbh_u32_e32 v7, v19
	v_min_u32_e32 v7, 32, v7
	v_subrev_u32_e32 v12, 28, v7
	v_lshlrev_b64 v[12:13], v12, v[18:19]
	v_sub_u32_e32 v7, 29, v7
	v_and_b32_e32 v12, 7, v12
	v_cndmask_b32_e64 v7, v20, v7, s[4:5]
	v_cndmask_b32_e64 v12, v19, v12, s[4:5]
	v_and_b32_sdwa v13, sext(v18), s13 dst_sel:DWORD dst_unused:UNUSED_PAD src0_sel:BYTE_0 src1_sel:DWORD
	v_bfrev_b32_e32 v18, 60
	v_lshlrev_b32_e32 v12, 20, v12
	v_lshl_add_u32 v7, v7, 23, v18
	v_or3_b32 v22, v13, v7, v12
	v_pk_mov_b32 v[12:13], v[22:23], v[22:23] op_sel:[0,1]
.LBB241_965:                            ;   in Loop: Header=BB241_818 Depth=1
	s_or_b64 exec, exec, s[30:31]
.LBB241_966:                            ;   in Loop: Header=BB241_818 Depth=1
	s_or_b64 exec, exec, s[28:29]
.LBB241_967:                            ;   in Loop: Header=BB241_818 Depth=1
	s_or_b64 exec, exec, s[26:27]
	v_cmp_lt_u32_e64 s[4:5], s34, v6
	s_and_saveexec_b64 s[26:27], s[4:5]
	s_cbranch_execz .LBB241_973
; %bb.968:                              ;   in Loop: Header=BB241_818 Depth=1
	v_cmp_ne_u32_sdwa s[4:5], v6, s7 src0_sel:BYTE_3 src1_sel:DWORD
	v_pk_mov_b32 v[16:17], s[12:13], s[12:13] op_sel:[0,1]
	s_and_saveexec_b64 s[28:29], s[4:5]
	s_cbranch_execz .LBB241_972
; %bb.969:                              ;   in Loop: Header=BB241_818 Depth=1
	v_bfe_u32 v7, v6, 24, 7
	s_mov_b32 s22, s12
	v_cmp_ne_u32_e64 s[4:5], s15, v7
	v_pk_mov_b32 v[16:17], s[22:23], s[22:23] op_sel:[0,1]
	s_and_saveexec_b64 s[30:31], s[4:5]
	s_cbranch_execz .LBB241_971
; %bb.970:                              ;   in Loop: Header=BB241_818 Depth=1
	v_mov_b32_e32 v16, 7
	v_and_b32_sdwa v22, v6, v16 dst_sel:DWORD dst_unused:UNUSED_PAD src0_sel:BYTE_3 src1_sel:DWORD
	v_lshrrev_b32_e32 v18, 3, v7
	v_cmp_gt_u32_e64 s[4:5], 8, v7
	v_ffbh_u32_e32 v7, v22
	v_min_u32_e32 v7, 32, v7
	v_subrev_u32_e32 v16, 28, v7
	v_lshlrev_b64 v[16:17], v16, v[22:23]
	v_sub_u32_e32 v7, 29, v7
	v_mov_b32_e32 v17, 24
	v_and_b32_e32 v16, 7, v16
	v_cndmask_b32_e64 v7, v18, v7, s[4:5]
	v_lshlrev_b32_sdwa v6, v17, v6 dst_sel:DWORD dst_unused:UNUSED_PAD src0_sel:DWORD src1_sel:BYTE_3
	v_bfrev_b32_e32 v17, 60
	v_cndmask_b32_e64 v16, v22, v16, s[4:5]
	v_lshl_add_u32 v7, v7, 23, v17
	v_and_or_b32 v6, v6, s13, v7
	v_lshlrev_b32_e32 v7, 20, v16
	v_or_b32_e32 v17, v6, v7
	v_mov_b32_e32 v16, v23
.LBB241_971:                            ;   in Loop: Header=BB241_818 Depth=1
	s_or_b64 exec, exec, s[30:31]
.LBB241_972:                            ;   in Loop: Header=BB241_818 Depth=1
	s_or_b64 exec, exec, s[28:29]
.LBB241_973:                            ;   in Loop: Header=BB241_818 Depth=1
	s_or_b64 exec, exec, s[26:27]
	v_or_b32_e32 v7, v11, v9
	v_or_b32_e32 v6, v10, v8
	v_pk_mul_f32 v[6:7], v[46:47], v[6:7]
	buffer_store_dword v6, off, s[0:3], s32 offset:304 ; 4-byte Folded Spill
	s_nop 0
	buffer_store_dword v7, off, s[0:3], s32 offset:308 ; 4-byte Folded Spill
	v_or_b32_e32 v7, v17, v13
	v_or_b32_e32 v6, v16, v12
	v_pk_mul_f32 v[6:7], v[46:47], v[6:7]
	buffer_store_dword v6, off, s[0:3], s32 offset:312 ; 4-byte Folded Spill
	s_nop 0
	buffer_store_dword v7, off, s[0:3], s32 offset:316 ; 4-byte Folded Spill
	s_and_saveexec_b64 s[26:27], vcc
	s_cbranch_execz .LBB241_975
; %bb.974:                              ;   in Loop: Header=BB241_818 Depth=1
	buffer_load_dword v8, off, s[0:3], s32 offset:304 ; 4-byte Folded Reload
	buffer_load_dword v9, off, s[0:3], s32 offset:308 ; 4-byte Folded Reload
	v_accvgpr_read_b32 v6, a17
	v_cmp_lt_i32_e64 s[4:5], v6, v62
	v_accvgpr_read_b32 v6, a5
	s_waitcnt vmcnt(1)
	v_cndmask_b32_e64 v8, 0, v8, s[4:5]
	v_cmp_lt_i32_e64 s[4:5], v6, v62
	s_waitcnt vmcnt(0)
	v_cndmask_b32_e64 v9, 0, v9, s[4:5]
	buffer_store_dword v8, off, s[0:3], s32 offset:304 ; 4-byte Folded Spill
	s_nop 0
	buffer_store_dword v9, off, s[0:3], s32 offset:308 ; 4-byte Folded Spill
	buffer_load_dword v8, off, s[0:3], s32 offset:312 ; 4-byte Folded Reload
	s_nop 0
	buffer_load_dword v9, off, s[0:3], s32 offset:316 ; 4-byte Folded Reload
	v_accvgpr_read_b32 v6, a41
	v_cmp_lt_i32_e64 s[4:5], v6, v62
	v_accvgpr_read_b32 v6, a1
	s_waitcnt vmcnt(1)
	v_cndmask_b32_e64 v8, 0, v8, s[4:5]
	v_cmp_lt_i32_e64 s[4:5], v6, v62
	s_waitcnt vmcnt(0)
	v_cndmask_b32_e64 v9, 0, v9, s[4:5]
	buffer_store_dword v8, off, s[0:3], s32 offset:312 ; 4-byte Folded Spill
	s_nop 0
	buffer_store_dword v9, off, s[0:3], s32 offset:316 ; 4-byte Folded Spill
.LBB241_975:                            ;   in Loop: Header=BB241_818 Depth=1
	s_or_b64 exec, exec, s[26:27]
	flat_load_dword v6, v[4:5] offset:1536
	v_pk_mov_b32 v[10:11], 0, 0
	v_pk_mov_b32 v[8:9], v[10:11], v[10:11] op_sel:[0,1]
	s_waitcnt vmcnt(0) lgkmcnt(0)
	v_cmp_ne_u16_sdwa s[4:5], v6, v23 src0_sel:BYTE_0 src1_sel:DWORD
	s_and_saveexec_b64 s[26:27], s[4:5]
	s_cbranch_execz .LBB241_981
; %bb.976:                              ;   in Loop: Header=BB241_818 Depth=1
	v_bfrev_b32_e32 v8, 1
	v_cmp_ne_u16_sdwa s[4:5], v6, s7 src0_sel:BYTE_0 src1_sel:DWORD
	v_mov_b32_e32 v9, 0
	s_and_saveexec_b64 s[28:29], s[4:5]
	s_cbranch_execz .LBB241_980
; %bb.977:                              ;   in Loop: Header=BB241_818 Depth=1
	v_and_b32_e32 v7, 0x7f, v6
	v_mov_b32_e32 v8, 0x7f800001
	v_cmp_ne_u32_e64 s[4:5], s15, v7
	v_mov_b32_e32 v9, 0
	s_and_saveexec_b64 s[30:31], s[4:5]
	s_cbranch_execz .LBB241_979
; %bb.978:                              ;   in Loop: Header=BB241_818 Depth=1
	v_and_b32_e32 v12, 7, v6
	v_lshrrev_b32_e32 v13, 3, v7
	v_cmp_gt_u32_e64 s[4:5], 8, v7
	v_ffbh_u32_e32 v7, v12
	v_min_u32_e32 v7, 32, v7
	v_subrev_u32_e32 v8, 28, v7
	v_lshlrev_b64 v[8:9], v8, v[6:7]
	v_sub_u32_e32 v7, 29, v7
	v_and_b32_e32 v8, 7, v8
	v_cndmask_b32_e64 v7, v13, v7, s[4:5]
	v_cndmask_b32_e64 v8, v12, v8, s[4:5]
	v_bfrev_b32_e32 v12, 60
	v_lshlrev_b32_e32 v8, 20, v8
	v_and_b32_sdwa v9, sext(v6), s13 dst_sel:DWORD dst_unused:UNUSED_PAD src0_sel:BYTE_0 src1_sel:DWORD
	v_lshl_add_u32 v7, v7, 23, v12
	v_or3_b32 v22, v9, v7, v8
	v_pk_mov_b32 v[8:9], v[22:23], v[22:23] op_sel:[0,1]
.LBB241_979:                            ;   in Loop: Header=BB241_818 Depth=1
	s_or_b64 exec, exec, s[30:31]
.LBB241_980:                            ;   in Loop: Header=BB241_818 Depth=1
	s_or_b64 exec, exec, s[28:29]
.LBB241_981:                            ;   in Loop: Header=BB241_818 Depth=1
	s_or_b64 exec, exec, s[26:27]
	v_cmp_ne_u16_sdwa s[4:5], v6, v23 src0_sel:BYTE_1 src1_sel:DWORD
	s_and_saveexec_b64 s[26:27], s[4:5]
	s_cbranch_execz .LBB241_987
; %bb.982:                              ;   in Loop: Header=BB241_818 Depth=1
	v_cmp_ne_u16_sdwa s[4:5], v6, s7 src0_sel:BYTE_1 src1_sel:DWORD
	v_pk_mov_b32 v[10:11], s[12:13], s[12:13] op_sel:[0,1]
	s_and_saveexec_b64 s[28:29], s[4:5]
	s_cbranch_execz .LBB241_986
; %bb.983:                              ;   in Loop: Header=BB241_818 Depth=1
	v_and_b32_sdwa v7, v6, s15 dst_sel:DWORD dst_unused:UNUSED_PAD src0_sel:BYTE_1 src1_sel:DWORD
	s_mov_b32 s22, s12
	v_cmp_ne_u32_e64 s[4:5], s15, v7
	v_pk_mov_b32 v[10:11], s[22:23], s[22:23] op_sel:[0,1]
	s_and_saveexec_b64 s[30:31], s[4:5]
	s_cbranch_execz .LBB241_985
; %bb.984:                              ;   in Loop: Header=BB241_818 Depth=1
	v_mov_b32_e32 v10, 7
	v_and_b32_sdwa v22, v6, v10 dst_sel:DWORD dst_unused:UNUSED_PAD src0_sel:BYTE_1 src1_sel:DWORD
	v_lshrrev_b32_e32 v12, 3, v7
	v_cmp_gt_u32_e64 s[4:5], 8, v7
	v_ffbh_u32_e32 v7, v22
	v_min_u32_e32 v7, 32, v7
	v_subrev_u32_e32 v10, 28, v7
	v_lshlrev_b64 v[10:11], v10, v[22:23]
	v_sub_u32_e32 v7, 29, v7
	v_and_b32_e32 v10, 7, v10
	v_cndmask_b32_e64 v7, v12, v7, s[4:5]
	v_bfrev_b32_e32 v12, 60
	v_cndmask_b32_e64 v10, v22, v10, s[4:5]
	v_lshlrev_b32_e32 v11, 16, v6
	v_lshl_add_u32 v7, v7, 23, v12
	v_and_or_b32 v7, v11, s13, v7
	v_lshlrev_b32_e32 v10, 20, v10
	v_or_b32_e32 v11, v7, v10
	v_mov_b32_e32 v10, v23
.LBB241_985:                            ;   in Loop: Header=BB241_818 Depth=1
	s_or_b64 exec, exec, s[30:31]
.LBB241_986:                            ;   in Loop: Header=BB241_818 Depth=1
	s_or_b64 exec, exec, s[28:29]
.LBB241_987:                            ;   in Loop: Header=BB241_818 Depth=1
	s_or_b64 exec, exec, s[26:27]
	v_lshrrev_b32_e32 v18, 16, v6
	v_pk_mov_b32 v[16:17], 0, 0
	v_cmp_ne_u16_sdwa s[4:5], v18, v23 src0_sel:BYTE_0 src1_sel:DWORD
	v_pk_mov_b32 v[12:13], v[16:17], v[16:17] op_sel:[0,1]
	s_and_saveexec_b64 s[26:27], s[4:5]
	s_cbranch_execz .LBB241_993
; %bb.988:                              ;   in Loop: Header=BB241_818 Depth=1
	v_bfrev_b32_e32 v12, 1
	v_cmp_ne_u16_sdwa s[4:5], v18, s7 src0_sel:BYTE_0 src1_sel:DWORD
	v_mov_b32_e32 v13, 0
	s_and_saveexec_b64 s[28:29], s[4:5]
	s_cbranch_execz .LBB241_992
; %bb.989:                              ;   in Loop: Header=BB241_818 Depth=1
	v_bfe_u32 v7, v6, 16, 7
	v_mov_b32_e32 v12, 0x7f800001
	v_cmp_ne_u32_e64 s[4:5], s15, v7
	v_mov_b32_e32 v13, 0
	s_and_saveexec_b64 s[30:31], s[4:5]
	s_cbranch_execz .LBB241_991
; %bb.990:                              ;   in Loop: Header=BB241_818 Depth=1
	v_and_b32_e32 v19, 7, v18
	v_lshrrev_b32_e32 v20, 3, v7
	v_cmp_gt_u32_e64 s[4:5], 8, v7
	v_ffbh_u32_e32 v7, v19
	v_min_u32_e32 v7, 32, v7
	v_subrev_u32_e32 v12, 28, v7
	v_lshlrev_b64 v[12:13], v12, v[18:19]
	v_sub_u32_e32 v7, 29, v7
	v_and_b32_e32 v12, 7, v12
	v_cndmask_b32_e64 v7, v20, v7, s[4:5]
	v_cndmask_b32_e64 v12, v19, v12, s[4:5]
	v_and_b32_sdwa v13, sext(v18), s13 dst_sel:DWORD dst_unused:UNUSED_PAD src0_sel:BYTE_0 src1_sel:DWORD
	v_bfrev_b32_e32 v18, 60
	v_lshlrev_b32_e32 v12, 20, v12
	v_lshl_add_u32 v7, v7, 23, v18
	v_or3_b32 v22, v13, v7, v12
	v_pk_mov_b32 v[12:13], v[22:23], v[22:23] op_sel:[0,1]
.LBB241_991:                            ;   in Loop: Header=BB241_818 Depth=1
	s_or_b64 exec, exec, s[30:31]
.LBB241_992:                            ;   in Loop: Header=BB241_818 Depth=1
	s_or_b64 exec, exec, s[28:29]
.LBB241_993:                            ;   in Loop: Header=BB241_818 Depth=1
	s_or_b64 exec, exec, s[26:27]
	v_cmp_lt_u32_e64 s[4:5], s34, v6
	s_and_saveexec_b64 s[26:27], s[4:5]
	s_cbranch_execz .LBB241_999
; %bb.994:                              ;   in Loop: Header=BB241_818 Depth=1
	v_cmp_ne_u32_sdwa s[4:5], v6, s7 src0_sel:BYTE_3 src1_sel:DWORD
	v_pk_mov_b32 v[16:17], s[12:13], s[12:13] op_sel:[0,1]
	s_and_saveexec_b64 s[28:29], s[4:5]
	s_cbranch_execz .LBB241_998
; %bb.995:                              ;   in Loop: Header=BB241_818 Depth=1
	v_bfe_u32 v7, v6, 24, 7
	s_mov_b32 s22, s12
	v_cmp_ne_u32_e64 s[4:5], s15, v7
	v_pk_mov_b32 v[16:17], s[22:23], s[22:23] op_sel:[0,1]
	s_and_saveexec_b64 s[30:31], s[4:5]
	s_cbranch_execz .LBB241_997
; %bb.996:                              ;   in Loop: Header=BB241_818 Depth=1
	v_mov_b32_e32 v16, 7
	v_and_b32_sdwa v22, v6, v16 dst_sel:DWORD dst_unused:UNUSED_PAD src0_sel:BYTE_3 src1_sel:DWORD
	v_lshrrev_b32_e32 v18, 3, v7
	v_cmp_gt_u32_e64 s[4:5], 8, v7
	v_ffbh_u32_e32 v7, v22
	v_min_u32_e32 v7, 32, v7
	v_subrev_u32_e32 v16, 28, v7
	v_lshlrev_b64 v[16:17], v16, v[22:23]
	v_sub_u32_e32 v7, 29, v7
	v_mov_b32_e32 v17, 24
	v_and_b32_e32 v16, 7, v16
	v_cndmask_b32_e64 v7, v18, v7, s[4:5]
	v_lshlrev_b32_sdwa v6, v17, v6 dst_sel:DWORD dst_unused:UNUSED_PAD src0_sel:DWORD src1_sel:BYTE_3
	v_bfrev_b32_e32 v17, 60
	v_cndmask_b32_e64 v16, v22, v16, s[4:5]
	v_lshl_add_u32 v7, v7, 23, v17
	v_and_or_b32 v6, v6, s13, v7
	v_lshlrev_b32_e32 v7, 20, v16
	v_or_b32_e32 v17, v6, v7
	v_mov_b32_e32 v16, v23
.LBB241_997:                            ;   in Loop: Header=BB241_818 Depth=1
	s_or_b64 exec, exec, s[30:31]
.LBB241_998:                            ;   in Loop: Header=BB241_818 Depth=1
	s_or_b64 exec, exec, s[28:29]
.LBB241_999:                            ;   in Loop: Header=BB241_818 Depth=1
	s_or_b64 exec, exec, s[26:27]
	v_or_b32_e32 v7, v11, v9
	v_or_b32_e32 v6, v10, v8
	v_pk_mul_f32 v[6:7], v[46:47], v[6:7]
	buffer_store_dword v6, off, s[0:3], s32 offset:320 ; 4-byte Folded Spill
	s_nop 0
	buffer_store_dword v7, off, s[0:3], s32 offset:324 ; 4-byte Folded Spill
	v_or_b32_e32 v7, v17, v13
	v_or_b32_e32 v6, v16, v12
	v_pk_mul_f32 v[6:7], v[46:47], v[6:7]
	buffer_store_dword v6, off, s[0:3], s32 offset:328 ; 4-byte Folded Spill
	s_nop 0
	buffer_store_dword v7, off, s[0:3], s32 offset:332 ; 4-byte Folded Spill
	s_and_saveexec_b64 s[26:27], vcc
	s_cbranch_execz .LBB241_1001
; %bb.1000:                             ;   in Loop: Header=BB241_818 Depth=1
	buffer_load_dword v8, off, s[0:3], s32 offset:320 ; 4-byte Folded Reload
	buffer_load_dword v9, off, s[0:3], s32 offset:324 ; 4-byte Folded Reload
	v_accvgpr_read_b32 v6, a17
	v_cmp_lt_i32_e64 s[4:5], v6, v62
	v_accvgpr_read_b32 v6, a5
	s_waitcnt vmcnt(1)
	v_cndmask_b32_e64 v8, 0, v8, s[4:5]
	v_cmp_lt_i32_e64 s[4:5], v6, v62
	s_waitcnt vmcnt(0)
	v_cndmask_b32_e64 v9, 0, v9, s[4:5]
	buffer_store_dword v8, off, s[0:3], s32 offset:320 ; 4-byte Folded Spill
	s_nop 0
	buffer_store_dword v9, off, s[0:3], s32 offset:324 ; 4-byte Folded Spill
	buffer_load_dword v8, off, s[0:3], s32 offset:328 ; 4-byte Folded Reload
	s_nop 0
	buffer_load_dword v9, off, s[0:3], s32 offset:332 ; 4-byte Folded Reload
	v_accvgpr_read_b32 v6, a41
	v_cmp_lt_i32_e64 s[4:5], v6, v62
	v_accvgpr_read_b32 v6, a1
	s_waitcnt vmcnt(1)
	v_cndmask_b32_e64 v8, 0, v8, s[4:5]
	v_cmp_lt_i32_e64 s[4:5], v6, v62
	s_waitcnt vmcnt(0)
	v_cndmask_b32_e64 v9, 0, v9, s[4:5]
	buffer_store_dword v8, off, s[0:3], s32 offset:328 ; 4-byte Folded Spill
	s_nop 0
	buffer_store_dword v9, off, s[0:3], s32 offset:332 ; 4-byte Folded Spill
.LBB241_1001:                           ;   in Loop: Header=BB241_818 Depth=1
	s_or_b64 exec, exec, s[26:27]
	flat_load_dword v6, v[4:5] offset:1792
	v_pk_mov_b32 v[10:11], 0, 0
	v_pk_mov_b32 v[8:9], v[10:11], v[10:11] op_sel:[0,1]
	s_waitcnt vmcnt(0) lgkmcnt(0)
	v_cmp_ne_u16_sdwa s[4:5], v6, v23 src0_sel:BYTE_0 src1_sel:DWORD
	s_and_saveexec_b64 s[26:27], s[4:5]
	s_cbranch_execz .LBB241_1007
; %bb.1002:                             ;   in Loop: Header=BB241_818 Depth=1
	v_bfrev_b32_e32 v8, 1
	v_cmp_ne_u16_sdwa s[4:5], v6, s7 src0_sel:BYTE_0 src1_sel:DWORD
	v_mov_b32_e32 v9, 0
	s_and_saveexec_b64 s[28:29], s[4:5]
	s_cbranch_execz .LBB241_1006
; %bb.1003:                             ;   in Loop: Header=BB241_818 Depth=1
	v_and_b32_e32 v7, 0x7f, v6
	v_mov_b32_e32 v8, 0x7f800001
	v_cmp_ne_u32_e64 s[4:5], s15, v7
	v_mov_b32_e32 v9, 0
	s_and_saveexec_b64 s[30:31], s[4:5]
	s_cbranch_execz .LBB241_1005
; %bb.1004:                             ;   in Loop: Header=BB241_818 Depth=1
	v_and_b32_e32 v12, 7, v6
	v_lshrrev_b32_e32 v13, 3, v7
	v_cmp_gt_u32_e64 s[4:5], 8, v7
	v_ffbh_u32_e32 v7, v12
	v_min_u32_e32 v7, 32, v7
	v_subrev_u32_e32 v8, 28, v7
	v_lshlrev_b64 v[8:9], v8, v[6:7]
	v_sub_u32_e32 v7, 29, v7
	v_and_b32_e32 v8, 7, v8
	v_cndmask_b32_e64 v7, v13, v7, s[4:5]
	v_cndmask_b32_e64 v8, v12, v8, s[4:5]
	v_bfrev_b32_e32 v12, 60
	v_lshlrev_b32_e32 v8, 20, v8
	v_and_b32_sdwa v9, sext(v6), s13 dst_sel:DWORD dst_unused:UNUSED_PAD src0_sel:BYTE_0 src1_sel:DWORD
	v_lshl_add_u32 v7, v7, 23, v12
	v_or3_b32 v22, v9, v7, v8
	v_pk_mov_b32 v[8:9], v[22:23], v[22:23] op_sel:[0,1]
.LBB241_1005:                           ;   in Loop: Header=BB241_818 Depth=1
	s_or_b64 exec, exec, s[30:31]
.LBB241_1006:                           ;   in Loop: Header=BB241_818 Depth=1
	s_or_b64 exec, exec, s[28:29]
.LBB241_1007:                           ;   in Loop: Header=BB241_818 Depth=1
	s_or_b64 exec, exec, s[26:27]
	v_cmp_ne_u16_sdwa s[4:5], v6, v23 src0_sel:BYTE_1 src1_sel:DWORD
	s_and_saveexec_b64 s[26:27], s[4:5]
	s_cbranch_execz .LBB241_1013
; %bb.1008:                             ;   in Loop: Header=BB241_818 Depth=1
	v_cmp_ne_u16_sdwa s[4:5], v6, s7 src0_sel:BYTE_1 src1_sel:DWORD
	v_pk_mov_b32 v[10:11], s[12:13], s[12:13] op_sel:[0,1]
	s_and_saveexec_b64 s[28:29], s[4:5]
	s_cbranch_execz .LBB241_1012
; %bb.1009:                             ;   in Loop: Header=BB241_818 Depth=1
	v_and_b32_sdwa v7, v6, s15 dst_sel:DWORD dst_unused:UNUSED_PAD src0_sel:BYTE_1 src1_sel:DWORD
	s_mov_b32 s22, s12
	v_cmp_ne_u32_e64 s[4:5], s15, v7
	v_pk_mov_b32 v[10:11], s[22:23], s[22:23] op_sel:[0,1]
	s_and_saveexec_b64 s[30:31], s[4:5]
	s_cbranch_execz .LBB241_1011
; %bb.1010:                             ;   in Loop: Header=BB241_818 Depth=1
	v_mov_b32_e32 v10, 7
	v_and_b32_sdwa v22, v6, v10 dst_sel:DWORD dst_unused:UNUSED_PAD src0_sel:BYTE_1 src1_sel:DWORD
	v_lshrrev_b32_e32 v12, 3, v7
	v_cmp_gt_u32_e64 s[4:5], 8, v7
	v_ffbh_u32_e32 v7, v22
	v_min_u32_e32 v7, 32, v7
	v_subrev_u32_e32 v10, 28, v7
	v_lshlrev_b64 v[10:11], v10, v[22:23]
	v_sub_u32_e32 v7, 29, v7
	v_and_b32_e32 v10, 7, v10
	v_cndmask_b32_e64 v7, v12, v7, s[4:5]
	v_bfrev_b32_e32 v12, 60
	v_cndmask_b32_e64 v10, v22, v10, s[4:5]
	v_lshlrev_b32_e32 v11, 16, v6
	v_lshl_add_u32 v7, v7, 23, v12
	v_and_or_b32 v7, v11, s13, v7
	v_lshlrev_b32_e32 v10, 20, v10
	v_or_b32_e32 v11, v7, v10
	v_mov_b32_e32 v10, v23
.LBB241_1011:                           ;   in Loop: Header=BB241_818 Depth=1
	s_or_b64 exec, exec, s[30:31]
.LBB241_1012:                           ;   in Loop: Header=BB241_818 Depth=1
	s_or_b64 exec, exec, s[28:29]
.LBB241_1013:                           ;   in Loop: Header=BB241_818 Depth=1
	s_or_b64 exec, exec, s[26:27]
	v_lshrrev_b32_e32 v18, 16, v6
	v_pk_mov_b32 v[16:17], 0, 0
	v_cmp_ne_u16_sdwa s[4:5], v18, v23 src0_sel:BYTE_0 src1_sel:DWORD
	v_pk_mov_b32 v[12:13], v[16:17], v[16:17] op_sel:[0,1]
	s_and_saveexec_b64 s[26:27], s[4:5]
	s_cbranch_execz .LBB241_1019
; %bb.1014:                             ;   in Loop: Header=BB241_818 Depth=1
	v_bfrev_b32_e32 v12, 1
	v_cmp_ne_u16_sdwa s[4:5], v18, s7 src0_sel:BYTE_0 src1_sel:DWORD
	v_mov_b32_e32 v13, 0
	s_and_saveexec_b64 s[28:29], s[4:5]
	s_cbranch_execz .LBB241_1018
; %bb.1015:                             ;   in Loop: Header=BB241_818 Depth=1
	v_bfe_u32 v7, v6, 16, 7
	v_mov_b32_e32 v12, 0x7f800001
	v_cmp_ne_u32_e64 s[4:5], s15, v7
	v_mov_b32_e32 v13, 0
	s_and_saveexec_b64 s[30:31], s[4:5]
	s_cbranch_execz .LBB241_1017
; %bb.1016:                             ;   in Loop: Header=BB241_818 Depth=1
	v_and_b32_e32 v19, 7, v18
	v_lshrrev_b32_e32 v20, 3, v7
	v_cmp_gt_u32_e64 s[4:5], 8, v7
	v_ffbh_u32_e32 v7, v19
	v_min_u32_e32 v7, 32, v7
	v_subrev_u32_e32 v12, 28, v7
	v_lshlrev_b64 v[12:13], v12, v[18:19]
	v_sub_u32_e32 v7, 29, v7
	v_and_b32_e32 v12, 7, v12
	v_cndmask_b32_e64 v7, v20, v7, s[4:5]
	v_cndmask_b32_e64 v12, v19, v12, s[4:5]
	v_and_b32_sdwa v13, sext(v18), s13 dst_sel:DWORD dst_unused:UNUSED_PAD src0_sel:BYTE_0 src1_sel:DWORD
	v_bfrev_b32_e32 v18, 60
	v_lshlrev_b32_e32 v12, 20, v12
	v_lshl_add_u32 v7, v7, 23, v18
	v_or3_b32 v22, v13, v7, v12
	v_pk_mov_b32 v[12:13], v[22:23], v[22:23] op_sel:[0,1]
.LBB241_1017:                           ;   in Loop: Header=BB241_818 Depth=1
	s_or_b64 exec, exec, s[30:31]
.LBB241_1018:                           ;   in Loop: Header=BB241_818 Depth=1
	s_or_b64 exec, exec, s[28:29]
.LBB241_1019:                           ;   in Loop: Header=BB241_818 Depth=1
	s_or_b64 exec, exec, s[26:27]
	v_cmp_lt_u32_e64 s[4:5], s34, v6
	s_and_saveexec_b64 s[26:27], s[4:5]
	s_cbranch_execz .LBB241_1025
; %bb.1020:                             ;   in Loop: Header=BB241_818 Depth=1
	v_cmp_ne_u32_sdwa s[4:5], v6, s7 src0_sel:BYTE_3 src1_sel:DWORD
	v_pk_mov_b32 v[16:17], s[12:13], s[12:13] op_sel:[0,1]
	s_and_saveexec_b64 s[28:29], s[4:5]
	s_cbranch_execz .LBB241_1024
; %bb.1021:                             ;   in Loop: Header=BB241_818 Depth=1
	v_bfe_u32 v7, v6, 24, 7
	s_mov_b32 s22, s12
	v_cmp_ne_u32_e64 s[4:5], s15, v7
	v_pk_mov_b32 v[16:17], s[22:23], s[22:23] op_sel:[0,1]
	s_and_saveexec_b64 s[30:31], s[4:5]
	s_cbranch_execz .LBB241_1023
; %bb.1022:                             ;   in Loop: Header=BB241_818 Depth=1
	v_mov_b32_e32 v16, 7
	v_and_b32_sdwa v22, v6, v16 dst_sel:DWORD dst_unused:UNUSED_PAD src0_sel:BYTE_3 src1_sel:DWORD
	v_lshrrev_b32_e32 v18, 3, v7
	v_cmp_gt_u32_e64 s[4:5], 8, v7
	v_ffbh_u32_e32 v7, v22
	v_min_u32_e32 v7, 32, v7
	v_subrev_u32_e32 v16, 28, v7
	v_lshlrev_b64 v[16:17], v16, v[22:23]
	v_sub_u32_e32 v7, 29, v7
	v_mov_b32_e32 v17, 24
	v_and_b32_e32 v16, 7, v16
	v_cndmask_b32_e64 v7, v18, v7, s[4:5]
	v_lshlrev_b32_sdwa v6, v17, v6 dst_sel:DWORD dst_unused:UNUSED_PAD src0_sel:DWORD src1_sel:BYTE_3
	v_bfrev_b32_e32 v17, 60
	v_cndmask_b32_e64 v16, v22, v16, s[4:5]
	v_lshl_add_u32 v7, v7, 23, v17
	v_and_or_b32 v6, v6, s13, v7
	v_lshlrev_b32_e32 v7, 20, v16
	v_or_b32_e32 v17, v6, v7
	v_mov_b32_e32 v16, v23
.LBB241_1023:                           ;   in Loop: Header=BB241_818 Depth=1
	s_or_b64 exec, exec, s[30:31]
.LBB241_1024:                           ;   in Loop: Header=BB241_818 Depth=1
	s_or_b64 exec, exec, s[28:29]
.LBB241_1025:                           ;   in Loop: Header=BB241_818 Depth=1
	s_or_b64 exec, exec, s[26:27]
	v_or_b32_e32 v7, v11, v9
	v_or_b32_e32 v6, v10, v8
	v_pk_mul_f32 v[6:7], v[46:47], v[6:7]
	buffer_store_dword v6, off, s[0:3], s32 offset:336 ; 4-byte Folded Spill
	s_nop 0
	buffer_store_dword v7, off, s[0:3], s32 offset:340 ; 4-byte Folded Spill
	v_or_b32_e32 v7, v17, v13
	v_or_b32_e32 v6, v16, v12
	v_pk_mul_f32 v[6:7], v[46:47], v[6:7]
	buffer_store_dword v6, off, s[0:3], s32 offset:344 ; 4-byte Folded Spill
	s_nop 0
	buffer_store_dword v7, off, s[0:3], s32 offset:348 ; 4-byte Folded Spill
	s_and_saveexec_b64 s[26:27], vcc
	s_cbranch_execz .LBB241_1027
; %bb.1026:                             ;   in Loop: Header=BB241_818 Depth=1
	buffer_load_dword v8, off, s[0:3], s32 offset:336 ; 4-byte Folded Reload
	buffer_load_dword v9, off, s[0:3], s32 offset:340 ; 4-byte Folded Reload
	v_accvgpr_read_b32 v6, a17
	v_cmp_lt_i32_e64 s[4:5], v6, v62
	v_accvgpr_read_b32 v6, a5
	s_waitcnt vmcnt(1)
	v_cndmask_b32_e64 v8, 0, v8, s[4:5]
	v_cmp_lt_i32_e64 s[4:5], v6, v62
	s_waitcnt vmcnt(0)
	v_cndmask_b32_e64 v9, 0, v9, s[4:5]
	buffer_store_dword v8, off, s[0:3], s32 offset:336 ; 4-byte Folded Spill
	s_nop 0
	buffer_store_dword v9, off, s[0:3], s32 offset:340 ; 4-byte Folded Spill
	buffer_load_dword v8, off, s[0:3], s32 offset:344 ; 4-byte Folded Reload
	s_nop 0
	buffer_load_dword v9, off, s[0:3], s32 offset:348 ; 4-byte Folded Reload
	v_accvgpr_read_b32 v6, a41
	v_cmp_lt_i32_e64 s[4:5], v6, v62
	v_accvgpr_read_b32 v6, a1
	s_waitcnt vmcnt(1)
	v_cndmask_b32_e64 v8, 0, v8, s[4:5]
	v_cmp_lt_i32_e64 s[4:5], v6, v62
	s_waitcnt vmcnt(0)
	v_cndmask_b32_e64 v9, 0, v9, s[4:5]
	buffer_store_dword v8, off, s[0:3], s32 offset:344 ; 4-byte Folded Spill
	s_nop 0
	buffer_store_dword v9, off, s[0:3], s32 offset:348 ; 4-byte Folded Spill
.LBB241_1027:                           ;   in Loop: Header=BB241_818 Depth=1
	s_or_b64 exec, exec, s[26:27]
	flat_load_dword v6, v[4:5] offset:2048
	v_pk_mov_b32 v[10:11], 0, 0
	v_pk_mov_b32 v[8:9], v[10:11], v[10:11] op_sel:[0,1]
	s_waitcnt vmcnt(0) lgkmcnt(0)
	v_cmp_ne_u16_sdwa s[4:5], v6, v23 src0_sel:BYTE_0 src1_sel:DWORD
	s_and_saveexec_b64 s[26:27], s[4:5]
	s_cbranch_execz .LBB241_1033
; %bb.1028:                             ;   in Loop: Header=BB241_818 Depth=1
	v_bfrev_b32_e32 v8, 1
	v_cmp_ne_u16_sdwa s[4:5], v6, s7 src0_sel:BYTE_0 src1_sel:DWORD
	v_mov_b32_e32 v9, 0
	s_and_saveexec_b64 s[28:29], s[4:5]
	s_cbranch_execz .LBB241_1032
; %bb.1029:                             ;   in Loop: Header=BB241_818 Depth=1
	v_and_b32_e32 v7, 0x7f, v6
	v_mov_b32_e32 v8, 0x7f800001
	v_cmp_ne_u32_e64 s[4:5], s15, v7
	v_mov_b32_e32 v9, 0
	s_and_saveexec_b64 s[30:31], s[4:5]
	s_cbranch_execz .LBB241_1031
; %bb.1030:                             ;   in Loop: Header=BB241_818 Depth=1
	v_and_b32_e32 v12, 7, v6
	v_lshrrev_b32_e32 v13, 3, v7
	v_cmp_gt_u32_e64 s[4:5], 8, v7
	v_ffbh_u32_e32 v7, v12
	v_min_u32_e32 v7, 32, v7
	v_subrev_u32_e32 v8, 28, v7
	v_lshlrev_b64 v[8:9], v8, v[6:7]
	v_sub_u32_e32 v7, 29, v7
	v_and_b32_e32 v8, 7, v8
	v_cndmask_b32_e64 v7, v13, v7, s[4:5]
	v_cndmask_b32_e64 v8, v12, v8, s[4:5]
	v_bfrev_b32_e32 v12, 60
	v_lshlrev_b32_e32 v8, 20, v8
	v_and_b32_sdwa v9, sext(v6), s13 dst_sel:DWORD dst_unused:UNUSED_PAD src0_sel:BYTE_0 src1_sel:DWORD
	v_lshl_add_u32 v7, v7, 23, v12
	v_or3_b32 v22, v9, v7, v8
	v_pk_mov_b32 v[8:9], v[22:23], v[22:23] op_sel:[0,1]
.LBB241_1031:                           ;   in Loop: Header=BB241_818 Depth=1
	s_or_b64 exec, exec, s[30:31]
.LBB241_1032:                           ;   in Loop: Header=BB241_818 Depth=1
	s_or_b64 exec, exec, s[28:29]
.LBB241_1033:                           ;   in Loop: Header=BB241_818 Depth=1
	s_or_b64 exec, exec, s[26:27]
	v_cmp_ne_u16_sdwa s[4:5], v6, v23 src0_sel:BYTE_1 src1_sel:DWORD
	s_and_saveexec_b64 s[26:27], s[4:5]
	s_cbranch_execz .LBB241_1039
; %bb.1034:                             ;   in Loop: Header=BB241_818 Depth=1
	v_cmp_ne_u16_sdwa s[4:5], v6, s7 src0_sel:BYTE_1 src1_sel:DWORD
	v_pk_mov_b32 v[10:11], s[12:13], s[12:13] op_sel:[0,1]
	s_and_saveexec_b64 s[28:29], s[4:5]
	s_cbranch_execz .LBB241_1038
; %bb.1035:                             ;   in Loop: Header=BB241_818 Depth=1
	v_and_b32_sdwa v7, v6, s15 dst_sel:DWORD dst_unused:UNUSED_PAD src0_sel:BYTE_1 src1_sel:DWORD
	s_mov_b32 s22, s12
	v_cmp_ne_u32_e64 s[4:5], s15, v7
	v_pk_mov_b32 v[10:11], s[22:23], s[22:23] op_sel:[0,1]
	s_and_saveexec_b64 s[30:31], s[4:5]
	s_cbranch_execz .LBB241_1037
; %bb.1036:                             ;   in Loop: Header=BB241_818 Depth=1
	v_mov_b32_e32 v10, 7
	v_and_b32_sdwa v22, v6, v10 dst_sel:DWORD dst_unused:UNUSED_PAD src0_sel:BYTE_1 src1_sel:DWORD
	v_lshrrev_b32_e32 v12, 3, v7
	v_cmp_gt_u32_e64 s[4:5], 8, v7
	v_ffbh_u32_e32 v7, v22
	v_min_u32_e32 v7, 32, v7
	v_subrev_u32_e32 v10, 28, v7
	v_lshlrev_b64 v[10:11], v10, v[22:23]
	v_sub_u32_e32 v7, 29, v7
	v_and_b32_e32 v10, 7, v10
	v_cndmask_b32_e64 v7, v12, v7, s[4:5]
	v_bfrev_b32_e32 v12, 60
	v_cndmask_b32_e64 v10, v22, v10, s[4:5]
	v_lshlrev_b32_e32 v11, 16, v6
	v_lshl_add_u32 v7, v7, 23, v12
	v_and_or_b32 v7, v11, s13, v7
	v_lshlrev_b32_e32 v10, 20, v10
	v_or_b32_e32 v11, v7, v10
	v_mov_b32_e32 v10, v23
.LBB241_1037:                           ;   in Loop: Header=BB241_818 Depth=1
	s_or_b64 exec, exec, s[30:31]
.LBB241_1038:                           ;   in Loop: Header=BB241_818 Depth=1
	s_or_b64 exec, exec, s[28:29]
.LBB241_1039:                           ;   in Loop: Header=BB241_818 Depth=1
	s_or_b64 exec, exec, s[26:27]
	v_lshrrev_b32_e32 v18, 16, v6
	v_pk_mov_b32 v[16:17], 0, 0
	v_cmp_ne_u16_sdwa s[4:5], v18, v23 src0_sel:BYTE_0 src1_sel:DWORD
	v_pk_mov_b32 v[12:13], v[16:17], v[16:17] op_sel:[0,1]
	s_and_saveexec_b64 s[26:27], s[4:5]
	s_cbranch_execz .LBB241_1045
; %bb.1040:                             ;   in Loop: Header=BB241_818 Depth=1
	v_bfrev_b32_e32 v12, 1
	v_cmp_ne_u16_sdwa s[4:5], v18, s7 src0_sel:BYTE_0 src1_sel:DWORD
	v_mov_b32_e32 v13, 0
	s_and_saveexec_b64 s[28:29], s[4:5]
	s_cbranch_execz .LBB241_1044
; %bb.1041:                             ;   in Loop: Header=BB241_818 Depth=1
	v_bfe_u32 v7, v6, 16, 7
	v_mov_b32_e32 v12, 0x7f800001
	v_cmp_ne_u32_e64 s[4:5], s15, v7
	v_mov_b32_e32 v13, 0
	s_and_saveexec_b64 s[30:31], s[4:5]
	s_cbranch_execz .LBB241_1043
; %bb.1042:                             ;   in Loop: Header=BB241_818 Depth=1
	v_and_b32_e32 v19, 7, v18
	v_lshrrev_b32_e32 v20, 3, v7
	v_cmp_gt_u32_e64 s[4:5], 8, v7
	v_ffbh_u32_e32 v7, v19
	v_min_u32_e32 v7, 32, v7
	v_subrev_u32_e32 v12, 28, v7
	v_lshlrev_b64 v[12:13], v12, v[18:19]
	v_sub_u32_e32 v7, 29, v7
	v_and_b32_e32 v12, 7, v12
	v_cndmask_b32_e64 v7, v20, v7, s[4:5]
	v_cndmask_b32_e64 v12, v19, v12, s[4:5]
	v_and_b32_sdwa v13, sext(v18), s13 dst_sel:DWORD dst_unused:UNUSED_PAD src0_sel:BYTE_0 src1_sel:DWORD
	v_bfrev_b32_e32 v18, 60
	v_lshlrev_b32_e32 v12, 20, v12
	v_lshl_add_u32 v7, v7, 23, v18
	v_or3_b32 v22, v13, v7, v12
	v_pk_mov_b32 v[12:13], v[22:23], v[22:23] op_sel:[0,1]
.LBB241_1043:                           ;   in Loop: Header=BB241_818 Depth=1
	s_or_b64 exec, exec, s[30:31]
.LBB241_1044:                           ;   in Loop: Header=BB241_818 Depth=1
	s_or_b64 exec, exec, s[28:29]
.LBB241_1045:                           ;   in Loop: Header=BB241_818 Depth=1
	s_or_b64 exec, exec, s[26:27]
	v_cmp_lt_u32_e64 s[4:5], s34, v6
	s_and_saveexec_b64 s[26:27], s[4:5]
	s_cbranch_execz .LBB241_1051
; %bb.1046:                             ;   in Loop: Header=BB241_818 Depth=1
	v_cmp_ne_u32_sdwa s[4:5], v6, s7 src0_sel:BYTE_3 src1_sel:DWORD
	v_pk_mov_b32 v[16:17], s[12:13], s[12:13] op_sel:[0,1]
	s_and_saveexec_b64 s[28:29], s[4:5]
	s_cbranch_execz .LBB241_1050
; %bb.1047:                             ;   in Loop: Header=BB241_818 Depth=1
	v_bfe_u32 v7, v6, 24, 7
	s_mov_b32 s22, s12
	v_cmp_ne_u32_e64 s[4:5], s15, v7
	v_pk_mov_b32 v[16:17], s[22:23], s[22:23] op_sel:[0,1]
	s_and_saveexec_b64 s[30:31], s[4:5]
	s_cbranch_execz .LBB241_1049
; %bb.1048:                             ;   in Loop: Header=BB241_818 Depth=1
	v_mov_b32_e32 v16, 7
	v_and_b32_sdwa v22, v6, v16 dst_sel:DWORD dst_unused:UNUSED_PAD src0_sel:BYTE_3 src1_sel:DWORD
	v_lshrrev_b32_e32 v18, 3, v7
	v_cmp_gt_u32_e64 s[4:5], 8, v7
	v_ffbh_u32_e32 v7, v22
	v_min_u32_e32 v7, 32, v7
	v_subrev_u32_e32 v16, 28, v7
	v_lshlrev_b64 v[16:17], v16, v[22:23]
	v_sub_u32_e32 v7, 29, v7
	v_mov_b32_e32 v17, 24
	v_and_b32_e32 v16, 7, v16
	v_cndmask_b32_e64 v7, v18, v7, s[4:5]
	v_lshlrev_b32_sdwa v6, v17, v6 dst_sel:DWORD dst_unused:UNUSED_PAD src0_sel:DWORD src1_sel:BYTE_3
	v_bfrev_b32_e32 v17, 60
	v_cndmask_b32_e64 v16, v22, v16, s[4:5]
	v_lshl_add_u32 v7, v7, 23, v17
	v_and_or_b32 v6, v6, s13, v7
	v_lshlrev_b32_e32 v7, 20, v16
	v_or_b32_e32 v17, v6, v7
	v_mov_b32_e32 v16, v23
.LBB241_1049:                           ;   in Loop: Header=BB241_818 Depth=1
	s_or_b64 exec, exec, s[30:31]
.LBB241_1050:                           ;   in Loop: Header=BB241_818 Depth=1
	s_or_b64 exec, exec, s[28:29]
.LBB241_1051:                           ;   in Loop: Header=BB241_818 Depth=1
	s_or_b64 exec, exec, s[26:27]
	v_or_b32_e32 v7, v11, v9
	v_or_b32_e32 v6, v10, v8
	v_pk_mul_f32 v[6:7], v[46:47], v[6:7]
	buffer_store_dword v6, off, s[0:3], s32 offset:352 ; 4-byte Folded Spill
	s_nop 0
	buffer_store_dword v7, off, s[0:3], s32 offset:356 ; 4-byte Folded Spill
	v_or_b32_e32 v7, v17, v13
	v_or_b32_e32 v6, v16, v12
	v_pk_mul_f32 v[6:7], v[46:47], v[6:7]
	v_accvgpr_write_b32 a35, v7
	v_accvgpr_write_b32 a34, v6
	s_and_saveexec_b64 s[26:27], vcc
	s_cbranch_execz .LBB241_1053
; %bb.1052:                             ;   in Loop: Header=BB241_818 Depth=1
	buffer_load_dword v8, off, s[0:3], s32 offset:352 ; 4-byte Folded Reload
	buffer_load_dword v9, off, s[0:3], s32 offset:356 ; 4-byte Folded Reload
	v_accvgpr_read_b32 v6, a17
	v_cmp_lt_i32_e64 s[4:5], v6, v62
	v_accvgpr_read_b32 v6, a5
	s_waitcnt vmcnt(1)
	v_cndmask_b32_e64 v8, 0, v8, s[4:5]
	v_cmp_lt_i32_e64 s[4:5], v6, v62
	s_waitcnt vmcnt(0)
	v_cndmask_b32_e64 v9, 0, v9, s[4:5]
	buffer_store_dword v8, off, s[0:3], s32 offset:352 ; 4-byte Folded Spill
	s_nop 0
	buffer_store_dword v9, off, s[0:3], s32 offset:356 ; 4-byte Folded Spill
	v_accvgpr_read_b32 v6, a41
	v_cmp_lt_i32_e64 s[4:5], v6, v62
	v_accvgpr_read_b32 v8, a34
	v_accvgpr_read_b32 v6, a1
	;; [unrolled: 1-line block ×3, first 2 shown]
	v_cndmask_b32_e64 v8, 0, v8, s[4:5]
	v_cmp_lt_i32_e64 s[4:5], v6, v62
	v_cndmask_b32_e64 v9, 0, v9, s[4:5]
	v_accvgpr_write_b32 a35, v9
	v_accvgpr_write_b32 a34, v8
.LBB241_1053:                           ;   in Loop: Header=BB241_818 Depth=1
	s_or_b64 exec, exec, s[26:27]
	flat_load_dword v6, v[4:5] offset:2304
	v_pk_mov_b32 v[10:11], 0, 0
	v_pk_mov_b32 v[8:9], v[10:11], v[10:11] op_sel:[0,1]
	s_waitcnt vmcnt(0) lgkmcnt(0)
	v_cmp_ne_u16_sdwa s[4:5], v6, v23 src0_sel:BYTE_0 src1_sel:DWORD
	s_and_saveexec_b64 s[26:27], s[4:5]
	s_cbranch_execz .LBB241_1059
; %bb.1054:                             ;   in Loop: Header=BB241_818 Depth=1
	v_bfrev_b32_e32 v8, 1
	v_cmp_ne_u16_sdwa s[4:5], v6, s7 src0_sel:BYTE_0 src1_sel:DWORD
	v_mov_b32_e32 v9, 0
	s_and_saveexec_b64 s[28:29], s[4:5]
	s_cbranch_execz .LBB241_1058
; %bb.1055:                             ;   in Loop: Header=BB241_818 Depth=1
	v_and_b32_e32 v7, 0x7f, v6
	v_mov_b32_e32 v8, 0x7f800001
	v_cmp_ne_u32_e64 s[4:5], s15, v7
	v_mov_b32_e32 v9, 0
	s_and_saveexec_b64 s[30:31], s[4:5]
	s_cbranch_execz .LBB241_1057
; %bb.1056:                             ;   in Loop: Header=BB241_818 Depth=1
	v_and_b32_e32 v12, 7, v6
	v_lshrrev_b32_e32 v13, 3, v7
	v_cmp_gt_u32_e64 s[4:5], 8, v7
	v_ffbh_u32_e32 v7, v12
	v_min_u32_e32 v7, 32, v7
	v_subrev_u32_e32 v8, 28, v7
	v_lshlrev_b64 v[8:9], v8, v[6:7]
	v_sub_u32_e32 v7, 29, v7
	v_and_b32_e32 v8, 7, v8
	v_cndmask_b32_e64 v7, v13, v7, s[4:5]
	v_cndmask_b32_e64 v8, v12, v8, s[4:5]
	v_bfrev_b32_e32 v12, 60
	v_lshlrev_b32_e32 v8, 20, v8
	v_and_b32_sdwa v9, sext(v6), s13 dst_sel:DWORD dst_unused:UNUSED_PAD src0_sel:BYTE_0 src1_sel:DWORD
	v_lshl_add_u32 v7, v7, 23, v12
	v_or3_b32 v22, v9, v7, v8
	v_pk_mov_b32 v[8:9], v[22:23], v[22:23] op_sel:[0,1]
.LBB241_1057:                           ;   in Loop: Header=BB241_818 Depth=1
	s_or_b64 exec, exec, s[30:31]
.LBB241_1058:                           ;   in Loop: Header=BB241_818 Depth=1
	s_or_b64 exec, exec, s[28:29]
.LBB241_1059:                           ;   in Loop: Header=BB241_818 Depth=1
	s_or_b64 exec, exec, s[26:27]
	v_cmp_ne_u16_sdwa s[4:5], v6, v23 src0_sel:BYTE_1 src1_sel:DWORD
	s_and_saveexec_b64 s[26:27], s[4:5]
	s_cbranch_execz .LBB241_1065
; %bb.1060:                             ;   in Loop: Header=BB241_818 Depth=1
	v_cmp_ne_u16_sdwa s[4:5], v6, s7 src0_sel:BYTE_1 src1_sel:DWORD
	v_pk_mov_b32 v[10:11], s[12:13], s[12:13] op_sel:[0,1]
	s_and_saveexec_b64 s[28:29], s[4:5]
	s_cbranch_execz .LBB241_1064
; %bb.1061:                             ;   in Loop: Header=BB241_818 Depth=1
	v_and_b32_sdwa v7, v6, s15 dst_sel:DWORD dst_unused:UNUSED_PAD src0_sel:BYTE_1 src1_sel:DWORD
	s_mov_b32 s22, s12
	v_cmp_ne_u32_e64 s[4:5], s15, v7
	v_pk_mov_b32 v[10:11], s[22:23], s[22:23] op_sel:[0,1]
	s_and_saveexec_b64 s[30:31], s[4:5]
	s_cbranch_execz .LBB241_1063
; %bb.1062:                             ;   in Loop: Header=BB241_818 Depth=1
	v_mov_b32_e32 v10, 7
	v_and_b32_sdwa v22, v6, v10 dst_sel:DWORD dst_unused:UNUSED_PAD src0_sel:BYTE_1 src1_sel:DWORD
	v_lshrrev_b32_e32 v12, 3, v7
	v_cmp_gt_u32_e64 s[4:5], 8, v7
	v_ffbh_u32_e32 v7, v22
	v_min_u32_e32 v7, 32, v7
	v_subrev_u32_e32 v10, 28, v7
	v_lshlrev_b64 v[10:11], v10, v[22:23]
	v_sub_u32_e32 v7, 29, v7
	v_and_b32_e32 v10, 7, v10
	v_cndmask_b32_e64 v7, v12, v7, s[4:5]
	v_bfrev_b32_e32 v12, 60
	v_cndmask_b32_e64 v10, v22, v10, s[4:5]
	v_lshlrev_b32_e32 v11, 16, v6
	v_lshl_add_u32 v7, v7, 23, v12
	v_and_or_b32 v7, v11, s13, v7
	v_lshlrev_b32_e32 v10, 20, v10
	v_or_b32_e32 v11, v7, v10
	v_mov_b32_e32 v10, v23
.LBB241_1063:                           ;   in Loop: Header=BB241_818 Depth=1
	s_or_b64 exec, exec, s[30:31]
.LBB241_1064:                           ;   in Loop: Header=BB241_818 Depth=1
	s_or_b64 exec, exec, s[28:29]
.LBB241_1065:                           ;   in Loop: Header=BB241_818 Depth=1
	s_or_b64 exec, exec, s[26:27]
	v_lshrrev_b32_e32 v18, 16, v6
	v_pk_mov_b32 v[16:17], 0, 0
	v_cmp_ne_u16_sdwa s[4:5], v18, v23 src0_sel:BYTE_0 src1_sel:DWORD
	v_pk_mov_b32 v[12:13], v[16:17], v[16:17] op_sel:[0,1]
	s_and_saveexec_b64 s[26:27], s[4:5]
	s_cbranch_execz .LBB241_1071
; %bb.1066:                             ;   in Loop: Header=BB241_818 Depth=1
	v_bfrev_b32_e32 v12, 1
	v_cmp_ne_u16_sdwa s[4:5], v18, s7 src0_sel:BYTE_0 src1_sel:DWORD
	v_mov_b32_e32 v13, 0
	s_and_saveexec_b64 s[28:29], s[4:5]
	s_cbranch_execz .LBB241_1070
; %bb.1067:                             ;   in Loop: Header=BB241_818 Depth=1
	v_bfe_u32 v7, v6, 16, 7
	v_mov_b32_e32 v12, 0x7f800001
	v_cmp_ne_u32_e64 s[4:5], s15, v7
	v_mov_b32_e32 v13, 0
	s_and_saveexec_b64 s[30:31], s[4:5]
	s_cbranch_execz .LBB241_1069
; %bb.1068:                             ;   in Loop: Header=BB241_818 Depth=1
	v_and_b32_e32 v19, 7, v18
	v_lshrrev_b32_e32 v20, 3, v7
	v_cmp_gt_u32_e64 s[4:5], 8, v7
	v_ffbh_u32_e32 v7, v19
	v_min_u32_e32 v7, 32, v7
	v_subrev_u32_e32 v12, 28, v7
	v_lshlrev_b64 v[12:13], v12, v[18:19]
	v_sub_u32_e32 v7, 29, v7
	v_and_b32_e32 v12, 7, v12
	v_cndmask_b32_e64 v7, v20, v7, s[4:5]
	v_cndmask_b32_e64 v12, v19, v12, s[4:5]
	v_and_b32_sdwa v13, sext(v18), s13 dst_sel:DWORD dst_unused:UNUSED_PAD src0_sel:BYTE_0 src1_sel:DWORD
	v_bfrev_b32_e32 v18, 60
	v_lshlrev_b32_e32 v12, 20, v12
	v_lshl_add_u32 v7, v7, 23, v18
	v_or3_b32 v22, v13, v7, v12
	v_pk_mov_b32 v[12:13], v[22:23], v[22:23] op_sel:[0,1]
.LBB241_1069:                           ;   in Loop: Header=BB241_818 Depth=1
	s_or_b64 exec, exec, s[30:31]
.LBB241_1070:                           ;   in Loop: Header=BB241_818 Depth=1
	s_or_b64 exec, exec, s[28:29]
.LBB241_1071:                           ;   in Loop: Header=BB241_818 Depth=1
	s_or_b64 exec, exec, s[26:27]
	v_cmp_lt_u32_e64 s[4:5], s34, v6
	s_and_saveexec_b64 s[26:27], s[4:5]
	s_cbranch_execz .LBB241_1077
; %bb.1072:                             ;   in Loop: Header=BB241_818 Depth=1
	v_cmp_ne_u32_sdwa s[4:5], v6, s7 src0_sel:BYTE_3 src1_sel:DWORD
	v_pk_mov_b32 v[16:17], s[12:13], s[12:13] op_sel:[0,1]
	s_and_saveexec_b64 s[28:29], s[4:5]
	s_cbranch_execz .LBB241_1076
; %bb.1073:                             ;   in Loop: Header=BB241_818 Depth=1
	v_bfe_u32 v7, v6, 24, 7
	s_mov_b32 s22, s12
	v_cmp_ne_u32_e64 s[4:5], s15, v7
	v_pk_mov_b32 v[16:17], s[22:23], s[22:23] op_sel:[0,1]
	s_and_saveexec_b64 s[30:31], s[4:5]
	s_cbranch_execz .LBB241_1075
; %bb.1074:                             ;   in Loop: Header=BB241_818 Depth=1
	v_mov_b32_e32 v16, 7
	v_and_b32_sdwa v22, v6, v16 dst_sel:DWORD dst_unused:UNUSED_PAD src0_sel:BYTE_3 src1_sel:DWORD
	v_lshrrev_b32_e32 v18, 3, v7
	v_cmp_gt_u32_e64 s[4:5], 8, v7
	v_ffbh_u32_e32 v7, v22
	v_min_u32_e32 v7, 32, v7
	v_subrev_u32_e32 v16, 28, v7
	v_lshlrev_b64 v[16:17], v16, v[22:23]
	v_sub_u32_e32 v7, 29, v7
	v_mov_b32_e32 v17, 24
	v_and_b32_e32 v16, 7, v16
	v_cndmask_b32_e64 v7, v18, v7, s[4:5]
	v_lshlrev_b32_sdwa v6, v17, v6 dst_sel:DWORD dst_unused:UNUSED_PAD src0_sel:DWORD src1_sel:BYTE_3
	v_bfrev_b32_e32 v17, 60
	v_cndmask_b32_e64 v16, v22, v16, s[4:5]
	v_lshl_add_u32 v7, v7, 23, v17
	v_and_or_b32 v6, v6, s13, v7
	v_lshlrev_b32_e32 v7, 20, v16
	v_or_b32_e32 v17, v6, v7
	v_mov_b32_e32 v16, v23
.LBB241_1075:                           ;   in Loop: Header=BB241_818 Depth=1
	s_or_b64 exec, exec, s[30:31]
.LBB241_1076:                           ;   in Loop: Header=BB241_818 Depth=1
	s_or_b64 exec, exec, s[28:29]
.LBB241_1077:                           ;   in Loop: Header=BB241_818 Depth=1
	s_or_b64 exec, exec, s[26:27]
	v_or_b32_e32 v7, v11, v9
	v_or_b32_e32 v6, v10, v8
	v_pk_mul_f32 v[6:7], v[46:47], v[6:7]
	v_accvgpr_write_b32 a37, v7
	v_accvgpr_write_b32 a36, v6
	v_or_b32_e32 v7, v17, v13
	v_or_b32_e32 v6, v16, v12
	v_pk_mul_f32 v[6:7], v[46:47], v[6:7]
	v_accvgpr_write_b32 a43, v7
	v_accvgpr_write_b32 a42, v6
	s_and_saveexec_b64 s[26:27], vcc
	s_cbranch_execz .LBB241_1079
; %bb.1078:                             ;   in Loop: Header=BB241_818 Depth=1
	v_accvgpr_read_b32 v6, a17
	v_cmp_lt_i32_e64 s[4:5], v6, v62
	v_accvgpr_read_b32 v8, a36
	v_accvgpr_read_b32 v6, a5
	v_accvgpr_read_b32 v9, a37
	v_cndmask_b32_e64 v8, 0, v8, s[4:5]
	v_cmp_lt_i32_e64 s[4:5], v6, v62
	v_cndmask_b32_e64 v9, 0, v9, s[4:5]
	v_accvgpr_write_b32 a37, v9
	v_accvgpr_read_b32 v6, a41
	v_accvgpr_write_b32 a36, v8
	v_cmp_lt_i32_e64 s[4:5], v6, v62
	v_accvgpr_read_b32 v8, a42
	v_accvgpr_read_b32 v6, a1
	;; [unrolled: 1-line block ×3, first 2 shown]
	v_cndmask_b32_e64 v8, 0, v8, s[4:5]
	v_cmp_lt_i32_e64 s[4:5], v6, v62
	v_cndmask_b32_e64 v9, 0, v9, s[4:5]
	v_accvgpr_write_b32 a43, v9
	v_accvgpr_write_b32 a42, v8
.LBB241_1079:                           ;   in Loop: Header=BB241_818 Depth=1
	s_or_b64 exec, exec, s[26:27]
	flat_load_dword v6, v[4:5] offset:2560
	v_pk_mov_b32 v[10:11], 0, 0
	v_pk_mov_b32 v[8:9], v[10:11], v[10:11] op_sel:[0,1]
	s_waitcnt vmcnt(0) lgkmcnt(0)
	v_cmp_ne_u16_sdwa s[4:5], v6, v23 src0_sel:BYTE_0 src1_sel:DWORD
	s_and_saveexec_b64 s[26:27], s[4:5]
	s_cbranch_execz .LBB241_1085
; %bb.1080:                             ;   in Loop: Header=BB241_818 Depth=1
	v_bfrev_b32_e32 v8, 1
	v_cmp_ne_u16_sdwa s[4:5], v6, s7 src0_sel:BYTE_0 src1_sel:DWORD
	v_mov_b32_e32 v9, 0
	s_and_saveexec_b64 s[28:29], s[4:5]
	s_cbranch_execz .LBB241_1084
; %bb.1081:                             ;   in Loop: Header=BB241_818 Depth=1
	v_and_b32_e32 v7, 0x7f, v6
	v_mov_b32_e32 v8, 0x7f800001
	v_cmp_ne_u32_e64 s[4:5], s15, v7
	v_mov_b32_e32 v9, 0
	s_and_saveexec_b64 s[30:31], s[4:5]
	s_cbranch_execz .LBB241_1083
; %bb.1082:                             ;   in Loop: Header=BB241_818 Depth=1
	v_and_b32_e32 v12, 7, v6
	v_lshrrev_b32_e32 v13, 3, v7
	v_cmp_gt_u32_e64 s[4:5], 8, v7
	v_ffbh_u32_e32 v7, v12
	v_min_u32_e32 v7, 32, v7
	v_subrev_u32_e32 v8, 28, v7
	v_lshlrev_b64 v[8:9], v8, v[6:7]
	v_sub_u32_e32 v7, 29, v7
	v_and_b32_e32 v8, 7, v8
	v_cndmask_b32_e64 v7, v13, v7, s[4:5]
	v_cndmask_b32_e64 v8, v12, v8, s[4:5]
	v_bfrev_b32_e32 v12, 60
	v_lshlrev_b32_e32 v8, 20, v8
	v_and_b32_sdwa v9, sext(v6), s13 dst_sel:DWORD dst_unused:UNUSED_PAD src0_sel:BYTE_0 src1_sel:DWORD
	v_lshl_add_u32 v7, v7, 23, v12
	v_or3_b32 v22, v9, v7, v8
	v_pk_mov_b32 v[8:9], v[22:23], v[22:23] op_sel:[0,1]
.LBB241_1083:                           ;   in Loop: Header=BB241_818 Depth=1
	s_or_b64 exec, exec, s[30:31]
.LBB241_1084:                           ;   in Loop: Header=BB241_818 Depth=1
	s_or_b64 exec, exec, s[28:29]
.LBB241_1085:                           ;   in Loop: Header=BB241_818 Depth=1
	s_or_b64 exec, exec, s[26:27]
	v_cmp_ne_u16_sdwa s[4:5], v6, v23 src0_sel:BYTE_1 src1_sel:DWORD
	s_and_saveexec_b64 s[26:27], s[4:5]
	s_cbranch_execz .LBB241_1091
; %bb.1086:                             ;   in Loop: Header=BB241_818 Depth=1
	v_cmp_ne_u16_sdwa s[4:5], v6, s7 src0_sel:BYTE_1 src1_sel:DWORD
	v_pk_mov_b32 v[10:11], s[12:13], s[12:13] op_sel:[0,1]
	s_and_saveexec_b64 s[28:29], s[4:5]
	s_cbranch_execz .LBB241_1090
; %bb.1087:                             ;   in Loop: Header=BB241_818 Depth=1
	v_and_b32_sdwa v7, v6, s15 dst_sel:DWORD dst_unused:UNUSED_PAD src0_sel:BYTE_1 src1_sel:DWORD
	s_mov_b32 s22, s12
	v_cmp_ne_u32_e64 s[4:5], s15, v7
	v_pk_mov_b32 v[10:11], s[22:23], s[22:23] op_sel:[0,1]
	s_and_saveexec_b64 s[30:31], s[4:5]
	s_cbranch_execz .LBB241_1089
; %bb.1088:                             ;   in Loop: Header=BB241_818 Depth=1
	v_mov_b32_e32 v10, 7
	v_and_b32_sdwa v22, v6, v10 dst_sel:DWORD dst_unused:UNUSED_PAD src0_sel:BYTE_1 src1_sel:DWORD
	v_lshrrev_b32_e32 v12, 3, v7
	v_cmp_gt_u32_e64 s[4:5], 8, v7
	v_ffbh_u32_e32 v7, v22
	v_min_u32_e32 v7, 32, v7
	v_subrev_u32_e32 v10, 28, v7
	v_lshlrev_b64 v[10:11], v10, v[22:23]
	v_sub_u32_e32 v7, 29, v7
	v_and_b32_e32 v10, 7, v10
	v_cndmask_b32_e64 v7, v12, v7, s[4:5]
	v_bfrev_b32_e32 v12, 60
	v_cndmask_b32_e64 v10, v22, v10, s[4:5]
	v_lshlrev_b32_e32 v11, 16, v6
	v_lshl_add_u32 v7, v7, 23, v12
	v_and_or_b32 v7, v11, s13, v7
	v_lshlrev_b32_e32 v10, 20, v10
	v_or_b32_e32 v11, v7, v10
	v_mov_b32_e32 v10, v23
.LBB241_1089:                           ;   in Loop: Header=BB241_818 Depth=1
	s_or_b64 exec, exec, s[30:31]
.LBB241_1090:                           ;   in Loop: Header=BB241_818 Depth=1
	s_or_b64 exec, exec, s[28:29]
.LBB241_1091:                           ;   in Loop: Header=BB241_818 Depth=1
	s_or_b64 exec, exec, s[26:27]
	v_lshrrev_b32_e32 v18, 16, v6
	v_pk_mov_b32 v[16:17], 0, 0
	v_cmp_ne_u16_sdwa s[4:5], v18, v23 src0_sel:BYTE_0 src1_sel:DWORD
	v_pk_mov_b32 v[12:13], v[16:17], v[16:17] op_sel:[0,1]
	s_and_saveexec_b64 s[26:27], s[4:5]
	s_cbranch_execz .LBB241_1097
; %bb.1092:                             ;   in Loop: Header=BB241_818 Depth=1
	v_bfrev_b32_e32 v12, 1
	v_cmp_ne_u16_sdwa s[4:5], v18, s7 src0_sel:BYTE_0 src1_sel:DWORD
	v_mov_b32_e32 v13, 0
	s_and_saveexec_b64 s[28:29], s[4:5]
	s_cbranch_execz .LBB241_1096
; %bb.1093:                             ;   in Loop: Header=BB241_818 Depth=1
	v_bfe_u32 v7, v6, 16, 7
	v_mov_b32_e32 v12, 0x7f800001
	v_cmp_ne_u32_e64 s[4:5], s15, v7
	v_mov_b32_e32 v13, 0
	s_and_saveexec_b64 s[30:31], s[4:5]
	s_cbranch_execz .LBB241_1095
; %bb.1094:                             ;   in Loop: Header=BB241_818 Depth=1
	v_and_b32_e32 v19, 7, v18
	v_lshrrev_b32_e32 v20, 3, v7
	v_cmp_gt_u32_e64 s[4:5], 8, v7
	v_ffbh_u32_e32 v7, v19
	v_min_u32_e32 v7, 32, v7
	v_subrev_u32_e32 v12, 28, v7
	v_lshlrev_b64 v[12:13], v12, v[18:19]
	v_sub_u32_e32 v7, 29, v7
	v_and_b32_e32 v12, 7, v12
	v_cndmask_b32_e64 v7, v20, v7, s[4:5]
	v_cndmask_b32_e64 v12, v19, v12, s[4:5]
	v_and_b32_sdwa v13, sext(v18), s13 dst_sel:DWORD dst_unused:UNUSED_PAD src0_sel:BYTE_0 src1_sel:DWORD
	v_bfrev_b32_e32 v18, 60
	v_lshlrev_b32_e32 v12, 20, v12
	v_lshl_add_u32 v7, v7, 23, v18
	v_or3_b32 v22, v13, v7, v12
	v_pk_mov_b32 v[12:13], v[22:23], v[22:23] op_sel:[0,1]
.LBB241_1095:                           ;   in Loop: Header=BB241_818 Depth=1
	s_or_b64 exec, exec, s[30:31]
.LBB241_1096:                           ;   in Loop: Header=BB241_818 Depth=1
	s_or_b64 exec, exec, s[28:29]
.LBB241_1097:                           ;   in Loop: Header=BB241_818 Depth=1
	s_or_b64 exec, exec, s[26:27]
	v_cmp_lt_u32_e64 s[4:5], s34, v6
	s_and_saveexec_b64 s[26:27], s[4:5]
	s_cbranch_execz .LBB241_1103
; %bb.1098:                             ;   in Loop: Header=BB241_818 Depth=1
	v_cmp_ne_u32_sdwa s[4:5], v6, s7 src0_sel:BYTE_3 src1_sel:DWORD
	v_pk_mov_b32 v[16:17], s[12:13], s[12:13] op_sel:[0,1]
	s_and_saveexec_b64 s[28:29], s[4:5]
	s_cbranch_execz .LBB241_1102
; %bb.1099:                             ;   in Loop: Header=BB241_818 Depth=1
	v_bfe_u32 v7, v6, 24, 7
	s_mov_b32 s22, s12
	v_cmp_ne_u32_e64 s[4:5], s15, v7
	v_pk_mov_b32 v[16:17], s[22:23], s[22:23] op_sel:[0,1]
	s_and_saveexec_b64 s[30:31], s[4:5]
	s_cbranch_execz .LBB241_1101
; %bb.1100:                             ;   in Loop: Header=BB241_818 Depth=1
	v_mov_b32_e32 v16, 7
	v_and_b32_sdwa v22, v6, v16 dst_sel:DWORD dst_unused:UNUSED_PAD src0_sel:BYTE_3 src1_sel:DWORD
	v_lshrrev_b32_e32 v18, 3, v7
	v_cmp_gt_u32_e64 s[4:5], 8, v7
	v_ffbh_u32_e32 v7, v22
	v_min_u32_e32 v7, 32, v7
	v_subrev_u32_e32 v16, 28, v7
	v_lshlrev_b64 v[16:17], v16, v[22:23]
	v_sub_u32_e32 v7, 29, v7
	v_mov_b32_e32 v17, 24
	v_and_b32_e32 v16, 7, v16
	v_cndmask_b32_e64 v7, v18, v7, s[4:5]
	v_lshlrev_b32_sdwa v6, v17, v6 dst_sel:DWORD dst_unused:UNUSED_PAD src0_sel:DWORD src1_sel:BYTE_3
	v_bfrev_b32_e32 v17, 60
	v_cndmask_b32_e64 v16, v22, v16, s[4:5]
	v_lshl_add_u32 v7, v7, 23, v17
	v_and_or_b32 v6, v6, s13, v7
	v_lshlrev_b32_e32 v7, 20, v16
	v_or_b32_e32 v17, v6, v7
	v_mov_b32_e32 v16, v23
.LBB241_1101:                           ;   in Loop: Header=BB241_818 Depth=1
	s_or_b64 exec, exec, s[30:31]
.LBB241_1102:                           ;   in Loop: Header=BB241_818 Depth=1
	s_or_b64 exec, exec, s[28:29]
.LBB241_1103:                           ;   in Loop: Header=BB241_818 Depth=1
	s_or_b64 exec, exec, s[26:27]
	v_or_b32_e32 v7, v11, v9
	v_or_b32_e32 v6, v10, v8
	v_pk_mul_f32 v[6:7], v[46:47], v[6:7]
	v_accvgpr_write_b32 a45, v7
	v_accvgpr_write_b32 a44, v6
	v_or_b32_e32 v7, v17, v13
	v_or_b32_e32 v6, v16, v12
	v_pk_mul_f32 v[6:7], v[46:47], v[6:7]
	v_accvgpr_write_b32 a47, v7
	v_accvgpr_write_b32 a46, v6
	s_and_saveexec_b64 s[26:27], vcc
	s_cbranch_execz .LBB241_1105
; %bb.1104:                             ;   in Loop: Header=BB241_818 Depth=1
	v_accvgpr_read_b32 v6, a17
	v_cmp_lt_i32_e64 s[4:5], v6, v62
	v_accvgpr_read_b32 v8, a44
	v_accvgpr_read_b32 v6, a5
	;; [unrolled: 1-line block ×3, first 2 shown]
	v_cndmask_b32_e64 v8, 0, v8, s[4:5]
	v_cmp_lt_i32_e64 s[4:5], v6, v62
	v_cndmask_b32_e64 v9, 0, v9, s[4:5]
	v_accvgpr_write_b32 a45, v9
	v_accvgpr_read_b32 v6, a41
	v_accvgpr_write_b32 a44, v8
	v_cmp_lt_i32_e64 s[4:5], v6, v62
	v_accvgpr_read_b32 v8, a46
	v_accvgpr_read_b32 v6, a1
	;; [unrolled: 1-line block ×3, first 2 shown]
	v_cndmask_b32_e64 v8, 0, v8, s[4:5]
	v_cmp_lt_i32_e64 s[4:5], v6, v62
	v_cndmask_b32_e64 v9, 0, v9, s[4:5]
	v_accvgpr_write_b32 a47, v9
	v_accvgpr_write_b32 a46, v8
.LBB241_1105:                           ;   in Loop: Header=BB241_818 Depth=1
	s_or_b64 exec, exec, s[26:27]
	flat_load_dword v6, v[4:5] offset:2816
	v_pk_mov_b32 v[10:11], 0, 0
	v_pk_mov_b32 v[8:9], v[10:11], v[10:11] op_sel:[0,1]
	s_waitcnt vmcnt(0) lgkmcnt(0)
	v_cmp_ne_u16_sdwa s[4:5], v6, v23 src0_sel:BYTE_0 src1_sel:DWORD
	s_and_saveexec_b64 s[26:27], s[4:5]
	s_cbranch_execz .LBB241_1111
; %bb.1106:                             ;   in Loop: Header=BB241_818 Depth=1
	v_bfrev_b32_e32 v8, 1
	v_cmp_ne_u16_sdwa s[4:5], v6, s7 src0_sel:BYTE_0 src1_sel:DWORD
	v_mov_b32_e32 v9, 0
	s_and_saveexec_b64 s[28:29], s[4:5]
	s_cbranch_execz .LBB241_1110
; %bb.1107:                             ;   in Loop: Header=BB241_818 Depth=1
	v_and_b32_e32 v7, 0x7f, v6
	v_mov_b32_e32 v8, 0x7f800001
	v_cmp_ne_u32_e64 s[4:5], s15, v7
	v_mov_b32_e32 v9, 0
	s_and_saveexec_b64 s[30:31], s[4:5]
	s_cbranch_execz .LBB241_1109
; %bb.1108:                             ;   in Loop: Header=BB241_818 Depth=1
	v_and_b32_e32 v12, 7, v6
	v_lshrrev_b32_e32 v13, 3, v7
	v_cmp_gt_u32_e64 s[4:5], 8, v7
	v_ffbh_u32_e32 v7, v12
	v_min_u32_e32 v7, 32, v7
	v_subrev_u32_e32 v8, 28, v7
	v_lshlrev_b64 v[8:9], v8, v[6:7]
	v_sub_u32_e32 v7, 29, v7
	v_and_b32_e32 v8, 7, v8
	v_cndmask_b32_e64 v7, v13, v7, s[4:5]
	v_cndmask_b32_e64 v8, v12, v8, s[4:5]
	v_bfrev_b32_e32 v12, 60
	v_lshlrev_b32_e32 v8, 20, v8
	v_and_b32_sdwa v9, sext(v6), s13 dst_sel:DWORD dst_unused:UNUSED_PAD src0_sel:BYTE_0 src1_sel:DWORD
	v_lshl_add_u32 v7, v7, 23, v12
	v_or3_b32 v22, v9, v7, v8
	v_pk_mov_b32 v[8:9], v[22:23], v[22:23] op_sel:[0,1]
.LBB241_1109:                           ;   in Loop: Header=BB241_818 Depth=1
	s_or_b64 exec, exec, s[30:31]
.LBB241_1110:                           ;   in Loop: Header=BB241_818 Depth=1
	s_or_b64 exec, exec, s[28:29]
.LBB241_1111:                           ;   in Loop: Header=BB241_818 Depth=1
	s_or_b64 exec, exec, s[26:27]
	v_cmp_ne_u16_sdwa s[4:5], v6, v23 src0_sel:BYTE_1 src1_sel:DWORD
	s_and_saveexec_b64 s[26:27], s[4:5]
	s_cbranch_execz .LBB241_1117
; %bb.1112:                             ;   in Loop: Header=BB241_818 Depth=1
	v_cmp_ne_u16_sdwa s[4:5], v6, s7 src0_sel:BYTE_1 src1_sel:DWORD
	v_pk_mov_b32 v[10:11], s[12:13], s[12:13] op_sel:[0,1]
	s_and_saveexec_b64 s[28:29], s[4:5]
	s_cbranch_execz .LBB241_1116
; %bb.1113:                             ;   in Loop: Header=BB241_818 Depth=1
	v_and_b32_sdwa v7, v6, s15 dst_sel:DWORD dst_unused:UNUSED_PAD src0_sel:BYTE_1 src1_sel:DWORD
	s_mov_b32 s22, s12
	v_cmp_ne_u32_e64 s[4:5], s15, v7
	v_pk_mov_b32 v[10:11], s[22:23], s[22:23] op_sel:[0,1]
	s_and_saveexec_b64 s[30:31], s[4:5]
	s_cbranch_execz .LBB241_1115
; %bb.1114:                             ;   in Loop: Header=BB241_818 Depth=1
	v_mov_b32_e32 v10, 7
	v_and_b32_sdwa v22, v6, v10 dst_sel:DWORD dst_unused:UNUSED_PAD src0_sel:BYTE_1 src1_sel:DWORD
	v_lshrrev_b32_e32 v12, 3, v7
	v_cmp_gt_u32_e64 s[4:5], 8, v7
	v_ffbh_u32_e32 v7, v22
	v_min_u32_e32 v7, 32, v7
	v_subrev_u32_e32 v10, 28, v7
	v_lshlrev_b64 v[10:11], v10, v[22:23]
	v_sub_u32_e32 v7, 29, v7
	v_and_b32_e32 v10, 7, v10
	v_cndmask_b32_e64 v7, v12, v7, s[4:5]
	v_bfrev_b32_e32 v12, 60
	v_cndmask_b32_e64 v10, v22, v10, s[4:5]
	v_lshlrev_b32_e32 v11, 16, v6
	v_lshl_add_u32 v7, v7, 23, v12
	v_and_or_b32 v7, v11, s13, v7
	v_lshlrev_b32_e32 v10, 20, v10
	v_or_b32_e32 v11, v7, v10
	v_mov_b32_e32 v10, v23
.LBB241_1115:                           ;   in Loop: Header=BB241_818 Depth=1
	s_or_b64 exec, exec, s[30:31]
.LBB241_1116:                           ;   in Loop: Header=BB241_818 Depth=1
	s_or_b64 exec, exec, s[28:29]
.LBB241_1117:                           ;   in Loop: Header=BB241_818 Depth=1
	s_or_b64 exec, exec, s[26:27]
	v_lshrrev_b32_e32 v18, 16, v6
	v_pk_mov_b32 v[16:17], 0, 0
	v_cmp_ne_u16_sdwa s[4:5], v18, v23 src0_sel:BYTE_0 src1_sel:DWORD
	v_pk_mov_b32 v[12:13], v[16:17], v[16:17] op_sel:[0,1]
	s_and_saveexec_b64 s[26:27], s[4:5]
	s_cbranch_execz .LBB241_1123
; %bb.1118:                             ;   in Loop: Header=BB241_818 Depth=1
	v_bfrev_b32_e32 v12, 1
	v_cmp_ne_u16_sdwa s[4:5], v18, s7 src0_sel:BYTE_0 src1_sel:DWORD
	v_mov_b32_e32 v13, 0
	s_and_saveexec_b64 s[28:29], s[4:5]
	s_cbranch_execz .LBB241_1122
; %bb.1119:                             ;   in Loop: Header=BB241_818 Depth=1
	v_bfe_u32 v7, v6, 16, 7
	v_mov_b32_e32 v12, 0x7f800001
	v_cmp_ne_u32_e64 s[4:5], s15, v7
	v_mov_b32_e32 v13, 0
	s_and_saveexec_b64 s[30:31], s[4:5]
	s_cbranch_execz .LBB241_1121
; %bb.1120:                             ;   in Loop: Header=BB241_818 Depth=1
	v_and_b32_e32 v19, 7, v18
	v_lshrrev_b32_e32 v20, 3, v7
	v_cmp_gt_u32_e64 s[4:5], 8, v7
	v_ffbh_u32_e32 v7, v19
	v_min_u32_e32 v7, 32, v7
	v_subrev_u32_e32 v12, 28, v7
	v_lshlrev_b64 v[12:13], v12, v[18:19]
	v_sub_u32_e32 v7, 29, v7
	v_and_b32_e32 v12, 7, v12
	v_cndmask_b32_e64 v7, v20, v7, s[4:5]
	v_cndmask_b32_e64 v12, v19, v12, s[4:5]
	v_and_b32_sdwa v13, sext(v18), s13 dst_sel:DWORD dst_unused:UNUSED_PAD src0_sel:BYTE_0 src1_sel:DWORD
	v_bfrev_b32_e32 v18, 60
	v_lshlrev_b32_e32 v12, 20, v12
	v_lshl_add_u32 v7, v7, 23, v18
	v_or3_b32 v22, v13, v7, v12
	v_pk_mov_b32 v[12:13], v[22:23], v[22:23] op_sel:[0,1]
.LBB241_1121:                           ;   in Loop: Header=BB241_818 Depth=1
	s_or_b64 exec, exec, s[30:31]
.LBB241_1122:                           ;   in Loop: Header=BB241_818 Depth=1
	s_or_b64 exec, exec, s[28:29]
.LBB241_1123:                           ;   in Loop: Header=BB241_818 Depth=1
	s_or_b64 exec, exec, s[26:27]
	v_cmp_lt_u32_e64 s[4:5], s34, v6
	s_and_saveexec_b64 s[26:27], s[4:5]
	s_cbranch_execz .LBB241_1129
; %bb.1124:                             ;   in Loop: Header=BB241_818 Depth=1
	v_cmp_ne_u32_sdwa s[4:5], v6, s7 src0_sel:BYTE_3 src1_sel:DWORD
	v_pk_mov_b32 v[16:17], s[12:13], s[12:13] op_sel:[0,1]
	s_and_saveexec_b64 s[28:29], s[4:5]
	s_cbranch_execz .LBB241_1128
; %bb.1125:                             ;   in Loop: Header=BB241_818 Depth=1
	v_bfe_u32 v7, v6, 24, 7
	s_mov_b32 s22, s12
	v_cmp_ne_u32_e64 s[4:5], s15, v7
	v_pk_mov_b32 v[16:17], s[22:23], s[22:23] op_sel:[0,1]
	s_and_saveexec_b64 s[30:31], s[4:5]
	s_cbranch_execz .LBB241_1127
; %bb.1126:                             ;   in Loop: Header=BB241_818 Depth=1
	v_mov_b32_e32 v16, 7
	v_and_b32_sdwa v22, v6, v16 dst_sel:DWORD dst_unused:UNUSED_PAD src0_sel:BYTE_3 src1_sel:DWORD
	v_lshrrev_b32_e32 v18, 3, v7
	v_cmp_gt_u32_e64 s[4:5], 8, v7
	v_ffbh_u32_e32 v7, v22
	v_min_u32_e32 v7, 32, v7
	v_subrev_u32_e32 v16, 28, v7
	v_lshlrev_b64 v[16:17], v16, v[22:23]
	v_sub_u32_e32 v7, 29, v7
	v_mov_b32_e32 v17, 24
	v_and_b32_e32 v16, 7, v16
	v_cndmask_b32_e64 v7, v18, v7, s[4:5]
	v_lshlrev_b32_sdwa v6, v17, v6 dst_sel:DWORD dst_unused:UNUSED_PAD src0_sel:DWORD src1_sel:BYTE_3
	v_bfrev_b32_e32 v17, 60
	v_cndmask_b32_e64 v16, v22, v16, s[4:5]
	v_lshl_add_u32 v7, v7, 23, v17
	v_and_or_b32 v6, v6, s13, v7
	v_lshlrev_b32_e32 v7, 20, v16
	v_or_b32_e32 v17, v6, v7
	v_mov_b32_e32 v16, v23
.LBB241_1127:                           ;   in Loop: Header=BB241_818 Depth=1
	s_or_b64 exec, exec, s[30:31]
.LBB241_1128:                           ;   in Loop: Header=BB241_818 Depth=1
	s_or_b64 exec, exec, s[28:29]
.LBB241_1129:                           ;   in Loop: Header=BB241_818 Depth=1
	s_or_b64 exec, exec, s[26:27]
	v_or_b32_e32 v7, v11, v9
	v_or_b32_e32 v6, v10, v8
	v_pk_mul_f32 v[6:7], v[46:47], v[6:7]
	v_accvgpr_write_b32 a49, v7
	v_accvgpr_write_b32 a48, v6
	v_or_b32_e32 v7, v17, v13
	v_or_b32_e32 v6, v16, v12
	v_pk_mul_f32 v[6:7], v[46:47], v[6:7]
	v_accvgpr_write_b32 a51, v7
	v_accvgpr_write_b32 a50, v6
	s_and_saveexec_b64 s[26:27], vcc
	s_cbranch_execz .LBB241_1131
; %bb.1130:                             ;   in Loop: Header=BB241_818 Depth=1
	v_accvgpr_read_b32 v6, a17
	v_cmp_lt_i32_e64 s[4:5], v6, v62
	v_accvgpr_read_b32 v8, a48
	v_accvgpr_read_b32 v6, a5
	;; [unrolled: 1-line block ×3, first 2 shown]
	v_cndmask_b32_e64 v8, 0, v8, s[4:5]
	v_cmp_lt_i32_e64 s[4:5], v6, v62
	v_cndmask_b32_e64 v9, 0, v9, s[4:5]
	v_accvgpr_write_b32 a49, v9
	v_accvgpr_read_b32 v6, a41
	v_accvgpr_write_b32 a48, v8
	v_cmp_lt_i32_e64 s[4:5], v6, v62
	v_accvgpr_read_b32 v8, a50
	v_accvgpr_read_b32 v6, a1
	;; [unrolled: 1-line block ×3, first 2 shown]
	v_cndmask_b32_e64 v8, 0, v8, s[4:5]
	v_cmp_lt_i32_e64 s[4:5], v6, v62
	v_cndmask_b32_e64 v9, 0, v9, s[4:5]
	v_accvgpr_write_b32 a51, v9
	v_accvgpr_write_b32 a50, v8
.LBB241_1131:                           ;   in Loop: Header=BB241_818 Depth=1
	s_or_b64 exec, exec, s[26:27]
	flat_load_dword v6, v[4:5] offset:3072
	v_pk_mov_b32 v[10:11], 0, 0
	v_pk_mov_b32 v[8:9], v[10:11], v[10:11] op_sel:[0,1]
	s_waitcnt vmcnt(0) lgkmcnt(0)
	v_cmp_ne_u16_sdwa s[4:5], v6, v23 src0_sel:BYTE_0 src1_sel:DWORD
	s_and_saveexec_b64 s[26:27], s[4:5]
	s_cbranch_execz .LBB241_1137
; %bb.1132:                             ;   in Loop: Header=BB241_818 Depth=1
	v_bfrev_b32_e32 v8, 1
	v_cmp_ne_u16_sdwa s[4:5], v6, s7 src0_sel:BYTE_0 src1_sel:DWORD
	v_mov_b32_e32 v9, 0
	s_and_saveexec_b64 s[28:29], s[4:5]
	s_cbranch_execz .LBB241_1136
; %bb.1133:                             ;   in Loop: Header=BB241_818 Depth=1
	v_and_b32_e32 v7, 0x7f, v6
	v_mov_b32_e32 v8, 0x7f800001
	v_cmp_ne_u32_e64 s[4:5], s15, v7
	v_mov_b32_e32 v9, 0
	s_and_saveexec_b64 s[30:31], s[4:5]
	s_cbranch_execz .LBB241_1135
; %bb.1134:                             ;   in Loop: Header=BB241_818 Depth=1
	v_and_b32_e32 v12, 7, v6
	v_lshrrev_b32_e32 v13, 3, v7
	v_cmp_gt_u32_e64 s[4:5], 8, v7
	v_ffbh_u32_e32 v7, v12
	v_min_u32_e32 v7, 32, v7
	v_subrev_u32_e32 v8, 28, v7
	v_lshlrev_b64 v[8:9], v8, v[6:7]
	v_sub_u32_e32 v7, 29, v7
	v_and_b32_e32 v8, 7, v8
	v_cndmask_b32_e64 v7, v13, v7, s[4:5]
	v_cndmask_b32_e64 v8, v12, v8, s[4:5]
	v_bfrev_b32_e32 v12, 60
	v_lshlrev_b32_e32 v8, 20, v8
	v_and_b32_sdwa v9, sext(v6), s13 dst_sel:DWORD dst_unused:UNUSED_PAD src0_sel:BYTE_0 src1_sel:DWORD
	v_lshl_add_u32 v7, v7, 23, v12
	v_or3_b32 v22, v9, v7, v8
	v_pk_mov_b32 v[8:9], v[22:23], v[22:23] op_sel:[0,1]
.LBB241_1135:                           ;   in Loop: Header=BB241_818 Depth=1
	s_or_b64 exec, exec, s[30:31]
.LBB241_1136:                           ;   in Loop: Header=BB241_818 Depth=1
	s_or_b64 exec, exec, s[28:29]
.LBB241_1137:                           ;   in Loop: Header=BB241_818 Depth=1
	s_or_b64 exec, exec, s[26:27]
	v_cmp_ne_u16_sdwa s[4:5], v6, v23 src0_sel:BYTE_1 src1_sel:DWORD
	s_and_saveexec_b64 s[26:27], s[4:5]
	s_cbranch_execz .LBB241_1143
; %bb.1138:                             ;   in Loop: Header=BB241_818 Depth=1
	v_cmp_ne_u16_sdwa s[4:5], v6, s7 src0_sel:BYTE_1 src1_sel:DWORD
	v_pk_mov_b32 v[10:11], s[12:13], s[12:13] op_sel:[0,1]
	s_and_saveexec_b64 s[28:29], s[4:5]
	s_cbranch_execz .LBB241_1142
; %bb.1139:                             ;   in Loop: Header=BB241_818 Depth=1
	v_and_b32_sdwa v7, v6, s15 dst_sel:DWORD dst_unused:UNUSED_PAD src0_sel:BYTE_1 src1_sel:DWORD
	s_mov_b32 s22, s12
	v_cmp_ne_u32_e64 s[4:5], s15, v7
	v_pk_mov_b32 v[10:11], s[22:23], s[22:23] op_sel:[0,1]
	s_and_saveexec_b64 s[30:31], s[4:5]
	s_cbranch_execz .LBB241_1141
; %bb.1140:                             ;   in Loop: Header=BB241_818 Depth=1
	v_mov_b32_e32 v10, 7
	v_and_b32_sdwa v22, v6, v10 dst_sel:DWORD dst_unused:UNUSED_PAD src0_sel:BYTE_1 src1_sel:DWORD
	v_lshrrev_b32_e32 v12, 3, v7
	v_cmp_gt_u32_e64 s[4:5], 8, v7
	v_ffbh_u32_e32 v7, v22
	v_min_u32_e32 v7, 32, v7
	v_subrev_u32_e32 v10, 28, v7
	v_lshlrev_b64 v[10:11], v10, v[22:23]
	v_sub_u32_e32 v7, 29, v7
	v_and_b32_e32 v10, 7, v10
	v_cndmask_b32_e64 v7, v12, v7, s[4:5]
	v_bfrev_b32_e32 v12, 60
	v_cndmask_b32_e64 v10, v22, v10, s[4:5]
	v_lshlrev_b32_e32 v11, 16, v6
	v_lshl_add_u32 v7, v7, 23, v12
	v_and_or_b32 v7, v11, s13, v7
	v_lshlrev_b32_e32 v10, 20, v10
	v_or_b32_e32 v11, v7, v10
	v_mov_b32_e32 v10, v23
.LBB241_1141:                           ;   in Loop: Header=BB241_818 Depth=1
	s_or_b64 exec, exec, s[30:31]
.LBB241_1142:                           ;   in Loop: Header=BB241_818 Depth=1
	s_or_b64 exec, exec, s[28:29]
.LBB241_1143:                           ;   in Loop: Header=BB241_818 Depth=1
	s_or_b64 exec, exec, s[26:27]
	v_lshrrev_b32_e32 v18, 16, v6
	v_pk_mov_b32 v[16:17], 0, 0
	v_cmp_ne_u16_sdwa s[4:5], v18, v23 src0_sel:BYTE_0 src1_sel:DWORD
	v_pk_mov_b32 v[12:13], v[16:17], v[16:17] op_sel:[0,1]
	s_and_saveexec_b64 s[26:27], s[4:5]
	s_cbranch_execz .LBB241_1149
; %bb.1144:                             ;   in Loop: Header=BB241_818 Depth=1
	v_bfrev_b32_e32 v12, 1
	v_cmp_ne_u16_sdwa s[4:5], v18, s7 src0_sel:BYTE_0 src1_sel:DWORD
	v_mov_b32_e32 v13, 0
	s_and_saveexec_b64 s[28:29], s[4:5]
	s_cbranch_execz .LBB241_1148
; %bb.1145:                             ;   in Loop: Header=BB241_818 Depth=1
	v_bfe_u32 v7, v6, 16, 7
	v_mov_b32_e32 v12, 0x7f800001
	v_cmp_ne_u32_e64 s[4:5], s15, v7
	v_mov_b32_e32 v13, 0
	s_and_saveexec_b64 s[30:31], s[4:5]
	s_cbranch_execz .LBB241_1147
; %bb.1146:                             ;   in Loop: Header=BB241_818 Depth=1
	v_and_b32_e32 v19, 7, v18
	v_lshrrev_b32_e32 v20, 3, v7
	v_cmp_gt_u32_e64 s[4:5], 8, v7
	v_ffbh_u32_e32 v7, v19
	v_min_u32_e32 v7, 32, v7
	v_subrev_u32_e32 v12, 28, v7
	v_lshlrev_b64 v[12:13], v12, v[18:19]
	v_sub_u32_e32 v7, 29, v7
	v_and_b32_e32 v12, 7, v12
	v_cndmask_b32_e64 v7, v20, v7, s[4:5]
	v_cndmask_b32_e64 v12, v19, v12, s[4:5]
	v_and_b32_sdwa v13, sext(v18), s13 dst_sel:DWORD dst_unused:UNUSED_PAD src0_sel:BYTE_0 src1_sel:DWORD
	v_bfrev_b32_e32 v18, 60
	v_lshlrev_b32_e32 v12, 20, v12
	v_lshl_add_u32 v7, v7, 23, v18
	v_or3_b32 v22, v13, v7, v12
	v_pk_mov_b32 v[12:13], v[22:23], v[22:23] op_sel:[0,1]
.LBB241_1147:                           ;   in Loop: Header=BB241_818 Depth=1
	s_or_b64 exec, exec, s[30:31]
.LBB241_1148:                           ;   in Loop: Header=BB241_818 Depth=1
	s_or_b64 exec, exec, s[28:29]
.LBB241_1149:                           ;   in Loop: Header=BB241_818 Depth=1
	s_or_b64 exec, exec, s[26:27]
	v_cmp_lt_u32_e64 s[4:5], s34, v6
	s_and_saveexec_b64 s[26:27], s[4:5]
	s_cbranch_execz .LBB241_1155
; %bb.1150:                             ;   in Loop: Header=BB241_818 Depth=1
	v_cmp_ne_u32_sdwa s[4:5], v6, s7 src0_sel:BYTE_3 src1_sel:DWORD
	v_pk_mov_b32 v[16:17], s[12:13], s[12:13] op_sel:[0,1]
	s_and_saveexec_b64 s[28:29], s[4:5]
	s_cbranch_execz .LBB241_1154
; %bb.1151:                             ;   in Loop: Header=BB241_818 Depth=1
	v_bfe_u32 v7, v6, 24, 7
	s_mov_b32 s22, s12
	v_cmp_ne_u32_e64 s[4:5], s15, v7
	v_pk_mov_b32 v[16:17], s[22:23], s[22:23] op_sel:[0,1]
	s_and_saveexec_b64 s[30:31], s[4:5]
	s_cbranch_execz .LBB241_1153
; %bb.1152:                             ;   in Loop: Header=BB241_818 Depth=1
	v_mov_b32_e32 v16, 7
	v_and_b32_sdwa v22, v6, v16 dst_sel:DWORD dst_unused:UNUSED_PAD src0_sel:BYTE_3 src1_sel:DWORD
	v_lshrrev_b32_e32 v18, 3, v7
	v_cmp_gt_u32_e64 s[4:5], 8, v7
	v_ffbh_u32_e32 v7, v22
	v_min_u32_e32 v7, 32, v7
	v_subrev_u32_e32 v16, 28, v7
	v_lshlrev_b64 v[16:17], v16, v[22:23]
	v_sub_u32_e32 v7, 29, v7
	v_mov_b32_e32 v17, 24
	v_and_b32_e32 v16, 7, v16
	v_cndmask_b32_e64 v7, v18, v7, s[4:5]
	v_lshlrev_b32_sdwa v6, v17, v6 dst_sel:DWORD dst_unused:UNUSED_PAD src0_sel:DWORD src1_sel:BYTE_3
	v_bfrev_b32_e32 v17, 60
	v_cndmask_b32_e64 v16, v22, v16, s[4:5]
	v_lshl_add_u32 v7, v7, 23, v17
	v_and_or_b32 v6, v6, s13, v7
	v_lshlrev_b32_e32 v7, 20, v16
	v_or_b32_e32 v17, v6, v7
	v_mov_b32_e32 v16, v23
.LBB241_1153:                           ;   in Loop: Header=BB241_818 Depth=1
	s_or_b64 exec, exec, s[30:31]
.LBB241_1154:                           ;   in Loop: Header=BB241_818 Depth=1
	s_or_b64 exec, exec, s[28:29]
.LBB241_1155:                           ;   in Loop: Header=BB241_818 Depth=1
	s_or_b64 exec, exec, s[26:27]
	v_or_b32_e32 v7, v11, v9
	v_or_b32_e32 v6, v10, v8
	v_pk_mul_f32 v[6:7], v[46:47], v[6:7]
	v_accvgpr_write_b32 a53, v7
	v_accvgpr_write_b32 a52, v6
	v_or_b32_e32 v7, v17, v13
	v_or_b32_e32 v6, v16, v12
	v_pk_mul_f32 v[6:7], v[46:47], v[6:7]
	v_accvgpr_write_b32 a55, v7
	v_accvgpr_write_b32 a54, v6
	s_and_saveexec_b64 s[26:27], vcc
	s_cbranch_execz .LBB241_1157
; %bb.1156:                             ;   in Loop: Header=BB241_818 Depth=1
	v_accvgpr_read_b32 v6, a17
	v_cmp_lt_i32_e64 s[4:5], v6, v62
	v_accvgpr_read_b32 v8, a52
	v_accvgpr_read_b32 v6, a5
	;; [unrolled: 1-line block ×3, first 2 shown]
	v_cndmask_b32_e64 v8, 0, v8, s[4:5]
	v_cmp_lt_i32_e64 s[4:5], v6, v62
	v_cndmask_b32_e64 v9, 0, v9, s[4:5]
	v_accvgpr_write_b32 a53, v9
	v_accvgpr_read_b32 v6, a41
	v_accvgpr_write_b32 a52, v8
	v_cmp_lt_i32_e64 s[4:5], v6, v62
	v_accvgpr_read_b32 v8, a54
	v_accvgpr_read_b32 v6, a1
	v_accvgpr_read_b32 v9, a55
	v_cndmask_b32_e64 v8, 0, v8, s[4:5]
	v_cmp_lt_i32_e64 s[4:5], v6, v62
	v_cndmask_b32_e64 v9, 0, v9, s[4:5]
	v_accvgpr_write_b32 a55, v9
	v_accvgpr_write_b32 a54, v8
.LBB241_1157:                           ;   in Loop: Header=BB241_818 Depth=1
	s_or_b64 exec, exec, s[26:27]
	flat_load_dword v6, v[4:5] offset:3328
	v_pk_mov_b32 v[10:11], 0, 0
	v_pk_mov_b32 v[8:9], v[10:11], v[10:11] op_sel:[0,1]
	s_waitcnt vmcnt(0) lgkmcnt(0)
	v_cmp_ne_u16_sdwa s[4:5], v6, v23 src0_sel:BYTE_0 src1_sel:DWORD
	s_and_saveexec_b64 s[26:27], s[4:5]
	s_cbranch_execz .LBB241_1163
; %bb.1158:                             ;   in Loop: Header=BB241_818 Depth=1
	v_bfrev_b32_e32 v8, 1
	v_cmp_ne_u16_sdwa s[4:5], v6, s7 src0_sel:BYTE_0 src1_sel:DWORD
	v_mov_b32_e32 v9, 0
	s_and_saveexec_b64 s[28:29], s[4:5]
	s_cbranch_execz .LBB241_1162
; %bb.1159:                             ;   in Loop: Header=BB241_818 Depth=1
	v_and_b32_e32 v7, 0x7f, v6
	v_mov_b32_e32 v8, 0x7f800001
	v_cmp_ne_u32_e64 s[4:5], s15, v7
	v_mov_b32_e32 v9, 0
	s_and_saveexec_b64 s[30:31], s[4:5]
	s_cbranch_execz .LBB241_1161
; %bb.1160:                             ;   in Loop: Header=BB241_818 Depth=1
	v_and_b32_e32 v12, 7, v6
	v_lshrrev_b32_e32 v13, 3, v7
	v_cmp_gt_u32_e64 s[4:5], 8, v7
	v_ffbh_u32_e32 v7, v12
	v_min_u32_e32 v7, 32, v7
	v_subrev_u32_e32 v8, 28, v7
	v_lshlrev_b64 v[8:9], v8, v[6:7]
	v_sub_u32_e32 v7, 29, v7
	v_and_b32_e32 v8, 7, v8
	v_cndmask_b32_e64 v7, v13, v7, s[4:5]
	v_cndmask_b32_e64 v8, v12, v8, s[4:5]
	v_bfrev_b32_e32 v12, 60
	v_lshlrev_b32_e32 v8, 20, v8
	v_and_b32_sdwa v9, sext(v6), s13 dst_sel:DWORD dst_unused:UNUSED_PAD src0_sel:BYTE_0 src1_sel:DWORD
	v_lshl_add_u32 v7, v7, 23, v12
	v_or3_b32 v22, v9, v7, v8
	v_pk_mov_b32 v[8:9], v[22:23], v[22:23] op_sel:[0,1]
.LBB241_1161:                           ;   in Loop: Header=BB241_818 Depth=1
	s_or_b64 exec, exec, s[30:31]
.LBB241_1162:                           ;   in Loop: Header=BB241_818 Depth=1
	s_or_b64 exec, exec, s[28:29]
.LBB241_1163:                           ;   in Loop: Header=BB241_818 Depth=1
	s_or_b64 exec, exec, s[26:27]
	v_cmp_ne_u16_sdwa s[4:5], v6, v23 src0_sel:BYTE_1 src1_sel:DWORD
	s_and_saveexec_b64 s[26:27], s[4:5]
	s_cbranch_execz .LBB241_1169
; %bb.1164:                             ;   in Loop: Header=BB241_818 Depth=1
	v_cmp_ne_u16_sdwa s[4:5], v6, s7 src0_sel:BYTE_1 src1_sel:DWORD
	v_pk_mov_b32 v[10:11], s[12:13], s[12:13] op_sel:[0,1]
	s_and_saveexec_b64 s[28:29], s[4:5]
	s_cbranch_execz .LBB241_1168
; %bb.1165:                             ;   in Loop: Header=BB241_818 Depth=1
	v_and_b32_sdwa v7, v6, s15 dst_sel:DWORD dst_unused:UNUSED_PAD src0_sel:BYTE_1 src1_sel:DWORD
	s_mov_b32 s22, s12
	v_cmp_ne_u32_e64 s[4:5], s15, v7
	v_pk_mov_b32 v[10:11], s[22:23], s[22:23] op_sel:[0,1]
	s_and_saveexec_b64 s[30:31], s[4:5]
	s_cbranch_execz .LBB241_1167
; %bb.1166:                             ;   in Loop: Header=BB241_818 Depth=1
	v_mov_b32_e32 v10, 7
	v_and_b32_sdwa v22, v6, v10 dst_sel:DWORD dst_unused:UNUSED_PAD src0_sel:BYTE_1 src1_sel:DWORD
	v_lshrrev_b32_e32 v12, 3, v7
	v_cmp_gt_u32_e64 s[4:5], 8, v7
	v_ffbh_u32_e32 v7, v22
	v_min_u32_e32 v7, 32, v7
	v_subrev_u32_e32 v10, 28, v7
	v_lshlrev_b64 v[10:11], v10, v[22:23]
	v_sub_u32_e32 v7, 29, v7
	v_and_b32_e32 v10, 7, v10
	v_cndmask_b32_e64 v7, v12, v7, s[4:5]
	v_bfrev_b32_e32 v12, 60
	v_cndmask_b32_e64 v10, v22, v10, s[4:5]
	v_lshlrev_b32_e32 v11, 16, v6
	v_lshl_add_u32 v7, v7, 23, v12
	v_and_or_b32 v7, v11, s13, v7
	v_lshlrev_b32_e32 v10, 20, v10
	v_or_b32_e32 v11, v7, v10
	v_mov_b32_e32 v10, v23
.LBB241_1167:                           ;   in Loop: Header=BB241_818 Depth=1
	s_or_b64 exec, exec, s[30:31]
.LBB241_1168:                           ;   in Loop: Header=BB241_818 Depth=1
	s_or_b64 exec, exec, s[28:29]
.LBB241_1169:                           ;   in Loop: Header=BB241_818 Depth=1
	s_or_b64 exec, exec, s[26:27]
	v_lshrrev_b32_e32 v18, 16, v6
	v_pk_mov_b32 v[16:17], 0, 0
	v_cmp_ne_u16_sdwa s[4:5], v18, v23 src0_sel:BYTE_0 src1_sel:DWORD
	v_pk_mov_b32 v[12:13], v[16:17], v[16:17] op_sel:[0,1]
	s_and_saveexec_b64 s[26:27], s[4:5]
	s_cbranch_execz .LBB241_1175
; %bb.1170:                             ;   in Loop: Header=BB241_818 Depth=1
	v_bfrev_b32_e32 v12, 1
	v_cmp_ne_u16_sdwa s[4:5], v18, s7 src0_sel:BYTE_0 src1_sel:DWORD
	v_mov_b32_e32 v13, 0
	s_and_saveexec_b64 s[28:29], s[4:5]
	s_cbranch_execz .LBB241_1174
; %bb.1171:                             ;   in Loop: Header=BB241_818 Depth=1
	v_bfe_u32 v7, v6, 16, 7
	v_mov_b32_e32 v12, 0x7f800001
	v_cmp_ne_u32_e64 s[4:5], s15, v7
	v_mov_b32_e32 v13, 0
	s_and_saveexec_b64 s[30:31], s[4:5]
	s_cbranch_execz .LBB241_1173
; %bb.1172:                             ;   in Loop: Header=BB241_818 Depth=1
	v_and_b32_e32 v19, 7, v18
	v_lshrrev_b32_e32 v20, 3, v7
	v_cmp_gt_u32_e64 s[4:5], 8, v7
	v_ffbh_u32_e32 v7, v19
	v_min_u32_e32 v7, 32, v7
	v_subrev_u32_e32 v12, 28, v7
	v_lshlrev_b64 v[12:13], v12, v[18:19]
	v_sub_u32_e32 v7, 29, v7
	v_and_b32_e32 v12, 7, v12
	v_cndmask_b32_e64 v7, v20, v7, s[4:5]
	v_cndmask_b32_e64 v12, v19, v12, s[4:5]
	v_and_b32_sdwa v13, sext(v18), s13 dst_sel:DWORD dst_unused:UNUSED_PAD src0_sel:BYTE_0 src1_sel:DWORD
	v_bfrev_b32_e32 v18, 60
	v_lshlrev_b32_e32 v12, 20, v12
	v_lshl_add_u32 v7, v7, 23, v18
	v_or3_b32 v22, v13, v7, v12
	v_pk_mov_b32 v[12:13], v[22:23], v[22:23] op_sel:[0,1]
.LBB241_1173:                           ;   in Loop: Header=BB241_818 Depth=1
	s_or_b64 exec, exec, s[30:31]
.LBB241_1174:                           ;   in Loop: Header=BB241_818 Depth=1
	s_or_b64 exec, exec, s[28:29]
.LBB241_1175:                           ;   in Loop: Header=BB241_818 Depth=1
	s_or_b64 exec, exec, s[26:27]
	v_cmp_lt_u32_e64 s[4:5], s34, v6
	s_and_saveexec_b64 s[26:27], s[4:5]
	s_cbranch_execz .LBB241_1181
; %bb.1176:                             ;   in Loop: Header=BB241_818 Depth=1
	v_cmp_ne_u32_sdwa s[4:5], v6, s7 src0_sel:BYTE_3 src1_sel:DWORD
	v_pk_mov_b32 v[16:17], s[12:13], s[12:13] op_sel:[0,1]
	s_and_saveexec_b64 s[28:29], s[4:5]
	s_cbranch_execz .LBB241_1180
; %bb.1177:                             ;   in Loop: Header=BB241_818 Depth=1
	v_bfe_u32 v7, v6, 24, 7
	s_mov_b32 s22, s12
	v_cmp_ne_u32_e64 s[4:5], s15, v7
	v_pk_mov_b32 v[16:17], s[22:23], s[22:23] op_sel:[0,1]
	s_and_saveexec_b64 s[30:31], s[4:5]
	s_cbranch_execz .LBB241_1179
; %bb.1178:                             ;   in Loop: Header=BB241_818 Depth=1
	v_mov_b32_e32 v16, 7
	v_and_b32_sdwa v22, v6, v16 dst_sel:DWORD dst_unused:UNUSED_PAD src0_sel:BYTE_3 src1_sel:DWORD
	v_lshrrev_b32_e32 v18, 3, v7
	v_cmp_gt_u32_e64 s[4:5], 8, v7
	v_ffbh_u32_e32 v7, v22
	v_min_u32_e32 v7, 32, v7
	v_subrev_u32_e32 v16, 28, v7
	v_lshlrev_b64 v[16:17], v16, v[22:23]
	v_sub_u32_e32 v7, 29, v7
	v_mov_b32_e32 v17, 24
	v_and_b32_e32 v16, 7, v16
	v_cndmask_b32_e64 v7, v18, v7, s[4:5]
	v_lshlrev_b32_sdwa v6, v17, v6 dst_sel:DWORD dst_unused:UNUSED_PAD src0_sel:DWORD src1_sel:BYTE_3
	v_bfrev_b32_e32 v17, 60
	v_cndmask_b32_e64 v16, v22, v16, s[4:5]
	v_lshl_add_u32 v7, v7, 23, v17
	v_and_or_b32 v6, v6, s13, v7
	v_lshlrev_b32_e32 v7, 20, v16
	v_or_b32_e32 v17, v6, v7
	v_mov_b32_e32 v16, v23
.LBB241_1179:                           ;   in Loop: Header=BB241_818 Depth=1
	s_or_b64 exec, exec, s[30:31]
.LBB241_1180:                           ;   in Loop: Header=BB241_818 Depth=1
	s_or_b64 exec, exec, s[28:29]
.LBB241_1181:                           ;   in Loop: Header=BB241_818 Depth=1
	s_or_b64 exec, exec, s[26:27]
	v_or_b32_e32 v7, v11, v9
	v_or_b32_e32 v6, v10, v8
	v_pk_mul_f32 v[6:7], v[46:47], v[6:7]
	v_accvgpr_write_b32 a2, v6
	v_accvgpr_write_b32 a3, v7
	v_or_b32_e32 v7, v17, v13
	v_or_b32_e32 v6, v16, v12
	v_pk_mul_f32 v[6:7], v[46:47], v[6:7]
	v_accvgpr_write_b32 a11, v7
	v_accvgpr_write_b32 a10, v6
	s_and_saveexec_b64 s[26:27], vcc
	s_cbranch_execz .LBB241_1183
; %bb.1182:                             ;   in Loop: Header=BB241_818 Depth=1
	v_accvgpr_read_b32 v6, a17
	v_accvgpr_read_b32 v9, a3
	v_cmp_lt_i32_e64 s[4:5], v6, v62
	v_accvgpr_read_b32 v8, a2
	v_accvgpr_read_b32 v6, a5
	v_cndmask_b32_e64 v8, 0, v8, s[4:5]
	v_cmp_lt_i32_e64 s[4:5], v6, v62
	v_cndmask_b32_e64 v9, 0, v9, s[4:5]
	v_accvgpr_write_b32 a2, v8
	v_accvgpr_read_b32 v6, a41
	v_accvgpr_write_b32 a3, v9
	v_cmp_lt_i32_e64 s[4:5], v6, v62
	v_accvgpr_read_b32 v8, a10
	v_accvgpr_read_b32 v6, a1
	;; [unrolled: 1-line block ×3, first 2 shown]
	v_cndmask_b32_e64 v8, 0, v8, s[4:5]
	v_cmp_lt_i32_e64 s[4:5], v6, v62
	v_cndmask_b32_e64 v9, 0, v9, s[4:5]
	v_accvgpr_write_b32 a11, v9
	v_accvgpr_write_b32 a10, v8
.LBB241_1183:                           ;   in Loop: Header=BB241_818 Depth=1
	s_or_b64 exec, exec, s[26:27]
	flat_load_dword v4, v[4:5] offset:3584
	v_pk_mov_b32 v[8:9], 0, 0
	v_pk_mov_b32 v[6:7], v[8:9], v[8:9] op_sel:[0,1]
	s_waitcnt vmcnt(0) lgkmcnt(0)
	v_cmp_ne_u16_sdwa s[4:5], v4, v23 src0_sel:BYTE_0 src1_sel:DWORD
	s_and_saveexec_b64 s[26:27], s[4:5]
	s_cbranch_execz .LBB241_1189
; %bb.1184:                             ;   in Loop: Header=BB241_818 Depth=1
	v_bfrev_b32_e32 v6, 1
	v_cmp_ne_u16_sdwa s[4:5], v4, s7 src0_sel:BYTE_0 src1_sel:DWORD
	v_mov_b32_e32 v7, 0
	s_and_saveexec_b64 s[28:29], s[4:5]
	s_cbranch_execz .LBB241_1188
; %bb.1185:                             ;   in Loop: Header=BB241_818 Depth=1
	v_and_b32_e32 v5, 0x7f, v4
	v_mov_b32_e32 v6, 0x7f800001
	v_cmp_ne_u32_e64 s[4:5], s15, v5
	v_mov_b32_e32 v7, 0
	s_and_saveexec_b64 s[30:31], s[4:5]
	s_cbranch_execz .LBB241_1187
; %bb.1186:                             ;   in Loop: Header=BB241_818 Depth=1
	v_and_b32_e32 v10, 7, v4
	v_lshrrev_b32_e32 v11, 3, v5
	v_cmp_gt_u32_e64 s[4:5], 8, v5
	v_ffbh_u32_e32 v5, v10
	v_min_u32_e32 v5, 32, v5
	v_subrev_u32_e32 v6, 28, v5
	v_lshlrev_b64 v[6:7], v6, v[4:5]
	v_sub_u32_e32 v5, 29, v5
	v_and_b32_e32 v6, 7, v6
	v_cndmask_b32_e64 v5, v11, v5, s[4:5]
	v_cndmask_b32_e64 v6, v10, v6, s[4:5]
	v_bfrev_b32_e32 v10, 60
	v_lshlrev_b32_e32 v6, 20, v6
	v_and_b32_sdwa v7, sext(v4), s13 dst_sel:DWORD dst_unused:UNUSED_PAD src0_sel:BYTE_0 src1_sel:DWORD
	v_lshl_add_u32 v5, v5, 23, v10
	v_or3_b32 v22, v7, v5, v6
	v_pk_mov_b32 v[6:7], v[22:23], v[22:23] op_sel:[0,1]
.LBB241_1187:                           ;   in Loop: Header=BB241_818 Depth=1
	s_or_b64 exec, exec, s[30:31]
.LBB241_1188:                           ;   in Loop: Header=BB241_818 Depth=1
	s_or_b64 exec, exec, s[28:29]
.LBB241_1189:                           ;   in Loop: Header=BB241_818 Depth=1
	s_or_b64 exec, exec, s[26:27]
	v_cmp_ne_u16_sdwa s[4:5], v4, v23 src0_sel:BYTE_1 src1_sel:DWORD
	s_and_saveexec_b64 s[26:27], s[4:5]
	s_cbranch_execz .LBB241_1195
; %bb.1190:                             ;   in Loop: Header=BB241_818 Depth=1
	v_cmp_ne_u16_sdwa s[4:5], v4, s7 src0_sel:BYTE_1 src1_sel:DWORD
	v_pk_mov_b32 v[8:9], s[12:13], s[12:13] op_sel:[0,1]
	s_and_saveexec_b64 s[28:29], s[4:5]
	s_cbranch_execz .LBB241_1194
; %bb.1191:                             ;   in Loop: Header=BB241_818 Depth=1
	v_and_b32_sdwa v5, v4, s15 dst_sel:DWORD dst_unused:UNUSED_PAD src0_sel:BYTE_1 src1_sel:DWORD
	s_mov_b32 s22, s12
	v_cmp_ne_u32_e64 s[4:5], s15, v5
	v_pk_mov_b32 v[8:9], s[22:23], s[22:23] op_sel:[0,1]
	s_and_saveexec_b64 s[30:31], s[4:5]
	s_cbranch_execz .LBB241_1193
; %bb.1192:                             ;   in Loop: Header=BB241_818 Depth=1
	v_mov_b32_e32 v8, 7
	v_and_b32_sdwa v22, v4, v8 dst_sel:DWORD dst_unused:UNUSED_PAD src0_sel:BYTE_1 src1_sel:DWORD
	v_lshrrev_b32_e32 v10, 3, v5
	v_cmp_gt_u32_e64 s[4:5], 8, v5
	v_ffbh_u32_e32 v5, v22
	v_min_u32_e32 v5, 32, v5
	v_subrev_u32_e32 v8, 28, v5
	v_lshlrev_b64 v[8:9], v8, v[22:23]
	v_sub_u32_e32 v5, 29, v5
	v_and_b32_e32 v8, 7, v8
	v_cndmask_b32_e64 v5, v10, v5, s[4:5]
	v_bfrev_b32_e32 v10, 60
	v_cndmask_b32_e64 v8, v22, v8, s[4:5]
	v_lshlrev_b32_e32 v9, 16, v4
	v_lshl_add_u32 v5, v5, 23, v10
	v_and_or_b32 v5, v9, s13, v5
	v_lshlrev_b32_e32 v8, 20, v8
	v_or_b32_e32 v9, v5, v8
	v_mov_b32_e32 v8, v23
.LBB241_1193:                           ;   in Loop: Header=BB241_818 Depth=1
	s_or_b64 exec, exec, s[30:31]
.LBB241_1194:                           ;   in Loop: Header=BB241_818 Depth=1
	s_or_b64 exec, exec, s[28:29]
.LBB241_1195:                           ;   in Loop: Header=BB241_818 Depth=1
	s_or_b64 exec, exec, s[26:27]
	v_lshrrev_b32_e32 v16, 16, v4
	v_pk_mov_b32 v[12:13], 0, 0
	v_cmp_ne_u16_sdwa s[4:5], v16, v23 src0_sel:BYTE_0 src1_sel:DWORD
	v_pk_mov_b32 v[10:11], v[12:13], v[12:13] op_sel:[0,1]
	s_and_saveexec_b64 s[26:27], s[4:5]
	s_cbranch_execz .LBB241_1201
; %bb.1196:                             ;   in Loop: Header=BB241_818 Depth=1
	v_bfrev_b32_e32 v10, 1
	v_cmp_ne_u16_sdwa s[4:5], v16, s7 src0_sel:BYTE_0 src1_sel:DWORD
	v_mov_b32_e32 v11, 0
	s_and_saveexec_b64 s[28:29], s[4:5]
	s_cbranch_execz .LBB241_1200
; %bb.1197:                             ;   in Loop: Header=BB241_818 Depth=1
	v_bfe_u32 v5, v4, 16, 7
	v_mov_b32_e32 v10, 0x7f800001
	v_cmp_ne_u32_e64 s[4:5], s15, v5
	v_mov_b32_e32 v11, 0
	s_and_saveexec_b64 s[30:31], s[4:5]
	s_cbranch_execz .LBB241_1199
; %bb.1198:                             ;   in Loop: Header=BB241_818 Depth=1
	v_and_b32_e32 v17, 7, v16
	v_lshrrev_b32_e32 v18, 3, v5
	v_cmp_gt_u32_e64 s[4:5], 8, v5
	v_ffbh_u32_e32 v5, v17
	v_min_u32_e32 v5, 32, v5
	v_subrev_u32_e32 v10, 28, v5
	v_lshlrev_b64 v[10:11], v10, v[16:17]
	v_sub_u32_e32 v5, 29, v5
	v_and_b32_e32 v10, 7, v10
	v_cndmask_b32_e64 v5, v18, v5, s[4:5]
	v_cndmask_b32_e64 v10, v17, v10, s[4:5]
	v_and_b32_sdwa v11, sext(v16), s13 dst_sel:DWORD dst_unused:UNUSED_PAD src0_sel:BYTE_0 src1_sel:DWORD
	v_bfrev_b32_e32 v16, 60
	v_lshlrev_b32_e32 v10, 20, v10
	v_lshl_add_u32 v5, v5, 23, v16
	v_or3_b32 v22, v11, v5, v10
	v_pk_mov_b32 v[10:11], v[22:23], v[22:23] op_sel:[0,1]
.LBB241_1199:                           ;   in Loop: Header=BB241_818 Depth=1
	s_or_b64 exec, exec, s[30:31]
.LBB241_1200:                           ;   in Loop: Header=BB241_818 Depth=1
	s_or_b64 exec, exec, s[28:29]
.LBB241_1201:                           ;   in Loop: Header=BB241_818 Depth=1
	s_or_b64 exec, exec, s[26:27]
	v_cmp_lt_u32_e64 s[4:5], s34, v4
	s_and_saveexec_b64 s[26:27], s[4:5]
	s_cbranch_execz .LBB241_1207
; %bb.1202:                             ;   in Loop: Header=BB241_818 Depth=1
	v_cmp_ne_u32_sdwa s[4:5], v4, s7 src0_sel:BYTE_3 src1_sel:DWORD
	v_pk_mov_b32 v[12:13], s[12:13], s[12:13] op_sel:[0,1]
	s_and_saveexec_b64 s[28:29], s[4:5]
	s_cbranch_execz .LBB241_1206
; %bb.1203:                             ;   in Loop: Header=BB241_818 Depth=1
	v_bfe_u32 v5, v4, 24, 7
	s_mov_b32 s22, s12
	v_cmp_ne_u32_e64 s[4:5], s15, v5
	v_pk_mov_b32 v[12:13], s[22:23], s[22:23] op_sel:[0,1]
	s_and_saveexec_b64 s[30:31], s[4:5]
	s_cbranch_execz .LBB241_1205
; %bb.1204:                             ;   in Loop: Header=BB241_818 Depth=1
	v_mov_b32_e32 v12, 7
	v_and_b32_sdwa v22, v4, v12 dst_sel:DWORD dst_unused:UNUSED_PAD src0_sel:BYTE_3 src1_sel:DWORD
	v_lshrrev_b32_e32 v16, 3, v5
	v_cmp_gt_u32_e64 s[4:5], 8, v5
	v_ffbh_u32_e32 v5, v22
	v_min_u32_e32 v5, 32, v5
	v_subrev_u32_e32 v12, 28, v5
	v_lshlrev_b64 v[12:13], v12, v[22:23]
	v_sub_u32_e32 v5, 29, v5
	v_mov_b32_e32 v13, 24
	v_and_b32_e32 v12, 7, v12
	v_cndmask_b32_e64 v5, v16, v5, s[4:5]
	v_lshlrev_b32_sdwa v4, v13, v4 dst_sel:DWORD dst_unused:UNUSED_PAD src0_sel:DWORD src1_sel:BYTE_3
	v_bfrev_b32_e32 v13, 60
	v_cndmask_b32_e64 v12, v22, v12, s[4:5]
	v_lshl_add_u32 v5, v5, 23, v13
	v_and_or_b32 v4, v4, s13, v5
	v_lshlrev_b32_e32 v5, 20, v12
	v_or_b32_e32 v13, v4, v5
	v_mov_b32_e32 v12, v23
.LBB241_1205:                           ;   in Loop: Header=BB241_818 Depth=1
	s_or_b64 exec, exec, s[30:31]
.LBB241_1206:                           ;   in Loop: Header=BB241_818 Depth=1
	s_or_b64 exec, exec, s[28:29]
.LBB241_1207:                           ;   in Loop: Header=BB241_818 Depth=1
	s_or_b64 exec, exec, s[26:27]
	v_or_b32_e32 v5, v9, v7
	v_or_b32_e32 v4, v8, v6
	v_pk_mul_f32 v[4:5], v[46:47], v[4:5]
	v_accvgpr_write_b32 a57, v5
	v_accvgpr_write_b32 a56, v4
	v_or_b32_e32 v5, v13, v11
	v_or_b32_e32 v4, v12, v10
	v_pk_mul_f32 v[4:5], v[46:47], v[4:5]
	v_accvgpr_write_b32 a59, v5
	v_accvgpr_write_b32 a58, v4
	s_and_saveexec_b64 s[26:27], vcc
	s_cbranch_execz .LBB241_1209
; %bb.1208:                             ;   in Loop: Header=BB241_818 Depth=1
	v_accvgpr_read_b32 v4, a17
	v_cmp_lt_i32_e64 s[4:5], v4, v62
	v_accvgpr_read_b32 v6, a56
	v_accvgpr_read_b32 v4, a5
	;; [unrolled: 1-line block ×3, first 2 shown]
	v_cndmask_b32_e64 v6, 0, v6, s[4:5]
	v_cmp_lt_i32_e64 s[4:5], v4, v62
	v_cndmask_b32_e64 v7, 0, v7, s[4:5]
	v_accvgpr_write_b32 a57, v7
	v_accvgpr_read_b32 v4, a41
	v_accvgpr_write_b32 a56, v6
	v_cmp_lt_i32_e64 s[4:5], v4, v62
	v_accvgpr_read_b32 v6, a58
	v_accvgpr_read_b32 v4, a1
	;; [unrolled: 1-line block ×3, first 2 shown]
	v_cndmask_b32_e64 v6, 0, v6, s[4:5]
	v_cmp_lt_i32_e64 s[4:5], v4, v62
	v_cndmask_b32_e64 v7, 0, v7, s[4:5]
	v_accvgpr_write_b32 a59, v7
	v_accvgpr_write_b32 a58, v6
.LBB241_1209:                           ;   in Loop: Header=BB241_818 Depth=1
	s_or_b64 exec, exec, s[26:27]
	buffer_load_dword v4, off, s[0:3], s32 offset:512 ; 4-byte Folded Reload
	buffer_load_dword v5, off, s[0:3], s32 offset:516 ; 4-byte Folded Reload
	v_pk_mov_b32 v[8:9], 0, 0
	v_pk_mov_b32 v[6:7], v[8:9], v[8:9] op_sel:[0,1]
	s_waitcnt vmcnt(1)
	v_add_co_u32_e64 v4, s[4:5], v42, v4
	s_waitcnt vmcnt(0)
	v_addc_co_u32_e64 v5, s[4:5], 0, v43, s[4:5]
	flat_load_dword v4, v[4:5]
	s_waitcnt vmcnt(0) lgkmcnt(0)
	v_cmp_ne_u16_sdwa s[4:5], v4, v23 src0_sel:BYTE_0 src1_sel:DWORD
	s_and_saveexec_b64 s[26:27], s[4:5]
	s_cbranch_execz .LBB241_1215
; %bb.1210:                             ;   in Loop: Header=BB241_818 Depth=1
	v_bfrev_b32_e32 v6, 1
	v_cmp_ne_u16_sdwa s[4:5], v4, s7 src0_sel:BYTE_0 src1_sel:DWORD
	v_mov_b32_e32 v7, 0
	s_and_saveexec_b64 s[28:29], s[4:5]
	s_cbranch_execz .LBB241_1214
; %bb.1211:                             ;   in Loop: Header=BB241_818 Depth=1
	v_and_b32_e32 v5, 0x7f, v4
	v_mov_b32_e32 v6, 0x7f800001
	v_cmp_ne_u32_e64 s[4:5], s15, v5
	v_mov_b32_e32 v7, 0
	s_and_saveexec_b64 s[30:31], s[4:5]
	s_cbranch_execz .LBB241_1213
; %bb.1212:                             ;   in Loop: Header=BB241_818 Depth=1
	v_and_b32_e32 v10, 7, v4
	v_lshrrev_b32_e32 v11, 3, v5
	v_cmp_gt_u32_e64 s[4:5], 8, v5
	v_ffbh_u32_e32 v5, v10
	v_min_u32_e32 v5, 32, v5
	v_subrev_u32_e32 v6, 28, v5
	v_lshlrev_b64 v[6:7], v6, v[4:5]
	v_sub_u32_e32 v5, 29, v5
	v_and_b32_e32 v6, 7, v6
	v_cndmask_b32_e64 v5, v11, v5, s[4:5]
	v_cndmask_b32_e64 v6, v10, v6, s[4:5]
	v_bfrev_b32_e32 v10, 60
	v_lshlrev_b32_e32 v6, 20, v6
	v_and_b32_sdwa v7, sext(v4), s13 dst_sel:DWORD dst_unused:UNUSED_PAD src0_sel:BYTE_0 src1_sel:DWORD
	v_lshl_add_u32 v5, v5, 23, v10
	v_or3_b32 v22, v7, v5, v6
	v_pk_mov_b32 v[6:7], v[22:23], v[22:23] op_sel:[0,1]
.LBB241_1213:                           ;   in Loop: Header=BB241_818 Depth=1
	s_or_b64 exec, exec, s[30:31]
.LBB241_1214:                           ;   in Loop: Header=BB241_818 Depth=1
	s_or_b64 exec, exec, s[28:29]
.LBB241_1215:                           ;   in Loop: Header=BB241_818 Depth=1
	s_or_b64 exec, exec, s[26:27]
	v_cmp_ne_u16_sdwa s[4:5], v4, v23 src0_sel:BYTE_1 src1_sel:DWORD
	s_and_saveexec_b64 s[26:27], s[4:5]
	s_cbranch_execz .LBB241_1221
; %bb.1216:                             ;   in Loop: Header=BB241_818 Depth=1
	v_cmp_ne_u16_sdwa s[4:5], v4, s7 src0_sel:BYTE_1 src1_sel:DWORD
	v_pk_mov_b32 v[8:9], s[12:13], s[12:13] op_sel:[0,1]
	s_and_saveexec_b64 s[28:29], s[4:5]
	s_cbranch_execz .LBB241_1220
; %bb.1217:                             ;   in Loop: Header=BB241_818 Depth=1
	v_and_b32_sdwa v5, v4, s15 dst_sel:DWORD dst_unused:UNUSED_PAD src0_sel:BYTE_1 src1_sel:DWORD
	s_mov_b32 s22, s12
	v_cmp_ne_u32_e64 s[4:5], s15, v5
	v_pk_mov_b32 v[8:9], s[22:23], s[22:23] op_sel:[0,1]
	s_and_saveexec_b64 s[30:31], s[4:5]
	s_cbranch_execz .LBB241_1219
; %bb.1218:                             ;   in Loop: Header=BB241_818 Depth=1
	v_mov_b32_e32 v8, 7
	v_and_b32_sdwa v22, v4, v8 dst_sel:DWORD dst_unused:UNUSED_PAD src0_sel:BYTE_1 src1_sel:DWORD
	v_lshrrev_b32_e32 v10, 3, v5
	v_cmp_gt_u32_e64 s[4:5], 8, v5
	v_ffbh_u32_e32 v5, v22
	v_min_u32_e32 v5, 32, v5
	v_subrev_u32_e32 v8, 28, v5
	v_lshlrev_b64 v[8:9], v8, v[22:23]
	v_sub_u32_e32 v5, 29, v5
	v_and_b32_e32 v8, 7, v8
	v_cndmask_b32_e64 v5, v10, v5, s[4:5]
	v_bfrev_b32_e32 v10, 60
	v_cndmask_b32_e64 v8, v22, v8, s[4:5]
	v_lshlrev_b32_e32 v9, 16, v4
	v_lshl_add_u32 v5, v5, 23, v10
	v_and_or_b32 v5, v9, s13, v5
	v_lshlrev_b32_e32 v8, 20, v8
	v_or_b32_e32 v9, v5, v8
	v_mov_b32_e32 v8, v23
.LBB241_1219:                           ;   in Loop: Header=BB241_818 Depth=1
	s_or_b64 exec, exec, s[30:31]
.LBB241_1220:                           ;   in Loop: Header=BB241_818 Depth=1
	s_or_b64 exec, exec, s[28:29]
.LBB241_1221:                           ;   in Loop: Header=BB241_818 Depth=1
	s_or_b64 exec, exec, s[26:27]
	v_lshrrev_b32_e32 v16, 16, v4
	v_pk_mov_b32 v[12:13], 0, 0
	v_cmp_ne_u16_sdwa s[4:5], v16, v23 src0_sel:BYTE_0 src1_sel:DWORD
	v_pk_mov_b32 v[10:11], v[12:13], v[12:13] op_sel:[0,1]
	s_and_saveexec_b64 s[26:27], s[4:5]
	s_cbranch_execz .LBB241_1227
; %bb.1222:                             ;   in Loop: Header=BB241_818 Depth=1
	v_bfrev_b32_e32 v10, 1
	v_cmp_ne_u16_sdwa s[4:5], v16, s7 src0_sel:BYTE_0 src1_sel:DWORD
	v_mov_b32_e32 v11, 0
	s_and_saveexec_b64 s[28:29], s[4:5]
	s_cbranch_execz .LBB241_1226
; %bb.1223:                             ;   in Loop: Header=BB241_818 Depth=1
	v_bfe_u32 v5, v4, 16, 7
	v_mov_b32_e32 v10, 0x7f800001
	v_cmp_ne_u32_e64 s[4:5], s15, v5
	v_mov_b32_e32 v11, 0
	s_and_saveexec_b64 s[30:31], s[4:5]
	s_cbranch_execz .LBB241_1225
; %bb.1224:                             ;   in Loop: Header=BB241_818 Depth=1
	v_and_b32_e32 v17, 7, v16
	v_lshrrev_b32_e32 v18, 3, v5
	v_cmp_gt_u32_e64 s[4:5], 8, v5
	v_ffbh_u32_e32 v5, v17
	v_min_u32_e32 v5, 32, v5
	v_subrev_u32_e32 v10, 28, v5
	v_lshlrev_b64 v[10:11], v10, v[16:17]
	v_sub_u32_e32 v5, 29, v5
	v_and_b32_e32 v10, 7, v10
	v_cndmask_b32_e64 v5, v18, v5, s[4:5]
	v_cndmask_b32_e64 v10, v17, v10, s[4:5]
	v_and_b32_sdwa v11, sext(v16), s13 dst_sel:DWORD dst_unused:UNUSED_PAD src0_sel:BYTE_0 src1_sel:DWORD
	v_bfrev_b32_e32 v16, 60
	v_lshlrev_b32_e32 v10, 20, v10
	v_lshl_add_u32 v5, v5, 23, v16
	v_or3_b32 v22, v11, v5, v10
	v_pk_mov_b32 v[10:11], v[22:23], v[22:23] op_sel:[0,1]
.LBB241_1225:                           ;   in Loop: Header=BB241_818 Depth=1
	s_or_b64 exec, exec, s[30:31]
.LBB241_1226:                           ;   in Loop: Header=BB241_818 Depth=1
	s_or_b64 exec, exec, s[28:29]
.LBB241_1227:                           ;   in Loop: Header=BB241_818 Depth=1
	s_or_b64 exec, exec, s[26:27]
	v_cmp_lt_u32_e64 s[4:5], s34, v4
	s_and_saveexec_b64 s[26:27], s[4:5]
	s_cbranch_execz .LBB241_1233
; %bb.1228:                             ;   in Loop: Header=BB241_818 Depth=1
	v_cmp_ne_u32_sdwa s[4:5], v4, s7 src0_sel:BYTE_3 src1_sel:DWORD
	v_pk_mov_b32 v[12:13], s[12:13], s[12:13] op_sel:[0,1]
	s_and_saveexec_b64 s[28:29], s[4:5]
	s_cbranch_execz .LBB241_1232
; %bb.1229:                             ;   in Loop: Header=BB241_818 Depth=1
	v_bfe_u32 v5, v4, 24, 7
	s_mov_b32 s22, s12
	v_cmp_ne_u32_e64 s[4:5], s15, v5
	v_pk_mov_b32 v[12:13], s[22:23], s[22:23] op_sel:[0,1]
	s_and_saveexec_b64 s[30:31], s[4:5]
	s_cbranch_execz .LBB241_1231
; %bb.1230:                             ;   in Loop: Header=BB241_818 Depth=1
	v_mov_b32_e32 v12, 7
	v_and_b32_sdwa v22, v4, v12 dst_sel:DWORD dst_unused:UNUSED_PAD src0_sel:BYTE_3 src1_sel:DWORD
	v_lshrrev_b32_e32 v16, 3, v5
	v_cmp_gt_u32_e64 s[4:5], 8, v5
	v_ffbh_u32_e32 v5, v22
	v_min_u32_e32 v5, 32, v5
	v_subrev_u32_e32 v12, 28, v5
	v_lshlrev_b64 v[12:13], v12, v[22:23]
	v_sub_u32_e32 v5, 29, v5
	v_mov_b32_e32 v13, 24
	v_and_b32_e32 v12, 7, v12
	v_cndmask_b32_e64 v5, v16, v5, s[4:5]
	v_lshlrev_b32_sdwa v4, v13, v4 dst_sel:DWORD dst_unused:UNUSED_PAD src0_sel:DWORD src1_sel:BYTE_3
	v_bfrev_b32_e32 v13, 60
	v_cndmask_b32_e64 v12, v22, v12, s[4:5]
	v_lshl_add_u32 v5, v5, 23, v13
	v_and_or_b32 v4, v4, s13, v5
	v_lshlrev_b32_e32 v5, 20, v12
	v_or_b32_e32 v13, v4, v5
	v_mov_b32_e32 v12, v23
.LBB241_1231:                           ;   in Loop: Header=BB241_818 Depth=1
	s_or_b64 exec, exec, s[30:31]
.LBB241_1232:                           ;   in Loop: Header=BB241_818 Depth=1
	s_or_b64 exec, exec, s[28:29]
.LBB241_1233:                           ;   in Loop: Header=BB241_818 Depth=1
	s_or_b64 exec, exec, s[26:27]
	v_or_b32_e32 v5, v9, v7
	v_or_b32_e32 v4, v8, v6
	v_pk_mul_f32 v[4:5], v[46:47], v[4:5]
	v_accvgpr_write_b32 a61, v5
	v_accvgpr_write_b32 a60, v4
	v_or_b32_e32 v5, v13, v11
	v_or_b32_e32 v4, v12, v10
	v_pk_mul_f32 v[4:5], v[46:47], v[4:5]
	v_accvgpr_write_b32 a7, v5
	v_accvgpr_write_b32 a6, v4
	s_and_saveexec_b64 s[26:27], vcc
	s_cbranch_execz .LBB241_1235
; %bb.1234:                             ;   in Loop: Header=BB241_818 Depth=1
	v_accvgpr_read_b32 v4, a17
	v_cmp_lt_i32_e64 s[4:5], v4, v62
	v_accvgpr_read_b32 v6, a60
	v_accvgpr_read_b32 v4, a5
	;; [unrolled: 1-line block ×3, first 2 shown]
	v_cndmask_b32_e64 v6, 0, v6, s[4:5]
	v_cmp_lt_i32_e64 s[4:5], v4, v62
	v_cndmask_b32_e64 v7, 0, v7, s[4:5]
	v_accvgpr_write_b32 a61, v7
	v_accvgpr_read_b32 v4, a41
	v_accvgpr_write_b32 a60, v6
	v_cmp_lt_i32_e64 s[4:5], v4, v62
	v_accvgpr_read_b32 v6, a6
	v_accvgpr_read_b32 v4, a1
	;; [unrolled: 1-line block ×3, first 2 shown]
	v_cndmask_b32_e64 v6, 0, v6, s[4:5]
	v_cmp_lt_i32_e64 s[4:5], v4, v62
	v_cndmask_b32_e64 v7, 0, v7, s[4:5]
	v_accvgpr_write_b32 a6, v6
	v_accvgpr_write_b32 a7, v7
.LBB241_1235:                           ;   in Loop: Header=BB241_818 Depth=1
	s_or_b64 exec, exec, s[26:27]
	buffer_load_dword v4, off, s[0:3], s32 offset:520 ; 4-byte Folded Reload
	buffer_load_dword v5, off, s[0:3], s32 offset:524 ; 4-byte Folded Reload
	v_pk_mov_b32 v[8:9], 0, 0
	v_pk_mov_b32 v[6:7], v[8:9], v[8:9] op_sel:[0,1]
	s_waitcnt vmcnt(1)
	v_add_co_u32_e64 v4, s[4:5], v42, v4
	s_waitcnt vmcnt(0)
	v_addc_co_u32_e64 v5, s[4:5], 0, v43, s[4:5]
	flat_load_dword v4, v[4:5]
	s_waitcnt vmcnt(0) lgkmcnt(0)
	v_cmp_ne_u16_sdwa s[4:5], v4, v23 src0_sel:BYTE_0 src1_sel:DWORD
	s_and_saveexec_b64 s[26:27], s[4:5]
	s_cbranch_execz .LBB241_1241
; %bb.1236:                             ;   in Loop: Header=BB241_818 Depth=1
	v_bfrev_b32_e32 v6, 1
	v_cmp_ne_u16_sdwa s[4:5], v4, s7 src0_sel:BYTE_0 src1_sel:DWORD
	v_mov_b32_e32 v7, 0
	s_and_saveexec_b64 s[28:29], s[4:5]
	s_cbranch_execz .LBB241_1240
; %bb.1237:                             ;   in Loop: Header=BB241_818 Depth=1
	v_and_b32_e32 v5, 0x7f, v4
	v_mov_b32_e32 v6, 0x7f800001
	v_cmp_ne_u32_e64 s[4:5], s15, v5
	v_mov_b32_e32 v7, 0
	s_and_saveexec_b64 s[30:31], s[4:5]
	s_cbranch_execz .LBB241_1239
; %bb.1238:                             ;   in Loop: Header=BB241_818 Depth=1
	v_and_b32_e32 v10, 7, v4
	v_lshrrev_b32_e32 v11, 3, v5
	v_cmp_gt_u32_e64 s[4:5], 8, v5
	v_ffbh_u32_e32 v5, v10
	v_min_u32_e32 v5, 32, v5
	v_subrev_u32_e32 v6, 28, v5
	v_lshlrev_b64 v[6:7], v6, v[4:5]
	v_sub_u32_e32 v5, 29, v5
	v_and_b32_e32 v6, 7, v6
	v_cndmask_b32_e64 v5, v11, v5, s[4:5]
	v_cndmask_b32_e64 v6, v10, v6, s[4:5]
	v_bfrev_b32_e32 v10, 60
	v_lshlrev_b32_e32 v6, 20, v6
	v_and_b32_sdwa v7, sext(v4), s13 dst_sel:DWORD dst_unused:UNUSED_PAD src0_sel:BYTE_0 src1_sel:DWORD
	v_lshl_add_u32 v5, v5, 23, v10
	v_or3_b32 v22, v7, v5, v6
	v_pk_mov_b32 v[6:7], v[22:23], v[22:23] op_sel:[0,1]
.LBB241_1239:                           ;   in Loop: Header=BB241_818 Depth=1
	s_or_b64 exec, exec, s[30:31]
.LBB241_1240:                           ;   in Loop: Header=BB241_818 Depth=1
	s_or_b64 exec, exec, s[28:29]
.LBB241_1241:                           ;   in Loop: Header=BB241_818 Depth=1
	s_or_b64 exec, exec, s[26:27]
	v_cmp_ne_u16_sdwa s[4:5], v4, v23 src0_sel:BYTE_1 src1_sel:DWORD
	s_and_saveexec_b64 s[26:27], s[4:5]
	s_cbranch_execz .LBB241_1247
; %bb.1242:                             ;   in Loop: Header=BB241_818 Depth=1
	v_cmp_ne_u16_sdwa s[4:5], v4, s7 src0_sel:BYTE_1 src1_sel:DWORD
	v_pk_mov_b32 v[8:9], s[12:13], s[12:13] op_sel:[0,1]
	s_and_saveexec_b64 s[28:29], s[4:5]
	s_cbranch_execz .LBB241_1246
; %bb.1243:                             ;   in Loop: Header=BB241_818 Depth=1
	v_and_b32_sdwa v5, v4, s15 dst_sel:DWORD dst_unused:UNUSED_PAD src0_sel:BYTE_1 src1_sel:DWORD
	s_mov_b32 s22, s12
	v_cmp_ne_u32_e64 s[4:5], s15, v5
	v_pk_mov_b32 v[8:9], s[22:23], s[22:23] op_sel:[0,1]
	s_and_saveexec_b64 s[30:31], s[4:5]
	s_cbranch_execz .LBB241_1245
; %bb.1244:                             ;   in Loop: Header=BB241_818 Depth=1
	v_mov_b32_e32 v8, 7
	v_and_b32_sdwa v22, v4, v8 dst_sel:DWORD dst_unused:UNUSED_PAD src0_sel:BYTE_1 src1_sel:DWORD
	v_lshrrev_b32_e32 v10, 3, v5
	v_cmp_gt_u32_e64 s[4:5], 8, v5
	v_ffbh_u32_e32 v5, v22
	v_min_u32_e32 v5, 32, v5
	v_subrev_u32_e32 v8, 28, v5
	v_lshlrev_b64 v[8:9], v8, v[22:23]
	v_sub_u32_e32 v5, 29, v5
	v_and_b32_e32 v8, 7, v8
	v_cndmask_b32_e64 v5, v10, v5, s[4:5]
	v_bfrev_b32_e32 v10, 60
	v_cndmask_b32_e64 v8, v22, v8, s[4:5]
	v_lshlrev_b32_e32 v9, 16, v4
	v_lshl_add_u32 v5, v5, 23, v10
	v_and_or_b32 v5, v9, s13, v5
	v_lshlrev_b32_e32 v8, 20, v8
	v_or_b32_e32 v9, v5, v8
	v_mov_b32_e32 v8, v23
.LBB241_1245:                           ;   in Loop: Header=BB241_818 Depth=1
	s_or_b64 exec, exec, s[30:31]
.LBB241_1246:                           ;   in Loop: Header=BB241_818 Depth=1
	s_or_b64 exec, exec, s[28:29]
.LBB241_1247:                           ;   in Loop: Header=BB241_818 Depth=1
	s_or_b64 exec, exec, s[26:27]
	v_lshrrev_b32_e32 v16, 16, v4
	v_pk_mov_b32 v[12:13], 0, 0
	v_cmp_ne_u16_sdwa s[4:5], v16, v23 src0_sel:BYTE_0 src1_sel:DWORD
	v_pk_mov_b32 v[10:11], v[12:13], v[12:13] op_sel:[0,1]
	s_and_saveexec_b64 s[26:27], s[4:5]
	s_cbranch_execz .LBB241_1253
; %bb.1248:                             ;   in Loop: Header=BB241_818 Depth=1
	v_bfrev_b32_e32 v10, 1
	v_cmp_ne_u16_sdwa s[4:5], v16, s7 src0_sel:BYTE_0 src1_sel:DWORD
	v_mov_b32_e32 v11, 0
	s_and_saveexec_b64 s[28:29], s[4:5]
	s_cbranch_execz .LBB241_1252
; %bb.1249:                             ;   in Loop: Header=BB241_818 Depth=1
	v_bfe_u32 v5, v4, 16, 7
	v_mov_b32_e32 v10, 0x7f800001
	v_cmp_ne_u32_e64 s[4:5], s15, v5
	v_mov_b32_e32 v11, 0
	s_and_saveexec_b64 s[30:31], s[4:5]
	s_cbranch_execz .LBB241_1251
; %bb.1250:                             ;   in Loop: Header=BB241_818 Depth=1
	v_and_b32_e32 v17, 7, v16
	v_lshrrev_b32_e32 v18, 3, v5
	v_cmp_gt_u32_e64 s[4:5], 8, v5
	v_ffbh_u32_e32 v5, v17
	v_min_u32_e32 v5, 32, v5
	v_subrev_u32_e32 v10, 28, v5
	v_lshlrev_b64 v[10:11], v10, v[16:17]
	v_sub_u32_e32 v5, 29, v5
	v_and_b32_e32 v10, 7, v10
	v_cndmask_b32_e64 v5, v18, v5, s[4:5]
	v_cndmask_b32_e64 v10, v17, v10, s[4:5]
	v_and_b32_sdwa v11, sext(v16), s13 dst_sel:DWORD dst_unused:UNUSED_PAD src0_sel:BYTE_0 src1_sel:DWORD
	v_bfrev_b32_e32 v16, 60
	v_lshlrev_b32_e32 v10, 20, v10
	v_lshl_add_u32 v5, v5, 23, v16
	v_or3_b32 v22, v11, v5, v10
	v_pk_mov_b32 v[10:11], v[22:23], v[22:23] op_sel:[0,1]
.LBB241_1251:                           ;   in Loop: Header=BB241_818 Depth=1
	s_or_b64 exec, exec, s[30:31]
.LBB241_1252:                           ;   in Loop: Header=BB241_818 Depth=1
	s_or_b64 exec, exec, s[28:29]
.LBB241_1253:                           ;   in Loop: Header=BB241_818 Depth=1
	s_or_b64 exec, exec, s[26:27]
	v_cmp_lt_u32_e64 s[4:5], s34, v4
	s_and_saveexec_b64 s[26:27], s[4:5]
	s_cbranch_execz .LBB241_1259
; %bb.1254:                             ;   in Loop: Header=BB241_818 Depth=1
	v_cmp_ne_u32_sdwa s[4:5], v4, s7 src0_sel:BYTE_3 src1_sel:DWORD
	v_pk_mov_b32 v[12:13], s[12:13], s[12:13] op_sel:[0,1]
	s_and_saveexec_b64 s[28:29], s[4:5]
	s_cbranch_execz .LBB241_1258
; %bb.1255:                             ;   in Loop: Header=BB241_818 Depth=1
	v_bfe_u32 v5, v4, 24, 7
	s_mov_b32 s22, s12
	v_cmp_ne_u32_e64 s[4:5], s15, v5
	v_pk_mov_b32 v[12:13], s[22:23], s[22:23] op_sel:[0,1]
	s_and_saveexec_b64 s[30:31], s[4:5]
	s_cbranch_execz .LBB241_1257
; %bb.1256:                             ;   in Loop: Header=BB241_818 Depth=1
	v_mov_b32_e32 v12, 7
	v_and_b32_sdwa v22, v4, v12 dst_sel:DWORD dst_unused:UNUSED_PAD src0_sel:BYTE_3 src1_sel:DWORD
	v_lshrrev_b32_e32 v16, 3, v5
	v_cmp_gt_u32_e64 s[4:5], 8, v5
	v_ffbh_u32_e32 v5, v22
	v_min_u32_e32 v5, 32, v5
	v_subrev_u32_e32 v12, 28, v5
	v_lshlrev_b64 v[12:13], v12, v[22:23]
	v_sub_u32_e32 v5, 29, v5
	v_mov_b32_e32 v13, 24
	v_and_b32_e32 v12, 7, v12
	v_cndmask_b32_e64 v5, v16, v5, s[4:5]
	v_lshlrev_b32_sdwa v4, v13, v4 dst_sel:DWORD dst_unused:UNUSED_PAD src0_sel:DWORD src1_sel:BYTE_3
	v_bfrev_b32_e32 v13, 60
	v_cndmask_b32_e64 v12, v22, v12, s[4:5]
	v_lshl_add_u32 v5, v5, 23, v13
	v_and_or_b32 v4, v4, s13, v5
	v_lshlrev_b32_e32 v5, 20, v12
	v_or_b32_e32 v13, v4, v5
	v_mov_b32_e32 v12, v23
.LBB241_1257:                           ;   in Loop: Header=BB241_818 Depth=1
	s_or_b64 exec, exec, s[30:31]
.LBB241_1258:                           ;   in Loop: Header=BB241_818 Depth=1
	s_or_b64 exec, exec, s[28:29]
.LBB241_1259:                           ;   in Loop: Header=BB241_818 Depth=1
	s_or_b64 exec, exec, s[26:27]
	v_or_b32_e32 v5, v9, v7
	v_or_b32_e32 v4, v8, v6
	v_pk_mul_f32 v[4:5], v[46:47], v[4:5]
	v_accvgpr_write_b32 a15, v5
	v_accvgpr_write_b32 a14, v4
	v_or_b32_e32 v5, v13, v11
	v_or_b32_e32 v4, v12, v10
	v_pk_mul_f32 v[4:5], v[46:47], v[4:5]
	v_accvgpr_write_b32 a9, v5
	v_accvgpr_write_b32 a8, v4
	s_and_saveexec_b64 s[26:27], vcc
	s_cbranch_execz .LBB241_1261
; %bb.1260:                             ;   in Loop: Header=BB241_818 Depth=1
	v_accvgpr_read_b32 v4, a17
	v_cmp_lt_i32_e64 s[4:5], v4, v62
	v_accvgpr_read_b32 v6, a14
	v_accvgpr_read_b32 v4, a5
	;; [unrolled: 1-line block ×3, first 2 shown]
	v_cndmask_b32_e64 v6, 0, v6, s[4:5]
	v_cmp_lt_i32_e64 s[4:5], v4, v62
	v_cndmask_b32_e64 v7, 0, v7, s[4:5]
	v_accvgpr_write_b32 a15, v7
	v_accvgpr_read_b32 v4, a41
	v_accvgpr_write_b32 a14, v6
	v_cmp_lt_i32_e64 s[4:5], v4, v62
	v_accvgpr_read_b32 v6, a8
	v_accvgpr_read_b32 v4, a1
	;; [unrolled: 1-line block ×3, first 2 shown]
	v_cndmask_b32_e64 v6, 0, v6, s[4:5]
	v_cmp_lt_i32_e64 s[4:5], v4, v62
	v_cndmask_b32_e64 v7, 0, v7, s[4:5]
	v_accvgpr_write_b32 a9, v7
	v_accvgpr_write_b32 a8, v6
.LBB241_1261:                           ;   in Loop: Header=BB241_818 Depth=1
	s_or_b64 exec, exec, s[26:27]
	v_accvgpr_read_b32 v4, a62
	v_add_co_u32_e64 v4, s[4:5], v42, v4
	v_addc_co_u32_e64 v5, s[4:5], 0, v43, s[4:5]
	flat_load_dword v4, v[4:5]
	v_pk_mov_b32 v[8:9], 0, 0
	v_pk_mov_b32 v[6:7], v[8:9], v[8:9] op_sel:[0,1]
	s_waitcnt vmcnt(0) lgkmcnt(0)
	v_cmp_ne_u16_sdwa s[4:5], v4, v23 src0_sel:BYTE_0 src1_sel:DWORD
	s_and_saveexec_b64 s[26:27], s[4:5]
	s_cbranch_execz .LBB241_1267
; %bb.1262:                             ;   in Loop: Header=BB241_818 Depth=1
	v_bfrev_b32_e32 v6, 1
	v_cmp_ne_u16_sdwa s[4:5], v4, s7 src0_sel:BYTE_0 src1_sel:DWORD
	v_mov_b32_e32 v7, 0
	s_and_saveexec_b64 s[28:29], s[4:5]
	s_cbranch_execz .LBB241_1266
; %bb.1263:                             ;   in Loop: Header=BB241_818 Depth=1
	v_and_b32_e32 v5, 0x7f, v4
	v_mov_b32_e32 v6, 0x7f800001
	v_cmp_ne_u32_e64 s[4:5], s15, v5
	v_mov_b32_e32 v7, 0
	s_and_saveexec_b64 s[30:31], s[4:5]
	s_cbranch_execz .LBB241_1265
; %bb.1264:                             ;   in Loop: Header=BB241_818 Depth=1
	v_and_b32_e32 v10, 7, v4
	v_lshrrev_b32_e32 v11, 3, v5
	v_cmp_gt_u32_e64 s[4:5], 8, v5
	v_ffbh_u32_e32 v5, v10
	v_min_u32_e32 v5, 32, v5
	v_subrev_u32_e32 v6, 28, v5
	v_lshlrev_b64 v[6:7], v6, v[4:5]
	v_sub_u32_e32 v5, 29, v5
	v_and_b32_e32 v6, 7, v6
	v_cndmask_b32_e64 v5, v11, v5, s[4:5]
	v_cndmask_b32_e64 v6, v10, v6, s[4:5]
	v_bfrev_b32_e32 v10, 60
	v_lshlrev_b32_e32 v6, 20, v6
	v_and_b32_sdwa v7, sext(v4), s13 dst_sel:DWORD dst_unused:UNUSED_PAD src0_sel:BYTE_0 src1_sel:DWORD
	v_lshl_add_u32 v5, v5, 23, v10
	v_or3_b32 v22, v7, v5, v6
	v_pk_mov_b32 v[6:7], v[22:23], v[22:23] op_sel:[0,1]
.LBB241_1265:                           ;   in Loop: Header=BB241_818 Depth=1
	s_or_b64 exec, exec, s[30:31]
.LBB241_1266:                           ;   in Loop: Header=BB241_818 Depth=1
	s_or_b64 exec, exec, s[28:29]
.LBB241_1267:                           ;   in Loop: Header=BB241_818 Depth=1
	s_or_b64 exec, exec, s[26:27]
	v_cmp_ne_u16_sdwa s[4:5], v4, v23 src0_sel:BYTE_1 src1_sel:DWORD
	s_and_saveexec_b64 s[26:27], s[4:5]
	s_cbranch_execz .LBB241_1273
; %bb.1268:                             ;   in Loop: Header=BB241_818 Depth=1
	v_cmp_ne_u16_sdwa s[4:5], v4, s7 src0_sel:BYTE_1 src1_sel:DWORD
	v_pk_mov_b32 v[8:9], s[12:13], s[12:13] op_sel:[0,1]
	s_and_saveexec_b64 s[28:29], s[4:5]
	s_cbranch_execz .LBB241_1272
; %bb.1269:                             ;   in Loop: Header=BB241_818 Depth=1
	v_and_b32_sdwa v5, v4, s15 dst_sel:DWORD dst_unused:UNUSED_PAD src0_sel:BYTE_1 src1_sel:DWORD
	s_mov_b32 s22, s12
	v_cmp_ne_u32_e64 s[4:5], s15, v5
	v_pk_mov_b32 v[8:9], s[22:23], s[22:23] op_sel:[0,1]
	s_and_saveexec_b64 s[30:31], s[4:5]
	s_cbranch_execz .LBB241_1271
; %bb.1270:                             ;   in Loop: Header=BB241_818 Depth=1
	v_mov_b32_e32 v8, 7
	v_and_b32_sdwa v22, v4, v8 dst_sel:DWORD dst_unused:UNUSED_PAD src0_sel:BYTE_1 src1_sel:DWORD
	v_lshrrev_b32_e32 v10, 3, v5
	v_cmp_gt_u32_e64 s[4:5], 8, v5
	v_ffbh_u32_e32 v5, v22
	v_min_u32_e32 v5, 32, v5
	v_subrev_u32_e32 v8, 28, v5
	v_lshlrev_b64 v[8:9], v8, v[22:23]
	v_sub_u32_e32 v5, 29, v5
	v_and_b32_e32 v8, 7, v8
	v_cndmask_b32_e64 v5, v10, v5, s[4:5]
	v_bfrev_b32_e32 v10, 60
	v_cndmask_b32_e64 v8, v22, v8, s[4:5]
	v_lshlrev_b32_e32 v9, 16, v4
	v_lshl_add_u32 v5, v5, 23, v10
	v_and_or_b32 v5, v9, s13, v5
	v_lshlrev_b32_e32 v8, 20, v8
	v_or_b32_e32 v9, v5, v8
	v_mov_b32_e32 v8, v23
.LBB241_1271:                           ;   in Loop: Header=BB241_818 Depth=1
	s_or_b64 exec, exec, s[30:31]
.LBB241_1272:                           ;   in Loop: Header=BB241_818 Depth=1
	s_or_b64 exec, exec, s[28:29]
.LBB241_1273:                           ;   in Loop: Header=BB241_818 Depth=1
	s_or_b64 exec, exec, s[26:27]
	v_lshrrev_b32_e32 v16, 16, v4
	v_pk_mov_b32 v[12:13], 0, 0
	v_cmp_ne_u16_sdwa s[4:5], v16, v23 src0_sel:BYTE_0 src1_sel:DWORD
	v_pk_mov_b32 v[10:11], v[12:13], v[12:13] op_sel:[0,1]
	s_and_saveexec_b64 s[26:27], s[4:5]
	s_cbranch_execz .LBB241_1279
; %bb.1274:                             ;   in Loop: Header=BB241_818 Depth=1
	v_bfrev_b32_e32 v10, 1
	v_cmp_ne_u16_sdwa s[4:5], v16, s7 src0_sel:BYTE_0 src1_sel:DWORD
	v_mov_b32_e32 v11, 0
	s_and_saveexec_b64 s[28:29], s[4:5]
	s_cbranch_execz .LBB241_1278
; %bb.1275:                             ;   in Loop: Header=BB241_818 Depth=1
	v_bfe_u32 v5, v4, 16, 7
	v_mov_b32_e32 v10, 0x7f800001
	v_cmp_ne_u32_e64 s[4:5], s15, v5
	v_mov_b32_e32 v11, 0
	s_and_saveexec_b64 s[30:31], s[4:5]
	s_cbranch_execz .LBB241_1277
; %bb.1276:                             ;   in Loop: Header=BB241_818 Depth=1
	v_and_b32_e32 v17, 7, v16
	v_lshrrev_b32_e32 v18, 3, v5
	v_cmp_gt_u32_e64 s[4:5], 8, v5
	v_ffbh_u32_e32 v5, v17
	v_min_u32_e32 v5, 32, v5
	v_subrev_u32_e32 v10, 28, v5
	v_lshlrev_b64 v[10:11], v10, v[16:17]
	v_sub_u32_e32 v5, 29, v5
	v_and_b32_e32 v10, 7, v10
	v_cndmask_b32_e64 v5, v18, v5, s[4:5]
	v_cndmask_b32_e64 v10, v17, v10, s[4:5]
	v_and_b32_sdwa v11, sext(v16), s13 dst_sel:DWORD dst_unused:UNUSED_PAD src0_sel:BYTE_0 src1_sel:DWORD
	v_bfrev_b32_e32 v16, 60
	v_lshlrev_b32_e32 v10, 20, v10
	v_lshl_add_u32 v5, v5, 23, v16
	v_or3_b32 v22, v11, v5, v10
	v_pk_mov_b32 v[10:11], v[22:23], v[22:23] op_sel:[0,1]
.LBB241_1277:                           ;   in Loop: Header=BB241_818 Depth=1
	s_or_b64 exec, exec, s[30:31]
.LBB241_1278:                           ;   in Loop: Header=BB241_818 Depth=1
	s_or_b64 exec, exec, s[28:29]
.LBB241_1279:                           ;   in Loop: Header=BB241_818 Depth=1
	s_or_b64 exec, exec, s[26:27]
	v_cmp_lt_u32_e64 s[4:5], s34, v4
	s_and_saveexec_b64 s[26:27], s[4:5]
	s_cbranch_execz .LBB241_1285
; %bb.1280:                             ;   in Loop: Header=BB241_818 Depth=1
	v_cmp_ne_u32_sdwa s[4:5], v4, s7 src0_sel:BYTE_3 src1_sel:DWORD
	v_pk_mov_b32 v[12:13], s[12:13], s[12:13] op_sel:[0,1]
	s_and_saveexec_b64 s[28:29], s[4:5]
	s_cbranch_execz .LBB241_1284
; %bb.1281:                             ;   in Loop: Header=BB241_818 Depth=1
	v_bfe_u32 v5, v4, 24, 7
	s_mov_b32 s22, s12
	v_cmp_ne_u32_e64 s[4:5], s15, v5
	v_pk_mov_b32 v[12:13], s[22:23], s[22:23] op_sel:[0,1]
	s_and_saveexec_b64 s[30:31], s[4:5]
	s_cbranch_execz .LBB241_1283
; %bb.1282:                             ;   in Loop: Header=BB241_818 Depth=1
	v_mov_b32_e32 v12, 7
	v_and_b32_sdwa v22, v4, v12 dst_sel:DWORD dst_unused:UNUSED_PAD src0_sel:BYTE_3 src1_sel:DWORD
	v_lshrrev_b32_e32 v16, 3, v5
	v_cmp_gt_u32_e64 s[4:5], 8, v5
	v_ffbh_u32_e32 v5, v22
	v_min_u32_e32 v5, 32, v5
	v_subrev_u32_e32 v12, 28, v5
	v_lshlrev_b64 v[12:13], v12, v[22:23]
	v_sub_u32_e32 v5, 29, v5
	v_mov_b32_e32 v13, 24
	v_and_b32_e32 v12, 7, v12
	v_cndmask_b32_e64 v5, v16, v5, s[4:5]
	v_lshlrev_b32_sdwa v4, v13, v4 dst_sel:DWORD dst_unused:UNUSED_PAD src0_sel:DWORD src1_sel:BYTE_3
	v_bfrev_b32_e32 v13, 60
	v_cndmask_b32_e64 v12, v22, v12, s[4:5]
	v_lshl_add_u32 v5, v5, 23, v13
	v_and_or_b32 v4, v4, s13, v5
	v_lshlrev_b32_e32 v5, 20, v12
	v_or_b32_e32 v13, v4, v5
	v_mov_b32_e32 v12, v23
.LBB241_1283:                           ;   in Loop: Header=BB241_818 Depth=1
	s_or_b64 exec, exec, s[30:31]
.LBB241_1284:                           ;   in Loop: Header=BB241_818 Depth=1
	s_or_b64 exec, exec, s[28:29]
.LBB241_1285:                           ;   in Loop: Header=BB241_818 Depth=1
	s_or_b64 exec, exec, s[26:27]
	v_or_b32_e32 v5, v9, v7
	v_or_b32_e32 v4, v8, v6
	v_pk_mul_f32 v[4:5], v[46:47], v[4:5]
	v_accvgpr_write_b32 a19, v5
	v_accvgpr_write_b32 a18, v4
	v_or_b32_e32 v5, v13, v11
	v_or_b32_e32 v4, v12, v10
	v_pk_mul_f32 v[4:5], v[46:47], v[4:5]
	v_accvgpr_write_b32 a31, v5
	v_accvgpr_write_b32 a30, v4
	s_and_saveexec_b64 s[26:27], vcc
	s_cbranch_execz .LBB241_1287
; %bb.1286:                             ;   in Loop: Header=BB241_818 Depth=1
	v_accvgpr_read_b32 v4, a17
	v_cmp_lt_i32_e64 s[4:5], v4, v62
	v_accvgpr_read_b32 v6, a18
	v_accvgpr_read_b32 v4, a5
	v_accvgpr_read_b32 v7, a19
	v_cndmask_b32_e64 v6, 0, v6, s[4:5]
	v_cmp_lt_i32_e64 s[4:5], v4, v62
	v_cndmask_b32_e64 v7, 0, v7, s[4:5]
	v_accvgpr_write_b32 a19, v7
	v_accvgpr_read_b32 v4, a41
	v_accvgpr_write_b32 a18, v6
	v_cmp_lt_i32_e64 s[4:5], v4, v62
	v_accvgpr_read_b32 v6, a30
	v_accvgpr_read_b32 v4, a1
	;; [unrolled: 1-line block ×3, first 2 shown]
	v_cndmask_b32_e64 v6, 0, v6, s[4:5]
	v_cmp_lt_i32_e64 s[4:5], v4, v62
	v_cndmask_b32_e64 v7, 0, v7, s[4:5]
	v_accvgpr_write_b32 a31, v7
	v_accvgpr_write_b32 a30, v6
.LBB241_1287:                           ;   in Loop: Header=BB241_818 Depth=1
	s_or_b64 exec, exec, s[26:27]
	buffer_load_dword v4, off, s[0:3], s32 offset:536 ; 4-byte Folded Reload
	buffer_load_dword v5, off, s[0:3], s32 offset:540 ; 4-byte Folded Reload
	v_pk_mov_b32 v[8:9], 0, 0
	v_pk_mov_b32 v[6:7], v[8:9], v[8:9] op_sel:[0,1]
	s_waitcnt vmcnt(1)
	v_add_co_u32_e64 v4, s[4:5], v42, v4
	s_waitcnt vmcnt(0)
	v_addc_co_u32_e64 v5, s[4:5], 0, v43, s[4:5]
	flat_load_dword v4, v[4:5]
	s_waitcnt vmcnt(0) lgkmcnt(0)
	v_cmp_ne_u16_sdwa s[4:5], v4, v23 src0_sel:BYTE_0 src1_sel:DWORD
	s_and_saveexec_b64 s[26:27], s[4:5]
	s_cbranch_execz .LBB241_1293
; %bb.1288:                             ;   in Loop: Header=BB241_818 Depth=1
	v_bfrev_b32_e32 v6, 1
	v_cmp_ne_u16_sdwa s[4:5], v4, s7 src0_sel:BYTE_0 src1_sel:DWORD
	v_mov_b32_e32 v7, 0
	s_and_saveexec_b64 s[28:29], s[4:5]
	s_cbranch_execz .LBB241_1292
; %bb.1289:                             ;   in Loop: Header=BB241_818 Depth=1
	v_and_b32_e32 v5, 0x7f, v4
	v_mov_b32_e32 v6, 0x7f800001
	v_cmp_ne_u32_e64 s[4:5], s15, v5
	v_mov_b32_e32 v7, 0
	s_and_saveexec_b64 s[30:31], s[4:5]
	s_cbranch_execz .LBB241_1291
; %bb.1290:                             ;   in Loop: Header=BB241_818 Depth=1
	v_and_b32_e32 v10, 7, v4
	v_lshrrev_b32_e32 v11, 3, v5
	v_cmp_gt_u32_e64 s[4:5], 8, v5
	v_ffbh_u32_e32 v5, v10
	v_min_u32_e32 v5, 32, v5
	v_subrev_u32_e32 v6, 28, v5
	v_lshlrev_b64 v[6:7], v6, v[4:5]
	v_sub_u32_e32 v5, 29, v5
	v_and_b32_e32 v6, 7, v6
	v_cndmask_b32_e64 v5, v11, v5, s[4:5]
	v_cndmask_b32_e64 v6, v10, v6, s[4:5]
	v_bfrev_b32_e32 v10, 60
	v_lshlrev_b32_e32 v6, 20, v6
	v_and_b32_sdwa v7, sext(v4), s13 dst_sel:DWORD dst_unused:UNUSED_PAD src0_sel:BYTE_0 src1_sel:DWORD
	v_lshl_add_u32 v5, v5, 23, v10
	v_or3_b32 v22, v7, v5, v6
	v_pk_mov_b32 v[6:7], v[22:23], v[22:23] op_sel:[0,1]
.LBB241_1291:                           ;   in Loop: Header=BB241_818 Depth=1
	s_or_b64 exec, exec, s[30:31]
.LBB241_1292:                           ;   in Loop: Header=BB241_818 Depth=1
	s_or_b64 exec, exec, s[28:29]
.LBB241_1293:                           ;   in Loop: Header=BB241_818 Depth=1
	s_or_b64 exec, exec, s[26:27]
	v_cmp_ne_u16_sdwa s[4:5], v4, v23 src0_sel:BYTE_1 src1_sel:DWORD
	s_and_saveexec_b64 s[26:27], s[4:5]
	s_cbranch_execz .LBB241_1299
; %bb.1294:                             ;   in Loop: Header=BB241_818 Depth=1
	v_cmp_ne_u16_sdwa s[4:5], v4, s7 src0_sel:BYTE_1 src1_sel:DWORD
	v_pk_mov_b32 v[8:9], s[12:13], s[12:13] op_sel:[0,1]
	s_and_saveexec_b64 s[28:29], s[4:5]
	s_cbranch_execz .LBB241_1298
; %bb.1295:                             ;   in Loop: Header=BB241_818 Depth=1
	v_and_b32_sdwa v5, v4, s15 dst_sel:DWORD dst_unused:UNUSED_PAD src0_sel:BYTE_1 src1_sel:DWORD
	s_mov_b32 s22, s12
	v_cmp_ne_u32_e64 s[4:5], s15, v5
	v_pk_mov_b32 v[8:9], s[22:23], s[22:23] op_sel:[0,1]
	s_and_saveexec_b64 s[30:31], s[4:5]
	s_cbranch_execz .LBB241_1297
; %bb.1296:                             ;   in Loop: Header=BB241_818 Depth=1
	v_mov_b32_e32 v8, 7
	v_and_b32_sdwa v22, v4, v8 dst_sel:DWORD dst_unused:UNUSED_PAD src0_sel:BYTE_1 src1_sel:DWORD
	v_lshrrev_b32_e32 v10, 3, v5
	v_cmp_gt_u32_e64 s[4:5], 8, v5
	v_ffbh_u32_e32 v5, v22
	v_min_u32_e32 v5, 32, v5
	v_subrev_u32_e32 v8, 28, v5
	v_lshlrev_b64 v[8:9], v8, v[22:23]
	v_sub_u32_e32 v5, 29, v5
	v_and_b32_e32 v8, 7, v8
	v_cndmask_b32_e64 v5, v10, v5, s[4:5]
	v_bfrev_b32_e32 v10, 60
	v_cndmask_b32_e64 v8, v22, v8, s[4:5]
	v_lshlrev_b32_e32 v9, 16, v4
	v_lshl_add_u32 v5, v5, 23, v10
	v_and_or_b32 v5, v9, s13, v5
	v_lshlrev_b32_e32 v8, 20, v8
	v_or_b32_e32 v9, v5, v8
	v_mov_b32_e32 v8, v23
.LBB241_1297:                           ;   in Loop: Header=BB241_818 Depth=1
	s_or_b64 exec, exec, s[30:31]
.LBB241_1298:                           ;   in Loop: Header=BB241_818 Depth=1
	s_or_b64 exec, exec, s[28:29]
.LBB241_1299:                           ;   in Loop: Header=BB241_818 Depth=1
	s_or_b64 exec, exec, s[26:27]
	v_lshrrev_b32_e32 v16, 16, v4
	v_pk_mov_b32 v[12:13], 0, 0
	v_cmp_ne_u16_sdwa s[4:5], v16, v23 src0_sel:BYTE_0 src1_sel:DWORD
	v_pk_mov_b32 v[10:11], v[12:13], v[12:13] op_sel:[0,1]
	s_and_saveexec_b64 s[26:27], s[4:5]
	s_cbranch_execz .LBB241_1305
; %bb.1300:                             ;   in Loop: Header=BB241_818 Depth=1
	v_bfrev_b32_e32 v10, 1
	v_cmp_ne_u16_sdwa s[4:5], v16, s7 src0_sel:BYTE_0 src1_sel:DWORD
	v_mov_b32_e32 v11, 0
	s_and_saveexec_b64 s[28:29], s[4:5]
	s_cbranch_execz .LBB241_1304
; %bb.1301:                             ;   in Loop: Header=BB241_818 Depth=1
	v_bfe_u32 v5, v4, 16, 7
	v_mov_b32_e32 v10, 0x7f800001
	v_cmp_ne_u32_e64 s[4:5], s15, v5
	v_mov_b32_e32 v11, 0
	s_and_saveexec_b64 s[30:31], s[4:5]
	s_cbranch_execz .LBB241_1303
; %bb.1302:                             ;   in Loop: Header=BB241_818 Depth=1
	v_and_b32_e32 v17, 7, v16
	v_lshrrev_b32_e32 v18, 3, v5
	v_cmp_gt_u32_e64 s[4:5], 8, v5
	v_ffbh_u32_e32 v5, v17
	v_min_u32_e32 v5, 32, v5
	v_subrev_u32_e32 v10, 28, v5
	v_lshlrev_b64 v[10:11], v10, v[16:17]
	v_sub_u32_e32 v5, 29, v5
	v_and_b32_e32 v10, 7, v10
	v_cndmask_b32_e64 v5, v18, v5, s[4:5]
	v_cndmask_b32_e64 v10, v17, v10, s[4:5]
	v_and_b32_sdwa v11, sext(v16), s13 dst_sel:DWORD dst_unused:UNUSED_PAD src0_sel:BYTE_0 src1_sel:DWORD
	v_bfrev_b32_e32 v16, 60
	v_lshlrev_b32_e32 v10, 20, v10
	v_lshl_add_u32 v5, v5, 23, v16
	v_or3_b32 v22, v11, v5, v10
	v_pk_mov_b32 v[10:11], v[22:23], v[22:23] op_sel:[0,1]
.LBB241_1303:                           ;   in Loop: Header=BB241_818 Depth=1
	s_or_b64 exec, exec, s[30:31]
.LBB241_1304:                           ;   in Loop: Header=BB241_818 Depth=1
	s_or_b64 exec, exec, s[28:29]
.LBB241_1305:                           ;   in Loop: Header=BB241_818 Depth=1
	s_or_b64 exec, exec, s[26:27]
	v_cmp_lt_u32_e64 s[4:5], s34, v4
	s_and_saveexec_b64 s[26:27], s[4:5]
	s_cbranch_execz .LBB241_1311
; %bb.1306:                             ;   in Loop: Header=BB241_818 Depth=1
	v_cmp_ne_u32_sdwa s[4:5], v4, s7 src0_sel:BYTE_3 src1_sel:DWORD
	v_pk_mov_b32 v[12:13], s[12:13], s[12:13] op_sel:[0,1]
	s_and_saveexec_b64 s[28:29], s[4:5]
	s_cbranch_execz .LBB241_1310
; %bb.1307:                             ;   in Loop: Header=BB241_818 Depth=1
	v_bfe_u32 v5, v4, 24, 7
	s_mov_b32 s22, s12
	v_cmp_ne_u32_e64 s[4:5], s15, v5
	v_pk_mov_b32 v[12:13], s[22:23], s[22:23] op_sel:[0,1]
	s_and_saveexec_b64 s[30:31], s[4:5]
	s_cbranch_execz .LBB241_1309
; %bb.1308:                             ;   in Loop: Header=BB241_818 Depth=1
	v_mov_b32_e32 v12, 7
	v_and_b32_sdwa v22, v4, v12 dst_sel:DWORD dst_unused:UNUSED_PAD src0_sel:BYTE_3 src1_sel:DWORD
	v_lshrrev_b32_e32 v16, 3, v5
	v_cmp_gt_u32_e64 s[4:5], 8, v5
	v_ffbh_u32_e32 v5, v22
	v_min_u32_e32 v5, 32, v5
	v_subrev_u32_e32 v12, 28, v5
	v_lshlrev_b64 v[12:13], v12, v[22:23]
	v_sub_u32_e32 v5, 29, v5
	v_mov_b32_e32 v13, 24
	v_and_b32_e32 v12, 7, v12
	v_cndmask_b32_e64 v5, v16, v5, s[4:5]
	v_lshlrev_b32_sdwa v4, v13, v4 dst_sel:DWORD dst_unused:UNUSED_PAD src0_sel:DWORD src1_sel:BYTE_3
	v_bfrev_b32_e32 v13, 60
	v_cndmask_b32_e64 v12, v22, v12, s[4:5]
	v_lshl_add_u32 v5, v5, 23, v13
	v_and_or_b32 v4, v4, s13, v5
	v_lshlrev_b32_e32 v5, 20, v12
	v_or_b32_e32 v13, v4, v5
	v_mov_b32_e32 v12, v23
.LBB241_1309:                           ;   in Loop: Header=BB241_818 Depth=1
	s_or_b64 exec, exec, s[30:31]
.LBB241_1310:                           ;   in Loop: Header=BB241_818 Depth=1
	s_or_b64 exec, exec, s[28:29]
.LBB241_1311:                           ;   in Loop: Header=BB241_818 Depth=1
	s_or_b64 exec, exec, s[26:27]
	v_or_b32_e32 v5, v9, v7
	v_or_b32_e32 v4, v8, v6
	v_pk_mul_f32 v[4:5], v[46:47], v[4:5]
	v_accvgpr_write_b32 a23, v5
	v_accvgpr_write_b32 a22, v4
	v_or_b32_e32 v5, v13, v11
	v_or_b32_e32 v4, v12, v10
	v_pk_mul_f32 v[4:5], v[46:47], v[4:5]
	v_accvgpr_write_b32 a21, v5
	v_accvgpr_write_b32 a20, v4
	s_and_saveexec_b64 s[26:27], vcc
	s_cbranch_execz .LBB241_1313
; %bb.1312:                             ;   in Loop: Header=BB241_818 Depth=1
	v_accvgpr_read_b32 v4, a17
	v_cmp_lt_i32_e64 s[4:5], v4, v62
	v_accvgpr_read_b32 v6, a22
	v_accvgpr_read_b32 v4, a5
	;; [unrolled: 1-line block ×3, first 2 shown]
	v_cndmask_b32_e64 v6, 0, v6, s[4:5]
	v_cmp_lt_i32_e64 s[4:5], v4, v62
	v_cndmask_b32_e64 v7, 0, v7, s[4:5]
	v_accvgpr_write_b32 a23, v7
	v_accvgpr_read_b32 v4, a41
	v_accvgpr_write_b32 a22, v6
	v_cmp_lt_i32_e64 s[4:5], v4, v62
	v_accvgpr_read_b32 v6, a20
	v_accvgpr_read_b32 v4, a1
	v_accvgpr_read_b32 v7, a21
	v_cndmask_b32_e64 v6, 0, v6, s[4:5]
	v_cmp_lt_i32_e64 s[4:5], v4, v62
	v_cndmask_b32_e64 v7, 0, v7, s[4:5]
	v_accvgpr_write_b32 a21, v7
	v_accvgpr_write_b32 a20, v6
.LBB241_1313:                           ;   in Loop: Header=BB241_818 Depth=1
	s_or_b64 exec, exec, s[26:27]
	buffer_load_dword v4, off, s[0:3], s32 offset:544 ; 4-byte Folded Reload
	buffer_load_dword v5, off, s[0:3], s32 offset:548 ; 4-byte Folded Reload
	v_pk_mov_b32 v[8:9], 0, 0
	v_pk_mov_b32 v[6:7], v[8:9], v[8:9] op_sel:[0,1]
	s_waitcnt vmcnt(1)
	v_add_co_u32_e64 v4, s[4:5], v42, v4
	s_waitcnt vmcnt(0)
	v_addc_co_u32_e64 v5, s[4:5], 0, v43, s[4:5]
	flat_load_dword v4, v[4:5]
	s_waitcnt vmcnt(0) lgkmcnt(0)
	v_cmp_ne_u16_sdwa s[4:5], v4, v23 src0_sel:BYTE_0 src1_sel:DWORD
	s_and_saveexec_b64 s[26:27], s[4:5]
	s_cbranch_execz .LBB241_1319
; %bb.1314:                             ;   in Loop: Header=BB241_818 Depth=1
	v_bfrev_b32_e32 v6, 1
	v_cmp_ne_u16_sdwa s[4:5], v4, s7 src0_sel:BYTE_0 src1_sel:DWORD
	v_mov_b32_e32 v7, 0
	s_and_saveexec_b64 s[28:29], s[4:5]
	s_cbranch_execz .LBB241_1318
; %bb.1315:                             ;   in Loop: Header=BB241_818 Depth=1
	v_and_b32_e32 v5, 0x7f, v4
	v_mov_b32_e32 v6, 0x7f800001
	v_cmp_ne_u32_e64 s[4:5], s15, v5
	v_mov_b32_e32 v7, 0
	s_and_saveexec_b64 s[30:31], s[4:5]
	s_cbranch_execz .LBB241_1317
; %bb.1316:                             ;   in Loop: Header=BB241_818 Depth=1
	v_and_b32_e32 v10, 7, v4
	v_lshrrev_b32_e32 v11, 3, v5
	v_cmp_gt_u32_e64 s[4:5], 8, v5
	v_ffbh_u32_e32 v5, v10
	v_min_u32_e32 v5, 32, v5
	v_subrev_u32_e32 v6, 28, v5
	v_lshlrev_b64 v[6:7], v6, v[4:5]
	v_sub_u32_e32 v5, 29, v5
	v_and_b32_e32 v6, 7, v6
	v_cndmask_b32_e64 v5, v11, v5, s[4:5]
	v_cndmask_b32_e64 v6, v10, v6, s[4:5]
	v_bfrev_b32_e32 v10, 60
	v_lshlrev_b32_e32 v6, 20, v6
	v_and_b32_sdwa v7, sext(v4), s13 dst_sel:DWORD dst_unused:UNUSED_PAD src0_sel:BYTE_0 src1_sel:DWORD
	v_lshl_add_u32 v5, v5, 23, v10
	v_or3_b32 v22, v7, v5, v6
	v_pk_mov_b32 v[6:7], v[22:23], v[22:23] op_sel:[0,1]
.LBB241_1317:                           ;   in Loop: Header=BB241_818 Depth=1
	s_or_b64 exec, exec, s[30:31]
.LBB241_1318:                           ;   in Loop: Header=BB241_818 Depth=1
	s_or_b64 exec, exec, s[28:29]
.LBB241_1319:                           ;   in Loop: Header=BB241_818 Depth=1
	s_or_b64 exec, exec, s[26:27]
	v_cmp_ne_u16_sdwa s[4:5], v4, v23 src0_sel:BYTE_1 src1_sel:DWORD
	s_and_saveexec_b64 s[26:27], s[4:5]
	s_cbranch_execz .LBB241_1325
; %bb.1320:                             ;   in Loop: Header=BB241_818 Depth=1
	v_cmp_ne_u16_sdwa s[4:5], v4, s7 src0_sel:BYTE_1 src1_sel:DWORD
	v_pk_mov_b32 v[8:9], s[12:13], s[12:13] op_sel:[0,1]
	s_and_saveexec_b64 s[28:29], s[4:5]
	s_cbranch_execz .LBB241_1324
; %bb.1321:                             ;   in Loop: Header=BB241_818 Depth=1
	v_and_b32_sdwa v5, v4, s15 dst_sel:DWORD dst_unused:UNUSED_PAD src0_sel:BYTE_1 src1_sel:DWORD
	s_mov_b32 s22, s12
	v_cmp_ne_u32_e64 s[4:5], s15, v5
	v_pk_mov_b32 v[8:9], s[22:23], s[22:23] op_sel:[0,1]
	s_and_saveexec_b64 s[30:31], s[4:5]
	s_cbranch_execz .LBB241_1323
; %bb.1322:                             ;   in Loop: Header=BB241_818 Depth=1
	v_mov_b32_e32 v8, 7
	v_and_b32_sdwa v22, v4, v8 dst_sel:DWORD dst_unused:UNUSED_PAD src0_sel:BYTE_1 src1_sel:DWORD
	v_lshrrev_b32_e32 v10, 3, v5
	v_cmp_gt_u32_e64 s[4:5], 8, v5
	v_ffbh_u32_e32 v5, v22
	v_min_u32_e32 v5, 32, v5
	v_subrev_u32_e32 v8, 28, v5
	v_lshlrev_b64 v[8:9], v8, v[22:23]
	v_sub_u32_e32 v5, 29, v5
	v_and_b32_e32 v8, 7, v8
	v_cndmask_b32_e64 v5, v10, v5, s[4:5]
	v_bfrev_b32_e32 v10, 60
	v_cndmask_b32_e64 v8, v22, v8, s[4:5]
	v_lshlrev_b32_e32 v9, 16, v4
	v_lshl_add_u32 v5, v5, 23, v10
	v_and_or_b32 v5, v9, s13, v5
	v_lshlrev_b32_e32 v8, 20, v8
	v_or_b32_e32 v9, v5, v8
	v_mov_b32_e32 v8, v23
.LBB241_1323:                           ;   in Loop: Header=BB241_818 Depth=1
	s_or_b64 exec, exec, s[30:31]
.LBB241_1324:                           ;   in Loop: Header=BB241_818 Depth=1
	s_or_b64 exec, exec, s[28:29]
.LBB241_1325:                           ;   in Loop: Header=BB241_818 Depth=1
	s_or_b64 exec, exec, s[26:27]
	v_lshrrev_b32_e32 v16, 16, v4
	v_pk_mov_b32 v[12:13], 0, 0
	v_cmp_ne_u16_sdwa s[4:5], v16, v23 src0_sel:BYTE_0 src1_sel:DWORD
	v_pk_mov_b32 v[10:11], v[12:13], v[12:13] op_sel:[0,1]
	s_and_saveexec_b64 s[26:27], s[4:5]
	s_cbranch_execz .LBB241_1331
; %bb.1326:                             ;   in Loop: Header=BB241_818 Depth=1
	v_bfrev_b32_e32 v10, 1
	v_cmp_ne_u16_sdwa s[4:5], v16, s7 src0_sel:BYTE_0 src1_sel:DWORD
	v_mov_b32_e32 v11, 0
	s_and_saveexec_b64 s[28:29], s[4:5]
	s_cbranch_execz .LBB241_1330
; %bb.1327:                             ;   in Loop: Header=BB241_818 Depth=1
	v_bfe_u32 v5, v4, 16, 7
	v_mov_b32_e32 v10, 0x7f800001
	v_cmp_ne_u32_e64 s[4:5], s15, v5
	v_mov_b32_e32 v11, 0
	s_and_saveexec_b64 s[30:31], s[4:5]
	s_cbranch_execz .LBB241_1329
; %bb.1328:                             ;   in Loop: Header=BB241_818 Depth=1
	v_and_b32_e32 v17, 7, v16
	v_lshrrev_b32_e32 v18, 3, v5
	v_cmp_gt_u32_e64 s[4:5], 8, v5
	v_ffbh_u32_e32 v5, v17
	v_min_u32_e32 v5, 32, v5
	v_subrev_u32_e32 v10, 28, v5
	v_lshlrev_b64 v[10:11], v10, v[16:17]
	v_sub_u32_e32 v5, 29, v5
	v_and_b32_e32 v10, 7, v10
	v_cndmask_b32_e64 v5, v18, v5, s[4:5]
	v_cndmask_b32_e64 v10, v17, v10, s[4:5]
	v_and_b32_sdwa v11, sext(v16), s13 dst_sel:DWORD dst_unused:UNUSED_PAD src0_sel:BYTE_0 src1_sel:DWORD
	v_bfrev_b32_e32 v16, 60
	v_lshlrev_b32_e32 v10, 20, v10
	v_lshl_add_u32 v5, v5, 23, v16
	v_or3_b32 v22, v11, v5, v10
	v_pk_mov_b32 v[10:11], v[22:23], v[22:23] op_sel:[0,1]
.LBB241_1329:                           ;   in Loop: Header=BB241_818 Depth=1
	s_or_b64 exec, exec, s[30:31]
.LBB241_1330:                           ;   in Loop: Header=BB241_818 Depth=1
	s_or_b64 exec, exec, s[28:29]
.LBB241_1331:                           ;   in Loop: Header=BB241_818 Depth=1
	s_or_b64 exec, exec, s[26:27]
	v_cmp_lt_u32_e64 s[4:5], s34, v4
	s_and_saveexec_b64 s[26:27], s[4:5]
	s_cbranch_execz .LBB241_1337
; %bb.1332:                             ;   in Loop: Header=BB241_818 Depth=1
	v_cmp_ne_u32_sdwa s[4:5], v4, s7 src0_sel:BYTE_3 src1_sel:DWORD
	v_pk_mov_b32 v[12:13], s[12:13], s[12:13] op_sel:[0,1]
	s_and_saveexec_b64 s[28:29], s[4:5]
	s_cbranch_execz .LBB241_1336
; %bb.1333:                             ;   in Loop: Header=BB241_818 Depth=1
	v_bfe_u32 v5, v4, 24, 7
	s_mov_b32 s22, s12
	v_cmp_ne_u32_e64 s[4:5], s15, v5
	v_pk_mov_b32 v[12:13], s[22:23], s[22:23] op_sel:[0,1]
	s_and_saveexec_b64 s[30:31], s[4:5]
	s_cbranch_execz .LBB241_1335
; %bb.1334:                             ;   in Loop: Header=BB241_818 Depth=1
	v_mov_b32_e32 v12, 7
	v_and_b32_sdwa v22, v4, v12 dst_sel:DWORD dst_unused:UNUSED_PAD src0_sel:BYTE_3 src1_sel:DWORD
	v_lshrrev_b32_e32 v16, 3, v5
	v_cmp_gt_u32_e64 s[4:5], 8, v5
	v_ffbh_u32_e32 v5, v22
	v_min_u32_e32 v5, 32, v5
	v_subrev_u32_e32 v12, 28, v5
	v_lshlrev_b64 v[12:13], v12, v[22:23]
	v_sub_u32_e32 v5, 29, v5
	v_mov_b32_e32 v13, 24
	v_and_b32_e32 v12, 7, v12
	v_cndmask_b32_e64 v5, v16, v5, s[4:5]
	v_lshlrev_b32_sdwa v4, v13, v4 dst_sel:DWORD dst_unused:UNUSED_PAD src0_sel:DWORD src1_sel:BYTE_3
	v_bfrev_b32_e32 v13, 60
	v_cndmask_b32_e64 v12, v22, v12, s[4:5]
	v_lshl_add_u32 v5, v5, 23, v13
	v_and_or_b32 v4, v4, s13, v5
	v_lshlrev_b32_e32 v5, 20, v12
	v_or_b32_e32 v13, v4, v5
	v_mov_b32_e32 v12, v23
.LBB241_1335:                           ;   in Loop: Header=BB241_818 Depth=1
	s_or_b64 exec, exec, s[30:31]
.LBB241_1336:                           ;   in Loop: Header=BB241_818 Depth=1
	s_or_b64 exec, exec, s[28:29]
.LBB241_1337:                           ;   in Loop: Header=BB241_818 Depth=1
	s_or_b64 exec, exec, s[26:27]
	v_or_b32_e32 v5, v9, v7
	v_or_b32_e32 v4, v8, v6
	v_pk_mul_f32 v[4:5], v[46:47], v[4:5]
	v_accvgpr_write_b32 a33, v5
	v_accvgpr_write_b32 a32, v4
	v_or_b32_e32 v5, v13, v11
	v_or_b32_e32 v4, v12, v10
	v_pk_mul_f32 v[4:5], v[46:47], v[4:5]
	v_accvgpr_write_b32 a27, v5
	v_accvgpr_write_b32 a26, v4
	s_and_saveexec_b64 s[26:27], vcc
	s_cbranch_execz .LBB241_1339
; %bb.1338:                             ;   in Loop: Header=BB241_818 Depth=1
	v_accvgpr_read_b32 v4, a17
	v_cmp_lt_i32_e64 s[4:5], v4, v62
	v_accvgpr_read_b32 v6, a32
	v_accvgpr_read_b32 v4, a5
	;; [unrolled: 1-line block ×3, first 2 shown]
	v_cndmask_b32_e64 v6, 0, v6, s[4:5]
	v_cmp_lt_i32_e64 s[4:5], v4, v62
	v_cndmask_b32_e64 v7, 0, v7, s[4:5]
	v_accvgpr_write_b32 a33, v7
	v_accvgpr_read_b32 v4, a41
	v_accvgpr_write_b32 a32, v6
	v_cmp_lt_i32_e64 s[4:5], v4, v62
	v_accvgpr_read_b32 v6, a26
	v_accvgpr_read_b32 v4, a1
	;; [unrolled: 1-line block ×3, first 2 shown]
	v_cndmask_b32_e64 v6, 0, v6, s[4:5]
	v_cmp_lt_i32_e64 s[4:5], v4, v62
	v_cndmask_b32_e64 v7, 0, v7, s[4:5]
	v_accvgpr_write_b32 a27, v7
	v_accvgpr_write_b32 a26, v6
.LBB241_1339:                           ;   in Loop: Header=BB241_818 Depth=1
	s_or_b64 exec, exec, s[26:27]
	buffer_load_dword v4, off, s[0:3], s32 offset:552 ; 4-byte Folded Reload
	buffer_load_dword v5, off, s[0:3], s32 offset:556 ; 4-byte Folded Reload
	v_pk_mov_b32 v[8:9], 0, 0
	v_pk_mov_b32 v[6:7], v[8:9], v[8:9] op_sel:[0,1]
	s_waitcnt vmcnt(1)
	v_add_co_u32_e64 v4, s[4:5], v42, v4
	s_waitcnt vmcnt(0)
	v_addc_co_u32_e64 v5, s[4:5], 0, v43, s[4:5]
	flat_load_dword v4, v[4:5]
	s_waitcnt vmcnt(0) lgkmcnt(0)
	v_cmp_ne_u16_sdwa s[4:5], v4, v23 src0_sel:BYTE_0 src1_sel:DWORD
	s_and_saveexec_b64 s[26:27], s[4:5]
	s_cbranch_execz .LBB241_1345
; %bb.1340:                             ;   in Loop: Header=BB241_818 Depth=1
	v_bfrev_b32_e32 v6, 1
	v_cmp_ne_u16_sdwa s[4:5], v4, s7 src0_sel:BYTE_0 src1_sel:DWORD
	v_mov_b32_e32 v7, 0
	s_and_saveexec_b64 s[28:29], s[4:5]
	s_cbranch_execz .LBB241_1344
; %bb.1341:                             ;   in Loop: Header=BB241_818 Depth=1
	v_and_b32_e32 v5, 0x7f, v4
	v_mov_b32_e32 v6, 0x7f800001
	v_cmp_ne_u32_e64 s[4:5], s15, v5
	v_mov_b32_e32 v7, 0
	s_and_saveexec_b64 s[30:31], s[4:5]
	s_cbranch_execz .LBB241_1343
; %bb.1342:                             ;   in Loop: Header=BB241_818 Depth=1
	v_and_b32_e32 v10, 7, v4
	v_lshrrev_b32_e32 v11, 3, v5
	v_cmp_gt_u32_e64 s[4:5], 8, v5
	v_ffbh_u32_e32 v5, v10
	v_min_u32_e32 v5, 32, v5
	v_subrev_u32_e32 v6, 28, v5
	v_lshlrev_b64 v[6:7], v6, v[4:5]
	v_sub_u32_e32 v5, 29, v5
	v_and_b32_e32 v6, 7, v6
	v_cndmask_b32_e64 v5, v11, v5, s[4:5]
	v_cndmask_b32_e64 v6, v10, v6, s[4:5]
	v_bfrev_b32_e32 v10, 60
	v_lshlrev_b32_e32 v6, 20, v6
	v_and_b32_sdwa v7, sext(v4), s13 dst_sel:DWORD dst_unused:UNUSED_PAD src0_sel:BYTE_0 src1_sel:DWORD
	v_lshl_add_u32 v5, v5, 23, v10
	v_or3_b32 v22, v7, v5, v6
	v_pk_mov_b32 v[6:7], v[22:23], v[22:23] op_sel:[0,1]
.LBB241_1343:                           ;   in Loop: Header=BB241_818 Depth=1
	s_or_b64 exec, exec, s[30:31]
.LBB241_1344:                           ;   in Loop: Header=BB241_818 Depth=1
	s_or_b64 exec, exec, s[28:29]
.LBB241_1345:                           ;   in Loop: Header=BB241_818 Depth=1
	s_or_b64 exec, exec, s[26:27]
	v_cmp_ne_u16_sdwa s[4:5], v4, v23 src0_sel:BYTE_1 src1_sel:DWORD
	s_and_saveexec_b64 s[26:27], s[4:5]
	s_cbranch_execz .LBB241_1351
; %bb.1346:                             ;   in Loop: Header=BB241_818 Depth=1
	v_cmp_ne_u16_sdwa s[4:5], v4, s7 src0_sel:BYTE_1 src1_sel:DWORD
	v_pk_mov_b32 v[8:9], s[12:13], s[12:13] op_sel:[0,1]
	s_and_saveexec_b64 s[28:29], s[4:5]
	s_cbranch_execz .LBB241_1350
; %bb.1347:                             ;   in Loop: Header=BB241_818 Depth=1
	v_and_b32_sdwa v5, v4, s15 dst_sel:DWORD dst_unused:UNUSED_PAD src0_sel:BYTE_1 src1_sel:DWORD
	s_mov_b32 s22, s12
	v_cmp_ne_u32_e64 s[4:5], s15, v5
	v_pk_mov_b32 v[8:9], s[22:23], s[22:23] op_sel:[0,1]
	s_and_saveexec_b64 s[30:31], s[4:5]
	s_cbranch_execz .LBB241_1349
; %bb.1348:                             ;   in Loop: Header=BB241_818 Depth=1
	v_mov_b32_e32 v8, 7
	v_and_b32_sdwa v22, v4, v8 dst_sel:DWORD dst_unused:UNUSED_PAD src0_sel:BYTE_1 src1_sel:DWORD
	v_lshrrev_b32_e32 v10, 3, v5
	v_cmp_gt_u32_e64 s[4:5], 8, v5
	v_ffbh_u32_e32 v5, v22
	v_min_u32_e32 v5, 32, v5
	v_subrev_u32_e32 v8, 28, v5
	v_lshlrev_b64 v[8:9], v8, v[22:23]
	v_sub_u32_e32 v5, 29, v5
	v_and_b32_e32 v8, 7, v8
	v_cndmask_b32_e64 v5, v10, v5, s[4:5]
	v_bfrev_b32_e32 v10, 60
	v_cndmask_b32_e64 v8, v22, v8, s[4:5]
	v_lshlrev_b32_e32 v9, 16, v4
	v_lshl_add_u32 v5, v5, 23, v10
	v_and_or_b32 v5, v9, s13, v5
	v_lshlrev_b32_e32 v8, 20, v8
	v_or_b32_e32 v9, v5, v8
	v_mov_b32_e32 v8, v23
.LBB241_1349:                           ;   in Loop: Header=BB241_818 Depth=1
	s_or_b64 exec, exec, s[30:31]
.LBB241_1350:                           ;   in Loop: Header=BB241_818 Depth=1
	s_or_b64 exec, exec, s[28:29]
.LBB241_1351:                           ;   in Loop: Header=BB241_818 Depth=1
	s_or_b64 exec, exec, s[26:27]
	v_lshrrev_b32_e32 v16, 16, v4
	v_pk_mov_b32 v[12:13], 0, 0
	v_cmp_ne_u16_sdwa s[4:5], v16, v23 src0_sel:BYTE_0 src1_sel:DWORD
	v_pk_mov_b32 v[10:11], v[12:13], v[12:13] op_sel:[0,1]
	s_and_saveexec_b64 s[26:27], s[4:5]
	s_cbranch_execz .LBB241_1357
; %bb.1352:                             ;   in Loop: Header=BB241_818 Depth=1
	v_bfrev_b32_e32 v10, 1
	v_cmp_ne_u16_sdwa s[4:5], v16, s7 src0_sel:BYTE_0 src1_sel:DWORD
	v_mov_b32_e32 v11, 0
	s_and_saveexec_b64 s[28:29], s[4:5]
	s_cbranch_execz .LBB241_1356
; %bb.1353:                             ;   in Loop: Header=BB241_818 Depth=1
	v_bfe_u32 v5, v4, 16, 7
	v_mov_b32_e32 v10, 0x7f800001
	v_cmp_ne_u32_e64 s[4:5], s15, v5
	v_mov_b32_e32 v11, 0
	s_and_saveexec_b64 s[30:31], s[4:5]
	s_cbranch_execz .LBB241_1355
; %bb.1354:                             ;   in Loop: Header=BB241_818 Depth=1
	v_and_b32_e32 v17, 7, v16
	v_lshrrev_b32_e32 v18, 3, v5
	v_cmp_gt_u32_e64 s[4:5], 8, v5
	v_ffbh_u32_e32 v5, v17
	v_min_u32_e32 v5, 32, v5
	v_subrev_u32_e32 v10, 28, v5
	v_lshlrev_b64 v[10:11], v10, v[16:17]
	v_sub_u32_e32 v5, 29, v5
	v_and_b32_e32 v10, 7, v10
	v_cndmask_b32_e64 v5, v18, v5, s[4:5]
	v_cndmask_b32_e64 v10, v17, v10, s[4:5]
	v_and_b32_sdwa v11, sext(v16), s13 dst_sel:DWORD dst_unused:UNUSED_PAD src0_sel:BYTE_0 src1_sel:DWORD
	v_bfrev_b32_e32 v16, 60
	v_lshlrev_b32_e32 v10, 20, v10
	v_lshl_add_u32 v5, v5, 23, v16
	v_or3_b32 v22, v11, v5, v10
	v_pk_mov_b32 v[10:11], v[22:23], v[22:23] op_sel:[0,1]
.LBB241_1355:                           ;   in Loop: Header=BB241_818 Depth=1
	s_or_b64 exec, exec, s[30:31]
.LBB241_1356:                           ;   in Loop: Header=BB241_818 Depth=1
	s_or_b64 exec, exec, s[28:29]
.LBB241_1357:                           ;   in Loop: Header=BB241_818 Depth=1
	s_or_b64 exec, exec, s[26:27]
	v_cmp_lt_u32_e64 s[4:5], s34, v4
	s_and_saveexec_b64 s[26:27], s[4:5]
	s_cbranch_execz .LBB241_1363
; %bb.1358:                             ;   in Loop: Header=BB241_818 Depth=1
	v_cmp_ne_u32_sdwa s[4:5], v4, s7 src0_sel:BYTE_3 src1_sel:DWORD
	v_pk_mov_b32 v[12:13], s[12:13], s[12:13] op_sel:[0,1]
	s_and_saveexec_b64 s[28:29], s[4:5]
	s_cbranch_execz .LBB241_1362
; %bb.1359:                             ;   in Loop: Header=BB241_818 Depth=1
	v_bfe_u32 v5, v4, 24, 7
	s_mov_b32 s22, s12
	v_cmp_ne_u32_e64 s[4:5], s15, v5
	v_pk_mov_b32 v[12:13], s[22:23], s[22:23] op_sel:[0,1]
	s_and_saveexec_b64 s[30:31], s[4:5]
	s_cbranch_execz .LBB241_1361
; %bb.1360:                             ;   in Loop: Header=BB241_818 Depth=1
	v_mov_b32_e32 v12, 7
	v_and_b32_sdwa v22, v4, v12 dst_sel:DWORD dst_unused:UNUSED_PAD src0_sel:BYTE_3 src1_sel:DWORD
	v_lshrrev_b32_e32 v16, 3, v5
	v_cmp_gt_u32_e64 s[4:5], 8, v5
	v_ffbh_u32_e32 v5, v22
	v_min_u32_e32 v5, 32, v5
	v_subrev_u32_e32 v12, 28, v5
	v_lshlrev_b64 v[12:13], v12, v[22:23]
	v_sub_u32_e32 v5, 29, v5
	v_mov_b32_e32 v13, 24
	v_and_b32_e32 v12, 7, v12
	v_cndmask_b32_e64 v5, v16, v5, s[4:5]
	v_lshlrev_b32_sdwa v4, v13, v4 dst_sel:DWORD dst_unused:UNUSED_PAD src0_sel:DWORD src1_sel:BYTE_3
	v_bfrev_b32_e32 v13, 60
	v_cndmask_b32_e64 v12, v22, v12, s[4:5]
	v_lshl_add_u32 v5, v5, 23, v13
	v_and_or_b32 v4, v4, s13, v5
	v_lshlrev_b32_e32 v5, 20, v12
	v_or_b32_e32 v13, v4, v5
	v_mov_b32_e32 v12, v23
.LBB241_1361:                           ;   in Loop: Header=BB241_818 Depth=1
	s_or_b64 exec, exec, s[30:31]
.LBB241_1362:                           ;   in Loop: Header=BB241_818 Depth=1
	s_or_b64 exec, exec, s[28:29]
.LBB241_1363:                           ;   in Loop: Header=BB241_818 Depth=1
	s_or_b64 exec, exec, s[26:27]
	v_or_b32_e32 v5, v9, v7
	v_or_b32_e32 v4, v8, v6
	v_pk_mul_f32 v[4:5], v[46:47], v[4:5]
	v_accvgpr_write_b32 a29, v5
	v_accvgpr_write_b32 a28, v4
	v_or_b32_e32 v5, v13, v11
	v_or_b32_e32 v4, v12, v10
	v_pk_mul_f32 v[4:5], v[46:47], v[4:5]
	v_accvgpr_write_b32 a25, v5
	v_accvgpr_write_b32 a24, v4
	s_and_saveexec_b64 s[26:27], vcc
	s_cbranch_execz .LBB241_1365
; %bb.1364:                             ;   in Loop: Header=BB241_818 Depth=1
	v_accvgpr_read_b32 v4, a17
	v_cmp_lt_i32_e64 s[4:5], v4, v62
	v_accvgpr_read_b32 v6, a28
	v_accvgpr_read_b32 v4, a5
	;; [unrolled: 1-line block ×3, first 2 shown]
	v_cndmask_b32_e64 v6, 0, v6, s[4:5]
	v_cmp_lt_i32_e64 s[4:5], v4, v62
	v_cndmask_b32_e64 v7, 0, v7, s[4:5]
	v_accvgpr_write_b32 a29, v7
	v_accvgpr_read_b32 v4, a41
	v_accvgpr_write_b32 a28, v6
	v_cmp_lt_i32_e64 s[4:5], v4, v62
	v_accvgpr_read_b32 v6, a24
	v_accvgpr_read_b32 v4, a1
	;; [unrolled: 1-line block ×3, first 2 shown]
	v_cndmask_b32_e64 v6, 0, v6, s[4:5]
	v_cmp_lt_i32_e64 s[4:5], v4, v62
	v_cndmask_b32_e64 v7, 0, v7, s[4:5]
	v_accvgpr_write_b32 a25, v7
	v_accvgpr_write_b32 a24, v6
.LBB241_1365:                           ;   in Loop: Header=BB241_818 Depth=1
	s_or_b64 exec, exec, s[26:27]
	buffer_load_dword v4, off, s[0:3], s32 offset:560 ; 4-byte Folded Reload
	buffer_load_dword v5, off, s[0:3], s32 offset:564 ; 4-byte Folded Reload
	v_pk_mov_b32 v[8:9], 0, 0
	v_pk_mov_b32 v[6:7], v[8:9], v[8:9] op_sel:[0,1]
	s_waitcnt vmcnt(1)
	v_add_co_u32_e64 v4, s[4:5], v42, v4
	s_waitcnt vmcnt(0)
	v_addc_co_u32_e64 v5, s[4:5], 0, v43, s[4:5]
	flat_load_dword v4, v[4:5]
	s_waitcnt vmcnt(0) lgkmcnt(0)
	v_cmp_ne_u16_sdwa s[4:5], v4, v23 src0_sel:BYTE_0 src1_sel:DWORD
	s_and_saveexec_b64 s[26:27], s[4:5]
	s_cbranch_execz .LBB241_1371
; %bb.1366:                             ;   in Loop: Header=BB241_818 Depth=1
	v_bfrev_b32_e32 v6, 1
	v_cmp_ne_u16_sdwa s[4:5], v4, s7 src0_sel:BYTE_0 src1_sel:DWORD
	v_mov_b32_e32 v7, 0
	s_and_saveexec_b64 s[28:29], s[4:5]
	s_cbranch_execz .LBB241_1370
; %bb.1367:                             ;   in Loop: Header=BB241_818 Depth=1
	v_and_b32_e32 v5, 0x7f, v4
	v_mov_b32_e32 v6, 0x7f800001
	v_cmp_ne_u32_e64 s[4:5], s15, v5
	v_mov_b32_e32 v7, 0
	s_and_saveexec_b64 s[30:31], s[4:5]
	s_cbranch_execz .LBB241_1369
; %bb.1368:                             ;   in Loop: Header=BB241_818 Depth=1
	v_and_b32_e32 v10, 7, v4
	v_lshrrev_b32_e32 v11, 3, v5
	v_cmp_gt_u32_e64 s[4:5], 8, v5
	v_ffbh_u32_e32 v5, v10
	v_min_u32_e32 v5, 32, v5
	v_subrev_u32_e32 v6, 28, v5
	v_lshlrev_b64 v[6:7], v6, v[4:5]
	v_sub_u32_e32 v5, 29, v5
	v_and_b32_e32 v6, 7, v6
	v_cndmask_b32_e64 v5, v11, v5, s[4:5]
	v_cndmask_b32_e64 v6, v10, v6, s[4:5]
	v_bfrev_b32_e32 v10, 60
	v_lshlrev_b32_e32 v6, 20, v6
	v_and_b32_sdwa v7, sext(v4), s13 dst_sel:DWORD dst_unused:UNUSED_PAD src0_sel:BYTE_0 src1_sel:DWORD
	v_lshl_add_u32 v5, v5, 23, v10
	v_or3_b32 v22, v7, v5, v6
	v_pk_mov_b32 v[6:7], v[22:23], v[22:23] op_sel:[0,1]
.LBB241_1369:                           ;   in Loop: Header=BB241_818 Depth=1
	s_or_b64 exec, exec, s[30:31]
.LBB241_1370:                           ;   in Loop: Header=BB241_818 Depth=1
	s_or_b64 exec, exec, s[28:29]
.LBB241_1371:                           ;   in Loop: Header=BB241_818 Depth=1
	s_or_b64 exec, exec, s[26:27]
	v_cmp_ne_u16_sdwa s[4:5], v4, v23 src0_sel:BYTE_1 src1_sel:DWORD
	s_and_saveexec_b64 s[26:27], s[4:5]
	s_cbranch_execz .LBB241_1377
; %bb.1372:                             ;   in Loop: Header=BB241_818 Depth=1
	v_cmp_ne_u16_sdwa s[4:5], v4, s7 src0_sel:BYTE_1 src1_sel:DWORD
	v_pk_mov_b32 v[8:9], s[12:13], s[12:13] op_sel:[0,1]
	s_and_saveexec_b64 s[28:29], s[4:5]
	s_cbranch_execz .LBB241_1376
; %bb.1373:                             ;   in Loop: Header=BB241_818 Depth=1
	v_and_b32_sdwa v5, v4, s15 dst_sel:DWORD dst_unused:UNUSED_PAD src0_sel:BYTE_1 src1_sel:DWORD
	s_mov_b32 s22, s12
	v_cmp_ne_u32_e64 s[4:5], s15, v5
	v_pk_mov_b32 v[8:9], s[22:23], s[22:23] op_sel:[0,1]
	s_and_saveexec_b64 s[30:31], s[4:5]
	s_cbranch_execz .LBB241_1375
; %bb.1374:                             ;   in Loop: Header=BB241_818 Depth=1
	v_mov_b32_e32 v8, 7
	v_and_b32_sdwa v22, v4, v8 dst_sel:DWORD dst_unused:UNUSED_PAD src0_sel:BYTE_1 src1_sel:DWORD
	v_lshrrev_b32_e32 v10, 3, v5
	v_cmp_gt_u32_e64 s[4:5], 8, v5
	v_ffbh_u32_e32 v5, v22
	v_min_u32_e32 v5, 32, v5
	v_subrev_u32_e32 v8, 28, v5
	v_lshlrev_b64 v[8:9], v8, v[22:23]
	v_sub_u32_e32 v5, 29, v5
	v_and_b32_e32 v8, 7, v8
	v_cndmask_b32_e64 v5, v10, v5, s[4:5]
	v_bfrev_b32_e32 v10, 60
	v_cndmask_b32_e64 v8, v22, v8, s[4:5]
	v_lshlrev_b32_e32 v9, 16, v4
	v_lshl_add_u32 v5, v5, 23, v10
	v_and_or_b32 v5, v9, s13, v5
	v_lshlrev_b32_e32 v8, 20, v8
	v_or_b32_e32 v9, v5, v8
	v_mov_b32_e32 v8, v23
.LBB241_1375:                           ;   in Loop: Header=BB241_818 Depth=1
	s_or_b64 exec, exec, s[30:31]
.LBB241_1376:                           ;   in Loop: Header=BB241_818 Depth=1
	s_or_b64 exec, exec, s[28:29]
.LBB241_1377:                           ;   in Loop: Header=BB241_818 Depth=1
	s_or_b64 exec, exec, s[26:27]
	v_lshrrev_b32_e32 v16, 16, v4
	v_pk_mov_b32 v[12:13], 0, 0
	v_cmp_ne_u16_sdwa s[4:5], v16, v23 src0_sel:BYTE_0 src1_sel:DWORD
	v_pk_mov_b32 v[10:11], v[12:13], v[12:13] op_sel:[0,1]
	s_and_saveexec_b64 s[26:27], s[4:5]
	s_cbranch_execz .LBB241_1383
; %bb.1378:                             ;   in Loop: Header=BB241_818 Depth=1
	v_bfrev_b32_e32 v10, 1
	v_cmp_ne_u16_sdwa s[4:5], v16, s7 src0_sel:BYTE_0 src1_sel:DWORD
	v_mov_b32_e32 v11, 0
	s_and_saveexec_b64 s[28:29], s[4:5]
	s_cbranch_execz .LBB241_1382
; %bb.1379:                             ;   in Loop: Header=BB241_818 Depth=1
	v_bfe_u32 v5, v4, 16, 7
	v_mov_b32_e32 v10, 0x7f800001
	v_cmp_ne_u32_e64 s[4:5], s15, v5
	v_mov_b32_e32 v11, 0
	s_and_saveexec_b64 s[30:31], s[4:5]
	s_cbranch_execz .LBB241_1381
; %bb.1380:                             ;   in Loop: Header=BB241_818 Depth=1
	v_and_b32_e32 v17, 7, v16
	v_lshrrev_b32_e32 v18, 3, v5
	v_cmp_gt_u32_e64 s[4:5], 8, v5
	v_ffbh_u32_e32 v5, v17
	v_min_u32_e32 v5, 32, v5
	v_subrev_u32_e32 v10, 28, v5
	v_lshlrev_b64 v[10:11], v10, v[16:17]
	v_sub_u32_e32 v5, 29, v5
	v_and_b32_e32 v10, 7, v10
	v_cndmask_b32_e64 v5, v18, v5, s[4:5]
	v_cndmask_b32_e64 v10, v17, v10, s[4:5]
	v_and_b32_sdwa v11, sext(v16), s13 dst_sel:DWORD dst_unused:UNUSED_PAD src0_sel:BYTE_0 src1_sel:DWORD
	v_bfrev_b32_e32 v16, 60
	v_lshlrev_b32_e32 v10, 20, v10
	v_lshl_add_u32 v5, v5, 23, v16
	v_or3_b32 v22, v11, v5, v10
	v_pk_mov_b32 v[10:11], v[22:23], v[22:23] op_sel:[0,1]
.LBB241_1381:                           ;   in Loop: Header=BB241_818 Depth=1
	s_or_b64 exec, exec, s[30:31]
.LBB241_1382:                           ;   in Loop: Header=BB241_818 Depth=1
	s_or_b64 exec, exec, s[28:29]
.LBB241_1383:                           ;   in Loop: Header=BB241_818 Depth=1
	s_or_b64 exec, exec, s[26:27]
	v_cmp_lt_u32_e64 s[4:5], s34, v4
	s_and_saveexec_b64 s[26:27], s[4:5]
	s_cbranch_execz .LBB241_1389
; %bb.1384:                             ;   in Loop: Header=BB241_818 Depth=1
	v_cmp_ne_u32_sdwa s[4:5], v4, s7 src0_sel:BYTE_3 src1_sel:DWORD
	v_pk_mov_b32 v[12:13], s[12:13], s[12:13] op_sel:[0,1]
	s_and_saveexec_b64 s[28:29], s[4:5]
	s_cbranch_execz .LBB241_1388
; %bb.1385:                             ;   in Loop: Header=BB241_818 Depth=1
	v_bfe_u32 v5, v4, 24, 7
	s_mov_b32 s22, s12
	v_cmp_ne_u32_e64 s[4:5], s15, v5
	v_pk_mov_b32 v[12:13], s[22:23], s[22:23] op_sel:[0,1]
	s_and_saveexec_b64 s[30:31], s[4:5]
	s_cbranch_execz .LBB241_1387
; %bb.1386:                             ;   in Loop: Header=BB241_818 Depth=1
	v_mov_b32_e32 v12, 7
	v_and_b32_sdwa v22, v4, v12 dst_sel:DWORD dst_unused:UNUSED_PAD src0_sel:BYTE_3 src1_sel:DWORD
	v_lshrrev_b32_e32 v16, 3, v5
	v_cmp_gt_u32_e64 s[4:5], 8, v5
	v_ffbh_u32_e32 v5, v22
	v_min_u32_e32 v5, 32, v5
	v_subrev_u32_e32 v12, 28, v5
	v_lshlrev_b64 v[12:13], v12, v[22:23]
	v_sub_u32_e32 v5, 29, v5
	v_mov_b32_e32 v13, 24
	v_and_b32_e32 v12, 7, v12
	v_cndmask_b32_e64 v5, v16, v5, s[4:5]
	v_lshlrev_b32_sdwa v4, v13, v4 dst_sel:DWORD dst_unused:UNUSED_PAD src0_sel:DWORD src1_sel:BYTE_3
	v_bfrev_b32_e32 v13, 60
	v_cndmask_b32_e64 v12, v22, v12, s[4:5]
	v_lshl_add_u32 v5, v5, 23, v13
	v_and_or_b32 v4, v4, s13, v5
	v_lshlrev_b32_e32 v5, 20, v12
	v_or_b32_e32 v13, v4, v5
	v_mov_b32_e32 v12, v23
.LBB241_1387:                           ;   in Loop: Header=BB241_818 Depth=1
	s_or_b64 exec, exec, s[30:31]
.LBB241_1388:                           ;   in Loop: Header=BB241_818 Depth=1
	s_or_b64 exec, exec, s[28:29]
.LBB241_1389:                           ;   in Loop: Header=BB241_818 Depth=1
	s_or_b64 exec, exec, s[26:27]
	v_or_b32_e32 v5, v9, v7
	v_or_b32_e32 v4, v8, v6
	v_pk_mul_f32 v[28:29], v[46:47], v[4:5]
	v_or_b32_e32 v5, v13, v11
	v_or_b32_e32 v4, v12, v10
	v_pk_mul_f32 v[30:31], v[46:47], v[4:5]
	s_and_saveexec_b64 s[26:27], vcc
	s_cbranch_execz .LBB241_1391
; %bb.1390:                             ;   in Loop: Header=BB241_818 Depth=1
	v_accvgpr_read_b32 v4, a17
	v_cmp_lt_i32_e64 s[4:5], v4, v62
	v_accvgpr_read_b32 v4, a5
	v_cndmask_b32_e64 v28, 0, v28, s[4:5]
	v_cmp_lt_i32_e64 s[4:5], v4, v62
	v_accvgpr_read_b32 v4, a41
	v_cndmask_b32_e64 v29, 0, v29, s[4:5]
	;; [unrolled: 3-line block ×3, first 2 shown]
	v_cmp_lt_i32_e64 s[4:5], v4, v62
	v_cndmask_b32_e64 v31, 0, v31, s[4:5]
.LBB241_1391:                           ;   in Loop: Header=BB241_818 Depth=1
	s_or_b64 exec, exec, s[26:27]
	buffer_load_dword v4, off, s[0:3], s32 offset:568 ; 4-byte Folded Reload
	buffer_load_dword v5, off, s[0:3], s32 offset:572 ; 4-byte Folded Reload
	v_pk_mov_b32 v[8:9], 0, 0
	v_pk_mov_b32 v[6:7], v[8:9], v[8:9] op_sel:[0,1]
	s_waitcnt vmcnt(1)
	v_add_co_u32_e64 v4, s[4:5], v42, v4
	s_waitcnt vmcnt(0)
	v_addc_co_u32_e64 v5, s[4:5], 0, v43, s[4:5]
	flat_load_dword v4, v[4:5]
	s_waitcnt vmcnt(0) lgkmcnt(0)
	v_cmp_ne_u16_sdwa s[4:5], v4, v23 src0_sel:BYTE_0 src1_sel:DWORD
	s_and_saveexec_b64 s[26:27], s[4:5]
	s_cbranch_execz .LBB241_1397
; %bb.1392:                             ;   in Loop: Header=BB241_818 Depth=1
	v_bfrev_b32_e32 v6, 1
	v_cmp_ne_u16_sdwa s[4:5], v4, s7 src0_sel:BYTE_0 src1_sel:DWORD
	v_mov_b32_e32 v7, 0
	s_and_saveexec_b64 s[28:29], s[4:5]
	s_cbranch_execz .LBB241_1396
; %bb.1393:                             ;   in Loop: Header=BB241_818 Depth=1
	v_and_b32_e32 v5, 0x7f, v4
	v_mov_b32_e32 v6, 0x7f800001
	v_cmp_ne_u32_e64 s[4:5], s15, v5
	v_mov_b32_e32 v7, 0
	s_and_saveexec_b64 s[30:31], s[4:5]
	s_cbranch_execz .LBB241_1395
; %bb.1394:                             ;   in Loop: Header=BB241_818 Depth=1
	v_and_b32_e32 v10, 7, v4
	v_lshrrev_b32_e32 v11, 3, v5
	v_cmp_gt_u32_e64 s[4:5], 8, v5
	v_ffbh_u32_e32 v5, v10
	v_min_u32_e32 v5, 32, v5
	v_subrev_u32_e32 v6, 28, v5
	v_lshlrev_b64 v[6:7], v6, v[4:5]
	v_sub_u32_e32 v5, 29, v5
	v_and_b32_e32 v6, 7, v6
	v_cndmask_b32_e64 v5, v11, v5, s[4:5]
	v_cndmask_b32_e64 v6, v10, v6, s[4:5]
	v_bfrev_b32_e32 v10, 60
	v_lshlrev_b32_e32 v6, 20, v6
	v_and_b32_sdwa v7, sext(v4), s13 dst_sel:DWORD dst_unused:UNUSED_PAD src0_sel:BYTE_0 src1_sel:DWORD
	v_lshl_add_u32 v5, v5, 23, v10
	v_or3_b32 v22, v7, v5, v6
	v_pk_mov_b32 v[6:7], v[22:23], v[22:23] op_sel:[0,1]
.LBB241_1395:                           ;   in Loop: Header=BB241_818 Depth=1
	s_or_b64 exec, exec, s[30:31]
.LBB241_1396:                           ;   in Loop: Header=BB241_818 Depth=1
	s_or_b64 exec, exec, s[28:29]
.LBB241_1397:                           ;   in Loop: Header=BB241_818 Depth=1
	s_or_b64 exec, exec, s[26:27]
	v_cmp_ne_u16_sdwa s[4:5], v4, v23 src0_sel:BYTE_1 src1_sel:DWORD
	s_and_saveexec_b64 s[26:27], s[4:5]
	s_cbranch_execz .LBB241_1403
; %bb.1398:                             ;   in Loop: Header=BB241_818 Depth=1
	v_cmp_ne_u16_sdwa s[4:5], v4, s7 src0_sel:BYTE_1 src1_sel:DWORD
	v_pk_mov_b32 v[8:9], s[12:13], s[12:13] op_sel:[0,1]
	s_and_saveexec_b64 s[28:29], s[4:5]
	s_cbranch_execz .LBB241_1402
; %bb.1399:                             ;   in Loop: Header=BB241_818 Depth=1
	v_and_b32_sdwa v5, v4, s15 dst_sel:DWORD dst_unused:UNUSED_PAD src0_sel:BYTE_1 src1_sel:DWORD
	s_mov_b32 s22, s12
	v_cmp_ne_u32_e64 s[4:5], s15, v5
	v_pk_mov_b32 v[8:9], s[22:23], s[22:23] op_sel:[0,1]
	s_and_saveexec_b64 s[30:31], s[4:5]
	s_cbranch_execz .LBB241_1401
; %bb.1400:                             ;   in Loop: Header=BB241_818 Depth=1
	v_mov_b32_e32 v8, 7
	v_and_b32_sdwa v22, v4, v8 dst_sel:DWORD dst_unused:UNUSED_PAD src0_sel:BYTE_1 src1_sel:DWORD
	v_lshrrev_b32_e32 v10, 3, v5
	v_cmp_gt_u32_e64 s[4:5], 8, v5
	v_ffbh_u32_e32 v5, v22
	v_min_u32_e32 v5, 32, v5
	v_subrev_u32_e32 v8, 28, v5
	v_lshlrev_b64 v[8:9], v8, v[22:23]
	v_sub_u32_e32 v5, 29, v5
	v_and_b32_e32 v8, 7, v8
	v_cndmask_b32_e64 v5, v10, v5, s[4:5]
	v_bfrev_b32_e32 v10, 60
	v_cndmask_b32_e64 v8, v22, v8, s[4:5]
	v_lshlrev_b32_e32 v9, 16, v4
	v_lshl_add_u32 v5, v5, 23, v10
	v_and_or_b32 v5, v9, s13, v5
	v_lshlrev_b32_e32 v8, 20, v8
	v_or_b32_e32 v9, v5, v8
	v_mov_b32_e32 v8, v23
.LBB241_1401:                           ;   in Loop: Header=BB241_818 Depth=1
	s_or_b64 exec, exec, s[30:31]
.LBB241_1402:                           ;   in Loop: Header=BB241_818 Depth=1
	s_or_b64 exec, exec, s[28:29]
.LBB241_1403:                           ;   in Loop: Header=BB241_818 Depth=1
	s_or_b64 exec, exec, s[26:27]
	v_lshrrev_b32_e32 v16, 16, v4
	v_pk_mov_b32 v[12:13], 0, 0
	v_cmp_ne_u16_sdwa s[4:5], v16, v23 src0_sel:BYTE_0 src1_sel:DWORD
	v_pk_mov_b32 v[10:11], v[12:13], v[12:13] op_sel:[0,1]
	s_and_saveexec_b64 s[26:27], s[4:5]
	s_cbranch_execz .LBB241_1409
; %bb.1404:                             ;   in Loop: Header=BB241_818 Depth=1
	v_bfrev_b32_e32 v10, 1
	v_cmp_ne_u16_sdwa s[4:5], v16, s7 src0_sel:BYTE_0 src1_sel:DWORD
	v_mov_b32_e32 v11, 0
	s_and_saveexec_b64 s[28:29], s[4:5]
	s_cbranch_execz .LBB241_1408
; %bb.1405:                             ;   in Loop: Header=BB241_818 Depth=1
	v_bfe_u32 v5, v4, 16, 7
	v_mov_b32_e32 v10, 0x7f800001
	v_cmp_ne_u32_e64 s[4:5], s15, v5
	v_mov_b32_e32 v11, 0
	s_and_saveexec_b64 s[30:31], s[4:5]
	s_cbranch_execz .LBB241_1407
; %bb.1406:                             ;   in Loop: Header=BB241_818 Depth=1
	v_and_b32_e32 v17, 7, v16
	v_lshrrev_b32_e32 v18, 3, v5
	v_cmp_gt_u32_e64 s[4:5], 8, v5
	v_ffbh_u32_e32 v5, v17
	v_min_u32_e32 v5, 32, v5
	v_subrev_u32_e32 v10, 28, v5
	v_lshlrev_b64 v[10:11], v10, v[16:17]
	v_sub_u32_e32 v5, 29, v5
	v_and_b32_e32 v10, 7, v10
	v_cndmask_b32_e64 v5, v18, v5, s[4:5]
	v_cndmask_b32_e64 v10, v17, v10, s[4:5]
	v_and_b32_sdwa v11, sext(v16), s13 dst_sel:DWORD dst_unused:UNUSED_PAD src0_sel:BYTE_0 src1_sel:DWORD
	v_bfrev_b32_e32 v16, 60
	v_lshlrev_b32_e32 v10, 20, v10
	v_lshl_add_u32 v5, v5, 23, v16
	v_or3_b32 v22, v11, v5, v10
	v_pk_mov_b32 v[10:11], v[22:23], v[22:23] op_sel:[0,1]
.LBB241_1407:                           ;   in Loop: Header=BB241_818 Depth=1
	s_or_b64 exec, exec, s[30:31]
.LBB241_1408:                           ;   in Loop: Header=BB241_818 Depth=1
	s_or_b64 exec, exec, s[28:29]
.LBB241_1409:                           ;   in Loop: Header=BB241_818 Depth=1
	s_or_b64 exec, exec, s[26:27]
	v_cmp_lt_u32_e64 s[4:5], s34, v4
	s_and_saveexec_b64 s[26:27], s[4:5]
	s_cbranch_execz .LBB241_1415
; %bb.1410:                             ;   in Loop: Header=BB241_818 Depth=1
	v_cmp_ne_u32_sdwa s[4:5], v4, s7 src0_sel:BYTE_3 src1_sel:DWORD
	v_pk_mov_b32 v[12:13], s[12:13], s[12:13] op_sel:[0,1]
	s_and_saveexec_b64 s[28:29], s[4:5]
	s_cbranch_execz .LBB241_1414
; %bb.1411:                             ;   in Loop: Header=BB241_818 Depth=1
	v_bfe_u32 v5, v4, 24, 7
	s_mov_b32 s22, s12
	v_cmp_ne_u32_e64 s[4:5], s15, v5
	v_pk_mov_b32 v[12:13], s[22:23], s[22:23] op_sel:[0,1]
	s_and_saveexec_b64 s[30:31], s[4:5]
	s_cbranch_execz .LBB241_1413
; %bb.1412:                             ;   in Loop: Header=BB241_818 Depth=1
	v_mov_b32_e32 v12, 7
	v_and_b32_sdwa v22, v4, v12 dst_sel:DWORD dst_unused:UNUSED_PAD src0_sel:BYTE_3 src1_sel:DWORD
	v_lshrrev_b32_e32 v16, 3, v5
	v_cmp_gt_u32_e64 s[4:5], 8, v5
	v_ffbh_u32_e32 v5, v22
	v_min_u32_e32 v5, 32, v5
	v_subrev_u32_e32 v12, 28, v5
	v_lshlrev_b64 v[12:13], v12, v[22:23]
	v_sub_u32_e32 v5, 29, v5
	v_mov_b32_e32 v13, 24
	v_and_b32_e32 v12, 7, v12
	v_cndmask_b32_e64 v5, v16, v5, s[4:5]
	v_lshlrev_b32_sdwa v4, v13, v4 dst_sel:DWORD dst_unused:UNUSED_PAD src0_sel:DWORD src1_sel:BYTE_3
	v_bfrev_b32_e32 v13, 60
	v_cndmask_b32_e64 v12, v22, v12, s[4:5]
	v_lshl_add_u32 v5, v5, 23, v13
	v_and_or_b32 v4, v4, s13, v5
	v_lshlrev_b32_e32 v5, 20, v12
	v_or_b32_e32 v13, v4, v5
	v_mov_b32_e32 v12, v23
.LBB241_1413:                           ;   in Loop: Header=BB241_818 Depth=1
	s_or_b64 exec, exec, s[30:31]
.LBB241_1414:                           ;   in Loop: Header=BB241_818 Depth=1
	s_or_b64 exec, exec, s[28:29]
.LBB241_1415:                           ;   in Loop: Header=BB241_818 Depth=1
	s_or_b64 exec, exec, s[26:27]
	v_or_b32_e32 v5, v9, v7
	v_or_b32_e32 v4, v8, v6
	v_pk_mul_f32 v[32:33], v[46:47], v[4:5]
	v_or_b32_e32 v5, v13, v11
	v_or_b32_e32 v4, v12, v10
	v_pk_mul_f32 v[34:35], v[46:47], v[4:5]
	s_and_saveexec_b64 s[26:27], vcc
	s_cbranch_execz .LBB241_1417
; %bb.1416:                             ;   in Loop: Header=BB241_818 Depth=1
	v_accvgpr_read_b32 v4, a17
	v_cmp_lt_i32_e64 s[4:5], v4, v62
	v_accvgpr_read_b32 v4, a5
	v_cndmask_b32_e64 v32, 0, v32, s[4:5]
	v_cmp_lt_i32_e64 s[4:5], v4, v62
	v_accvgpr_read_b32 v4, a41
	v_cndmask_b32_e64 v33, 0, v33, s[4:5]
	;; [unrolled: 3-line block ×3, first 2 shown]
	v_cmp_lt_i32_e64 s[4:5], v4, v62
	v_cndmask_b32_e64 v35, 0, v35, s[4:5]
.LBB241_1417:                           ;   in Loop: Header=BB241_818 Depth=1
	s_or_b64 exec, exec, s[26:27]
	buffer_load_dword v4, off, s[0:3], s32 offset:576 ; 4-byte Folded Reload
	buffer_load_dword v5, off, s[0:3], s32 offset:580 ; 4-byte Folded Reload
	v_pk_mov_b32 v[8:9], 0, 0
	v_pk_mov_b32 v[6:7], v[8:9], v[8:9] op_sel:[0,1]
	s_waitcnt vmcnt(1)
	v_add_co_u32_e64 v4, s[4:5], v42, v4
	s_waitcnt vmcnt(0)
	v_addc_co_u32_e64 v5, s[4:5], 0, v43, s[4:5]
	flat_load_dword v4, v[4:5]
	s_waitcnt vmcnt(0) lgkmcnt(0)
	v_cmp_ne_u16_sdwa s[4:5], v4, v23 src0_sel:BYTE_0 src1_sel:DWORD
	s_and_saveexec_b64 s[26:27], s[4:5]
	s_cbranch_execz .LBB241_1423
; %bb.1418:                             ;   in Loop: Header=BB241_818 Depth=1
	v_bfrev_b32_e32 v6, 1
	v_cmp_ne_u16_sdwa s[4:5], v4, s7 src0_sel:BYTE_0 src1_sel:DWORD
	v_mov_b32_e32 v7, 0
	s_and_saveexec_b64 s[28:29], s[4:5]
	s_cbranch_execz .LBB241_1422
; %bb.1419:                             ;   in Loop: Header=BB241_818 Depth=1
	v_and_b32_e32 v5, 0x7f, v4
	v_mov_b32_e32 v6, 0x7f800001
	v_cmp_ne_u32_e64 s[4:5], s15, v5
	v_mov_b32_e32 v7, 0
	s_and_saveexec_b64 s[30:31], s[4:5]
	s_cbranch_execz .LBB241_1421
; %bb.1420:                             ;   in Loop: Header=BB241_818 Depth=1
	v_and_b32_e32 v10, 7, v4
	v_lshrrev_b32_e32 v11, 3, v5
	v_cmp_gt_u32_e64 s[4:5], 8, v5
	v_ffbh_u32_e32 v5, v10
	v_min_u32_e32 v5, 32, v5
	v_subrev_u32_e32 v6, 28, v5
	v_lshlrev_b64 v[6:7], v6, v[4:5]
	v_sub_u32_e32 v5, 29, v5
	v_and_b32_e32 v6, 7, v6
	v_cndmask_b32_e64 v5, v11, v5, s[4:5]
	v_cndmask_b32_e64 v6, v10, v6, s[4:5]
	v_bfrev_b32_e32 v10, 60
	v_lshlrev_b32_e32 v6, 20, v6
	v_and_b32_sdwa v7, sext(v4), s13 dst_sel:DWORD dst_unused:UNUSED_PAD src0_sel:BYTE_0 src1_sel:DWORD
	v_lshl_add_u32 v5, v5, 23, v10
	v_or3_b32 v22, v7, v5, v6
	v_pk_mov_b32 v[6:7], v[22:23], v[22:23] op_sel:[0,1]
.LBB241_1421:                           ;   in Loop: Header=BB241_818 Depth=1
	s_or_b64 exec, exec, s[30:31]
.LBB241_1422:                           ;   in Loop: Header=BB241_818 Depth=1
	s_or_b64 exec, exec, s[28:29]
.LBB241_1423:                           ;   in Loop: Header=BB241_818 Depth=1
	s_or_b64 exec, exec, s[26:27]
	v_cmp_ne_u16_sdwa s[4:5], v4, v23 src0_sel:BYTE_1 src1_sel:DWORD
	s_and_saveexec_b64 s[26:27], s[4:5]
	s_cbranch_execz .LBB241_1429
; %bb.1424:                             ;   in Loop: Header=BB241_818 Depth=1
	v_cmp_ne_u16_sdwa s[4:5], v4, s7 src0_sel:BYTE_1 src1_sel:DWORD
	v_pk_mov_b32 v[8:9], s[12:13], s[12:13] op_sel:[0,1]
	s_and_saveexec_b64 s[28:29], s[4:5]
	s_cbranch_execz .LBB241_1428
; %bb.1425:                             ;   in Loop: Header=BB241_818 Depth=1
	v_and_b32_sdwa v5, v4, s15 dst_sel:DWORD dst_unused:UNUSED_PAD src0_sel:BYTE_1 src1_sel:DWORD
	s_mov_b32 s22, s12
	v_cmp_ne_u32_e64 s[4:5], s15, v5
	v_pk_mov_b32 v[8:9], s[22:23], s[22:23] op_sel:[0,1]
	s_and_saveexec_b64 s[30:31], s[4:5]
	s_cbranch_execz .LBB241_1427
; %bb.1426:                             ;   in Loop: Header=BB241_818 Depth=1
	v_mov_b32_e32 v8, 7
	v_and_b32_sdwa v22, v4, v8 dst_sel:DWORD dst_unused:UNUSED_PAD src0_sel:BYTE_1 src1_sel:DWORD
	v_lshrrev_b32_e32 v10, 3, v5
	v_cmp_gt_u32_e64 s[4:5], 8, v5
	v_ffbh_u32_e32 v5, v22
	v_min_u32_e32 v5, 32, v5
	v_subrev_u32_e32 v8, 28, v5
	v_lshlrev_b64 v[8:9], v8, v[22:23]
	v_sub_u32_e32 v5, 29, v5
	v_and_b32_e32 v8, 7, v8
	v_cndmask_b32_e64 v5, v10, v5, s[4:5]
	v_bfrev_b32_e32 v10, 60
	v_cndmask_b32_e64 v8, v22, v8, s[4:5]
	v_lshlrev_b32_e32 v9, 16, v4
	v_lshl_add_u32 v5, v5, 23, v10
	v_and_or_b32 v5, v9, s13, v5
	v_lshlrev_b32_e32 v8, 20, v8
	v_or_b32_e32 v9, v5, v8
	v_mov_b32_e32 v8, v23
.LBB241_1427:                           ;   in Loop: Header=BB241_818 Depth=1
	s_or_b64 exec, exec, s[30:31]
.LBB241_1428:                           ;   in Loop: Header=BB241_818 Depth=1
	s_or_b64 exec, exec, s[28:29]
.LBB241_1429:                           ;   in Loop: Header=BB241_818 Depth=1
	s_or_b64 exec, exec, s[26:27]
	v_lshrrev_b32_e32 v16, 16, v4
	v_pk_mov_b32 v[12:13], 0, 0
	v_cmp_ne_u16_sdwa s[4:5], v16, v23 src0_sel:BYTE_0 src1_sel:DWORD
	v_pk_mov_b32 v[10:11], v[12:13], v[12:13] op_sel:[0,1]
	s_and_saveexec_b64 s[26:27], s[4:5]
	s_cbranch_execz .LBB241_1435
; %bb.1430:                             ;   in Loop: Header=BB241_818 Depth=1
	v_bfrev_b32_e32 v10, 1
	v_cmp_ne_u16_sdwa s[4:5], v16, s7 src0_sel:BYTE_0 src1_sel:DWORD
	v_mov_b32_e32 v11, 0
	s_and_saveexec_b64 s[28:29], s[4:5]
	s_cbranch_execz .LBB241_1434
; %bb.1431:                             ;   in Loop: Header=BB241_818 Depth=1
	v_bfe_u32 v5, v4, 16, 7
	v_mov_b32_e32 v10, 0x7f800001
	v_cmp_ne_u32_e64 s[4:5], s15, v5
	v_mov_b32_e32 v11, 0
	s_and_saveexec_b64 s[30:31], s[4:5]
	s_cbranch_execz .LBB241_1433
; %bb.1432:                             ;   in Loop: Header=BB241_818 Depth=1
	v_and_b32_e32 v17, 7, v16
	v_lshrrev_b32_e32 v18, 3, v5
	v_cmp_gt_u32_e64 s[4:5], 8, v5
	v_ffbh_u32_e32 v5, v17
	v_min_u32_e32 v5, 32, v5
	v_subrev_u32_e32 v10, 28, v5
	v_lshlrev_b64 v[10:11], v10, v[16:17]
	v_sub_u32_e32 v5, 29, v5
	v_and_b32_e32 v10, 7, v10
	v_cndmask_b32_e64 v5, v18, v5, s[4:5]
	v_cndmask_b32_e64 v10, v17, v10, s[4:5]
	v_and_b32_sdwa v11, sext(v16), s13 dst_sel:DWORD dst_unused:UNUSED_PAD src0_sel:BYTE_0 src1_sel:DWORD
	v_bfrev_b32_e32 v16, 60
	v_lshlrev_b32_e32 v10, 20, v10
	v_lshl_add_u32 v5, v5, 23, v16
	v_or3_b32 v22, v11, v5, v10
	v_pk_mov_b32 v[10:11], v[22:23], v[22:23] op_sel:[0,1]
.LBB241_1433:                           ;   in Loop: Header=BB241_818 Depth=1
	s_or_b64 exec, exec, s[30:31]
.LBB241_1434:                           ;   in Loop: Header=BB241_818 Depth=1
	s_or_b64 exec, exec, s[28:29]
.LBB241_1435:                           ;   in Loop: Header=BB241_818 Depth=1
	s_or_b64 exec, exec, s[26:27]
	v_cmp_lt_u32_e64 s[4:5], s34, v4
	s_and_saveexec_b64 s[26:27], s[4:5]
	s_cbranch_execz .LBB241_1441
; %bb.1436:                             ;   in Loop: Header=BB241_818 Depth=1
	v_cmp_ne_u32_sdwa s[4:5], v4, s7 src0_sel:BYTE_3 src1_sel:DWORD
	v_pk_mov_b32 v[12:13], s[12:13], s[12:13] op_sel:[0,1]
	s_and_saveexec_b64 s[28:29], s[4:5]
	s_cbranch_execz .LBB241_1440
; %bb.1437:                             ;   in Loop: Header=BB241_818 Depth=1
	v_bfe_u32 v5, v4, 24, 7
	s_mov_b32 s22, s12
	v_cmp_ne_u32_e64 s[4:5], s15, v5
	v_pk_mov_b32 v[12:13], s[22:23], s[22:23] op_sel:[0,1]
	s_and_saveexec_b64 s[30:31], s[4:5]
	s_cbranch_execz .LBB241_1439
; %bb.1438:                             ;   in Loop: Header=BB241_818 Depth=1
	v_mov_b32_e32 v12, 7
	v_and_b32_sdwa v22, v4, v12 dst_sel:DWORD dst_unused:UNUSED_PAD src0_sel:BYTE_3 src1_sel:DWORD
	v_lshrrev_b32_e32 v16, 3, v5
	v_cmp_gt_u32_e64 s[4:5], 8, v5
	v_ffbh_u32_e32 v5, v22
	v_min_u32_e32 v5, 32, v5
	v_subrev_u32_e32 v12, 28, v5
	v_lshlrev_b64 v[12:13], v12, v[22:23]
	v_sub_u32_e32 v5, 29, v5
	v_mov_b32_e32 v13, 24
	v_and_b32_e32 v12, 7, v12
	v_cndmask_b32_e64 v5, v16, v5, s[4:5]
	v_lshlrev_b32_sdwa v4, v13, v4 dst_sel:DWORD dst_unused:UNUSED_PAD src0_sel:DWORD src1_sel:BYTE_3
	v_bfrev_b32_e32 v13, 60
	v_cndmask_b32_e64 v12, v22, v12, s[4:5]
	v_lshl_add_u32 v5, v5, 23, v13
	v_and_or_b32 v4, v4, s13, v5
	v_lshlrev_b32_e32 v5, 20, v12
	v_or_b32_e32 v13, v4, v5
	v_mov_b32_e32 v12, v23
.LBB241_1439:                           ;   in Loop: Header=BB241_818 Depth=1
	s_or_b64 exec, exec, s[30:31]
.LBB241_1440:                           ;   in Loop: Header=BB241_818 Depth=1
	s_or_b64 exec, exec, s[28:29]
.LBB241_1441:                           ;   in Loop: Header=BB241_818 Depth=1
	s_or_b64 exec, exec, s[26:27]
	v_or_b32_e32 v5, v9, v7
	v_or_b32_e32 v4, v8, v6
	v_pk_mul_f32 v[36:37], v[46:47], v[4:5]
	v_or_b32_e32 v5, v13, v11
	v_or_b32_e32 v4, v12, v10
	v_pk_mul_f32 v[38:39], v[46:47], v[4:5]
	s_and_saveexec_b64 s[26:27], vcc
	s_cbranch_execz .LBB241_1443
; %bb.1442:                             ;   in Loop: Header=BB241_818 Depth=1
	v_accvgpr_read_b32 v4, a17
	v_cmp_lt_i32_e64 s[4:5], v4, v62
	v_accvgpr_read_b32 v4, a5
	v_cndmask_b32_e64 v36, 0, v36, s[4:5]
	v_cmp_lt_i32_e64 s[4:5], v4, v62
	v_accvgpr_read_b32 v4, a41
	v_cndmask_b32_e64 v37, 0, v37, s[4:5]
	;; [unrolled: 3-line block ×3, first 2 shown]
	v_cmp_lt_i32_e64 s[4:5], v4, v62
	v_cndmask_b32_e64 v39, 0, v39, s[4:5]
.LBB241_1443:                           ;   in Loop: Header=BB241_818 Depth=1
	s_or_b64 exec, exec, s[26:27]
	buffer_load_dword v4, off, s[0:3], s32 offset:584 ; 4-byte Folded Reload
	buffer_load_dword v5, off, s[0:3], s32 offset:588 ; 4-byte Folded Reload
	v_pk_mov_b32 v[8:9], 0, 0
	v_pk_mov_b32 v[6:7], v[8:9], v[8:9] op_sel:[0,1]
	s_waitcnt vmcnt(1)
	v_add_co_u32_e64 v4, s[4:5], v42, v4
	s_waitcnt vmcnt(0)
	v_addc_co_u32_e64 v5, s[4:5], 0, v43, s[4:5]
	flat_load_dword v4, v[4:5]
	s_waitcnt vmcnt(0) lgkmcnt(0)
	v_cmp_ne_u16_sdwa s[4:5], v4, v23 src0_sel:BYTE_0 src1_sel:DWORD
	s_and_saveexec_b64 s[26:27], s[4:5]
	s_cbranch_execz .LBB241_1449
; %bb.1444:                             ;   in Loop: Header=BB241_818 Depth=1
	v_bfrev_b32_e32 v6, 1
	v_cmp_ne_u16_sdwa s[4:5], v4, s7 src0_sel:BYTE_0 src1_sel:DWORD
	v_mov_b32_e32 v7, 0
	s_and_saveexec_b64 s[28:29], s[4:5]
	s_cbranch_execz .LBB241_1448
; %bb.1445:                             ;   in Loop: Header=BB241_818 Depth=1
	v_and_b32_e32 v5, 0x7f, v4
	v_mov_b32_e32 v6, 0x7f800001
	v_cmp_ne_u32_e64 s[4:5], s15, v5
	v_mov_b32_e32 v7, 0
	s_and_saveexec_b64 s[30:31], s[4:5]
	s_cbranch_execz .LBB241_1447
; %bb.1446:                             ;   in Loop: Header=BB241_818 Depth=1
	v_and_b32_e32 v10, 7, v4
	v_lshrrev_b32_e32 v11, 3, v5
	v_cmp_gt_u32_e64 s[4:5], 8, v5
	v_ffbh_u32_e32 v5, v10
	v_min_u32_e32 v5, 32, v5
	v_subrev_u32_e32 v6, 28, v5
	v_lshlrev_b64 v[6:7], v6, v[4:5]
	v_sub_u32_e32 v5, 29, v5
	v_and_b32_e32 v6, 7, v6
	v_cndmask_b32_e64 v5, v11, v5, s[4:5]
	v_cndmask_b32_e64 v6, v10, v6, s[4:5]
	v_bfrev_b32_e32 v10, 60
	v_lshlrev_b32_e32 v6, 20, v6
	v_and_b32_sdwa v7, sext(v4), s13 dst_sel:DWORD dst_unused:UNUSED_PAD src0_sel:BYTE_0 src1_sel:DWORD
	v_lshl_add_u32 v5, v5, 23, v10
	v_or3_b32 v22, v7, v5, v6
	v_pk_mov_b32 v[6:7], v[22:23], v[22:23] op_sel:[0,1]
.LBB241_1447:                           ;   in Loop: Header=BB241_818 Depth=1
	s_or_b64 exec, exec, s[30:31]
.LBB241_1448:                           ;   in Loop: Header=BB241_818 Depth=1
	s_or_b64 exec, exec, s[28:29]
.LBB241_1449:                           ;   in Loop: Header=BB241_818 Depth=1
	s_or_b64 exec, exec, s[26:27]
	v_cmp_ne_u16_sdwa s[4:5], v4, v23 src0_sel:BYTE_1 src1_sel:DWORD
	s_and_saveexec_b64 s[26:27], s[4:5]
	s_cbranch_execz .LBB241_1455
; %bb.1450:                             ;   in Loop: Header=BB241_818 Depth=1
	v_cmp_ne_u16_sdwa s[4:5], v4, s7 src0_sel:BYTE_1 src1_sel:DWORD
	v_pk_mov_b32 v[8:9], s[12:13], s[12:13] op_sel:[0,1]
	s_and_saveexec_b64 s[28:29], s[4:5]
	s_cbranch_execz .LBB241_1454
; %bb.1451:                             ;   in Loop: Header=BB241_818 Depth=1
	v_and_b32_sdwa v5, v4, s15 dst_sel:DWORD dst_unused:UNUSED_PAD src0_sel:BYTE_1 src1_sel:DWORD
	s_mov_b32 s22, s12
	v_cmp_ne_u32_e64 s[4:5], s15, v5
	v_pk_mov_b32 v[8:9], s[22:23], s[22:23] op_sel:[0,1]
	s_and_saveexec_b64 s[30:31], s[4:5]
	s_cbranch_execz .LBB241_1453
; %bb.1452:                             ;   in Loop: Header=BB241_818 Depth=1
	v_mov_b32_e32 v8, 7
	v_and_b32_sdwa v22, v4, v8 dst_sel:DWORD dst_unused:UNUSED_PAD src0_sel:BYTE_1 src1_sel:DWORD
	v_lshrrev_b32_e32 v10, 3, v5
	v_cmp_gt_u32_e64 s[4:5], 8, v5
	v_ffbh_u32_e32 v5, v22
	v_min_u32_e32 v5, 32, v5
	v_subrev_u32_e32 v8, 28, v5
	v_lshlrev_b64 v[8:9], v8, v[22:23]
	v_sub_u32_e32 v5, 29, v5
	v_and_b32_e32 v8, 7, v8
	v_cndmask_b32_e64 v5, v10, v5, s[4:5]
	v_bfrev_b32_e32 v10, 60
	v_cndmask_b32_e64 v8, v22, v8, s[4:5]
	v_lshlrev_b32_e32 v9, 16, v4
	v_lshl_add_u32 v5, v5, 23, v10
	v_and_or_b32 v5, v9, s13, v5
	v_lshlrev_b32_e32 v8, 20, v8
	v_or_b32_e32 v9, v5, v8
	v_mov_b32_e32 v8, v23
.LBB241_1453:                           ;   in Loop: Header=BB241_818 Depth=1
	s_or_b64 exec, exec, s[30:31]
.LBB241_1454:                           ;   in Loop: Header=BB241_818 Depth=1
	s_or_b64 exec, exec, s[28:29]
.LBB241_1455:                           ;   in Loop: Header=BB241_818 Depth=1
	s_or_b64 exec, exec, s[26:27]
	v_lshrrev_b32_e32 v16, 16, v4
	v_pk_mov_b32 v[12:13], 0, 0
	v_cmp_ne_u16_sdwa s[4:5], v16, v23 src0_sel:BYTE_0 src1_sel:DWORD
	v_pk_mov_b32 v[10:11], v[12:13], v[12:13] op_sel:[0,1]
	s_and_saveexec_b64 s[26:27], s[4:5]
	s_cbranch_execz .LBB241_1461
; %bb.1456:                             ;   in Loop: Header=BB241_818 Depth=1
	v_bfrev_b32_e32 v10, 1
	v_cmp_ne_u16_sdwa s[4:5], v16, s7 src0_sel:BYTE_0 src1_sel:DWORD
	v_mov_b32_e32 v11, 0
	s_and_saveexec_b64 s[28:29], s[4:5]
	s_cbranch_execz .LBB241_1460
; %bb.1457:                             ;   in Loop: Header=BB241_818 Depth=1
	v_bfe_u32 v5, v4, 16, 7
	v_mov_b32_e32 v10, 0x7f800001
	v_cmp_ne_u32_e64 s[4:5], s15, v5
	v_mov_b32_e32 v11, 0
	s_and_saveexec_b64 s[30:31], s[4:5]
	s_cbranch_execz .LBB241_1459
; %bb.1458:                             ;   in Loop: Header=BB241_818 Depth=1
	v_and_b32_e32 v17, 7, v16
	v_lshrrev_b32_e32 v18, 3, v5
	v_cmp_gt_u32_e64 s[4:5], 8, v5
	v_ffbh_u32_e32 v5, v17
	v_min_u32_e32 v5, 32, v5
	v_subrev_u32_e32 v10, 28, v5
	v_lshlrev_b64 v[10:11], v10, v[16:17]
	v_sub_u32_e32 v5, 29, v5
	v_and_b32_e32 v10, 7, v10
	v_cndmask_b32_e64 v5, v18, v5, s[4:5]
	v_cndmask_b32_e64 v10, v17, v10, s[4:5]
	v_and_b32_sdwa v11, sext(v16), s13 dst_sel:DWORD dst_unused:UNUSED_PAD src0_sel:BYTE_0 src1_sel:DWORD
	v_bfrev_b32_e32 v16, 60
	v_lshlrev_b32_e32 v10, 20, v10
	v_lshl_add_u32 v5, v5, 23, v16
	v_or3_b32 v22, v11, v5, v10
	v_pk_mov_b32 v[10:11], v[22:23], v[22:23] op_sel:[0,1]
.LBB241_1459:                           ;   in Loop: Header=BB241_818 Depth=1
	s_or_b64 exec, exec, s[30:31]
.LBB241_1460:                           ;   in Loop: Header=BB241_818 Depth=1
	s_or_b64 exec, exec, s[28:29]
.LBB241_1461:                           ;   in Loop: Header=BB241_818 Depth=1
	s_or_b64 exec, exec, s[26:27]
	v_cmp_lt_u32_e64 s[4:5], s34, v4
	s_and_saveexec_b64 s[26:27], s[4:5]
	s_cbranch_execz .LBB241_1467
; %bb.1462:                             ;   in Loop: Header=BB241_818 Depth=1
	v_cmp_ne_u32_sdwa s[4:5], v4, s7 src0_sel:BYTE_3 src1_sel:DWORD
	v_pk_mov_b32 v[12:13], s[12:13], s[12:13] op_sel:[0,1]
	s_and_saveexec_b64 s[28:29], s[4:5]
	s_cbranch_execz .LBB241_1466
; %bb.1463:                             ;   in Loop: Header=BB241_818 Depth=1
	v_bfe_u32 v5, v4, 24, 7
	s_mov_b32 s22, s12
	v_cmp_ne_u32_e64 s[4:5], s15, v5
	v_pk_mov_b32 v[12:13], s[22:23], s[22:23] op_sel:[0,1]
	s_and_saveexec_b64 s[30:31], s[4:5]
	s_cbranch_execz .LBB241_1465
; %bb.1464:                             ;   in Loop: Header=BB241_818 Depth=1
	v_mov_b32_e32 v12, 7
	v_and_b32_sdwa v22, v4, v12 dst_sel:DWORD dst_unused:UNUSED_PAD src0_sel:BYTE_3 src1_sel:DWORD
	v_lshrrev_b32_e32 v16, 3, v5
	v_cmp_gt_u32_e64 s[4:5], 8, v5
	v_ffbh_u32_e32 v5, v22
	v_min_u32_e32 v5, 32, v5
	v_subrev_u32_e32 v12, 28, v5
	v_lshlrev_b64 v[12:13], v12, v[22:23]
	v_sub_u32_e32 v5, 29, v5
	v_mov_b32_e32 v13, 24
	v_and_b32_e32 v12, 7, v12
	v_cndmask_b32_e64 v5, v16, v5, s[4:5]
	v_lshlrev_b32_sdwa v4, v13, v4 dst_sel:DWORD dst_unused:UNUSED_PAD src0_sel:DWORD src1_sel:BYTE_3
	v_bfrev_b32_e32 v13, 60
	v_cndmask_b32_e64 v12, v22, v12, s[4:5]
	v_lshl_add_u32 v5, v5, 23, v13
	v_and_or_b32 v4, v4, s13, v5
	v_lshlrev_b32_e32 v5, 20, v12
	v_or_b32_e32 v13, v4, v5
	v_mov_b32_e32 v12, v23
.LBB241_1465:                           ;   in Loop: Header=BB241_818 Depth=1
	s_or_b64 exec, exec, s[30:31]
.LBB241_1466:                           ;   in Loop: Header=BB241_818 Depth=1
	s_or_b64 exec, exec, s[28:29]
.LBB241_1467:                           ;   in Loop: Header=BB241_818 Depth=1
	s_or_b64 exec, exec, s[26:27]
	v_or_b32_e32 v5, v9, v7
	v_or_b32_e32 v4, v8, v6
	v_pk_mul_f32 v[48:49], v[46:47], v[4:5]
	v_or_b32_e32 v5, v13, v11
	v_or_b32_e32 v4, v12, v10
	v_pk_mul_f32 v[26:27], v[46:47], v[4:5]
	s_and_saveexec_b64 s[26:27], vcc
	s_cbranch_execz .LBB241_1469
; %bb.1468:                             ;   in Loop: Header=BB241_818 Depth=1
	v_accvgpr_read_b32 v4, a17
	v_cmp_lt_i32_e64 s[4:5], v4, v62
	v_accvgpr_read_b32 v4, a5
	v_cndmask_b32_e64 v48, 0, v48, s[4:5]
	v_cmp_lt_i32_e64 s[4:5], v4, v62
	v_accvgpr_read_b32 v4, a41
	v_cndmask_b32_e64 v49, 0, v49, s[4:5]
	;; [unrolled: 3-line block ×3, first 2 shown]
	v_cmp_lt_i32_e64 s[4:5], v4, v62
	v_cndmask_b32_e64 v27, 0, v27, s[4:5]
.LBB241_1469:                           ;   in Loop: Header=BB241_818 Depth=1
	s_or_b64 exec, exec, s[26:27]
	buffer_load_dword v4, off, s[0:3], s32 offset:608 ; 4-byte Folded Reload
	buffer_load_dword v5, off, s[0:3], s32 offset:612 ; 4-byte Folded Reload
	v_pk_mov_b32 v[8:9], 0, 0
	v_pk_mov_b32 v[6:7], v[8:9], v[8:9] op_sel:[0,1]
	s_waitcnt vmcnt(1)
	v_add_co_u32_e64 v4, s[4:5], v42, v4
	s_waitcnt vmcnt(0)
	v_addc_co_u32_e64 v5, s[4:5], 0, v43, s[4:5]
	flat_load_dword v4, v[4:5]
	s_waitcnt vmcnt(0) lgkmcnt(0)
	v_cmp_ne_u16_sdwa s[4:5], v4, v23 src0_sel:BYTE_0 src1_sel:DWORD
	s_and_saveexec_b64 s[26:27], s[4:5]
	s_cbranch_execz .LBB241_1475
; %bb.1470:                             ;   in Loop: Header=BB241_818 Depth=1
	v_bfrev_b32_e32 v6, 1
	v_cmp_ne_u16_sdwa s[4:5], v4, s7 src0_sel:BYTE_0 src1_sel:DWORD
	v_mov_b32_e32 v7, 0
	s_and_saveexec_b64 s[28:29], s[4:5]
	s_cbranch_execz .LBB241_1474
; %bb.1471:                             ;   in Loop: Header=BB241_818 Depth=1
	v_and_b32_e32 v5, 0x7f, v4
	v_mov_b32_e32 v6, 0x7f800001
	v_cmp_ne_u32_e64 s[4:5], s15, v5
	v_mov_b32_e32 v7, 0
	s_and_saveexec_b64 s[30:31], s[4:5]
	s_cbranch_execz .LBB241_1473
; %bb.1472:                             ;   in Loop: Header=BB241_818 Depth=1
	v_and_b32_e32 v10, 7, v4
	v_lshrrev_b32_e32 v11, 3, v5
	v_cmp_gt_u32_e64 s[4:5], 8, v5
	v_ffbh_u32_e32 v5, v10
	v_min_u32_e32 v5, 32, v5
	v_subrev_u32_e32 v6, 28, v5
	v_lshlrev_b64 v[6:7], v6, v[4:5]
	v_sub_u32_e32 v5, 29, v5
	v_and_b32_e32 v6, 7, v6
	v_cndmask_b32_e64 v5, v11, v5, s[4:5]
	v_cndmask_b32_e64 v6, v10, v6, s[4:5]
	v_bfrev_b32_e32 v10, 60
	v_lshlrev_b32_e32 v6, 20, v6
	v_and_b32_sdwa v7, sext(v4), s13 dst_sel:DWORD dst_unused:UNUSED_PAD src0_sel:BYTE_0 src1_sel:DWORD
	v_lshl_add_u32 v5, v5, 23, v10
	v_or3_b32 v22, v7, v5, v6
	v_pk_mov_b32 v[6:7], v[22:23], v[22:23] op_sel:[0,1]
.LBB241_1473:                           ;   in Loop: Header=BB241_818 Depth=1
	s_or_b64 exec, exec, s[30:31]
.LBB241_1474:                           ;   in Loop: Header=BB241_818 Depth=1
	s_or_b64 exec, exec, s[28:29]
.LBB241_1475:                           ;   in Loop: Header=BB241_818 Depth=1
	s_or_b64 exec, exec, s[26:27]
	v_cmp_ne_u16_sdwa s[4:5], v4, v23 src0_sel:BYTE_1 src1_sel:DWORD
	s_and_saveexec_b64 s[26:27], s[4:5]
	s_cbranch_execz .LBB241_1481
; %bb.1476:                             ;   in Loop: Header=BB241_818 Depth=1
	v_cmp_ne_u16_sdwa s[4:5], v4, s7 src0_sel:BYTE_1 src1_sel:DWORD
	v_pk_mov_b32 v[8:9], s[12:13], s[12:13] op_sel:[0,1]
	s_and_saveexec_b64 s[28:29], s[4:5]
	s_cbranch_execz .LBB241_1480
; %bb.1477:                             ;   in Loop: Header=BB241_818 Depth=1
	v_and_b32_sdwa v5, v4, s15 dst_sel:DWORD dst_unused:UNUSED_PAD src0_sel:BYTE_1 src1_sel:DWORD
	s_mov_b32 s22, s12
	v_cmp_ne_u32_e64 s[4:5], s15, v5
	v_pk_mov_b32 v[8:9], s[22:23], s[22:23] op_sel:[0,1]
	s_and_saveexec_b64 s[30:31], s[4:5]
	s_cbranch_execz .LBB241_1479
; %bb.1478:                             ;   in Loop: Header=BB241_818 Depth=1
	v_mov_b32_e32 v8, 7
	v_and_b32_sdwa v22, v4, v8 dst_sel:DWORD dst_unused:UNUSED_PAD src0_sel:BYTE_1 src1_sel:DWORD
	v_lshrrev_b32_e32 v10, 3, v5
	v_cmp_gt_u32_e64 s[4:5], 8, v5
	v_ffbh_u32_e32 v5, v22
	v_min_u32_e32 v5, 32, v5
	v_subrev_u32_e32 v8, 28, v5
	v_lshlrev_b64 v[8:9], v8, v[22:23]
	v_sub_u32_e32 v5, 29, v5
	v_and_b32_e32 v8, 7, v8
	v_cndmask_b32_e64 v5, v10, v5, s[4:5]
	v_bfrev_b32_e32 v10, 60
	v_cndmask_b32_e64 v8, v22, v8, s[4:5]
	v_lshlrev_b32_e32 v9, 16, v4
	v_lshl_add_u32 v5, v5, 23, v10
	v_and_or_b32 v5, v9, s13, v5
	v_lshlrev_b32_e32 v8, 20, v8
	v_or_b32_e32 v9, v5, v8
	v_mov_b32_e32 v8, v23
.LBB241_1479:                           ;   in Loop: Header=BB241_818 Depth=1
	s_or_b64 exec, exec, s[30:31]
.LBB241_1480:                           ;   in Loop: Header=BB241_818 Depth=1
	s_or_b64 exec, exec, s[28:29]
.LBB241_1481:                           ;   in Loop: Header=BB241_818 Depth=1
	s_or_b64 exec, exec, s[26:27]
	v_lshrrev_b32_e32 v16, 16, v4
	v_pk_mov_b32 v[12:13], 0, 0
	v_cmp_ne_u16_sdwa s[4:5], v16, v23 src0_sel:BYTE_0 src1_sel:DWORD
	v_pk_mov_b32 v[10:11], v[12:13], v[12:13] op_sel:[0,1]
	s_and_saveexec_b64 s[26:27], s[4:5]
	s_cbranch_execz .LBB241_1487
; %bb.1482:                             ;   in Loop: Header=BB241_818 Depth=1
	v_bfrev_b32_e32 v10, 1
	v_cmp_ne_u16_sdwa s[4:5], v16, s7 src0_sel:BYTE_0 src1_sel:DWORD
	v_mov_b32_e32 v11, 0
	s_and_saveexec_b64 s[28:29], s[4:5]
	s_cbranch_execz .LBB241_1486
; %bb.1483:                             ;   in Loop: Header=BB241_818 Depth=1
	v_bfe_u32 v5, v4, 16, 7
	v_mov_b32_e32 v10, 0x7f800001
	v_cmp_ne_u32_e64 s[4:5], s15, v5
	v_mov_b32_e32 v11, 0
	s_and_saveexec_b64 s[30:31], s[4:5]
	s_cbranch_execz .LBB241_1485
; %bb.1484:                             ;   in Loop: Header=BB241_818 Depth=1
	v_and_b32_e32 v17, 7, v16
	v_lshrrev_b32_e32 v18, 3, v5
	v_cmp_gt_u32_e64 s[4:5], 8, v5
	v_ffbh_u32_e32 v5, v17
	v_min_u32_e32 v5, 32, v5
	v_subrev_u32_e32 v10, 28, v5
	v_lshlrev_b64 v[10:11], v10, v[16:17]
	v_sub_u32_e32 v5, 29, v5
	v_and_b32_e32 v10, 7, v10
	v_cndmask_b32_e64 v5, v18, v5, s[4:5]
	v_cndmask_b32_e64 v10, v17, v10, s[4:5]
	v_and_b32_sdwa v11, sext(v16), s13 dst_sel:DWORD dst_unused:UNUSED_PAD src0_sel:BYTE_0 src1_sel:DWORD
	v_bfrev_b32_e32 v16, 60
	v_lshlrev_b32_e32 v10, 20, v10
	v_lshl_add_u32 v5, v5, 23, v16
	v_or3_b32 v22, v11, v5, v10
	v_pk_mov_b32 v[10:11], v[22:23], v[22:23] op_sel:[0,1]
.LBB241_1485:                           ;   in Loop: Header=BB241_818 Depth=1
	s_or_b64 exec, exec, s[30:31]
.LBB241_1486:                           ;   in Loop: Header=BB241_818 Depth=1
	s_or_b64 exec, exec, s[28:29]
.LBB241_1487:                           ;   in Loop: Header=BB241_818 Depth=1
	s_or_b64 exec, exec, s[26:27]
	v_cmp_lt_u32_e64 s[4:5], s34, v4
	s_and_saveexec_b64 s[26:27], s[4:5]
	s_cbranch_execz .LBB241_1493
; %bb.1488:                             ;   in Loop: Header=BB241_818 Depth=1
	v_cmp_ne_u32_sdwa s[4:5], v4, s7 src0_sel:BYTE_3 src1_sel:DWORD
	v_pk_mov_b32 v[12:13], s[12:13], s[12:13] op_sel:[0,1]
	s_and_saveexec_b64 s[28:29], s[4:5]
	s_cbranch_execz .LBB241_1492
; %bb.1489:                             ;   in Loop: Header=BB241_818 Depth=1
	v_bfe_u32 v5, v4, 24, 7
	s_mov_b32 s22, s12
	v_cmp_ne_u32_e64 s[4:5], s15, v5
	v_pk_mov_b32 v[12:13], s[22:23], s[22:23] op_sel:[0,1]
	s_and_saveexec_b64 s[30:31], s[4:5]
	s_cbranch_execz .LBB241_1491
; %bb.1490:                             ;   in Loop: Header=BB241_818 Depth=1
	v_mov_b32_e32 v12, 7
	v_and_b32_sdwa v22, v4, v12 dst_sel:DWORD dst_unused:UNUSED_PAD src0_sel:BYTE_3 src1_sel:DWORD
	v_lshrrev_b32_e32 v16, 3, v5
	v_cmp_gt_u32_e64 s[4:5], 8, v5
	v_ffbh_u32_e32 v5, v22
	v_min_u32_e32 v5, 32, v5
	v_subrev_u32_e32 v12, 28, v5
	v_lshlrev_b64 v[12:13], v12, v[22:23]
	v_sub_u32_e32 v5, 29, v5
	v_mov_b32_e32 v13, 24
	v_and_b32_e32 v12, 7, v12
	v_cndmask_b32_e64 v5, v16, v5, s[4:5]
	v_lshlrev_b32_sdwa v4, v13, v4 dst_sel:DWORD dst_unused:UNUSED_PAD src0_sel:DWORD src1_sel:BYTE_3
	v_bfrev_b32_e32 v13, 60
	v_cndmask_b32_e64 v12, v22, v12, s[4:5]
	v_lshl_add_u32 v5, v5, 23, v13
	v_and_or_b32 v4, v4, s13, v5
	v_lshlrev_b32_e32 v5, 20, v12
	v_or_b32_e32 v13, v4, v5
	v_mov_b32_e32 v12, v23
.LBB241_1491:                           ;   in Loop: Header=BB241_818 Depth=1
	s_or_b64 exec, exec, s[30:31]
.LBB241_1492:                           ;   in Loop: Header=BB241_818 Depth=1
	s_or_b64 exec, exec, s[28:29]
.LBB241_1493:                           ;   in Loop: Header=BB241_818 Depth=1
	s_or_b64 exec, exec, s[26:27]
	v_or_b32_e32 v5, v9, v7
	v_or_b32_e32 v4, v8, v6
	v_pk_mul_f32 v[44:45], v[46:47], v[4:5]
	v_or_b32_e32 v5, v13, v11
	v_or_b32_e32 v4, v12, v10
	v_pk_mul_f32 v[58:59], v[46:47], v[4:5]
	s_and_saveexec_b64 s[26:27], vcc
	s_cbranch_execz .LBB241_1495
; %bb.1494:                             ;   in Loop: Header=BB241_818 Depth=1
	v_accvgpr_read_b32 v4, a17
	v_cmp_lt_i32_e64 s[4:5], v4, v62
	v_accvgpr_read_b32 v4, a5
	v_cndmask_b32_e64 v44, 0, v44, s[4:5]
	v_cmp_lt_i32_e64 s[4:5], v4, v62
	v_accvgpr_read_b32 v4, a41
	v_cndmask_b32_e64 v45, 0, v45, s[4:5]
	;; [unrolled: 3-line block ×3, first 2 shown]
	v_cmp_lt_i32_e64 s[4:5], v4, v62
	v_cndmask_b32_e64 v59, 0, v59, s[4:5]
.LBB241_1495:                           ;   in Loop: Header=BB241_818 Depth=1
	s_or_b64 exec, exec, s[26:27]
	buffer_load_dword v4, off, s[0:3], s32 offset:616 ; 4-byte Folded Reload
	buffer_load_dword v5, off, s[0:3], s32 offset:620 ; 4-byte Folded Reload
	v_pk_mov_b32 v[8:9], 0, 0
	v_pk_mov_b32 v[6:7], v[8:9], v[8:9] op_sel:[0,1]
	s_waitcnt vmcnt(1)
	v_add_co_u32_e64 v4, s[4:5], v42, v4
	s_waitcnt vmcnt(0)
	v_addc_co_u32_e64 v5, s[4:5], 0, v43, s[4:5]
	flat_load_dword v4, v[4:5]
	s_waitcnt vmcnt(0) lgkmcnt(0)
	v_cmp_ne_u16_sdwa s[4:5], v4, v23 src0_sel:BYTE_0 src1_sel:DWORD
	s_and_saveexec_b64 s[26:27], s[4:5]
	s_cbranch_execz .LBB241_1501
; %bb.1496:                             ;   in Loop: Header=BB241_818 Depth=1
	v_bfrev_b32_e32 v6, 1
	v_cmp_ne_u16_sdwa s[4:5], v4, s7 src0_sel:BYTE_0 src1_sel:DWORD
	v_mov_b32_e32 v7, 0
	s_and_saveexec_b64 s[28:29], s[4:5]
	s_cbranch_execz .LBB241_1500
; %bb.1497:                             ;   in Loop: Header=BB241_818 Depth=1
	v_and_b32_e32 v5, 0x7f, v4
	v_mov_b32_e32 v6, 0x7f800001
	v_cmp_ne_u32_e64 s[4:5], s15, v5
	v_mov_b32_e32 v7, 0
	s_and_saveexec_b64 s[30:31], s[4:5]
	s_cbranch_execz .LBB241_1499
; %bb.1498:                             ;   in Loop: Header=BB241_818 Depth=1
	v_and_b32_e32 v10, 7, v4
	v_lshrrev_b32_e32 v11, 3, v5
	v_cmp_gt_u32_e64 s[4:5], 8, v5
	v_ffbh_u32_e32 v5, v10
	v_min_u32_e32 v5, 32, v5
	v_subrev_u32_e32 v6, 28, v5
	v_lshlrev_b64 v[6:7], v6, v[4:5]
	v_sub_u32_e32 v5, 29, v5
	v_and_b32_e32 v6, 7, v6
	v_cndmask_b32_e64 v5, v11, v5, s[4:5]
	v_cndmask_b32_e64 v6, v10, v6, s[4:5]
	v_bfrev_b32_e32 v10, 60
	v_lshlrev_b32_e32 v6, 20, v6
	v_and_b32_sdwa v7, sext(v4), s13 dst_sel:DWORD dst_unused:UNUSED_PAD src0_sel:BYTE_0 src1_sel:DWORD
	v_lshl_add_u32 v5, v5, 23, v10
	v_or3_b32 v22, v7, v5, v6
	v_pk_mov_b32 v[6:7], v[22:23], v[22:23] op_sel:[0,1]
.LBB241_1499:                           ;   in Loop: Header=BB241_818 Depth=1
	s_or_b64 exec, exec, s[30:31]
.LBB241_1500:                           ;   in Loop: Header=BB241_818 Depth=1
	s_or_b64 exec, exec, s[28:29]
.LBB241_1501:                           ;   in Loop: Header=BB241_818 Depth=1
	s_or_b64 exec, exec, s[26:27]
	v_cmp_ne_u16_sdwa s[4:5], v4, v23 src0_sel:BYTE_1 src1_sel:DWORD
	s_and_saveexec_b64 s[26:27], s[4:5]
	s_cbranch_execz .LBB241_1507
; %bb.1502:                             ;   in Loop: Header=BB241_818 Depth=1
	v_cmp_ne_u16_sdwa s[4:5], v4, s7 src0_sel:BYTE_1 src1_sel:DWORD
	v_pk_mov_b32 v[8:9], s[12:13], s[12:13] op_sel:[0,1]
	s_and_saveexec_b64 s[28:29], s[4:5]
	s_cbranch_execz .LBB241_1506
; %bb.1503:                             ;   in Loop: Header=BB241_818 Depth=1
	v_and_b32_sdwa v5, v4, s15 dst_sel:DWORD dst_unused:UNUSED_PAD src0_sel:BYTE_1 src1_sel:DWORD
	s_mov_b32 s22, s12
	v_cmp_ne_u32_e64 s[4:5], s15, v5
	v_pk_mov_b32 v[8:9], s[22:23], s[22:23] op_sel:[0,1]
	s_and_saveexec_b64 s[30:31], s[4:5]
	s_cbranch_execz .LBB241_1505
; %bb.1504:                             ;   in Loop: Header=BB241_818 Depth=1
	v_mov_b32_e32 v8, 7
	v_and_b32_sdwa v22, v4, v8 dst_sel:DWORD dst_unused:UNUSED_PAD src0_sel:BYTE_1 src1_sel:DWORD
	v_lshrrev_b32_e32 v10, 3, v5
	v_cmp_gt_u32_e64 s[4:5], 8, v5
	v_ffbh_u32_e32 v5, v22
	v_min_u32_e32 v5, 32, v5
	v_subrev_u32_e32 v8, 28, v5
	v_lshlrev_b64 v[8:9], v8, v[22:23]
	v_sub_u32_e32 v5, 29, v5
	v_and_b32_e32 v8, 7, v8
	v_cndmask_b32_e64 v5, v10, v5, s[4:5]
	v_bfrev_b32_e32 v10, 60
	v_cndmask_b32_e64 v8, v22, v8, s[4:5]
	v_lshlrev_b32_e32 v9, 16, v4
	v_lshl_add_u32 v5, v5, 23, v10
	v_and_or_b32 v5, v9, s13, v5
	v_lshlrev_b32_e32 v8, 20, v8
	v_or_b32_e32 v9, v5, v8
	v_mov_b32_e32 v8, v23
.LBB241_1505:                           ;   in Loop: Header=BB241_818 Depth=1
	s_or_b64 exec, exec, s[30:31]
.LBB241_1506:                           ;   in Loop: Header=BB241_818 Depth=1
	s_or_b64 exec, exec, s[28:29]
.LBB241_1507:                           ;   in Loop: Header=BB241_818 Depth=1
	s_or_b64 exec, exec, s[26:27]
	v_lshrrev_b32_e32 v16, 16, v4
	v_pk_mov_b32 v[12:13], 0, 0
	v_cmp_ne_u16_sdwa s[4:5], v16, v23 src0_sel:BYTE_0 src1_sel:DWORD
	v_pk_mov_b32 v[10:11], v[12:13], v[12:13] op_sel:[0,1]
	s_and_saveexec_b64 s[26:27], s[4:5]
	s_cbranch_execz .LBB241_1513
; %bb.1508:                             ;   in Loop: Header=BB241_818 Depth=1
	v_bfrev_b32_e32 v10, 1
	v_cmp_ne_u16_sdwa s[4:5], v16, s7 src0_sel:BYTE_0 src1_sel:DWORD
	v_mov_b32_e32 v11, 0
	s_and_saveexec_b64 s[28:29], s[4:5]
	s_cbranch_execz .LBB241_1512
; %bb.1509:                             ;   in Loop: Header=BB241_818 Depth=1
	v_bfe_u32 v5, v4, 16, 7
	v_mov_b32_e32 v10, 0x7f800001
	v_cmp_ne_u32_e64 s[4:5], s15, v5
	v_mov_b32_e32 v11, 0
	s_and_saveexec_b64 s[30:31], s[4:5]
	s_cbranch_execz .LBB241_1511
; %bb.1510:                             ;   in Loop: Header=BB241_818 Depth=1
	v_and_b32_e32 v17, 7, v16
	v_lshrrev_b32_e32 v18, 3, v5
	v_cmp_gt_u32_e64 s[4:5], 8, v5
	v_ffbh_u32_e32 v5, v17
	v_min_u32_e32 v5, 32, v5
	v_subrev_u32_e32 v10, 28, v5
	v_lshlrev_b64 v[10:11], v10, v[16:17]
	v_sub_u32_e32 v5, 29, v5
	v_and_b32_e32 v10, 7, v10
	v_cndmask_b32_e64 v5, v18, v5, s[4:5]
	v_cndmask_b32_e64 v10, v17, v10, s[4:5]
	v_and_b32_sdwa v11, sext(v16), s13 dst_sel:DWORD dst_unused:UNUSED_PAD src0_sel:BYTE_0 src1_sel:DWORD
	v_bfrev_b32_e32 v16, 60
	v_lshlrev_b32_e32 v10, 20, v10
	v_lshl_add_u32 v5, v5, 23, v16
	v_or3_b32 v22, v11, v5, v10
	v_pk_mov_b32 v[10:11], v[22:23], v[22:23] op_sel:[0,1]
.LBB241_1511:                           ;   in Loop: Header=BB241_818 Depth=1
	s_or_b64 exec, exec, s[30:31]
.LBB241_1512:                           ;   in Loop: Header=BB241_818 Depth=1
	s_or_b64 exec, exec, s[28:29]
.LBB241_1513:                           ;   in Loop: Header=BB241_818 Depth=1
	s_or_b64 exec, exec, s[26:27]
	v_cmp_lt_u32_e64 s[4:5], s34, v4
	s_and_saveexec_b64 s[26:27], s[4:5]
	s_cbranch_execz .LBB241_1519
; %bb.1514:                             ;   in Loop: Header=BB241_818 Depth=1
	v_cmp_ne_u32_sdwa s[4:5], v4, s7 src0_sel:BYTE_3 src1_sel:DWORD
	v_pk_mov_b32 v[12:13], s[12:13], s[12:13] op_sel:[0,1]
	s_and_saveexec_b64 s[28:29], s[4:5]
	s_cbranch_execz .LBB241_1518
; %bb.1515:                             ;   in Loop: Header=BB241_818 Depth=1
	v_bfe_u32 v5, v4, 24, 7
	s_mov_b32 s22, s12
	v_cmp_ne_u32_e64 s[4:5], s15, v5
	v_pk_mov_b32 v[12:13], s[22:23], s[22:23] op_sel:[0,1]
	s_and_saveexec_b64 s[30:31], s[4:5]
	s_cbranch_execz .LBB241_1517
; %bb.1516:                             ;   in Loop: Header=BB241_818 Depth=1
	v_mov_b32_e32 v12, 7
	v_and_b32_sdwa v22, v4, v12 dst_sel:DWORD dst_unused:UNUSED_PAD src0_sel:BYTE_3 src1_sel:DWORD
	v_lshrrev_b32_e32 v16, 3, v5
	v_cmp_gt_u32_e64 s[4:5], 8, v5
	v_ffbh_u32_e32 v5, v22
	v_min_u32_e32 v5, 32, v5
	v_subrev_u32_e32 v12, 28, v5
	v_lshlrev_b64 v[12:13], v12, v[22:23]
	v_sub_u32_e32 v5, 29, v5
	v_mov_b32_e32 v13, 24
	v_and_b32_e32 v12, 7, v12
	v_cndmask_b32_e64 v5, v16, v5, s[4:5]
	v_lshlrev_b32_sdwa v4, v13, v4 dst_sel:DWORD dst_unused:UNUSED_PAD src0_sel:DWORD src1_sel:BYTE_3
	v_bfrev_b32_e32 v13, 60
	v_cndmask_b32_e64 v12, v22, v12, s[4:5]
	v_lshl_add_u32 v5, v5, 23, v13
	v_and_or_b32 v4, v4, s13, v5
	v_lshlrev_b32_e32 v5, 20, v12
	v_or_b32_e32 v13, v4, v5
	v_mov_b32_e32 v12, v23
.LBB241_1517:                           ;   in Loop: Header=BB241_818 Depth=1
	s_or_b64 exec, exec, s[30:31]
.LBB241_1518:                           ;   in Loop: Header=BB241_818 Depth=1
	s_or_b64 exec, exec, s[28:29]
.LBB241_1519:                           ;   in Loop: Header=BB241_818 Depth=1
	s_or_b64 exec, exec, s[26:27]
	v_or_b32_e32 v5, v9, v7
	v_or_b32_e32 v4, v8, v6
	v_pk_mul_f32 v[40:41], v[46:47], v[4:5]
	v_or_b32_e32 v5, v13, v11
	v_or_b32_e32 v4, v12, v10
	v_pk_mul_f32 v[52:53], v[46:47], v[4:5]
	s_and_saveexec_b64 s[26:27], vcc
	s_cbranch_execz .LBB241_1521
; %bb.1520:                             ;   in Loop: Header=BB241_818 Depth=1
	v_accvgpr_read_b32 v4, a17
	v_cmp_lt_i32_e64 s[4:5], v4, v62
	v_accvgpr_read_b32 v4, a5
	v_cndmask_b32_e64 v40, 0, v40, s[4:5]
	v_cmp_lt_i32_e64 s[4:5], v4, v62
	v_accvgpr_read_b32 v4, a41
	v_cndmask_b32_e64 v41, 0, v41, s[4:5]
	;; [unrolled: 3-line block ×3, first 2 shown]
	v_cmp_lt_i32_e64 s[4:5], v4, v62
	v_cndmask_b32_e64 v53, 0, v53, s[4:5]
.LBB241_1521:                           ;   in Loop: Header=BB241_818 Depth=1
	s_or_b64 exec, exec, s[26:27]
	v_accvgpr_read_b32 v4, a16
	v_add_co_u32_e64 v4, s[4:5], v42, v4
	v_addc_co_u32_e64 v5, s[4:5], 0, v43, s[4:5]
	flat_load_dword v4, v[4:5]
	v_pk_mov_b32 v[8:9], 0, 0
	v_pk_mov_b32 v[6:7], v[8:9], v[8:9] op_sel:[0,1]
	s_waitcnt vmcnt(0) lgkmcnt(0)
	v_cmp_ne_u16_sdwa s[4:5], v4, v23 src0_sel:BYTE_0 src1_sel:DWORD
	s_and_saveexec_b64 s[26:27], s[4:5]
	s_cbranch_execz .LBB241_1527
; %bb.1522:                             ;   in Loop: Header=BB241_818 Depth=1
	v_bfrev_b32_e32 v6, 1
	v_cmp_ne_u16_sdwa s[4:5], v4, s7 src0_sel:BYTE_0 src1_sel:DWORD
	v_mov_b32_e32 v7, 0
	s_and_saveexec_b64 s[28:29], s[4:5]
	s_cbranch_execz .LBB241_1526
; %bb.1523:                             ;   in Loop: Header=BB241_818 Depth=1
	v_and_b32_e32 v5, 0x7f, v4
	v_mov_b32_e32 v6, 0x7f800001
	v_cmp_ne_u32_e64 s[4:5], s15, v5
	v_mov_b32_e32 v7, 0
	s_and_saveexec_b64 s[30:31], s[4:5]
	s_cbranch_execz .LBB241_1525
; %bb.1524:                             ;   in Loop: Header=BB241_818 Depth=1
	v_and_b32_e32 v10, 7, v4
	v_lshrrev_b32_e32 v11, 3, v5
	v_cmp_gt_u32_e64 s[4:5], 8, v5
	v_ffbh_u32_e32 v5, v10
	v_min_u32_e32 v5, 32, v5
	v_subrev_u32_e32 v6, 28, v5
	v_lshlrev_b64 v[6:7], v6, v[4:5]
	v_sub_u32_e32 v5, 29, v5
	v_and_b32_e32 v6, 7, v6
	v_cndmask_b32_e64 v5, v11, v5, s[4:5]
	v_cndmask_b32_e64 v6, v10, v6, s[4:5]
	v_bfrev_b32_e32 v10, 60
	v_lshlrev_b32_e32 v6, 20, v6
	v_and_b32_sdwa v7, sext(v4), s13 dst_sel:DWORD dst_unused:UNUSED_PAD src0_sel:BYTE_0 src1_sel:DWORD
	v_lshl_add_u32 v5, v5, 23, v10
	v_or3_b32 v22, v7, v5, v6
	v_pk_mov_b32 v[6:7], v[22:23], v[22:23] op_sel:[0,1]
.LBB241_1525:                           ;   in Loop: Header=BB241_818 Depth=1
	s_or_b64 exec, exec, s[30:31]
.LBB241_1526:                           ;   in Loop: Header=BB241_818 Depth=1
	s_or_b64 exec, exec, s[28:29]
.LBB241_1527:                           ;   in Loop: Header=BB241_818 Depth=1
	s_or_b64 exec, exec, s[26:27]
	v_cmp_ne_u16_sdwa s[4:5], v4, v23 src0_sel:BYTE_1 src1_sel:DWORD
	s_and_saveexec_b64 s[26:27], s[4:5]
	s_cbranch_execz .LBB241_1533
; %bb.1528:                             ;   in Loop: Header=BB241_818 Depth=1
	v_cmp_ne_u16_sdwa s[4:5], v4, s7 src0_sel:BYTE_1 src1_sel:DWORD
	v_pk_mov_b32 v[8:9], s[12:13], s[12:13] op_sel:[0,1]
	s_and_saveexec_b64 s[28:29], s[4:5]
	s_cbranch_execz .LBB241_1532
; %bb.1529:                             ;   in Loop: Header=BB241_818 Depth=1
	v_and_b32_sdwa v5, v4, s15 dst_sel:DWORD dst_unused:UNUSED_PAD src0_sel:BYTE_1 src1_sel:DWORD
	s_mov_b32 s22, s12
	v_cmp_ne_u32_e64 s[4:5], s15, v5
	v_pk_mov_b32 v[8:9], s[22:23], s[22:23] op_sel:[0,1]
	s_and_saveexec_b64 s[30:31], s[4:5]
	s_cbranch_execz .LBB241_1531
; %bb.1530:                             ;   in Loop: Header=BB241_818 Depth=1
	v_mov_b32_e32 v8, 7
	v_and_b32_sdwa v22, v4, v8 dst_sel:DWORD dst_unused:UNUSED_PAD src0_sel:BYTE_1 src1_sel:DWORD
	v_lshrrev_b32_e32 v10, 3, v5
	v_cmp_gt_u32_e64 s[4:5], 8, v5
	v_ffbh_u32_e32 v5, v22
	v_min_u32_e32 v5, 32, v5
	v_subrev_u32_e32 v8, 28, v5
	v_lshlrev_b64 v[8:9], v8, v[22:23]
	v_sub_u32_e32 v5, 29, v5
	v_and_b32_e32 v8, 7, v8
	v_cndmask_b32_e64 v5, v10, v5, s[4:5]
	v_bfrev_b32_e32 v10, 60
	v_cndmask_b32_e64 v8, v22, v8, s[4:5]
	v_lshlrev_b32_e32 v9, 16, v4
	v_lshl_add_u32 v5, v5, 23, v10
	v_and_or_b32 v5, v9, s13, v5
	v_lshlrev_b32_e32 v8, 20, v8
	v_or_b32_e32 v9, v5, v8
	v_mov_b32_e32 v8, v23
.LBB241_1531:                           ;   in Loop: Header=BB241_818 Depth=1
	s_or_b64 exec, exec, s[30:31]
.LBB241_1532:                           ;   in Loop: Header=BB241_818 Depth=1
	s_or_b64 exec, exec, s[28:29]
.LBB241_1533:                           ;   in Loop: Header=BB241_818 Depth=1
	s_or_b64 exec, exec, s[26:27]
	v_lshrrev_b32_e32 v16, 16, v4
	v_pk_mov_b32 v[12:13], 0, 0
	v_cmp_ne_u16_sdwa s[4:5], v16, v23 src0_sel:BYTE_0 src1_sel:DWORD
	v_pk_mov_b32 v[10:11], v[12:13], v[12:13] op_sel:[0,1]
	s_and_saveexec_b64 s[26:27], s[4:5]
	s_cbranch_execz .LBB241_1539
; %bb.1534:                             ;   in Loop: Header=BB241_818 Depth=1
	v_bfrev_b32_e32 v10, 1
	v_cmp_ne_u16_sdwa s[4:5], v16, s7 src0_sel:BYTE_0 src1_sel:DWORD
	v_mov_b32_e32 v11, 0
	s_and_saveexec_b64 s[28:29], s[4:5]
	s_cbranch_execz .LBB241_1538
; %bb.1535:                             ;   in Loop: Header=BB241_818 Depth=1
	v_bfe_u32 v5, v4, 16, 7
	v_mov_b32_e32 v10, 0x7f800001
	v_cmp_ne_u32_e64 s[4:5], s15, v5
	v_mov_b32_e32 v11, 0
	s_and_saveexec_b64 s[30:31], s[4:5]
	s_cbranch_execz .LBB241_1537
; %bb.1536:                             ;   in Loop: Header=BB241_818 Depth=1
	v_and_b32_e32 v17, 7, v16
	v_lshrrev_b32_e32 v18, 3, v5
	v_cmp_gt_u32_e64 s[4:5], 8, v5
	v_ffbh_u32_e32 v5, v17
	v_min_u32_e32 v5, 32, v5
	v_subrev_u32_e32 v10, 28, v5
	v_lshlrev_b64 v[10:11], v10, v[16:17]
	v_sub_u32_e32 v5, 29, v5
	v_and_b32_e32 v10, 7, v10
	v_cndmask_b32_e64 v5, v18, v5, s[4:5]
	v_cndmask_b32_e64 v10, v17, v10, s[4:5]
	v_and_b32_sdwa v11, sext(v16), s13 dst_sel:DWORD dst_unused:UNUSED_PAD src0_sel:BYTE_0 src1_sel:DWORD
	v_bfrev_b32_e32 v16, 60
	v_lshlrev_b32_e32 v10, 20, v10
	v_lshl_add_u32 v5, v5, 23, v16
	v_or3_b32 v22, v11, v5, v10
	v_pk_mov_b32 v[10:11], v[22:23], v[22:23] op_sel:[0,1]
.LBB241_1537:                           ;   in Loop: Header=BB241_818 Depth=1
	s_or_b64 exec, exec, s[30:31]
.LBB241_1538:                           ;   in Loop: Header=BB241_818 Depth=1
	s_or_b64 exec, exec, s[28:29]
.LBB241_1539:                           ;   in Loop: Header=BB241_818 Depth=1
	s_or_b64 exec, exec, s[26:27]
	v_cmp_lt_u32_e64 s[4:5], s34, v4
	s_and_saveexec_b64 s[26:27], s[4:5]
	s_cbranch_execz .LBB241_1545
; %bb.1540:                             ;   in Loop: Header=BB241_818 Depth=1
	v_cmp_ne_u32_sdwa s[4:5], v4, s7 src0_sel:BYTE_3 src1_sel:DWORD
	v_pk_mov_b32 v[12:13], s[12:13], s[12:13] op_sel:[0,1]
	s_and_saveexec_b64 s[28:29], s[4:5]
	s_cbranch_execz .LBB241_1544
; %bb.1541:                             ;   in Loop: Header=BB241_818 Depth=1
	v_bfe_u32 v5, v4, 24, 7
	s_mov_b32 s22, s12
	v_cmp_ne_u32_e64 s[4:5], s15, v5
	v_pk_mov_b32 v[12:13], s[22:23], s[22:23] op_sel:[0,1]
	s_and_saveexec_b64 s[30:31], s[4:5]
	s_cbranch_execz .LBB241_1543
; %bb.1542:                             ;   in Loop: Header=BB241_818 Depth=1
	v_mov_b32_e32 v12, 7
	v_and_b32_sdwa v22, v4, v12 dst_sel:DWORD dst_unused:UNUSED_PAD src0_sel:BYTE_3 src1_sel:DWORD
	v_lshrrev_b32_e32 v16, 3, v5
	v_cmp_gt_u32_e64 s[4:5], 8, v5
	v_ffbh_u32_e32 v5, v22
	v_min_u32_e32 v5, 32, v5
	v_subrev_u32_e32 v12, 28, v5
	v_lshlrev_b64 v[12:13], v12, v[22:23]
	v_sub_u32_e32 v5, 29, v5
	v_mov_b32_e32 v13, 24
	v_and_b32_e32 v12, 7, v12
	v_cndmask_b32_e64 v5, v16, v5, s[4:5]
	v_lshlrev_b32_sdwa v4, v13, v4 dst_sel:DWORD dst_unused:UNUSED_PAD src0_sel:DWORD src1_sel:BYTE_3
	v_bfrev_b32_e32 v13, 60
	v_cndmask_b32_e64 v12, v22, v12, s[4:5]
	v_lshl_add_u32 v5, v5, 23, v13
	v_and_or_b32 v4, v4, s13, v5
	v_lshlrev_b32_e32 v5, 20, v12
	v_or_b32_e32 v13, v4, v5
	v_mov_b32_e32 v12, v23
.LBB241_1543:                           ;   in Loop: Header=BB241_818 Depth=1
	s_or_b64 exec, exec, s[30:31]
.LBB241_1544:                           ;   in Loop: Header=BB241_818 Depth=1
	s_or_b64 exec, exec, s[28:29]
.LBB241_1545:                           ;   in Loop: Header=BB241_818 Depth=1
	s_or_b64 exec, exec, s[26:27]
	v_or_b32_e32 v5, v9, v7
	v_or_b32_e32 v4, v8, v6
	v_pk_mul_f32 v[56:57], v[46:47], v[4:5]
	v_or_b32_e32 v5, v13, v11
	v_or_b32_e32 v4, v12, v10
	v_pk_mul_f32 v[60:61], v[46:47], v[4:5]
	s_and_saveexec_b64 s[26:27], vcc
	s_cbranch_execz .LBB241_1547
; %bb.1546:                             ;   in Loop: Header=BB241_818 Depth=1
	v_accvgpr_read_b32 v4, a17
	v_cmp_lt_i32_e64 s[4:5], v4, v62
	v_accvgpr_read_b32 v4, a5
	v_cndmask_b32_e64 v56, 0, v56, s[4:5]
	v_cmp_lt_i32_e64 s[4:5], v4, v62
	v_accvgpr_read_b32 v4, a41
	v_cndmask_b32_e64 v57, 0, v57, s[4:5]
	;; [unrolled: 3-line block ×3, first 2 shown]
	v_cmp_lt_i32_e64 s[4:5], v4, v62
	v_cndmask_b32_e64 v61, 0, v61, s[4:5]
.LBB241_1547:                           ;   in Loop: Header=BB241_818 Depth=1
	s_or_b64 exec, exec, s[26:27]
	v_accvgpr_read_b32 v4, a0
	v_add_co_u32_e64 v4, s[4:5], v42, v4
	v_addc_co_u32_e64 v5, s[4:5], 0, v43, s[4:5]
	flat_load_dword v4, v[4:5]
	v_pk_mov_b32 v[8:9], 0, 0
	v_pk_mov_b32 v[6:7], v[8:9], v[8:9] op_sel:[0,1]
	s_waitcnt vmcnt(0) lgkmcnt(0)
	v_cmp_ne_u16_sdwa s[4:5], v4, v23 src0_sel:BYTE_0 src1_sel:DWORD
	s_and_saveexec_b64 s[26:27], s[4:5]
	s_cbranch_execz .LBB241_1553
; %bb.1548:                             ;   in Loop: Header=BB241_818 Depth=1
	v_bfrev_b32_e32 v6, 1
	v_cmp_ne_u16_sdwa s[4:5], v4, s7 src0_sel:BYTE_0 src1_sel:DWORD
	v_mov_b32_e32 v7, 0
	s_and_saveexec_b64 s[28:29], s[4:5]
	s_cbranch_execz .LBB241_1552
; %bb.1549:                             ;   in Loop: Header=BB241_818 Depth=1
	v_and_b32_e32 v5, 0x7f, v4
	v_mov_b32_e32 v6, 0x7f800001
	v_cmp_ne_u32_e64 s[4:5], s15, v5
	v_mov_b32_e32 v7, 0
	s_and_saveexec_b64 s[30:31], s[4:5]
	s_cbranch_execz .LBB241_1551
; %bb.1550:                             ;   in Loop: Header=BB241_818 Depth=1
	v_and_b32_e32 v10, 7, v4
	v_lshrrev_b32_e32 v11, 3, v5
	v_cmp_gt_u32_e64 s[4:5], 8, v5
	v_ffbh_u32_e32 v5, v10
	v_min_u32_e32 v5, 32, v5
	v_subrev_u32_e32 v6, 28, v5
	v_lshlrev_b64 v[6:7], v6, v[4:5]
	v_sub_u32_e32 v5, 29, v5
	v_and_b32_e32 v6, 7, v6
	v_cndmask_b32_e64 v5, v11, v5, s[4:5]
	v_cndmask_b32_e64 v6, v10, v6, s[4:5]
	v_bfrev_b32_e32 v10, 60
	v_lshlrev_b32_e32 v6, 20, v6
	v_and_b32_sdwa v7, sext(v4), s13 dst_sel:DWORD dst_unused:UNUSED_PAD src0_sel:BYTE_0 src1_sel:DWORD
	v_lshl_add_u32 v5, v5, 23, v10
	v_or3_b32 v22, v7, v5, v6
	v_pk_mov_b32 v[6:7], v[22:23], v[22:23] op_sel:[0,1]
.LBB241_1551:                           ;   in Loop: Header=BB241_818 Depth=1
	s_or_b64 exec, exec, s[30:31]
.LBB241_1552:                           ;   in Loop: Header=BB241_818 Depth=1
	s_or_b64 exec, exec, s[28:29]
.LBB241_1553:                           ;   in Loop: Header=BB241_818 Depth=1
	s_or_b64 exec, exec, s[26:27]
	v_cmp_ne_u16_sdwa s[4:5], v4, v23 src0_sel:BYTE_1 src1_sel:DWORD
	s_and_saveexec_b64 s[26:27], s[4:5]
	s_cbranch_execz .LBB241_1559
; %bb.1554:                             ;   in Loop: Header=BB241_818 Depth=1
	v_cmp_ne_u16_sdwa s[4:5], v4, s7 src0_sel:BYTE_1 src1_sel:DWORD
	v_pk_mov_b32 v[8:9], s[12:13], s[12:13] op_sel:[0,1]
	s_and_saveexec_b64 s[28:29], s[4:5]
	s_cbranch_execz .LBB241_1558
; %bb.1555:                             ;   in Loop: Header=BB241_818 Depth=1
	v_and_b32_sdwa v5, v4, s15 dst_sel:DWORD dst_unused:UNUSED_PAD src0_sel:BYTE_1 src1_sel:DWORD
	s_mov_b32 s22, s12
	v_cmp_ne_u32_e64 s[4:5], s15, v5
	v_pk_mov_b32 v[8:9], s[22:23], s[22:23] op_sel:[0,1]
	s_and_saveexec_b64 s[30:31], s[4:5]
	s_cbranch_execz .LBB241_1557
; %bb.1556:                             ;   in Loop: Header=BB241_818 Depth=1
	v_mov_b32_e32 v8, 7
	v_and_b32_sdwa v22, v4, v8 dst_sel:DWORD dst_unused:UNUSED_PAD src0_sel:BYTE_1 src1_sel:DWORD
	v_lshrrev_b32_e32 v10, 3, v5
	v_cmp_gt_u32_e64 s[4:5], 8, v5
	v_ffbh_u32_e32 v5, v22
	v_min_u32_e32 v5, 32, v5
	v_subrev_u32_e32 v8, 28, v5
	v_lshlrev_b64 v[8:9], v8, v[22:23]
	v_sub_u32_e32 v5, 29, v5
	v_and_b32_e32 v8, 7, v8
	v_cndmask_b32_e64 v5, v10, v5, s[4:5]
	v_bfrev_b32_e32 v10, 60
	v_cndmask_b32_e64 v8, v22, v8, s[4:5]
	v_lshlrev_b32_e32 v9, 16, v4
	v_lshl_add_u32 v5, v5, 23, v10
	v_and_or_b32 v5, v9, s13, v5
	v_lshlrev_b32_e32 v8, 20, v8
	v_or_b32_e32 v9, v5, v8
	v_mov_b32_e32 v8, v23
.LBB241_1557:                           ;   in Loop: Header=BB241_818 Depth=1
	s_or_b64 exec, exec, s[30:31]
.LBB241_1558:                           ;   in Loop: Header=BB241_818 Depth=1
	s_or_b64 exec, exec, s[28:29]
.LBB241_1559:                           ;   in Loop: Header=BB241_818 Depth=1
	s_or_b64 exec, exec, s[26:27]
	v_lshrrev_b32_e32 v16, 16, v4
	v_pk_mov_b32 v[12:13], 0, 0
	v_cmp_ne_u16_sdwa s[4:5], v16, v23 src0_sel:BYTE_0 src1_sel:DWORD
	v_pk_mov_b32 v[10:11], v[12:13], v[12:13] op_sel:[0,1]
	s_and_saveexec_b64 s[26:27], s[4:5]
	s_cbranch_execz .LBB241_1565
; %bb.1560:                             ;   in Loop: Header=BB241_818 Depth=1
	v_bfrev_b32_e32 v10, 1
	v_cmp_ne_u16_sdwa s[4:5], v16, s7 src0_sel:BYTE_0 src1_sel:DWORD
	v_mov_b32_e32 v11, 0
	s_and_saveexec_b64 s[28:29], s[4:5]
	s_cbranch_execz .LBB241_1564
; %bb.1561:                             ;   in Loop: Header=BB241_818 Depth=1
	v_bfe_u32 v5, v4, 16, 7
	v_mov_b32_e32 v10, 0x7f800001
	v_cmp_ne_u32_e64 s[4:5], s15, v5
	v_mov_b32_e32 v11, 0
	s_and_saveexec_b64 s[30:31], s[4:5]
	s_cbranch_execz .LBB241_1563
; %bb.1562:                             ;   in Loop: Header=BB241_818 Depth=1
	v_and_b32_e32 v17, 7, v16
	v_lshrrev_b32_e32 v18, 3, v5
	v_cmp_gt_u32_e64 s[4:5], 8, v5
	v_ffbh_u32_e32 v5, v17
	v_min_u32_e32 v5, 32, v5
	v_subrev_u32_e32 v10, 28, v5
	v_lshlrev_b64 v[10:11], v10, v[16:17]
	v_sub_u32_e32 v5, 29, v5
	v_and_b32_e32 v10, 7, v10
	v_cndmask_b32_e64 v5, v18, v5, s[4:5]
	v_cndmask_b32_e64 v10, v17, v10, s[4:5]
	v_and_b32_sdwa v11, sext(v16), s13 dst_sel:DWORD dst_unused:UNUSED_PAD src0_sel:BYTE_0 src1_sel:DWORD
	v_bfrev_b32_e32 v16, 60
	v_lshlrev_b32_e32 v10, 20, v10
	v_lshl_add_u32 v5, v5, 23, v16
	v_or3_b32 v22, v11, v5, v10
	v_pk_mov_b32 v[10:11], v[22:23], v[22:23] op_sel:[0,1]
.LBB241_1563:                           ;   in Loop: Header=BB241_818 Depth=1
	s_or_b64 exec, exec, s[30:31]
.LBB241_1564:                           ;   in Loop: Header=BB241_818 Depth=1
	s_or_b64 exec, exec, s[28:29]
.LBB241_1565:                           ;   in Loop: Header=BB241_818 Depth=1
	s_or_b64 exec, exec, s[26:27]
	v_cmp_lt_u32_e64 s[4:5], s34, v4
	s_and_saveexec_b64 s[26:27], s[4:5]
	s_cbranch_execz .LBB241_1571
; %bb.1566:                             ;   in Loop: Header=BB241_818 Depth=1
	v_cmp_ne_u32_sdwa s[4:5], v4, s7 src0_sel:BYTE_3 src1_sel:DWORD
	v_pk_mov_b32 v[12:13], s[12:13], s[12:13] op_sel:[0,1]
	s_and_saveexec_b64 s[28:29], s[4:5]
	s_cbranch_execz .LBB241_1570
; %bb.1567:                             ;   in Loop: Header=BB241_818 Depth=1
	v_bfe_u32 v5, v4, 24, 7
	s_mov_b32 s22, s12
	v_cmp_ne_u32_e64 s[4:5], s15, v5
	v_pk_mov_b32 v[12:13], s[22:23], s[22:23] op_sel:[0,1]
	s_and_saveexec_b64 s[30:31], s[4:5]
	s_cbranch_execz .LBB241_1569
; %bb.1568:                             ;   in Loop: Header=BB241_818 Depth=1
	v_mov_b32_e32 v12, 7
	v_and_b32_sdwa v22, v4, v12 dst_sel:DWORD dst_unused:UNUSED_PAD src0_sel:BYTE_3 src1_sel:DWORD
	v_lshrrev_b32_e32 v16, 3, v5
	v_cmp_gt_u32_e64 s[4:5], 8, v5
	v_ffbh_u32_e32 v5, v22
	v_min_u32_e32 v5, 32, v5
	v_subrev_u32_e32 v12, 28, v5
	v_lshlrev_b64 v[12:13], v12, v[22:23]
	v_sub_u32_e32 v5, 29, v5
	v_mov_b32_e32 v13, 24
	v_and_b32_e32 v12, 7, v12
	v_cndmask_b32_e64 v5, v16, v5, s[4:5]
	v_lshlrev_b32_sdwa v4, v13, v4 dst_sel:DWORD dst_unused:UNUSED_PAD src0_sel:DWORD src1_sel:BYTE_3
	v_bfrev_b32_e32 v13, 60
	v_cndmask_b32_e64 v12, v22, v12, s[4:5]
	v_lshl_add_u32 v5, v5, 23, v13
	v_and_or_b32 v4, v4, s13, v5
	v_lshlrev_b32_e32 v5, 20, v12
	v_or_b32_e32 v13, v4, v5
	v_mov_b32_e32 v12, v23
.LBB241_1569:                           ;   in Loop: Header=BB241_818 Depth=1
	s_or_b64 exec, exec, s[30:31]
.LBB241_1570:                           ;   in Loop: Header=BB241_818 Depth=1
	s_or_b64 exec, exec, s[28:29]
.LBB241_1571:                           ;   in Loop: Header=BB241_818 Depth=1
	s_or_b64 exec, exec, s[26:27]
	v_or_b32_e32 v5, v9, v7
	v_or_b32_e32 v4, v8, v6
	v_pk_mul_f32 v[50:51], v[46:47], v[4:5]
	v_or_b32_e32 v5, v13, v11
	v_or_b32_e32 v4, v12, v10
	v_pk_mul_f32 v[4:5], v[46:47], v[4:5]
	s_and_saveexec_b64 s[26:27], vcc
	s_cbranch_execz .LBB241_1573
; %bb.1572:                             ;   in Loop: Header=BB241_818 Depth=1
	v_accvgpr_read_b32 v6, a17
	v_cmp_lt_i32_e64 s[4:5], v6, v62
	v_accvgpr_read_b32 v6, a5
	v_cndmask_b32_e64 v50, 0, v50, s[4:5]
	v_cmp_lt_i32_e64 s[4:5], v6, v62
	v_accvgpr_read_b32 v6, a41
	v_cndmask_b32_e64 v51, 0, v51, s[4:5]
	;; [unrolled: 3-line block ×3, first 2 shown]
	v_cmp_lt_i32_e64 s[4:5], v6, v62
	v_cndmask_b32_e64 v5, 0, v5, s[4:5]
.LBB241_1573:                           ;   in Loop: Header=BB241_818 Depth=1
	s_or_b64 exec, exec, s[26:27]
	buffer_load_dword v6, off, s[0:3], s32 offset:624 ; 4-byte Folded Reload
	buffer_load_dword v7, off, s[0:3], s32 offset:628 ; 4-byte Folded Reload
	v_pk_mov_b32 v[10:11], 0, 0
	v_pk_mov_b32 v[8:9], v[10:11], v[10:11] op_sel:[0,1]
	s_waitcnt vmcnt(1)
	v_add_co_u32_e64 v6, s[4:5], v42, v6
	s_waitcnt vmcnt(0)
	v_addc_co_u32_e64 v7, s[4:5], 0, v43, s[4:5]
	flat_load_dword v6, v[6:7]
	s_waitcnt vmcnt(0) lgkmcnt(0)
	v_cmp_ne_u16_sdwa s[4:5], v6, v23 src0_sel:BYTE_0 src1_sel:DWORD
	s_and_saveexec_b64 s[26:27], s[4:5]
	s_cbranch_execz .LBB241_1579
; %bb.1574:                             ;   in Loop: Header=BB241_818 Depth=1
	v_bfrev_b32_e32 v8, 1
	v_cmp_ne_u16_sdwa s[4:5], v6, s7 src0_sel:BYTE_0 src1_sel:DWORD
	v_mov_b32_e32 v9, 0
	s_and_saveexec_b64 s[28:29], s[4:5]
	s_cbranch_execz .LBB241_1578
; %bb.1575:                             ;   in Loop: Header=BB241_818 Depth=1
	v_and_b32_e32 v7, 0x7f, v6
	v_mov_b32_e32 v8, 0x7f800001
	v_cmp_ne_u32_e64 s[4:5], s15, v7
	v_mov_b32_e32 v9, 0
	s_and_saveexec_b64 s[30:31], s[4:5]
	s_cbranch_execz .LBB241_1577
; %bb.1576:                             ;   in Loop: Header=BB241_818 Depth=1
	v_and_b32_e32 v12, 7, v6
	v_lshrrev_b32_e32 v13, 3, v7
	v_cmp_gt_u32_e64 s[4:5], 8, v7
	v_ffbh_u32_e32 v7, v12
	v_min_u32_e32 v7, 32, v7
	v_subrev_u32_e32 v8, 28, v7
	v_lshlrev_b64 v[8:9], v8, v[6:7]
	v_sub_u32_e32 v7, 29, v7
	v_and_b32_e32 v8, 7, v8
	v_cndmask_b32_e64 v7, v13, v7, s[4:5]
	v_cndmask_b32_e64 v8, v12, v8, s[4:5]
	v_bfrev_b32_e32 v12, 60
	v_lshlrev_b32_e32 v8, 20, v8
	v_and_b32_sdwa v9, sext(v6), s13 dst_sel:DWORD dst_unused:UNUSED_PAD src0_sel:BYTE_0 src1_sel:DWORD
	v_lshl_add_u32 v7, v7, 23, v12
	v_or3_b32 v22, v9, v7, v8
	v_pk_mov_b32 v[8:9], v[22:23], v[22:23] op_sel:[0,1]
.LBB241_1577:                           ;   in Loop: Header=BB241_818 Depth=1
	s_or_b64 exec, exec, s[30:31]
.LBB241_1578:                           ;   in Loop: Header=BB241_818 Depth=1
	s_or_b64 exec, exec, s[28:29]
.LBB241_1579:                           ;   in Loop: Header=BB241_818 Depth=1
	s_or_b64 exec, exec, s[26:27]
	v_cmp_ne_u16_sdwa s[4:5], v6, v23 src0_sel:BYTE_1 src1_sel:DWORD
	s_and_saveexec_b64 s[26:27], s[4:5]
	s_cbranch_execz .LBB241_1585
; %bb.1580:                             ;   in Loop: Header=BB241_818 Depth=1
	v_cmp_ne_u16_sdwa s[4:5], v6, s7 src0_sel:BYTE_1 src1_sel:DWORD
	v_pk_mov_b32 v[10:11], s[12:13], s[12:13] op_sel:[0,1]
	s_and_saveexec_b64 s[28:29], s[4:5]
	s_cbranch_execz .LBB241_1584
; %bb.1581:                             ;   in Loop: Header=BB241_818 Depth=1
	v_and_b32_sdwa v7, v6, s15 dst_sel:DWORD dst_unused:UNUSED_PAD src0_sel:BYTE_1 src1_sel:DWORD
	s_mov_b32 s22, s12
	v_cmp_ne_u32_e64 s[4:5], s15, v7
	v_pk_mov_b32 v[10:11], s[22:23], s[22:23] op_sel:[0,1]
	s_and_saveexec_b64 s[30:31], s[4:5]
	s_cbranch_execz .LBB241_1583
; %bb.1582:                             ;   in Loop: Header=BB241_818 Depth=1
	v_mov_b32_e32 v10, 7
	v_and_b32_sdwa v22, v6, v10 dst_sel:DWORD dst_unused:UNUSED_PAD src0_sel:BYTE_1 src1_sel:DWORD
	v_lshrrev_b32_e32 v12, 3, v7
	v_cmp_gt_u32_e64 s[4:5], 8, v7
	v_ffbh_u32_e32 v7, v22
	v_min_u32_e32 v7, 32, v7
	v_subrev_u32_e32 v10, 28, v7
	v_lshlrev_b64 v[10:11], v10, v[22:23]
	v_sub_u32_e32 v7, 29, v7
	v_and_b32_e32 v10, 7, v10
	v_cndmask_b32_e64 v7, v12, v7, s[4:5]
	v_bfrev_b32_e32 v12, 60
	v_cndmask_b32_e64 v10, v22, v10, s[4:5]
	v_lshlrev_b32_e32 v11, 16, v6
	v_lshl_add_u32 v7, v7, 23, v12
	v_and_or_b32 v7, v11, s13, v7
	v_lshlrev_b32_e32 v10, 20, v10
	v_or_b32_e32 v11, v7, v10
	v_mov_b32_e32 v10, v23
.LBB241_1583:                           ;   in Loop: Header=BB241_818 Depth=1
	s_or_b64 exec, exec, s[30:31]
.LBB241_1584:                           ;   in Loop: Header=BB241_818 Depth=1
	s_or_b64 exec, exec, s[28:29]
.LBB241_1585:                           ;   in Loop: Header=BB241_818 Depth=1
	s_or_b64 exec, exec, s[26:27]
	v_lshrrev_b32_e32 v18, 16, v6
	v_pk_mov_b32 v[16:17], 0, 0
	v_cmp_ne_u16_sdwa s[4:5], v18, v23 src0_sel:BYTE_0 src1_sel:DWORD
	v_pk_mov_b32 v[12:13], v[16:17], v[16:17] op_sel:[0,1]
	s_and_saveexec_b64 s[26:27], s[4:5]
	s_cbranch_execz .LBB241_1591
; %bb.1586:                             ;   in Loop: Header=BB241_818 Depth=1
	v_bfrev_b32_e32 v12, 1
	v_cmp_ne_u16_sdwa s[4:5], v18, s7 src0_sel:BYTE_0 src1_sel:DWORD
	v_mov_b32_e32 v13, 0
	s_and_saveexec_b64 s[28:29], s[4:5]
	s_cbranch_execz .LBB241_1590
; %bb.1587:                             ;   in Loop: Header=BB241_818 Depth=1
	v_bfe_u32 v7, v6, 16, 7
	v_mov_b32_e32 v12, 0x7f800001
	v_cmp_ne_u32_e64 s[4:5], s15, v7
	v_mov_b32_e32 v13, 0
	s_and_saveexec_b64 s[30:31], s[4:5]
	s_cbranch_execz .LBB241_1589
; %bb.1588:                             ;   in Loop: Header=BB241_818 Depth=1
	v_and_b32_e32 v19, 7, v18
	v_lshrrev_b32_e32 v20, 3, v7
	v_cmp_gt_u32_e64 s[4:5], 8, v7
	v_ffbh_u32_e32 v7, v19
	v_min_u32_e32 v7, 32, v7
	v_subrev_u32_e32 v12, 28, v7
	v_lshlrev_b64 v[12:13], v12, v[18:19]
	v_sub_u32_e32 v7, 29, v7
	v_and_b32_e32 v12, 7, v12
	v_cndmask_b32_e64 v7, v20, v7, s[4:5]
	v_cndmask_b32_e64 v12, v19, v12, s[4:5]
	v_and_b32_sdwa v13, sext(v18), s13 dst_sel:DWORD dst_unused:UNUSED_PAD src0_sel:BYTE_0 src1_sel:DWORD
	v_bfrev_b32_e32 v18, 60
	v_lshlrev_b32_e32 v12, 20, v12
	v_lshl_add_u32 v7, v7, 23, v18
	v_or3_b32 v22, v13, v7, v12
	v_pk_mov_b32 v[12:13], v[22:23], v[22:23] op_sel:[0,1]
.LBB241_1589:                           ;   in Loop: Header=BB241_818 Depth=1
	s_or_b64 exec, exec, s[30:31]
.LBB241_1590:                           ;   in Loop: Header=BB241_818 Depth=1
	s_or_b64 exec, exec, s[28:29]
.LBB241_1591:                           ;   in Loop: Header=BB241_818 Depth=1
	s_or_b64 exec, exec, s[26:27]
	v_cmp_lt_u32_e64 s[4:5], s34, v6
	s_and_saveexec_b64 s[26:27], s[4:5]
	s_cbranch_execz .LBB241_1597
; %bb.1592:                             ;   in Loop: Header=BB241_818 Depth=1
	v_cmp_ne_u32_sdwa s[4:5], v6, s7 src0_sel:BYTE_3 src1_sel:DWORD
	v_pk_mov_b32 v[16:17], s[12:13], s[12:13] op_sel:[0,1]
	s_and_saveexec_b64 s[28:29], s[4:5]
	s_cbranch_execz .LBB241_1596
; %bb.1593:                             ;   in Loop: Header=BB241_818 Depth=1
	v_bfe_u32 v7, v6, 24, 7
	s_mov_b32 s22, s12
	v_cmp_ne_u32_e64 s[4:5], s15, v7
	v_pk_mov_b32 v[16:17], s[22:23], s[22:23] op_sel:[0,1]
	s_and_saveexec_b64 s[30:31], s[4:5]
	s_cbranch_execz .LBB241_1595
; %bb.1594:                             ;   in Loop: Header=BB241_818 Depth=1
	v_mov_b32_e32 v16, 7
	v_and_b32_sdwa v22, v6, v16 dst_sel:DWORD dst_unused:UNUSED_PAD src0_sel:BYTE_3 src1_sel:DWORD
	v_lshrrev_b32_e32 v18, 3, v7
	v_cmp_gt_u32_e64 s[4:5], 8, v7
	v_ffbh_u32_e32 v7, v22
	v_min_u32_e32 v7, 32, v7
	v_subrev_u32_e32 v16, 28, v7
	v_lshlrev_b64 v[16:17], v16, v[22:23]
	v_sub_u32_e32 v7, 29, v7
	v_mov_b32_e32 v17, 24
	v_and_b32_e32 v16, 7, v16
	v_cndmask_b32_e64 v7, v18, v7, s[4:5]
	v_lshlrev_b32_sdwa v6, v17, v6 dst_sel:DWORD dst_unused:UNUSED_PAD src0_sel:DWORD src1_sel:BYTE_3
	v_bfrev_b32_e32 v17, 60
	v_cndmask_b32_e64 v16, v22, v16, s[4:5]
	v_lshl_add_u32 v7, v7, 23, v17
	v_and_or_b32 v6, v6, s13, v7
	v_lshlrev_b32_e32 v7, 20, v16
	v_or_b32_e32 v17, v6, v7
	v_mov_b32_e32 v16, v23
.LBB241_1595:                           ;   in Loop: Header=BB241_818 Depth=1
	s_or_b64 exec, exec, s[30:31]
.LBB241_1596:                           ;   in Loop: Header=BB241_818 Depth=1
	s_or_b64 exec, exec, s[28:29]
.LBB241_1597:                           ;   in Loop: Header=BB241_818 Depth=1
	s_or_b64 exec, exec, s[26:27]
	v_or_b32_e32 v7, v11, v9
	v_or_b32_e32 v6, v10, v8
	;; [unrolled: 1-line block ×4, first 2 shown]
	v_pk_mul_f32 v[6:7], v[46:47], v[6:7]
	v_pk_mul_f32 v[8:9], v[46:47], v[8:9]
	s_and_saveexec_b64 s[26:27], vcc
	s_cbranch_execz .LBB241_1599
; %bb.1598:                             ;   in Loop: Header=BB241_818 Depth=1
	v_accvgpr_read_b32 v10, a17
	v_cmp_lt_i32_e64 s[4:5], v10, v62
	v_accvgpr_read_b32 v10, a5
	v_cndmask_b32_e64 v6, 0, v6, s[4:5]
	v_cmp_lt_i32_e64 s[4:5], v10, v62
	v_accvgpr_read_b32 v10, a41
	v_cndmask_b32_e64 v7, 0, v7, s[4:5]
	;; [unrolled: 3-line block ×3, first 2 shown]
	v_cmp_lt_i32_e64 s[4:5], v10, v62
	v_cndmask_b32_e64 v9, 0, v9, s[4:5]
.LBB241_1599:                           ;   in Loop: Header=BB241_818 Depth=1
	s_or_b64 exec, exec, s[26:27]
	v_accvgpr_read_b32 v10, a4
	v_add_co_u32_e64 v10, s[4:5], v42, v10
	v_addc_co_u32_e64 v11, s[4:5], 0, v43, s[4:5]
	flat_load_dword v10, v[10:11]
	v_pk_mov_b32 v[12:13], 0, 0
	v_pk_mov_b32 v[16:17], v[12:13], v[12:13] op_sel:[0,1]
	s_waitcnt vmcnt(0) lgkmcnt(0)
	v_cmp_ne_u16_sdwa s[4:5], v10, v23 src0_sel:BYTE_0 src1_sel:DWORD
	s_and_saveexec_b64 s[26:27], s[4:5]
	s_cbranch_execz .LBB241_1605
; %bb.1600:                             ;   in Loop: Header=BB241_818 Depth=1
	v_bfrev_b32_e32 v16, 1
	v_cmp_ne_u16_sdwa s[4:5], v10, s7 src0_sel:BYTE_0 src1_sel:DWORD
	v_mov_b32_e32 v17, 0
	s_and_saveexec_b64 s[28:29], s[4:5]
	s_cbranch_execz .LBB241_1604
; %bb.1601:                             ;   in Loop: Header=BB241_818 Depth=1
	v_and_b32_e32 v11, 0x7f, v10
	v_mov_b32_e32 v16, 0x7f800001
	v_cmp_ne_u32_e64 s[4:5], s15, v11
	v_mov_b32_e32 v17, 0
	s_and_saveexec_b64 s[30:31], s[4:5]
	s_cbranch_execz .LBB241_1603
; %bb.1602:                             ;   in Loop: Header=BB241_818 Depth=1
	v_and_b32_e32 v18, 7, v10
	v_lshrrev_b32_e32 v19, 3, v11
	v_cmp_gt_u32_e64 s[4:5], 8, v11
	v_ffbh_u32_e32 v11, v18
	v_min_u32_e32 v11, 32, v11
	v_subrev_u32_e32 v16, 28, v11
	v_lshlrev_b64 v[16:17], v16, v[10:11]
	v_sub_u32_e32 v11, 29, v11
	v_and_b32_e32 v16, 7, v16
	v_cndmask_b32_e64 v11, v19, v11, s[4:5]
	v_cndmask_b32_e64 v16, v18, v16, s[4:5]
	v_bfrev_b32_e32 v18, 60
	v_lshlrev_b32_e32 v16, 20, v16
	v_and_b32_sdwa v17, sext(v10), s13 dst_sel:DWORD dst_unused:UNUSED_PAD src0_sel:BYTE_0 src1_sel:DWORD
	v_lshl_add_u32 v11, v11, 23, v18
	v_or3_b32 v22, v17, v11, v16
	v_pk_mov_b32 v[16:17], v[22:23], v[22:23] op_sel:[0,1]
.LBB241_1603:                           ;   in Loop: Header=BB241_818 Depth=1
	s_or_b64 exec, exec, s[30:31]
.LBB241_1604:                           ;   in Loop: Header=BB241_818 Depth=1
	s_or_b64 exec, exec, s[28:29]
.LBB241_1605:                           ;   in Loop: Header=BB241_818 Depth=1
	s_or_b64 exec, exec, s[26:27]
	v_cmp_ne_u16_sdwa s[4:5], v10, v23 src0_sel:BYTE_1 src1_sel:DWORD
	s_and_saveexec_b64 s[26:27], s[4:5]
	s_cbranch_execz .LBB241_1611
; %bb.1606:                             ;   in Loop: Header=BB241_818 Depth=1
	v_cmp_ne_u16_sdwa s[4:5], v10, s7 src0_sel:BYTE_1 src1_sel:DWORD
	v_pk_mov_b32 v[12:13], s[12:13], s[12:13] op_sel:[0,1]
	s_and_saveexec_b64 s[28:29], s[4:5]
	s_cbranch_execz .LBB241_1610
; %bb.1607:                             ;   in Loop: Header=BB241_818 Depth=1
	v_and_b32_sdwa v11, v10, s15 dst_sel:DWORD dst_unused:UNUSED_PAD src0_sel:BYTE_1 src1_sel:DWORD
	s_mov_b32 s22, s12
	v_cmp_ne_u32_e64 s[4:5], s15, v11
	v_pk_mov_b32 v[12:13], s[22:23], s[22:23] op_sel:[0,1]
	s_and_saveexec_b64 s[30:31], s[4:5]
	s_cbranch_execz .LBB241_1609
; %bb.1608:                             ;   in Loop: Header=BB241_818 Depth=1
	v_mov_b32_e32 v12, 7
	v_and_b32_sdwa v22, v10, v12 dst_sel:DWORD dst_unused:UNUSED_PAD src0_sel:BYTE_1 src1_sel:DWORD
	v_lshrrev_b32_e32 v18, 3, v11
	v_cmp_gt_u32_e64 s[4:5], 8, v11
	v_ffbh_u32_e32 v11, v22
	v_min_u32_e32 v11, 32, v11
	v_subrev_u32_e32 v12, 28, v11
	v_lshlrev_b64 v[12:13], v12, v[22:23]
	v_sub_u32_e32 v11, 29, v11
	v_and_b32_e32 v12, 7, v12
	v_cndmask_b32_e64 v11, v18, v11, s[4:5]
	v_bfrev_b32_e32 v18, 60
	v_cndmask_b32_e64 v12, v22, v12, s[4:5]
	v_lshlrev_b32_e32 v13, 16, v10
	v_lshl_add_u32 v11, v11, 23, v18
	v_and_or_b32 v11, v13, s13, v11
	v_lshlrev_b32_e32 v12, 20, v12
	v_or_b32_e32 v13, v11, v12
	v_mov_b32_e32 v12, v23
.LBB241_1609:                           ;   in Loop: Header=BB241_818 Depth=1
	s_or_b64 exec, exec, s[30:31]
.LBB241_1610:                           ;   in Loop: Header=BB241_818 Depth=1
	s_or_b64 exec, exec, s[28:29]
.LBB241_1611:                           ;   in Loop: Header=BB241_818 Depth=1
	s_or_b64 exec, exec, s[26:27]
	v_lshrrev_b32_e32 v20, 16, v10
	v_pk_mov_b32 v[54:55], 0, 0
	v_cmp_ne_u16_sdwa s[4:5], v20, v23 src0_sel:BYTE_0 src1_sel:DWORD
	v_pk_mov_b32 v[18:19], v[54:55], v[54:55] op_sel:[0,1]
	s_and_saveexec_b64 s[26:27], s[4:5]
	s_cbranch_execz .LBB241_1617
; %bb.1612:                             ;   in Loop: Header=BB241_818 Depth=1
	v_bfrev_b32_e32 v18, 1
	v_cmp_ne_u16_sdwa s[4:5], v20, s7 src0_sel:BYTE_0 src1_sel:DWORD
	v_mov_b32_e32 v19, 0
	s_and_saveexec_b64 s[28:29], s[4:5]
	s_cbranch_execz .LBB241_1616
; %bb.1613:                             ;   in Loop: Header=BB241_818 Depth=1
	v_bfe_u32 v11, v10, 16, 7
	v_mov_b32_e32 v18, 0x7f800001
	v_cmp_ne_u32_e64 s[4:5], s15, v11
	v_mov_b32_e32 v19, 0
	s_and_saveexec_b64 s[30:31], s[4:5]
	s_cbranch_execz .LBB241_1615
; %bb.1614:                             ;   in Loop: Header=BB241_818 Depth=1
	v_and_b32_e32 v21, 7, v20
	v_lshrrev_b32_e32 v22, 3, v11
	v_cmp_gt_u32_e64 s[4:5], 8, v11
	v_ffbh_u32_e32 v11, v21
	v_min_u32_e32 v11, 32, v11
	v_subrev_u32_e32 v18, 28, v11
	v_lshlrev_b64 v[18:19], v18, v[20:21]
	v_sub_u32_e32 v11, 29, v11
	v_and_b32_e32 v18, 7, v18
	v_cndmask_b32_e64 v11, v22, v11, s[4:5]
	v_cndmask_b32_e64 v18, v21, v18, s[4:5]
	v_and_b32_sdwa v19, sext(v20), s13 dst_sel:DWORD dst_unused:UNUSED_PAD src0_sel:BYTE_0 src1_sel:DWORD
	v_bfrev_b32_e32 v20, 60
	v_lshlrev_b32_e32 v18, 20, v18
	v_lshl_add_u32 v11, v11, 23, v20
	v_or3_b32 v22, v19, v11, v18
	v_pk_mov_b32 v[18:19], v[22:23], v[22:23] op_sel:[0,1]
.LBB241_1615:                           ;   in Loop: Header=BB241_818 Depth=1
	s_or_b64 exec, exec, s[30:31]
.LBB241_1616:                           ;   in Loop: Header=BB241_818 Depth=1
	s_or_b64 exec, exec, s[28:29]
.LBB241_1617:                           ;   in Loop: Header=BB241_818 Depth=1
	s_or_b64 exec, exec, s[26:27]
	v_cmp_lt_u32_e64 s[4:5], s34, v10
	s_and_saveexec_b64 s[26:27], s[4:5]
	s_cbranch_execz .LBB241_1623
; %bb.1618:                             ;   in Loop: Header=BB241_818 Depth=1
	v_cmp_ne_u32_sdwa s[4:5], v10, s7 src0_sel:BYTE_3 src1_sel:DWORD
	v_pk_mov_b32 v[54:55], s[12:13], s[12:13] op_sel:[0,1]
	s_and_saveexec_b64 s[28:29], s[4:5]
	s_cbranch_execz .LBB241_1622
; %bb.1619:                             ;   in Loop: Header=BB241_818 Depth=1
	v_bfe_u32 v11, v10, 24, 7
	s_mov_b32 s22, s12
	v_cmp_ne_u32_e64 s[4:5], s15, v11
	v_pk_mov_b32 v[54:55], s[22:23], s[22:23] op_sel:[0,1]
	s_and_saveexec_b64 s[30:31], s[4:5]
	s_cbranch_execz .LBB241_1621
; %bb.1620:                             ;   in Loop: Header=BB241_818 Depth=1
	v_mov_b32_e32 v20, 7
	v_and_b32_sdwa v22, v10, v20 dst_sel:DWORD dst_unused:UNUSED_PAD src0_sel:BYTE_3 src1_sel:DWORD
	v_lshrrev_b32_e32 v54, 3, v11
	v_cmp_gt_u32_e64 s[4:5], 8, v11
	v_ffbh_u32_e32 v11, v22
	v_min_u32_e32 v11, 32, v11
	v_subrev_u32_e32 v20, 28, v11
	v_lshlrev_b64 v[20:21], v20, v[22:23]
	v_sub_u32_e32 v11, 29, v11
	v_mov_b32_e32 v21, 24
	v_and_b32_e32 v20, 7, v20
	v_cndmask_b32_e64 v11, v54, v11, s[4:5]
	v_lshlrev_b32_sdwa v10, v21, v10 dst_sel:DWORD dst_unused:UNUSED_PAD src0_sel:DWORD src1_sel:BYTE_3
	v_bfrev_b32_e32 v21, 60
	v_cndmask_b32_e64 v20, v22, v20, s[4:5]
	v_lshl_add_u32 v11, v11, 23, v21
	v_and_or_b32 v10, v10, s13, v11
	v_lshlrev_b32_e32 v11, 20, v20
	v_or_b32_e32 v55, v10, v11
	v_mov_b32_e32 v54, v23
.LBB241_1621:                           ;   in Loop: Header=BB241_818 Depth=1
	s_or_b64 exec, exec, s[30:31]
.LBB241_1622:                           ;   in Loop: Header=BB241_818 Depth=1
	s_or_b64 exec, exec, s[28:29]
.LBB241_1623:                           ;   in Loop: Header=BB241_818 Depth=1
	s_or_b64 exec, exec, s[26:27]
	v_or_b32_e32 v11, v13, v17
	v_or_b32_e32 v10, v12, v16
	v_pk_mul_f32 v[12:13], v[46:47], v[10:11]
	v_or_b32_e32 v11, v55, v19
	v_or_b32_e32 v10, v54, v18
	v_pk_mul_f32 v[10:11], v[46:47], v[10:11]
	s_and_saveexec_b64 s[26:27], vcc
	s_cbranch_execz .LBB241_1625
; %bb.1624:                             ;   in Loop: Header=BB241_818 Depth=1
	v_accvgpr_read_b32 v16, a17
	v_cmp_lt_i32_e64 s[4:5], v16, v62
	v_accvgpr_read_b32 v16, a5
	v_cndmask_b32_e64 v12, 0, v12, s[4:5]
	v_cmp_lt_i32_e64 s[4:5], v16, v62
	v_accvgpr_read_b32 v16, a41
	v_cndmask_b32_e64 v13, 0, v13, s[4:5]
	;; [unrolled: 3-line block ×3, first 2 shown]
	v_cmp_lt_i32_e64 s[4:5], v16, v62
	v_cndmask_b32_e64 v11, 0, v11, s[4:5]
.LBB241_1625:                           ;   in Loop: Header=BB241_818 Depth=1
	s_or_b64 exec, exec, s[26:27]
	buffer_load_dword v16, off, s[0:3], s32 offset:528 ; 4-byte Folded Reload
	buffer_load_dword v17, off, s[0:3], s32 offset:532 ; 4-byte Folded Reload
	s_waitcnt vmcnt(1)
	v_add_co_u32_e64 v16, s[4:5], v42, v16
	s_waitcnt vmcnt(0)
	v_addc_co_u32_e64 v17, s[4:5], 0, v43, s[4:5]
	flat_load_dword v42, v[16:17]
	v_pk_mov_b32 v[16:17], 0, 0
	v_pk_mov_b32 v[18:19], v[16:17], v[16:17] op_sel:[0,1]
	s_waitcnt vmcnt(0) lgkmcnt(0)
	v_cmp_ne_u16_sdwa s[4:5], v42, v23 src0_sel:BYTE_0 src1_sel:DWORD
	s_and_saveexec_b64 s[26:27], s[4:5]
	s_cbranch_execz .LBB241_1631
; %bb.1626:                             ;   in Loop: Header=BB241_818 Depth=1
	v_bfrev_b32_e32 v18, 1
	v_cmp_ne_u16_sdwa s[4:5], v42, s7 src0_sel:BYTE_0 src1_sel:DWORD
	v_mov_b32_e32 v19, 0
	s_and_saveexec_b64 s[28:29], s[4:5]
	s_cbranch_execz .LBB241_1630
; %bb.1627:                             ;   in Loop: Header=BB241_818 Depth=1
	v_and_b32_e32 v20, 0x7f, v42
	v_mov_b32_e32 v18, 0x7f800001
	v_cmp_ne_u32_e64 s[4:5], s15, v20
	v_mov_b32_e32 v19, 0
	s_and_saveexec_b64 s[30:31], s[4:5]
	s_cbranch_execz .LBB241_1629
; %bb.1628:                             ;   in Loop: Header=BB241_818 Depth=1
	v_and_b32_e32 v21, 7, v42
	v_ffbh_u32_e32 v18, v21
	v_lshrrev_b32_e32 v22, 3, v20
	v_cmp_gt_u32_e64 s[4:5], 8, v20
	v_min_u32_e32 v20, 32, v18
	v_subrev_u32_e32 v18, 28, v20
	v_lshlrev_b64 v[18:19], v18, v[42:43]
	v_sub_u32_e32 v19, 29, v20
	v_and_b32_e32 v18, 7, v18
	v_cndmask_b32_e64 v19, v22, v19, s[4:5]
	v_cndmask_b32_e64 v18, v21, v18, s[4:5]
	v_bfrev_b32_e32 v21, 60
	v_lshlrev_b32_e32 v18, 20, v18
	v_and_b32_sdwa v20, sext(v42), s13 dst_sel:DWORD dst_unused:UNUSED_PAD src0_sel:BYTE_0 src1_sel:DWORD
	v_lshl_add_u32 v19, v19, 23, v21
	v_or3_b32 v22, v20, v19, v18
	v_pk_mov_b32 v[18:19], v[22:23], v[22:23] op_sel:[0,1]
.LBB241_1629:                           ;   in Loop: Header=BB241_818 Depth=1
	s_or_b64 exec, exec, s[30:31]
.LBB241_1630:                           ;   in Loop: Header=BB241_818 Depth=1
	s_or_b64 exec, exec, s[28:29]
.LBB241_1631:                           ;   in Loop: Header=BB241_818 Depth=1
	s_or_b64 exec, exec, s[26:27]
	v_cmp_ne_u16_sdwa s[4:5], v42, v23 src0_sel:BYTE_1 src1_sel:DWORD
	s_and_saveexec_b64 s[26:27], s[4:5]
	s_cbranch_execz .LBB241_1637
; %bb.1632:                             ;   in Loop: Header=BB241_818 Depth=1
	v_cmp_ne_u16_sdwa s[4:5], v42, s7 src0_sel:BYTE_1 src1_sel:DWORD
	v_pk_mov_b32 v[16:17], s[12:13], s[12:13] op_sel:[0,1]
	s_and_saveexec_b64 s[28:29], s[4:5]
	s_cbranch_execz .LBB241_1636
; %bb.1633:                             ;   in Loop: Header=BB241_818 Depth=1
	v_and_b32_sdwa v20, v42, s15 dst_sel:DWORD dst_unused:UNUSED_PAD src0_sel:BYTE_1 src1_sel:DWORD
	s_mov_b32 s22, s12
	v_cmp_ne_u32_e64 s[4:5], s15, v20
	v_pk_mov_b32 v[16:17], s[22:23], s[22:23] op_sel:[0,1]
	s_and_saveexec_b64 s[30:31], s[4:5]
	s_cbranch_execz .LBB241_1635
; %bb.1634:                             ;   in Loop: Header=BB241_818 Depth=1
	v_mov_b32_e32 v16, 7
	v_and_b32_sdwa v22, v42, v16 dst_sel:DWORD dst_unused:UNUSED_PAD src0_sel:BYTE_1 src1_sel:DWORD
	v_ffbh_u32_e32 v16, v22
	v_lshrrev_b32_e32 v21, 3, v20
	v_cmp_gt_u32_e64 s[4:5], 8, v20
	v_min_u32_e32 v20, 32, v16
	v_subrev_u32_e32 v16, 28, v20
	v_lshlrev_b64 v[16:17], v16, v[22:23]
	v_sub_u32_e32 v17, 29, v20
	v_and_b32_e32 v16, 7, v16
	v_cndmask_b32_e64 v17, v21, v17, s[4:5]
	v_bfrev_b32_e32 v21, 60
	v_cndmask_b32_e64 v16, v22, v16, s[4:5]
	v_lshlrev_b32_e32 v20, 16, v42
	v_lshl_add_u32 v17, v17, 23, v21
	v_and_or_b32 v17, v20, s13, v17
	v_lshlrev_b32_e32 v16, 20, v16
	v_or_b32_e32 v17, v17, v16
	v_mov_b32_e32 v16, v23
.LBB241_1635:                           ;   in Loop: Header=BB241_818 Depth=1
	s_or_b64 exec, exec, s[30:31]
.LBB241_1636:                           ;   in Loop: Header=BB241_818 Depth=1
	s_or_b64 exec, exec, s[28:29]
.LBB241_1637:                           ;   in Loop: Header=BB241_818 Depth=1
	s_or_b64 exec, exec, s[26:27]
	v_lshrrev_b32_e32 v22, 16, v42
	v_pk_mov_b32 v[54:55], 0, 0
	v_cmp_ne_u16_sdwa s[4:5], v22, v23 src0_sel:BYTE_0 src1_sel:DWORD
	v_pk_mov_b32 v[20:21], v[54:55], v[54:55] op_sel:[0,1]
	s_and_saveexec_b64 s[26:27], s[4:5]
	s_cbranch_execz .LBB241_1643
; %bb.1638:                             ;   in Loop: Header=BB241_818 Depth=1
	v_bfrev_b32_e32 v20, 1
	v_cmp_ne_u16_sdwa s[4:5], v22, s7 src0_sel:BYTE_0 src1_sel:DWORD
	v_mov_b32_e32 v21, 0
	s_and_saveexec_b64 s[28:29], s[4:5]
	s_cbranch_execz .LBB241_1642
; %bb.1639:                             ;   in Loop: Header=BB241_818 Depth=1
	v_bfe_u32 v43, v42, 16, 7
	v_mov_b32_e32 v20, 0x7f800001
	v_cmp_ne_u32_e64 s[4:5], s15, v43
	v_mov_b32_e32 v21, 0
	s_and_saveexec_b64 s[30:31], s[4:5]
	s_cbranch_execz .LBB241_1641
; %bb.1640:                             ;   in Loop: Header=BB241_818 Depth=1
	v_accvgpr_write_b32 a39, v25
	v_accvgpr_write_b32 a38, v24
	v_and_b32_e32 v24, 7, v22
	v_ffbh_u32_e32 v20, v24
	v_lshrrev_b32_e32 v25, 3, v43
	v_cmp_gt_u32_e64 s[4:5], 8, v43
	v_min_u32_e32 v43, 32, v20
	v_subrev_u32_e32 v20, 28, v43
	v_lshlrev_b64 v[20:21], v20, v[22:23]
	v_sub_u32_e32 v21, 29, v43
	v_and_b32_e32 v20, 7, v20
	v_cndmask_b32_e64 v21, v25, v21, s[4:5]
	v_cndmask_b32_e64 v20, v24, v20, s[4:5]
	v_bfrev_b32_e32 v24, 60
	v_lshlrev_b32_e32 v20, 20, v20
	v_and_b32_sdwa v22, sext(v22), s13 dst_sel:DWORD dst_unused:UNUSED_PAD src0_sel:BYTE_0 src1_sel:DWORD
	v_lshl_add_u32 v21, v21, 23, v24
	v_accvgpr_read_b32 v24, a38
	v_or3_b32 v22, v22, v21, v20
	v_accvgpr_read_b32 v25, a39
	v_pk_mov_b32 v[20:21], v[22:23], v[22:23] op_sel:[0,1]
.LBB241_1641:                           ;   in Loop: Header=BB241_818 Depth=1
	s_or_b64 exec, exec, s[30:31]
.LBB241_1642:                           ;   in Loop: Header=BB241_818 Depth=1
	s_or_b64 exec, exec, s[28:29]
.LBB241_1643:                           ;   in Loop: Header=BB241_818 Depth=1
	s_or_b64 exec, exec, s[26:27]
	v_cmp_lt_u32_e64 s[4:5], s34, v42
	s_and_saveexec_b64 s[26:27], s[4:5]
	s_cbranch_execz .LBB241_1649
; %bb.1644:                             ;   in Loop: Header=BB241_818 Depth=1
	v_cmp_ne_u32_sdwa s[4:5], v42, s7 src0_sel:BYTE_3 src1_sel:DWORD
	v_pk_mov_b32 v[54:55], s[12:13], s[12:13] op_sel:[0,1]
	s_and_saveexec_b64 s[28:29], s[4:5]
	s_cbranch_execz .LBB241_1648
; %bb.1645:                             ;   in Loop: Header=BB241_818 Depth=1
	v_bfe_u32 v43, v42, 24, 7
	s_mov_b32 s22, s12
	v_cmp_ne_u32_e64 s[4:5], s15, v43
	v_pk_mov_b32 v[54:55], s[22:23], s[22:23] op_sel:[0,1]
	s_and_saveexec_b64 s[30:31], s[4:5]
	s_cbranch_execz .LBB241_1647
; %bb.1646:                             ;   in Loop: Header=BB241_818 Depth=1
	v_mov_b32_e32 v22, 7
	v_and_b32_sdwa v22, v42, v22 dst_sel:DWORD dst_unused:UNUSED_PAD src0_sel:BYTE_3 src1_sel:DWORD
	v_accvgpr_write_b32 a39, v25
	v_accvgpr_write_b32 a38, v24
	v_ffbh_u32_e32 v25, v22
	v_min_u32_e32 v25, 32, v25
	v_subrev_u32_e32 v54, 28, v25
	v_lshlrev_b64 v[54:55], v54, v[22:23]
	v_lshrrev_b32_e32 v24, 3, v43
	v_cmp_gt_u32_e64 s[4:5], 8, v43
	v_sub_u32_e32 v25, 29, v25
	v_and_b32_e32 v54, 7, v54
	v_cndmask_b32_e64 v24, v24, v25, s[4:5]
	v_cndmask_b32_e64 v22, v22, v54, s[4:5]
	v_mov_b32_e32 v25, 24
	v_bfrev_b32_e32 v54, 60
	v_lshlrev_b32_sdwa v25, v25, v42 dst_sel:DWORD dst_unused:UNUSED_PAD src0_sel:DWORD src1_sel:BYTE_3
	v_lshl_add_u32 v24, v24, 23, v54
	v_and_or_b32 v24, v25, s13, v24
	v_lshlrev_b32_e32 v22, 20, v22
	v_or_b32_e32 v55, v24, v22
	v_accvgpr_read_b32 v24, a38
	v_accvgpr_read_b32 v25, a39
	v_mov_b32_e32 v54, v23
.LBB241_1647:                           ;   in Loop: Header=BB241_818 Depth=1
	s_or_b64 exec, exec, s[30:31]
.LBB241_1648:                           ;   in Loop: Header=BB241_818 Depth=1
	s_or_b64 exec, exec, s[28:29]
.LBB241_1649:                           ;   in Loop: Header=BB241_818 Depth=1
	s_or_b64 exec, exec, s[26:27]
	v_or_b32_e32 v17, v17, v19
	v_or_b32_e32 v16, v16, v18
	v_accvgpr_write_b32 a39, v25
	v_pk_mul_f32 v[42:43], v[46:47], v[16:17]
	v_or_b32_e32 v17, v55, v21
	v_or_b32_e32 v16, v54, v20
	v_accvgpr_write_b32 a38, v24
	v_pk_mul_f32 v[46:47], v[46:47], v[16:17]
	s_and_saveexec_b64 s[4:5], vcc
	s_cbranch_execz .LBB241_816
; %bb.1650:                             ;   in Loop: Header=BB241_818 Depth=1
	v_accvgpr_read_b32 v16, a17
	v_cmp_lt_i32_e32 vcc, v16, v62
	v_accvgpr_read_b32 v16, a5
	v_cndmask_b32_e32 v42, 0, v42, vcc
	v_cmp_lt_i32_e32 vcc, v16, v62
	v_accvgpr_read_b32 v16, a41
	v_cndmask_b32_e32 v43, 0, v43, vcc
	;; [unrolled: 3-line block ×3, first 2 shown]
	v_cmp_lt_i32_e32 vcc, v16, v62
	v_cndmask_b32_e32 v47, 0, v47, vcc
	s_branch .LBB241_816
.LBB241_1651:
	s_or_b64 exec, exec, s[20:21]
	buffer_load_dword v21, off, s[0:3], s32 offset:656 ; 4-byte Folded Reload
	buffer_load_dword v23, off, s[0:3], s32 offset:648 ; 4-byte Folded Reload
	;; [unrolled: 1-line block ×5, first 2 shown]
.LBB241_1652:
	s_or_b64 exec, exec, s[10:11]
	v_pk_mov_b32 v[28:29], v[10:11], v[10:11] op_sel:[0,1]
	buffer_load_dword v4, off, s[0:3], s32 offset:448 ; 4-byte Folded Reload
	buffer_load_dword v5, off, s[0:3], s32 offset:452 ; 4-byte Folded Reload
	;; [unrolled: 1-line block ×6, first 2 shown]
	v_pk_mov_b32 v[38:39], v[6:7], v[6:7] op_sel:[0,1]
	s_waitcnt vmcnt(0)
	v_pk_mov_b32 v[6:7], v[2:3], v[2:3] op_sel:[0,1]
	ds_bpermute_b32 v2, v23, v6
	ds_bpermute_b32 v3, v23, v7
	v_pk_mov_b32 v[30:31], v[8:9], v[8:9] op_sel:[0,1]
	v_mov_b32_e32 v52, v14
	v_mov_b32_e32 v37, v23
	;; [unrolled: 1-line block ×3, first 2 shown]
	s_waitcnt lgkmcnt(0)
	v_pk_add_f32 v[2:3], v[6:7], v[2:3]
	ds_bpermute_b32 v6, v21, v2
	ds_bpermute_b32 v7, v21, v3
	v_pk_mov_b32 v[34:35], v[30:31], v[30:31] op_sel:[0,1]
	ds_bpermute_b32 v30, v37, v34
	ds_bpermute_b32 v31, v37, v35
	s_waitcnt lgkmcnt(2)
	v_pk_add_f32 v[2:3], v[2:3], v[6:7]
	s_waitcnt lgkmcnt(0)
	v_pk_add_f32 v[30:31], v[34:35], v[30:31]
	ds_bpermute_b32 v34, v51, v30
	ds_bpermute_b32 v35, v51, v31
	;; [unrolled: 1-line block ×8, first 2 shown]
	s_waitcnt lgkmcnt(4)
	v_pk_add_f32 v[0:1], v[4:5], v[0:1]
	ds_bpermute_b32 v4, v21, v0
	s_waitcnt lgkmcnt(3)
	v_pk_add_f32 v[6:7], v[10:11], v[8:9]
	ds_bpermute_b32 v5, v21, v1
	ds_bpermute_b32 v8, v21, v6
	ds_bpermute_b32 v9, v21, v7
	s_waitcnt lgkmcnt(4)
	v_pk_add_f32 v[12:13], v[16:17], v[12:13]
	ds_bpermute_b32 v10, v14, v2
	s_waitcnt lgkmcnt(3)
	v_pk_add_f32 v[0:1], v[0:1], v[4:5]
	ds_bpermute_b32 v4, v14, v0
	;; [unrolled: 3-line block ×3, first 2 shown]
	ds_bpermute_b32 v11, v14, v3
	ds_bpermute_b32 v8, v14, v6
	;; [unrolled: 1-line block ×5, first 2 shown]
	s_waitcnt lgkmcnt(5)
	v_pk_add_f32 v[4:5], v[0:1], v[4:5]
	s_waitcnt lgkmcnt(4)
	v_pk_add_f32 v[2:3], v[2:3], v[10:11]
	;; [unrolled: 2-line block ×4, first 2 shown]
	buffer_load_dword v14, off, s[0:3], s32 offset:424 ; 4-byte Folded Reload
	buffer_load_dword v15, off, s[0:3], s32 offset:428 ; 4-byte Folded Reload
	;; [unrolled: 1-line block ×8, first 2 shown]
	ds_bpermute_b32 v8, v52, v6
	ds_bpermute_b32 v9, v52, v7
	s_waitcnt vmcnt(7)
	ds_bpermute_b32 v10, v23, v14
	s_waitcnt vmcnt(5)
	;; [unrolled: 2-line block ×3, first 2 shown]
	ds_bpermute_b32 v13, v23, v17
	ds_bpermute_b32 v11, v23, v15
	s_waitcnt vmcnt(3)
	ds_bpermute_b32 v18, v23, v24
	s_waitcnt vmcnt(2)
	;; [unrolled: 2-line block ×3, first 2 shown]
	ds_bpermute_b32 v22, v23, v26
	s_waitcnt lgkmcnt(4)
	v_pk_add_f32 v[12:13], v[16:17], v[12:13]
	ds_bpermute_b32 v16, v21, v12
	ds_bpermute_b32 v17, v21, v13
	s_waitcnt lgkmcnt(5)
	v_pk_add_f32 v[10:11], v[14:15], v[10:11]
	ds_bpermute_b32 v14, v21, v10
	ds_bpermute_b32 v15, v21, v11
	s_waitcnt vmcnt(0)
	ds_bpermute_b32 v23, v23, v27
	s_waitcnt lgkmcnt(3)
	v_pk_add_f32 v[16:17], v[12:13], v[16:17]
	v_pk_add_f32 v[12:13], v[24:25], v[18:19]
	ds_bpermute_b32 v18, v21, v12
	ds_bpermute_b32 v19, v21, v13
	s_waitcnt lgkmcnt(3)
	v_pk_add_f32 v[10:11], v[10:11], v[14:15]
	s_waitcnt lgkmcnt(2)
	v_pk_add_f32 v[22:23], v[26:27], v[22:23]
	ds_bpermute_b32 v14, v52, v10
	ds_bpermute_b32 v15, v52, v11
	s_waitcnt lgkmcnt(2)
	v_pk_add_f32 v[18:19], v[12:13], v[18:19]
	ds_bpermute_b32 v24, v52, v18
	ds_bpermute_b32 v25, v52, v19
	;; [unrolled: 1-line block ×4, first 2 shown]
	v_pk_add_f32 v[12:13], v[6:7], v[8:9]
	s_waitcnt lgkmcnt(4)
	v_pk_add_f32 v[10:11], v[10:11], v[14:15]
	s_waitcnt lgkmcnt(2)
	v_pk_add_f32 v[6:7], v[18:19], v[24:25]
	ds_bpermute_b32 v20, v52, v16
	s_waitcnt lgkmcnt(1)
	v_pk_add_f32 v[14:15], v[22:23], v[26:27]
	buffer_load_dword v22, off, s[0:3], s32 offset:392 ; 4-byte Folded Reload
	buffer_load_dword v23, off, s[0:3], s32 offset:396 ; 4-byte Folded Reload
	;; [unrolled: 1-line block ×4, first 2 shown]
	ds_bpermute_b32 v21, v52, v17
	ds_bpermute_b32 v26, v37, v28
	;; [unrolled: 1-line block ×3, first 2 shown]
	s_waitcnt lgkmcnt(2)
	v_pk_add_f32 v[8:9], v[16:17], v[20:21]
	ds_bpermute_b32 v16, v52, v14
	ds_bpermute_b32 v17, v52, v15
	s_waitcnt vmcnt(3)
	ds_bpermute_b32 v18, v37, v22
	s_waitcnt vmcnt(1)
	;; [unrolled: 2-line block ×3, first 2 shown]
	ds_bpermute_b32 v21, v37, v25
	ds_bpermute_b32 v19, v37, v23
	s_waitcnt lgkmcnt(1)
	v_pk_add_f32 v[20:21], v[24:25], v[20:21]
	ds_bpermute_b32 v24, v51, v20
	ds_bpermute_b32 v25, v51, v21
	s_waitcnt lgkmcnt(2)
	v_pk_add_f32 v[18:19], v[22:23], v[18:19]
	;; [unrolled: 4-line block ×3, first 2 shown]
	v_pk_add_f32 v[20:21], v[28:29], v[26:27]
	ds_bpermute_b32 v26, v51, v20
	ds_bpermute_b32 v27, v51, v21
	;; [unrolled: 1-line block ×4, first 2 shown]
	s_waitcnt lgkmcnt(4)
	v_pk_add_f32 v[18:19], v[18:19], v[22:23]
	ds_bpermute_b32 v22, v52, v18
	ds_bpermute_b32 v23, v52, v19
	s_waitcnt lgkmcnt(4)
	v_pk_add_f32 v[26:27], v[20:21], v[26:27]
	v_pk_add_f32 v[20:21], v[14:15], v[16:17]
	s_waitcnt lgkmcnt(2)
	v_pk_add_f32 v[16:17], v[24:25], v[28:29]
	ds_bpermute_b32 v28, v37, v38
	ds_bpermute_b32 v29, v37, v39
	s_waitcnt lgkmcnt(2)
	v_pk_add_f32 v[18:19], v[18:19], v[22:23]
	v_pk_add_f32 v[22:23], v[30:31], v[34:35]
	buffer_load_dword v30, off, s[0:3], s32 offset:368 ; 4-byte Folded Reload
	buffer_load_dword v31, off, s[0:3], s32 offset:372 ; 4-byte Folded Reload
	ds_bpermute_b32 v32, v52, v26
	s_waitcnt lgkmcnt(1)
	v_pk_add_f32 v[28:29], v[38:39], v[28:29]
	buffer_load_dword v38, off, s[0:3], s32 offset:360 ; 4-byte Folded Reload
	buffer_load_dword v39, off, s[0:3], s32 offset:364 ; 4-byte Folded Reload
	ds_bpermute_b32 v33, v52, v27
	buffer_load_dword v54, off, s[0:3], s32 offset:376 ; 4-byte Folded Reload
	buffer_load_dword v55, off, s[0:3], s32 offset:380 ; 4-byte Folded Reload
	ds_bpermute_b32 v24, v52, v22
	ds_bpermute_b32 v25, v52, v23
	s_waitcnt lgkmcnt(0)
	v_pk_add_f32 v[14:15], v[26:27], v[32:33]
	ds_bpermute_b32 v32, v51, v28
	ds_bpermute_b32 v33, v51, v29
	s_barrier
	s_waitcnt lgkmcnt(0)
	v_pk_add_f32 v[32:33], v[28:29], v[32:33]
	ds_bpermute_b32 v36, v52, v32
	s_waitcnt vmcnt(5)
	ds_bpermute_b32 v26, v37, v30
	s_waitcnt vmcnt(4)
	ds_bpermute_b32 v27, v37, v31
	s_waitcnt vmcnt(3)
	ds_bpermute_b32 v34, v37, v38
	s_waitcnt vmcnt(2)
	ds_bpermute_b32 v35, v37, v39
	s_waitcnt lgkmcnt(2)
	v_pk_add_f32 v[26:27], v[30:31], v[26:27]
	ds_bpermute_b32 v30, v51, v26
	ds_bpermute_b32 v31, v51, v27
	s_waitcnt lgkmcnt(2)
	v_pk_add_f32 v[28:29], v[38:39], v[34:35]
	ds_bpermute_b32 v34, v51, v28
	ds_bpermute_b32 v35, v51, v29
	s_waitcnt vmcnt(1)
	ds_bpermute_b32 v38, v37, v54
	s_waitcnt vmcnt(0)
	ds_bpermute_b32 v39, v37, v55
	s_waitcnt lgkmcnt(4)
	v_pk_add_f32 v[26:27], v[26:27], v[30:31]
	ds_bpermute_b32 v30, v52, v26
	s_waitcnt lgkmcnt(3)
	v_pk_add_f32 v[34:35], v[28:29], v[34:35]
	ds_bpermute_b32 v48, v52, v34
	ds_bpermute_b32 v49, v52, v35
	v_pk_add_f32 v[28:29], v[22:23], v[24:25]
	s_waitcnt lgkmcnt(3)
	v_pk_add_f32 v[38:39], v[54:55], v[38:39]
	ds_bpermute_b32 v31, v52, v27
	ds_bpermute_b32 v50, v51, v38
	s_waitcnt lgkmcnt(2)
	v_pk_add_f32 v[22:23], v[34:35], v[48:49]
	buffer_load_dword v34, off, s[0:3], s32 offset:1052 ; 4-byte Folded Reload
	ds_bpermute_b32 v51, v51, v39
	ds_bpermute_b32 v37, v52, v33
	s_waitcnt lgkmcnt(3)
	v_pk_add_f32 v[26:27], v[26:27], v[30:31]
	s_waitcnt lgkmcnt(1)
	v_pk_add_f32 v[30:31], v[38:39], v[50:51]
	s_waitcnt lgkmcnt(0)
	v_pk_add_f32 v[24:25], v[32:33], v[36:37]
	ds_bpermute_b32 v32, v52, v30
	ds_bpermute_b32 v33, v52, v31
	s_waitcnt vmcnt(0)
	v_and_b32_e32 v34, 0x3c7, v34
	v_cmp_ne_u32_e32 vcc, 64, v34
	s_and_saveexec_b64 s[4:5], vcc
	s_xor_b64 s[4:5], exec, s[4:5]
; %bb.1653:
                                        ; implicit-def: $vgpr35
                                        ; kill: killed $vgpr35
; %bb.1654:
	s_or_saveexec_b64 s[4:5], s[4:5]
	s_waitcnt lgkmcnt(0)
	v_pk_add_f32 v[30:31], v[30:31], v[32:33]
	s_xor_b64 exec, exec, s[4:5]
	s_cbranch_execz .LBB241_1656
; %bb.1655:
	buffer_load_dword v32, off, s[0:3], s32 offset:640 ; 4-byte Folded Reload
	s_load_dword s7, s[8:9], 0x0
	s_waitcnt vmcnt(0)
	v_lshrrev_b32_e32 v32, 1, v32
	s_waitcnt lgkmcnt(0)
	v_add_u32_e32 v32, s7, v32
	ds_write2_b32 v32, v4, v5 offset1:8
	ds_write2_b32 v32, v2, v3 offset0:16 offset1:24
	ds_write2_b32 v32, v0, v1 offset0:32 offset1:40
	;; [unrolled: 1-line block ×15, first 2 shown]
.LBB241_1656:
	s_or_b64 exec, exec, s[4:5]
	s_waitcnt lgkmcnt(0)
	s_barrier
	buffer_load_dword v32, off, s[0:3], s32 offset:1052 ; 4-byte Folded Reload
	s_waitcnt vmcnt(0)
	v_cmp_gt_u32_e32 vcc, 64, v32
	s_and_saveexec_b64 s[4:5], vcc
	s_cbranch_execz .LBB241_1691
; %bb.1657:
	buffer_load_dword v32, off, s[0:3], s32 offset:632 ; 4-byte Folded Reload
	s_waitcnt vmcnt(0)
	v_cmp_eq_u32_e32 vcc, 0, v32
	buffer_load_dword v32, off, s[0:3], s32 offset:1052 ; 4-byte Folded Reload
	s_waitcnt vmcnt(0)
	v_lshrrev_b32_e32 v32, 3, v32
	s_and_saveexec_b64 s[10:11], vcc
	s_cbranch_execnz .LBB241_1694
; %bb.1658:
	s_or_b64 exec, exec, s[10:11]
	s_and_saveexec_b64 s[10:11], vcc
	s_cbranch_execnz .LBB241_1695
.LBB241_1659:
	s_or_b64 exec, exec, s[10:11]
	s_and_saveexec_b64 s[10:11], vcc
	s_cbranch_execnz .LBB241_1696
.LBB241_1660:
	s_or_b64 exec, exec, s[10:11]
	s_and_saveexec_b64 s[10:11], vcc
	s_cbranch_execnz .LBB241_1697
.LBB241_1661:
	s_or_b64 exec, exec, s[10:11]
	s_and_saveexec_b64 s[10:11], vcc
	s_cbranch_execnz .LBB241_1698
.LBB241_1662:
	s_or_b64 exec, exec, s[10:11]
	s_and_saveexec_b64 s[10:11], vcc
	s_cbranch_execnz .LBB241_1699
.LBB241_1663:
	s_or_b64 exec, exec, s[10:11]
	s_and_saveexec_b64 s[10:11], vcc
	s_cbranch_execnz .LBB241_1700
.LBB241_1664:
	s_or_b64 exec, exec, s[10:11]
	s_and_saveexec_b64 s[10:11], vcc
	s_cbranch_execnz .LBB241_1701
.LBB241_1665:
	s_or_b64 exec, exec, s[10:11]
	s_and_saveexec_b64 s[10:11], vcc
	s_cbranch_execnz .LBB241_1702
.LBB241_1666:
	s_or_b64 exec, exec, s[10:11]
	s_and_saveexec_b64 s[10:11], vcc
	s_cbranch_execnz .LBB241_1703
.LBB241_1667:
	s_or_b64 exec, exec, s[10:11]
	s_and_saveexec_b64 s[10:11], vcc
	s_cbranch_execnz .LBB241_1704
.LBB241_1668:
	s_or_b64 exec, exec, s[10:11]
	s_and_saveexec_b64 s[10:11], vcc
	s_cbranch_execnz .LBB241_1705
.LBB241_1669:
	s_or_b64 exec, exec, s[10:11]
	s_and_saveexec_b64 s[10:11], vcc
	s_cbranch_execnz .LBB241_1706
.LBB241_1670:
	s_or_b64 exec, exec, s[10:11]
	s_and_saveexec_b64 s[10:11], vcc
	s_cbranch_execnz .LBB241_1707
.LBB241_1671:
	s_or_b64 exec, exec, s[10:11]
	s_and_saveexec_b64 s[10:11], vcc
	s_cbranch_execnz .LBB241_1708
.LBB241_1672:
	s_or_b64 exec, exec, s[10:11]
	s_and_saveexec_b64 s[10:11], vcc
	s_cbranch_execnz .LBB241_1709
.LBB241_1673:
	s_or_b64 exec, exec, s[10:11]
	s_and_saveexec_b64 s[10:11], vcc
	s_cbranch_execnz .LBB241_1710
.LBB241_1674:
	s_or_b64 exec, exec, s[10:11]
	s_and_saveexec_b64 s[10:11], vcc
	s_cbranch_execnz .LBB241_1711
.LBB241_1675:
	s_or_b64 exec, exec, s[10:11]
	s_and_saveexec_b64 s[10:11], vcc
	s_cbranch_execnz .LBB241_1712
.LBB241_1676:
	s_or_b64 exec, exec, s[10:11]
	s_and_saveexec_b64 s[10:11], vcc
	s_cbranch_execnz .LBB241_1713
.LBB241_1677:
	s_or_b64 exec, exec, s[10:11]
	s_and_saveexec_b64 s[10:11], vcc
	s_cbranch_execnz .LBB241_1714
.LBB241_1678:
	s_or_b64 exec, exec, s[10:11]
	s_and_saveexec_b64 s[10:11], vcc
	s_cbranch_execnz .LBB241_1715
.LBB241_1679:
	s_or_b64 exec, exec, s[10:11]
	s_and_saveexec_b64 s[10:11], vcc
	s_cbranch_execnz .LBB241_1716
.LBB241_1680:
	s_or_b64 exec, exec, s[10:11]
	s_and_saveexec_b64 s[10:11], vcc
	s_cbranch_execnz .LBB241_1717
.LBB241_1681:
	s_or_b64 exec, exec, s[10:11]
	s_and_saveexec_b64 s[10:11], vcc
	s_cbranch_execnz .LBB241_1718
.LBB241_1682:
	s_or_b64 exec, exec, s[10:11]
	s_and_saveexec_b64 s[10:11], vcc
	s_cbranch_execnz .LBB241_1719
.LBB241_1683:
	s_or_b64 exec, exec, s[10:11]
	s_and_saveexec_b64 s[10:11], vcc
	s_cbranch_execnz .LBB241_1720
.LBB241_1684:
	s_or_b64 exec, exec, s[10:11]
	s_and_saveexec_b64 s[10:11], vcc
	s_cbranch_execnz .LBB241_1721
.LBB241_1685:
	s_or_b64 exec, exec, s[10:11]
	s_and_saveexec_b64 s[10:11], vcc
	s_cbranch_execnz .LBB241_1722
.LBB241_1686:
	s_or_b64 exec, exec, s[10:11]
	s_and_saveexec_b64 s[10:11], vcc
	s_cbranch_execnz .LBB241_1723
.LBB241_1687:
	s_or_b64 exec, exec, s[10:11]
	s_and_saveexec_b64 s[10:11], vcc
	s_cbranch_execnz .LBB241_1724
.LBB241_1688:
	s_or_b64 exec, exec, s[10:11]
	s_and_saveexec_b64 s[10:11], vcc
	s_cbranch_execz .LBB241_1690
.LBB241_1689:
	s_load_dword s7, s[8:9], 0x0
	s_waitcnt lgkmcnt(0)
	v_lshl_add_u32 v32, v32, 2, s7
	ds_read_b32 v32, v32 offset:992
	s_waitcnt lgkmcnt(0)
	v_add_f32_e32 v31, v32, v31
.LBB241_1690:
	s_or_b64 exec, exec, s[10:11]
.LBB241_1691:
	s_or_b64 exec, exec, s[4:5]
	v_cmp_eq_u32_e32 vcc, 0, v34
	s_barrier
	s_and_b64 exec, exec, vcc
	s_cbranch_execz .LBB241_1693
; %bb.1692:
	buffer_load_dword v33, off, s[0:3], s32 offset:1132 ; 4-byte Folded Reload
	buffer_load_dword v34, off, s[0:3], s32 offset:1128 ; 4-byte Folded Reload
	s_lshl_b32 s4, s6, 8
	s_mul_i32 s6, s18, s19
	s_lshl_b32 s8, s14, 8
	s_ashr_i32 s5, s4, 31
	s_ashr_i32 s7, s6, 31
	;; [unrolled: 1-line block ×3, first 2 shown]
	s_lshl_b64 s[4:5], s[4:5], 2
	s_lshl_b64 s[6:7], s[6:7], 2
	;; [unrolled: 1-line block ×3, first 2 shown]
	s_add_u32 s6, s8, s6
	s_addc_u32 s7, s9, s7
	s_add_u32 s4, s6, s4
	s_addc_u32 s5, s7, s5
	v_mov_b32_e32 v32, s5
	s_waitcnt vmcnt(1)
	v_add_co_u32_e32 v33, vcc, s4, v33
	s_waitcnt vmcnt(0)
	v_addc_co_u32_e32 v34, vcc, v32, v34, vcc
	buffer_load_dword v32, off, s[0:3], s32 offset:1052 ; 4-byte Folded Reload
	s_waitcnt vmcnt(0)
	v_lshrrev_b32_e32 v32, 1, v32
	v_add_co_u32_e32 v32, vcc, v33, v32
	v_addc_co_u32_e32 v33, vcc, 0, v34, vcc
	flat_store_dword v[32:33], v4
	flat_store_dword v[32:33], v5 offset:32
	flat_store_dword v[32:33], v2 offset:64
	flat_store_dword v[32:33], v3 offset:96
	flat_store_dword v[32:33], v0 offset:128
	flat_store_dword v[32:33], v1 offset:160
	flat_store_dword v[32:33], v12 offset:192
	flat_store_dword v[32:33], v13 offset:224
	flat_store_dword v[32:33], v10 offset:256
	flat_store_dword v[32:33], v11 offset:288
	flat_store_dword v[32:33], v8 offset:320
	flat_store_dword v[32:33], v9 offset:352
	flat_store_dword v[32:33], v6 offset:384
	flat_store_dword v[32:33], v7 offset:416
	flat_store_dword v[32:33], v20 offset:448
	flat_store_dword v[32:33], v21 offset:480
	flat_store_dword v[32:33], v18 offset:512
	flat_store_dword v[32:33], v19 offset:544
	flat_store_dword v[32:33], v16 offset:576
	flat_store_dword v[32:33], v17 offset:608
	flat_store_dword v[32:33], v14 offset:640
	flat_store_dword v[32:33], v15 offset:672
	flat_store_dword v[32:33], v28 offset:704
	flat_store_dword v[32:33], v29 offset:736
	flat_store_dword v[32:33], v26 offset:768
	flat_store_dword v[32:33], v27 offset:800
	flat_store_dword v[32:33], v24 offset:832
	flat_store_dword v[32:33], v25 offset:864
	flat_store_dword v[32:33], v22 offset:896
	flat_store_dword v[32:33], v23 offset:928
	flat_store_dword v[32:33], v30 offset:960
	flat_store_dword v[32:33], v31 offset:992
.LBB241_1693:
	s_or_b64 exec, exec, s[16:17]
	buffer_load_dword a63, off, s[0:3], s32 offset:8 ; 4-byte Folded Reload
	buffer_load_dword a62, off, s[0:3], s32 offset:12 ; 4-byte Folded Reload
	;; [unrolled: 1-line block ×47, first 2 shown]
	v_readlane_b32 s30, v63, 11
	v_readlane_b32 s31, v63, 12
	;; [unrolled: 1-line block ×13, first 2 shown]
	s_or_saveexec_b64 s[4:5], -1
	buffer_load_dword v63, off, s[0:3], s32 offset:1192 ; 4-byte Folded Reload
	s_mov_b64 exec, s[4:5]
	s_waitcnt vmcnt(0) lgkmcnt(0)
	s_setpc_b64 s[30:31]
.LBB241_1694:
	s_load_dword s7, s[8:9], 0x0
	s_waitcnt lgkmcnt(0)
	v_lshl_add_u32 v33, v32, 2, s7
	ds_read_b32 v33, v33
	s_waitcnt lgkmcnt(0)
	v_add_f32_e32 v4, v33, v4
	s_or_b64 exec, exec, s[10:11]
	s_and_saveexec_b64 s[10:11], vcc
	s_cbranch_execz .LBB241_1659
.LBB241_1695:
	s_load_dword s7, s[8:9], 0x0
	s_waitcnt lgkmcnt(0)
	v_lshl_add_u32 v33, v32, 2, s7
	ds_read_b32 v33, v33 offset:32
	s_waitcnt lgkmcnt(0)
	v_add_f32_e32 v5, v33, v5
	s_or_b64 exec, exec, s[10:11]
	s_and_saveexec_b64 s[10:11], vcc
	s_cbranch_execz .LBB241_1660
.LBB241_1696:
	s_load_dword s7, s[8:9], 0x0
	s_waitcnt lgkmcnt(0)
	v_lshl_add_u32 v33, v32, 2, s7
	ds_read_b32 v33, v33 offset:64
	s_waitcnt lgkmcnt(0)
	v_add_f32_e32 v2, v33, v2
	s_or_b64 exec, exec, s[10:11]
	s_and_saveexec_b64 s[10:11], vcc
	s_cbranch_execz .LBB241_1661
.LBB241_1697:
	s_load_dword s7, s[8:9], 0x0
	s_waitcnt lgkmcnt(0)
	v_lshl_add_u32 v33, v32, 2, s7
	ds_read_b32 v33, v33 offset:96
	s_waitcnt lgkmcnt(0)
	v_add_f32_e32 v3, v33, v3
	s_or_b64 exec, exec, s[10:11]
	s_and_saveexec_b64 s[10:11], vcc
	s_cbranch_execz .LBB241_1662
.LBB241_1698:
	s_load_dword s7, s[8:9], 0x0
	s_waitcnt lgkmcnt(0)
	v_lshl_add_u32 v33, v32, 2, s7
	ds_read_b32 v33, v33 offset:128
	s_waitcnt lgkmcnt(0)
	v_add_f32_e32 v0, v33, v0
	s_or_b64 exec, exec, s[10:11]
	s_and_saveexec_b64 s[10:11], vcc
	s_cbranch_execz .LBB241_1663
.LBB241_1699:
	s_load_dword s7, s[8:9], 0x0
	s_waitcnt lgkmcnt(0)
	v_lshl_add_u32 v33, v32, 2, s7
	ds_read_b32 v33, v33 offset:160
	s_waitcnt lgkmcnt(0)
	v_add_f32_e32 v1, v33, v1
	s_or_b64 exec, exec, s[10:11]
	s_and_saveexec_b64 s[10:11], vcc
	s_cbranch_execz .LBB241_1664
.LBB241_1700:
	s_load_dword s7, s[8:9], 0x0
	s_waitcnt lgkmcnt(0)
	v_lshl_add_u32 v33, v32, 2, s7
	ds_read_b32 v33, v33 offset:192
	s_waitcnt lgkmcnt(0)
	v_add_f32_e32 v12, v33, v12
	s_or_b64 exec, exec, s[10:11]
	s_and_saveexec_b64 s[10:11], vcc
	s_cbranch_execz .LBB241_1665
.LBB241_1701:
	s_load_dword s7, s[8:9], 0x0
	s_waitcnt lgkmcnt(0)
	v_lshl_add_u32 v33, v32, 2, s7
	ds_read_b32 v33, v33 offset:224
	s_waitcnt lgkmcnt(0)
	v_add_f32_e32 v13, v33, v13
	s_or_b64 exec, exec, s[10:11]
	s_and_saveexec_b64 s[10:11], vcc
	s_cbranch_execz .LBB241_1666
.LBB241_1702:
	s_load_dword s7, s[8:9], 0x0
	s_waitcnt lgkmcnt(0)
	v_lshl_add_u32 v33, v32, 2, s7
	ds_read_b32 v33, v33 offset:256
	s_waitcnt lgkmcnt(0)
	v_add_f32_e32 v10, v33, v10
	s_or_b64 exec, exec, s[10:11]
	s_and_saveexec_b64 s[10:11], vcc
	s_cbranch_execz .LBB241_1667
.LBB241_1703:
	s_load_dword s7, s[8:9], 0x0
	s_waitcnt lgkmcnt(0)
	v_lshl_add_u32 v33, v32, 2, s7
	ds_read_b32 v33, v33 offset:288
	s_waitcnt lgkmcnt(0)
	v_add_f32_e32 v11, v33, v11
	s_or_b64 exec, exec, s[10:11]
	s_and_saveexec_b64 s[10:11], vcc
	s_cbranch_execz .LBB241_1668
.LBB241_1704:
	s_load_dword s7, s[8:9], 0x0
	s_waitcnt lgkmcnt(0)
	v_lshl_add_u32 v33, v32, 2, s7
	ds_read_b32 v33, v33 offset:320
	s_waitcnt lgkmcnt(0)
	v_add_f32_e32 v8, v33, v8
	s_or_b64 exec, exec, s[10:11]
	s_and_saveexec_b64 s[10:11], vcc
	s_cbranch_execz .LBB241_1669
.LBB241_1705:
	s_load_dword s7, s[8:9], 0x0
	s_waitcnt lgkmcnt(0)
	v_lshl_add_u32 v33, v32, 2, s7
	ds_read_b32 v33, v33 offset:352
	s_waitcnt lgkmcnt(0)
	v_add_f32_e32 v9, v33, v9
	s_or_b64 exec, exec, s[10:11]
	s_and_saveexec_b64 s[10:11], vcc
	s_cbranch_execz .LBB241_1670
.LBB241_1706:
	s_load_dword s7, s[8:9], 0x0
	s_waitcnt lgkmcnt(0)
	v_lshl_add_u32 v33, v32, 2, s7
	ds_read_b32 v33, v33 offset:384
	s_waitcnt lgkmcnt(0)
	v_add_f32_e32 v6, v33, v6
	s_or_b64 exec, exec, s[10:11]
	s_and_saveexec_b64 s[10:11], vcc
	s_cbranch_execz .LBB241_1671
.LBB241_1707:
	s_load_dword s7, s[8:9], 0x0
	s_waitcnt lgkmcnt(0)
	v_lshl_add_u32 v33, v32, 2, s7
	ds_read_b32 v33, v33 offset:416
	s_waitcnt lgkmcnt(0)
	v_add_f32_e32 v7, v33, v7
	s_or_b64 exec, exec, s[10:11]
	s_and_saveexec_b64 s[10:11], vcc
	s_cbranch_execz .LBB241_1672
.LBB241_1708:
	s_load_dword s7, s[8:9], 0x0
	s_waitcnt lgkmcnt(0)
	v_lshl_add_u32 v33, v32, 2, s7
	ds_read_b32 v33, v33 offset:448
	s_waitcnt lgkmcnt(0)
	v_add_f32_e32 v20, v33, v20
	s_or_b64 exec, exec, s[10:11]
	s_and_saveexec_b64 s[10:11], vcc
	s_cbranch_execz .LBB241_1673
.LBB241_1709:
	s_load_dword s7, s[8:9], 0x0
	s_waitcnt lgkmcnt(0)
	v_lshl_add_u32 v33, v32, 2, s7
	ds_read_b32 v33, v33 offset:480
	s_waitcnt lgkmcnt(0)
	v_add_f32_e32 v21, v33, v21
	s_or_b64 exec, exec, s[10:11]
	s_and_saveexec_b64 s[10:11], vcc
	s_cbranch_execz .LBB241_1674
.LBB241_1710:
	s_load_dword s7, s[8:9], 0x0
	s_waitcnt lgkmcnt(0)
	v_lshl_add_u32 v33, v32, 2, s7
	ds_read_b32 v33, v33 offset:512
	s_waitcnt lgkmcnt(0)
	v_add_f32_e32 v18, v33, v18
	s_or_b64 exec, exec, s[10:11]
	s_and_saveexec_b64 s[10:11], vcc
	s_cbranch_execz .LBB241_1675
.LBB241_1711:
	s_load_dword s7, s[8:9], 0x0
	s_waitcnt lgkmcnt(0)
	v_lshl_add_u32 v33, v32, 2, s7
	ds_read_b32 v33, v33 offset:544
	s_waitcnt lgkmcnt(0)
	v_add_f32_e32 v19, v33, v19
	s_or_b64 exec, exec, s[10:11]
	s_and_saveexec_b64 s[10:11], vcc
	s_cbranch_execz .LBB241_1676
.LBB241_1712:
	s_load_dword s7, s[8:9], 0x0
	s_waitcnt lgkmcnt(0)
	v_lshl_add_u32 v33, v32, 2, s7
	ds_read_b32 v33, v33 offset:576
	s_waitcnt lgkmcnt(0)
	v_add_f32_e32 v16, v33, v16
	s_or_b64 exec, exec, s[10:11]
	s_and_saveexec_b64 s[10:11], vcc
	s_cbranch_execz .LBB241_1677
.LBB241_1713:
	s_load_dword s7, s[8:9], 0x0
	s_waitcnt lgkmcnt(0)
	v_lshl_add_u32 v33, v32, 2, s7
	ds_read_b32 v33, v33 offset:608
	s_waitcnt lgkmcnt(0)
	v_add_f32_e32 v17, v33, v17
	s_or_b64 exec, exec, s[10:11]
	s_and_saveexec_b64 s[10:11], vcc
	s_cbranch_execz .LBB241_1678
.LBB241_1714:
	s_load_dword s7, s[8:9], 0x0
	s_waitcnt lgkmcnt(0)
	v_lshl_add_u32 v33, v32, 2, s7
	ds_read_b32 v33, v33 offset:640
	s_waitcnt lgkmcnt(0)
	v_add_f32_e32 v14, v33, v14
	s_or_b64 exec, exec, s[10:11]
	s_and_saveexec_b64 s[10:11], vcc
	s_cbranch_execz .LBB241_1679
.LBB241_1715:
	s_load_dword s7, s[8:9], 0x0
	s_waitcnt lgkmcnt(0)
	v_lshl_add_u32 v33, v32, 2, s7
	ds_read_b32 v33, v33 offset:672
	s_waitcnt lgkmcnt(0)
	v_add_f32_e32 v15, v33, v15
	s_or_b64 exec, exec, s[10:11]
	s_and_saveexec_b64 s[10:11], vcc
	s_cbranch_execz .LBB241_1680
.LBB241_1716:
	s_load_dword s7, s[8:9], 0x0
	s_waitcnt lgkmcnt(0)
	v_lshl_add_u32 v33, v32, 2, s7
	ds_read_b32 v33, v33 offset:704
	s_waitcnt lgkmcnt(0)
	v_add_f32_e32 v28, v33, v28
	s_or_b64 exec, exec, s[10:11]
	s_and_saveexec_b64 s[10:11], vcc
	s_cbranch_execz .LBB241_1681
.LBB241_1717:
	s_load_dword s7, s[8:9], 0x0
	s_waitcnt lgkmcnt(0)
	v_lshl_add_u32 v33, v32, 2, s7
	ds_read_b32 v33, v33 offset:736
	s_waitcnt lgkmcnt(0)
	v_add_f32_e32 v29, v33, v29
	s_or_b64 exec, exec, s[10:11]
	s_and_saveexec_b64 s[10:11], vcc
	s_cbranch_execz .LBB241_1682
.LBB241_1718:
	s_load_dword s7, s[8:9], 0x0
	s_waitcnt lgkmcnt(0)
	v_lshl_add_u32 v33, v32, 2, s7
	ds_read_b32 v33, v33 offset:768
	s_waitcnt lgkmcnt(0)
	v_add_f32_e32 v26, v33, v26
	s_or_b64 exec, exec, s[10:11]
	s_and_saveexec_b64 s[10:11], vcc
	s_cbranch_execz .LBB241_1683
.LBB241_1719:
	s_load_dword s7, s[8:9], 0x0
	s_waitcnt lgkmcnt(0)
	v_lshl_add_u32 v33, v32, 2, s7
	ds_read_b32 v33, v33 offset:800
	s_waitcnt lgkmcnt(0)
	v_add_f32_e32 v27, v33, v27
	s_or_b64 exec, exec, s[10:11]
	s_and_saveexec_b64 s[10:11], vcc
	s_cbranch_execz .LBB241_1684
.LBB241_1720:
	s_load_dword s7, s[8:9], 0x0
	s_waitcnt lgkmcnt(0)
	v_lshl_add_u32 v33, v32, 2, s7
	ds_read_b32 v33, v33 offset:832
	s_waitcnt lgkmcnt(0)
	v_add_f32_e32 v24, v33, v24
	s_or_b64 exec, exec, s[10:11]
	s_and_saveexec_b64 s[10:11], vcc
	s_cbranch_execz .LBB241_1685
.LBB241_1721:
	s_load_dword s7, s[8:9], 0x0
	s_waitcnt lgkmcnt(0)
	v_lshl_add_u32 v33, v32, 2, s7
	ds_read_b32 v33, v33 offset:864
	s_waitcnt lgkmcnt(0)
	v_add_f32_e32 v25, v33, v25
	s_or_b64 exec, exec, s[10:11]
	s_and_saveexec_b64 s[10:11], vcc
	s_cbranch_execz .LBB241_1686
.LBB241_1722:
	s_load_dword s7, s[8:9], 0x0
	s_waitcnt lgkmcnt(0)
	v_lshl_add_u32 v33, v32, 2, s7
	ds_read_b32 v33, v33 offset:896
	s_waitcnt lgkmcnt(0)
	v_add_f32_e32 v22, v33, v22
	s_or_b64 exec, exec, s[10:11]
	s_and_saveexec_b64 s[10:11], vcc
	s_cbranch_execz .LBB241_1687
.LBB241_1723:
	s_load_dword s7, s[8:9], 0x0
	s_waitcnt lgkmcnt(0)
	v_lshl_add_u32 v33, v32, 2, s7
	ds_read_b32 v33, v33 offset:928
	s_waitcnt lgkmcnt(0)
	v_add_f32_e32 v23, v33, v23
	s_or_b64 exec, exec, s[10:11]
	s_and_saveexec_b64 s[10:11], vcc
	s_cbranch_execz .LBB241_1688
.LBB241_1724:
	s_load_dword s7, s[8:9], 0x0
	s_waitcnt lgkmcnt(0)
	v_lshl_add_u32 v33, v32, 2, s7
	ds_read_b32 v33, v33 offset:960
	s_waitcnt lgkmcnt(0)
	v_add_f32_e32 v30, v33, v30
	s_or_b64 exec, exec, s[10:11]
	s_and_saveexec_b64 s[10:11], vcc
	s_cbranch_execnz .LBB241_1689
	s_branch .LBB241_1690
.Lfunc_end241:
	.size	_ZN4vllm22paged_attention_kernelIfhLi256ELi32ELi128ELNS_18Fp8KVCacheDataTypeE1ELb1ELi512EEEvPfS2_PT_PKS3_PKT0_S9_ifPKiSB_iPKfiiiSD_SD_iiiii, .Lfunc_end241-_ZN4vllm22paged_attention_kernelIfhLi256ELi32ELi128ELNS_18Fp8KVCacheDataTypeE1ELb1ELi512EEEvPfS2_PT_PKS3_PKT0_S9_ifPKiSB_iPKfiiiSD_SD_iiiii
                                        ; -- End function
	.section	.AMDGPU.csdata,"",@progbits
; Function info:
; codeLenInByte = 84228
; NumSgprs: 49
; NumVgprs: 64
; NumAgprs: 64
; TotalNumVgprs: 128
; ScratchSize: 1200
; MemoryBound: 0
	.section	.text._ZN4vllm25paged_attention_v2_kernelIfhLi256ELi32ELi128ELNS_18Fp8KVCacheDataTypeE1ELb1ELi512EEEvPfS2_PT_PKS3_PKT0_S9_ifPKiSB_iPKfiiiSD_SD_iiiii,"axG",@progbits,_ZN4vllm25paged_attention_v2_kernelIfhLi256ELi32ELi128ELNS_18Fp8KVCacheDataTypeE1ELb1ELi512EEEvPfS2_PT_PKS3_PKT0_S9_ifPKiSB_iPKfiiiSD_SD_iiiii,comdat
	.protected	_ZN4vllm25paged_attention_v2_kernelIfhLi256ELi32ELi128ELNS_18Fp8KVCacheDataTypeE1ELb1ELi512EEEvPfS2_PT_PKS3_PKT0_S9_ifPKiSB_iPKfiiiSD_SD_iiiii ; -- Begin function _ZN4vllm25paged_attention_v2_kernelIfhLi256ELi32ELi128ELNS_18Fp8KVCacheDataTypeE1ELb1ELi512EEEvPfS2_PT_PKS3_PKT0_S9_ifPKiSB_iPKfiiiSD_SD_iiiii
	.globl	_ZN4vllm25paged_attention_v2_kernelIfhLi256ELi32ELi128ELNS_18Fp8KVCacheDataTypeE1ELb1ELi512EEEvPfS2_PT_PKS3_PKT0_S9_ifPKiSB_iPKfiiiSD_SD_iiiii
	.p2align	8
	.type	_ZN4vllm25paged_attention_v2_kernelIfhLi256ELi32ELi128ELNS_18Fp8KVCacheDataTypeE1ELb1ELi512EEEvPfS2_PT_PKS3_PKT0_S9_ifPKiSB_iPKfiiiSD_SD_iiiii,@function
_ZN4vllm25paged_attention_v2_kernelIfhLi256ELi32ELi128ELNS_18Fp8KVCacheDataTypeE1ELb1ELi512EEEvPfS2_PT_PKS3_PKT0_S9_ifPKiSB_iPKfiiiSD_SD_iiiii: ; @_ZN4vllm25paged_attention_v2_kernelIfhLi256ELi32ELi128ELNS_18Fp8KVCacheDataTypeE1ELb1ELi512EEEvPfS2_PT_PKS3_PKT0_S9_ifPKiSB_iPKfiiiSD_SD_iiiii
; %bb.0:
	s_add_u32 flat_scratch_lo, s6, s11
	s_addc_u32 flat_scratch_hi, s7, 0
	s_add_u32 s0, s0, s11
	s_mov_b32 s12, s8
	s_load_dwordx8 s[24:31], s[4:5], 0x0
	s_load_dwordx8 s[16:23], s[4:5], 0x20
	s_load_dwordx2 s[6:7], s[4:5], 0x40
	s_load_dwordx4 s[44:47], s[4:5], 0x78
	s_load_dwordx2 s[34:35], s[4:5], 0x50
	s_load_dword s11, s[4:5], 0x48
	s_load_dword s8, s[4:5], 0x88
	s_load_dwordx8 s[36:43], s[4:5], 0x58
	s_mov_b32 s32, 0
	s_addc_u32 s1, s1, 0
	s_waitcnt lgkmcnt(0)
	v_mov_b32_e32 v1, s47
	buffer_store_dword v1, off, s[0:3], s32
	v_mov_b32_e32 v1, s8
	s_add_u32 s8, s4, 0x90
	s_mov_b32 s13, s9
	buffer_store_dword v1, off, s[0:3], s32 offset:4
	s_addc_u32 s9, s5, 0
	s_mov_b32 s14, s10
	s_mov_b32 s15, 39
	v_mov_b32_e32 v31, v0
	v_mov_b32_e32 v0, s24
	;; [unrolled: 1-line block ×32, first 2 shown]
	s_getpc_b64 s[4:5]
	s_add_u32 s4, s4, _ZN4vllm22paged_attention_kernelIfhLi256ELi32ELi128ELNS_18Fp8KVCacheDataTypeE1ELb1ELi512EEEvPfS2_PT_PKS3_PKT0_S9_ifPKiSB_iPKfiiiSD_SD_iiiii@rel32@lo+4
	s_addc_u32 s5, s5, _ZN4vllm22paged_attention_kernelIfhLi256ELi32ELi128ELNS_18Fp8KVCacheDataTypeE1ELb1ELi512EEEvPfS2_PT_PKS3_PKT0_S9_ifPKiSB_iPKfiiiSD_SD_iiiii@rel32@hi+12
	s_swappc_b64 s[30:31], s[4:5]
	s_endpgm
	.section	.rodata,"a",@progbits
	.p2align	6, 0x0
	.amdhsa_kernel _ZN4vllm25paged_attention_v2_kernelIfhLi256ELi32ELi128ELNS_18Fp8KVCacheDataTypeE1ELb1ELi512EEEvPfS2_PT_PKS3_PKT0_S9_ifPKiSB_iPKfiiiSD_SD_iiiii
		.amdhsa_group_segment_fixed_size 1040
		.amdhsa_private_segment_fixed_size 1200
		.amdhsa_kernarg_size 400
		.amdhsa_user_sgpr_count 8
		.amdhsa_user_sgpr_private_segment_buffer 1
		.amdhsa_user_sgpr_dispatch_ptr 0
		.amdhsa_user_sgpr_queue_ptr 0
		.amdhsa_user_sgpr_kernarg_segment_ptr 1
		.amdhsa_user_sgpr_dispatch_id 0
		.amdhsa_user_sgpr_flat_scratch_init 1
		.amdhsa_user_sgpr_kernarg_preload_length 0
		.amdhsa_user_sgpr_kernarg_preload_offset 0
		.amdhsa_user_sgpr_private_segment_size 0
		.amdhsa_uses_dynamic_stack 0
		.amdhsa_system_sgpr_private_segment_wavefront_offset 1
		.amdhsa_system_sgpr_workgroup_id_x 1
		.amdhsa_system_sgpr_workgroup_id_y 1
		.amdhsa_system_sgpr_workgroup_id_z 1
		.amdhsa_system_sgpr_workgroup_info 0
		.amdhsa_system_vgpr_workitem_id 0
		.amdhsa_next_free_vgpr 128
		.amdhsa_next_free_sgpr 48
		.amdhsa_accum_offset 64
		.amdhsa_reserve_vcc 1
		.amdhsa_reserve_flat_scratch 1
		.amdhsa_float_round_mode_32 0
		.amdhsa_float_round_mode_16_64 0
		.amdhsa_float_denorm_mode_32 3
		.amdhsa_float_denorm_mode_16_64 3
		.amdhsa_dx10_clamp 1
		.amdhsa_ieee_mode 1
		.amdhsa_fp16_overflow 0
		.amdhsa_tg_split 0
		.amdhsa_exception_fp_ieee_invalid_op 0
		.amdhsa_exception_fp_denorm_src 0
		.amdhsa_exception_fp_ieee_div_zero 0
		.amdhsa_exception_fp_ieee_overflow 0
		.amdhsa_exception_fp_ieee_underflow 0
		.amdhsa_exception_fp_ieee_inexact 0
		.amdhsa_exception_int_div_zero 0
	.end_amdhsa_kernel
	.section	.text._ZN4vllm25paged_attention_v2_kernelIfhLi256ELi32ELi128ELNS_18Fp8KVCacheDataTypeE1ELb1ELi512EEEvPfS2_PT_PKS3_PKT0_S9_ifPKiSB_iPKfiiiSD_SD_iiiii,"axG",@progbits,_ZN4vllm25paged_attention_v2_kernelIfhLi256ELi32ELi128ELNS_18Fp8KVCacheDataTypeE1ELb1ELi512EEEvPfS2_PT_PKS3_PKT0_S9_ifPKiSB_iPKfiiiSD_SD_iiiii,comdat
.Lfunc_end242:
	.size	_ZN4vllm25paged_attention_v2_kernelIfhLi256ELi32ELi128ELNS_18Fp8KVCacheDataTypeE1ELb1ELi512EEEvPfS2_PT_PKS3_PKT0_S9_ifPKiSB_iPKfiiiSD_SD_iiiii, .Lfunc_end242-_ZN4vllm25paged_attention_v2_kernelIfhLi256ELi32ELi128ELNS_18Fp8KVCacheDataTypeE1ELb1ELi512EEEvPfS2_PT_PKS3_PKT0_S9_ifPKiSB_iPKfiiiSD_SD_iiiii
                                        ; -- End function
	.section	.AMDGPU.csdata,"",@progbits
; Kernel info:
; codeLenInByte = 296
; NumSgprs: 54
; NumVgprs: 64
; NumAgprs: 64
; TotalNumVgprs: 128
; ScratchSize: 1200
; MemoryBound: 0
; FloatMode: 240
; IeeeMode: 1
; LDSByteSize: 1040 bytes/workgroup (compile time only)
; SGPRBlocks: 6
; VGPRBlocks: 15
; NumSGPRsForWavesPerEU: 54
; NumVGPRsForWavesPerEU: 128
; AccumOffset: 64
; Occupancy: 4
; WaveLimiterHint : 1
; COMPUTE_PGM_RSRC2:SCRATCH_EN: 1
; COMPUTE_PGM_RSRC2:USER_SGPR: 8
; COMPUTE_PGM_RSRC2:TRAP_HANDLER: 0
; COMPUTE_PGM_RSRC2:TGID_X_EN: 1
; COMPUTE_PGM_RSRC2:TGID_Y_EN: 1
; COMPUTE_PGM_RSRC2:TGID_Z_EN: 1
; COMPUTE_PGM_RSRC2:TIDIG_COMP_CNT: 0
; COMPUTE_PGM_RSRC3_GFX90A:ACCUM_OFFSET: 15
; COMPUTE_PGM_RSRC3_GFX90A:TG_SPLIT: 0
	.section	.text._ZN4vllm25paged_attention_v2_kernelIfhLi32ELi32ELi128ELNS_18Fp8KVCacheDataTypeE1ELb0ELi512EEEvPfS2_PT_PKS3_PKT0_S9_ifPKiSB_iPKfiiiSD_SD_iiiii,"axG",@progbits,_ZN4vllm25paged_attention_v2_kernelIfhLi32ELi32ELi128ELNS_18Fp8KVCacheDataTypeE1ELb0ELi512EEEvPfS2_PT_PKS3_PKT0_S9_ifPKiSB_iPKfiiiSD_SD_iiiii,comdat
	.protected	_ZN4vllm25paged_attention_v2_kernelIfhLi32ELi32ELi128ELNS_18Fp8KVCacheDataTypeE1ELb0ELi512EEEvPfS2_PT_PKS3_PKT0_S9_ifPKiSB_iPKfiiiSD_SD_iiiii ; -- Begin function _ZN4vllm25paged_attention_v2_kernelIfhLi32ELi32ELi128ELNS_18Fp8KVCacheDataTypeE1ELb0ELi512EEEvPfS2_PT_PKS3_PKT0_S9_ifPKiSB_iPKfiiiSD_SD_iiiii
	.globl	_ZN4vllm25paged_attention_v2_kernelIfhLi32ELi32ELi128ELNS_18Fp8KVCacheDataTypeE1ELb0ELi512EEEvPfS2_PT_PKS3_PKT0_S9_ifPKiSB_iPKfiiiSD_SD_iiiii
	.p2align	8
	.type	_ZN4vllm25paged_attention_v2_kernelIfhLi32ELi32ELi128ELNS_18Fp8KVCacheDataTypeE1ELb0ELi512EEEvPfS2_PT_PKS3_PKT0_S9_ifPKiSB_iPKfiiiSD_SD_iiiii,@function
_ZN4vllm25paged_attention_v2_kernelIfhLi32ELi32ELi128ELNS_18Fp8KVCacheDataTypeE1ELb0ELi512EEEvPfS2_PT_PKS3_PKT0_S9_ifPKiSB_iPKfiiiSD_SD_iiiii: ; @_ZN4vllm25paged_attention_v2_kernelIfhLi32ELi32ELi128ELNS_18Fp8KVCacheDataTypeE1ELb0ELi512EEEvPfS2_PT_PKS3_PKT0_S9_ifPKiSB_iPKfiiiSD_SD_iiiii
; %bb.0:
	s_load_dwordx2 s[0:1], s[4:5], 0x40
	s_mov_b32 s28, s7
	s_ashr_i32 s29, s7, 31
	s_lshl_b64 s[2:3], s[28:29], 2
	s_waitcnt lgkmcnt(0)
	s_add_u32 s0, s0, s2
	s_addc_u32 s1, s1, s3
	s_load_dword s29, s[0:1], 0x0
	s_lshl_b32 s50, s8, 9
	s_waitcnt lgkmcnt(0)
	s_cmp_ge_i32 s50, s29
	s_cbranch_scc1 .LBB243_255
; %bb.1:
	s_load_dword s9, s[4:5], 0x90
	s_load_dwordx2 s[10:11], s[4:5], 0x30
	s_mov_b32 s51, 0
	s_waitcnt lgkmcnt(0)
	s_abs_i32 s2, s9
	s_abs_i32 s0, s10
	v_cvt_f32_u32_e32 v1, s0
	s_sub_i32 s3, 0, s0
	s_xor_b32 s1, s9, s10
	s_ashr_i32 s1, s1, 31
	v_rcp_iflag_f32_e32 v1, v1
	v_mul_f32_e32 v1, 0x4f7ffffe, v1
	v_cvt_u32_f32_e32 v1, v1
	v_readfirstlane_b32 s7, v1
	s_mul_i32 s3, s3, s7
	s_mul_hi_u32 s3, s7, s3
	s_add_i32 s7, s7, s3
	s_mul_hi_u32 s3, s2, s7
	s_mul_i32 s7, s3, s0
	s_sub_i32 s2, s2, s7
	s_add_i32 s10, s3, 1
	s_sub_i32 s7, s2, s0
	s_cmp_ge_u32 s2, s0
	s_cselect_b32 s3, s10, s3
	s_cselect_b32 s2, s7, s2
	s_add_i32 s7, s3, 1
	s_cmp_ge_u32 s2, s0
	s_cselect_b32 s0, s7, s3
	s_xor_b32 s0, s0, s1
	s_sub_i32 s10, s0, s1
	s_abs_i32 s2, s10
	v_cvt_f32_u32_e32 v1, s2
	s_load_dwordx2 s[0:1], s[4:5], 0x50
	s_sub_i32 s7, 0, s2
	s_abs_i32 s3, s6
	v_rcp_iflag_f32_e32 v1, v1
	v_mul_f32_e32 v1, 0x4f7ffffe, v1
	v_cvt_u32_f32_e32 v1, v1
	v_readfirstlane_b32 s12, v1
	s_mul_i32 s7, s7, s12
	s_mul_hi_u32 s7, s12, s7
	s_add_i32 s12, s12, s7
	s_waitcnt lgkmcnt(0)
	s_cmp_eq_u64 s[0:1], 0
	s_mul_hi_u32 s16, s3, s12
	s_cbranch_scc1 .LBB243_3
; %bb.2:
	s_ashr_i32 s7, s6, 31
	s_lshl_b64 s[12:13], s[6:7], 2
	s_add_u32 s0, s0, s12
	s_addc_u32 s1, s1, s13
	s_load_dword s51, s[0:1], 0x0
.LBB243_3:
	s_load_dwordx4 s[12:15], s[4:5], 0x58
	s_ashr_i32 s17, s6, 31
	s_ashr_i32 s18, s10, 31
	v_and_b32_e32 v20, 1, v0
	s_lshl_b32 s24, s6, 5
	v_cmp_gt_u32_e32 vcc, 16, v0
	v_lshlrev_b32_e32 v1, 2, v0
	s_and_saveexec_b64 s[0:1], vcc
	s_cbranch_execz .LBB243_5
; %bb.4:
	s_load_dwordx2 s[20:21], s[4:5], 0x18
	s_waitcnt lgkmcnt(0)
	s_mul_i32 s22, s28, s12
	s_ashr_i32 s23, s22, 31
	s_lshl_b64 s[22:23], s[22:23], 2
	v_lshlrev_b32_e32 v2, 3, v0
	s_add_u32 s7, s20, s22
	s_addc_u32 s10, s21, s23
	s_ashr_i32 s25, s24, 31
	s_lshl_b64 s[20:21], s[24:25], 2
	s_add_u32 s20, s7, s20
	s_addc_u32 s21, s10, s21
	global_load_dwordx2 v[2:3], v2, s[20:21]
	v_and_b32_e32 v4, 0xff8, v1
	v_lshl_add_u32 v4, v20, 6, v4
	s_waitcnt vmcnt(0)
	ds_write_b64 v4, v[2:3]
.LBB243_5:
	s_or_b64 exec, exec, s[0:1]
	s_add_i32 s0, s29, 31
	s_ashr_i32 s1, s0, 31
	s_lshr_b32 s1, s1, 27
	s_add_i32 s0, s0, s1
	s_lshl_b32 s10, s8, 4
	s_mul_i32 s1, s16, s2
	s_ashr_i32 s7, s0, 5
	s_add_i32 s0, s10, 16
	s_sub_i32 s1, s3, s1
	s_min_i32 s33, s0, s7
	s_xor_b32 s0, s17, s18
	s_add_i32 s3, s16, 1
	s_waitcnt lgkmcnt(0)
	s_sub_i32 s12, s1, s2
	s_cmp_ge_u32 s1, s2
	s_cselect_b32 s3, s3, s16
	s_cselect_b32 s1, s12, s1
	s_add_i32 s12, s3, 1
	s_cmp_ge_u32 s1, s2
	s_load_dwordx2 s[30:31], s[4:5], 0x38
	s_load_dword s2, s[4:5], 0x48
	v_lshrrev_b32_e32 v25, 6, v0
	s_cselect_b32 s1, s12, s3
	s_xor_b32 s1, s1, s0
	v_or_b32_e32 v18, s10, v25
	s_waitcnt lgkmcnt(0)
	s_mul_i32 s34, s28, s2
	s_sub_i32 s12, s1, s0
	s_ashr_i32 s35, s34, 31
	v_cmp_gt_i32_e64 s[0:1], s33, v18
	v_cmp_le_i32_e32 vcc, s33, v18
	v_mbcnt_lo_u32_b32 v26, -1, 0
	s_barrier
	s_waitcnt lgkmcnt(0)
                                        ; implicit-def: $sgpr15
                                        ; implicit-def: $vgpr61
                                        ; implicit-def: $vgpr62
	s_and_saveexec_b64 s[2:3], vcc
	s_xor_b64 s[2:3], exec, s[2:3]
; %bb.6:
	v_mbcnt_hi_u32_b32 v61, -1, v26
	v_and_b32_e32 v2, 64, v61
	v_add_u32_e32 v62, 64, v2
	s_mov_b32 s15, 0xff7fffff
                                        ; implicit-def: $vgpr20
                                        ; implicit-def: $vgpr26
; %bb.7:
	s_or_saveexec_b64 s[38:39], s[2:3]
	s_load_dwordx4 s[20:23], s[4:5], 0x0
	s_load_dwordx2 s[26:27], s[4:5], 0x10
	s_load_dword s25, s[4:5], 0x98
	s_load_dwordx2 s[36:37], s[4:5], 0x28
	s_load_dwordx4 s[16:19], s[4:5], 0x68
	v_mov_b32_e32 v63, s15
	s_mul_i32 s12, s12, s14
	v_ashrrev_i32_e32 v19, 31, v18
	s_xor_b64 exec, exec, s[38:39]
	s_cbranch_execz .LBB243_109
; %bb.8:
	s_load_dwordx2 s[2:3], s[4:5], 0x20
	s_ashr_i32 s4, s12, 31
	v_bfe_u32 v27, v0, 1, 5
	v_lshlrev_b32_e32 v2, 4, v27
	v_lshlrev_b32_e32 v14, 6, v20
	s_waitcnt lgkmcnt(0)
	s_add_u32 s2, s2, s12
	s_addc_u32 s3, s3, s4
	v_mov_b32_e32 v3, s3
	v_add_co_u32_e32 v22, vcc, s2, v2
	v_mbcnt_hi_u32_b32 v61, -1, v26
	v_addc_co_u32_e32 v23, vcc, 0, v3, vcc
	ds_read_b128 v[2:5], v14
	ds_read_b128 v[6:9], v14 offset:16
	ds_read_b128 v[10:13], v14 offset:32
	ds_read_b128 v[14:17], v14 offset:48
	v_and_b32_e32 v28, 64, v61
	v_xor_b32_e32 v26, 1, v61
	v_add_u32_e32 v62, 64, v28
	s_load_dword s16, s[16:17], 0x0
	v_lshlrev_b32_e32 v24, 1, v20
	v_cmp_lt_i32_e32 vcc, v26, v62
	v_cmp_eq_u32_e64 s[2:3], 0, v20
	s_sub_i32 s53, 1, s29
	v_lshlrev_b32_e32 v20, 5, v25
	s_lshl_b64 s[40:41], s[34:35], 2
	v_cndmask_b32_e32 v26, v61, v26, vcc
	v_add3_u32 v65, s50, v20, v27
	v_lshlrev_b32_e32 v20, 2, v27
	s_add_u32 s40, s30, s40
	v_lshlrev_b32_e32 v64, 2, v26
	v_lshl_or_b32 v20, v25, 7, v20
	v_lshlrev_b64 v[26:27], 2, v[18:19]
	s_addc_u32 s41, s31, s41
	s_mov_b32 s14, 0
	v_add_u32_e32 v66, 0x90, v20
	v_mov_b32_e32 v20, s41
	v_add_co_u32_e32 v26, vcc, s40, v26
	s_mov_b32 s52, s13
	s_brev_b32 s15, 1
	v_mov_b32_e32 v21, 0
	v_cmp_neq_f32_e64 s[4:5], s51, 0
	s_waitcnt lgkmcnt(0)
	s_mov_b32 s17, s16
	v_addc_co_u32_e32 v27, vcc, v20, v27, vcc
	s_mov_b64 s[40:41], 0
	v_mov_b32_e32 v63, 0xff7fffff
	s_movk_i32 s54, 0x80
	s_movk_i32 s55, 0x7f
	s_mov_b32 s43, 0x7f800001
	v_bfrev_b32_e32 v67, 60
	v_mov_b32_e32 v68, 7
	v_mov_b32_e32 v69, v18
	s_branch .LBB243_10
.LBB243_9:                              ;   in Loop: Header=BB243_10 Depth=1
	s_or_b64 exec, exec, s[44:45]
	v_add_u32_e32 v69, 2, v69
	v_cmp_le_i32_e32 vcc, s33, v69
	s_or_b64 s[40:41], vcc, s[40:41]
	v_add_co_u32_e32 v26, vcc, 8, v26
	v_add_u32_e32 v65, 64, v65
	v_add_u32_e32 v66, 0x100, v66
	v_addc_co_u32_e32 v27, vcc, 0, v27, vcc
	s_andn2_b64 exec, exec, s[40:41]
	s_cbranch_execz .LBB243_108
.LBB243_10:                             ; =>This Inner Loop Header: Depth=1
	global_load_dword v20, v[26:27], off
	s_waitcnt vmcnt(0) lgkmcnt(0)
	v_mad_i64_i32 v[28:29], s[44:45], v20, s52, v[22:23]
	v_add_co_u32_e32 v36, vcc, v28, v24
	v_addc_co_u32_e32 v37, vcc, 0, v29, vcc
	global_load_ushort v20, v[36:37], off
	v_pk_mov_b32 v[28:29], 0, 0
	v_pk_mov_b32 v[30:31], v[28:29], v[28:29] op_sel:[0,1]
	s_waitcnt vmcnt(0)
	v_and_b32_e32 v32, 0xffff, v20
	v_cmp_ne_u16_sdwa s[46:47], v20, v21 src0_sel:BYTE_0 src1_sel:DWORD
	s_and_saveexec_b64 s[44:45], s[46:47]
	s_cbranch_execz .LBB243_16
; %bb.11:                               ;   in Loop: Header=BB243_10 Depth=1
	v_bfrev_b32_e32 v30, 1
	v_cmp_ne_u16_sdwa s[48:49], v32, s54 src0_sel:BYTE_0 src1_sel:DWORD
	v_mov_b32_e32 v31, 0
	s_and_saveexec_b64 s[46:47], s[48:49]
	s_cbranch_execz .LBB243_15
; %bb.12:                               ;   in Loop: Header=BB243_10 Depth=1
	v_and_b32_e32 v20, 0x7f, v32
	v_mov_b32_e32 v30, 0x7f800001
	v_cmp_ne_u32_e32 vcc, s55, v20
	v_mov_b32_e32 v31, 0
	s_and_saveexec_b64 s[48:49], vcc
	s_cbranch_execz .LBB243_14
; %bb.13:                               ;   in Loop: Header=BB243_10 Depth=1
	v_and_b32_e32 v33, 7, v32
	v_ffbh_u32_e32 v30, v33
	v_min_u32_e32 v35, 32, v30
	v_subrev_u32_e32 v30, 28, v35
	v_lshlrev_b64 v[30:31], v30, v[32:33]
	v_lshrrev_b32_e32 v34, 3, v20
	v_sub_u32_e32 v31, 29, v35
	v_and_b32_e32 v30, 7, v30
	v_cmp_gt_u32_e32 vcc, 8, v20
	v_cndmask_b32_e32 v20, v34, v31, vcc
	v_cndmask_b32_e32 v30, v33, v30, vcc
	v_lshlrev_b32_e32 v30, 20, v30
	v_and_b32_sdwa v31, sext(v32), s15 dst_sel:DWORD dst_unused:UNUSED_PAD src0_sel:BYTE_0 src1_sel:DWORD
	v_lshl_add_u32 v20, v20, 23, v67
	v_or3_b32 v20, v31, v20, v30
	v_pk_mov_b32 v[30:31], v[20:21], v[20:21] op_sel:[0,1]
.LBB243_14:                             ;   in Loop: Header=BB243_10 Depth=1
	s_or_b64 exec, exec, s[48:49]
.LBB243_15:                             ;   in Loop: Header=BB243_10 Depth=1
	s_or_b64 exec, exec, s[46:47]
.LBB243_16:                             ;   in Loop: Header=BB243_10 Depth=1
	s_or_b64 exec, exec, s[44:45]
	v_cmp_ne_u16_sdwa s[46:47], v32, v21 src0_sel:BYTE_1 src1_sel:DWORD
	s_and_saveexec_b64 s[44:45], s[46:47]
	s_cbranch_execz .LBB243_22
; %bb.17:                               ;   in Loop: Header=BB243_10 Depth=1
	v_cmp_ne_u16_sdwa s[48:49], v32, s54 src0_sel:BYTE_1 src1_sel:DWORD
	v_pk_mov_b32 v[28:29], s[14:15], s[14:15] op_sel:[0,1]
	s_and_saveexec_b64 s[46:47], s[48:49]
	s_cbranch_execz .LBB243_21
; %bb.18:                               ;   in Loop: Header=BB243_10 Depth=1
	v_and_b32_sdwa v33, v32, s55 dst_sel:DWORD dst_unused:UNUSED_PAD src0_sel:BYTE_1 src1_sel:DWORD
	s_mov_b32 s42, s14
	v_cmp_ne_u32_e32 vcc, s55, v33
	v_pk_mov_b32 v[28:29], s[42:43], s[42:43] op_sel:[0,1]
	s_and_saveexec_b64 s[48:49], vcc
	s_cbranch_execz .LBB243_20
; %bb.19:                               ;   in Loop: Header=BB243_10 Depth=1
	v_and_b32_sdwa v20, v32, v68 dst_sel:DWORD dst_unused:UNUSED_PAD src0_sel:BYTE_1 src1_sel:DWORD
	v_ffbh_u32_e32 v28, v20
	v_min_u32_e32 v35, 32, v28
	v_subrev_u32_e32 v28, 28, v35
	v_lshlrev_b64 v[28:29], v28, v[20:21]
	v_lshrrev_b32_e32 v34, 3, v33
	v_sub_u32_e32 v29, 29, v35
	v_cmp_gt_u32_e32 vcc, 8, v33
	v_and_b32_e32 v28, 7, v28
	v_cndmask_b32_e32 v29, v34, v29, vcc
	v_cndmask_b32_e32 v20, v20, v28, vcc
	v_lshlrev_b32_e32 v28, 16, v32
	v_lshl_add_u32 v29, v29, 23, v67
	v_and_or_b32 v28, v28, s15, v29
	v_lshlrev_b32_e32 v20, 20, v20
	v_or_b32_e32 v29, v28, v20
	v_mov_b32_e32 v28, v21
.LBB243_20:                             ;   in Loop: Header=BB243_10 Depth=1
	s_or_b64 exec, exec, s[48:49]
.LBB243_21:                             ;   in Loop: Header=BB243_10 Depth=1
	s_or_b64 exec, exec, s[46:47]
.LBB243_22:                             ;   in Loop: Header=BB243_10 Depth=1
	s_or_b64 exec, exec, s[44:45]
	global_load_ushort v20, v[36:37], off offset:4
	v_pk_mov_b32 v[32:33], 0, 0
	v_pk_mov_b32 v[34:35], v[32:33], v[32:33] op_sel:[0,1]
	s_waitcnt vmcnt(0)
	v_and_b32_e32 v38, 0xffff, v20
	v_cmp_ne_u16_sdwa s[46:47], v20, v21 src0_sel:BYTE_0 src1_sel:DWORD
	s_and_saveexec_b64 s[44:45], s[46:47]
	s_cbranch_execz .LBB243_28
; %bb.23:                               ;   in Loop: Header=BB243_10 Depth=1
	v_bfrev_b32_e32 v34, 1
	v_cmp_ne_u16_sdwa s[48:49], v38, s54 src0_sel:BYTE_0 src1_sel:DWORD
	v_mov_b32_e32 v35, 0
	s_and_saveexec_b64 s[46:47], s[48:49]
	s_cbranch_execz .LBB243_27
; %bb.24:                               ;   in Loop: Header=BB243_10 Depth=1
	v_and_b32_e32 v20, 0x7f, v38
	v_mov_b32_e32 v34, 0x7f800001
	v_cmp_ne_u32_e32 vcc, s55, v20
	v_mov_b32_e32 v35, 0
	s_and_saveexec_b64 s[48:49], vcc
	s_cbranch_execz .LBB243_26
; %bb.25:                               ;   in Loop: Header=BB243_10 Depth=1
	v_and_b32_e32 v39, 7, v38
	v_ffbh_u32_e32 v34, v39
	v_min_u32_e32 v41, 32, v34
	v_subrev_u32_e32 v34, 28, v41
	v_lshlrev_b64 v[34:35], v34, v[38:39]
	v_lshrrev_b32_e32 v40, 3, v20
	v_sub_u32_e32 v35, 29, v41
	v_and_b32_e32 v34, 7, v34
	v_cmp_gt_u32_e32 vcc, 8, v20
	v_cndmask_b32_e32 v20, v40, v35, vcc
	v_cndmask_b32_e32 v34, v39, v34, vcc
	v_lshlrev_b32_e32 v34, 20, v34
	v_and_b32_sdwa v35, sext(v38), s15 dst_sel:DWORD dst_unused:UNUSED_PAD src0_sel:BYTE_0 src1_sel:DWORD
	v_lshl_add_u32 v20, v20, 23, v67
	v_or3_b32 v20, v35, v20, v34
	v_pk_mov_b32 v[34:35], v[20:21], v[20:21] op_sel:[0,1]
.LBB243_26:                             ;   in Loop: Header=BB243_10 Depth=1
	s_or_b64 exec, exec, s[48:49]
.LBB243_27:                             ;   in Loop: Header=BB243_10 Depth=1
	s_or_b64 exec, exec, s[46:47]
.LBB243_28:                             ;   in Loop: Header=BB243_10 Depth=1
	s_or_b64 exec, exec, s[44:45]
	v_cmp_ne_u16_sdwa s[46:47], v38, v21 src0_sel:BYTE_1 src1_sel:DWORD
	s_and_saveexec_b64 s[44:45], s[46:47]
	s_cbranch_execz .LBB243_34
; %bb.29:                               ;   in Loop: Header=BB243_10 Depth=1
	v_cmp_ne_u16_sdwa s[48:49], v38, s54 src0_sel:BYTE_1 src1_sel:DWORD
	v_pk_mov_b32 v[32:33], s[14:15], s[14:15] op_sel:[0,1]
	s_and_saveexec_b64 s[46:47], s[48:49]
	s_cbranch_execz .LBB243_33
; %bb.30:                               ;   in Loop: Header=BB243_10 Depth=1
	v_and_b32_sdwa v39, v38, s55 dst_sel:DWORD dst_unused:UNUSED_PAD src0_sel:BYTE_1 src1_sel:DWORD
	s_mov_b32 s42, s14
	v_cmp_ne_u32_e32 vcc, s55, v39
	v_pk_mov_b32 v[32:33], s[42:43], s[42:43] op_sel:[0,1]
	s_and_saveexec_b64 s[48:49], vcc
	s_cbranch_execz .LBB243_32
; %bb.31:                               ;   in Loop: Header=BB243_10 Depth=1
	v_and_b32_sdwa v20, v38, v68 dst_sel:DWORD dst_unused:UNUSED_PAD src0_sel:BYTE_1 src1_sel:DWORD
	v_ffbh_u32_e32 v32, v20
	v_min_u32_e32 v41, 32, v32
	v_subrev_u32_e32 v32, 28, v41
	v_lshlrev_b64 v[32:33], v32, v[20:21]
	v_lshrrev_b32_e32 v40, 3, v39
	v_sub_u32_e32 v33, 29, v41
	v_cmp_gt_u32_e32 vcc, 8, v39
	v_and_b32_e32 v32, 7, v32
	v_cndmask_b32_e32 v33, v40, v33, vcc
	v_cndmask_b32_e32 v20, v20, v32, vcc
	v_lshlrev_b32_e32 v32, 16, v38
	v_lshl_add_u32 v33, v33, 23, v67
	v_and_or_b32 v32, v32, s15, v33
	v_lshlrev_b32_e32 v20, 20, v20
	v_or_b32_e32 v33, v32, v20
	v_mov_b32_e32 v32, v21
.LBB243_32:                             ;   in Loop: Header=BB243_10 Depth=1
	s_or_b64 exec, exec, s[48:49]
.LBB243_33:                             ;   in Loop: Header=BB243_10 Depth=1
	s_or_b64 exec, exec, s[46:47]
.LBB243_34:                             ;   in Loop: Header=BB243_10 Depth=1
	s_or_b64 exec, exec, s[44:45]
	global_load_ushort v20, v[36:37], off offset:8
	v_pk_mov_b32 v[38:39], 0, 0
	v_pk_mov_b32 v[40:41], v[38:39], v[38:39] op_sel:[0,1]
	s_waitcnt vmcnt(0)
	v_and_b32_e32 v42, 0xffff, v20
	v_cmp_ne_u16_sdwa s[46:47], v20, v21 src0_sel:BYTE_0 src1_sel:DWORD
	s_and_saveexec_b64 s[44:45], s[46:47]
	s_cbranch_execz .LBB243_40
; %bb.35:                               ;   in Loop: Header=BB243_10 Depth=1
	v_bfrev_b32_e32 v40, 1
	v_cmp_ne_u16_sdwa s[48:49], v42, s54 src0_sel:BYTE_0 src1_sel:DWORD
	v_mov_b32_e32 v41, 0
	s_and_saveexec_b64 s[46:47], s[48:49]
	s_cbranch_execz .LBB243_39
; %bb.36:                               ;   in Loop: Header=BB243_10 Depth=1
	v_and_b32_e32 v20, 0x7f, v42
	v_mov_b32_e32 v40, 0x7f800001
	v_cmp_ne_u32_e32 vcc, s55, v20
	v_mov_b32_e32 v41, 0
	s_and_saveexec_b64 s[48:49], vcc
	s_cbranch_execz .LBB243_38
; %bb.37:                               ;   in Loop: Header=BB243_10 Depth=1
	v_and_b32_e32 v43, 7, v42
	v_ffbh_u32_e32 v40, v43
	v_min_u32_e32 v45, 32, v40
	v_subrev_u32_e32 v40, 28, v45
	v_lshlrev_b64 v[40:41], v40, v[42:43]
	v_lshrrev_b32_e32 v44, 3, v20
	v_sub_u32_e32 v41, 29, v45
	v_and_b32_e32 v40, 7, v40
	v_cmp_gt_u32_e32 vcc, 8, v20
	v_cndmask_b32_e32 v20, v44, v41, vcc
	v_cndmask_b32_e32 v40, v43, v40, vcc
	v_lshlrev_b32_e32 v40, 20, v40
	v_and_b32_sdwa v41, sext(v42), s15 dst_sel:DWORD dst_unused:UNUSED_PAD src0_sel:BYTE_0 src1_sel:DWORD
	v_lshl_add_u32 v20, v20, 23, v67
	v_or3_b32 v20, v41, v20, v40
	v_pk_mov_b32 v[40:41], v[20:21], v[20:21] op_sel:[0,1]
.LBB243_38:                             ;   in Loop: Header=BB243_10 Depth=1
	s_or_b64 exec, exec, s[48:49]
.LBB243_39:                             ;   in Loop: Header=BB243_10 Depth=1
	s_or_b64 exec, exec, s[46:47]
.LBB243_40:                             ;   in Loop: Header=BB243_10 Depth=1
	s_or_b64 exec, exec, s[44:45]
	v_cmp_ne_u16_sdwa s[46:47], v42, v21 src0_sel:BYTE_1 src1_sel:DWORD
	s_and_saveexec_b64 s[44:45], s[46:47]
	s_cbranch_execz .LBB243_46
; %bb.41:                               ;   in Loop: Header=BB243_10 Depth=1
	v_cmp_ne_u16_sdwa s[48:49], v42, s54 src0_sel:BYTE_1 src1_sel:DWORD
	v_pk_mov_b32 v[38:39], s[14:15], s[14:15] op_sel:[0,1]
	s_and_saveexec_b64 s[46:47], s[48:49]
	s_cbranch_execz .LBB243_45
; %bb.42:                               ;   in Loop: Header=BB243_10 Depth=1
	v_and_b32_sdwa v43, v42, s55 dst_sel:DWORD dst_unused:UNUSED_PAD src0_sel:BYTE_1 src1_sel:DWORD
	s_mov_b32 s42, s14
	v_cmp_ne_u32_e32 vcc, s55, v43
	v_pk_mov_b32 v[38:39], s[42:43], s[42:43] op_sel:[0,1]
	s_and_saveexec_b64 s[48:49], vcc
	s_cbranch_execz .LBB243_44
; %bb.43:                               ;   in Loop: Header=BB243_10 Depth=1
	v_and_b32_sdwa v20, v42, v68 dst_sel:DWORD dst_unused:UNUSED_PAD src0_sel:BYTE_1 src1_sel:DWORD
	v_ffbh_u32_e32 v38, v20
	v_min_u32_e32 v45, 32, v38
	v_subrev_u32_e32 v38, 28, v45
	v_lshlrev_b64 v[38:39], v38, v[20:21]
	v_lshrrev_b32_e32 v44, 3, v43
	v_sub_u32_e32 v39, 29, v45
	v_cmp_gt_u32_e32 vcc, 8, v43
	v_and_b32_e32 v38, 7, v38
	v_cndmask_b32_e32 v39, v44, v39, vcc
	v_cndmask_b32_e32 v20, v20, v38, vcc
	v_lshlrev_b32_e32 v38, 16, v42
	v_lshl_add_u32 v39, v39, 23, v67
	v_and_or_b32 v38, v38, s15, v39
	v_lshlrev_b32_e32 v20, 20, v20
	v_or_b32_e32 v39, v38, v20
	v_mov_b32_e32 v38, v21
.LBB243_44:                             ;   in Loop: Header=BB243_10 Depth=1
	s_or_b64 exec, exec, s[48:49]
.LBB243_45:                             ;   in Loop: Header=BB243_10 Depth=1
	s_or_b64 exec, exec, s[46:47]
.LBB243_46:                             ;   in Loop: Header=BB243_10 Depth=1
	s_or_b64 exec, exec, s[44:45]
	global_load_ushort v20, v[36:37], off offset:12
	v_pk_mov_b32 v[42:43], 0, 0
	v_pk_mov_b32 v[44:45], v[42:43], v[42:43] op_sel:[0,1]
	s_waitcnt vmcnt(0)
	v_and_b32_e32 v46, 0xffff, v20
	v_cmp_ne_u16_sdwa s[46:47], v20, v21 src0_sel:BYTE_0 src1_sel:DWORD
	s_and_saveexec_b64 s[44:45], s[46:47]
	s_cbranch_execz .LBB243_52
; %bb.47:                               ;   in Loop: Header=BB243_10 Depth=1
	v_bfrev_b32_e32 v44, 1
	v_cmp_ne_u16_sdwa s[48:49], v46, s54 src0_sel:BYTE_0 src1_sel:DWORD
	v_mov_b32_e32 v45, 0
	s_and_saveexec_b64 s[46:47], s[48:49]
	s_cbranch_execz .LBB243_51
; %bb.48:                               ;   in Loop: Header=BB243_10 Depth=1
	v_and_b32_e32 v20, 0x7f, v46
	v_mov_b32_e32 v44, 0x7f800001
	v_cmp_ne_u32_e32 vcc, s55, v20
	v_mov_b32_e32 v45, 0
	s_and_saveexec_b64 s[48:49], vcc
	s_cbranch_execz .LBB243_50
; %bb.49:                               ;   in Loop: Header=BB243_10 Depth=1
	v_and_b32_e32 v47, 7, v46
	v_ffbh_u32_e32 v44, v47
	v_min_u32_e32 v49, 32, v44
	v_subrev_u32_e32 v44, 28, v49
	v_lshlrev_b64 v[44:45], v44, v[46:47]
	v_lshrrev_b32_e32 v48, 3, v20
	v_sub_u32_e32 v45, 29, v49
	v_and_b32_e32 v44, 7, v44
	v_cmp_gt_u32_e32 vcc, 8, v20
	v_cndmask_b32_e32 v20, v48, v45, vcc
	v_cndmask_b32_e32 v44, v47, v44, vcc
	v_lshlrev_b32_e32 v44, 20, v44
	v_and_b32_sdwa v45, sext(v46), s15 dst_sel:DWORD dst_unused:UNUSED_PAD src0_sel:BYTE_0 src1_sel:DWORD
	v_lshl_add_u32 v20, v20, 23, v67
	v_or3_b32 v20, v45, v20, v44
	v_pk_mov_b32 v[44:45], v[20:21], v[20:21] op_sel:[0,1]
.LBB243_50:                             ;   in Loop: Header=BB243_10 Depth=1
	s_or_b64 exec, exec, s[48:49]
.LBB243_51:                             ;   in Loop: Header=BB243_10 Depth=1
	s_or_b64 exec, exec, s[46:47]
.LBB243_52:                             ;   in Loop: Header=BB243_10 Depth=1
	s_or_b64 exec, exec, s[44:45]
	v_cmp_ne_u16_sdwa s[46:47], v46, v21 src0_sel:BYTE_1 src1_sel:DWORD
	s_and_saveexec_b64 s[44:45], s[46:47]
	s_cbranch_execz .LBB243_58
; %bb.53:                               ;   in Loop: Header=BB243_10 Depth=1
	v_cmp_ne_u16_sdwa s[48:49], v46, s54 src0_sel:BYTE_1 src1_sel:DWORD
	v_pk_mov_b32 v[42:43], s[14:15], s[14:15] op_sel:[0,1]
	s_and_saveexec_b64 s[46:47], s[48:49]
	s_cbranch_execz .LBB243_57
; %bb.54:                               ;   in Loop: Header=BB243_10 Depth=1
	v_and_b32_sdwa v47, v46, s55 dst_sel:DWORD dst_unused:UNUSED_PAD src0_sel:BYTE_1 src1_sel:DWORD
	s_mov_b32 s42, s14
	v_cmp_ne_u32_e32 vcc, s55, v47
	v_pk_mov_b32 v[42:43], s[42:43], s[42:43] op_sel:[0,1]
	s_and_saveexec_b64 s[48:49], vcc
	s_cbranch_execz .LBB243_56
; %bb.55:                               ;   in Loop: Header=BB243_10 Depth=1
	v_and_b32_sdwa v20, v46, v68 dst_sel:DWORD dst_unused:UNUSED_PAD src0_sel:BYTE_1 src1_sel:DWORD
	v_ffbh_u32_e32 v42, v20
	v_min_u32_e32 v49, 32, v42
	v_subrev_u32_e32 v42, 28, v49
	v_lshlrev_b64 v[42:43], v42, v[20:21]
	v_lshrrev_b32_e32 v48, 3, v47
	v_sub_u32_e32 v43, 29, v49
	v_cmp_gt_u32_e32 vcc, 8, v47
	v_and_b32_e32 v42, 7, v42
	v_cndmask_b32_e32 v43, v48, v43, vcc
	v_cndmask_b32_e32 v20, v20, v42, vcc
	v_lshlrev_b32_e32 v42, 16, v46
	v_lshl_add_u32 v43, v43, 23, v67
	v_and_or_b32 v42, v42, s15, v43
	v_lshlrev_b32_e32 v20, 20, v20
	v_or_b32_e32 v43, v42, v20
	v_mov_b32_e32 v42, v21
.LBB243_56:                             ;   in Loop: Header=BB243_10 Depth=1
	s_or_b64 exec, exec, s[48:49]
.LBB243_57:                             ;   in Loop: Header=BB243_10 Depth=1
	s_or_b64 exec, exec, s[46:47]
.LBB243_58:                             ;   in Loop: Header=BB243_10 Depth=1
	s_or_b64 exec, exec, s[44:45]
	global_load_ushort v20, v[36:37], off offset:512
	v_pk_mov_b32 v[46:47], 0, 0
	v_pk_mov_b32 v[48:49], v[46:47], v[46:47] op_sel:[0,1]
	s_waitcnt vmcnt(0)
	v_and_b32_e32 v50, 0xffff, v20
	v_cmp_ne_u16_sdwa s[46:47], v20, v21 src0_sel:BYTE_0 src1_sel:DWORD
	s_and_saveexec_b64 s[44:45], s[46:47]
	s_cbranch_execz .LBB243_64
; %bb.59:                               ;   in Loop: Header=BB243_10 Depth=1
	v_bfrev_b32_e32 v48, 1
	v_cmp_ne_u16_sdwa s[48:49], v50, s54 src0_sel:BYTE_0 src1_sel:DWORD
	v_mov_b32_e32 v49, 0
	s_and_saveexec_b64 s[46:47], s[48:49]
	s_cbranch_execz .LBB243_63
; %bb.60:                               ;   in Loop: Header=BB243_10 Depth=1
	v_and_b32_e32 v20, 0x7f, v50
	v_mov_b32_e32 v48, 0x7f800001
	v_cmp_ne_u32_e32 vcc, s55, v20
	v_mov_b32_e32 v49, 0
	s_and_saveexec_b64 s[48:49], vcc
	s_cbranch_execz .LBB243_62
; %bb.61:                               ;   in Loop: Header=BB243_10 Depth=1
	v_and_b32_e32 v51, 7, v50
	v_ffbh_u32_e32 v48, v51
	v_min_u32_e32 v53, 32, v48
	v_subrev_u32_e32 v48, 28, v53
	v_lshlrev_b64 v[48:49], v48, v[50:51]
	v_lshrrev_b32_e32 v52, 3, v20
	v_sub_u32_e32 v49, 29, v53
	v_and_b32_e32 v48, 7, v48
	v_cmp_gt_u32_e32 vcc, 8, v20
	v_cndmask_b32_e32 v20, v52, v49, vcc
	v_cndmask_b32_e32 v48, v51, v48, vcc
	v_lshlrev_b32_e32 v48, 20, v48
	v_and_b32_sdwa v49, sext(v50), s15 dst_sel:DWORD dst_unused:UNUSED_PAD src0_sel:BYTE_0 src1_sel:DWORD
	v_lshl_add_u32 v20, v20, 23, v67
	v_or3_b32 v20, v49, v20, v48
	v_pk_mov_b32 v[48:49], v[20:21], v[20:21] op_sel:[0,1]
.LBB243_62:                             ;   in Loop: Header=BB243_10 Depth=1
	s_or_b64 exec, exec, s[48:49]
.LBB243_63:                             ;   in Loop: Header=BB243_10 Depth=1
	s_or_b64 exec, exec, s[46:47]
.LBB243_64:                             ;   in Loop: Header=BB243_10 Depth=1
	s_or_b64 exec, exec, s[44:45]
	v_cmp_ne_u16_sdwa s[46:47], v50, v21 src0_sel:BYTE_1 src1_sel:DWORD
	s_and_saveexec_b64 s[44:45], s[46:47]
	s_cbranch_execz .LBB243_70
; %bb.65:                               ;   in Loop: Header=BB243_10 Depth=1
	v_cmp_ne_u16_sdwa s[48:49], v50, s54 src0_sel:BYTE_1 src1_sel:DWORD
	v_pk_mov_b32 v[46:47], s[14:15], s[14:15] op_sel:[0,1]
	s_and_saveexec_b64 s[46:47], s[48:49]
	s_cbranch_execz .LBB243_69
; %bb.66:                               ;   in Loop: Header=BB243_10 Depth=1
	v_and_b32_sdwa v51, v50, s55 dst_sel:DWORD dst_unused:UNUSED_PAD src0_sel:BYTE_1 src1_sel:DWORD
	s_mov_b32 s42, s14
	v_cmp_ne_u32_e32 vcc, s55, v51
	v_pk_mov_b32 v[46:47], s[42:43], s[42:43] op_sel:[0,1]
	s_and_saveexec_b64 s[48:49], vcc
	s_cbranch_execz .LBB243_68
; %bb.67:                               ;   in Loop: Header=BB243_10 Depth=1
	v_and_b32_sdwa v20, v50, v68 dst_sel:DWORD dst_unused:UNUSED_PAD src0_sel:BYTE_1 src1_sel:DWORD
	v_ffbh_u32_e32 v46, v20
	v_min_u32_e32 v53, 32, v46
	v_subrev_u32_e32 v46, 28, v53
	v_lshlrev_b64 v[46:47], v46, v[20:21]
	v_lshrrev_b32_e32 v52, 3, v51
	v_sub_u32_e32 v47, 29, v53
	v_cmp_gt_u32_e32 vcc, 8, v51
	v_and_b32_e32 v46, 7, v46
	v_cndmask_b32_e32 v47, v52, v47, vcc
	v_cndmask_b32_e32 v20, v20, v46, vcc
	v_lshlrev_b32_e32 v46, 16, v50
	v_lshl_add_u32 v47, v47, 23, v67
	v_and_or_b32 v46, v46, s15, v47
	v_lshlrev_b32_e32 v20, 20, v20
	v_or_b32_e32 v47, v46, v20
	v_mov_b32_e32 v46, v21
.LBB243_68:                             ;   in Loop: Header=BB243_10 Depth=1
	s_or_b64 exec, exec, s[48:49]
.LBB243_69:                             ;   in Loop: Header=BB243_10 Depth=1
	s_or_b64 exec, exec, s[46:47]
.LBB243_70:                             ;   in Loop: Header=BB243_10 Depth=1
	s_or_b64 exec, exec, s[44:45]
	global_load_ushort v20, v[36:37], off offset:516
	v_pk_mov_b32 v[50:51], 0, 0
	v_pk_mov_b32 v[52:53], v[50:51], v[50:51] op_sel:[0,1]
	s_waitcnt vmcnt(0)
	v_and_b32_e32 v54, 0xffff, v20
	v_cmp_ne_u16_sdwa s[46:47], v20, v21 src0_sel:BYTE_0 src1_sel:DWORD
	s_and_saveexec_b64 s[44:45], s[46:47]
	s_cbranch_execz .LBB243_76
; %bb.71:                               ;   in Loop: Header=BB243_10 Depth=1
	v_bfrev_b32_e32 v52, 1
	v_cmp_ne_u16_sdwa s[48:49], v54, s54 src0_sel:BYTE_0 src1_sel:DWORD
	v_mov_b32_e32 v53, 0
	s_and_saveexec_b64 s[46:47], s[48:49]
	s_cbranch_execz .LBB243_75
; %bb.72:                               ;   in Loop: Header=BB243_10 Depth=1
	v_and_b32_e32 v20, 0x7f, v54
	v_mov_b32_e32 v52, 0x7f800001
	v_cmp_ne_u32_e32 vcc, s55, v20
	v_mov_b32_e32 v53, 0
	s_and_saveexec_b64 s[48:49], vcc
	s_cbranch_execz .LBB243_74
; %bb.73:                               ;   in Loop: Header=BB243_10 Depth=1
	v_and_b32_e32 v55, 7, v54
	v_ffbh_u32_e32 v52, v55
	v_min_u32_e32 v57, 32, v52
	v_subrev_u32_e32 v52, 28, v57
	v_lshlrev_b64 v[52:53], v52, v[54:55]
	v_lshrrev_b32_e32 v56, 3, v20
	v_sub_u32_e32 v53, 29, v57
	v_and_b32_e32 v52, 7, v52
	v_cmp_gt_u32_e32 vcc, 8, v20
	v_cndmask_b32_e32 v20, v56, v53, vcc
	v_cndmask_b32_e32 v52, v55, v52, vcc
	v_lshlrev_b32_e32 v52, 20, v52
	v_and_b32_sdwa v53, sext(v54), s15 dst_sel:DWORD dst_unused:UNUSED_PAD src0_sel:BYTE_0 src1_sel:DWORD
	v_lshl_add_u32 v20, v20, 23, v67
	v_or3_b32 v20, v53, v20, v52
	v_pk_mov_b32 v[52:53], v[20:21], v[20:21] op_sel:[0,1]
.LBB243_74:                             ;   in Loop: Header=BB243_10 Depth=1
	s_or_b64 exec, exec, s[48:49]
.LBB243_75:                             ;   in Loop: Header=BB243_10 Depth=1
	s_or_b64 exec, exec, s[46:47]
.LBB243_76:                             ;   in Loop: Header=BB243_10 Depth=1
	s_or_b64 exec, exec, s[44:45]
	v_cmp_ne_u16_sdwa s[46:47], v54, v21 src0_sel:BYTE_1 src1_sel:DWORD
	s_and_saveexec_b64 s[44:45], s[46:47]
	s_cbranch_execz .LBB243_82
; %bb.77:                               ;   in Loop: Header=BB243_10 Depth=1
	v_cmp_ne_u16_sdwa s[48:49], v54, s54 src0_sel:BYTE_1 src1_sel:DWORD
	v_pk_mov_b32 v[50:51], s[14:15], s[14:15] op_sel:[0,1]
	s_and_saveexec_b64 s[46:47], s[48:49]
	s_cbranch_execz .LBB243_81
; %bb.78:                               ;   in Loop: Header=BB243_10 Depth=1
	v_and_b32_sdwa v55, v54, s55 dst_sel:DWORD dst_unused:UNUSED_PAD src0_sel:BYTE_1 src1_sel:DWORD
	s_mov_b32 s42, s14
	v_cmp_ne_u32_e32 vcc, s55, v55
	v_pk_mov_b32 v[50:51], s[42:43], s[42:43] op_sel:[0,1]
	s_and_saveexec_b64 s[48:49], vcc
	s_cbranch_execz .LBB243_80
; %bb.79:                               ;   in Loop: Header=BB243_10 Depth=1
	v_and_b32_sdwa v20, v54, v68 dst_sel:DWORD dst_unused:UNUSED_PAD src0_sel:BYTE_1 src1_sel:DWORD
	v_ffbh_u32_e32 v50, v20
	v_min_u32_e32 v57, 32, v50
	v_subrev_u32_e32 v50, 28, v57
	v_lshlrev_b64 v[50:51], v50, v[20:21]
	v_lshrrev_b32_e32 v56, 3, v55
	v_sub_u32_e32 v51, 29, v57
	v_cmp_gt_u32_e32 vcc, 8, v55
	v_and_b32_e32 v50, 7, v50
	v_cndmask_b32_e32 v51, v56, v51, vcc
	v_cndmask_b32_e32 v20, v20, v50, vcc
	v_lshlrev_b32_e32 v50, 16, v54
	v_lshl_add_u32 v51, v51, 23, v67
	v_and_or_b32 v50, v50, s15, v51
	v_lshlrev_b32_e32 v20, 20, v20
	v_or_b32_e32 v51, v50, v20
	v_mov_b32_e32 v50, v21
.LBB243_80:                             ;   in Loop: Header=BB243_10 Depth=1
	s_or_b64 exec, exec, s[48:49]
.LBB243_81:                             ;   in Loop: Header=BB243_10 Depth=1
	s_or_b64 exec, exec, s[46:47]
.LBB243_82:                             ;   in Loop: Header=BB243_10 Depth=1
	s_or_b64 exec, exec, s[44:45]
	v_add_co_u32_e32 v56, vcc, 0x200, v36
	v_addc_co_u32_e32 v57, vcc, 0, v37, vcc
	global_load_ushort v20, v[56:57], off offset:8
	v_pk_mov_b32 v[36:37], 0, 0
	v_pk_mov_b32 v[54:55], v[36:37], v[36:37] op_sel:[0,1]
	s_waitcnt vmcnt(0)
	v_and_b32_e32 v58, 0xffff, v20
	v_cmp_ne_u16_sdwa s[46:47], v20, v21 src0_sel:BYTE_0 src1_sel:DWORD
	s_and_saveexec_b64 s[44:45], s[46:47]
	s_cbranch_execz .LBB243_88
; %bb.83:                               ;   in Loop: Header=BB243_10 Depth=1
	v_bfrev_b32_e32 v54, 1
	v_cmp_ne_u16_sdwa s[48:49], v58, s54 src0_sel:BYTE_0 src1_sel:DWORD
	v_mov_b32_e32 v55, 0
	s_and_saveexec_b64 s[46:47], s[48:49]
	s_cbranch_execz .LBB243_87
; %bb.84:                               ;   in Loop: Header=BB243_10 Depth=1
	v_and_b32_e32 v20, 0x7f, v58
	v_mov_b32_e32 v54, 0x7f800001
	v_cmp_ne_u32_e32 vcc, s55, v20
	v_mov_b32_e32 v55, 0
	s_and_saveexec_b64 s[48:49], vcc
	s_cbranch_execz .LBB243_86
; %bb.85:                               ;   in Loop: Header=BB243_10 Depth=1
	v_and_b32_e32 v59, 7, v58
	v_ffbh_u32_e32 v54, v59
	v_min_u32_e32 v70, 32, v54
	v_subrev_u32_e32 v54, 28, v70
	v_lshlrev_b64 v[54:55], v54, v[58:59]
	v_lshrrev_b32_e32 v60, 3, v20
	v_sub_u32_e32 v55, 29, v70
	v_and_b32_e32 v54, 7, v54
	v_cmp_gt_u32_e32 vcc, 8, v20
	v_cndmask_b32_e32 v20, v60, v55, vcc
	v_cndmask_b32_e32 v54, v59, v54, vcc
	v_lshlrev_b32_e32 v54, 20, v54
	v_and_b32_sdwa v55, sext(v58), s15 dst_sel:DWORD dst_unused:UNUSED_PAD src0_sel:BYTE_0 src1_sel:DWORD
	v_lshl_add_u32 v20, v20, 23, v67
	v_or3_b32 v20, v55, v20, v54
	v_pk_mov_b32 v[54:55], v[20:21], v[20:21] op_sel:[0,1]
.LBB243_86:                             ;   in Loop: Header=BB243_10 Depth=1
	s_or_b64 exec, exec, s[48:49]
.LBB243_87:                             ;   in Loop: Header=BB243_10 Depth=1
	s_or_b64 exec, exec, s[46:47]
.LBB243_88:                             ;   in Loop: Header=BB243_10 Depth=1
	s_or_b64 exec, exec, s[44:45]
	v_cmp_ne_u16_sdwa s[46:47], v58, v21 src0_sel:BYTE_1 src1_sel:DWORD
	s_and_saveexec_b64 s[44:45], s[46:47]
	s_cbranch_execz .LBB243_94
; %bb.89:                               ;   in Loop: Header=BB243_10 Depth=1
	v_cmp_ne_u16_sdwa s[48:49], v58, s54 src0_sel:BYTE_1 src1_sel:DWORD
	v_pk_mov_b32 v[36:37], s[14:15], s[14:15] op_sel:[0,1]
	s_and_saveexec_b64 s[46:47], s[48:49]
	s_cbranch_execz .LBB243_93
; %bb.90:                               ;   in Loop: Header=BB243_10 Depth=1
	v_and_b32_sdwa v59, v58, s55 dst_sel:DWORD dst_unused:UNUSED_PAD src0_sel:BYTE_1 src1_sel:DWORD
	s_mov_b32 s42, s14
	v_cmp_ne_u32_e32 vcc, s55, v59
	v_pk_mov_b32 v[36:37], s[42:43], s[42:43] op_sel:[0,1]
	s_and_saveexec_b64 s[48:49], vcc
	s_cbranch_execz .LBB243_92
; %bb.91:                               ;   in Loop: Header=BB243_10 Depth=1
	v_and_b32_sdwa v20, v58, v68 dst_sel:DWORD dst_unused:UNUSED_PAD src0_sel:BYTE_1 src1_sel:DWORD
	v_ffbh_u32_e32 v36, v20
	v_min_u32_e32 v70, 32, v36
	v_subrev_u32_e32 v36, 28, v70
	v_lshlrev_b64 v[36:37], v36, v[20:21]
	v_lshrrev_b32_e32 v60, 3, v59
	v_sub_u32_e32 v37, 29, v70
	v_cmp_gt_u32_e32 vcc, 8, v59
	v_and_b32_e32 v36, 7, v36
	v_cndmask_b32_e32 v37, v60, v37, vcc
	v_cndmask_b32_e32 v20, v20, v36, vcc
	v_lshlrev_b32_e32 v36, 16, v58
	v_lshl_add_u32 v37, v37, 23, v67
	v_and_or_b32 v36, v36, s15, v37
	v_lshlrev_b32_e32 v20, 20, v20
	v_or_b32_e32 v37, v36, v20
	v_mov_b32_e32 v36, v21
.LBB243_92:                             ;   in Loop: Header=BB243_10 Depth=1
	s_or_b64 exec, exec, s[48:49]
.LBB243_93:                             ;   in Loop: Header=BB243_10 Depth=1
	s_or_b64 exec, exec, s[46:47]
.LBB243_94:                             ;   in Loop: Header=BB243_10 Depth=1
	s_or_b64 exec, exec, s[44:45]
	global_load_ushort v20, v[56:57], off offset:12
	v_pk_mov_b32 v[56:57], 0, 0
	v_pk_mov_b32 v[58:59], v[56:57], v[56:57] op_sel:[0,1]
	s_waitcnt vmcnt(0)
	v_and_b32_e32 v60, 0xffff, v20
	v_cmp_ne_u16_sdwa s[46:47], v20, v21 src0_sel:BYTE_0 src1_sel:DWORD
	s_and_saveexec_b64 s[44:45], s[46:47]
	s_cbranch_execz .LBB243_100
; %bb.95:                               ;   in Loop: Header=BB243_10 Depth=1
	v_bfrev_b32_e32 v58, 1
	v_cmp_ne_u16_sdwa s[48:49], v60, s54 src0_sel:BYTE_0 src1_sel:DWORD
	v_mov_b32_e32 v59, 0
	s_and_saveexec_b64 s[46:47], s[48:49]
	s_cbranch_execz .LBB243_99
; %bb.96:                               ;   in Loop: Header=BB243_10 Depth=1
	v_and_b32_e32 v20, 0x7f, v60
	v_mov_b32_e32 v58, 0x7f800001
	v_cmp_ne_u32_e32 vcc, s55, v20
	v_mov_b32_e32 v59, 0
	s_and_saveexec_b64 s[48:49], vcc
	s_cbranch_execz .LBB243_98
; %bb.97:                               ;   in Loop: Header=BB243_10 Depth=1
	v_and_b32_e32 v70, 7, v60
	v_ffbh_u32_e32 v58, v70
	v_min_u32_e32 v72, 32, v58
	v_subrev_u32_e32 v58, 28, v72
	v_lshlrev_b64 v[58:59], v58, v[60:61]
	v_lshrrev_b32_e32 v71, 3, v20
	v_sub_u32_e32 v59, 29, v72
	v_and_b32_e32 v58, 7, v58
	v_cmp_gt_u32_e32 vcc, 8, v20
	v_cndmask_b32_e32 v20, v71, v59, vcc
	v_cndmask_b32_e32 v58, v70, v58, vcc
	v_lshlrev_b32_e32 v58, 20, v58
	v_and_b32_sdwa v59, sext(v60), s15 dst_sel:DWORD dst_unused:UNUSED_PAD src0_sel:BYTE_0 src1_sel:DWORD
	v_lshl_add_u32 v20, v20, 23, v67
	v_or3_b32 v20, v59, v20, v58
	v_pk_mov_b32 v[58:59], v[20:21], v[20:21] op_sel:[0,1]
.LBB243_98:                             ;   in Loop: Header=BB243_10 Depth=1
	s_or_b64 exec, exec, s[48:49]
.LBB243_99:                             ;   in Loop: Header=BB243_10 Depth=1
	s_or_b64 exec, exec, s[46:47]
.LBB243_100:                            ;   in Loop: Header=BB243_10 Depth=1
	s_or_b64 exec, exec, s[44:45]
	v_cmp_ne_u16_sdwa s[46:47], v60, v21 src0_sel:BYTE_1 src1_sel:DWORD
	s_and_saveexec_b64 s[44:45], s[46:47]
	s_cbranch_execz .LBB243_106
; %bb.101:                              ;   in Loop: Header=BB243_10 Depth=1
	v_cmp_ne_u16_sdwa s[48:49], v60, s54 src0_sel:BYTE_1 src1_sel:DWORD
	v_pk_mov_b32 v[56:57], s[14:15], s[14:15] op_sel:[0,1]
	s_and_saveexec_b64 s[46:47], s[48:49]
	s_cbranch_execz .LBB243_105
; %bb.102:                              ;   in Loop: Header=BB243_10 Depth=1
	v_and_b32_sdwa v70, v60, s55 dst_sel:DWORD dst_unused:UNUSED_PAD src0_sel:BYTE_1 src1_sel:DWORD
	s_mov_b32 s42, s14
	v_cmp_ne_u32_e32 vcc, s55, v70
	v_pk_mov_b32 v[56:57], s[42:43], s[42:43] op_sel:[0,1]
	s_and_saveexec_b64 s[48:49], vcc
	s_cbranch_execz .LBB243_104
; %bb.103:                              ;   in Loop: Header=BB243_10 Depth=1
	v_and_b32_sdwa v20, v60, v68 dst_sel:DWORD dst_unused:UNUSED_PAD src0_sel:BYTE_1 src1_sel:DWORD
	v_ffbh_u32_e32 v56, v20
	v_min_u32_e32 v72, 32, v56
	v_subrev_u32_e32 v56, 28, v72
	v_lshlrev_b64 v[56:57], v56, v[20:21]
	v_lshrrev_b32_e32 v71, 3, v70
	v_sub_u32_e32 v57, 29, v72
	v_cmp_gt_u32_e32 vcc, 8, v70
	v_and_b32_e32 v56, 7, v56
	v_cndmask_b32_e32 v57, v71, v57, vcc
	v_cndmask_b32_e32 v20, v20, v56, vcc
	v_lshlrev_b32_e32 v56, 16, v60
	v_lshl_add_u32 v57, v57, 23, v67
	v_and_or_b32 v56, v56, s15, v57
	v_lshlrev_b32_e32 v20, 20, v20
	v_or_b32_e32 v57, v56, v20
	v_mov_b32_e32 v56, v21
.LBB243_104:                            ;   in Loop: Header=BB243_10 Depth=1
	s_or_b64 exec, exec, s[48:49]
.LBB243_105:                            ;   in Loop: Header=BB243_10 Depth=1
	s_or_b64 exec, exec, s[46:47]
.LBB243_106:                            ;   in Loop: Header=BB243_10 Depth=1
	s_or_b64 exec, exec, s[44:45]
	v_or_b32_e32 v33, v33, v35
	v_or_b32_e32 v32, v32, v34
	v_pk_mul_f32 v[32:33], s[16:17], v[32:33]
	v_or_b32_e32 v29, v29, v31
	v_or_b32_e32 v28, v28, v30
	v_pk_mul_f32 v[28:29], s[16:17], v[28:29]
	v_mul_f32_e32 v20, v4, v32
	v_or_b32_e32 v39, v39, v41
	v_or_b32_e32 v38, v38, v40
	v_fmac_f32_e32 v20, v2, v28
	v_mul_f32_e32 v28, v5, v33
	v_or_b32_e32 v43, v43, v45
	v_or_b32_e32 v42, v42, v44
	v_pk_mul_f32 v[38:39], s[16:17], v[38:39]
	v_fmac_f32_e32 v28, v3, v29
	v_or_b32_e32 v47, v47, v49
	v_or_b32_e32 v46, v46, v48
	v_pk_mul_f32 v[42:43], s[16:17], v[42:43]
	v_fmac_f32_e32 v20, v6, v38
	v_fmac_f32_e32 v28, v7, v39
	v_or_b32_e32 v51, v51, v53
	v_or_b32_e32 v50, v50, v52
	v_pk_mul_f32 v[46:47], s[16:17], v[46:47]
	v_fmac_f32_e32 v20, v8, v42
	;; [unrolled: 5-line block ×3, first 2 shown]
	v_fmac_f32_e32 v28, v11, v47
	v_pk_mul_f32 v[36:37], s[16:17], v[36:37]
	v_or_b32_e32 v31, v57, v59
	v_or_b32_e32 v30, v56, v58
	v_fmac_f32_e32 v20, v12, v50
	v_fmac_f32_e32 v28, v13, v51
	v_pk_mul_f32 v[30:31], s[16:17], v[30:31]
	v_fmac_f32_e32 v20, v14, v36
	v_fmac_f32_e32 v28, v15, v37
	;; [unrolled: 1-line block ×4, first 2 shown]
	v_add_f32_e32 v20, v20, v28
	ds_bpermute_b32 v28, v64, v20
	s_and_saveexec_b64 s[44:45], s[2:3]
	s_cbranch_execz .LBB243_9
; %bb.107:                              ;   in Loop: Header=BB243_10 Depth=1
	v_add_u32_e32 v29, s53, v65
	v_cvt_f32_i32_e32 v29, v29
	s_waitcnt lgkmcnt(0)
	v_add_f32_e32 v20, v20, v28
	v_cmp_gt_i32_e32 vcc, s29, v65
	v_max_f32_e32 v28, v63, v63
	v_mul_f32_e32 v29, s51, v29
	v_cndmask_b32_e64 v29, 0, v29, s[4:5]
	v_fmac_f32_e32 v29, s11, v20
	v_cndmask_b32_e32 v20, 0, v29, vcc
	ds_write_b32 v66, v20
	v_max_f32_e32 v20, v28, v29
	v_cndmask_b32_e32 v63, v63, v20, vcc
	s_branch .LBB243_9
.LBB243_108:
	s_or_b64 exec, exec, s[40:41]
.LBB243_109:
	s_or_b64 exec, exec, s[38:39]
	v_xor_b32_e32 v2, 32, v61
	v_cmp_lt_i32_e32 vcc, v2, v62
	v_cndmask_b32_e32 v2, v61, v2, vcc
	v_lshlrev_b32_e32 v2, 2, v2
	ds_bpermute_b32 v3, v2, v63
	v_xor_b32_e32 v5, 16, v61
	v_max_f32_e32 v4, v63, v63
	v_cmp_lt_i32_e32 vcc, v5, v62
	v_xor_b32_e32 v6, 8, v61
	s_waitcnt lgkmcnt(0)
	v_max_f32_e32 v3, v3, v3
	v_max_f32_e32 v4, v4, v3
	v_cndmask_b32_e32 v3, v61, v5, vcc
	v_lshlrev_b32_e32 v3, 2, v3
	ds_bpermute_b32 v5, v3, v4
	v_cmp_lt_i32_e32 vcc, v6, v62
	v_xor_b32_e32 v7, 4, v61
	v_and_b32_e32 v40, 63, v0
	s_waitcnt lgkmcnt(0)
	v_max_f32_e32 v5, v5, v5
	v_max_f32_e32 v4, v4, v5
	v_cndmask_b32_e32 v5, v61, v6, vcc
	v_lshlrev_b32_e32 v5, 2, v5
	ds_bpermute_b32 v6, v5, v4
	v_cmp_lt_i32_e32 vcc, v7, v62
	s_waitcnt lgkmcnt(0)
	v_max_f32_e32 v6, v6, v6
	v_max_f32_e32 v4, v4, v6
	v_cndmask_b32_e32 v6, v61, v7, vcc
	v_lshlrev_b32_e32 v42, 2, v6
	ds_bpermute_b32 v6, v42, v4
	v_xor_b32_e32 v7, 2, v61
	v_cmp_lt_i32_e32 vcc, v7, v62
	s_waitcnt lgkmcnt(0)
	v_max_f32_e32 v6, v6, v6
	v_max_f32_e32 v4, v4, v6
	v_cndmask_b32_e32 v6, v61, v7, vcc
	v_lshlrev_b32_e32 v41, 2, v6
	ds_bpermute_b32 v7, v41, v4
	v_cmp_eq_u32_e32 vcc, 0, v40
	v_lshlrev_b32_e32 v6, 2, v25
	s_and_saveexec_b64 s[2:3], vcc
	s_cbranch_execz .LBB243_111
; %bb.110:
	s_waitcnt lgkmcnt(0)
	v_max_f32_e32 v7, v7, v7
	v_max_f32_e32 v4, v4, v4
	;; [unrolled: 1-line block ×3, first 2 shown]
	ds_write_b32 v6, v4 offset:128
.LBB243_111:
	s_or_b64 exec, exec, s[2:3]
	v_cmp_gt_u32_e64 s[2:3], 2, v40
	v_mov_b32_e32 v4, 0xff7fffff
	s_waitcnt lgkmcnt(0)
	v_lshlrev_b32_e32 v7, 2, v40
	s_barrier
	s_and_saveexec_b64 s[4:5], s[2:3]
	s_cbranch_execz .LBB243_113
; %bb.112:
	ds_read_b32 v4, v7 offset:128
.LBB243_113:
	s_or_b64 exec, exec, s[4:5]
	v_xor_b32_e32 v8, 1, v61
	v_cmp_lt_i32_e64 s[4:5], v8, v62
	v_cndmask_b32_e64 v8, v61, v8, s[4:5]
	v_lshlrev_b32_e32 v43, 2, v8
	s_waitcnt lgkmcnt(0)
	ds_bpermute_b32 v8, v43, v4
	v_max_f32_e32 v4, v4, v4
	s_sub_i32 s4, s33, s10
	s_lshl_b32 s4, s4, 5
	s_add_i32 s4, s4, s50
	s_waitcnt lgkmcnt(0)
	v_max_f32_e32 v8, v8, v8
	v_max_f32_e32 v4, v4, v8
	v_lshlrev_b32_e32 v8, 2, v61
	v_and_b32_e32 v8, 0xffffff00, v8
	ds_bpermute_b32 v4, v8, v4
	s_min_i32 s39, s4, s29
	s_sub_i32 s38, s39, s50
	v_cmp_gt_i32_e64 s[4:5], s38, v0
	v_mov_b32_e32 v9, 0
	s_and_saveexec_b64 s[14:15], s[4:5]
	s_cbranch_execz .LBB243_117
; %bb.114:
	v_mov_b32_e32 v9, 0x90
	v_lshl_add_u32 v10, v0, 2, v9
	s_mov_b64 s[16:17], 0
	v_mov_b32_e32 v9, 0
	v_mov_b32_e32 v11, v0
.LBB243_115:                            ; =>This Inner Loop Header: Depth=1
	ds_read_b32 v12, v10
	v_add_u32_e32 v11, 0x80, v11
	v_cmp_le_i32_e64 s[10:11], s38, v11
	s_or_b64 s[16:17], s[10:11], s[16:17]
	s_waitcnt lgkmcnt(0)
	v_sub_f32_e32 v12, v12, v4
	v_mul_f32_e32 v12, 0x3fb8aa3b, v12
	v_exp_f32_e32 v12, v12
	ds_write_b32 v10, v12
	v_add_f32_e32 v9, v9, v12
	v_add_u32_e32 v10, 0x200, v10
	s_andn2_b64 exec, exec, s[16:17]
	s_cbranch_execnz .LBB243_115
; %bb.116:
	s_or_b64 exec, exec, s[16:17]
.LBB243_117:
	s_or_b64 exec, exec, s[14:15]
	ds_bpermute_b32 v2, v2, v9
	s_waitcnt lgkmcnt(0)
	v_add_f32_e32 v2, v9, v2
	ds_bpermute_b32 v3, v3, v2
	s_waitcnt lgkmcnt(0)
	v_add_f32_e32 v2, v2, v3
	;; [unrolled: 3-line block ×6, first 2 shown]
	s_and_saveexec_b64 s[10:11], vcc
	s_cbranch_execz .LBB243_119
; %bb.118:
	ds_write_b32 v6, v2 offset:136
.LBB243_119:
	s_or_b64 exec, exec, s[10:11]
	s_waitcnt lgkmcnt(0)
	s_barrier
	s_and_saveexec_b64 s[10:11], s[2:3]
	s_cbranch_execz .LBB243_121
; %bb.120:
	ds_read_b32 v2, v7 offset:136
.LBB243_121:
	s_or_b64 exec, exec, s[10:11]
	s_waitcnt lgkmcnt(0)
	ds_bpermute_b32 v3, v43, v2
	s_waitcnt lgkmcnt(0)
	v_add_f32_e32 v2, v2, v3
	ds_bpermute_b32 v5, v8, v2
	s_and_saveexec_b64 s[2:3], s[4:5]
	s_cbranch_execz .LBB243_134
; %bb.122:
	s_waitcnt lgkmcnt(0)
	v_add_f32_e32 v2, 0x358637bd, v5
	v_div_scale_f32 v3, s[4:5], v2, v2, 1.0
	v_rcp_f32_e32 v6, v3
	v_div_scale_f32 v7, vcc, 1.0, v2, 1.0
	s_movk_i32 s4, 0x7f
	v_fma_f32 v8, -v3, v6, 1.0
	v_fmac_f32_e32 v6, v8, v6
	v_mul_f32_e32 v8, v7, v6
	v_fma_f32 v9, -v3, v8, v7
	v_fmac_f32_e32 v8, v9, v6
	v_fma_f32 v3, -v3, v8, v7
	v_div_fmas_f32 v3, v3, v6, v8
	v_div_fixup_f32 v2, v3, v2, 1.0
	v_xad_u32 v3, v0, -1, s39
	v_subrev_u32_e32 v6, s50, v3
	v_cmp_lt_u32_e32 vcc, s4, v6
	s_mov_b64 s[10:11], -1
	v_mov_b32_e32 v3, v0
	s_and_saveexec_b64 s[4:5], vcc
	s_cbranch_execz .LBB243_131
; %bb.123:
	v_lshrrev_b32_e32 v6, 7, v6
	v_add_u32_e32 v8, -1, v6
	v_lshrrev_b32_e32 v7, 1, v8
	v_mov_b32_e32 v3, v2
	v_add_u32_e32 v7, 1, v7
	v_cmp_lt_u32_e32 vcc, 13, v8
	v_mov_b32_e32 v10, 0
	s_and_saveexec_b64 s[10:11], vcc
	s_cbranch_execz .LBB243_127
; %bb.124:
	v_mov_b32_e32 v9, 0x90
	v_and_b32_e32 v8, -8, v7
	v_lshl_add_u32 v9, v0, 2, v9
	s_mov_b32 s16, 0
	s_mov_b64 s[14:15], 0
.LBB243_125:                            ; =>This Inner Loop Header: Depth=1
	ds_read2st64_b32 v[10:11], v9 offset1:2
	ds_read2st64_b32 v[12:13], v9 offset0:4 offset1:6
	ds_read2st64_b32 v[14:15], v9 offset0:8 offset1:10
	;; [unrolled: 1-line block ×3, first 2 shown]
	v_add_u32_e32 v8, -8, v8
	s_waitcnt lgkmcnt(3)
	v_pk_mul_f32 v[10:11], v[2:3], v[10:11]
	s_waitcnt lgkmcnt(2)
	v_pk_mul_f32 v[12:13], v[2:3], v[12:13]
	ds_write2st64_b32 v9, v10, v11 offset1:2
	ds_write2st64_b32 v9, v12, v13 offset0:4 offset1:6
	ds_read2st64_b32 v[12:13], v9 offset0:16 offset1:18
	s_waitcnt lgkmcnt(4)
	v_pk_mul_f32 v[10:11], v[2:3], v[14:15]
	ds_write2st64_b32 v9, v10, v11 offset0:8 offset1:10
	s_waitcnt lgkmcnt(4)
	v_pk_mul_f32 v[10:11], v[2:3], v[16:17]
	ds_write2st64_b32 v9, v10, v11 offset0:12 offset1:14
	ds_read2st64_b32 v[10:11], v9 offset0:20 offset1:22
	s_waitcnt lgkmcnt(3)
	v_pk_mul_f32 v[12:13], v[2:3], v[12:13]
	ds_read2st64_b32 v[14:15], v9 offset0:24 offset1:26
	ds_write2st64_b32 v9, v12, v13 offset0:16 offset1:18
	ds_read2st64_b32 v[12:13], v9 offset0:28 offset1:30
	s_waitcnt lgkmcnt(3)
	v_pk_mul_f32 v[10:11], v[2:3], v[10:11]
	ds_write2st64_b32 v9, v10, v11 offset0:20 offset1:22
	s_waitcnt lgkmcnt(3)
	v_pk_mul_f32 v[10:11], v[2:3], v[14:15]
	ds_write2st64_b32 v9, v10, v11 offset0:24 offset1:26
	s_waitcnt lgkmcnt(2)
	v_pk_mul_f32 v[10:11], v[2:3], v[12:13]
	s_add_i32 s16, s16, 16
	v_cmp_eq_u32_e32 vcc, 0, v8
	ds_write2st64_b32 v9, v10, v11 offset0:28 offset1:30
	v_add_u32_e32 v9, 0x2000, v9
	s_or_b64 s[14:15], vcc, s[14:15]
	v_mov_b32_e32 v10, s16
	s_andn2_b64 exec, exec, s[14:15]
	s_cbranch_execnz .LBB243_125
; %bb.126:
	s_or_b64 exec, exec, s[14:15]
.LBB243_127:
	s_or_b64 exec, exec, s[10:11]
	v_and_b32_e32 v7, 7, v7
	v_cmp_ne_u32_e32 vcc, 0, v7
	s_and_saveexec_b64 s[10:11], vcc
	s_cbranch_execz .LBB243_130
; %bb.128:
	v_lshlrev_b32_e32 v8, 9, v10
	s_movk_i32 s14, 0x90
	v_add3_u32 v8, v8, v1, s14
	s_mov_b64 s[14:15], 0
.LBB243_129:                            ; =>This Inner Loop Header: Depth=1
	ds_read2st64_b32 v[10:11], v8 offset1:2
	v_add_u32_e32 v7, -1, v7
	v_cmp_eq_u32_e32 vcc, 0, v7
	s_or_b64 s[14:15], vcc, s[14:15]
	s_waitcnt lgkmcnt(0)
	v_pk_mul_f32 v[10:11], v[2:3], v[10:11]
	ds_write2st64_b32 v8, v10, v11 offset1:2
	v_add_u32_e32 v8, 0x400, v8
	s_andn2_b64 exec, exec, s[14:15]
	s_cbranch_execnz .LBB243_129
.LBB243_130:
	s_or_b64 exec, exec, s[10:11]
	v_add_u32_e32 v6, 1, v6
	v_and_b32_e32 v7, 0x3fffffe, v6
	v_cmp_ne_u32_e32 vcc, v6, v7
	v_lshl_add_u32 v3, v7, 7, v0
	s_orn2_b64 s[10:11], vcc, exec
.LBB243_131:
	s_or_b64 exec, exec, s[4:5]
	s_and_b64 exec, exec, s[10:11]
	s_cbranch_execz .LBB243_134
; %bb.132:
	v_mov_b32_e32 v6, 0x90
	v_lshl_add_u32 v6, v3, 2, v6
	s_mov_b64 s[4:5], 0
.LBB243_133:                            ; =>This Inner Loop Header: Depth=1
	ds_read_b32 v7, v6
	v_add_u32_e32 v3, 0x80, v3
	v_cmp_le_i32_e32 vcc, s38, v3
	s_or_b64 s[4:5], vcc, s[4:5]
	s_waitcnt lgkmcnt(0)
	v_mul_f32_e32 v7, v2, v7
	ds_write_b32 v6, v7
	v_add_u32_e32 v6, 0x200, v6
	s_andn2_b64 exec, exec, s[4:5]
	s_cbranch_execnz .LBB243_133
.LBB243_134:
	s_or_b64 exec, exec, s[2:3]
	s_mul_i32 s2, s25, s28
	v_cmp_eq_u32_e32 vcc, 0, v0
	s_mul_i32 s2, s2, s9
	s_waitcnt lgkmcnt(0)
	s_barrier
	s_and_saveexec_b64 s[4:5], vcc
	s_cbranch_execz .LBB243_136
; %bb.135:
	s_ashr_i32 s3, s2, 31
	s_lshl_b64 s[10:11], s[2:3], 2
	s_add_u32 s3, s22, s10
	s_mul_i32 s14, s25, s6
	s_addc_u32 s9, s23, s11
	s_ashr_i32 s15, s14, 31
	s_lshl_b64 s[14:15], s[14:15], 2
	s_add_u32 s3, s3, s14
	s_addc_u32 s6, s9, s15
	s_ashr_i32 s9, s8, 31
	s_lshl_b64 s[16:17], s[8:9], 2
	s_add_u32 s22, s3, s16
	s_addc_u32 s23, s6, s17
	s_add_u32 s3, s20, s10
	s_addc_u32 s6, s21, s11
	;; [unrolled: 2-line block ×3, first 2 shown]
	s_add_u32 s10, s3, s16
	v_mov_b32_e32 v2, 0
	s_addc_u32 s11, s6, s17
	global_store_dword v2, v4, s[22:23]
	global_store_dword v2, v5, s[10:11]
.LBB243_136:
	s_or_b64 exec, exec, s[4:5]
	s_mov_b32 s6, 0
	v_mov_b32_e32 v7, 0
	v_and_b32_e32 v44, 7, v0
	v_mov_b32_e32 v6, 0
	v_mov_b32_e32 v9, 0
	v_mov_b32_e32 v8, 0
	s_and_saveexec_b64 s[4:5], s[0:1]
	s_cbranch_execz .LBB243_244
; %bb.137:
	s_ashr_i32 s0, s12, 31
	v_and_b32_e32 v2, 28, v1
	s_add_u32 s1, s36, s12
	v_and_b32_e32 v1, 0xfc, v1
	s_load_dword s10, s[18:19], 0x0
	s_addc_u32 s0, s37, s0
	v_add_co_u32_e32 v12, vcc, s1, v1
	v_lshl_add_u32 v1, v25, 5, s50
	s_add_i32 s9, s7, -1
	v_mov_b32_e32 v3, s0
	v_add3_u32 v1, v1, v2, 3
	v_lshlrev_b32_e32 v2, 4, v44
	s_lshl_b64 s[0:1], s[34:35], 2
	v_lshl_or_b32 v2, v25, 7, v2
	s_add_u32 s0, s30, s0
	v_addc_co_u32_e32 v13, vcc, 0, v3, vcc
	v_add_u32_e32 v45, 0x90, v2
	v_lshlrev_b64 v[2:3], 2, v[18:19]
	s_addc_u32 s1, s31, s1
	v_mov_b32_e32 v4, s1
	v_add_co_u32_e32 v14, vcc, s0, v2
	s_mov_b32 s3, s13
	s_waitcnt lgkmcnt(0)
	s_mov_b32 s11, s10
	v_mov_b32_e32 v11, 0
	v_addc_co_u32_e32 v15, vcc, v4, v3, vcc
	s_mov_b64 s[12:13], 0
	s_movk_i32 s22, 0x80
	s_movk_i32 s23, 0x7f
	s_brev_b32 s7, 1
	s_mov_b32 s15, 0x7f800001
	s_mov_b32 s28, 0xffffff
	v_bfrev_b32_e32 v19, 60
	v_mov_b32_e32 v46, 7
	v_mov_b32_e32 v47, 24
	;; [unrolled: 1-line block ×6, first 2 shown]
	s_branch .LBB243_139
.LBB243_138:                            ;   in Loop: Header=BB243_139 Depth=1
	s_or_b64 exec, exec, s[0:1]
	s_waitcnt lgkmcnt(0)
	v_mul_f32_e32 v10, v3, v17
	v_fmac_f32_e32 v10, v2, v16
	v_fmac_f32_e32 v10, v4, v20
	v_fmac_f32_e32 v10, v5, v21
	v_add_f32_e32 v8, v8, v10
	v_mul_f32_e32 v10, v3, v25
	v_fmac_f32_e32 v10, v2, v24
	v_fmac_f32_e32 v10, v4, v26
	;; [unrolled: 1-line block ×3, first 2 shown]
	v_add_f32_e32 v9, v9, v10
	v_mul_f32_e32 v10, v3, v29
	v_mul_f32_e32 v3, v3, v23
	v_fmac_f32_e32 v10, v2, v28
	v_fmac_f32_e32 v3, v2, v22
	v_add_u32_e32 v18, 2, v18
	v_fmac_f32_e32 v10, v4, v30
	v_fmac_f32_e32 v3, v4, v32
	v_cmp_le_i32_e32 vcc, s33, v18
	v_fmac_f32_e32 v10, v5, v31
	v_fmac_f32_e32 v3, v5, v33
	s_or_b64 s[12:13], vcc, s[12:13]
	v_add_co_u32_e32 v14, vcc, 8, v14
	v_add_f32_e32 v6, v6, v10
	v_add_f32_e32 v7, v7, v3
	v_add_u32_e32 v1, 64, v1
	v_add_u32_e32 v45, 0x100, v45
	v_addc_co_u32_e32 v15, vcc, 0, v15, vcc
	s_andn2_b64 exec, exec, s[12:13]
	s_cbranch_execz .LBB243_243
.LBB243_139:                            ; =>This Inner Loop Header: Depth=1
	global_load_dword v2, v[14:15], off
	v_pk_mov_b32 v[24:25], 0, 0
	v_pk_mov_b32 v[20:21], v[24:25], v[24:25] op_sel:[0,1]
	s_waitcnt vmcnt(0)
	v_mad_i64_i32 v[22:23], s[0:1], v2, s3, v[12:13]
	global_load_dword v16, v[22:23], off
	ds_read_b128 v[2:5], v45
	s_waitcnt vmcnt(0)
	v_cmp_ne_u16_sdwa s[16:17], v16, v11 src0_sel:BYTE_0 src1_sel:DWORD
	s_and_saveexec_b64 s[0:1], s[16:17]
	s_cbranch_execz .LBB243_145
; %bb.140:                              ;   in Loop: Header=BB243_139 Depth=1
	v_bfrev_b32_e32 v20, 1
	v_cmp_ne_u16_sdwa s[18:19], v16, s22 src0_sel:BYTE_0 src1_sel:DWORD
	v_mov_b32_e32 v21, 0
	s_and_saveexec_b64 s[16:17], s[18:19]
	s_cbranch_execz .LBB243_144
; %bb.141:                              ;   in Loop: Header=BB243_139 Depth=1
	v_and_b32_e32 v10, 0x7f, v16
	v_mov_b32_e32 v20, 0x7f800001
	v_cmp_ne_u32_e32 vcc, s23, v10
	v_mov_b32_e32 v21, 0
	s_and_saveexec_b64 s[18:19], vcc
	s_cbranch_execz .LBB243_143
; %bb.142:                              ;   in Loop: Header=BB243_139 Depth=1
	v_and_b32_e32 v17, 7, v16
	v_ffbh_u32_e32 v20, v17
	v_min_u32_e32 v27, 32, v20
	v_subrev_u32_e32 v20, 28, v27
	v_lshlrev_b64 v[20:21], v20, v[16:17]
	v_lshrrev_b32_e32 v26, 3, v10
	v_sub_u32_e32 v21, 29, v27
	v_and_b32_e32 v20, 7, v20
	v_cmp_gt_u32_e32 vcc, 8, v10
	v_cndmask_b32_e32 v10, v26, v21, vcc
	v_cndmask_b32_e32 v17, v17, v20, vcc
	v_lshlrev_b32_e32 v17, 20, v17
	v_and_b32_sdwa v20, sext(v16), s7 dst_sel:DWORD dst_unused:UNUSED_PAD src0_sel:BYTE_0 src1_sel:DWORD
	v_lshl_add_u32 v10, v10, 23, v19
	v_or3_b32 v10, v20, v10, v17
	v_pk_mov_b32 v[20:21], v[10:11], v[10:11] op_sel:[0,1]
.LBB243_143:                            ;   in Loop: Header=BB243_139 Depth=1
	s_or_b64 exec, exec, s[18:19]
.LBB243_144:                            ;   in Loop: Header=BB243_139 Depth=1
	s_or_b64 exec, exec, s[16:17]
.LBB243_145:                            ;   in Loop: Header=BB243_139 Depth=1
	s_or_b64 exec, exec, s[0:1]
	v_cmp_ne_u16_sdwa s[16:17], v16, v11 src0_sel:BYTE_1 src1_sel:DWORD
	s_and_saveexec_b64 s[0:1], s[16:17]
	s_cbranch_execz .LBB243_151
; %bb.146:                              ;   in Loop: Header=BB243_139 Depth=1
	v_cmp_ne_u16_sdwa s[18:19], v16, s22 src0_sel:BYTE_1 src1_sel:DWORD
	v_pk_mov_b32 v[24:25], s[6:7], s[6:7] op_sel:[0,1]
	s_and_saveexec_b64 s[16:17], s[18:19]
	s_cbranch_execz .LBB243_150
; %bb.147:                              ;   in Loop: Header=BB243_139 Depth=1
	v_and_b32_sdwa v17, v16, s23 dst_sel:DWORD dst_unused:UNUSED_PAD src0_sel:BYTE_1 src1_sel:DWORD
	s_mov_b32 s14, s6
	v_cmp_ne_u32_e32 vcc, s23, v17
	v_pk_mov_b32 v[24:25], s[14:15], s[14:15] op_sel:[0,1]
	s_and_saveexec_b64 s[18:19], vcc
	s_cbranch_execz .LBB243_149
; %bb.148:                              ;   in Loop: Header=BB243_139 Depth=1
	v_and_b32_sdwa v10, v16, v46 dst_sel:DWORD dst_unused:UNUSED_PAD src0_sel:BYTE_1 src1_sel:DWORD
	v_ffbh_u32_e32 v24, v10
	v_min_u32_e32 v27, 32, v24
	v_subrev_u32_e32 v24, 28, v27
	v_lshlrev_b64 v[24:25], v24, v[10:11]
	v_lshrrev_b32_e32 v26, 3, v17
	v_sub_u32_e32 v25, 29, v27
	v_cmp_gt_u32_e32 vcc, 8, v17
	v_and_b32_e32 v24, 7, v24
	v_cndmask_b32_e32 v17, v26, v25, vcc
	v_cndmask_b32_e32 v10, v10, v24, vcc
	v_lshlrev_b32_e32 v24, 16, v16
	v_lshl_add_u32 v17, v17, 23, v19
	v_and_or_b32 v17, v24, s7, v17
	v_lshlrev_b32_e32 v10, 20, v10
	v_or_b32_e32 v25, v17, v10
	v_mov_b32_e32 v24, v11
.LBB243_149:                            ;   in Loop: Header=BB243_139 Depth=1
	s_or_b64 exec, exec, s[18:19]
.LBB243_150:                            ;   in Loop: Header=BB243_139 Depth=1
	s_or_b64 exec, exec, s[16:17]
.LBB243_151:                            ;   in Loop: Header=BB243_139 Depth=1
	s_or_b64 exec, exec, s[0:1]
	v_lshrrev_b32_e32 v10, 16, v16
	v_pk_mov_b32 v[28:29], 0, 0
	v_cmp_ne_u16_sdwa s[16:17], v10, v11 src0_sel:BYTE_0 src1_sel:DWORD
	v_pk_mov_b32 v[26:27], v[28:29], v[28:29] op_sel:[0,1]
	s_and_saveexec_b64 s[0:1], s[16:17]
	s_cbranch_execz .LBB243_157
; %bb.152:                              ;   in Loop: Header=BB243_139 Depth=1
	v_bfrev_b32_e32 v26, 1
	v_cmp_ne_u16_sdwa s[18:19], v10, s22 src0_sel:BYTE_0 src1_sel:DWORD
	v_mov_b32_e32 v27, 0
	s_and_saveexec_b64 s[16:17], s[18:19]
	s_cbranch_execz .LBB243_156
; %bb.153:                              ;   in Loop: Header=BB243_139 Depth=1
	v_bfe_u32 v17, v16, 16, 7
	v_mov_b32_e32 v26, 0x7f800001
	v_cmp_ne_u32_e32 vcc, s23, v17
	v_mov_b32_e32 v27, 0
	s_and_saveexec_b64 s[18:19], vcc
	s_cbranch_execz .LBB243_155
; %bb.154:                              ;   in Loop: Header=BB243_139 Depth=1
	v_and_b32_e32 v30, 7, v10
	v_ffbh_u32_e32 v26, v30
	v_min_u32_e32 v32, 32, v26
	v_subrev_u32_e32 v26, 28, v32
	v_lshlrev_b64 v[26:27], v26, v[10:11]
	v_lshrrev_b32_e32 v31, 3, v17
	v_sub_u32_e32 v27, 29, v32
	v_and_b32_e32 v26, 7, v26
	v_cmp_gt_u32_e32 vcc, 8, v17
	v_cndmask_b32_e32 v17, v31, v27, vcc
	v_cndmask_b32_e32 v26, v30, v26, vcc
	v_lshlrev_b32_e32 v26, 20, v26
	v_and_b32_sdwa v10, sext(v10), s7 dst_sel:DWORD dst_unused:UNUSED_PAD src0_sel:BYTE_0 src1_sel:DWORD
	v_lshl_add_u32 v17, v17, 23, v19
	v_or3_b32 v10, v10, v17, v26
	v_pk_mov_b32 v[26:27], v[10:11], v[10:11] op_sel:[0,1]
.LBB243_155:                            ;   in Loop: Header=BB243_139 Depth=1
	s_or_b64 exec, exec, s[18:19]
.LBB243_156:                            ;   in Loop: Header=BB243_139 Depth=1
	s_or_b64 exec, exec, s[16:17]
.LBB243_157:                            ;   in Loop: Header=BB243_139 Depth=1
	s_or_b64 exec, exec, s[0:1]
	v_cmp_lt_u32_e32 vcc, s28, v16
	s_and_saveexec_b64 s[0:1], vcc
	s_cbranch_execz .LBB243_163
; %bb.158:                              ;   in Loop: Header=BB243_139 Depth=1
	v_cmp_ne_u32_sdwa s[18:19], v16, s22 src0_sel:BYTE_3 src1_sel:DWORD
	v_pk_mov_b32 v[28:29], s[6:7], s[6:7] op_sel:[0,1]
	s_and_saveexec_b64 s[16:17], s[18:19]
	s_cbranch_execz .LBB243_162
; %bb.159:                              ;   in Loop: Header=BB243_139 Depth=1
	v_bfe_u32 v17, v16, 24, 7
	s_mov_b32 s14, s6
	v_cmp_ne_u32_e32 vcc, s23, v17
	v_pk_mov_b32 v[28:29], s[14:15], s[14:15] op_sel:[0,1]
	s_and_saveexec_b64 s[18:19], vcc
	s_cbranch_execz .LBB243_161
; %bb.160:                              ;   in Loop: Header=BB243_139 Depth=1
	v_and_b32_sdwa v10, v16, v46 dst_sel:DWORD dst_unused:UNUSED_PAD src0_sel:BYTE_3 src1_sel:DWORD
	v_ffbh_u32_e32 v28, v10
	v_min_u32_e32 v31, 32, v28
	v_subrev_u32_e32 v28, 28, v31
	v_lshlrev_b64 v[28:29], v28, v[10:11]
	v_lshrrev_b32_e32 v30, 3, v17
	v_sub_u32_e32 v29, 29, v31
	v_cmp_gt_u32_e32 vcc, 8, v17
	v_and_b32_e32 v28, 7, v28
	v_cndmask_b32_e32 v17, v30, v29, vcc
	v_cndmask_b32_e32 v10, v10, v28, vcc
	v_lshlrev_b32_sdwa v16, v47, v16 dst_sel:DWORD dst_unused:UNUSED_PAD src0_sel:DWORD src1_sel:BYTE_3
	v_lshl_add_u32 v17, v17, 23, v19
	v_and_or_b32 v16, v16, s7, v17
	v_lshlrev_b32_e32 v10, 20, v10
	v_or_b32_e32 v29, v16, v10
	v_mov_b32_e32 v28, v11
.LBB243_161:                            ;   in Loop: Header=BB243_139 Depth=1
	s_or_b64 exec, exec, s[18:19]
.LBB243_162:                            ;   in Loop: Header=BB243_139 Depth=1
	s_or_b64 exec, exec, s[16:17]
.LBB243_163:                            ;   in Loop: Header=BB243_139 Depth=1
	s_or_b64 exec, exec, s[0:1]
	v_or_b32_e32 v17, v25, v21
	v_or_b32_e32 v16, v24, v20
	;; [unrolled: 1-line block ×4, first 2 shown]
	v_add_u32_e32 v48, -3, v1
	v_cmp_eq_u32_e32 vcc, s9, v18
	v_pk_mul_f32 v[16:17], s[10:11], v[16:17]
	v_pk_mul_f32 v[20:21], s[10:11], v[20:21]
	v_add_u32_e32 v50, -2, v1
	v_add_u32_e32 v49, -1, v1
	s_and_saveexec_b64 s[16:17], vcc
; %bb.164:                              ;   in Loop: Header=BB243_139 Depth=1
	v_cmp_gt_i32_e64 s[0:1], s29, v48
	v_cndmask_b32_e64 v16, 0, v16, s[0:1]
	v_cmp_gt_i32_e64 s[0:1], s29, v50
	v_cndmask_b32_e64 v17, 0, v17, s[0:1]
	;; [unrolled: 2-line block ×4, first 2 shown]
; %bb.165:                              ;   in Loop: Header=BB243_139 Depth=1
	s_or_b64 exec, exec, s[16:17]
	global_load_dword v24, v[22:23], off offset:256
	v_pk_mov_b32 v[28:29], 0, 0
	v_pk_mov_b32 v[26:27], v[28:29], v[28:29] op_sel:[0,1]
	s_waitcnt vmcnt(0)
	v_cmp_ne_u16_sdwa s[0:1], v24, v11 src0_sel:BYTE_0 src1_sel:DWORD
	s_and_saveexec_b64 s[16:17], s[0:1]
	s_cbranch_execz .LBB243_171
; %bb.166:                              ;   in Loop: Header=BB243_139 Depth=1
	v_bfrev_b32_e32 v26, 1
	v_cmp_ne_u16_sdwa s[0:1], v24, s22 src0_sel:BYTE_0 src1_sel:DWORD
	v_mov_b32_e32 v27, 0
	s_and_saveexec_b64 s[18:19], s[0:1]
	s_cbranch_execz .LBB243_170
; %bb.167:                              ;   in Loop: Header=BB243_139 Depth=1
	v_and_b32_e32 v10, 0x7f, v24
	v_mov_b32_e32 v26, 0x7f800001
	v_cmp_ne_u32_e64 s[0:1], s23, v10
	v_mov_b32_e32 v27, 0
	s_and_saveexec_b64 s[20:21], s[0:1]
	s_cbranch_execz .LBB243_169
; %bb.168:                              ;   in Loop: Header=BB243_139 Depth=1
	v_and_b32_e32 v25, 7, v24
	v_ffbh_u32_e32 v26, v25
	v_min_u32_e32 v31, 32, v26
	v_subrev_u32_e32 v26, 28, v31
	v_lshlrev_b64 v[26:27], v26, v[24:25]
	v_lshrrev_b32_e32 v30, 3, v10
	v_sub_u32_e32 v27, 29, v31
	v_and_b32_e32 v26, 7, v26
	v_cmp_gt_u32_e64 s[0:1], 8, v10
	v_cndmask_b32_e64 v10, v30, v27, s[0:1]
	v_cndmask_b32_e64 v25, v25, v26, s[0:1]
	v_lshlrev_b32_e32 v25, 20, v25
	v_and_b32_sdwa v26, sext(v24), s7 dst_sel:DWORD dst_unused:UNUSED_PAD src0_sel:BYTE_0 src1_sel:DWORD
	v_lshl_add_u32 v10, v10, 23, v19
	v_or3_b32 v10, v26, v10, v25
	v_pk_mov_b32 v[26:27], v[10:11], v[10:11] op_sel:[0,1]
.LBB243_169:                            ;   in Loop: Header=BB243_139 Depth=1
	s_or_b64 exec, exec, s[20:21]
.LBB243_170:                            ;   in Loop: Header=BB243_139 Depth=1
	s_or_b64 exec, exec, s[18:19]
.LBB243_171:                            ;   in Loop: Header=BB243_139 Depth=1
	s_or_b64 exec, exec, s[16:17]
	v_cmp_ne_u16_sdwa s[0:1], v24, v11 src0_sel:BYTE_1 src1_sel:DWORD
	s_and_saveexec_b64 s[16:17], s[0:1]
	s_cbranch_execz .LBB243_177
; %bb.172:                              ;   in Loop: Header=BB243_139 Depth=1
	v_cmp_ne_u16_sdwa s[0:1], v24, s22 src0_sel:BYTE_1 src1_sel:DWORD
	v_pk_mov_b32 v[28:29], s[6:7], s[6:7] op_sel:[0,1]
	s_and_saveexec_b64 s[18:19], s[0:1]
	s_cbranch_execz .LBB243_176
; %bb.173:                              ;   in Loop: Header=BB243_139 Depth=1
	v_and_b32_sdwa v25, v24, s23 dst_sel:DWORD dst_unused:UNUSED_PAD src0_sel:BYTE_1 src1_sel:DWORD
	s_mov_b32 s14, s6
	v_cmp_ne_u32_e64 s[0:1], s23, v25
	v_pk_mov_b32 v[28:29], s[14:15], s[14:15] op_sel:[0,1]
	s_and_saveexec_b64 s[20:21], s[0:1]
	s_cbranch_execz .LBB243_175
; %bb.174:                              ;   in Loop: Header=BB243_139 Depth=1
	v_and_b32_sdwa v10, v24, v46 dst_sel:DWORD dst_unused:UNUSED_PAD src0_sel:BYTE_1 src1_sel:DWORD
	v_ffbh_u32_e32 v28, v10
	v_min_u32_e32 v31, 32, v28
	v_subrev_u32_e32 v28, 28, v31
	v_lshlrev_b64 v[28:29], v28, v[10:11]
	v_lshrrev_b32_e32 v30, 3, v25
	v_sub_u32_e32 v29, 29, v31
	v_cmp_gt_u32_e64 s[0:1], 8, v25
	v_and_b32_e32 v28, 7, v28
	v_cndmask_b32_e64 v25, v30, v29, s[0:1]
	v_cndmask_b32_e64 v10, v10, v28, s[0:1]
	v_lshlrev_b32_e32 v28, 16, v24
	v_lshl_add_u32 v25, v25, 23, v19
	v_and_or_b32 v25, v28, s7, v25
	v_lshlrev_b32_e32 v10, 20, v10
	v_or_b32_e32 v29, v25, v10
	v_mov_b32_e32 v28, v11
.LBB243_175:                            ;   in Loop: Header=BB243_139 Depth=1
	s_or_b64 exec, exec, s[20:21]
.LBB243_176:                            ;   in Loop: Header=BB243_139 Depth=1
	s_or_b64 exec, exec, s[18:19]
.LBB243_177:                            ;   in Loop: Header=BB243_139 Depth=1
	s_or_b64 exec, exec, s[16:17]
	v_lshrrev_b32_e32 v10, 16, v24
	v_pk_mov_b32 v[32:33], 0, 0
	v_cmp_ne_u16_sdwa s[0:1], v10, v11 src0_sel:BYTE_0 src1_sel:DWORD
	v_pk_mov_b32 v[30:31], v[32:33], v[32:33] op_sel:[0,1]
	s_and_saveexec_b64 s[16:17], s[0:1]
	s_cbranch_execz .LBB243_183
; %bb.178:                              ;   in Loop: Header=BB243_139 Depth=1
	v_bfrev_b32_e32 v30, 1
	v_cmp_ne_u16_sdwa s[0:1], v10, s22 src0_sel:BYTE_0 src1_sel:DWORD
	v_mov_b32_e32 v31, 0
	s_and_saveexec_b64 s[18:19], s[0:1]
	s_cbranch_execz .LBB243_182
; %bb.179:                              ;   in Loop: Header=BB243_139 Depth=1
	v_bfe_u32 v25, v24, 16, 7
	v_mov_b32_e32 v30, 0x7f800001
	v_cmp_ne_u32_e64 s[0:1], s23, v25
	v_mov_b32_e32 v31, 0
	s_and_saveexec_b64 s[20:21], s[0:1]
	s_cbranch_execz .LBB243_181
; %bb.180:                              ;   in Loop: Header=BB243_139 Depth=1
	v_and_b32_e32 v34, 7, v10
	v_ffbh_u32_e32 v30, v34
	v_min_u32_e32 v36, 32, v30
	v_subrev_u32_e32 v30, 28, v36
	v_lshlrev_b64 v[30:31], v30, v[10:11]
	v_lshrrev_b32_e32 v35, 3, v25
	v_sub_u32_e32 v31, 29, v36
	v_and_b32_e32 v30, 7, v30
	v_cmp_gt_u32_e64 s[0:1], 8, v25
	v_cndmask_b32_e64 v25, v35, v31, s[0:1]
	v_cndmask_b32_e64 v30, v34, v30, s[0:1]
	v_lshlrev_b32_e32 v30, 20, v30
	v_and_b32_sdwa v10, sext(v10), s7 dst_sel:DWORD dst_unused:UNUSED_PAD src0_sel:BYTE_0 src1_sel:DWORD
	v_lshl_add_u32 v25, v25, 23, v19
	v_or3_b32 v10, v10, v25, v30
	v_pk_mov_b32 v[30:31], v[10:11], v[10:11] op_sel:[0,1]
.LBB243_181:                            ;   in Loop: Header=BB243_139 Depth=1
	s_or_b64 exec, exec, s[20:21]
.LBB243_182:                            ;   in Loop: Header=BB243_139 Depth=1
	s_or_b64 exec, exec, s[18:19]
.LBB243_183:                            ;   in Loop: Header=BB243_139 Depth=1
	s_or_b64 exec, exec, s[16:17]
	v_cmp_lt_u32_e64 s[0:1], s28, v24
	s_and_saveexec_b64 s[16:17], s[0:1]
	s_cbranch_execz .LBB243_189
; %bb.184:                              ;   in Loop: Header=BB243_139 Depth=1
	v_cmp_ne_u32_sdwa s[0:1], v24, s22 src0_sel:BYTE_3 src1_sel:DWORD
	v_pk_mov_b32 v[32:33], s[6:7], s[6:7] op_sel:[0,1]
	s_and_saveexec_b64 s[18:19], s[0:1]
	s_cbranch_execz .LBB243_188
; %bb.185:                              ;   in Loop: Header=BB243_139 Depth=1
	v_bfe_u32 v25, v24, 24, 7
	s_mov_b32 s14, s6
	v_cmp_ne_u32_e64 s[0:1], s23, v25
	v_pk_mov_b32 v[32:33], s[14:15], s[14:15] op_sel:[0,1]
	s_and_saveexec_b64 s[20:21], s[0:1]
	s_cbranch_execz .LBB243_187
; %bb.186:                              ;   in Loop: Header=BB243_139 Depth=1
	v_and_b32_sdwa v10, v24, v46 dst_sel:DWORD dst_unused:UNUSED_PAD src0_sel:BYTE_3 src1_sel:DWORD
	v_ffbh_u32_e32 v32, v10
	v_min_u32_e32 v35, 32, v32
	v_subrev_u32_e32 v32, 28, v35
	v_lshlrev_b64 v[32:33], v32, v[10:11]
	v_lshrrev_b32_e32 v34, 3, v25
	v_sub_u32_e32 v33, 29, v35
	v_cmp_gt_u32_e64 s[0:1], 8, v25
	v_and_b32_e32 v32, 7, v32
	v_cndmask_b32_e64 v25, v34, v33, s[0:1]
	v_cndmask_b32_e64 v10, v10, v32, s[0:1]
	v_lshlrev_b32_sdwa v24, v47, v24 dst_sel:DWORD dst_unused:UNUSED_PAD src0_sel:DWORD src1_sel:BYTE_3
	v_lshl_add_u32 v25, v25, 23, v19
	v_and_or_b32 v24, v24, s7, v25
	v_lshlrev_b32_e32 v10, 20, v10
	v_or_b32_e32 v33, v24, v10
	v_mov_b32_e32 v32, v11
.LBB243_187:                            ;   in Loop: Header=BB243_139 Depth=1
	s_or_b64 exec, exec, s[20:21]
.LBB243_188:                            ;   in Loop: Header=BB243_139 Depth=1
	s_or_b64 exec, exec, s[18:19]
.LBB243_189:                            ;   in Loop: Header=BB243_139 Depth=1
	s_or_b64 exec, exec, s[16:17]
	v_or_b32_e32 v25, v29, v27
	v_or_b32_e32 v24, v28, v26
	;; [unrolled: 1-line block ×4, first 2 shown]
	v_pk_mul_f32 v[24:25], s[10:11], v[24:25]
	v_pk_mul_f32 v[26:27], s[10:11], v[26:27]
	s_and_saveexec_b64 s[16:17], vcc
; %bb.190:                              ;   in Loop: Header=BB243_139 Depth=1
	v_cmp_gt_i32_e64 s[0:1], s29, v48
	v_cndmask_b32_e64 v24, 0, v24, s[0:1]
	v_cmp_gt_i32_e64 s[0:1], s29, v50
	v_cndmask_b32_e64 v25, 0, v25, s[0:1]
	;; [unrolled: 2-line block ×4, first 2 shown]
; %bb.191:                              ;   in Loop: Header=BB243_139 Depth=1
	s_or_b64 exec, exec, s[16:17]
	global_load_dword v28, v[22:23], off offset:512
	v_pk_mov_b32 v[32:33], 0, 0
	v_pk_mov_b32 v[30:31], v[32:33], v[32:33] op_sel:[0,1]
	s_waitcnt vmcnt(0)
	v_cmp_ne_u16_sdwa s[0:1], v28, v11 src0_sel:BYTE_0 src1_sel:DWORD
	s_and_saveexec_b64 s[16:17], s[0:1]
	s_cbranch_execz .LBB243_197
; %bb.192:                              ;   in Loop: Header=BB243_139 Depth=1
	v_bfrev_b32_e32 v30, 1
	v_cmp_ne_u16_sdwa s[0:1], v28, s22 src0_sel:BYTE_0 src1_sel:DWORD
	v_mov_b32_e32 v31, 0
	s_and_saveexec_b64 s[18:19], s[0:1]
	s_cbranch_execz .LBB243_196
; %bb.193:                              ;   in Loop: Header=BB243_139 Depth=1
	v_and_b32_e32 v10, 0x7f, v28
	v_mov_b32_e32 v30, 0x7f800001
	v_cmp_ne_u32_e64 s[0:1], s23, v10
	v_mov_b32_e32 v31, 0
	s_and_saveexec_b64 s[20:21], s[0:1]
	s_cbranch_execz .LBB243_195
; %bb.194:                              ;   in Loop: Header=BB243_139 Depth=1
	v_and_b32_e32 v29, 7, v28
	v_ffbh_u32_e32 v30, v29
	v_min_u32_e32 v35, 32, v30
	v_subrev_u32_e32 v30, 28, v35
	v_lshlrev_b64 v[30:31], v30, v[28:29]
	v_lshrrev_b32_e32 v34, 3, v10
	v_sub_u32_e32 v31, 29, v35
	v_and_b32_e32 v30, 7, v30
	v_cmp_gt_u32_e64 s[0:1], 8, v10
	v_cndmask_b32_e64 v10, v34, v31, s[0:1]
	v_cndmask_b32_e64 v29, v29, v30, s[0:1]
	v_lshlrev_b32_e32 v29, 20, v29
	v_and_b32_sdwa v30, sext(v28), s7 dst_sel:DWORD dst_unused:UNUSED_PAD src0_sel:BYTE_0 src1_sel:DWORD
	v_lshl_add_u32 v10, v10, 23, v19
	v_or3_b32 v10, v30, v10, v29
	v_pk_mov_b32 v[30:31], v[10:11], v[10:11] op_sel:[0,1]
.LBB243_195:                            ;   in Loop: Header=BB243_139 Depth=1
	s_or_b64 exec, exec, s[20:21]
.LBB243_196:                            ;   in Loop: Header=BB243_139 Depth=1
	s_or_b64 exec, exec, s[18:19]
.LBB243_197:                            ;   in Loop: Header=BB243_139 Depth=1
	s_or_b64 exec, exec, s[16:17]
	v_cmp_ne_u16_sdwa s[0:1], v28, v11 src0_sel:BYTE_1 src1_sel:DWORD
	s_and_saveexec_b64 s[16:17], s[0:1]
	s_cbranch_execz .LBB243_203
; %bb.198:                              ;   in Loop: Header=BB243_139 Depth=1
	v_cmp_ne_u16_sdwa s[0:1], v28, s22 src0_sel:BYTE_1 src1_sel:DWORD
	v_pk_mov_b32 v[32:33], s[6:7], s[6:7] op_sel:[0,1]
	s_and_saveexec_b64 s[18:19], s[0:1]
	s_cbranch_execz .LBB243_202
; %bb.199:                              ;   in Loop: Header=BB243_139 Depth=1
	v_and_b32_sdwa v29, v28, s23 dst_sel:DWORD dst_unused:UNUSED_PAD src0_sel:BYTE_1 src1_sel:DWORD
	s_mov_b32 s14, s6
	v_cmp_ne_u32_e64 s[0:1], s23, v29
	v_pk_mov_b32 v[32:33], s[14:15], s[14:15] op_sel:[0,1]
	s_and_saveexec_b64 s[20:21], s[0:1]
	s_cbranch_execz .LBB243_201
; %bb.200:                              ;   in Loop: Header=BB243_139 Depth=1
	v_and_b32_sdwa v10, v28, v46 dst_sel:DWORD dst_unused:UNUSED_PAD src0_sel:BYTE_1 src1_sel:DWORD
	v_ffbh_u32_e32 v32, v10
	v_min_u32_e32 v35, 32, v32
	v_subrev_u32_e32 v32, 28, v35
	v_lshlrev_b64 v[32:33], v32, v[10:11]
	v_lshrrev_b32_e32 v34, 3, v29
	v_sub_u32_e32 v33, 29, v35
	v_cmp_gt_u32_e64 s[0:1], 8, v29
	v_and_b32_e32 v32, 7, v32
	v_cndmask_b32_e64 v29, v34, v33, s[0:1]
	v_cndmask_b32_e64 v10, v10, v32, s[0:1]
	v_lshlrev_b32_e32 v32, 16, v28
	v_lshl_add_u32 v29, v29, 23, v19
	v_and_or_b32 v29, v32, s7, v29
	v_lshlrev_b32_e32 v10, 20, v10
	v_or_b32_e32 v33, v29, v10
	v_mov_b32_e32 v32, v11
.LBB243_201:                            ;   in Loop: Header=BB243_139 Depth=1
	s_or_b64 exec, exec, s[20:21]
.LBB243_202:                            ;   in Loop: Header=BB243_139 Depth=1
	s_or_b64 exec, exec, s[18:19]
.LBB243_203:                            ;   in Loop: Header=BB243_139 Depth=1
	s_or_b64 exec, exec, s[16:17]
	v_lshrrev_b32_e32 v10, 16, v28
	v_pk_mov_b32 v[36:37], 0, 0
	v_cmp_ne_u16_sdwa s[0:1], v10, v11 src0_sel:BYTE_0 src1_sel:DWORD
	v_pk_mov_b32 v[34:35], v[36:37], v[36:37] op_sel:[0,1]
	s_and_saveexec_b64 s[16:17], s[0:1]
	s_cbranch_execz .LBB243_209
; %bb.204:                              ;   in Loop: Header=BB243_139 Depth=1
	v_bfrev_b32_e32 v34, 1
	v_cmp_ne_u16_sdwa s[0:1], v10, s22 src0_sel:BYTE_0 src1_sel:DWORD
	v_mov_b32_e32 v35, 0
	s_and_saveexec_b64 s[18:19], s[0:1]
	s_cbranch_execz .LBB243_208
; %bb.205:                              ;   in Loop: Header=BB243_139 Depth=1
	v_bfe_u32 v29, v28, 16, 7
	v_mov_b32_e32 v34, 0x7f800001
	v_cmp_ne_u32_e64 s[0:1], s23, v29
	v_mov_b32_e32 v35, 0
	s_and_saveexec_b64 s[20:21], s[0:1]
	s_cbranch_execz .LBB243_207
; %bb.206:                              ;   in Loop: Header=BB243_139 Depth=1
	v_and_b32_e32 v38, 7, v10
	v_ffbh_u32_e32 v34, v38
	v_min_u32_e32 v51, 32, v34
	v_subrev_u32_e32 v34, 28, v51
	v_lshlrev_b64 v[34:35], v34, v[10:11]
	v_lshrrev_b32_e32 v39, 3, v29
	v_sub_u32_e32 v35, 29, v51
	v_and_b32_e32 v34, 7, v34
	v_cmp_gt_u32_e64 s[0:1], 8, v29
	v_cndmask_b32_e64 v29, v39, v35, s[0:1]
	v_cndmask_b32_e64 v34, v38, v34, s[0:1]
	v_lshlrev_b32_e32 v34, 20, v34
	v_and_b32_sdwa v10, sext(v10), s7 dst_sel:DWORD dst_unused:UNUSED_PAD src0_sel:BYTE_0 src1_sel:DWORD
	v_lshl_add_u32 v29, v29, 23, v19
	v_or3_b32 v10, v10, v29, v34
	v_pk_mov_b32 v[34:35], v[10:11], v[10:11] op_sel:[0,1]
.LBB243_207:                            ;   in Loop: Header=BB243_139 Depth=1
	s_or_b64 exec, exec, s[20:21]
.LBB243_208:                            ;   in Loop: Header=BB243_139 Depth=1
	s_or_b64 exec, exec, s[18:19]
.LBB243_209:                            ;   in Loop: Header=BB243_139 Depth=1
	s_or_b64 exec, exec, s[16:17]
	v_cmp_lt_u32_e64 s[0:1], s28, v28
	s_and_saveexec_b64 s[16:17], s[0:1]
	s_cbranch_execz .LBB243_215
; %bb.210:                              ;   in Loop: Header=BB243_139 Depth=1
	v_cmp_ne_u32_sdwa s[0:1], v28, s22 src0_sel:BYTE_3 src1_sel:DWORD
	v_pk_mov_b32 v[36:37], s[6:7], s[6:7] op_sel:[0,1]
	s_and_saveexec_b64 s[18:19], s[0:1]
	s_cbranch_execz .LBB243_214
; %bb.211:                              ;   in Loop: Header=BB243_139 Depth=1
	v_bfe_u32 v29, v28, 24, 7
	s_mov_b32 s14, s6
	v_cmp_ne_u32_e64 s[0:1], s23, v29
	v_pk_mov_b32 v[36:37], s[14:15], s[14:15] op_sel:[0,1]
	s_and_saveexec_b64 s[20:21], s[0:1]
	s_cbranch_execz .LBB243_213
; %bb.212:                              ;   in Loop: Header=BB243_139 Depth=1
	v_and_b32_sdwa v10, v28, v46 dst_sel:DWORD dst_unused:UNUSED_PAD src0_sel:BYTE_3 src1_sel:DWORD
	v_ffbh_u32_e32 v36, v10
	v_min_u32_e32 v39, 32, v36
	v_subrev_u32_e32 v36, 28, v39
	v_lshlrev_b64 v[36:37], v36, v[10:11]
	v_lshrrev_b32_e32 v38, 3, v29
	v_sub_u32_e32 v37, 29, v39
	v_cmp_gt_u32_e64 s[0:1], 8, v29
	v_and_b32_e32 v36, 7, v36
	v_cndmask_b32_e64 v29, v38, v37, s[0:1]
	v_cndmask_b32_e64 v10, v10, v36, s[0:1]
	v_lshlrev_b32_sdwa v28, v47, v28 dst_sel:DWORD dst_unused:UNUSED_PAD src0_sel:DWORD src1_sel:BYTE_3
	v_lshl_add_u32 v29, v29, 23, v19
	v_and_or_b32 v28, v28, s7, v29
	v_lshlrev_b32_e32 v10, 20, v10
	v_or_b32_e32 v37, v28, v10
	v_mov_b32_e32 v36, v11
.LBB243_213:                            ;   in Loop: Header=BB243_139 Depth=1
	s_or_b64 exec, exec, s[20:21]
.LBB243_214:                            ;   in Loop: Header=BB243_139 Depth=1
	s_or_b64 exec, exec, s[18:19]
.LBB243_215:                            ;   in Loop: Header=BB243_139 Depth=1
	s_or_b64 exec, exec, s[16:17]
	v_or_b32_e32 v29, v33, v31
	v_or_b32_e32 v28, v32, v30
	;; [unrolled: 1-line block ×4, first 2 shown]
	v_pk_mul_f32 v[28:29], s[10:11], v[28:29]
	v_pk_mul_f32 v[30:31], s[10:11], v[30:31]
	s_and_saveexec_b64 s[16:17], vcc
; %bb.216:                              ;   in Loop: Header=BB243_139 Depth=1
	v_cmp_gt_i32_e64 s[0:1], s29, v48
	v_cndmask_b32_e64 v28, 0, v28, s[0:1]
	v_cmp_gt_i32_e64 s[0:1], s29, v50
	v_cndmask_b32_e64 v29, 0, v29, s[0:1]
	;; [unrolled: 2-line block ×4, first 2 shown]
; %bb.217:                              ;   in Loop: Header=BB243_139 Depth=1
	s_or_b64 exec, exec, s[16:17]
	global_load_dword v22, v[22:23], off offset:768
	v_pk_mov_b32 v[34:35], 0, 0
	v_pk_mov_b32 v[32:33], v[34:35], v[34:35] op_sel:[0,1]
	s_waitcnt vmcnt(0)
	v_cmp_ne_u16_sdwa s[0:1], v22, v11 src0_sel:BYTE_0 src1_sel:DWORD
	s_and_saveexec_b64 s[16:17], s[0:1]
	s_cbranch_execz .LBB243_223
; %bb.218:                              ;   in Loop: Header=BB243_139 Depth=1
	v_bfrev_b32_e32 v32, 1
	v_cmp_ne_u16_sdwa s[0:1], v22, s22 src0_sel:BYTE_0 src1_sel:DWORD
	v_mov_b32_e32 v33, 0
	s_and_saveexec_b64 s[18:19], s[0:1]
	s_cbranch_execz .LBB243_222
; %bb.219:                              ;   in Loop: Header=BB243_139 Depth=1
	v_and_b32_e32 v10, 0x7f, v22
	v_mov_b32_e32 v32, 0x7f800001
	v_cmp_ne_u32_e64 s[0:1], s23, v10
	v_mov_b32_e32 v33, 0
	s_and_saveexec_b64 s[20:21], s[0:1]
	s_cbranch_execz .LBB243_221
; %bb.220:                              ;   in Loop: Header=BB243_139 Depth=1
	v_and_b32_e32 v23, 7, v22
	v_ffbh_u32_e32 v32, v23
	v_min_u32_e32 v37, 32, v32
	v_subrev_u32_e32 v32, 28, v37
	v_lshlrev_b64 v[32:33], v32, v[22:23]
	v_lshrrev_b32_e32 v36, 3, v10
	v_sub_u32_e32 v33, 29, v37
	v_and_b32_e32 v32, 7, v32
	v_cmp_gt_u32_e64 s[0:1], 8, v10
	v_cndmask_b32_e64 v10, v36, v33, s[0:1]
	v_cndmask_b32_e64 v23, v23, v32, s[0:1]
	v_lshlrev_b32_e32 v23, 20, v23
	v_and_b32_sdwa v32, sext(v22), s7 dst_sel:DWORD dst_unused:UNUSED_PAD src0_sel:BYTE_0 src1_sel:DWORD
	v_lshl_add_u32 v10, v10, 23, v19
	v_or3_b32 v10, v32, v10, v23
	v_pk_mov_b32 v[32:33], v[10:11], v[10:11] op_sel:[0,1]
.LBB243_221:                            ;   in Loop: Header=BB243_139 Depth=1
	s_or_b64 exec, exec, s[20:21]
.LBB243_222:                            ;   in Loop: Header=BB243_139 Depth=1
	s_or_b64 exec, exec, s[18:19]
.LBB243_223:                            ;   in Loop: Header=BB243_139 Depth=1
	s_or_b64 exec, exec, s[16:17]
	v_cmp_ne_u16_sdwa s[0:1], v22, v11 src0_sel:BYTE_1 src1_sel:DWORD
	s_and_saveexec_b64 s[16:17], s[0:1]
	s_cbranch_execz .LBB243_229
; %bb.224:                              ;   in Loop: Header=BB243_139 Depth=1
	v_cmp_ne_u16_sdwa s[0:1], v22, s22 src0_sel:BYTE_1 src1_sel:DWORD
	v_pk_mov_b32 v[34:35], s[6:7], s[6:7] op_sel:[0,1]
	s_and_saveexec_b64 s[18:19], s[0:1]
	s_cbranch_execz .LBB243_228
; %bb.225:                              ;   in Loop: Header=BB243_139 Depth=1
	v_and_b32_sdwa v23, v22, s23 dst_sel:DWORD dst_unused:UNUSED_PAD src0_sel:BYTE_1 src1_sel:DWORD
	s_mov_b32 s14, s6
	v_cmp_ne_u32_e64 s[0:1], s23, v23
	v_pk_mov_b32 v[34:35], s[14:15], s[14:15] op_sel:[0,1]
	s_and_saveexec_b64 s[20:21], s[0:1]
	s_cbranch_execz .LBB243_227
; %bb.226:                              ;   in Loop: Header=BB243_139 Depth=1
	v_and_b32_sdwa v10, v22, v46 dst_sel:DWORD dst_unused:UNUSED_PAD src0_sel:BYTE_1 src1_sel:DWORD
	v_ffbh_u32_e32 v34, v10
	v_min_u32_e32 v37, 32, v34
	v_subrev_u32_e32 v34, 28, v37
	v_lshlrev_b64 v[34:35], v34, v[10:11]
	v_lshrrev_b32_e32 v36, 3, v23
	v_sub_u32_e32 v35, 29, v37
	v_cmp_gt_u32_e64 s[0:1], 8, v23
	v_and_b32_e32 v34, 7, v34
	v_cndmask_b32_e64 v23, v36, v35, s[0:1]
	v_cndmask_b32_e64 v10, v10, v34, s[0:1]
	v_lshlrev_b32_e32 v34, 16, v22
	v_lshl_add_u32 v23, v23, 23, v19
	v_and_or_b32 v23, v34, s7, v23
	v_lshlrev_b32_e32 v10, 20, v10
	v_or_b32_e32 v35, v23, v10
	v_mov_b32_e32 v34, v11
.LBB243_227:                            ;   in Loop: Header=BB243_139 Depth=1
	s_or_b64 exec, exec, s[20:21]
.LBB243_228:                            ;   in Loop: Header=BB243_139 Depth=1
	s_or_b64 exec, exec, s[18:19]
.LBB243_229:                            ;   in Loop: Header=BB243_139 Depth=1
	s_or_b64 exec, exec, s[16:17]
	v_lshrrev_b32_e32 v10, 16, v22
	v_pk_mov_b32 v[38:39], 0, 0
	v_cmp_ne_u16_sdwa s[0:1], v10, v11 src0_sel:BYTE_0 src1_sel:DWORD
	v_pk_mov_b32 v[36:37], v[38:39], v[38:39] op_sel:[0,1]
	s_and_saveexec_b64 s[16:17], s[0:1]
	s_cbranch_execz .LBB243_235
; %bb.230:                              ;   in Loop: Header=BB243_139 Depth=1
	v_bfrev_b32_e32 v36, 1
	v_cmp_ne_u16_sdwa s[0:1], v10, s22 src0_sel:BYTE_0 src1_sel:DWORD
	v_mov_b32_e32 v37, 0
	s_and_saveexec_b64 s[18:19], s[0:1]
	s_cbranch_execz .LBB243_234
; %bb.231:                              ;   in Loop: Header=BB243_139 Depth=1
	v_bfe_u32 v23, v22, 16, 7
	v_mov_b32_e32 v36, 0x7f800001
	v_cmp_ne_u32_e64 s[0:1], s23, v23
	v_mov_b32_e32 v37, 0
	s_and_saveexec_b64 s[20:21], s[0:1]
	s_cbranch_execz .LBB243_233
; %bb.232:                              ;   in Loop: Header=BB243_139 Depth=1
	v_and_b32_e32 v51, 7, v10
	v_ffbh_u32_e32 v36, v51
	v_min_u32_e32 v53, 32, v36
	v_subrev_u32_e32 v36, 28, v53
	v_lshlrev_b64 v[36:37], v36, v[10:11]
	v_lshrrev_b32_e32 v52, 3, v23
	v_sub_u32_e32 v37, 29, v53
	v_and_b32_e32 v36, 7, v36
	v_cmp_gt_u32_e64 s[0:1], 8, v23
	v_cndmask_b32_e64 v23, v52, v37, s[0:1]
	v_cndmask_b32_e64 v36, v51, v36, s[0:1]
	v_lshlrev_b32_e32 v36, 20, v36
	v_and_b32_sdwa v10, sext(v10), s7 dst_sel:DWORD dst_unused:UNUSED_PAD src0_sel:BYTE_0 src1_sel:DWORD
	v_lshl_add_u32 v23, v23, 23, v19
	v_or3_b32 v10, v10, v23, v36
	v_pk_mov_b32 v[36:37], v[10:11], v[10:11] op_sel:[0,1]
.LBB243_233:                            ;   in Loop: Header=BB243_139 Depth=1
	s_or_b64 exec, exec, s[20:21]
.LBB243_234:                            ;   in Loop: Header=BB243_139 Depth=1
	s_or_b64 exec, exec, s[18:19]
.LBB243_235:                            ;   in Loop: Header=BB243_139 Depth=1
	s_or_b64 exec, exec, s[16:17]
	v_cmp_lt_u32_e64 s[0:1], s28, v22
	s_and_saveexec_b64 s[16:17], s[0:1]
	s_cbranch_execz .LBB243_241
; %bb.236:                              ;   in Loop: Header=BB243_139 Depth=1
	v_cmp_ne_u32_sdwa s[0:1], v22, s22 src0_sel:BYTE_3 src1_sel:DWORD
	v_pk_mov_b32 v[38:39], s[6:7], s[6:7] op_sel:[0,1]
	s_and_saveexec_b64 s[18:19], s[0:1]
	s_cbranch_execz .LBB243_240
; %bb.237:                              ;   in Loop: Header=BB243_139 Depth=1
	v_bfe_u32 v23, v22, 24, 7
	s_mov_b32 s14, s6
	v_cmp_ne_u32_e64 s[0:1], s23, v23
	v_pk_mov_b32 v[38:39], s[14:15], s[14:15] op_sel:[0,1]
	s_and_saveexec_b64 s[20:21], s[0:1]
	s_cbranch_execz .LBB243_239
; %bb.238:                              ;   in Loop: Header=BB243_139 Depth=1
	v_and_b32_sdwa v10, v22, v46 dst_sel:DWORD dst_unused:UNUSED_PAD src0_sel:BYTE_3 src1_sel:DWORD
	v_ffbh_u32_e32 v38, v10
	v_min_u32_e32 v52, 32, v38
	v_subrev_u32_e32 v38, 28, v52
	v_lshlrev_b64 v[38:39], v38, v[10:11]
	v_lshrrev_b32_e32 v51, 3, v23
	v_sub_u32_e32 v39, 29, v52
	v_cmp_gt_u32_e64 s[0:1], 8, v23
	v_and_b32_e32 v38, 7, v38
	v_cndmask_b32_e64 v23, v51, v39, s[0:1]
	v_cndmask_b32_e64 v10, v10, v38, s[0:1]
	v_lshlrev_b32_sdwa v22, v47, v22 dst_sel:DWORD dst_unused:UNUSED_PAD src0_sel:DWORD src1_sel:BYTE_3
	v_lshl_add_u32 v23, v23, 23, v19
	v_and_or_b32 v22, v22, s7, v23
	v_lshlrev_b32_e32 v10, 20, v10
	v_or_b32_e32 v39, v22, v10
	v_mov_b32_e32 v38, v11
.LBB243_239:                            ;   in Loop: Header=BB243_139 Depth=1
	s_or_b64 exec, exec, s[20:21]
.LBB243_240:                            ;   in Loop: Header=BB243_139 Depth=1
	s_or_b64 exec, exec, s[18:19]
.LBB243_241:                            ;   in Loop: Header=BB243_139 Depth=1
	s_or_b64 exec, exec, s[16:17]
	v_or_b32_e32 v23, v35, v33
	v_or_b32_e32 v22, v34, v32
	;; [unrolled: 1-line block ×4, first 2 shown]
	v_pk_mul_f32 v[22:23], s[10:11], v[22:23]
	v_pk_mul_f32 v[32:33], s[10:11], v[32:33]
	s_and_saveexec_b64 s[0:1], vcc
	s_cbranch_execz .LBB243_138
; %bb.242:                              ;   in Loop: Header=BB243_139 Depth=1
	v_cmp_gt_i32_e32 vcc, s29, v48
	v_cndmask_b32_e32 v22, 0, v22, vcc
	v_cmp_gt_i32_e32 vcc, s29, v50
	v_cndmask_b32_e32 v23, 0, v23, vcc
	;; [unrolled: 2-line block ×4, first 2 shown]
	s_branch .LBB243_138
.LBB243_243:
	s_or_b64 exec, exec, s[12:13]
.LBB243_244:
	s_or_b64 exec, exec, s[4:5]
	ds_bpermute_b32 v2, v42, v8
	ds_bpermute_b32 v3, v42, v9
	;; [unrolled: 1-line block ×4, first 2 shown]
	v_and_b32_e32 v1, 0x3c7, v0
	v_cmp_eq_u32_e32 vcc, 64, v1
	s_waitcnt lgkmcnt(2)
	v_pk_add_f32 v[2:3], v[8:9], v[2:3]
	ds_bpermute_b32 v8, v41, v2
	s_waitcnt lgkmcnt(1)
	v_pk_add_f32 v[4:5], v[6:7], v[4:5]
	ds_bpermute_b32 v9, v41, v3
	ds_bpermute_b32 v6, v41, v4
	;; [unrolled: 1-line block ×3, first 2 shown]
	s_waitcnt lgkmcnt(0)
	s_barrier
	v_pk_add_f32 v[2:3], v[2:3], v[8:9]
	ds_bpermute_b32 v8, v43, v2
	v_pk_add_f32 v[4:5], v[4:5], v[6:7]
	ds_bpermute_b32 v9, v43, v3
	ds_bpermute_b32 v6, v43, v4
	;; [unrolled: 1-line block ×3, first 2 shown]
	s_waitcnt lgkmcnt(0)
	v_pk_add_f32 v[2:3], v[2:3], v[8:9]
	v_pk_add_f32 v[4:5], v[4:5], v[6:7]
	s_and_saveexec_b64 s[0:1], vcc
	s_cbranch_execz .LBB243_246
; %bb.245:
	v_lshrrev_b32_e32 v6, 1, v40
	v_add_u32_e32 v6, 0x90, v6
	ds_write2_b32 v6, v2, v3 offset1:8
	ds_write2_b32 v6, v4, v5 offset0:16 offset1:24
.LBB243_246:
	s_or_b64 exec, exec, s[0:1]
	v_cmp_gt_u32_e32 vcc, 64, v0
	s_waitcnt lgkmcnt(0)
	s_barrier
	s_and_saveexec_b64 s[0:1], vcc
	s_cbranch_execz .LBB243_253
; %bb.247:
	v_cmp_eq_u32_e32 vcc, 0, v44
	v_lshrrev_b32_e32 v6, 3, v0
	s_and_saveexec_b64 s[4:5], vcc
	s_cbranch_execnz .LBB243_256
; %bb.248:
	s_or_b64 exec, exec, s[4:5]
	s_and_saveexec_b64 s[4:5], vcc
	s_cbranch_execnz .LBB243_257
.LBB243_249:
	s_or_b64 exec, exec, s[4:5]
	s_and_saveexec_b64 s[4:5], vcc
	s_cbranch_execnz .LBB243_258
.LBB243_250:
	s_or_b64 exec, exec, s[4:5]
	s_and_saveexec_b64 s[4:5], vcc
	s_cbranch_execz .LBB243_252
.LBB243_251:
	v_mov_b32_e32 v7, 0x90
	v_lshl_add_u32 v6, v6, 2, v7
	ds_read_b32 v6, v6 offset:96
	s_waitcnt lgkmcnt(0)
	v_add_f32_e32 v5, v5, v6
.LBB243_252:
	s_or_b64 exec, exec, s[4:5]
.LBB243_253:
	s_or_b64 exec, exec, s[0:1]
	v_cmp_eq_u32_e32 vcc, 0, v1
	s_barrier
	s_and_saveexec_b64 s[0:1], vcc
	s_cbranch_execz .LBB243_255
; %bb.254:
	s_lshl_b32 s0, s2, 5
	s_ashr_i32 s1, s0, 31
	s_lshl_b64 s[0:1], s[0:1], 2
	s_add_u32 s2, s26, s0
	s_mul_i32 s0, s25, s24
	s_addc_u32 s3, s27, s1
	s_ashr_i32 s1, s0, 31
	s_lshl_b64 s[0:1], s[0:1], 2
	s_add_u32 s2, s2, s0
	s_addc_u32 s3, s3, s1
	s_lshl_b32 s0, s8, 5
	s_ashr_i32 s1, s0, 31
	s_lshl_b64 s[0:1], s[0:1], 2
	s_add_u32 s0, s2, s0
	s_addc_u32 s1, s3, s1
	v_lshrrev_b32_e32 v0, 1, v0
	global_store_dword v0, v2, s[0:1]
	global_store_dword v0, v3, s[0:1] offset:32
	global_store_dword v0, v4, s[0:1] offset:64
	;; [unrolled: 1-line block ×3, first 2 shown]
.LBB243_255:
	s_endpgm
.LBB243_256:
	v_mov_b32_e32 v7, 0x90
	v_lshl_add_u32 v7, v6, 2, v7
	ds_read_b32 v7, v7
	s_waitcnt lgkmcnt(0)
	v_add_f32_e32 v2, v2, v7
	s_or_b64 exec, exec, s[4:5]
	s_and_saveexec_b64 s[4:5], vcc
	s_cbranch_execz .LBB243_249
.LBB243_257:
	v_mov_b32_e32 v7, 0x90
	v_lshl_add_u32 v7, v6, 2, v7
	ds_read_b32 v7, v7 offset:32
	s_waitcnt lgkmcnt(0)
	v_add_f32_e32 v3, v3, v7
	s_or_b64 exec, exec, s[4:5]
	s_and_saveexec_b64 s[4:5], vcc
	s_cbranch_execz .LBB243_250
.LBB243_258:
	v_mov_b32_e32 v7, 0x90
	v_lshl_add_u32 v7, v6, 2, v7
	ds_read_b32 v7, v7 offset:64
	s_waitcnt lgkmcnt(0)
	v_add_f32_e32 v4, v4, v7
	s_or_b64 exec, exec, s[4:5]
	s_and_saveexec_b64 s[4:5], vcc
	s_cbranch_execnz .LBB243_251
	s_branch .LBB243_252
	.section	.rodata,"a",@progbits
	.p2align	6, 0x0
	.amdhsa_kernel _ZN4vllm25paged_attention_v2_kernelIfhLi32ELi32ELi128ELNS_18Fp8KVCacheDataTypeE1ELb0ELi512EEEvPfS2_PT_PKS3_PKT0_S9_ifPKiSB_iPKfiiiSD_SD_iiiii
		.amdhsa_group_segment_fixed_size 144
		.amdhsa_private_segment_fixed_size 0
		.amdhsa_kernarg_size 400
		.amdhsa_user_sgpr_count 6
		.amdhsa_user_sgpr_private_segment_buffer 1
		.amdhsa_user_sgpr_dispatch_ptr 0
		.amdhsa_user_sgpr_queue_ptr 0
		.amdhsa_user_sgpr_kernarg_segment_ptr 1
		.amdhsa_user_sgpr_dispatch_id 0
		.amdhsa_user_sgpr_flat_scratch_init 0
		.amdhsa_user_sgpr_kernarg_preload_length 0
		.amdhsa_user_sgpr_kernarg_preload_offset 0
		.amdhsa_user_sgpr_private_segment_size 0
		.amdhsa_uses_dynamic_stack 0
		.amdhsa_system_sgpr_private_segment_wavefront_offset 0
		.amdhsa_system_sgpr_workgroup_id_x 1
		.amdhsa_system_sgpr_workgroup_id_y 1
		.amdhsa_system_sgpr_workgroup_id_z 1
		.amdhsa_system_sgpr_workgroup_info 0
		.amdhsa_system_vgpr_workitem_id 0
		.amdhsa_next_free_vgpr 73
		.amdhsa_next_free_sgpr 56
		.amdhsa_accum_offset 76
		.amdhsa_reserve_vcc 1
		.amdhsa_reserve_flat_scratch 0
		.amdhsa_float_round_mode_32 0
		.amdhsa_float_round_mode_16_64 0
		.amdhsa_float_denorm_mode_32 3
		.amdhsa_float_denorm_mode_16_64 3
		.amdhsa_dx10_clamp 1
		.amdhsa_ieee_mode 1
		.amdhsa_fp16_overflow 0
		.amdhsa_tg_split 0
		.amdhsa_exception_fp_ieee_invalid_op 0
		.amdhsa_exception_fp_denorm_src 0
		.amdhsa_exception_fp_ieee_div_zero 0
		.amdhsa_exception_fp_ieee_overflow 0
		.amdhsa_exception_fp_ieee_underflow 0
		.amdhsa_exception_fp_ieee_inexact 0
		.amdhsa_exception_int_div_zero 0
	.end_amdhsa_kernel
	.section	.text._ZN4vllm25paged_attention_v2_kernelIfhLi32ELi32ELi128ELNS_18Fp8KVCacheDataTypeE1ELb0ELi512EEEvPfS2_PT_PKS3_PKT0_S9_ifPKiSB_iPKfiiiSD_SD_iiiii,"axG",@progbits,_ZN4vllm25paged_attention_v2_kernelIfhLi32ELi32ELi128ELNS_18Fp8KVCacheDataTypeE1ELb0ELi512EEEvPfS2_PT_PKS3_PKT0_S9_ifPKiSB_iPKfiiiSD_SD_iiiii,comdat
.Lfunc_end243:
	.size	_ZN4vllm25paged_attention_v2_kernelIfhLi32ELi32ELi128ELNS_18Fp8KVCacheDataTypeE1ELb0ELi512EEEvPfS2_PT_PKS3_PKT0_S9_ifPKiSB_iPKfiiiSD_SD_iiiii, .Lfunc_end243-_ZN4vllm25paged_attention_v2_kernelIfhLi32ELi32ELi128ELNS_18Fp8KVCacheDataTypeE1ELb0ELi512EEEvPfS2_PT_PKS3_PKT0_S9_ifPKiSB_iPKfiiiSD_SD_iiiii
                                        ; -- End function
	.section	.AMDGPU.csdata,"",@progbits
; Kernel info:
; codeLenInByte = 10216
; NumSgprs: 60
; NumVgprs: 73
; NumAgprs: 0
; TotalNumVgprs: 73
; ScratchSize: 0
; MemoryBound: 0
; FloatMode: 240
; IeeeMode: 1
; LDSByteSize: 144 bytes/workgroup (compile time only)
; SGPRBlocks: 7
; VGPRBlocks: 9
; NumSGPRsForWavesPerEU: 60
; NumVGPRsForWavesPerEU: 73
; AccumOffset: 76
; Occupancy: 6
; WaveLimiterHint : 1
; COMPUTE_PGM_RSRC2:SCRATCH_EN: 0
; COMPUTE_PGM_RSRC2:USER_SGPR: 6
; COMPUTE_PGM_RSRC2:TRAP_HANDLER: 0
; COMPUTE_PGM_RSRC2:TGID_X_EN: 1
; COMPUTE_PGM_RSRC2:TGID_Y_EN: 1
; COMPUTE_PGM_RSRC2:TGID_Z_EN: 1
; COMPUTE_PGM_RSRC2:TIDIG_COMP_CNT: 0
; COMPUTE_PGM_RSRC3_GFX90A:ACCUM_OFFSET: 18
; COMPUTE_PGM_RSRC3_GFX90A:TG_SPLIT: 0
	.section	.text._ZN4vllm25paged_attention_v2_kernelIfhLi64ELi32ELi128ELNS_18Fp8KVCacheDataTypeE1ELb0ELi512EEEvPfS2_PT_PKS3_PKT0_S9_ifPKiSB_iPKfiiiSD_SD_iiiii,"axG",@progbits,_ZN4vllm25paged_attention_v2_kernelIfhLi64ELi32ELi128ELNS_18Fp8KVCacheDataTypeE1ELb0ELi512EEEvPfS2_PT_PKS3_PKT0_S9_ifPKiSB_iPKfiiiSD_SD_iiiii,comdat
	.protected	_ZN4vllm25paged_attention_v2_kernelIfhLi64ELi32ELi128ELNS_18Fp8KVCacheDataTypeE1ELb0ELi512EEEvPfS2_PT_PKS3_PKT0_S9_ifPKiSB_iPKfiiiSD_SD_iiiii ; -- Begin function _ZN4vllm25paged_attention_v2_kernelIfhLi64ELi32ELi128ELNS_18Fp8KVCacheDataTypeE1ELb0ELi512EEEvPfS2_PT_PKS3_PKT0_S9_ifPKiSB_iPKfiiiSD_SD_iiiii
	.globl	_ZN4vllm25paged_attention_v2_kernelIfhLi64ELi32ELi128ELNS_18Fp8KVCacheDataTypeE1ELb0ELi512EEEvPfS2_PT_PKS3_PKT0_S9_ifPKiSB_iPKfiiiSD_SD_iiiii
	.p2align	8
	.type	_ZN4vllm25paged_attention_v2_kernelIfhLi64ELi32ELi128ELNS_18Fp8KVCacheDataTypeE1ELb0ELi512EEEvPfS2_PT_PKS3_PKT0_S9_ifPKiSB_iPKfiiiSD_SD_iiiii,@function
_ZN4vllm25paged_attention_v2_kernelIfhLi64ELi32ELi128ELNS_18Fp8KVCacheDataTypeE1ELb0ELi512EEEvPfS2_PT_PKS3_PKT0_S9_ifPKiSB_iPKfiiiSD_SD_iiiii: ; @_ZN4vllm25paged_attention_v2_kernelIfhLi64ELi32ELi128ELNS_18Fp8KVCacheDataTypeE1ELb0ELi512EEEvPfS2_PT_PKS3_PKT0_S9_ifPKiSB_iPKfiiiSD_SD_iiiii
; %bb.0:
	s_load_dwordx2 s[0:1], s[4:5], 0x40
	s_mov_b32 s28, s7
	s_ashr_i32 s29, s7, 31
	s_lshl_b64 s[2:3], s[28:29], 2
	s_waitcnt lgkmcnt(0)
	s_add_u32 s0, s0, s2
	s_addc_u32 s1, s1, s3
	s_load_dword s29, s[0:1], 0x0
	s_lshl_b32 s50, s8, 9
	s_waitcnt lgkmcnt(0)
	s_cmp_ge_i32 s50, s29
	s_cbranch_scc1 .LBB244_459
; %bb.1:
	s_load_dword s9, s[4:5], 0x90
	s_load_dwordx2 s[10:11], s[4:5], 0x30
	s_mov_b32 s51, 0
	s_waitcnt lgkmcnt(0)
	s_abs_i32 s2, s9
	s_abs_i32 s0, s10
	v_cvt_f32_u32_e32 v1, s0
	s_sub_i32 s3, 0, s0
	s_xor_b32 s1, s9, s10
	s_ashr_i32 s1, s1, 31
	v_rcp_iflag_f32_e32 v1, v1
	v_mul_f32_e32 v1, 0x4f7ffffe, v1
	v_cvt_u32_f32_e32 v1, v1
	v_readfirstlane_b32 s7, v1
	s_mul_i32 s3, s3, s7
	s_mul_hi_u32 s3, s7, s3
	s_add_i32 s7, s7, s3
	s_mul_hi_u32 s3, s2, s7
	s_mul_i32 s7, s3, s0
	s_sub_i32 s2, s2, s7
	s_add_i32 s10, s3, 1
	s_sub_i32 s7, s2, s0
	s_cmp_ge_u32 s2, s0
	s_cselect_b32 s3, s10, s3
	s_cselect_b32 s2, s7, s2
	s_add_i32 s7, s3, 1
	s_cmp_ge_u32 s2, s0
	s_cselect_b32 s0, s7, s3
	s_xor_b32 s0, s0, s1
	s_sub_i32 s10, s0, s1
	s_abs_i32 s2, s10
	v_cvt_f32_u32_e32 v1, s2
	s_load_dwordx2 s[0:1], s[4:5], 0x50
	s_sub_i32 s7, 0, s2
	s_abs_i32 s3, s6
	v_rcp_iflag_f32_e32 v1, v1
	v_mul_f32_e32 v1, 0x4f7ffffe, v1
	v_cvt_u32_f32_e32 v1, v1
	v_readfirstlane_b32 s12, v1
	s_mul_i32 s7, s7, s12
	s_mul_hi_u32 s7, s12, s7
	s_add_i32 s12, s12, s7
	s_waitcnt lgkmcnt(0)
	s_cmp_eq_u64 s[0:1], 0
	s_mul_hi_u32 s16, s3, s12
	s_cbranch_scc1 .LBB244_3
; %bb.2:
	s_ashr_i32 s7, s6, 31
	s_lshl_b64 s[12:13], s[6:7], 2
	s_add_u32 s0, s0, s12
	s_addc_u32 s1, s1, s13
	s_load_dword s51, s[0:1], 0x0
.LBB244_3:
	s_load_dwordx4 s[12:15], s[4:5], 0x58
	s_ashr_i32 s17, s6, 31
	s_ashr_i32 s18, s10, 31
	v_and_b32_e32 v36, 1, v0
	s_lshl_b32 s24, s6, 6
	v_cmp_gt_u32_e32 vcc, 32, v0
	v_lshlrev_b32_e32 v41, 2, v0
	s_and_saveexec_b64 s[0:1], vcc
	s_cbranch_execz .LBB244_5
; %bb.4:
	s_load_dwordx2 s[20:21], s[4:5], 0x18
	s_waitcnt lgkmcnt(0)
	s_mul_i32 s22, s28, s12
	s_ashr_i32 s23, s22, 31
	s_lshl_b64 s[22:23], s[22:23], 2
	v_lshlrev_b32_e32 v1, 3, v0
	s_add_u32 s7, s20, s22
	s_addc_u32 s10, s21, s23
	s_ashr_i32 s25, s24, 31
	s_lshl_b64 s[20:21], s[24:25], 2
	s_add_u32 s20, s7, s20
	s_addc_u32 s21, s10, s21
	global_load_dwordx2 v[2:3], v1, s[20:21]
	v_and_b32_e32 v1, 0xff8, v41
	v_lshl_add_u32 v1, v36, 7, v1
	s_waitcnt vmcnt(0)
	ds_write_b64 v1, v[2:3]
.LBB244_5:
	s_or_b64 exec, exec, s[0:1]
	s_add_i32 s0, s29, 31
	s_ashr_i32 s1, s0, 31
	s_lshr_b32 s1, s1, 27
	s_add_i32 s0, s0, s1
	s_lshl_b32 s10, s8, 4
	s_mul_i32 s1, s16, s2
	s_ashr_i32 s7, s0, 5
	s_add_i32 s0, s10, 16
	s_sub_i32 s1, s3, s1
	s_min_i32 s33, s0, s7
	s_xor_b32 s0, s17, s18
	s_add_i32 s3, s16, 1
	s_waitcnt lgkmcnt(0)
	s_sub_i32 s12, s1, s2
	s_cmp_ge_u32 s1, s2
	s_cselect_b32 s3, s3, s16
	s_cselect_b32 s1, s12, s1
	s_add_i32 s12, s3, 1
	s_cmp_ge_u32 s1, s2
	s_load_dwordx2 s[30:31], s[4:5], 0x38
	s_load_dword s2, s[4:5], 0x48
	v_lshrrev_b32_e32 v109, 6, v0
	s_cselect_b32 s1, s12, s3
	s_xor_b32 s1, s1, s0
	v_or_b32_e32 v34, s10, v109
	s_waitcnt lgkmcnt(0)
	s_mul_i32 s34, s28, s2
	s_sub_i32 s12, s1, s0
	s_ashr_i32 s35, s34, 31
	v_cmp_gt_i32_e64 s[0:1], s33, v34
	v_cmp_le_i32_e32 vcc, s33, v34
	v_mbcnt_lo_u32_b32 v42, -1, 0
	s_barrier
	s_waitcnt lgkmcnt(0)
                                        ; implicit-def: $sgpr15
                                        ; implicit-def: $vgpr110
                                        ; implicit-def: $vgpr111
	s_and_saveexec_b64 s[2:3], vcc
	s_xor_b64 s[2:3], exec, s[2:3]
; %bb.6:
	v_mbcnt_hi_u32_b32 v110, -1, v42
	v_and_b32_e32 v1, 64, v110
	v_add_u32_e32 v111, 64, v1
	s_mov_b32 s15, 0xff7fffff
                                        ; implicit-def: $vgpr36
                                        ; implicit-def: $vgpr42
; %bb.7:
	s_or_saveexec_b64 s[38:39], s[2:3]
	s_load_dwordx4 s[20:23], s[4:5], 0x0
	s_load_dwordx2 s[26:27], s[4:5], 0x10
	s_load_dword s25, s[4:5], 0x98
	s_load_dwordx2 s[36:37], s[4:5], 0x28
	s_load_dwordx4 s[16:19], s[4:5], 0x68
	v_mov_b32_e32 v1, s15
	s_mul_i32 s12, s12, s14
	v_ashrrev_i32_e32 v35, 31, v34
	s_xor_b64 exec, exec, s[38:39]
	s_cbranch_execz .LBB244_205
; %bb.8:
	s_load_dwordx2 s[2:3], s[4:5], 0x20
	s_ashr_i32 s4, s12, 31
	v_bfe_u32 v1, v0, 1, 5
	v_lshlrev_b32_e32 v2, 4, v1
	v_lshlrev_b32_e32 v30, 7, v36
	s_waitcnt lgkmcnt(0)
	s_add_u32 s2, s2, s12
	s_addc_u32 s3, s3, s4
	v_mov_b32_e32 v3, s3
	v_add_co_u32_e32 v38, vcc, s2, v2
	v_addc_co_u32_e32 v39, vcc, 0, v3, vcc
	ds_read_b128 v[2:5], v30
	ds_read_b128 v[6:9], v30 offset:16
	ds_read_b128 v[10:13], v30 offset:32
	ds_read_b128 v[14:17], v30 offset:48
	ds_read_b128 v[18:21], v30 offset:64
	ds_read_b128 v[22:25], v30 offset:80
	ds_read_b128 v[26:29], v30 offset:96
	ds_read_b128 v[30:33], v30 offset:112
	v_mbcnt_hi_u32_b32 v110, -1, v42
	v_and_b32_e32 v43, 64, v110
	v_xor_b32_e32 v42, 1, v110
	v_add_u32_e32 v111, 64, v43
	s_load_dword s16, s[16:17], 0x0
	v_lshlrev_b32_e32 v40, 1, v36
	v_cmp_lt_i32_e32 vcc, v42, v111
	v_cmp_eq_u32_e64 s[2:3], 0, v36
	s_sub_i32 s53, 1, s29
	v_lshlrev_b32_e32 v36, 5, v109
	s_lshl_b64 s[40:41], s[34:35], 2
	v_cndmask_b32_e32 v42, v110, v42, vcc
	v_add3_u32 v113, s50, v36, v1
	v_lshlrev_b32_e32 v1, 2, v1
	s_add_u32 s40, s30, s40
	v_lshlrev_b32_e32 v112, 2, v42
	v_lshl_or_b32 v1, v109, 7, v1
	v_lshlrev_b64 v[42:43], 2, v[34:35]
	s_addc_u32 s41, s31, s41
	s_mov_b32 s14, 0
	v_add_u32_e32 v114, 0x110, v1
	v_mov_b32_e32 v1, s41
	v_add_co_u32_e32 v42, vcc, s40, v42
	s_mov_b32 s52, s13
	s_brev_b32 s15, 1
	v_mov_b32_e32 v37, 0
	v_cmp_neq_f32_e64 s[4:5], s51, 0
	s_waitcnt lgkmcnt(0)
	s_mov_b32 s17, s16
	v_addc_co_u32_e32 v43, vcc, v1, v43, vcc
	s_mov_b64 s[40:41], 0
	v_mov_b32_e32 v1, 0xff7fffff
	s_movk_i32 s54, 0x80
	s_movk_i32 s55, 0x7f
	s_mov_b32 s43, 0x7f800001
	v_bfrev_b32_e32 v115, 60
	v_mov_b32_e32 v116, 7
	v_mov_b32_e32 v117, v34
	s_branch .LBB244_10
.LBB244_9:                              ;   in Loop: Header=BB244_10 Depth=1
	s_or_b64 exec, exec, s[44:45]
	v_add_u32_e32 v117, 2, v117
	v_cmp_le_i32_e32 vcc, s33, v117
	s_or_b64 s[40:41], vcc, s[40:41]
	v_add_co_u32_e32 v42, vcc, 8, v42
	v_add_u32_e32 v113, 64, v113
	v_add_u32_e32 v114, 0x100, v114
	v_addc_co_u32_e32 v43, vcc, 0, v43, vcc
	s_andn2_b64 exec, exec, s[40:41]
	s_cbranch_execz .LBB244_204
.LBB244_10:                             ; =>This Inner Loop Header: Depth=1
	global_load_dword v36, v[42:43], off
	s_waitcnt vmcnt(0) lgkmcnt(0)
	v_mad_i64_i32 v[44:45], s[44:45], v36, s52, v[38:39]
	v_add_co_u32_e32 v56, vcc, v44, v40
	v_addc_co_u32_e32 v57, vcc, 0, v45, vcc
	global_load_ushort v36, v[56:57], off
	v_pk_mov_b32 v[44:45], 0, 0
	v_pk_mov_b32 v[46:47], v[44:45], v[44:45] op_sel:[0,1]
	s_waitcnt vmcnt(0)
	v_and_b32_e32 v48, 0xffff, v36
	v_cmp_ne_u16_sdwa s[46:47], v36, v37 src0_sel:BYTE_0 src1_sel:DWORD
	s_and_saveexec_b64 s[44:45], s[46:47]
	s_cbranch_execz .LBB244_16
; %bb.11:                               ;   in Loop: Header=BB244_10 Depth=1
	v_bfrev_b32_e32 v46, 1
	v_cmp_ne_u16_sdwa s[48:49], v48, s54 src0_sel:BYTE_0 src1_sel:DWORD
	v_mov_b32_e32 v47, 0
	s_and_saveexec_b64 s[46:47], s[48:49]
	s_cbranch_execz .LBB244_15
; %bb.12:                               ;   in Loop: Header=BB244_10 Depth=1
	v_and_b32_e32 v36, 0x7f, v48
	v_mov_b32_e32 v46, 0x7f800001
	v_cmp_ne_u32_e32 vcc, s55, v36
	v_mov_b32_e32 v47, 0
	s_and_saveexec_b64 s[48:49], vcc
	s_cbranch_execz .LBB244_14
; %bb.13:                               ;   in Loop: Header=BB244_10 Depth=1
	v_and_b32_e32 v49, 7, v48
	v_ffbh_u32_e32 v46, v49
	v_min_u32_e32 v51, 32, v46
	v_subrev_u32_e32 v46, 28, v51
	v_lshlrev_b64 v[46:47], v46, v[48:49]
	v_lshrrev_b32_e32 v50, 3, v36
	v_sub_u32_e32 v47, 29, v51
	v_and_b32_e32 v46, 7, v46
	v_cmp_gt_u32_e32 vcc, 8, v36
	v_cndmask_b32_e32 v36, v50, v47, vcc
	v_cndmask_b32_e32 v46, v49, v46, vcc
	v_lshlrev_b32_e32 v46, 20, v46
	v_and_b32_sdwa v47, sext(v48), s15 dst_sel:DWORD dst_unused:UNUSED_PAD src0_sel:BYTE_0 src1_sel:DWORD
	v_lshl_add_u32 v36, v36, 23, v115
	v_or3_b32 v36, v47, v36, v46
	v_pk_mov_b32 v[46:47], v[36:37], v[36:37] op_sel:[0,1]
.LBB244_14:                             ;   in Loop: Header=BB244_10 Depth=1
	s_or_b64 exec, exec, s[48:49]
.LBB244_15:                             ;   in Loop: Header=BB244_10 Depth=1
	s_or_b64 exec, exec, s[46:47]
.LBB244_16:                             ;   in Loop: Header=BB244_10 Depth=1
	s_or_b64 exec, exec, s[44:45]
	v_cmp_ne_u16_sdwa s[46:47], v48, v37 src0_sel:BYTE_1 src1_sel:DWORD
	s_and_saveexec_b64 s[44:45], s[46:47]
	s_cbranch_execz .LBB244_22
; %bb.17:                               ;   in Loop: Header=BB244_10 Depth=1
	v_cmp_ne_u16_sdwa s[48:49], v48, s54 src0_sel:BYTE_1 src1_sel:DWORD
	v_pk_mov_b32 v[44:45], s[14:15], s[14:15] op_sel:[0,1]
	s_and_saveexec_b64 s[46:47], s[48:49]
	s_cbranch_execz .LBB244_21
; %bb.18:                               ;   in Loop: Header=BB244_10 Depth=1
	v_and_b32_sdwa v49, v48, s55 dst_sel:DWORD dst_unused:UNUSED_PAD src0_sel:BYTE_1 src1_sel:DWORD
	s_mov_b32 s42, s14
	v_cmp_ne_u32_e32 vcc, s55, v49
	v_pk_mov_b32 v[44:45], s[42:43], s[42:43] op_sel:[0,1]
	s_and_saveexec_b64 s[48:49], vcc
	s_cbranch_execz .LBB244_20
; %bb.19:                               ;   in Loop: Header=BB244_10 Depth=1
	v_and_b32_sdwa v36, v48, v116 dst_sel:DWORD dst_unused:UNUSED_PAD src0_sel:BYTE_1 src1_sel:DWORD
	v_ffbh_u32_e32 v44, v36
	v_min_u32_e32 v51, 32, v44
	v_subrev_u32_e32 v44, 28, v51
	v_lshlrev_b64 v[44:45], v44, v[36:37]
	v_lshrrev_b32_e32 v50, 3, v49
	v_sub_u32_e32 v45, 29, v51
	v_cmp_gt_u32_e32 vcc, 8, v49
	v_and_b32_e32 v44, 7, v44
	v_cndmask_b32_e32 v45, v50, v45, vcc
	v_cndmask_b32_e32 v36, v36, v44, vcc
	v_lshlrev_b32_e32 v44, 16, v48
	v_lshl_add_u32 v45, v45, 23, v115
	v_and_or_b32 v44, v44, s15, v45
	v_lshlrev_b32_e32 v36, 20, v36
	v_or_b32_e32 v45, v44, v36
	v_mov_b32_e32 v44, v37
.LBB244_20:                             ;   in Loop: Header=BB244_10 Depth=1
	s_or_b64 exec, exec, s[48:49]
.LBB244_21:                             ;   in Loop: Header=BB244_10 Depth=1
	s_or_b64 exec, exec, s[46:47]
.LBB244_22:                             ;   in Loop: Header=BB244_10 Depth=1
	s_or_b64 exec, exec, s[44:45]
	global_load_ushort v36, v[56:57], off offset:4
	v_pk_mov_b32 v[48:49], 0, 0
	v_pk_mov_b32 v[50:51], v[48:49], v[48:49] op_sel:[0,1]
	s_waitcnt vmcnt(0)
	v_and_b32_e32 v52, 0xffff, v36
	v_cmp_ne_u16_sdwa s[46:47], v36, v37 src0_sel:BYTE_0 src1_sel:DWORD
	s_and_saveexec_b64 s[44:45], s[46:47]
	s_cbranch_execz .LBB244_28
; %bb.23:                               ;   in Loop: Header=BB244_10 Depth=1
	v_bfrev_b32_e32 v50, 1
	v_cmp_ne_u16_sdwa s[48:49], v52, s54 src0_sel:BYTE_0 src1_sel:DWORD
	v_mov_b32_e32 v51, 0
	s_and_saveexec_b64 s[46:47], s[48:49]
	s_cbranch_execz .LBB244_27
; %bb.24:                               ;   in Loop: Header=BB244_10 Depth=1
	v_and_b32_e32 v36, 0x7f, v52
	v_mov_b32_e32 v50, 0x7f800001
	v_cmp_ne_u32_e32 vcc, s55, v36
	v_mov_b32_e32 v51, 0
	s_and_saveexec_b64 s[48:49], vcc
	s_cbranch_execz .LBB244_26
; %bb.25:                               ;   in Loop: Header=BB244_10 Depth=1
	v_and_b32_e32 v53, 7, v52
	v_ffbh_u32_e32 v50, v53
	v_min_u32_e32 v55, 32, v50
	v_subrev_u32_e32 v50, 28, v55
	v_lshlrev_b64 v[50:51], v50, v[52:53]
	v_lshrrev_b32_e32 v54, 3, v36
	v_sub_u32_e32 v51, 29, v55
	v_and_b32_e32 v50, 7, v50
	v_cmp_gt_u32_e32 vcc, 8, v36
	v_cndmask_b32_e32 v36, v54, v51, vcc
	v_cndmask_b32_e32 v50, v53, v50, vcc
	v_lshlrev_b32_e32 v50, 20, v50
	v_and_b32_sdwa v51, sext(v52), s15 dst_sel:DWORD dst_unused:UNUSED_PAD src0_sel:BYTE_0 src1_sel:DWORD
	v_lshl_add_u32 v36, v36, 23, v115
	v_or3_b32 v36, v51, v36, v50
	v_pk_mov_b32 v[50:51], v[36:37], v[36:37] op_sel:[0,1]
.LBB244_26:                             ;   in Loop: Header=BB244_10 Depth=1
	s_or_b64 exec, exec, s[48:49]
.LBB244_27:                             ;   in Loop: Header=BB244_10 Depth=1
	s_or_b64 exec, exec, s[46:47]
.LBB244_28:                             ;   in Loop: Header=BB244_10 Depth=1
	s_or_b64 exec, exec, s[44:45]
	v_cmp_ne_u16_sdwa s[46:47], v52, v37 src0_sel:BYTE_1 src1_sel:DWORD
	s_and_saveexec_b64 s[44:45], s[46:47]
	s_cbranch_execz .LBB244_34
; %bb.29:                               ;   in Loop: Header=BB244_10 Depth=1
	v_cmp_ne_u16_sdwa s[48:49], v52, s54 src0_sel:BYTE_1 src1_sel:DWORD
	v_pk_mov_b32 v[48:49], s[14:15], s[14:15] op_sel:[0,1]
	s_and_saveexec_b64 s[46:47], s[48:49]
	s_cbranch_execz .LBB244_33
; %bb.30:                               ;   in Loop: Header=BB244_10 Depth=1
	v_and_b32_sdwa v53, v52, s55 dst_sel:DWORD dst_unused:UNUSED_PAD src0_sel:BYTE_1 src1_sel:DWORD
	s_mov_b32 s42, s14
	v_cmp_ne_u32_e32 vcc, s55, v53
	v_pk_mov_b32 v[48:49], s[42:43], s[42:43] op_sel:[0,1]
	s_and_saveexec_b64 s[48:49], vcc
	s_cbranch_execz .LBB244_32
; %bb.31:                               ;   in Loop: Header=BB244_10 Depth=1
	v_and_b32_sdwa v36, v52, v116 dst_sel:DWORD dst_unused:UNUSED_PAD src0_sel:BYTE_1 src1_sel:DWORD
	v_ffbh_u32_e32 v48, v36
	v_min_u32_e32 v55, 32, v48
	v_subrev_u32_e32 v48, 28, v55
	v_lshlrev_b64 v[48:49], v48, v[36:37]
	v_lshrrev_b32_e32 v54, 3, v53
	v_sub_u32_e32 v49, 29, v55
	v_cmp_gt_u32_e32 vcc, 8, v53
	v_and_b32_e32 v48, 7, v48
	v_cndmask_b32_e32 v49, v54, v49, vcc
	v_cndmask_b32_e32 v36, v36, v48, vcc
	v_lshlrev_b32_e32 v48, 16, v52
	v_lshl_add_u32 v49, v49, 23, v115
	v_and_or_b32 v48, v48, s15, v49
	v_lshlrev_b32_e32 v36, 20, v36
	v_or_b32_e32 v49, v48, v36
	v_mov_b32_e32 v48, v37
.LBB244_32:                             ;   in Loop: Header=BB244_10 Depth=1
	s_or_b64 exec, exec, s[48:49]
.LBB244_33:                             ;   in Loop: Header=BB244_10 Depth=1
	s_or_b64 exec, exec, s[46:47]
.LBB244_34:                             ;   in Loop: Header=BB244_10 Depth=1
	s_or_b64 exec, exec, s[44:45]
	global_load_ushort v36, v[56:57], off offset:8
	v_pk_mov_b32 v[52:53], 0, 0
	v_pk_mov_b32 v[54:55], v[52:53], v[52:53] op_sel:[0,1]
	s_waitcnt vmcnt(0)
	v_and_b32_e32 v58, 0xffff, v36
	v_cmp_ne_u16_sdwa s[46:47], v36, v37 src0_sel:BYTE_0 src1_sel:DWORD
	s_and_saveexec_b64 s[44:45], s[46:47]
	s_cbranch_execz .LBB244_40
; %bb.35:                               ;   in Loop: Header=BB244_10 Depth=1
	v_bfrev_b32_e32 v54, 1
	v_cmp_ne_u16_sdwa s[48:49], v58, s54 src0_sel:BYTE_0 src1_sel:DWORD
	v_mov_b32_e32 v55, 0
	s_and_saveexec_b64 s[46:47], s[48:49]
	s_cbranch_execz .LBB244_39
; %bb.36:                               ;   in Loop: Header=BB244_10 Depth=1
	v_and_b32_e32 v36, 0x7f, v58
	v_mov_b32_e32 v54, 0x7f800001
	v_cmp_ne_u32_e32 vcc, s55, v36
	v_mov_b32_e32 v55, 0
	s_and_saveexec_b64 s[48:49], vcc
	s_cbranch_execz .LBB244_38
; %bb.37:                               ;   in Loop: Header=BB244_10 Depth=1
	v_and_b32_e32 v59, 7, v58
	v_ffbh_u32_e32 v54, v59
	v_min_u32_e32 v61, 32, v54
	v_subrev_u32_e32 v54, 28, v61
	v_lshlrev_b64 v[54:55], v54, v[58:59]
	v_lshrrev_b32_e32 v60, 3, v36
	v_sub_u32_e32 v55, 29, v61
	v_and_b32_e32 v54, 7, v54
	v_cmp_gt_u32_e32 vcc, 8, v36
	v_cndmask_b32_e32 v36, v60, v55, vcc
	v_cndmask_b32_e32 v54, v59, v54, vcc
	v_lshlrev_b32_e32 v54, 20, v54
	v_and_b32_sdwa v55, sext(v58), s15 dst_sel:DWORD dst_unused:UNUSED_PAD src0_sel:BYTE_0 src1_sel:DWORD
	v_lshl_add_u32 v36, v36, 23, v115
	v_or3_b32 v36, v55, v36, v54
	v_pk_mov_b32 v[54:55], v[36:37], v[36:37] op_sel:[0,1]
.LBB244_38:                             ;   in Loop: Header=BB244_10 Depth=1
	s_or_b64 exec, exec, s[48:49]
.LBB244_39:                             ;   in Loop: Header=BB244_10 Depth=1
	s_or_b64 exec, exec, s[46:47]
.LBB244_40:                             ;   in Loop: Header=BB244_10 Depth=1
	s_or_b64 exec, exec, s[44:45]
	v_cmp_ne_u16_sdwa s[46:47], v58, v37 src0_sel:BYTE_1 src1_sel:DWORD
	s_and_saveexec_b64 s[44:45], s[46:47]
	s_cbranch_execz .LBB244_46
; %bb.41:                               ;   in Loop: Header=BB244_10 Depth=1
	v_cmp_ne_u16_sdwa s[48:49], v58, s54 src0_sel:BYTE_1 src1_sel:DWORD
	v_pk_mov_b32 v[52:53], s[14:15], s[14:15] op_sel:[0,1]
	s_and_saveexec_b64 s[46:47], s[48:49]
	s_cbranch_execz .LBB244_45
; %bb.42:                               ;   in Loop: Header=BB244_10 Depth=1
	v_and_b32_sdwa v59, v58, s55 dst_sel:DWORD dst_unused:UNUSED_PAD src0_sel:BYTE_1 src1_sel:DWORD
	s_mov_b32 s42, s14
	v_cmp_ne_u32_e32 vcc, s55, v59
	v_pk_mov_b32 v[52:53], s[42:43], s[42:43] op_sel:[0,1]
	s_and_saveexec_b64 s[48:49], vcc
	s_cbranch_execz .LBB244_44
; %bb.43:                               ;   in Loop: Header=BB244_10 Depth=1
	v_and_b32_sdwa v36, v58, v116 dst_sel:DWORD dst_unused:UNUSED_PAD src0_sel:BYTE_1 src1_sel:DWORD
	v_ffbh_u32_e32 v52, v36
	v_min_u32_e32 v61, 32, v52
	v_subrev_u32_e32 v52, 28, v61
	v_lshlrev_b64 v[52:53], v52, v[36:37]
	v_lshrrev_b32_e32 v60, 3, v59
	v_sub_u32_e32 v53, 29, v61
	v_cmp_gt_u32_e32 vcc, 8, v59
	v_and_b32_e32 v52, 7, v52
	v_cndmask_b32_e32 v53, v60, v53, vcc
	v_cndmask_b32_e32 v36, v36, v52, vcc
	v_lshlrev_b32_e32 v52, 16, v58
	v_lshl_add_u32 v53, v53, 23, v115
	v_and_or_b32 v52, v52, s15, v53
	v_lshlrev_b32_e32 v36, 20, v36
	v_or_b32_e32 v53, v52, v36
	v_mov_b32_e32 v52, v37
.LBB244_44:                             ;   in Loop: Header=BB244_10 Depth=1
	s_or_b64 exec, exec, s[48:49]
.LBB244_45:                             ;   in Loop: Header=BB244_10 Depth=1
	s_or_b64 exec, exec, s[46:47]
.LBB244_46:                             ;   in Loop: Header=BB244_10 Depth=1
	s_or_b64 exec, exec, s[44:45]
	global_load_ushort v36, v[56:57], off offset:12
	v_pk_mov_b32 v[58:59], 0, 0
	v_pk_mov_b32 v[60:61], v[58:59], v[58:59] op_sel:[0,1]
	s_waitcnt vmcnt(0)
	v_and_b32_e32 v62, 0xffff, v36
	v_cmp_ne_u16_sdwa s[46:47], v36, v37 src0_sel:BYTE_0 src1_sel:DWORD
	s_and_saveexec_b64 s[44:45], s[46:47]
	s_cbranch_execz .LBB244_52
; %bb.47:                               ;   in Loop: Header=BB244_10 Depth=1
	v_bfrev_b32_e32 v60, 1
	v_cmp_ne_u16_sdwa s[48:49], v62, s54 src0_sel:BYTE_0 src1_sel:DWORD
	v_mov_b32_e32 v61, 0
	s_and_saveexec_b64 s[46:47], s[48:49]
	s_cbranch_execz .LBB244_51
; %bb.48:                               ;   in Loop: Header=BB244_10 Depth=1
	v_and_b32_e32 v36, 0x7f, v62
	v_mov_b32_e32 v60, 0x7f800001
	v_cmp_ne_u32_e32 vcc, s55, v36
	v_mov_b32_e32 v61, 0
	s_and_saveexec_b64 s[48:49], vcc
	s_cbranch_execz .LBB244_50
; %bb.49:                               ;   in Loop: Header=BB244_10 Depth=1
	v_and_b32_e32 v63, 7, v62
	v_ffbh_u32_e32 v60, v63
	v_min_u32_e32 v65, 32, v60
	v_subrev_u32_e32 v60, 28, v65
	v_lshlrev_b64 v[60:61], v60, v[62:63]
	v_lshrrev_b32_e32 v64, 3, v36
	v_sub_u32_e32 v61, 29, v65
	v_and_b32_e32 v60, 7, v60
	v_cmp_gt_u32_e32 vcc, 8, v36
	v_cndmask_b32_e32 v36, v64, v61, vcc
	v_cndmask_b32_e32 v60, v63, v60, vcc
	v_lshlrev_b32_e32 v60, 20, v60
	v_and_b32_sdwa v61, sext(v62), s15 dst_sel:DWORD dst_unused:UNUSED_PAD src0_sel:BYTE_0 src1_sel:DWORD
	v_lshl_add_u32 v36, v36, 23, v115
	v_or3_b32 v36, v61, v36, v60
	v_pk_mov_b32 v[60:61], v[36:37], v[36:37] op_sel:[0,1]
.LBB244_50:                             ;   in Loop: Header=BB244_10 Depth=1
	s_or_b64 exec, exec, s[48:49]
.LBB244_51:                             ;   in Loop: Header=BB244_10 Depth=1
	s_or_b64 exec, exec, s[46:47]
.LBB244_52:                             ;   in Loop: Header=BB244_10 Depth=1
	s_or_b64 exec, exec, s[44:45]
	v_cmp_ne_u16_sdwa s[46:47], v62, v37 src0_sel:BYTE_1 src1_sel:DWORD
	s_and_saveexec_b64 s[44:45], s[46:47]
	s_cbranch_execz .LBB244_58
; %bb.53:                               ;   in Loop: Header=BB244_10 Depth=1
	v_cmp_ne_u16_sdwa s[48:49], v62, s54 src0_sel:BYTE_1 src1_sel:DWORD
	v_pk_mov_b32 v[58:59], s[14:15], s[14:15] op_sel:[0,1]
	s_and_saveexec_b64 s[46:47], s[48:49]
	s_cbranch_execz .LBB244_57
; %bb.54:                               ;   in Loop: Header=BB244_10 Depth=1
	v_and_b32_sdwa v63, v62, s55 dst_sel:DWORD dst_unused:UNUSED_PAD src0_sel:BYTE_1 src1_sel:DWORD
	s_mov_b32 s42, s14
	v_cmp_ne_u32_e32 vcc, s55, v63
	v_pk_mov_b32 v[58:59], s[42:43], s[42:43] op_sel:[0,1]
	s_and_saveexec_b64 s[48:49], vcc
	s_cbranch_execz .LBB244_56
; %bb.55:                               ;   in Loop: Header=BB244_10 Depth=1
	v_and_b32_sdwa v36, v62, v116 dst_sel:DWORD dst_unused:UNUSED_PAD src0_sel:BYTE_1 src1_sel:DWORD
	v_ffbh_u32_e32 v58, v36
	v_min_u32_e32 v65, 32, v58
	v_subrev_u32_e32 v58, 28, v65
	v_lshlrev_b64 v[58:59], v58, v[36:37]
	v_lshrrev_b32_e32 v64, 3, v63
	v_sub_u32_e32 v59, 29, v65
	v_cmp_gt_u32_e32 vcc, 8, v63
	v_and_b32_e32 v58, 7, v58
	v_cndmask_b32_e32 v59, v64, v59, vcc
	v_cndmask_b32_e32 v36, v36, v58, vcc
	v_lshlrev_b32_e32 v58, 16, v62
	v_lshl_add_u32 v59, v59, 23, v115
	v_and_or_b32 v58, v58, s15, v59
	v_lshlrev_b32_e32 v36, 20, v36
	v_or_b32_e32 v59, v58, v36
	v_mov_b32_e32 v58, v37
.LBB244_56:                             ;   in Loop: Header=BB244_10 Depth=1
	s_or_b64 exec, exec, s[48:49]
.LBB244_57:                             ;   in Loop: Header=BB244_10 Depth=1
	s_or_b64 exec, exec, s[46:47]
.LBB244_58:                             ;   in Loop: Header=BB244_10 Depth=1
	s_or_b64 exec, exec, s[44:45]
	global_load_ushort v36, v[56:57], off offset:512
	v_pk_mov_b32 v[62:63], 0, 0
	v_pk_mov_b32 v[64:65], v[62:63], v[62:63] op_sel:[0,1]
	s_waitcnt vmcnt(0)
	v_and_b32_e32 v66, 0xffff, v36
	v_cmp_ne_u16_sdwa s[46:47], v36, v37 src0_sel:BYTE_0 src1_sel:DWORD
	s_and_saveexec_b64 s[44:45], s[46:47]
	s_cbranch_execz .LBB244_64
; %bb.59:                               ;   in Loop: Header=BB244_10 Depth=1
	v_bfrev_b32_e32 v64, 1
	v_cmp_ne_u16_sdwa s[48:49], v66, s54 src0_sel:BYTE_0 src1_sel:DWORD
	v_mov_b32_e32 v65, 0
	s_and_saveexec_b64 s[46:47], s[48:49]
	s_cbranch_execz .LBB244_63
; %bb.60:                               ;   in Loop: Header=BB244_10 Depth=1
	v_and_b32_e32 v36, 0x7f, v66
	v_mov_b32_e32 v64, 0x7f800001
	v_cmp_ne_u32_e32 vcc, s55, v36
	v_mov_b32_e32 v65, 0
	s_and_saveexec_b64 s[48:49], vcc
	s_cbranch_execz .LBB244_62
; %bb.61:                               ;   in Loop: Header=BB244_10 Depth=1
	v_and_b32_e32 v67, 7, v66
	v_ffbh_u32_e32 v64, v67
	v_min_u32_e32 v69, 32, v64
	v_subrev_u32_e32 v64, 28, v69
	v_lshlrev_b64 v[64:65], v64, v[66:67]
	v_lshrrev_b32_e32 v68, 3, v36
	v_sub_u32_e32 v65, 29, v69
	v_and_b32_e32 v64, 7, v64
	v_cmp_gt_u32_e32 vcc, 8, v36
	v_cndmask_b32_e32 v36, v68, v65, vcc
	v_cndmask_b32_e32 v64, v67, v64, vcc
	v_lshlrev_b32_e32 v64, 20, v64
	v_and_b32_sdwa v65, sext(v66), s15 dst_sel:DWORD dst_unused:UNUSED_PAD src0_sel:BYTE_0 src1_sel:DWORD
	v_lshl_add_u32 v36, v36, 23, v115
	v_or3_b32 v36, v65, v36, v64
	v_pk_mov_b32 v[64:65], v[36:37], v[36:37] op_sel:[0,1]
.LBB244_62:                             ;   in Loop: Header=BB244_10 Depth=1
	s_or_b64 exec, exec, s[48:49]
.LBB244_63:                             ;   in Loop: Header=BB244_10 Depth=1
	s_or_b64 exec, exec, s[46:47]
.LBB244_64:                             ;   in Loop: Header=BB244_10 Depth=1
	s_or_b64 exec, exec, s[44:45]
	v_cmp_ne_u16_sdwa s[46:47], v66, v37 src0_sel:BYTE_1 src1_sel:DWORD
	s_and_saveexec_b64 s[44:45], s[46:47]
	s_cbranch_execz .LBB244_70
; %bb.65:                               ;   in Loop: Header=BB244_10 Depth=1
	v_cmp_ne_u16_sdwa s[48:49], v66, s54 src0_sel:BYTE_1 src1_sel:DWORD
	v_pk_mov_b32 v[62:63], s[14:15], s[14:15] op_sel:[0,1]
	s_and_saveexec_b64 s[46:47], s[48:49]
	s_cbranch_execz .LBB244_69
; %bb.66:                               ;   in Loop: Header=BB244_10 Depth=1
	v_and_b32_sdwa v67, v66, s55 dst_sel:DWORD dst_unused:UNUSED_PAD src0_sel:BYTE_1 src1_sel:DWORD
	s_mov_b32 s42, s14
	v_cmp_ne_u32_e32 vcc, s55, v67
	v_pk_mov_b32 v[62:63], s[42:43], s[42:43] op_sel:[0,1]
	s_and_saveexec_b64 s[48:49], vcc
	s_cbranch_execz .LBB244_68
; %bb.67:                               ;   in Loop: Header=BB244_10 Depth=1
	v_and_b32_sdwa v36, v66, v116 dst_sel:DWORD dst_unused:UNUSED_PAD src0_sel:BYTE_1 src1_sel:DWORD
	v_ffbh_u32_e32 v62, v36
	v_min_u32_e32 v69, 32, v62
	v_subrev_u32_e32 v62, 28, v69
	v_lshlrev_b64 v[62:63], v62, v[36:37]
	v_lshrrev_b32_e32 v68, 3, v67
	v_sub_u32_e32 v63, 29, v69
	v_cmp_gt_u32_e32 vcc, 8, v67
	v_and_b32_e32 v62, 7, v62
	v_cndmask_b32_e32 v63, v68, v63, vcc
	v_cndmask_b32_e32 v36, v36, v62, vcc
	v_lshlrev_b32_e32 v62, 16, v66
	v_lshl_add_u32 v63, v63, 23, v115
	v_and_or_b32 v62, v62, s15, v63
	v_lshlrev_b32_e32 v36, 20, v36
	v_or_b32_e32 v63, v62, v36
	v_mov_b32_e32 v62, v37
.LBB244_68:                             ;   in Loop: Header=BB244_10 Depth=1
	s_or_b64 exec, exec, s[48:49]
.LBB244_69:                             ;   in Loop: Header=BB244_10 Depth=1
	s_or_b64 exec, exec, s[46:47]
.LBB244_70:                             ;   in Loop: Header=BB244_10 Depth=1
	s_or_b64 exec, exec, s[44:45]
	global_load_ushort v36, v[56:57], off offset:516
	v_pk_mov_b32 v[66:67], 0, 0
	v_pk_mov_b32 v[68:69], v[66:67], v[66:67] op_sel:[0,1]
	s_waitcnt vmcnt(0)
	v_and_b32_e32 v70, 0xffff, v36
	v_cmp_ne_u16_sdwa s[46:47], v36, v37 src0_sel:BYTE_0 src1_sel:DWORD
	s_and_saveexec_b64 s[44:45], s[46:47]
	s_cbranch_execz .LBB244_76
; %bb.71:                               ;   in Loop: Header=BB244_10 Depth=1
	v_bfrev_b32_e32 v68, 1
	v_cmp_ne_u16_sdwa s[48:49], v70, s54 src0_sel:BYTE_0 src1_sel:DWORD
	v_mov_b32_e32 v69, 0
	s_and_saveexec_b64 s[46:47], s[48:49]
	s_cbranch_execz .LBB244_75
; %bb.72:                               ;   in Loop: Header=BB244_10 Depth=1
	v_and_b32_e32 v36, 0x7f, v70
	v_mov_b32_e32 v68, 0x7f800001
	v_cmp_ne_u32_e32 vcc, s55, v36
	v_mov_b32_e32 v69, 0
	s_and_saveexec_b64 s[48:49], vcc
	s_cbranch_execz .LBB244_74
; %bb.73:                               ;   in Loop: Header=BB244_10 Depth=1
	v_and_b32_e32 v71, 7, v70
	v_ffbh_u32_e32 v68, v71
	v_min_u32_e32 v73, 32, v68
	v_subrev_u32_e32 v68, 28, v73
	v_lshlrev_b64 v[68:69], v68, v[70:71]
	v_lshrrev_b32_e32 v72, 3, v36
	v_sub_u32_e32 v69, 29, v73
	v_and_b32_e32 v68, 7, v68
	v_cmp_gt_u32_e32 vcc, 8, v36
	v_cndmask_b32_e32 v36, v72, v69, vcc
	v_cndmask_b32_e32 v68, v71, v68, vcc
	v_lshlrev_b32_e32 v68, 20, v68
	v_and_b32_sdwa v69, sext(v70), s15 dst_sel:DWORD dst_unused:UNUSED_PAD src0_sel:BYTE_0 src1_sel:DWORD
	v_lshl_add_u32 v36, v36, 23, v115
	v_or3_b32 v36, v69, v36, v68
	v_pk_mov_b32 v[68:69], v[36:37], v[36:37] op_sel:[0,1]
.LBB244_74:                             ;   in Loop: Header=BB244_10 Depth=1
	s_or_b64 exec, exec, s[48:49]
.LBB244_75:                             ;   in Loop: Header=BB244_10 Depth=1
	s_or_b64 exec, exec, s[46:47]
.LBB244_76:                             ;   in Loop: Header=BB244_10 Depth=1
	s_or_b64 exec, exec, s[44:45]
	v_cmp_ne_u16_sdwa s[46:47], v70, v37 src0_sel:BYTE_1 src1_sel:DWORD
	s_and_saveexec_b64 s[44:45], s[46:47]
	s_cbranch_execz .LBB244_82
; %bb.77:                               ;   in Loop: Header=BB244_10 Depth=1
	v_cmp_ne_u16_sdwa s[48:49], v70, s54 src0_sel:BYTE_1 src1_sel:DWORD
	v_pk_mov_b32 v[66:67], s[14:15], s[14:15] op_sel:[0,1]
	s_and_saveexec_b64 s[46:47], s[48:49]
	s_cbranch_execz .LBB244_81
; %bb.78:                               ;   in Loop: Header=BB244_10 Depth=1
	v_and_b32_sdwa v71, v70, s55 dst_sel:DWORD dst_unused:UNUSED_PAD src0_sel:BYTE_1 src1_sel:DWORD
	s_mov_b32 s42, s14
	v_cmp_ne_u32_e32 vcc, s55, v71
	v_pk_mov_b32 v[66:67], s[42:43], s[42:43] op_sel:[0,1]
	s_and_saveexec_b64 s[48:49], vcc
	s_cbranch_execz .LBB244_80
; %bb.79:                               ;   in Loop: Header=BB244_10 Depth=1
	v_and_b32_sdwa v36, v70, v116 dst_sel:DWORD dst_unused:UNUSED_PAD src0_sel:BYTE_1 src1_sel:DWORD
	v_ffbh_u32_e32 v66, v36
	v_min_u32_e32 v73, 32, v66
	v_subrev_u32_e32 v66, 28, v73
	v_lshlrev_b64 v[66:67], v66, v[36:37]
	v_lshrrev_b32_e32 v72, 3, v71
	v_sub_u32_e32 v67, 29, v73
	v_cmp_gt_u32_e32 vcc, 8, v71
	v_and_b32_e32 v66, 7, v66
	v_cndmask_b32_e32 v67, v72, v67, vcc
	v_cndmask_b32_e32 v36, v36, v66, vcc
	v_lshlrev_b32_e32 v66, 16, v70
	v_lshl_add_u32 v67, v67, 23, v115
	v_and_or_b32 v66, v66, s15, v67
	v_lshlrev_b32_e32 v36, 20, v36
	v_or_b32_e32 v67, v66, v36
	v_mov_b32_e32 v66, v37
.LBB244_80:                             ;   in Loop: Header=BB244_10 Depth=1
	s_or_b64 exec, exec, s[48:49]
.LBB244_81:                             ;   in Loop: Header=BB244_10 Depth=1
	s_or_b64 exec, exec, s[46:47]
.LBB244_82:                             ;   in Loop: Header=BB244_10 Depth=1
	s_or_b64 exec, exec, s[44:45]
	v_add_co_u32_e32 v74, vcc, 0x200, v56
	v_addc_co_u32_e32 v75, vcc, 0, v57, vcc
	global_load_ushort v36, v[74:75], off offset:8
	v_pk_mov_b32 v[70:71], 0, 0
	v_pk_mov_b32 v[72:73], v[70:71], v[70:71] op_sel:[0,1]
	s_waitcnt vmcnt(0)
	v_and_b32_e32 v76, 0xffff, v36
	v_cmp_ne_u16_sdwa s[46:47], v36, v37 src0_sel:BYTE_0 src1_sel:DWORD
	s_and_saveexec_b64 s[44:45], s[46:47]
	s_cbranch_execz .LBB244_88
; %bb.83:                               ;   in Loop: Header=BB244_10 Depth=1
	v_bfrev_b32_e32 v72, 1
	v_cmp_ne_u16_sdwa s[48:49], v76, s54 src0_sel:BYTE_0 src1_sel:DWORD
	v_mov_b32_e32 v73, 0
	s_and_saveexec_b64 s[46:47], s[48:49]
	s_cbranch_execz .LBB244_87
; %bb.84:                               ;   in Loop: Header=BB244_10 Depth=1
	v_and_b32_e32 v36, 0x7f, v76
	v_mov_b32_e32 v72, 0x7f800001
	v_cmp_ne_u32_e32 vcc, s55, v36
	v_mov_b32_e32 v73, 0
	s_and_saveexec_b64 s[48:49], vcc
	s_cbranch_execz .LBB244_86
; %bb.85:                               ;   in Loop: Header=BB244_10 Depth=1
	v_and_b32_e32 v77, 7, v76
	v_ffbh_u32_e32 v72, v77
	v_min_u32_e32 v79, 32, v72
	v_subrev_u32_e32 v72, 28, v79
	v_lshlrev_b64 v[72:73], v72, v[76:77]
	v_lshrrev_b32_e32 v78, 3, v36
	v_sub_u32_e32 v73, 29, v79
	v_and_b32_e32 v72, 7, v72
	v_cmp_gt_u32_e32 vcc, 8, v36
	v_cndmask_b32_e32 v36, v78, v73, vcc
	v_cndmask_b32_e32 v72, v77, v72, vcc
	v_lshlrev_b32_e32 v72, 20, v72
	v_and_b32_sdwa v73, sext(v76), s15 dst_sel:DWORD dst_unused:UNUSED_PAD src0_sel:BYTE_0 src1_sel:DWORD
	v_lshl_add_u32 v36, v36, 23, v115
	v_or3_b32 v36, v73, v36, v72
	v_pk_mov_b32 v[72:73], v[36:37], v[36:37] op_sel:[0,1]
.LBB244_86:                             ;   in Loop: Header=BB244_10 Depth=1
	s_or_b64 exec, exec, s[48:49]
.LBB244_87:                             ;   in Loop: Header=BB244_10 Depth=1
	s_or_b64 exec, exec, s[46:47]
.LBB244_88:                             ;   in Loop: Header=BB244_10 Depth=1
	s_or_b64 exec, exec, s[44:45]
	v_cmp_ne_u16_sdwa s[46:47], v76, v37 src0_sel:BYTE_1 src1_sel:DWORD
	s_and_saveexec_b64 s[44:45], s[46:47]
	s_cbranch_execz .LBB244_94
; %bb.89:                               ;   in Loop: Header=BB244_10 Depth=1
	v_cmp_ne_u16_sdwa s[48:49], v76, s54 src0_sel:BYTE_1 src1_sel:DWORD
	v_pk_mov_b32 v[70:71], s[14:15], s[14:15] op_sel:[0,1]
	s_and_saveexec_b64 s[46:47], s[48:49]
	s_cbranch_execz .LBB244_93
; %bb.90:                               ;   in Loop: Header=BB244_10 Depth=1
	v_and_b32_sdwa v77, v76, s55 dst_sel:DWORD dst_unused:UNUSED_PAD src0_sel:BYTE_1 src1_sel:DWORD
	s_mov_b32 s42, s14
	v_cmp_ne_u32_e32 vcc, s55, v77
	v_pk_mov_b32 v[70:71], s[42:43], s[42:43] op_sel:[0,1]
	s_and_saveexec_b64 s[48:49], vcc
	s_cbranch_execz .LBB244_92
; %bb.91:                               ;   in Loop: Header=BB244_10 Depth=1
	v_and_b32_sdwa v36, v76, v116 dst_sel:DWORD dst_unused:UNUSED_PAD src0_sel:BYTE_1 src1_sel:DWORD
	v_ffbh_u32_e32 v70, v36
	v_min_u32_e32 v79, 32, v70
	v_subrev_u32_e32 v70, 28, v79
	v_lshlrev_b64 v[70:71], v70, v[36:37]
	v_lshrrev_b32_e32 v78, 3, v77
	v_sub_u32_e32 v71, 29, v79
	v_cmp_gt_u32_e32 vcc, 8, v77
	v_and_b32_e32 v70, 7, v70
	v_cndmask_b32_e32 v71, v78, v71, vcc
	v_cndmask_b32_e32 v36, v36, v70, vcc
	v_lshlrev_b32_e32 v70, 16, v76
	v_lshl_add_u32 v71, v71, 23, v115
	v_and_or_b32 v70, v70, s15, v71
	v_lshlrev_b32_e32 v36, 20, v36
	v_or_b32_e32 v71, v70, v36
	v_mov_b32_e32 v70, v37
.LBB244_92:                             ;   in Loop: Header=BB244_10 Depth=1
	s_or_b64 exec, exec, s[48:49]
.LBB244_93:                             ;   in Loop: Header=BB244_10 Depth=1
	s_or_b64 exec, exec, s[46:47]
.LBB244_94:                             ;   in Loop: Header=BB244_10 Depth=1
	s_or_b64 exec, exec, s[44:45]
	global_load_ushort v36, v[74:75], off offset:12
	v_pk_mov_b32 v[74:75], 0, 0
	v_pk_mov_b32 v[76:77], v[74:75], v[74:75] op_sel:[0,1]
	s_waitcnt vmcnt(0)
	v_and_b32_e32 v78, 0xffff, v36
	v_cmp_ne_u16_sdwa s[46:47], v36, v37 src0_sel:BYTE_0 src1_sel:DWORD
	s_and_saveexec_b64 s[44:45], s[46:47]
	s_cbranch_execz .LBB244_100
; %bb.95:                               ;   in Loop: Header=BB244_10 Depth=1
	v_bfrev_b32_e32 v76, 1
	v_cmp_ne_u16_sdwa s[48:49], v78, s54 src0_sel:BYTE_0 src1_sel:DWORD
	v_mov_b32_e32 v77, 0
	s_and_saveexec_b64 s[46:47], s[48:49]
	s_cbranch_execz .LBB244_99
; %bb.96:                               ;   in Loop: Header=BB244_10 Depth=1
	v_and_b32_e32 v36, 0x7f, v78
	v_mov_b32_e32 v76, 0x7f800001
	v_cmp_ne_u32_e32 vcc, s55, v36
	v_mov_b32_e32 v77, 0
	s_and_saveexec_b64 s[48:49], vcc
	s_cbranch_execz .LBB244_98
; %bb.97:                               ;   in Loop: Header=BB244_10 Depth=1
	v_and_b32_e32 v79, 7, v78
	v_ffbh_u32_e32 v76, v79
	v_min_u32_e32 v81, 32, v76
	v_subrev_u32_e32 v76, 28, v81
	v_lshlrev_b64 v[76:77], v76, v[78:79]
	v_lshrrev_b32_e32 v80, 3, v36
	v_sub_u32_e32 v77, 29, v81
	v_and_b32_e32 v76, 7, v76
	v_cmp_gt_u32_e32 vcc, 8, v36
	v_cndmask_b32_e32 v36, v80, v77, vcc
	v_cndmask_b32_e32 v76, v79, v76, vcc
	v_lshlrev_b32_e32 v76, 20, v76
	v_and_b32_sdwa v77, sext(v78), s15 dst_sel:DWORD dst_unused:UNUSED_PAD src0_sel:BYTE_0 src1_sel:DWORD
	v_lshl_add_u32 v36, v36, 23, v115
	v_or3_b32 v36, v77, v36, v76
	v_pk_mov_b32 v[76:77], v[36:37], v[36:37] op_sel:[0,1]
.LBB244_98:                             ;   in Loop: Header=BB244_10 Depth=1
	s_or_b64 exec, exec, s[48:49]
.LBB244_99:                             ;   in Loop: Header=BB244_10 Depth=1
	s_or_b64 exec, exec, s[46:47]
.LBB244_100:                            ;   in Loop: Header=BB244_10 Depth=1
	s_or_b64 exec, exec, s[44:45]
	v_cmp_ne_u16_sdwa s[46:47], v78, v37 src0_sel:BYTE_1 src1_sel:DWORD
	s_and_saveexec_b64 s[44:45], s[46:47]
	s_cbranch_execz .LBB244_106
; %bb.101:                              ;   in Loop: Header=BB244_10 Depth=1
	v_cmp_ne_u16_sdwa s[48:49], v78, s54 src0_sel:BYTE_1 src1_sel:DWORD
	v_pk_mov_b32 v[74:75], s[14:15], s[14:15] op_sel:[0,1]
	s_and_saveexec_b64 s[46:47], s[48:49]
	s_cbranch_execz .LBB244_105
; %bb.102:                              ;   in Loop: Header=BB244_10 Depth=1
	v_and_b32_sdwa v79, v78, s55 dst_sel:DWORD dst_unused:UNUSED_PAD src0_sel:BYTE_1 src1_sel:DWORD
	s_mov_b32 s42, s14
	v_cmp_ne_u32_e32 vcc, s55, v79
	v_pk_mov_b32 v[74:75], s[42:43], s[42:43] op_sel:[0,1]
	s_and_saveexec_b64 s[48:49], vcc
	s_cbranch_execz .LBB244_104
; %bb.103:                              ;   in Loop: Header=BB244_10 Depth=1
	v_and_b32_sdwa v36, v78, v116 dst_sel:DWORD dst_unused:UNUSED_PAD src0_sel:BYTE_1 src1_sel:DWORD
	v_ffbh_u32_e32 v74, v36
	v_min_u32_e32 v81, 32, v74
	v_subrev_u32_e32 v74, 28, v81
	v_lshlrev_b64 v[74:75], v74, v[36:37]
	v_lshrrev_b32_e32 v80, 3, v79
	v_sub_u32_e32 v75, 29, v81
	v_cmp_gt_u32_e32 vcc, 8, v79
	v_and_b32_e32 v74, 7, v74
	v_cndmask_b32_e32 v75, v80, v75, vcc
	v_cndmask_b32_e32 v36, v36, v74, vcc
	v_lshlrev_b32_e32 v74, 16, v78
	v_lshl_add_u32 v75, v75, 23, v115
	v_and_or_b32 v74, v74, s15, v75
	v_lshlrev_b32_e32 v36, 20, v36
	v_or_b32_e32 v75, v74, v36
	v_mov_b32_e32 v74, v37
.LBB244_104:                            ;   in Loop: Header=BB244_10 Depth=1
	s_or_b64 exec, exec, s[48:49]
.LBB244_105:                            ;   in Loop: Header=BB244_10 Depth=1
	s_or_b64 exec, exec, s[46:47]
.LBB244_106:                            ;   in Loop: Header=BB244_10 Depth=1
	s_or_b64 exec, exec, s[44:45]
	global_load_ushort v36, v[56:57], off offset:1024
	v_pk_mov_b32 v[78:79], 0, 0
	v_pk_mov_b32 v[80:81], v[78:79], v[78:79] op_sel:[0,1]
	s_waitcnt vmcnt(0)
	v_and_b32_e32 v82, 0xffff, v36
	v_cmp_ne_u16_sdwa s[46:47], v36, v37 src0_sel:BYTE_0 src1_sel:DWORD
	s_and_saveexec_b64 s[44:45], s[46:47]
	s_cbranch_execz .LBB244_112
; %bb.107:                              ;   in Loop: Header=BB244_10 Depth=1
	v_bfrev_b32_e32 v80, 1
	v_cmp_ne_u16_sdwa s[48:49], v82, s54 src0_sel:BYTE_0 src1_sel:DWORD
	v_mov_b32_e32 v81, 0
	s_and_saveexec_b64 s[46:47], s[48:49]
	s_cbranch_execz .LBB244_111
; %bb.108:                              ;   in Loop: Header=BB244_10 Depth=1
	v_and_b32_e32 v36, 0x7f, v82
	v_mov_b32_e32 v80, 0x7f800001
	v_cmp_ne_u32_e32 vcc, s55, v36
	v_mov_b32_e32 v81, 0
	s_and_saveexec_b64 s[48:49], vcc
	s_cbranch_execz .LBB244_110
; %bb.109:                              ;   in Loop: Header=BB244_10 Depth=1
	v_and_b32_e32 v83, 7, v82
	v_ffbh_u32_e32 v80, v83
	v_min_u32_e32 v85, 32, v80
	v_subrev_u32_e32 v80, 28, v85
	v_lshlrev_b64 v[80:81], v80, v[82:83]
	v_lshrrev_b32_e32 v84, 3, v36
	v_sub_u32_e32 v81, 29, v85
	v_and_b32_e32 v80, 7, v80
	v_cmp_gt_u32_e32 vcc, 8, v36
	v_cndmask_b32_e32 v36, v84, v81, vcc
	v_cndmask_b32_e32 v80, v83, v80, vcc
	v_lshlrev_b32_e32 v80, 20, v80
	v_and_b32_sdwa v81, sext(v82), s15 dst_sel:DWORD dst_unused:UNUSED_PAD src0_sel:BYTE_0 src1_sel:DWORD
	v_lshl_add_u32 v36, v36, 23, v115
	v_or3_b32 v36, v81, v36, v80
	v_pk_mov_b32 v[80:81], v[36:37], v[36:37] op_sel:[0,1]
.LBB244_110:                            ;   in Loop: Header=BB244_10 Depth=1
	s_or_b64 exec, exec, s[48:49]
.LBB244_111:                            ;   in Loop: Header=BB244_10 Depth=1
	s_or_b64 exec, exec, s[46:47]
.LBB244_112:                            ;   in Loop: Header=BB244_10 Depth=1
	s_or_b64 exec, exec, s[44:45]
	v_cmp_ne_u16_sdwa s[46:47], v82, v37 src0_sel:BYTE_1 src1_sel:DWORD
	s_and_saveexec_b64 s[44:45], s[46:47]
	s_cbranch_execz .LBB244_118
; %bb.113:                              ;   in Loop: Header=BB244_10 Depth=1
	v_cmp_ne_u16_sdwa s[48:49], v82, s54 src0_sel:BYTE_1 src1_sel:DWORD
	v_pk_mov_b32 v[78:79], s[14:15], s[14:15] op_sel:[0,1]
	s_and_saveexec_b64 s[46:47], s[48:49]
	s_cbranch_execz .LBB244_117
; %bb.114:                              ;   in Loop: Header=BB244_10 Depth=1
	v_and_b32_sdwa v83, v82, s55 dst_sel:DWORD dst_unused:UNUSED_PAD src0_sel:BYTE_1 src1_sel:DWORD
	s_mov_b32 s42, s14
	v_cmp_ne_u32_e32 vcc, s55, v83
	v_pk_mov_b32 v[78:79], s[42:43], s[42:43] op_sel:[0,1]
	s_and_saveexec_b64 s[48:49], vcc
	s_cbranch_execz .LBB244_116
; %bb.115:                              ;   in Loop: Header=BB244_10 Depth=1
	v_and_b32_sdwa v36, v82, v116 dst_sel:DWORD dst_unused:UNUSED_PAD src0_sel:BYTE_1 src1_sel:DWORD
	v_ffbh_u32_e32 v78, v36
	v_min_u32_e32 v85, 32, v78
	v_subrev_u32_e32 v78, 28, v85
	v_lshlrev_b64 v[78:79], v78, v[36:37]
	v_lshrrev_b32_e32 v84, 3, v83
	v_sub_u32_e32 v79, 29, v85
	v_cmp_gt_u32_e32 vcc, 8, v83
	v_and_b32_e32 v78, 7, v78
	v_cndmask_b32_e32 v79, v84, v79, vcc
	v_cndmask_b32_e32 v36, v36, v78, vcc
	v_lshlrev_b32_e32 v78, 16, v82
	v_lshl_add_u32 v79, v79, 23, v115
	v_and_or_b32 v78, v78, s15, v79
	v_lshlrev_b32_e32 v36, 20, v36
	v_or_b32_e32 v79, v78, v36
	v_mov_b32_e32 v78, v37
.LBB244_116:                            ;   in Loop: Header=BB244_10 Depth=1
	s_or_b64 exec, exec, s[48:49]
.LBB244_117:                            ;   in Loop: Header=BB244_10 Depth=1
	s_or_b64 exec, exec, s[46:47]
.LBB244_118:                            ;   in Loop: Header=BB244_10 Depth=1
	s_or_b64 exec, exec, s[44:45]
	global_load_ushort v36, v[56:57], off offset:1028
	v_pk_mov_b32 v[82:83], 0, 0
	v_pk_mov_b32 v[84:85], v[82:83], v[82:83] op_sel:[0,1]
	s_waitcnt vmcnt(0)
	v_and_b32_e32 v86, 0xffff, v36
	v_cmp_ne_u16_sdwa s[46:47], v36, v37 src0_sel:BYTE_0 src1_sel:DWORD
	s_and_saveexec_b64 s[44:45], s[46:47]
	s_cbranch_execz .LBB244_124
; %bb.119:                              ;   in Loop: Header=BB244_10 Depth=1
	v_bfrev_b32_e32 v84, 1
	v_cmp_ne_u16_sdwa s[48:49], v86, s54 src0_sel:BYTE_0 src1_sel:DWORD
	v_mov_b32_e32 v85, 0
	s_and_saveexec_b64 s[46:47], s[48:49]
	s_cbranch_execz .LBB244_123
; %bb.120:                              ;   in Loop: Header=BB244_10 Depth=1
	v_and_b32_e32 v36, 0x7f, v86
	v_mov_b32_e32 v84, 0x7f800001
	v_cmp_ne_u32_e32 vcc, s55, v36
	v_mov_b32_e32 v85, 0
	s_and_saveexec_b64 s[48:49], vcc
	s_cbranch_execz .LBB244_122
; %bb.121:                              ;   in Loop: Header=BB244_10 Depth=1
	v_and_b32_e32 v87, 7, v86
	v_ffbh_u32_e32 v84, v87
	v_min_u32_e32 v89, 32, v84
	v_subrev_u32_e32 v84, 28, v89
	v_lshlrev_b64 v[84:85], v84, v[86:87]
	v_lshrrev_b32_e32 v88, 3, v36
	v_sub_u32_e32 v85, 29, v89
	v_and_b32_e32 v84, 7, v84
	v_cmp_gt_u32_e32 vcc, 8, v36
	v_cndmask_b32_e32 v36, v88, v85, vcc
	v_cndmask_b32_e32 v84, v87, v84, vcc
	v_lshlrev_b32_e32 v84, 20, v84
	v_and_b32_sdwa v85, sext(v86), s15 dst_sel:DWORD dst_unused:UNUSED_PAD src0_sel:BYTE_0 src1_sel:DWORD
	v_lshl_add_u32 v36, v36, 23, v115
	v_or3_b32 v36, v85, v36, v84
	v_pk_mov_b32 v[84:85], v[36:37], v[36:37] op_sel:[0,1]
.LBB244_122:                            ;   in Loop: Header=BB244_10 Depth=1
	s_or_b64 exec, exec, s[48:49]
.LBB244_123:                            ;   in Loop: Header=BB244_10 Depth=1
	s_or_b64 exec, exec, s[46:47]
.LBB244_124:                            ;   in Loop: Header=BB244_10 Depth=1
	s_or_b64 exec, exec, s[44:45]
	v_cmp_ne_u16_sdwa s[46:47], v86, v37 src0_sel:BYTE_1 src1_sel:DWORD
	s_and_saveexec_b64 s[44:45], s[46:47]
	s_cbranch_execz .LBB244_130
; %bb.125:                              ;   in Loop: Header=BB244_10 Depth=1
	v_cmp_ne_u16_sdwa s[48:49], v86, s54 src0_sel:BYTE_1 src1_sel:DWORD
	v_pk_mov_b32 v[82:83], s[14:15], s[14:15] op_sel:[0,1]
	s_and_saveexec_b64 s[46:47], s[48:49]
	s_cbranch_execz .LBB244_129
; %bb.126:                              ;   in Loop: Header=BB244_10 Depth=1
	v_and_b32_sdwa v87, v86, s55 dst_sel:DWORD dst_unused:UNUSED_PAD src0_sel:BYTE_1 src1_sel:DWORD
	s_mov_b32 s42, s14
	v_cmp_ne_u32_e32 vcc, s55, v87
	v_pk_mov_b32 v[82:83], s[42:43], s[42:43] op_sel:[0,1]
	s_and_saveexec_b64 s[48:49], vcc
	s_cbranch_execz .LBB244_128
; %bb.127:                              ;   in Loop: Header=BB244_10 Depth=1
	v_and_b32_sdwa v36, v86, v116 dst_sel:DWORD dst_unused:UNUSED_PAD src0_sel:BYTE_1 src1_sel:DWORD
	v_ffbh_u32_e32 v82, v36
	v_min_u32_e32 v89, 32, v82
	v_subrev_u32_e32 v82, 28, v89
	v_lshlrev_b64 v[82:83], v82, v[36:37]
	v_lshrrev_b32_e32 v88, 3, v87
	v_sub_u32_e32 v83, 29, v89
	v_cmp_gt_u32_e32 vcc, 8, v87
	v_and_b32_e32 v82, 7, v82
	v_cndmask_b32_e32 v83, v88, v83, vcc
	v_cndmask_b32_e32 v36, v36, v82, vcc
	v_lshlrev_b32_e32 v82, 16, v86
	v_lshl_add_u32 v83, v83, 23, v115
	v_and_or_b32 v82, v82, s15, v83
	v_lshlrev_b32_e32 v36, 20, v36
	v_or_b32_e32 v83, v82, v36
	v_mov_b32_e32 v82, v37
.LBB244_128:                            ;   in Loop: Header=BB244_10 Depth=1
	s_or_b64 exec, exec, s[48:49]
.LBB244_129:                            ;   in Loop: Header=BB244_10 Depth=1
	s_or_b64 exec, exec, s[46:47]
.LBB244_130:                            ;   in Loop: Header=BB244_10 Depth=1
	s_or_b64 exec, exec, s[44:45]
	v_add_co_u32_e32 v90, vcc, 0x400, v56
	v_addc_co_u32_e32 v91, vcc, 0, v57, vcc
	global_load_ushort v36, v[90:91], off offset:8
	v_pk_mov_b32 v[86:87], 0, 0
	v_pk_mov_b32 v[88:89], v[86:87], v[86:87] op_sel:[0,1]
	s_waitcnt vmcnt(0)
	v_and_b32_e32 v92, 0xffff, v36
	v_cmp_ne_u16_sdwa s[46:47], v36, v37 src0_sel:BYTE_0 src1_sel:DWORD
	s_and_saveexec_b64 s[44:45], s[46:47]
	s_cbranch_execz .LBB244_136
; %bb.131:                              ;   in Loop: Header=BB244_10 Depth=1
	v_bfrev_b32_e32 v88, 1
	v_cmp_ne_u16_sdwa s[48:49], v92, s54 src0_sel:BYTE_0 src1_sel:DWORD
	v_mov_b32_e32 v89, 0
	s_and_saveexec_b64 s[46:47], s[48:49]
	s_cbranch_execz .LBB244_135
; %bb.132:                              ;   in Loop: Header=BB244_10 Depth=1
	v_and_b32_e32 v36, 0x7f, v92
	v_mov_b32_e32 v88, 0x7f800001
	v_cmp_ne_u32_e32 vcc, s55, v36
	v_mov_b32_e32 v89, 0
	s_and_saveexec_b64 s[48:49], vcc
	s_cbranch_execz .LBB244_134
; %bb.133:                              ;   in Loop: Header=BB244_10 Depth=1
	v_and_b32_e32 v93, 7, v92
	v_ffbh_u32_e32 v88, v93
	v_min_u32_e32 v95, 32, v88
	v_subrev_u32_e32 v88, 28, v95
	v_lshlrev_b64 v[88:89], v88, v[92:93]
	v_lshrrev_b32_e32 v94, 3, v36
	v_sub_u32_e32 v89, 29, v95
	v_and_b32_e32 v88, 7, v88
	v_cmp_gt_u32_e32 vcc, 8, v36
	v_cndmask_b32_e32 v36, v94, v89, vcc
	v_cndmask_b32_e32 v88, v93, v88, vcc
	v_lshlrev_b32_e32 v88, 20, v88
	v_and_b32_sdwa v89, sext(v92), s15 dst_sel:DWORD dst_unused:UNUSED_PAD src0_sel:BYTE_0 src1_sel:DWORD
	v_lshl_add_u32 v36, v36, 23, v115
	v_or3_b32 v36, v89, v36, v88
	v_pk_mov_b32 v[88:89], v[36:37], v[36:37] op_sel:[0,1]
.LBB244_134:                            ;   in Loop: Header=BB244_10 Depth=1
	s_or_b64 exec, exec, s[48:49]
.LBB244_135:                            ;   in Loop: Header=BB244_10 Depth=1
	s_or_b64 exec, exec, s[46:47]
.LBB244_136:                            ;   in Loop: Header=BB244_10 Depth=1
	s_or_b64 exec, exec, s[44:45]
	v_cmp_ne_u16_sdwa s[46:47], v92, v37 src0_sel:BYTE_1 src1_sel:DWORD
	s_and_saveexec_b64 s[44:45], s[46:47]
	s_cbranch_execz .LBB244_142
; %bb.137:                              ;   in Loop: Header=BB244_10 Depth=1
	v_cmp_ne_u16_sdwa s[48:49], v92, s54 src0_sel:BYTE_1 src1_sel:DWORD
	v_pk_mov_b32 v[86:87], s[14:15], s[14:15] op_sel:[0,1]
	s_and_saveexec_b64 s[46:47], s[48:49]
	s_cbranch_execz .LBB244_141
; %bb.138:                              ;   in Loop: Header=BB244_10 Depth=1
	v_and_b32_sdwa v93, v92, s55 dst_sel:DWORD dst_unused:UNUSED_PAD src0_sel:BYTE_1 src1_sel:DWORD
	s_mov_b32 s42, s14
	v_cmp_ne_u32_e32 vcc, s55, v93
	v_pk_mov_b32 v[86:87], s[42:43], s[42:43] op_sel:[0,1]
	s_and_saveexec_b64 s[48:49], vcc
	s_cbranch_execz .LBB244_140
; %bb.139:                              ;   in Loop: Header=BB244_10 Depth=1
	v_and_b32_sdwa v36, v92, v116 dst_sel:DWORD dst_unused:UNUSED_PAD src0_sel:BYTE_1 src1_sel:DWORD
	v_ffbh_u32_e32 v86, v36
	v_min_u32_e32 v95, 32, v86
	v_subrev_u32_e32 v86, 28, v95
	v_lshlrev_b64 v[86:87], v86, v[36:37]
	v_lshrrev_b32_e32 v94, 3, v93
	v_sub_u32_e32 v87, 29, v95
	v_cmp_gt_u32_e32 vcc, 8, v93
	v_and_b32_e32 v86, 7, v86
	v_cndmask_b32_e32 v87, v94, v87, vcc
	v_cndmask_b32_e32 v36, v36, v86, vcc
	v_lshlrev_b32_e32 v86, 16, v92
	v_lshl_add_u32 v87, v87, 23, v115
	v_and_or_b32 v86, v86, s15, v87
	v_lshlrev_b32_e32 v36, 20, v36
	v_or_b32_e32 v87, v86, v36
	v_mov_b32_e32 v86, v37
.LBB244_140:                            ;   in Loop: Header=BB244_10 Depth=1
	s_or_b64 exec, exec, s[48:49]
.LBB244_141:                            ;   in Loop: Header=BB244_10 Depth=1
	s_or_b64 exec, exec, s[46:47]
.LBB244_142:                            ;   in Loop: Header=BB244_10 Depth=1
	s_or_b64 exec, exec, s[44:45]
	global_load_ushort v36, v[90:91], off offset:12
	v_pk_mov_b32 v[90:91], 0, 0
	v_pk_mov_b32 v[92:93], v[90:91], v[90:91] op_sel:[0,1]
	s_waitcnt vmcnt(0)
	v_and_b32_e32 v94, 0xffff, v36
	v_cmp_ne_u16_sdwa s[46:47], v36, v37 src0_sel:BYTE_0 src1_sel:DWORD
	s_and_saveexec_b64 s[44:45], s[46:47]
	s_cbranch_execz .LBB244_148
; %bb.143:                              ;   in Loop: Header=BB244_10 Depth=1
	v_bfrev_b32_e32 v92, 1
	v_cmp_ne_u16_sdwa s[48:49], v94, s54 src0_sel:BYTE_0 src1_sel:DWORD
	v_mov_b32_e32 v93, 0
	s_and_saveexec_b64 s[46:47], s[48:49]
	s_cbranch_execz .LBB244_147
; %bb.144:                              ;   in Loop: Header=BB244_10 Depth=1
	v_and_b32_e32 v36, 0x7f, v94
	v_mov_b32_e32 v92, 0x7f800001
	v_cmp_ne_u32_e32 vcc, s55, v36
	v_mov_b32_e32 v93, 0
	s_and_saveexec_b64 s[48:49], vcc
	s_cbranch_execz .LBB244_146
; %bb.145:                              ;   in Loop: Header=BB244_10 Depth=1
	v_and_b32_e32 v95, 7, v94
	v_ffbh_u32_e32 v92, v95
	v_min_u32_e32 v97, 32, v92
	v_subrev_u32_e32 v92, 28, v97
	v_lshlrev_b64 v[92:93], v92, v[94:95]
	v_lshrrev_b32_e32 v96, 3, v36
	v_sub_u32_e32 v93, 29, v97
	v_and_b32_e32 v92, 7, v92
	v_cmp_gt_u32_e32 vcc, 8, v36
	v_cndmask_b32_e32 v36, v96, v93, vcc
	v_cndmask_b32_e32 v92, v95, v92, vcc
	v_lshlrev_b32_e32 v92, 20, v92
	v_and_b32_sdwa v93, sext(v94), s15 dst_sel:DWORD dst_unused:UNUSED_PAD src0_sel:BYTE_0 src1_sel:DWORD
	v_lshl_add_u32 v36, v36, 23, v115
	v_or3_b32 v36, v93, v36, v92
	v_pk_mov_b32 v[92:93], v[36:37], v[36:37] op_sel:[0,1]
.LBB244_146:                            ;   in Loop: Header=BB244_10 Depth=1
	s_or_b64 exec, exec, s[48:49]
.LBB244_147:                            ;   in Loop: Header=BB244_10 Depth=1
	s_or_b64 exec, exec, s[46:47]
.LBB244_148:                            ;   in Loop: Header=BB244_10 Depth=1
	s_or_b64 exec, exec, s[44:45]
	v_cmp_ne_u16_sdwa s[46:47], v94, v37 src0_sel:BYTE_1 src1_sel:DWORD
	s_and_saveexec_b64 s[44:45], s[46:47]
	s_cbranch_execz .LBB244_154
; %bb.149:                              ;   in Loop: Header=BB244_10 Depth=1
	v_cmp_ne_u16_sdwa s[48:49], v94, s54 src0_sel:BYTE_1 src1_sel:DWORD
	v_pk_mov_b32 v[90:91], s[14:15], s[14:15] op_sel:[0,1]
	s_and_saveexec_b64 s[46:47], s[48:49]
	s_cbranch_execz .LBB244_153
; %bb.150:                              ;   in Loop: Header=BB244_10 Depth=1
	v_and_b32_sdwa v95, v94, s55 dst_sel:DWORD dst_unused:UNUSED_PAD src0_sel:BYTE_1 src1_sel:DWORD
	s_mov_b32 s42, s14
	v_cmp_ne_u32_e32 vcc, s55, v95
	v_pk_mov_b32 v[90:91], s[42:43], s[42:43] op_sel:[0,1]
	s_and_saveexec_b64 s[48:49], vcc
	s_cbranch_execz .LBB244_152
; %bb.151:                              ;   in Loop: Header=BB244_10 Depth=1
	v_and_b32_sdwa v36, v94, v116 dst_sel:DWORD dst_unused:UNUSED_PAD src0_sel:BYTE_1 src1_sel:DWORD
	v_ffbh_u32_e32 v90, v36
	v_min_u32_e32 v97, 32, v90
	v_subrev_u32_e32 v90, 28, v97
	v_lshlrev_b64 v[90:91], v90, v[36:37]
	v_lshrrev_b32_e32 v96, 3, v95
	v_sub_u32_e32 v91, 29, v97
	v_cmp_gt_u32_e32 vcc, 8, v95
	v_and_b32_e32 v90, 7, v90
	v_cndmask_b32_e32 v91, v96, v91, vcc
	v_cndmask_b32_e32 v36, v36, v90, vcc
	v_lshlrev_b32_e32 v90, 16, v94
	v_lshl_add_u32 v91, v91, 23, v115
	v_and_or_b32 v90, v90, s15, v91
	v_lshlrev_b32_e32 v36, 20, v36
	v_or_b32_e32 v91, v90, v36
	v_mov_b32_e32 v90, v37
.LBB244_152:                            ;   in Loop: Header=BB244_10 Depth=1
	s_or_b64 exec, exec, s[48:49]
.LBB244_153:                            ;   in Loop: Header=BB244_10 Depth=1
	s_or_b64 exec, exec, s[46:47]
.LBB244_154:                            ;   in Loop: Header=BB244_10 Depth=1
	s_or_b64 exec, exec, s[44:45]
	global_load_ushort v36, v[56:57], off offset:1536
	v_pk_mov_b32 v[94:95], 0, 0
	v_pk_mov_b32 v[96:97], v[94:95], v[94:95] op_sel:[0,1]
	s_waitcnt vmcnt(0)
	v_and_b32_e32 v98, 0xffff, v36
	v_cmp_ne_u16_sdwa s[46:47], v36, v37 src0_sel:BYTE_0 src1_sel:DWORD
	s_and_saveexec_b64 s[44:45], s[46:47]
	s_cbranch_execz .LBB244_160
; %bb.155:                              ;   in Loop: Header=BB244_10 Depth=1
	v_bfrev_b32_e32 v96, 1
	v_cmp_ne_u16_sdwa s[48:49], v98, s54 src0_sel:BYTE_0 src1_sel:DWORD
	v_mov_b32_e32 v97, 0
	s_and_saveexec_b64 s[46:47], s[48:49]
	s_cbranch_execz .LBB244_159
; %bb.156:                              ;   in Loop: Header=BB244_10 Depth=1
	v_and_b32_e32 v36, 0x7f, v98
	v_mov_b32_e32 v96, 0x7f800001
	v_cmp_ne_u32_e32 vcc, s55, v36
	v_mov_b32_e32 v97, 0
	s_and_saveexec_b64 s[48:49], vcc
	s_cbranch_execz .LBB244_158
; %bb.157:                              ;   in Loop: Header=BB244_10 Depth=1
	v_and_b32_e32 v99, 7, v98
	v_ffbh_u32_e32 v96, v99
	v_min_u32_e32 v101, 32, v96
	v_subrev_u32_e32 v96, 28, v101
	v_lshlrev_b64 v[96:97], v96, v[98:99]
	v_lshrrev_b32_e32 v100, 3, v36
	v_sub_u32_e32 v97, 29, v101
	v_and_b32_e32 v96, 7, v96
	v_cmp_gt_u32_e32 vcc, 8, v36
	v_cndmask_b32_e32 v36, v100, v97, vcc
	v_cndmask_b32_e32 v96, v99, v96, vcc
	v_lshlrev_b32_e32 v96, 20, v96
	v_and_b32_sdwa v97, sext(v98), s15 dst_sel:DWORD dst_unused:UNUSED_PAD src0_sel:BYTE_0 src1_sel:DWORD
	v_lshl_add_u32 v36, v36, 23, v115
	v_or3_b32 v36, v97, v36, v96
	v_pk_mov_b32 v[96:97], v[36:37], v[36:37] op_sel:[0,1]
.LBB244_158:                            ;   in Loop: Header=BB244_10 Depth=1
	s_or_b64 exec, exec, s[48:49]
.LBB244_159:                            ;   in Loop: Header=BB244_10 Depth=1
	s_or_b64 exec, exec, s[46:47]
.LBB244_160:                            ;   in Loop: Header=BB244_10 Depth=1
	s_or_b64 exec, exec, s[44:45]
	v_cmp_ne_u16_sdwa s[46:47], v98, v37 src0_sel:BYTE_1 src1_sel:DWORD
	s_and_saveexec_b64 s[44:45], s[46:47]
	s_cbranch_execz .LBB244_166
; %bb.161:                              ;   in Loop: Header=BB244_10 Depth=1
	v_cmp_ne_u16_sdwa s[48:49], v98, s54 src0_sel:BYTE_1 src1_sel:DWORD
	v_pk_mov_b32 v[94:95], s[14:15], s[14:15] op_sel:[0,1]
	s_and_saveexec_b64 s[46:47], s[48:49]
	s_cbranch_execz .LBB244_165
; %bb.162:                              ;   in Loop: Header=BB244_10 Depth=1
	v_and_b32_sdwa v99, v98, s55 dst_sel:DWORD dst_unused:UNUSED_PAD src0_sel:BYTE_1 src1_sel:DWORD
	s_mov_b32 s42, s14
	v_cmp_ne_u32_e32 vcc, s55, v99
	v_pk_mov_b32 v[94:95], s[42:43], s[42:43] op_sel:[0,1]
	s_and_saveexec_b64 s[48:49], vcc
	s_cbranch_execz .LBB244_164
; %bb.163:                              ;   in Loop: Header=BB244_10 Depth=1
	v_and_b32_sdwa v36, v98, v116 dst_sel:DWORD dst_unused:UNUSED_PAD src0_sel:BYTE_1 src1_sel:DWORD
	v_ffbh_u32_e32 v94, v36
	v_min_u32_e32 v101, 32, v94
	v_subrev_u32_e32 v94, 28, v101
	v_lshlrev_b64 v[94:95], v94, v[36:37]
	v_lshrrev_b32_e32 v100, 3, v99
	v_sub_u32_e32 v95, 29, v101
	v_cmp_gt_u32_e32 vcc, 8, v99
	v_and_b32_e32 v94, 7, v94
	v_cndmask_b32_e32 v95, v100, v95, vcc
	v_cndmask_b32_e32 v36, v36, v94, vcc
	v_lshlrev_b32_e32 v94, 16, v98
	v_lshl_add_u32 v95, v95, 23, v115
	v_and_or_b32 v94, v94, s15, v95
	v_lshlrev_b32_e32 v36, 20, v36
	v_or_b32_e32 v95, v94, v36
	v_mov_b32_e32 v94, v37
.LBB244_164:                            ;   in Loop: Header=BB244_10 Depth=1
	s_or_b64 exec, exec, s[48:49]
.LBB244_165:                            ;   in Loop: Header=BB244_10 Depth=1
	s_or_b64 exec, exec, s[46:47]
.LBB244_166:                            ;   in Loop: Header=BB244_10 Depth=1
	s_or_b64 exec, exec, s[44:45]
	global_load_ushort v36, v[56:57], off offset:1540
	v_pk_mov_b32 v[98:99], 0, 0
	v_pk_mov_b32 v[100:101], v[98:99], v[98:99] op_sel:[0,1]
	s_waitcnt vmcnt(0)
	v_and_b32_e32 v102, 0xffff, v36
	v_cmp_ne_u16_sdwa s[46:47], v36, v37 src0_sel:BYTE_0 src1_sel:DWORD
	s_and_saveexec_b64 s[44:45], s[46:47]
	s_cbranch_execz .LBB244_172
; %bb.167:                              ;   in Loop: Header=BB244_10 Depth=1
	v_bfrev_b32_e32 v100, 1
	v_cmp_ne_u16_sdwa s[48:49], v102, s54 src0_sel:BYTE_0 src1_sel:DWORD
	v_mov_b32_e32 v101, 0
	s_and_saveexec_b64 s[46:47], s[48:49]
	s_cbranch_execz .LBB244_171
; %bb.168:                              ;   in Loop: Header=BB244_10 Depth=1
	v_and_b32_e32 v36, 0x7f, v102
	v_mov_b32_e32 v100, 0x7f800001
	v_cmp_ne_u32_e32 vcc, s55, v36
	v_mov_b32_e32 v101, 0
	s_and_saveexec_b64 s[48:49], vcc
	s_cbranch_execz .LBB244_170
; %bb.169:                              ;   in Loop: Header=BB244_10 Depth=1
	v_and_b32_e32 v103, 7, v102
	v_ffbh_u32_e32 v100, v103
	v_min_u32_e32 v105, 32, v100
	v_subrev_u32_e32 v100, 28, v105
	v_lshlrev_b64 v[100:101], v100, v[102:103]
	v_lshrrev_b32_e32 v104, 3, v36
	v_sub_u32_e32 v101, 29, v105
	v_and_b32_e32 v100, 7, v100
	v_cmp_gt_u32_e32 vcc, 8, v36
	v_cndmask_b32_e32 v36, v104, v101, vcc
	v_cndmask_b32_e32 v100, v103, v100, vcc
	v_lshlrev_b32_e32 v100, 20, v100
	v_and_b32_sdwa v101, sext(v102), s15 dst_sel:DWORD dst_unused:UNUSED_PAD src0_sel:BYTE_0 src1_sel:DWORD
	v_lshl_add_u32 v36, v36, 23, v115
	v_or3_b32 v36, v101, v36, v100
	v_pk_mov_b32 v[100:101], v[36:37], v[36:37] op_sel:[0,1]
.LBB244_170:                            ;   in Loop: Header=BB244_10 Depth=1
	s_or_b64 exec, exec, s[48:49]
.LBB244_171:                            ;   in Loop: Header=BB244_10 Depth=1
	s_or_b64 exec, exec, s[46:47]
.LBB244_172:                            ;   in Loop: Header=BB244_10 Depth=1
	s_or_b64 exec, exec, s[44:45]
	v_cmp_ne_u16_sdwa s[46:47], v102, v37 src0_sel:BYTE_1 src1_sel:DWORD
	s_and_saveexec_b64 s[44:45], s[46:47]
	s_cbranch_execz .LBB244_178
; %bb.173:                              ;   in Loop: Header=BB244_10 Depth=1
	v_cmp_ne_u16_sdwa s[48:49], v102, s54 src0_sel:BYTE_1 src1_sel:DWORD
	v_pk_mov_b32 v[98:99], s[14:15], s[14:15] op_sel:[0,1]
	s_and_saveexec_b64 s[46:47], s[48:49]
	s_cbranch_execz .LBB244_177
; %bb.174:                              ;   in Loop: Header=BB244_10 Depth=1
	v_and_b32_sdwa v103, v102, s55 dst_sel:DWORD dst_unused:UNUSED_PAD src0_sel:BYTE_1 src1_sel:DWORD
	s_mov_b32 s42, s14
	v_cmp_ne_u32_e32 vcc, s55, v103
	v_pk_mov_b32 v[98:99], s[42:43], s[42:43] op_sel:[0,1]
	s_and_saveexec_b64 s[48:49], vcc
	s_cbranch_execz .LBB244_176
; %bb.175:                              ;   in Loop: Header=BB244_10 Depth=1
	v_and_b32_sdwa v36, v102, v116 dst_sel:DWORD dst_unused:UNUSED_PAD src0_sel:BYTE_1 src1_sel:DWORD
	v_ffbh_u32_e32 v98, v36
	v_min_u32_e32 v105, 32, v98
	v_subrev_u32_e32 v98, 28, v105
	v_lshlrev_b64 v[98:99], v98, v[36:37]
	v_lshrrev_b32_e32 v104, 3, v103
	v_sub_u32_e32 v99, 29, v105
	v_cmp_gt_u32_e32 vcc, 8, v103
	v_and_b32_e32 v98, 7, v98
	v_cndmask_b32_e32 v99, v104, v99, vcc
	v_cndmask_b32_e32 v36, v36, v98, vcc
	v_lshlrev_b32_e32 v98, 16, v102
	v_lshl_add_u32 v99, v99, 23, v115
	v_and_or_b32 v98, v98, s15, v99
	v_lshlrev_b32_e32 v36, 20, v36
	v_or_b32_e32 v99, v98, v36
	v_mov_b32_e32 v98, v37
.LBB244_176:                            ;   in Loop: Header=BB244_10 Depth=1
	s_or_b64 exec, exec, s[48:49]
.LBB244_177:                            ;   in Loop: Header=BB244_10 Depth=1
	s_or_b64 exec, exec, s[46:47]
.LBB244_178:                            ;   in Loop: Header=BB244_10 Depth=1
	s_or_b64 exec, exec, s[44:45]
	v_add_co_u32_e32 v104, vcc, 0x600, v56
	v_addc_co_u32_e32 v105, vcc, 0, v57, vcc
	global_load_ushort v36, v[104:105], off offset:8
	v_pk_mov_b32 v[56:57], 0, 0
	v_pk_mov_b32 v[102:103], v[56:57], v[56:57] op_sel:[0,1]
	s_waitcnt vmcnt(0)
	v_and_b32_e32 v106, 0xffff, v36
	v_cmp_ne_u16_sdwa s[46:47], v36, v37 src0_sel:BYTE_0 src1_sel:DWORD
	s_and_saveexec_b64 s[44:45], s[46:47]
	s_cbranch_execz .LBB244_184
; %bb.179:                              ;   in Loop: Header=BB244_10 Depth=1
	v_bfrev_b32_e32 v102, 1
	v_cmp_ne_u16_sdwa s[48:49], v106, s54 src0_sel:BYTE_0 src1_sel:DWORD
	v_mov_b32_e32 v103, 0
	s_and_saveexec_b64 s[46:47], s[48:49]
	s_cbranch_execz .LBB244_183
; %bb.180:                              ;   in Loop: Header=BB244_10 Depth=1
	v_and_b32_e32 v36, 0x7f, v106
	v_mov_b32_e32 v102, 0x7f800001
	v_cmp_ne_u32_e32 vcc, s55, v36
	v_mov_b32_e32 v103, 0
	s_and_saveexec_b64 s[48:49], vcc
	s_cbranch_execz .LBB244_182
; %bb.181:                              ;   in Loop: Header=BB244_10 Depth=1
	v_and_b32_e32 v107, 7, v106
	v_ffbh_u32_e32 v102, v107
	v_min_u32_e32 v118, 32, v102
	v_subrev_u32_e32 v102, 28, v118
	v_lshlrev_b64 v[102:103], v102, v[106:107]
	v_lshrrev_b32_e32 v108, 3, v36
	v_sub_u32_e32 v103, 29, v118
	v_and_b32_e32 v102, 7, v102
	v_cmp_gt_u32_e32 vcc, 8, v36
	v_cndmask_b32_e32 v36, v108, v103, vcc
	v_cndmask_b32_e32 v102, v107, v102, vcc
	v_lshlrev_b32_e32 v102, 20, v102
	v_and_b32_sdwa v103, sext(v106), s15 dst_sel:DWORD dst_unused:UNUSED_PAD src0_sel:BYTE_0 src1_sel:DWORD
	v_lshl_add_u32 v36, v36, 23, v115
	v_or3_b32 v36, v103, v36, v102
	v_pk_mov_b32 v[102:103], v[36:37], v[36:37] op_sel:[0,1]
.LBB244_182:                            ;   in Loop: Header=BB244_10 Depth=1
	s_or_b64 exec, exec, s[48:49]
.LBB244_183:                            ;   in Loop: Header=BB244_10 Depth=1
	s_or_b64 exec, exec, s[46:47]
.LBB244_184:                            ;   in Loop: Header=BB244_10 Depth=1
	s_or_b64 exec, exec, s[44:45]
	v_cmp_ne_u16_sdwa s[46:47], v106, v37 src0_sel:BYTE_1 src1_sel:DWORD
	s_and_saveexec_b64 s[44:45], s[46:47]
	s_cbranch_execz .LBB244_190
; %bb.185:                              ;   in Loop: Header=BB244_10 Depth=1
	v_cmp_ne_u16_sdwa s[48:49], v106, s54 src0_sel:BYTE_1 src1_sel:DWORD
	v_pk_mov_b32 v[56:57], s[14:15], s[14:15] op_sel:[0,1]
	s_and_saveexec_b64 s[46:47], s[48:49]
	s_cbranch_execz .LBB244_189
; %bb.186:                              ;   in Loop: Header=BB244_10 Depth=1
	v_and_b32_sdwa v107, v106, s55 dst_sel:DWORD dst_unused:UNUSED_PAD src0_sel:BYTE_1 src1_sel:DWORD
	s_mov_b32 s42, s14
	v_cmp_ne_u32_e32 vcc, s55, v107
	v_pk_mov_b32 v[56:57], s[42:43], s[42:43] op_sel:[0,1]
	s_and_saveexec_b64 s[48:49], vcc
	s_cbranch_execz .LBB244_188
; %bb.187:                              ;   in Loop: Header=BB244_10 Depth=1
	v_and_b32_sdwa v36, v106, v116 dst_sel:DWORD dst_unused:UNUSED_PAD src0_sel:BYTE_1 src1_sel:DWORD
	v_ffbh_u32_e32 v56, v36
	v_min_u32_e32 v118, 32, v56
	v_subrev_u32_e32 v56, 28, v118
	v_lshlrev_b64 v[56:57], v56, v[36:37]
	v_lshrrev_b32_e32 v108, 3, v107
	v_sub_u32_e32 v57, 29, v118
	v_cmp_gt_u32_e32 vcc, 8, v107
	v_and_b32_e32 v56, 7, v56
	v_cndmask_b32_e32 v57, v108, v57, vcc
	v_cndmask_b32_e32 v36, v36, v56, vcc
	v_lshlrev_b32_e32 v56, 16, v106
	v_lshl_add_u32 v57, v57, 23, v115
	v_and_or_b32 v56, v56, s15, v57
	v_lshlrev_b32_e32 v36, 20, v36
	v_or_b32_e32 v57, v56, v36
	v_mov_b32_e32 v56, v37
.LBB244_188:                            ;   in Loop: Header=BB244_10 Depth=1
	s_or_b64 exec, exec, s[48:49]
.LBB244_189:                            ;   in Loop: Header=BB244_10 Depth=1
	s_or_b64 exec, exec, s[46:47]
.LBB244_190:                            ;   in Loop: Header=BB244_10 Depth=1
	s_or_b64 exec, exec, s[44:45]
	global_load_ushort v36, v[104:105], off offset:12
	v_pk_mov_b32 v[104:105], 0, 0
	v_pk_mov_b32 v[106:107], v[104:105], v[104:105] op_sel:[0,1]
	s_waitcnt vmcnt(0)
	v_and_b32_e32 v108, 0xffff, v36
	v_cmp_ne_u16_sdwa s[46:47], v36, v37 src0_sel:BYTE_0 src1_sel:DWORD
	s_and_saveexec_b64 s[44:45], s[46:47]
	s_cbranch_execz .LBB244_196
; %bb.191:                              ;   in Loop: Header=BB244_10 Depth=1
	v_bfrev_b32_e32 v106, 1
	v_cmp_ne_u16_sdwa s[48:49], v108, s54 src0_sel:BYTE_0 src1_sel:DWORD
	v_mov_b32_e32 v107, 0
	s_and_saveexec_b64 s[46:47], s[48:49]
	s_cbranch_execz .LBB244_195
; %bb.192:                              ;   in Loop: Header=BB244_10 Depth=1
	v_and_b32_e32 v36, 0x7f, v108
	v_mov_b32_e32 v106, 0x7f800001
	v_cmp_ne_u32_e32 vcc, s55, v36
	v_mov_b32_e32 v107, 0
	s_and_saveexec_b64 s[48:49], vcc
	s_cbranch_execz .LBB244_194
; %bb.193:                              ;   in Loop: Header=BB244_10 Depth=1
	v_and_b32_e32 v118, 7, v108
	v_ffbh_u32_e32 v106, v118
	v_min_u32_e32 v120, 32, v106
	v_subrev_u32_e32 v106, 28, v120
	v_lshlrev_b64 v[106:107], v106, v[108:109]
	v_lshrrev_b32_e32 v119, 3, v36
	v_sub_u32_e32 v107, 29, v120
	v_and_b32_e32 v106, 7, v106
	v_cmp_gt_u32_e32 vcc, 8, v36
	v_cndmask_b32_e32 v36, v119, v107, vcc
	v_cndmask_b32_e32 v106, v118, v106, vcc
	v_lshlrev_b32_e32 v106, 20, v106
	v_and_b32_sdwa v107, sext(v108), s15 dst_sel:DWORD dst_unused:UNUSED_PAD src0_sel:BYTE_0 src1_sel:DWORD
	v_lshl_add_u32 v36, v36, 23, v115
	v_or3_b32 v36, v107, v36, v106
	v_pk_mov_b32 v[106:107], v[36:37], v[36:37] op_sel:[0,1]
.LBB244_194:                            ;   in Loop: Header=BB244_10 Depth=1
	s_or_b64 exec, exec, s[48:49]
.LBB244_195:                            ;   in Loop: Header=BB244_10 Depth=1
	s_or_b64 exec, exec, s[46:47]
.LBB244_196:                            ;   in Loop: Header=BB244_10 Depth=1
	s_or_b64 exec, exec, s[44:45]
	v_cmp_ne_u16_sdwa s[46:47], v108, v37 src0_sel:BYTE_1 src1_sel:DWORD
	s_and_saveexec_b64 s[44:45], s[46:47]
	s_cbranch_execz .LBB244_202
; %bb.197:                              ;   in Loop: Header=BB244_10 Depth=1
	v_cmp_ne_u16_sdwa s[48:49], v108, s54 src0_sel:BYTE_1 src1_sel:DWORD
	v_pk_mov_b32 v[104:105], s[14:15], s[14:15] op_sel:[0,1]
	s_and_saveexec_b64 s[46:47], s[48:49]
	s_cbranch_execz .LBB244_201
; %bb.198:                              ;   in Loop: Header=BB244_10 Depth=1
	v_and_b32_sdwa v118, v108, s55 dst_sel:DWORD dst_unused:UNUSED_PAD src0_sel:BYTE_1 src1_sel:DWORD
	s_mov_b32 s42, s14
	v_cmp_ne_u32_e32 vcc, s55, v118
	v_pk_mov_b32 v[104:105], s[42:43], s[42:43] op_sel:[0,1]
	s_and_saveexec_b64 s[48:49], vcc
	s_cbranch_execz .LBB244_200
; %bb.199:                              ;   in Loop: Header=BB244_10 Depth=1
	v_and_b32_sdwa v36, v108, v116 dst_sel:DWORD dst_unused:UNUSED_PAD src0_sel:BYTE_1 src1_sel:DWORD
	v_ffbh_u32_e32 v104, v36
	v_min_u32_e32 v120, 32, v104
	v_subrev_u32_e32 v104, 28, v120
	v_lshlrev_b64 v[104:105], v104, v[36:37]
	v_lshrrev_b32_e32 v119, 3, v118
	v_sub_u32_e32 v105, 29, v120
	v_cmp_gt_u32_e32 vcc, 8, v118
	v_and_b32_e32 v104, 7, v104
	v_cndmask_b32_e32 v105, v119, v105, vcc
	v_cndmask_b32_e32 v36, v36, v104, vcc
	v_lshlrev_b32_e32 v104, 16, v108
	v_lshl_add_u32 v105, v105, 23, v115
	v_and_or_b32 v104, v104, s15, v105
	v_lshlrev_b32_e32 v36, 20, v36
	v_or_b32_e32 v105, v104, v36
	v_mov_b32_e32 v104, v37
.LBB244_200:                            ;   in Loop: Header=BB244_10 Depth=1
	s_or_b64 exec, exec, s[48:49]
.LBB244_201:                            ;   in Loop: Header=BB244_10 Depth=1
	s_or_b64 exec, exec, s[46:47]
.LBB244_202:                            ;   in Loop: Header=BB244_10 Depth=1
	s_or_b64 exec, exec, s[44:45]
	v_or_b32_e32 v49, v49, v51
	v_or_b32_e32 v48, v48, v50
	v_pk_mul_f32 v[48:49], s[16:17], v[48:49]
	v_or_b32_e32 v45, v45, v47
	v_or_b32_e32 v44, v44, v46
	v_pk_mul_f32 v[44:45], s[16:17], v[44:45]
	v_mul_f32_e32 v36, v4, v48
	v_or_b32_e32 v53, v53, v55
	v_or_b32_e32 v52, v52, v54
	v_fmac_f32_e32 v36, v2, v44
	v_mul_f32_e32 v44, v5, v49
	v_or_b32_e32 v59, v59, v61
	v_or_b32_e32 v58, v58, v60
	v_pk_mul_f32 v[52:53], s[16:17], v[52:53]
	v_fmac_f32_e32 v44, v3, v45
	v_or_b32_e32 v63, v63, v65
	v_or_b32_e32 v62, v62, v64
	v_pk_mul_f32 v[58:59], s[16:17], v[58:59]
	v_fmac_f32_e32 v36, v6, v52
	v_fmac_f32_e32 v44, v7, v53
	v_or_b32_e32 v67, v67, v69
	v_or_b32_e32 v66, v66, v68
	v_pk_mul_f32 v[62:63], s[16:17], v[62:63]
	v_fmac_f32_e32 v36, v8, v58
	;; [unrolled: 5-line block ×11, first 2 shown]
	v_fmac_f32_e32 v44, v27, v95
	v_pk_mul_f32 v[56:57], s[16:17], v[56:57]
	v_or_b32_e32 v47, v105, v107
	v_or_b32_e32 v46, v104, v106
	v_fmac_f32_e32 v36, v28, v98
	v_fmac_f32_e32 v44, v29, v99
	v_pk_mul_f32 v[46:47], s[16:17], v[46:47]
	v_fmac_f32_e32 v36, v30, v56
	v_fmac_f32_e32 v44, v31, v57
	v_fmac_f32_e32 v36, v32, v46
	v_fmac_f32_e32 v44, v33, v47
	v_add_f32_e32 v36, v36, v44
	ds_bpermute_b32 v44, v112, v36
	s_and_saveexec_b64 s[44:45], s[2:3]
	s_cbranch_execz .LBB244_9
; %bb.203:                              ;   in Loop: Header=BB244_10 Depth=1
	v_add_u32_e32 v45, s53, v113
	v_cvt_f32_i32_e32 v45, v45
	s_waitcnt lgkmcnt(0)
	v_add_f32_e32 v36, v36, v44
	v_cmp_gt_i32_e32 vcc, s29, v113
	v_max_f32_e32 v44, v1, v1
	v_mul_f32_e32 v45, s51, v45
	v_cndmask_b32_e64 v45, 0, v45, s[4:5]
	v_fmac_f32_e32 v45, s11, v36
	v_cndmask_b32_e32 v36, 0, v45, vcc
	ds_write_b32 v114, v36
	v_max_f32_e32 v36, v44, v45
	v_cndmask_b32_e32 v1, v1, v36, vcc
	s_branch .LBB244_9
.LBB244_204:
	s_or_b64 exec, exec, s[40:41]
.LBB244_205:
	s_or_b64 exec, exec, s[38:39]
	v_xor_b32_e32 v2, 32, v110
	v_cmp_lt_i32_e32 vcc, v2, v111
	v_cndmask_b32_e32 v2, v110, v2, vcc
	v_lshlrev_b32_e32 v2, 2, v2
	ds_bpermute_b32 v3, v2, v1
	v_xor_b32_e32 v4, 16, v110
	v_max_f32_e32 v1, v1, v1
	v_cmp_lt_i32_e32 vcc, v4, v111
	v_xor_b32_e32 v5, 8, v110
	s_waitcnt lgkmcnt(0)
	v_max_f32_e32 v3, v3, v3
	v_max_f32_e32 v1, v1, v3
	v_cndmask_b32_e32 v3, v110, v4, vcc
	v_lshlrev_b32_e32 v3, 2, v3
	ds_bpermute_b32 v4, v3, v1
	v_cmp_lt_i32_e32 vcc, v5, v111
	v_xor_b32_e32 v6, 4, v110
	s_waitcnt lgkmcnt(0)
	v_max_f32_e32 v4, v4, v4
	v_max_f32_e32 v1, v1, v4
	v_cndmask_b32_e32 v4, v110, v5, vcc
	v_lshlrev_b32_e32 v5, 2, v4
	ds_bpermute_b32 v4, v5, v1
	v_cmp_lt_i32_e32 vcc, v6, v111
	s_waitcnt lgkmcnt(0)
	v_max_f32_e32 v4, v4, v4
	v_max_f32_e32 v1, v1, v4
	v_cndmask_b32_e32 v4, v110, v6, vcc
	v_lshlrev_b32_e32 v61, 2, v4
	ds_bpermute_b32 v4, v61, v1
	v_xor_b32_e32 v6, 2, v110
	v_cmp_lt_i32_e32 vcc, v6, v111
	s_waitcnt lgkmcnt(0)
	v_max_f32_e32 v4, v4, v4
	v_max_f32_e32 v4, v1, v4
	v_cndmask_b32_e32 v1, v110, v6, vcc
	v_lshlrev_b32_e32 v60, 2, v1
	ds_bpermute_b32 v7, v60, v4
	v_and_b32_e32 v1, 63, v0
	v_cmp_eq_u32_e32 vcc, 0, v1
	v_lshlrev_b32_e32 v6, 2, v109
	s_and_saveexec_b64 s[2:3], vcc
	s_cbranch_execz .LBB244_207
; %bb.206:
	s_waitcnt lgkmcnt(0)
	v_max_f32_e32 v7, v7, v7
	v_max_f32_e32 v4, v4, v4
	;; [unrolled: 1-line block ×3, first 2 shown]
	ds_write_b32 v6, v4 offset:256
.LBB244_207:
	s_or_b64 exec, exec, s[2:3]
	v_cmp_gt_u32_e64 s[2:3], 2, v1
	v_mov_b32_e32 v4, 0xff7fffff
	s_waitcnt lgkmcnt(0)
	v_lshlrev_b32_e32 v7, 2, v1
	s_barrier
	s_and_saveexec_b64 s[4:5], s[2:3]
	s_cbranch_execz .LBB244_209
; %bb.208:
	ds_read_b32 v4, v7 offset:256
.LBB244_209:
	s_or_b64 exec, exec, s[4:5]
	v_xor_b32_e32 v8, 1, v110
	v_cmp_lt_i32_e64 s[4:5], v8, v111
	v_cndmask_b32_e64 v8, v110, v8, s[4:5]
	v_lshlrev_b32_e32 v62, 2, v8
	s_waitcnt lgkmcnt(0)
	ds_bpermute_b32 v8, v62, v4
	v_max_f32_e32 v4, v4, v4
	s_sub_i32 s4, s33, s10
	s_lshl_b32 s4, s4, 5
	s_add_i32 s4, s4, s50
	s_waitcnt lgkmcnt(0)
	v_max_f32_e32 v8, v8, v8
	v_max_f32_e32 v4, v4, v8
	v_lshlrev_b32_e32 v8, 2, v110
	v_and_b32_e32 v8, 0xffffff00, v8
	ds_bpermute_b32 v4, v8, v4
	s_min_i32 s39, s4, s29
	s_sub_i32 s38, s39, s50
	v_cmp_gt_i32_e64 s[4:5], s38, v0
	v_mov_b32_e32 v9, 0
	s_and_saveexec_b64 s[14:15], s[4:5]
	s_cbranch_execz .LBB244_213
; %bb.210:
	v_mov_b32_e32 v9, 0x110
	v_lshl_add_u32 v10, v0, 2, v9
	s_mov_b64 s[16:17], 0
	v_mov_b32_e32 v9, 0
	v_mov_b32_e32 v11, v0
.LBB244_211:                            ; =>This Inner Loop Header: Depth=1
	ds_read_b32 v12, v10
	v_add_u32_e32 v11, 0x80, v11
	v_cmp_le_i32_e64 s[10:11], s38, v11
	s_or_b64 s[16:17], s[10:11], s[16:17]
	s_waitcnt lgkmcnt(0)
	v_sub_f32_e32 v12, v12, v4
	v_mul_f32_e32 v12, 0x3fb8aa3b, v12
	v_exp_f32_e32 v12, v12
	ds_write_b32 v10, v12
	v_add_f32_e32 v9, v9, v12
	v_add_u32_e32 v10, 0x200, v10
	s_andn2_b64 exec, exec, s[16:17]
	s_cbranch_execnz .LBB244_211
; %bb.212:
	s_or_b64 exec, exec, s[16:17]
.LBB244_213:
	s_or_b64 exec, exec, s[14:15]
	ds_bpermute_b32 v2, v2, v9
	s_waitcnt lgkmcnt(0)
	v_add_f32_e32 v2, v9, v2
	ds_bpermute_b32 v3, v3, v2
	s_waitcnt lgkmcnt(0)
	v_add_f32_e32 v2, v2, v3
	ds_bpermute_b32 v3, v5, v2
	s_waitcnt lgkmcnt(0)
	v_add_f32_e32 v2, v2, v3
	ds_bpermute_b32 v3, v61, v2
	s_waitcnt lgkmcnt(0)
	v_add_f32_e32 v2, v2, v3
	ds_bpermute_b32 v3, v60, v2
	s_waitcnt lgkmcnt(0)
	v_add_f32_e32 v2, v2, v3
	ds_bpermute_b32 v3, v62, v2
	s_waitcnt lgkmcnt(0)
	v_add_f32_e32 v2, v2, v3
	s_and_saveexec_b64 s[10:11], vcc
	s_cbranch_execz .LBB244_215
; %bb.214:
	ds_write_b32 v6, v2 offset:264
.LBB244_215:
	s_or_b64 exec, exec, s[10:11]
	s_waitcnt lgkmcnt(0)
	s_barrier
	s_and_saveexec_b64 s[10:11], s[2:3]
	s_cbranch_execz .LBB244_217
; %bb.216:
	ds_read_b32 v2, v7 offset:264
.LBB244_217:
	s_or_b64 exec, exec, s[10:11]
	s_waitcnt lgkmcnt(0)
	ds_bpermute_b32 v3, v62, v2
	s_waitcnt lgkmcnt(0)
	v_add_f32_e32 v2, v2, v3
	ds_bpermute_b32 v5, v8, v2
	s_and_saveexec_b64 s[2:3], s[4:5]
	s_cbranch_execz .LBB244_230
; %bb.218:
	s_waitcnt lgkmcnt(0)
	v_add_f32_e32 v2, 0x358637bd, v5
	v_div_scale_f32 v3, s[4:5], v2, v2, 1.0
	v_rcp_f32_e32 v6, v3
	v_div_scale_f32 v7, vcc, 1.0, v2, 1.0
	s_movk_i32 s4, 0x7f
	v_fma_f32 v8, -v3, v6, 1.0
	v_fmac_f32_e32 v6, v8, v6
	v_mul_f32_e32 v8, v7, v6
	v_fma_f32 v9, -v3, v8, v7
	v_fmac_f32_e32 v8, v9, v6
	v_fma_f32 v3, -v3, v8, v7
	v_div_fmas_f32 v3, v3, v6, v8
	v_div_fixup_f32 v2, v3, v2, 1.0
	v_xad_u32 v3, v0, -1, s39
	v_subrev_u32_e32 v6, s50, v3
	v_cmp_lt_u32_e32 vcc, s4, v6
	s_mov_b64 s[10:11], -1
	v_mov_b32_e32 v3, v0
	s_and_saveexec_b64 s[4:5], vcc
	s_cbranch_execz .LBB244_227
; %bb.219:
	v_lshrrev_b32_e32 v6, 7, v6
	v_add_u32_e32 v8, -1, v6
	v_lshrrev_b32_e32 v7, 1, v8
	v_mov_b32_e32 v3, v2
	v_add_u32_e32 v7, 1, v7
	v_cmp_lt_u32_e32 vcc, 13, v8
	v_mov_b32_e32 v10, 0
	s_and_saveexec_b64 s[10:11], vcc
	s_cbranch_execz .LBB244_223
; %bb.220:
	v_mov_b32_e32 v9, 0x110
	v_and_b32_e32 v8, -8, v7
	v_lshl_add_u32 v9, v0, 2, v9
	s_mov_b32 s16, 0
	s_mov_b64 s[14:15], 0
.LBB244_221:                            ; =>This Inner Loop Header: Depth=1
	ds_read2st64_b32 v[10:11], v9 offset1:2
	ds_read2st64_b32 v[12:13], v9 offset0:4 offset1:6
	ds_read2st64_b32 v[14:15], v9 offset0:8 offset1:10
	;; [unrolled: 1-line block ×3, first 2 shown]
	v_add_u32_e32 v8, -8, v8
	s_waitcnt lgkmcnt(3)
	v_pk_mul_f32 v[10:11], v[2:3], v[10:11]
	s_waitcnt lgkmcnt(2)
	v_pk_mul_f32 v[12:13], v[2:3], v[12:13]
	ds_write2st64_b32 v9, v10, v11 offset1:2
	ds_write2st64_b32 v9, v12, v13 offset0:4 offset1:6
	ds_read2st64_b32 v[12:13], v9 offset0:16 offset1:18
	s_waitcnt lgkmcnt(4)
	v_pk_mul_f32 v[10:11], v[2:3], v[14:15]
	ds_write2st64_b32 v9, v10, v11 offset0:8 offset1:10
	s_waitcnt lgkmcnt(4)
	v_pk_mul_f32 v[10:11], v[2:3], v[16:17]
	ds_write2st64_b32 v9, v10, v11 offset0:12 offset1:14
	ds_read2st64_b32 v[10:11], v9 offset0:20 offset1:22
	s_waitcnt lgkmcnt(3)
	v_pk_mul_f32 v[12:13], v[2:3], v[12:13]
	ds_read2st64_b32 v[14:15], v9 offset0:24 offset1:26
	ds_write2st64_b32 v9, v12, v13 offset0:16 offset1:18
	ds_read2st64_b32 v[12:13], v9 offset0:28 offset1:30
	s_waitcnt lgkmcnt(3)
	v_pk_mul_f32 v[10:11], v[2:3], v[10:11]
	ds_write2st64_b32 v9, v10, v11 offset0:20 offset1:22
	s_waitcnt lgkmcnt(3)
	v_pk_mul_f32 v[10:11], v[2:3], v[14:15]
	ds_write2st64_b32 v9, v10, v11 offset0:24 offset1:26
	s_waitcnt lgkmcnt(2)
	v_pk_mul_f32 v[10:11], v[2:3], v[12:13]
	s_add_i32 s16, s16, 16
	v_cmp_eq_u32_e32 vcc, 0, v8
	ds_write2st64_b32 v9, v10, v11 offset0:28 offset1:30
	v_add_u32_e32 v9, 0x2000, v9
	s_or_b64 s[14:15], vcc, s[14:15]
	v_mov_b32_e32 v10, s16
	s_andn2_b64 exec, exec, s[14:15]
	s_cbranch_execnz .LBB244_221
; %bb.222:
	s_or_b64 exec, exec, s[14:15]
.LBB244_223:
	s_or_b64 exec, exec, s[10:11]
	v_and_b32_e32 v7, 7, v7
	v_cmp_ne_u32_e32 vcc, 0, v7
	s_and_saveexec_b64 s[10:11], vcc
	s_cbranch_execz .LBB244_226
; %bb.224:
	v_lshlrev_b32_e32 v8, 9, v10
	s_movk_i32 s14, 0x110
	v_add3_u32 v8, v8, v41, s14
	s_mov_b64 s[14:15], 0
.LBB244_225:                            ; =>This Inner Loop Header: Depth=1
	ds_read2st64_b32 v[10:11], v8 offset1:2
	v_add_u32_e32 v7, -1, v7
	v_cmp_eq_u32_e32 vcc, 0, v7
	s_or_b64 s[14:15], vcc, s[14:15]
	s_waitcnt lgkmcnt(0)
	v_pk_mul_f32 v[10:11], v[2:3], v[10:11]
	ds_write2st64_b32 v8, v10, v11 offset1:2
	v_add_u32_e32 v8, 0x400, v8
	s_andn2_b64 exec, exec, s[14:15]
	s_cbranch_execnz .LBB244_225
.LBB244_226:
	s_or_b64 exec, exec, s[10:11]
	v_add_u32_e32 v6, 1, v6
	v_and_b32_e32 v7, 0x3fffffe, v6
	v_cmp_ne_u32_e32 vcc, v6, v7
	v_lshl_add_u32 v3, v7, 7, v0
	s_orn2_b64 s[10:11], vcc, exec
.LBB244_227:
	s_or_b64 exec, exec, s[4:5]
	s_and_b64 exec, exec, s[10:11]
	s_cbranch_execz .LBB244_230
; %bb.228:
	v_mov_b32_e32 v6, 0x110
	v_lshl_add_u32 v6, v3, 2, v6
	s_mov_b64 s[4:5], 0
.LBB244_229:                            ; =>This Inner Loop Header: Depth=1
	ds_read_b32 v7, v6
	v_add_u32_e32 v3, 0x80, v3
	v_cmp_le_i32_e32 vcc, s38, v3
	s_or_b64 s[4:5], vcc, s[4:5]
	s_waitcnt lgkmcnt(0)
	v_mul_f32_e32 v7, v2, v7
	ds_write_b32 v6, v7
	v_add_u32_e32 v6, 0x200, v6
	s_andn2_b64 exec, exec, s[4:5]
	s_cbranch_execnz .LBB244_229
.LBB244_230:
	s_or_b64 exec, exec, s[2:3]
	s_mul_i32 s2, s25, s28
	v_cmp_eq_u32_e32 vcc, 0, v0
	s_mul_i32 s2, s2, s9
	s_waitcnt lgkmcnt(0)
	s_barrier
	s_and_saveexec_b64 s[4:5], vcc
	s_cbranch_execz .LBB244_232
; %bb.231:
	s_ashr_i32 s3, s2, 31
	s_lshl_b64 s[10:11], s[2:3], 2
	s_add_u32 s3, s22, s10
	s_mul_i32 s14, s25, s6
	s_addc_u32 s9, s23, s11
	s_ashr_i32 s15, s14, 31
	s_lshl_b64 s[14:15], s[14:15], 2
	s_add_u32 s3, s3, s14
	s_addc_u32 s6, s9, s15
	s_ashr_i32 s9, s8, 31
	s_lshl_b64 s[16:17], s[8:9], 2
	s_add_u32 s22, s3, s16
	s_addc_u32 s23, s6, s17
	s_add_u32 s3, s20, s10
	s_addc_u32 s6, s21, s11
	;; [unrolled: 2-line block ×3, first 2 shown]
	s_add_u32 s10, s3, s16
	v_mov_b32_e32 v2, 0
	s_addc_u32 s11, s6, s17
	global_store_dword v2, v4, s[22:23]
	global_store_dword v2, v5, s[10:11]
.LBB244_232:
	s_or_b64 exec, exec, s[4:5]
	s_mov_b32 s6, 0
	v_mov_b32_e32 v7, 0
	v_and_b32_e32 v63, 7, v0
	v_mov_b32_e32 v6, 0
	v_mov_b32_e32 v9, 0
	;; [unrolled: 1-line block ×7, first 2 shown]
	s_and_saveexec_b64 s[4:5], s[0:1]
	s_cbranch_execz .LBB244_444
; %bb.233:
	s_ashr_i32 s0, s12, 31
	s_add_u32 s1, s36, s12
	v_and_b32_e32 v3, 0xfc, v41
	v_and_b32_e32 v2, 28, v41
	s_load_dword s10, s[18:19], 0x0
	s_addc_u32 s0, s37, s0
	v_add_co_u32_e32 v16, vcc, s1, v3
	v_lshl_add_u32 v3, v109, 5, s50
	s_add_i32 s9, s7, -1
	v_mov_b32_e32 v4, s0
	v_add3_u32 v64, v3, v2, 3
	v_lshlrev_b32_e32 v2, 4, v63
	s_lshl_b64 s[0:1], s[34:35], 2
	v_lshl_or_b32 v2, v109, 7, v2
	s_add_u32 s0, s30, s0
	v_addc_co_u32_e32 v17, vcc, 0, v4, vcc
	v_add_u32_e32 v65, 0x110, v2
	v_lshlrev_b64 v[2:3], 2, v[34:35]
	s_addc_u32 s1, s31, s1
	v_mov_b32_e32 v4, s1
	v_add_co_u32_e32 v18, vcc, s0, v2
	s_mov_b32 s3, s13
	s_waitcnt lgkmcnt(0)
	s_mov_b32 s11, s10
	v_mov_b32_e32 v15, 0
	v_addc_co_u32_e32 v19, vcc, v4, v3, vcc
	s_mov_b64 s[12:13], 0
	s_movk_i32 s22, 0x80
	s_movk_i32 s23, 0x7f
	s_brev_b32 s7, 1
	s_mov_b32 s15, 0x7f800001
	s_mov_b32 s28, 0xffffff
	v_bfrev_b32_e32 v35, 60
	v_mov_b32_e32 v66, 7
	v_mov_b32_e32 v67, 24
	;; [unrolled: 1-line block ×10, first 2 shown]
	s_branch .LBB244_235
.LBB244_234:                            ;   in Loop: Header=BB244_235 Depth=1
	s_or_b64 exec, exec, s[0:1]
	s_waitcnt lgkmcnt(0)
	v_mul_f32_e32 v14, v3, v21
	v_fmac_f32_e32 v14, v2, v20
	v_fmac_f32_e32 v14, v4, v22
	v_fmac_f32_e32 v14, v5, v23
	v_add_f32_e32 v12, v12, v14
	v_mul_f32_e32 v14, v3, v27
	v_fmac_f32_e32 v14, v2, v26
	v_fmac_f32_e32 v14, v4, v28
	v_fmac_f32_e32 v14, v5, v29
	v_add_f32_e32 v13, v13, v14
	;; [unrolled: 5-line block ×6, first 2 shown]
	v_mul_f32_e32 v14, v3, v49
	v_mul_f32_e32 v3, v3, v25
	v_fmac_f32_e32 v14, v2, v48
	v_fmac_f32_e32 v3, v2, v24
	v_add_u32_e32 v34, 2, v34
	v_fmac_f32_e32 v14, v4, v50
	v_fmac_f32_e32 v3, v4, v52
	v_cmp_le_i32_e32 vcc, s33, v34
	v_fmac_f32_e32 v14, v5, v51
	v_fmac_f32_e32 v3, v5, v53
	s_or_b64 s[12:13], vcc, s[12:13]
	v_add_co_u32_e32 v18, vcc, 8, v18
	v_add_f32_e32 v6, v6, v14
	v_add_f32_e32 v7, v7, v3
	v_add_u32_e32 v64, 64, v64
	v_add_u32_e32 v65, 0x100, v65
	v_addc_co_u32_e32 v19, vcc, 0, v19, vcc
	s_andn2_b64 exec, exec, s[12:13]
	s_cbranch_execz .LBB244_443
.LBB244_235:                            ; =>This Inner Loop Header: Depth=1
	global_load_dword v2, v[18:19], off
	v_pk_mov_b32 v[26:27], 0, 0
	v_pk_mov_b32 v[22:23], v[26:27], v[26:27] op_sel:[0,1]
	s_waitcnt vmcnt(0)
	v_mad_i64_i32 v[24:25], s[0:1], v2, s3, v[16:17]
	global_load_dword v20, v[24:25], off
	ds_read_b128 v[2:5], v65
	s_waitcnt vmcnt(0)
	v_cmp_ne_u16_sdwa s[16:17], v20, v15 src0_sel:BYTE_0 src1_sel:DWORD
	s_and_saveexec_b64 s[0:1], s[16:17]
	s_cbranch_execz .LBB244_241
; %bb.236:                              ;   in Loop: Header=BB244_235 Depth=1
	v_bfrev_b32_e32 v22, 1
	v_cmp_ne_u16_sdwa s[18:19], v20, s22 src0_sel:BYTE_0 src1_sel:DWORD
	v_mov_b32_e32 v23, 0
	s_and_saveexec_b64 s[16:17], s[18:19]
	s_cbranch_execz .LBB244_240
; %bb.237:                              ;   in Loop: Header=BB244_235 Depth=1
	v_and_b32_e32 v14, 0x7f, v20
	v_mov_b32_e32 v22, 0x7f800001
	v_cmp_ne_u32_e32 vcc, s23, v14
	v_mov_b32_e32 v23, 0
	s_and_saveexec_b64 s[18:19], vcc
	s_cbranch_execz .LBB244_239
; %bb.238:                              ;   in Loop: Header=BB244_235 Depth=1
	v_and_b32_e32 v21, 7, v20
	v_ffbh_u32_e32 v22, v21
	v_min_u32_e32 v29, 32, v22
	v_subrev_u32_e32 v22, 28, v29
	v_lshlrev_b64 v[22:23], v22, v[20:21]
	v_lshrrev_b32_e32 v28, 3, v14
	v_sub_u32_e32 v23, 29, v29
	v_and_b32_e32 v22, 7, v22
	v_cmp_gt_u32_e32 vcc, 8, v14
	v_cndmask_b32_e32 v14, v28, v23, vcc
	v_cndmask_b32_e32 v21, v21, v22, vcc
	v_lshlrev_b32_e32 v21, 20, v21
	v_and_b32_sdwa v22, sext(v20), s7 dst_sel:DWORD dst_unused:UNUSED_PAD src0_sel:BYTE_0 src1_sel:DWORD
	v_lshl_add_u32 v14, v14, 23, v35
	v_or3_b32 v14, v22, v14, v21
	v_pk_mov_b32 v[22:23], v[14:15], v[14:15] op_sel:[0,1]
.LBB244_239:                            ;   in Loop: Header=BB244_235 Depth=1
	s_or_b64 exec, exec, s[18:19]
.LBB244_240:                            ;   in Loop: Header=BB244_235 Depth=1
	s_or_b64 exec, exec, s[16:17]
.LBB244_241:                            ;   in Loop: Header=BB244_235 Depth=1
	s_or_b64 exec, exec, s[0:1]
	v_cmp_ne_u16_sdwa s[16:17], v20, v15 src0_sel:BYTE_1 src1_sel:DWORD
	s_and_saveexec_b64 s[0:1], s[16:17]
	s_cbranch_execz .LBB244_247
; %bb.242:                              ;   in Loop: Header=BB244_235 Depth=1
	v_cmp_ne_u16_sdwa s[18:19], v20, s22 src0_sel:BYTE_1 src1_sel:DWORD
	v_pk_mov_b32 v[26:27], s[6:7], s[6:7] op_sel:[0,1]
	s_and_saveexec_b64 s[16:17], s[18:19]
	s_cbranch_execz .LBB244_246
; %bb.243:                              ;   in Loop: Header=BB244_235 Depth=1
	v_and_b32_sdwa v21, v20, s23 dst_sel:DWORD dst_unused:UNUSED_PAD src0_sel:BYTE_1 src1_sel:DWORD
	s_mov_b32 s14, s6
	v_cmp_ne_u32_e32 vcc, s23, v21
	v_pk_mov_b32 v[26:27], s[14:15], s[14:15] op_sel:[0,1]
	s_and_saveexec_b64 s[18:19], vcc
	s_cbranch_execz .LBB244_245
; %bb.244:                              ;   in Loop: Header=BB244_235 Depth=1
	v_and_b32_sdwa v14, v20, v66 dst_sel:DWORD dst_unused:UNUSED_PAD src0_sel:BYTE_1 src1_sel:DWORD
	v_ffbh_u32_e32 v26, v14
	v_min_u32_e32 v29, 32, v26
	v_subrev_u32_e32 v26, 28, v29
	v_lshlrev_b64 v[26:27], v26, v[14:15]
	v_lshrrev_b32_e32 v28, 3, v21
	v_sub_u32_e32 v27, 29, v29
	v_cmp_gt_u32_e32 vcc, 8, v21
	v_and_b32_e32 v26, 7, v26
	v_cndmask_b32_e32 v21, v28, v27, vcc
	v_cndmask_b32_e32 v14, v14, v26, vcc
	v_lshlrev_b32_e32 v26, 16, v20
	v_lshl_add_u32 v21, v21, 23, v35
	v_and_or_b32 v21, v26, s7, v21
	v_lshlrev_b32_e32 v14, 20, v14
	v_or_b32_e32 v27, v21, v14
	v_mov_b32_e32 v26, v15
.LBB244_245:                            ;   in Loop: Header=BB244_235 Depth=1
	s_or_b64 exec, exec, s[18:19]
.LBB244_246:                            ;   in Loop: Header=BB244_235 Depth=1
	s_or_b64 exec, exec, s[16:17]
.LBB244_247:                            ;   in Loop: Header=BB244_235 Depth=1
	s_or_b64 exec, exec, s[0:1]
	v_lshrrev_b32_e32 v14, 16, v20
	v_pk_mov_b32 v[30:31], 0, 0
	v_cmp_ne_u16_sdwa s[16:17], v14, v15 src0_sel:BYTE_0 src1_sel:DWORD
	v_pk_mov_b32 v[28:29], v[30:31], v[30:31] op_sel:[0,1]
	s_and_saveexec_b64 s[0:1], s[16:17]
	s_cbranch_execz .LBB244_253
; %bb.248:                              ;   in Loop: Header=BB244_235 Depth=1
	v_bfrev_b32_e32 v28, 1
	v_cmp_ne_u16_sdwa s[18:19], v14, s22 src0_sel:BYTE_0 src1_sel:DWORD
	v_mov_b32_e32 v29, 0
	s_and_saveexec_b64 s[16:17], s[18:19]
	s_cbranch_execz .LBB244_252
; %bb.249:                              ;   in Loop: Header=BB244_235 Depth=1
	v_bfe_u32 v21, v20, 16, 7
	v_mov_b32_e32 v28, 0x7f800001
	v_cmp_ne_u32_e32 vcc, s23, v21
	v_mov_b32_e32 v29, 0
	s_and_saveexec_b64 s[18:19], vcc
	s_cbranch_execz .LBB244_251
; %bb.250:                              ;   in Loop: Header=BB244_235 Depth=1
	v_and_b32_e32 v32, 7, v14
	v_ffbh_u32_e32 v28, v32
	v_min_u32_e32 v36, 32, v28
	v_subrev_u32_e32 v28, 28, v36
	v_lshlrev_b64 v[28:29], v28, v[14:15]
	v_lshrrev_b32_e32 v33, 3, v21
	v_sub_u32_e32 v29, 29, v36
	v_and_b32_e32 v28, 7, v28
	v_cmp_gt_u32_e32 vcc, 8, v21
	v_cndmask_b32_e32 v21, v33, v29, vcc
	v_cndmask_b32_e32 v28, v32, v28, vcc
	v_lshlrev_b32_e32 v28, 20, v28
	v_and_b32_sdwa v14, sext(v14), s7 dst_sel:DWORD dst_unused:UNUSED_PAD src0_sel:BYTE_0 src1_sel:DWORD
	v_lshl_add_u32 v21, v21, 23, v35
	v_or3_b32 v14, v14, v21, v28
	v_pk_mov_b32 v[28:29], v[14:15], v[14:15] op_sel:[0,1]
.LBB244_251:                            ;   in Loop: Header=BB244_235 Depth=1
	s_or_b64 exec, exec, s[18:19]
.LBB244_252:                            ;   in Loop: Header=BB244_235 Depth=1
	s_or_b64 exec, exec, s[16:17]
.LBB244_253:                            ;   in Loop: Header=BB244_235 Depth=1
	s_or_b64 exec, exec, s[0:1]
	v_cmp_lt_u32_e32 vcc, s28, v20
	s_and_saveexec_b64 s[0:1], vcc
	s_cbranch_execz .LBB244_259
; %bb.254:                              ;   in Loop: Header=BB244_235 Depth=1
	v_cmp_ne_u32_sdwa s[18:19], v20, s22 src0_sel:BYTE_3 src1_sel:DWORD
	v_pk_mov_b32 v[30:31], s[6:7], s[6:7] op_sel:[0,1]
	s_and_saveexec_b64 s[16:17], s[18:19]
	s_cbranch_execz .LBB244_258
; %bb.255:                              ;   in Loop: Header=BB244_235 Depth=1
	v_bfe_u32 v21, v20, 24, 7
	s_mov_b32 s14, s6
	v_cmp_ne_u32_e32 vcc, s23, v21
	v_pk_mov_b32 v[30:31], s[14:15], s[14:15] op_sel:[0,1]
	s_and_saveexec_b64 s[18:19], vcc
	s_cbranch_execz .LBB244_257
; %bb.256:                              ;   in Loop: Header=BB244_235 Depth=1
	v_and_b32_sdwa v14, v20, v66 dst_sel:DWORD dst_unused:UNUSED_PAD src0_sel:BYTE_3 src1_sel:DWORD
	v_ffbh_u32_e32 v30, v14
	v_min_u32_e32 v33, 32, v30
	v_subrev_u32_e32 v30, 28, v33
	v_lshlrev_b64 v[30:31], v30, v[14:15]
	v_lshrrev_b32_e32 v32, 3, v21
	v_sub_u32_e32 v31, 29, v33
	v_cmp_gt_u32_e32 vcc, 8, v21
	v_and_b32_e32 v30, 7, v30
	v_cndmask_b32_e32 v21, v32, v31, vcc
	v_cndmask_b32_e32 v14, v14, v30, vcc
	v_lshlrev_b32_sdwa v20, v67, v20 dst_sel:DWORD dst_unused:UNUSED_PAD src0_sel:DWORD src1_sel:BYTE_3
	v_lshl_add_u32 v21, v21, 23, v35
	v_and_or_b32 v20, v20, s7, v21
	v_lshlrev_b32_e32 v14, 20, v14
	v_or_b32_e32 v31, v20, v14
	v_mov_b32_e32 v30, v15
.LBB244_257:                            ;   in Loop: Header=BB244_235 Depth=1
	s_or_b64 exec, exec, s[18:19]
.LBB244_258:                            ;   in Loop: Header=BB244_235 Depth=1
	s_or_b64 exec, exec, s[16:17]
.LBB244_259:                            ;   in Loop: Header=BB244_235 Depth=1
	s_or_b64 exec, exec, s[0:1]
	v_or_b32_e32 v21, v27, v23
	v_or_b32_e32 v20, v26, v22
	;; [unrolled: 1-line block ×4, first 2 shown]
	v_add_u32_e32 v68, -3, v64
	v_cmp_eq_u32_e32 vcc, s9, v34
	v_pk_mul_f32 v[20:21], s[10:11], v[20:21]
	v_pk_mul_f32 v[22:23], s[10:11], v[22:23]
	v_add_u32_e32 v70, -2, v64
	v_add_u32_e32 v69, -1, v64
	s_and_saveexec_b64 s[16:17], vcc
; %bb.260:                              ;   in Loop: Header=BB244_235 Depth=1
	v_cmp_gt_i32_e64 s[0:1], s29, v68
	v_cndmask_b32_e64 v20, 0, v20, s[0:1]
	v_cmp_gt_i32_e64 s[0:1], s29, v70
	v_cndmask_b32_e64 v21, 0, v21, s[0:1]
	;; [unrolled: 2-line block ×4, first 2 shown]
; %bb.261:                              ;   in Loop: Header=BB244_235 Depth=1
	s_or_b64 exec, exec, s[16:17]
	global_load_dword v26, v[24:25], off offset:256
	v_pk_mov_b32 v[30:31], 0, 0
	v_pk_mov_b32 v[28:29], v[30:31], v[30:31] op_sel:[0,1]
	s_waitcnt vmcnt(0)
	v_cmp_ne_u16_sdwa s[0:1], v26, v15 src0_sel:BYTE_0 src1_sel:DWORD
	s_and_saveexec_b64 s[16:17], s[0:1]
	s_cbranch_execz .LBB244_267
; %bb.262:                              ;   in Loop: Header=BB244_235 Depth=1
	v_bfrev_b32_e32 v28, 1
	v_cmp_ne_u16_sdwa s[0:1], v26, s22 src0_sel:BYTE_0 src1_sel:DWORD
	v_mov_b32_e32 v29, 0
	s_and_saveexec_b64 s[18:19], s[0:1]
	s_cbranch_execz .LBB244_266
; %bb.263:                              ;   in Loop: Header=BB244_235 Depth=1
	v_and_b32_e32 v14, 0x7f, v26
	v_mov_b32_e32 v28, 0x7f800001
	v_cmp_ne_u32_e64 s[0:1], s23, v14
	v_mov_b32_e32 v29, 0
	s_and_saveexec_b64 s[20:21], s[0:1]
	s_cbranch_execz .LBB244_265
; %bb.264:                              ;   in Loop: Header=BB244_235 Depth=1
	v_and_b32_e32 v27, 7, v26
	v_ffbh_u32_e32 v28, v27
	v_min_u32_e32 v33, 32, v28
	v_subrev_u32_e32 v28, 28, v33
	v_lshlrev_b64 v[28:29], v28, v[26:27]
	v_lshrrev_b32_e32 v32, 3, v14
	v_sub_u32_e32 v29, 29, v33
	v_and_b32_e32 v28, 7, v28
	v_cmp_gt_u32_e64 s[0:1], 8, v14
	v_cndmask_b32_e64 v14, v32, v29, s[0:1]
	v_cndmask_b32_e64 v27, v27, v28, s[0:1]
	v_lshlrev_b32_e32 v27, 20, v27
	v_and_b32_sdwa v28, sext(v26), s7 dst_sel:DWORD dst_unused:UNUSED_PAD src0_sel:BYTE_0 src1_sel:DWORD
	v_lshl_add_u32 v14, v14, 23, v35
	v_or3_b32 v14, v28, v14, v27
	v_pk_mov_b32 v[28:29], v[14:15], v[14:15] op_sel:[0,1]
.LBB244_265:                            ;   in Loop: Header=BB244_235 Depth=1
	s_or_b64 exec, exec, s[20:21]
.LBB244_266:                            ;   in Loop: Header=BB244_235 Depth=1
	s_or_b64 exec, exec, s[18:19]
.LBB244_267:                            ;   in Loop: Header=BB244_235 Depth=1
	s_or_b64 exec, exec, s[16:17]
	v_cmp_ne_u16_sdwa s[0:1], v26, v15 src0_sel:BYTE_1 src1_sel:DWORD
	s_and_saveexec_b64 s[16:17], s[0:1]
	s_cbranch_execz .LBB244_273
; %bb.268:                              ;   in Loop: Header=BB244_235 Depth=1
	v_cmp_ne_u16_sdwa s[0:1], v26, s22 src0_sel:BYTE_1 src1_sel:DWORD
	v_pk_mov_b32 v[30:31], s[6:7], s[6:7] op_sel:[0,1]
	s_and_saveexec_b64 s[18:19], s[0:1]
	s_cbranch_execz .LBB244_272
; %bb.269:                              ;   in Loop: Header=BB244_235 Depth=1
	v_and_b32_sdwa v27, v26, s23 dst_sel:DWORD dst_unused:UNUSED_PAD src0_sel:BYTE_1 src1_sel:DWORD
	s_mov_b32 s14, s6
	v_cmp_ne_u32_e64 s[0:1], s23, v27
	v_pk_mov_b32 v[30:31], s[14:15], s[14:15] op_sel:[0,1]
	s_and_saveexec_b64 s[20:21], s[0:1]
	s_cbranch_execz .LBB244_271
; %bb.270:                              ;   in Loop: Header=BB244_235 Depth=1
	v_and_b32_sdwa v14, v26, v66 dst_sel:DWORD dst_unused:UNUSED_PAD src0_sel:BYTE_1 src1_sel:DWORD
	v_ffbh_u32_e32 v30, v14
	v_min_u32_e32 v33, 32, v30
	v_subrev_u32_e32 v30, 28, v33
	v_lshlrev_b64 v[30:31], v30, v[14:15]
	v_lshrrev_b32_e32 v32, 3, v27
	v_sub_u32_e32 v31, 29, v33
	v_cmp_gt_u32_e64 s[0:1], 8, v27
	v_and_b32_e32 v30, 7, v30
	v_cndmask_b32_e64 v27, v32, v31, s[0:1]
	v_cndmask_b32_e64 v14, v14, v30, s[0:1]
	v_lshlrev_b32_e32 v30, 16, v26
	v_lshl_add_u32 v27, v27, 23, v35
	v_and_or_b32 v27, v30, s7, v27
	v_lshlrev_b32_e32 v14, 20, v14
	v_or_b32_e32 v31, v27, v14
	v_mov_b32_e32 v30, v15
.LBB244_271:                            ;   in Loop: Header=BB244_235 Depth=1
	s_or_b64 exec, exec, s[20:21]
.LBB244_272:                            ;   in Loop: Header=BB244_235 Depth=1
	s_or_b64 exec, exec, s[18:19]
.LBB244_273:                            ;   in Loop: Header=BB244_235 Depth=1
	s_or_b64 exec, exec, s[16:17]
	v_lshrrev_b32_e32 v14, 16, v26
	v_pk_mov_b32 v[36:37], 0, 0
	v_cmp_ne_u16_sdwa s[0:1], v14, v15 src0_sel:BYTE_0 src1_sel:DWORD
	v_pk_mov_b32 v[32:33], v[36:37], v[36:37] op_sel:[0,1]
	s_and_saveexec_b64 s[16:17], s[0:1]
	s_cbranch_execz .LBB244_279
; %bb.274:                              ;   in Loop: Header=BB244_235 Depth=1
	v_bfrev_b32_e32 v32, 1
	v_cmp_ne_u16_sdwa s[0:1], v14, s22 src0_sel:BYTE_0 src1_sel:DWORD
	v_mov_b32_e32 v33, 0
	s_and_saveexec_b64 s[18:19], s[0:1]
	s_cbranch_execz .LBB244_278
; %bb.275:                              ;   in Loop: Header=BB244_235 Depth=1
	v_bfe_u32 v27, v26, 16, 7
	v_mov_b32_e32 v32, 0x7f800001
	v_cmp_ne_u32_e64 s[0:1], s23, v27
	v_mov_b32_e32 v33, 0
	s_and_saveexec_b64 s[20:21], s[0:1]
	s_cbranch_execz .LBB244_277
; %bb.276:                              ;   in Loop: Header=BB244_235 Depth=1
	v_and_b32_e32 v38, 7, v14
	v_ffbh_u32_e32 v32, v38
	v_min_u32_e32 v40, 32, v32
	v_subrev_u32_e32 v32, 28, v40
	v_lshlrev_b64 v[32:33], v32, v[14:15]
	v_lshrrev_b32_e32 v39, 3, v27
	v_sub_u32_e32 v33, 29, v40
	v_and_b32_e32 v32, 7, v32
	v_cmp_gt_u32_e64 s[0:1], 8, v27
	v_cndmask_b32_e64 v27, v39, v33, s[0:1]
	v_cndmask_b32_e64 v32, v38, v32, s[0:1]
	v_lshlrev_b32_e32 v32, 20, v32
	v_and_b32_sdwa v14, sext(v14), s7 dst_sel:DWORD dst_unused:UNUSED_PAD src0_sel:BYTE_0 src1_sel:DWORD
	v_lshl_add_u32 v27, v27, 23, v35
	v_or3_b32 v14, v14, v27, v32
	v_pk_mov_b32 v[32:33], v[14:15], v[14:15] op_sel:[0,1]
.LBB244_277:                            ;   in Loop: Header=BB244_235 Depth=1
	s_or_b64 exec, exec, s[20:21]
.LBB244_278:                            ;   in Loop: Header=BB244_235 Depth=1
	s_or_b64 exec, exec, s[18:19]
.LBB244_279:                            ;   in Loop: Header=BB244_235 Depth=1
	s_or_b64 exec, exec, s[16:17]
	v_cmp_lt_u32_e64 s[0:1], s28, v26
	s_and_saveexec_b64 s[16:17], s[0:1]
	s_cbranch_execz .LBB244_285
; %bb.280:                              ;   in Loop: Header=BB244_235 Depth=1
	v_cmp_ne_u32_sdwa s[0:1], v26, s22 src0_sel:BYTE_3 src1_sel:DWORD
	v_pk_mov_b32 v[36:37], s[6:7], s[6:7] op_sel:[0,1]
	s_and_saveexec_b64 s[18:19], s[0:1]
	s_cbranch_execz .LBB244_284
; %bb.281:                              ;   in Loop: Header=BB244_235 Depth=1
	v_bfe_u32 v27, v26, 24, 7
	s_mov_b32 s14, s6
	v_cmp_ne_u32_e64 s[0:1], s23, v27
	v_pk_mov_b32 v[36:37], s[14:15], s[14:15] op_sel:[0,1]
	s_and_saveexec_b64 s[20:21], s[0:1]
	s_cbranch_execz .LBB244_283
; %bb.282:                              ;   in Loop: Header=BB244_235 Depth=1
	v_and_b32_sdwa v14, v26, v66 dst_sel:DWORD dst_unused:UNUSED_PAD src0_sel:BYTE_3 src1_sel:DWORD
	v_ffbh_u32_e32 v36, v14
	v_min_u32_e32 v39, 32, v36
	v_subrev_u32_e32 v36, 28, v39
	v_lshlrev_b64 v[36:37], v36, v[14:15]
	v_lshrrev_b32_e32 v38, 3, v27
	v_sub_u32_e32 v37, 29, v39
	v_cmp_gt_u32_e64 s[0:1], 8, v27
	v_and_b32_e32 v36, 7, v36
	v_cndmask_b32_e64 v27, v38, v37, s[0:1]
	v_cndmask_b32_e64 v14, v14, v36, s[0:1]
	v_lshlrev_b32_sdwa v26, v67, v26 dst_sel:DWORD dst_unused:UNUSED_PAD src0_sel:DWORD src1_sel:BYTE_3
	v_lshl_add_u32 v27, v27, 23, v35
	v_and_or_b32 v26, v26, s7, v27
	v_lshlrev_b32_e32 v14, 20, v14
	v_or_b32_e32 v37, v26, v14
	v_mov_b32_e32 v36, v15
.LBB244_283:                            ;   in Loop: Header=BB244_235 Depth=1
	s_or_b64 exec, exec, s[20:21]
.LBB244_284:                            ;   in Loop: Header=BB244_235 Depth=1
	s_or_b64 exec, exec, s[18:19]
.LBB244_285:                            ;   in Loop: Header=BB244_235 Depth=1
	s_or_b64 exec, exec, s[16:17]
	v_or_b32_e32 v27, v31, v29
	v_or_b32_e32 v26, v30, v28
	;; [unrolled: 1-line block ×4, first 2 shown]
	v_pk_mul_f32 v[26:27], s[10:11], v[26:27]
	v_pk_mul_f32 v[28:29], s[10:11], v[28:29]
	s_and_saveexec_b64 s[16:17], vcc
; %bb.286:                              ;   in Loop: Header=BB244_235 Depth=1
	v_cmp_gt_i32_e64 s[0:1], s29, v68
	v_cndmask_b32_e64 v26, 0, v26, s[0:1]
	v_cmp_gt_i32_e64 s[0:1], s29, v70
	v_cndmask_b32_e64 v27, 0, v27, s[0:1]
	;; [unrolled: 2-line block ×4, first 2 shown]
; %bb.287:                              ;   in Loop: Header=BB244_235 Depth=1
	s_or_b64 exec, exec, s[16:17]
	global_load_dword v30, v[24:25], off offset:512
	v_pk_mov_b32 v[36:37], 0, 0
	v_pk_mov_b32 v[32:33], v[36:37], v[36:37] op_sel:[0,1]
	s_waitcnt vmcnt(0)
	v_cmp_ne_u16_sdwa s[0:1], v30, v15 src0_sel:BYTE_0 src1_sel:DWORD
	s_and_saveexec_b64 s[16:17], s[0:1]
	s_cbranch_execz .LBB244_293
; %bb.288:                              ;   in Loop: Header=BB244_235 Depth=1
	v_bfrev_b32_e32 v32, 1
	v_cmp_ne_u16_sdwa s[0:1], v30, s22 src0_sel:BYTE_0 src1_sel:DWORD
	v_mov_b32_e32 v33, 0
	s_and_saveexec_b64 s[18:19], s[0:1]
	s_cbranch_execz .LBB244_292
; %bb.289:                              ;   in Loop: Header=BB244_235 Depth=1
	v_and_b32_e32 v14, 0x7f, v30
	v_mov_b32_e32 v32, 0x7f800001
	v_cmp_ne_u32_e64 s[0:1], s23, v14
	v_mov_b32_e32 v33, 0
	s_and_saveexec_b64 s[20:21], s[0:1]
	s_cbranch_execz .LBB244_291
; %bb.290:                              ;   in Loop: Header=BB244_235 Depth=1
	v_and_b32_e32 v31, 7, v30
	v_ffbh_u32_e32 v32, v31
	v_min_u32_e32 v39, 32, v32
	v_subrev_u32_e32 v32, 28, v39
	v_lshlrev_b64 v[32:33], v32, v[30:31]
	v_lshrrev_b32_e32 v38, 3, v14
	v_sub_u32_e32 v33, 29, v39
	v_and_b32_e32 v32, 7, v32
	v_cmp_gt_u32_e64 s[0:1], 8, v14
	v_cndmask_b32_e64 v14, v38, v33, s[0:1]
	v_cndmask_b32_e64 v31, v31, v32, s[0:1]
	v_lshlrev_b32_e32 v31, 20, v31
	v_and_b32_sdwa v32, sext(v30), s7 dst_sel:DWORD dst_unused:UNUSED_PAD src0_sel:BYTE_0 src1_sel:DWORD
	v_lshl_add_u32 v14, v14, 23, v35
	v_or3_b32 v14, v32, v14, v31
	v_pk_mov_b32 v[32:33], v[14:15], v[14:15] op_sel:[0,1]
.LBB244_291:                            ;   in Loop: Header=BB244_235 Depth=1
	s_or_b64 exec, exec, s[20:21]
.LBB244_292:                            ;   in Loop: Header=BB244_235 Depth=1
	s_or_b64 exec, exec, s[18:19]
.LBB244_293:                            ;   in Loop: Header=BB244_235 Depth=1
	s_or_b64 exec, exec, s[16:17]
	v_cmp_ne_u16_sdwa s[0:1], v30, v15 src0_sel:BYTE_1 src1_sel:DWORD
	s_and_saveexec_b64 s[16:17], s[0:1]
	s_cbranch_execz .LBB244_299
; %bb.294:                              ;   in Loop: Header=BB244_235 Depth=1
	v_cmp_ne_u16_sdwa s[0:1], v30, s22 src0_sel:BYTE_1 src1_sel:DWORD
	v_pk_mov_b32 v[36:37], s[6:7], s[6:7] op_sel:[0,1]
	s_and_saveexec_b64 s[18:19], s[0:1]
	s_cbranch_execz .LBB244_298
; %bb.295:                              ;   in Loop: Header=BB244_235 Depth=1
	v_and_b32_sdwa v31, v30, s23 dst_sel:DWORD dst_unused:UNUSED_PAD src0_sel:BYTE_1 src1_sel:DWORD
	s_mov_b32 s14, s6
	v_cmp_ne_u32_e64 s[0:1], s23, v31
	v_pk_mov_b32 v[36:37], s[14:15], s[14:15] op_sel:[0,1]
	s_and_saveexec_b64 s[20:21], s[0:1]
	s_cbranch_execz .LBB244_297
; %bb.296:                              ;   in Loop: Header=BB244_235 Depth=1
	v_and_b32_sdwa v14, v30, v66 dst_sel:DWORD dst_unused:UNUSED_PAD src0_sel:BYTE_1 src1_sel:DWORD
	v_ffbh_u32_e32 v36, v14
	v_min_u32_e32 v39, 32, v36
	v_subrev_u32_e32 v36, 28, v39
	v_lshlrev_b64 v[36:37], v36, v[14:15]
	v_lshrrev_b32_e32 v38, 3, v31
	v_sub_u32_e32 v37, 29, v39
	v_cmp_gt_u32_e64 s[0:1], 8, v31
	v_and_b32_e32 v36, 7, v36
	v_cndmask_b32_e64 v31, v38, v37, s[0:1]
	v_cndmask_b32_e64 v14, v14, v36, s[0:1]
	v_lshlrev_b32_e32 v36, 16, v30
	v_lshl_add_u32 v31, v31, 23, v35
	v_and_or_b32 v31, v36, s7, v31
	v_lshlrev_b32_e32 v14, 20, v14
	v_or_b32_e32 v37, v31, v14
	v_mov_b32_e32 v36, v15
.LBB244_297:                            ;   in Loop: Header=BB244_235 Depth=1
	s_or_b64 exec, exec, s[20:21]
.LBB244_298:                            ;   in Loop: Header=BB244_235 Depth=1
	s_or_b64 exec, exec, s[18:19]
.LBB244_299:                            ;   in Loop: Header=BB244_235 Depth=1
	s_or_b64 exec, exec, s[16:17]
	v_lshrrev_b32_e32 v14, 16, v30
	v_pk_mov_b32 v[40:41], 0, 0
	v_cmp_ne_u16_sdwa s[0:1], v14, v15 src0_sel:BYTE_0 src1_sel:DWORD
	v_pk_mov_b32 v[38:39], v[40:41], v[40:41] op_sel:[0,1]
	s_and_saveexec_b64 s[16:17], s[0:1]
	s_cbranch_execz .LBB244_305
; %bb.300:                              ;   in Loop: Header=BB244_235 Depth=1
	v_bfrev_b32_e32 v38, 1
	v_cmp_ne_u16_sdwa s[0:1], v14, s22 src0_sel:BYTE_0 src1_sel:DWORD
	v_mov_b32_e32 v39, 0
	s_and_saveexec_b64 s[18:19], s[0:1]
	s_cbranch_execz .LBB244_304
; %bb.301:                              ;   in Loop: Header=BB244_235 Depth=1
	v_bfe_u32 v31, v30, 16, 7
	v_mov_b32_e32 v38, 0x7f800001
	v_cmp_ne_u32_e64 s[0:1], s23, v31
	v_mov_b32_e32 v39, 0
	s_and_saveexec_b64 s[20:21], s[0:1]
	s_cbranch_execz .LBB244_303
; %bb.302:                              ;   in Loop: Header=BB244_235 Depth=1
	v_and_b32_e32 v42, 7, v14
	v_ffbh_u32_e32 v38, v42
	v_min_u32_e32 v44, 32, v38
	v_subrev_u32_e32 v38, 28, v44
	v_lshlrev_b64 v[38:39], v38, v[14:15]
	v_lshrrev_b32_e32 v43, 3, v31
	v_sub_u32_e32 v39, 29, v44
	v_and_b32_e32 v38, 7, v38
	v_cmp_gt_u32_e64 s[0:1], 8, v31
	v_cndmask_b32_e64 v31, v43, v39, s[0:1]
	v_cndmask_b32_e64 v38, v42, v38, s[0:1]
	v_lshlrev_b32_e32 v38, 20, v38
	v_and_b32_sdwa v14, sext(v14), s7 dst_sel:DWORD dst_unused:UNUSED_PAD src0_sel:BYTE_0 src1_sel:DWORD
	v_lshl_add_u32 v31, v31, 23, v35
	v_or3_b32 v14, v14, v31, v38
	v_pk_mov_b32 v[38:39], v[14:15], v[14:15] op_sel:[0,1]
.LBB244_303:                            ;   in Loop: Header=BB244_235 Depth=1
	s_or_b64 exec, exec, s[20:21]
.LBB244_304:                            ;   in Loop: Header=BB244_235 Depth=1
	s_or_b64 exec, exec, s[18:19]
.LBB244_305:                            ;   in Loop: Header=BB244_235 Depth=1
	s_or_b64 exec, exec, s[16:17]
	v_cmp_lt_u32_e64 s[0:1], s28, v30
	s_and_saveexec_b64 s[16:17], s[0:1]
	s_cbranch_execz .LBB244_311
; %bb.306:                              ;   in Loop: Header=BB244_235 Depth=1
	v_cmp_ne_u32_sdwa s[0:1], v30, s22 src0_sel:BYTE_3 src1_sel:DWORD
	v_pk_mov_b32 v[40:41], s[6:7], s[6:7] op_sel:[0,1]
	s_and_saveexec_b64 s[18:19], s[0:1]
	s_cbranch_execz .LBB244_310
; %bb.307:                              ;   in Loop: Header=BB244_235 Depth=1
	v_bfe_u32 v31, v30, 24, 7
	s_mov_b32 s14, s6
	v_cmp_ne_u32_e64 s[0:1], s23, v31
	v_pk_mov_b32 v[40:41], s[14:15], s[14:15] op_sel:[0,1]
	s_and_saveexec_b64 s[20:21], s[0:1]
	s_cbranch_execz .LBB244_309
; %bb.308:                              ;   in Loop: Header=BB244_235 Depth=1
	v_and_b32_sdwa v14, v30, v66 dst_sel:DWORD dst_unused:UNUSED_PAD src0_sel:BYTE_3 src1_sel:DWORD
	v_ffbh_u32_e32 v40, v14
	v_min_u32_e32 v43, 32, v40
	v_subrev_u32_e32 v40, 28, v43
	v_lshlrev_b64 v[40:41], v40, v[14:15]
	v_lshrrev_b32_e32 v42, 3, v31
	v_sub_u32_e32 v41, 29, v43
	v_cmp_gt_u32_e64 s[0:1], 8, v31
	v_and_b32_e32 v40, 7, v40
	v_cndmask_b32_e64 v31, v42, v41, s[0:1]
	v_cndmask_b32_e64 v14, v14, v40, s[0:1]
	v_lshlrev_b32_sdwa v30, v67, v30 dst_sel:DWORD dst_unused:UNUSED_PAD src0_sel:DWORD src1_sel:BYTE_3
	v_lshl_add_u32 v31, v31, 23, v35
	v_and_or_b32 v30, v30, s7, v31
	v_lshlrev_b32_e32 v14, 20, v14
	v_or_b32_e32 v41, v30, v14
	v_mov_b32_e32 v40, v15
.LBB244_309:                            ;   in Loop: Header=BB244_235 Depth=1
	s_or_b64 exec, exec, s[20:21]
.LBB244_310:                            ;   in Loop: Header=BB244_235 Depth=1
	s_or_b64 exec, exec, s[18:19]
.LBB244_311:                            ;   in Loop: Header=BB244_235 Depth=1
	s_or_b64 exec, exec, s[16:17]
	v_or_b32_e32 v31, v37, v33
	v_or_b32_e32 v30, v36, v32
	v_or_b32_e32 v33, v41, v39
	v_or_b32_e32 v32, v40, v38
	v_pk_mul_f32 v[30:31], s[10:11], v[30:31]
	v_pk_mul_f32 v[32:33], s[10:11], v[32:33]
	s_and_saveexec_b64 s[16:17], vcc
; %bb.312:                              ;   in Loop: Header=BB244_235 Depth=1
	v_cmp_gt_i32_e64 s[0:1], s29, v68
	v_cndmask_b32_e64 v30, 0, v30, s[0:1]
	v_cmp_gt_i32_e64 s[0:1], s29, v70
	v_cndmask_b32_e64 v31, 0, v31, s[0:1]
	;; [unrolled: 2-line block ×4, first 2 shown]
; %bb.313:                              ;   in Loop: Header=BB244_235 Depth=1
	s_or_b64 exec, exec, s[16:17]
	global_load_dword v36, v[24:25], off offset:768
	v_pk_mov_b32 v[40:41], 0, 0
	v_pk_mov_b32 v[38:39], v[40:41], v[40:41] op_sel:[0,1]
	s_waitcnt vmcnt(0)
	v_cmp_ne_u16_sdwa s[0:1], v36, v15 src0_sel:BYTE_0 src1_sel:DWORD
	s_and_saveexec_b64 s[16:17], s[0:1]
	s_cbranch_execz .LBB244_319
; %bb.314:                              ;   in Loop: Header=BB244_235 Depth=1
	v_bfrev_b32_e32 v38, 1
	v_cmp_ne_u16_sdwa s[0:1], v36, s22 src0_sel:BYTE_0 src1_sel:DWORD
	v_mov_b32_e32 v39, 0
	s_and_saveexec_b64 s[18:19], s[0:1]
	s_cbranch_execz .LBB244_318
; %bb.315:                              ;   in Loop: Header=BB244_235 Depth=1
	v_and_b32_e32 v14, 0x7f, v36
	v_mov_b32_e32 v38, 0x7f800001
	v_cmp_ne_u32_e64 s[0:1], s23, v14
	v_mov_b32_e32 v39, 0
	s_and_saveexec_b64 s[20:21], s[0:1]
	s_cbranch_execz .LBB244_317
; %bb.316:                              ;   in Loop: Header=BB244_235 Depth=1
	v_and_b32_e32 v37, 7, v36
	v_ffbh_u32_e32 v38, v37
	v_min_u32_e32 v43, 32, v38
	v_subrev_u32_e32 v38, 28, v43
	v_lshlrev_b64 v[38:39], v38, v[36:37]
	v_lshrrev_b32_e32 v42, 3, v14
	v_sub_u32_e32 v39, 29, v43
	v_and_b32_e32 v38, 7, v38
	v_cmp_gt_u32_e64 s[0:1], 8, v14
	v_cndmask_b32_e64 v14, v42, v39, s[0:1]
	v_cndmask_b32_e64 v37, v37, v38, s[0:1]
	v_lshlrev_b32_e32 v37, 20, v37
	v_and_b32_sdwa v38, sext(v36), s7 dst_sel:DWORD dst_unused:UNUSED_PAD src0_sel:BYTE_0 src1_sel:DWORD
	v_lshl_add_u32 v14, v14, 23, v35
	v_or3_b32 v14, v38, v14, v37
	v_pk_mov_b32 v[38:39], v[14:15], v[14:15] op_sel:[0,1]
.LBB244_317:                            ;   in Loop: Header=BB244_235 Depth=1
	s_or_b64 exec, exec, s[20:21]
.LBB244_318:                            ;   in Loop: Header=BB244_235 Depth=1
	s_or_b64 exec, exec, s[18:19]
.LBB244_319:                            ;   in Loop: Header=BB244_235 Depth=1
	s_or_b64 exec, exec, s[16:17]
	v_cmp_ne_u16_sdwa s[0:1], v36, v15 src0_sel:BYTE_1 src1_sel:DWORD
	s_and_saveexec_b64 s[16:17], s[0:1]
	s_cbranch_execz .LBB244_325
; %bb.320:                              ;   in Loop: Header=BB244_235 Depth=1
	v_cmp_ne_u16_sdwa s[0:1], v36, s22 src0_sel:BYTE_1 src1_sel:DWORD
	v_pk_mov_b32 v[40:41], s[6:7], s[6:7] op_sel:[0,1]
	s_and_saveexec_b64 s[18:19], s[0:1]
	s_cbranch_execz .LBB244_324
; %bb.321:                              ;   in Loop: Header=BB244_235 Depth=1
	v_and_b32_sdwa v37, v36, s23 dst_sel:DWORD dst_unused:UNUSED_PAD src0_sel:BYTE_1 src1_sel:DWORD
	s_mov_b32 s14, s6
	v_cmp_ne_u32_e64 s[0:1], s23, v37
	v_pk_mov_b32 v[40:41], s[14:15], s[14:15] op_sel:[0,1]
	s_and_saveexec_b64 s[20:21], s[0:1]
	s_cbranch_execz .LBB244_323
; %bb.322:                              ;   in Loop: Header=BB244_235 Depth=1
	v_and_b32_sdwa v14, v36, v66 dst_sel:DWORD dst_unused:UNUSED_PAD src0_sel:BYTE_1 src1_sel:DWORD
	v_ffbh_u32_e32 v40, v14
	v_min_u32_e32 v43, 32, v40
	v_subrev_u32_e32 v40, 28, v43
	v_lshlrev_b64 v[40:41], v40, v[14:15]
	v_lshrrev_b32_e32 v42, 3, v37
	v_sub_u32_e32 v41, 29, v43
	v_cmp_gt_u32_e64 s[0:1], 8, v37
	v_and_b32_e32 v40, 7, v40
	v_cndmask_b32_e64 v37, v42, v41, s[0:1]
	v_cndmask_b32_e64 v14, v14, v40, s[0:1]
	v_lshlrev_b32_e32 v40, 16, v36
	v_lshl_add_u32 v37, v37, 23, v35
	v_and_or_b32 v37, v40, s7, v37
	v_lshlrev_b32_e32 v14, 20, v14
	v_or_b32_e32 v41, v37, v14
	v_mov_b32_e32 v40, v15
.LBB244_323:                            ;   in Loop: Header=BB244_235 Depth=1
	s_or_b64 exec, exec, s[20:21]
.LBB244_324:                            ;   in Loop: Header=BB244_235 Depth=1
	s_or_b64 exec, exec, s[18:19]
.LBB244_325:                            ;   in Loop: Header=BB244_235 Depth=1
	s_or_b64 exec, exec, s[16:17]
	v_lshrrev_b32_e32 v14, 16, v36
	v_pk_mov_b32 v[44:45], 0, 0
	v_cmp_ne_u16_sdwa s[0:1], v14, v15 src0_sel:BYTE_0 src1_sel:DWORD
	v_pk_mov_b32 v[42:43], v[44:45], v[44:45] op_sel:[0,1]
	s_and_saveexec_b64 s[16:17], s[0:1]
	s_cbranch_execz .LBB244_331
; %bb.326:                              ;   in Loop: Header=BB244_235 Depth=1
	v_bfrev_b32_e32 v42, 1
	v_cmp_ne_u16_sdwa s[0:1], v14, s22 src0_sel:BYTE_0 src1_sel:DWORD
	v_mov_b32_e32 v43, 0
	s_and_saveexec_b64 s[18:19], s[0:1]
	s_cbranch_execz .LBB244_330
; %bb.327:                              ;   in Loop: Header=BB244_235 Depth=1
	v_bfe_u32 v37, v36, 16, 7
	v_mov_b32_e32 v42, 0x7f800001
	v_cmp_ne_u32_e64 s[0:1], s23, v37
	v_mov_b32_e32 v43, 0
	s_and_saveexec_b64 s[20:21], s[0:1]
	s_cbranch_execz .LBB244_329
; %bb.328:                              ;   in Loop: Header=BB244_235 Depth=1
	v_and_b32_e32 v46, 7, v14
	v_ffbh_u32_e32 v42, v46
	v_min_u32_e32 v48, 32, v42
	v_subrev_u32_e32 v42, 28, v48
	v_lshlrev_b64 v[42:43], v42, v[14:15]
	v_lshrrev_b32_e32 v47, 3, v37
	v_sub_u32_e32 v43, 29, v48
	v_and_b32_e32 v42, 7, v42
	v_cmp_gt_u32_e64 s[0:1], 8, v37
	v_cndmask_b32_e64 v37, v47, v43, s[0:1]
	v_cndmask_b32_e64 v42, v46, v42, s[0:1]
	v_lshlrev_b32_e32 v42, 20, v42
	v_and_b32_sdwa v14, sext(v14), s7 dst_sel:DWORD dst_unused:UNUSED_PAD src0_sel:BYTE_0 src1_sel:DWORD
	v_lshl_add_u32 v37, v37, 23, v35
	v_or3_b32 v14, v14, v37, v42
	v_pk_mov_b32 v[42:43], v[14:15], v[14:15] op_sel:[0,1]
.LBB244_329:                            ;   in Loop: Header=BB244_235 Depth=1
	s_or_b64 exec, exec, s[20:21]
.LBB244_330:                            ;   in Loop: Header=BB244_235 Depth=1
	s_or_b64 exec, exec, s[18:19]
.LBB244_331:                            ;   in Loop: Header=BB244_235 Depth=1
	s_or_b64 exec, exec, s[16:17]
	v_cmp_lt_u32_e64 s[0:1], s28, v36
	s_and_saveexec_b64 s[16:17], s[0:1]
	s_cbranch_execz .LBB244_337
; %bb.332:                              ;   in Loop: Header=BB244_235 Depth=1
	v_cmp_ne_u32_sdwa s[0:1], v36, s22 src0_sel:BYTE_3 src1_sel:DWORD
	v_pk_mov_b32 v[44:45], s[6:7], s[6:7] op_sel:[0,1]
	s_and_saveexec_b64 s[18:19], s[0:1]
	s_cbranch_execz .LBB244_336
; %bb.333:                              ;   in Loop: Header=BB244_235 Depth=1
	v_bfe_u32 v37, v36, 24, 7
	s_mov_b32 s14, s6
	v_cmp_ne_u32_e64 s[0:1], s23, v37
	v_pk_mov_b32 v[44:45], s[14:15], s[14:15] op_sel:[0,1]
	s_and_saveexec_b64 s[20:21], s[0:1]
	s_cbranch_execz .LBB244_335
; %bb.334:                              ;   in Loop: Header=BB244_235 Depth=1
	v_and_b32_sdwa v14, v36, v66 dst_sel:DWORD dst_unused:UNUSED_PAD src0_sel:BYTE_3 src1_sel:DWORD
	v_ffbh_u32_e32 v44, v14
	v_min_u32_e32 v47, 32, v44
	v_subrev_u32_e32 v44, 28, v47
	v_lshlrev_b64 v[44:45], v44, v[14:15]
	v_lshrrev_b32_e32 v46, 3, v37
	v_sub_u32_e32 v45, 29, v47
	v_cmp_gt_u32_e64 s[0:1], 8, v37
	v_and_b32_e32 v44, 7, v44
	v_cndmask_b32_e64 v37, v46, v45, s[0:1]
	v_cndmask_b32_e64 v14, v14, v44, s[0:1]
	v_lshlrev_b32_sdwa v36, v67, v36 dst_sel:DWORD dst_unused:UNUSED_PAD src0_sel:DWORD src1_sel:BYTE_3
	v_lshl_add_u32 v37, v37, 23, v35
	v_and_or_b32 v36, v36, s7, v37
	v_lshlrev_b32_e32 v14, 20, v14
	v_or_b32_e32 v45, v36, v14
	v_mov_b32_e32 v44, v15
.LBB244_335:                            ;   in Loop: Header=BB244_235 Depth=1
	s_or_b64 exec, exec, s[20:21]
.LBB244_336:                            ;   in Loop: Header=BB244_235 Depth=1
	s_or_b64 exec, exec, s[18:19]
.LBB244_337:                            ;   in Loop: Header=BB244_235 Depth=1
	s_or_b64 exec, exec, s[16:17]
	v_or_b32_e32 v37, v41, v39
	v_or_b32_e32 v36, v40, v38
	;; [unrolled: 1-line block ×4, first 2 shown]
	v_pk_mul_f32 v[36:37], s[10:11], v[36:37]
	v_pk_mul_f32 v[38:39], s[10:11], v[38:39]
	s_and_saveexec_b64 s[16:17], vcc
; %bb.338:                              ;   in Loop: Header=BB244_235 Depth=1
	v_cmp_gt_i32_e64 s[0:1], s29, v68
	v_cndmask_b32_e64 v36, 0, v36, s[0:1]
	v_cmp_gt_i32_e64 s[0:1], s29, v70
	v_cndmask_b32_e64 v37, 0, v37, s[0:1]
	;; [unrolled: 2-line block ×4, first 2 shown]
; %bb.339:                              ;   in Loop: Header=BB244_235 Depth=1
	s_or_b64 exec, exec, s[16:17]
	global_load_dword v40, v[24:25], off offset:1024
	v_pk_mov_b32 v[44:45], 0, 0
	v_pk_mov_b32 v[42:43], v[44:45], v[44:45] op_sel:[0,1]
	s_waitcnt vmcnt(0)
	v_cmp_ne_u16_sdwa s[0:1], v40, v15 src0_sel:BYTE_0 src1_sel:DWORD
	s_and_saveexec_b64 s[16:17], s[0:1]
	s_cbranch_execz .LBB244_345
; %bb.340:                              ;   in Loop: Header=BB244_235 Depth=1
	v_bfrev_b32_e32 v42, 1
	v_cmp_ne_u16_sdwa s[0:1], v40, s22 src0_sel:BYTE_0 src1_sel:DWORD
	v_mov_b32_e32 v43, 0
	s_and_saveexec_b64 s[18:19], s[0:1]
	s_cbranch_execz .LBB244_344
; %bb.341:                              ;   in Loop: Header=BB244_235 Depth=1
	v_and_b32_e32 v14, 0x7f, v40
	v_mov_b32_e32 v42, 0x7f800001
	v_cmp_ne_u32_e64 s[0:1], s23, v14
	v_mov_b32_e32 v43, 0
	s_and_saveexec_b64 s[20:21], s[0:1]
	s_cbranch_execz .LBB244_343
; %bb.342:                              ;   in Loop: Header=BB244_235 Depth=1
	v_and_b32_e32 v41, 7, v40
	v_ffbh_u32_e32 v42, v41
	v_min_u32_e32 v47, 32, v42
	v_subrev_u32_e32 v42, 28, v47
	v_lshlrev_b64 v[42:43], v42, v[40:41]
	v_lshrrev_b32_e32 v46, 3, v14
	v_sub_u32_e32 v43, 29, v47
	v_and_b32_e32 v42, 7, v42
	v_cmp_gt_u32_e64 s[0:1], 8, v14
	v_cndmask_b32_e64 v14, v46, v43, s[0:1]
	v_cndmask_b32_e64 v41, v41, v42, s[0:1]
	v_lshlrev_b32_e32 v41, 20, v41
	v_and_b32_sdwa v42, sext(v40), s7 dst_sel:DWORD dst_unused:UNUSED_PAD src0_sel:BYTE_0 src1_sel:DWORD
	v_lshl_add_u32 v14, v14, 23, v35
	v_or3_b32 v14, v42, v14, v41
	v_pk_mov_b32 v[42:43], v[14:15], v[14:15] op_sel:[0,1]
.LBB244_343:                            ;   in Loop: Header=BB244_235 Depth=1
	s_or_b64 exec, exec, s[20:21]
.LBB244_344:                            ;   in Loop: Header=BB244_235 Depth=1
	s_or_b64 exec, exec, s[18:19]
.LBB244_345:                            ;   in Loop: Header=BB244_235 Depth=1
	s_or_b64 exec, exec, s[16:17]
	v_cmp_ne_u16_sdwa s[0:1], v40, v15 src0_sel:BYTE_1 src1_sel:DWORD
	s_and_saveexec_b64 s[16:17], s[0:1]
	s_cbranch_execz .LBB244_351
; %bb.346:                              ;   in Loop: Header=BB244_235 Depth=1
	v_cmp_ne_u16_sdwa s[0:1], v40, s22 src0_sel:BYTE_1 src1_sel:DWORD
	v_pk_mov_b32 v[44:45], s[6:7], s[6:7] op_sel:[0,1]
	s_and_saveexec_b64 s[18:19], s[0:1]
	s_cbranch_execz .LBB244_350
; %bb.347:                              ;   in Loop: Header=BB244_235 Depth=1
	v_and_b32_sdwa v41, v40, s23 dst_sel:DWORD dst_unused:UNUSED_PAD src0_sel:BYTE_1 src1_sel:DWORD
	s_mov_b32 s14, s6
	v_cmp_ne_u32_e64 s[0:1], s23, v41
	v_pk_mov_b32 v[44:45], s[14:15], s[14:15] op_sel:[0,1]
	s_and_saveexec_b64 s[20:21], s[0:1]
	s_cbranch_execz .LBB244_349
; %bb.348:                              ;   in Loop: Header=BB244_235 Depth=1
	v_and_b32_sdwa v14, v40, v66 dst_sel:DWORD dst_unused:UNUSED_PAD src0_sel:BYTE_1 src1_sel:DWORD
	v_ffbh_u32_e32 v44, v14
	v_min_u32_e32 v47, 32, v44
	v_subrev_u32_e32 v44, 28, v47
	v_lshlrev_b64 v[44:45], v44, v[14:15]
	v_lshrrev_b32_e32 v46, 3, v41
	v_sub_u32_e32 v45, 29, v47
	v_cmp_gt_u32_e64 s[0:1], 8, v41
	v_and_b32_e32 v44, 7, v44
	v_cndmask_b32_e64 v41, v46, v45, s[0:1]
	v_cndmask_b32_e64 v14, v14, v44, s[0:1]
	v_lshlrev_b32_e32 v44, 16, v40
	v_lshl_add_u32 v41, v41, 23, v35
	v_and_or_b32 v41, v44, s7, v41
	v_lshlrev_b32_e32 v14, 20, v14
	v_or_b32_e32 v45, v41, v14
	v_mov_b32_e32 v44, v15
.LBB244_349:                            ;   in Loop: Header=BB244_235 Depth=1
	s_or_b64 exec, exec, s[20:21]
.LBB244_350:                            ;   in Loop: Header=BB244_235 Depth=1
	s_or_b64 exec, exec, s[18:19]
.LBB244_351:                            ;   in Loop: Header=BB244_235 Depth=1
	s_or_b64 exec, exec, s[16:17]
	v_lshrrev_b32_e32 v14, 16, v40
	v_pk_mov_b32 v[48:49], 0, 0
	v_cmp_ne_u16_sdwa s[0:1], v14, v15 src0_sel:BYTE_0 src1_sel:DWORD
	v_pk_mov_b32 v[46:47], v[48:49], v[48:49] op_sel:[0,1]
	s_and_saveexec_b64 s[16:17], s[0:1]
	s_cbranch_execz .LBB244_357
; %bb.352:                              ;   in Loop: Header=BB244_235 Depth=1
	v_bfrev_b32_e32 v46, 1
	v_cmp_ne_u16_sdwa s[0:1], v14, s22 src0_sel:BYTE_0 src1_sel:DWORD
	v_mov_b32_e32 v47, 0
	s_and_saveexec_b64 s[18:19], s[0:1]
	s_cbranch_execz .LBB244_356
; %bb.353:                              ;   in Loop: Header=BB244_235 Depth=1
	v_bfe_u32 v41, v40, 16, 7
	v_mov_b32_e32 v46, 0x7f800001
	v_cmp_ne_u32_e64 s[0:1], s23, v41
	v_mov_b32_e32 v47, 0
	s_and_saveexec_b64 s[20:21], s[0:1]
	s_cbranch_execz .LBB244_355
; %bb.354:                              ;   in Loop: Header=BB244_235 Depth=1
	v_and_b32_e32 v50, 7, v14
	v_ffbh_u32_e32 v46, v50
	v_min_u32_e32 v52, 32, v46
	v_subrev_u32_e32 v46, 28, v52
	v_lshlrev_b64 v[46:47], v46, v[14:15]
	v_lshrrev_b32_e32 v51, 3, v41
	v_sub_u32_e32 v47, 29, v52
	v_and_b32_e32 v46, 7, v46
	v_cmp_gt_u32_e64 s[0:1], 8, v41
	v_cndmask_b32_e64 v41, v51, v47, s[0:1]
	v_cndmask_b32_e64 v46, v50, v46, s[0:1]
	v_lshlrev_b32_e32 v46, 20, v46
	v_and_b32_sdwa v14, sext(v14), s7 dst_sel:DWORD dst_unused:UNUSED_PAD src0_sel:BYTE_0 src1_sel:DWORD
	v_lshl_add_u32 v41, v41, 23, v35
	v_or3_b32 v14, v14, v41, v46
	v_pk_mov_b32 v[46:47], v[14:15], v[14:15] op_sel:[0,1]
.LBB244_355:                            ;   in Loop: Header=BB244_235 Depth=1
	s_or_b64 exec, exec, s[20:21]
.LBB244_356:                            ;   in Loop: Header=BB244_235 Depth=1
	s_or_b64 exec, exec, s[18:19]
.LBB244_357:                            ;   in Loop: Header=BB244_235 Depth=1
	s_or_b64 exec, exec, s[16:17]
	v_cmp_lt_u32_e64 s[0:1], s28, v40
	s_and_saveexec_b64 s[16:17], s[0:1]
	s_cbranch_execz .LBB244_363
; %bb.358:                              ;   in Loop: Header=BB244_235 Depth=1
	v_cmp_ne_u32_sdwa s[0:1], v40, s22 src0_sel:BYTE_3 src1_sel:DWORD
	v_pk_mov_b32 v[48:49], s[6:7], s[6:7] op_sel:[0,1]
	s_and_saveexec_b64 s[18:19], s[0:1]
	s_cbranch_execz .LBB244_362
; %bb.359:                              ;   in Loop: Header=BB244_235 Depth=1
	v_bfe_u32 v41, v40, 24, 7
	s_mov_b32 s14, s6
	v_cmp_ne_u32_e64 s[0:1], s23, v41
	v_pk_mov_b32 v[48:49], s[14:15], s[14:15] op_sel:[0,1]
	s_and_saveexec_b64 s[20:21], s[0:1]
	s_cbranch_execz .LBB244_361
; %bb.360:                              ;   in Loop: Header=BB244_235 Depth=1
	v_and_b32_sdwa v14, v40, v66 dst_sel:DWORD dst_unused:UNUSED_PAD src0_sel:BYTE_3 src1_sel:DWORD
	v_ffbh_u32_e32 v48, v14
	v_min_u32_e32 v51, 32, v48
	v_subrev_u32_e32 v48, 28, v51
	v_lshlrev_b64 v[48:49], v48, v[14:15]
	v_lshrrev_b32_e32 v50, 3, v41
	v_sub_u32_e32 v49, 29, v51
	v_cmp_gt_u32_e64 s[0:1], 8, v41
	v_and_b32_e32 v48, 7, v48
	v_cndmask_b32_e64 v41, v50, v49, s[0:1]
	v_cndmask_b32_e64 v14, v14, v48, s[0:1]
	v_lshlrev_b32_sdwa v40, v67, v40 dst_sel:DWORD dst_unused:UNUSED_PAD src0_sel:DWORD src1_sel:BYTE_3
	v_lshl_add_u32 v41, v41, 23, v35
	v_and_or_b32 v40, v40, s7, v41
	v_lshlrev_b32_e32 v14, 20, v14
	v_or_b32_e32 v49, v40, v14
	v_mov_b32_e32 v48, v15
.LBB244_361:                            ;   in Loop: Header=BB244_235 Depth=1
	s_or_b64 exec, exec, s[20:21]
.LBB244_362:                            ;   in Loop: Header=BB244_235 Depth=1
	s_or_b64 exec, exec, s[18:19]
.LBB244_363:                            ;   in Loop: Header=BB244_235 Depth=1
	s_or_b64 exec, exec, s[16:17]
	v_or_b32_e32 v41, v45, v43
	v_or_b32_e32 v40, v44, v42
	;; [unrolled: 1-line block ×4, first 2 shown]
	v_pk_mul_f32 v[40:41], s[10:11], v[40:41]
	v_pk_mul_f32 v[42:43], s[10:11], v[42:43]
	s_and_saveexec_b64 s[16:17], vcc
; %bb.364:                              ;   in Loop: Header=BB244_235 Depth=1
	v_cmp_gt_i32_e64 s[0:1], s29, v68
	v_cndmask_b32_e64 v40, 0, v40, s[0:1]
	v_cmp_gt_i32_e64 s[0:1], s29, v70
	v_cndmask_b32_e64 v41, 0, v41, s[0:1]
	;; [unrolled: 2-line block ×4, first 2 shown]
; %bb.365:                              ;   in Loop: Header=BB244_235 Depth=1
	s_or_b64 exec, exec, s[16:17]
	global_load_dword v44, v[24:25], off offset:1280
	v_pk_mov_b32 v[48:49], 0, 0
	v_pk_mov_b32 v[46:47], v[48:49], v[48:49] op_sel:[0,1]
	s_waitcnt vmcnt(0)
	v_cmp_ne_u16_sdwa s[0:1], v44, v15 src0_sel:BYTE_0 src1_sel:DWORD
	s_and_saveexec_b64 s[16:17], s[0:1]
	s_cbranch_execz .LBB244_371
; %bb.366:                              ;   in Loop: Header=BB244_235 Depth=1
	v_bfrev_b32_e32 v46, 1
	v_cmp_ne_u16_sdwa s[0:1], v44, s22 src0_sel:BYTE_0 src1_sel:DWORD
	v_mov_b32_e32 v47, 0
	s_and_saveexec_b64 s[18:19], s[0:1]
	s_cbranch_execz .LBB244_370
; %bb.367:                              ;   in Loop: Header=BB244_235 Depth=1
	v_and_b32_e32 v14, 0x7f, v44
	v_mov_b32_e32 v46, 0x7f800001
	v_cmp_ne_u32_e64 s[0:1], s23, v14
	v_mov_b32_e32 v47, 0
	s_and_saveexec_b64 s[20:21], s[0:1]
	s_cbranch_execz .LBB244_369
; %bb.368:                              ;   in Loop: Header=BB244_235 Depth=1
	v_and_b32_e32 v45, 7, v44
	v_ffbh_u32_e32 v46, v45
	v_min_u32_e32 v51, 32, v46
	v_subrev_u32_e32 v46, 28, v51
	v_lshlrev_b64 v[46:47], v46, v[44:45]
	v_lshrrev_b32_e32 v50, 3, v14
	v_sub_u32_e32 v47, 29, v51
	v_and_b32_e32 v46, 7, v46
	v_cmp_gt_u32_e64 s[0:1], 8, v14
	v_cndmask_b32_e64 v14, v50, v47, s[0:1]
	v_cndmask_b32_e64 v45, v45, v46, s[0:1]
	v_lshlrev_b32_e32 v45, 20, v45
	v_and_b32_sdwa v46, sext(v44), s7 dst_sel:DWORD dst_unused:UNUSED_PAD src0_sel:BYTE_0 src1_sel:DWORD
	v_lshl_add_u32 v14, v14, 23, v35
	v_or3_b32 v14, v46, v14, v45
	v_pk_mov_b32 v[46:47], v[14:15], v[14:15] op_sel:[0,1]
.LBB244_369:                            ;   in Loop: Header=BB244_235 Depth=1
	s_or_b64 exec, exec, s[20:21]
.LBB244_370:                            ;   in Loop: Header=BB244_235 Depth=1
	s_or_b64 exec, exec, s[18:19]
.LBB244_371:                            ;   in Loop: Header=BB244_235 Depth=1
	s_or_b64 exec, exec, s[16:17]
	v_cmp_ne_u16_sdwa s[0:1], v44, v15 src0_sel:BYTE_1 src1_sel:DWORD
	s_and_saveexec_b64 s[16:17], s[0:1]
	s_cbranch_execz .LBB244_377
; %bb.372:                              ;   in Loop: Header=BB244_235 Depth=1
	v_cmp_ne_u16_sdwa s[0:1], v44, s22 src0_sel:BYTE_1 src1_sel:DWORD
	v_pk_mov_b32 v[48:49], s[6:7], s[6:7] op_sel:[0,1]
	s_and_saveexec_b64 s[18:19], s[0:1]
	s_cbranch_execz .LBB244_376
; %bb.373:                              ;   in Loop: Header=BB244_235 Depth=1
	v_and_b32_sdwa v45, v44, s23 dst_sel:DWORD dst_unused:UNUSED_PAD src0_sel:BYTE_1 src1_sel:DWORD
	s_mov_b32 s14, s6
	v_cmp_ne_u32_e64 s[0:1], s23, v45
	v_pk_mov_b32 v[48:49], s[14:15], s[14:15] op_sel:[0,1]
	s_and_saveexec_b64 s[20:21], s[0:1]
	s_cbranch_execz .LBB244_375
; %bb.374:                              ;   in Loop: Header=BB244_235 Depth=1
	v_and_b32_sdwa v14, v44, v66 dst_sel:DWORD dst_unused:UNUSED_PAD src0_sel:BYTE_1 src1_sel:DWORD
	v_ffbh_u32_e32 v48, v14
	v_min_u32_e32 v51, 32, v48
	v_subrev_u32_e32 v48, 28, v51
	v_lshlrev_b64 v[48:49], v48, v[14:15]
	v_lshrrev_b32_e32 v50, 3, v45
	v_sub_u32_e32 v49, 29, v51
	v_cmp_gt_u32_e64 s[0:1], 8, v45
	v_and_b32_e32 v48, 7, v48
	v_cndmask_b32_e64 v45, v50, v49, s[0:1]
	v_cndmask_b32_e64 v14, v14, v48, s[0:1]
	v_lshlrev_b32_e32 v48, 16, v44
	v_lshl_add_u32 v45, v45, 23, v35
	v_and_or_b32 v45, v48, s7, v45
	v_lshlrev_b32_e32 v14, 20, v14
	v_or_b32_e32 v49, v45, v14
	v_mov_b32_e32 v48, v15
.LBB244_375:                            ;   in Loop: Header=BB244_235 Depth=1
	s_or_b64 exec, exec, s[20:21]
.LBB244_376:                            ;   in Loop: Header=BB244_235 Depth=1
	s_or_b64 exec, exec, s[18:19]
.LBB244_377:                            ;   in Loop: Header=BB244_235 Depth=1
	s_or_b64 exec, exec, s[16:17]
	v_lshrrev_b32_e32 v14, 16, v44
	v_pk_mov_b32 v[52:53], 0, 0
	v_cmp_ne_u16_sdwa s[0:1], v14, v15 src0_sel:BYTE_0 src1_sel:DWORD
	v_pk_mov_b32 v[50:51], v[52:53], v[52:53] op_sel:[0,1]
	s_and_saveexec_b64 s[16:17], s[0:1]
	s_cbranch_execz .LBB244_383
; %bb.378:                              ;   in Loop: Header=BB244_235 Depth=1
	v_bfrev_b32_e32 v50, 1
	v_cmp_ne_u16_sdwa s[0:1], v14, s22 src0_sel:BYTE_0 src1_sel:DWORD
	v_mov_b32_e32 v51, 0
	s_and_saveexec_b64 s[18:19], s[0:1]
	s_cbranch_execz .LBB244_382
; %bb.379:                              ;   in Loop: Header=BB244_235 Depth=1
	v_bfe_u32 v45, v44, 16, 7
	v_mov_b32_e32 v50, 0x7f800001
	v_cmp_ne_u32_e64 s[0:1], s23, v45
	v_mov_b32_e32 v51, 0
	s_and_saveexec_b64 s[20:21], s[0:1]
	s_cbranch_execz .LBB244_381
; %bb.380:                              ;   in Loop: Header=BB244_235 Depth=1
	v_and_b32_e32 v54, 7, v14
	v_ffbh_u32_e32 v50, v54
	v_min_u32_e32 v56, 32, v50
	v_subrev_u32_e32 v50, 28, v56
	v_lshlrev_b64 v[50:51], v50, v[14:15]
	v_lshrrev_b32_e32 v55, 3, v45
	v_sub_u32_e32 v51, 29, v56
	v_and_b32_e32 v50, 7, v50
	v_cmp_gt_u32_e64 s[0:1], 8, v45
	v_cndmask_b32_e64 v45, v55, v51, s[0:1]
	v_cndmask_b32_e64 v50, v54, v50, s[0:1]
	v_lshlrev_b32_e32 v50, 20, v50
	v_and_b32_sdwa v14, sext(v14), s7 dst_sel:DWORD dst_unused:UNUSED_PAD src0_sel:BYTE_0 src1_sel:DWORD
	v_lshl_add_u32 v45, v45, 23, v35
	v_or3_b32 v14, v14, v45, v50
	v_pk_mov_b32 v[50:51], v[14:15], v[14:15] op_sel:[0,1]
.LBB244_381:                            ;   in Loop: Header=BB244_235 Depth=1
	s_or_b64 exec, exec, s[20:21]
.LBB244_382:                            ;   in Loop: Header=BB244_235 Depth=1
	s_or_b64 exec, exec, s[18:19]
.LBB244_383:                            ;   in Loop: Header=BB244_235 Depth=1
	s_or_b64 exec, exec, s[16:17]
	v_cmp_lt_u32_e64 s[0:1], s28, v44
	s_and_saveexec_b64 s[16:17], s[0:1]
	s_cbranch_execz .LBB244_389
; %bb.384:                              ;   in Loop: Header=BB244_235 Depth=1
	v_cmp_ne_u32_sdwa s[0:1], v44, s22 src0_sel:BYTE_3 src1_sel:DWORD
	v_pk_mov_b32 v[52:53], s[6:7], s[6:7] op_sel:[0,1]
	s_and_saveexec_b64 s[18:19], s[0:1]
	s_cbranch_execz .LBB244_388
; %bb.385:                              ;   in Loop: Header=BB244_235 Depth=1
	v_bfe_u32 v45, v44, 24, 7
	s_mov_b32 s14, s6
	v_cmp_ne_u32_e64 s[0:1], s23, v45
	v_pk_mov_b32 v[52:53], s[14:15], s[14:15] op_sel:[0,1]
	s_and_saveexec_b64 s[20:21], s[0:1]
	s_cbranch_execz .LBB244_387
; %bb.386:                              ;   in Loop: Header=BB244_235 Depth=1
	v_and_b32_sdwa v14, v44, v66 dst_sel:DWORD dst_unused:UNUSED_PAD src0_sel:BYTE_3 src1_sel:DWORD
	v_ffbh_u32_e32 v52, v14
	v_min_u32_e32 v55, 32, v52
	v_subrev_u32_e32 v52, 28, v55
	v_lshlrev_b64 v[52:53], v52, v[14:15]
	v_lshrrev_b32_e32 v54, 3, v45
	v_sub_u32_e32 v53, 29, v55
	v_cmp_gt_u32_e64 s[0:1], 8, v45
	v_and_b32_e32 v52, 7, v52
	v_cndmask_b32_e64 v45, v54, v53, s[0:1]
	v_cndmask_b32_e64 v14, v14, v52, s[0:1]
	v_lshlrev_b32_sdwa v44, v67, v44 dst_sel:DWORD dst_unused:UNUSED_PAD src0_sel:DWORD src1_sel:BYTE_3
	v_lshl_add_u32 v45, v45, 23, v35
	v_and_or_b32 v44, v44, s7, v45
	v_lshlrev_b32_e32 v14, 20, v14
	v_or_b32_e32 v53, v44, v14
	v_mov_b32_e32 v52, v15
.LBB244_387:                            ;   in Loop: Header=BB244_235 Depth=1
	s_or_b64 exec, exec, s[20:21]
.LBB244_388:                            ;   in Loop: Header=BB244_235 Depth=1
	s_or_b64 exec, exec, s[18:19]
.LBB244_389:                            ;   in Loop: Header=BB244_235 Depth=1
	s_or_b64 exec, exec, s[16:17]
	v_or_b32_e32 v45, v49, v47
	v_or_b32_e32 v44, v48, v46
	;; [unrolled: 1-line block ×4, first 2 shown]
	v_pk_mul_f32 v[44:45], s[10:11], v[44:45]
	v_pk_mul_f32 v[46:47], s[10:11], v[46:47]
	s_and_saveexec_b64 s[16:17], vcc
; %bb.390:                              ;   in Loop: Header=BB244_235 Depth=1
	v_cmp_gt_i32_e64 s[0:1], s29, v68
	v_cndmask_b32_e64 v44, 0, v44, s[0:1]
	v_cmp_gt_i32_e64 s[0:1], s29, v70
	v_cndmask_b32_e64 v45, 0, v45, s[0:1]
	;; [unrolled: 2-line block ×4, first 2 shown]
; %bb.391:                              ;   in Loop: Header=BB244_235 Depth=1
	s_or_b64 exec, exec, s[16:17]
	global_load_dword v48, v[24:25], off offset:1536
	v_pk_mov_b32 v[52:53], 0, 0
	v_pk_mov_b32 v[50:51], v[52:53], v[52:53] op_sel:[0,1]
	s_waitcnt vmcnt(0)
	v_cmp_ne_u16_sdwa s[0:1], v48, v15 src0_sel:BYTE_0 src1_sel:DWORD
	s_and_saveexec_b64 s[16:17], s[0:1]
	s_cbranch_execz .LBB244_397
; %bb.392:                              ;   in Loop: Header=BB244_235 Depth=1
	v_bfrev_b32_e32 v50, 1
	v_cmp_ne_u16_sdwa s[0:1], v48, s22 src0_sel:BYTE_0 src1_sel:DWORD
	v_mov_b32_e32 v51, 0
	s_and_saveexec_b64 s[18:19], s[0:1]
	s_cbranch_execz .LBB244_396
; %bb.393:                              ;   in Loop: Header=BB244_235 Depth=1
	v_and_b32_e32 v14, 0x7f, v48
	v_mov_b32_e32 v50, 0x7f800001
	v_cmp_ne_u32_e64 s[0:1], s23, v14
	v_mov_b32_e32 v51, 0
	s_and_saveexec_b64 s[20:21], s[0:1]
	s_cbranch_execz .LBB244_395
; %bb.394:                              ;   in Loop: Header=BB244_235 Depth=1
	v_and_b32_e32 v49, 7, v48
	v_ffbh_u32_e32 v50, v49
	v_min_u32_e32 v55, 32, v50
	v_subrev_u32_e32 v50, 28, v55
	v_lshlrev_b64 v[50:51], v50, v[48:49]
	v_lshrrev_b32_e32 v54, 3, v14
	v_sub_u32_e32 v51, 29, v55
	v_and_b32_e32 v50, 7, v50
	v_cmp_gt_u32_e64 s[0:1], 8, v14
	v_cndmask_b32_e64 v14, v54, v51, s[0:1]
	v_cndmask_b32_e64 v49, v49, v50, s[0:1]
	v_lshlrev_b32_e32 v49, 20, v49
	v_and_b32_sdwa v50, sext(v48), s7 dst_sel:DWORD dst_unused:UNUSED_PAD src0_sel:BYTE_0 src1_sel:DWORD
	v_lshl_add_u32 v14, v14, 23, v35
	v_or3_b32 v14, v50, v14, v49
	v_pk_mov_b32 v[50:51], v[14:15], v[14:15] op_sel:[0,1]
.LBB244_395:                            ;   in Loop: Header=BB244_235 Depth=1
	s_or_b64 exec, exec, s[20:21]
.LBB244_396:                            ;   in Loop: Header=BB244_235 Depth=1
	s_or_b64 exec, exec, s[18:19]
.LBB244_397:                            ;   in Loop: Header=BB244_235 Depth=1
	s_or_b64 exec, exec, s[16:17]
	v_cmp_ne_u16_sdwa s[0:1], v48, v15 src0_sel:BYTE_1 src1_sel:DWORD
	s_and_saveexec_b64 s[16:17], s[0:1]
	s_cbranch_execz .LBB244_403
; %bb.398:                              ;   in Loop: Header=BB244_235 Depth=1
	v_cmp_ne_u16_sdwa s[0:1], v48, s22 src0_sel:BYTE_1 src1_sel:DWORD
	v_pk_mov_b32 v[52:53], s[6:7], s[6:7] op_sel:[0,1]
	s_and_saveexec_b64 s[18:19], s[0:1]
	s_cbranch_execz .LBB244_402
; %bb.399:                              ;   in Loop: Header=BB244_235 Depth=1
	v_and_b32_sdwa v49, v48, s23 dst_sel:DWORD dst_unused:UNUSED_PAD src0_sel:BYTE_1 src1_sel:DWORD
	s_mov_b32 s14, s6
	v_cmp_ne_u32_e64 s[0:1], s23, v49
	v_pk_mov_b32 v[52:53], s[14:15], s[14:15] op_sel:[0,1]
	s_and_saveexec_b64 s[20:21], s[0:1]
	s_cbranch_execz .LBB244_401
; %bb.400:                              ;   in Loop: Header=BB244_235 Depth=1
	v_and_b32_sdwa v14, v48, v66 dst_sel:DWORD dst_unused:UNUSED_PAD src0_sel:BYTE_1 src1_sel:DWORD
	v_ffbh_u32_e32 v52, v14
	v_min_u32_e32 v55, 32, v52
	v_subrev_u32_e32 v52, 28, v55
	v_lshlrev_b64 v[52:53], v52, v[14:15]
	v_lshrrev_b32_e32 v54, 3, v49
	v_sub_u32_e32 v53, 29, v55
	v_cmp_gt_u32_e64 s[0:1], 8, v49
	v_and_b32_e32 v52, 7, v52
	v_cndmask_b32_e64 v49, v54, v53, s[0:1]
	v_cndmask_b32_e64 v14, v14, v52, s[0:1]
	v_lshlrev_b32_e32 v52, 16, v48
	v_lshl_add_u32 v49, v49, 23, v35
	v_and_or_b32 v49, v52, s7, v49
	v_lshlrev_b32_e32 v14, 20, v14
	v_or_b32_e32 v53, v49, v14
	v_mov_b32_e32 v52, v15
.LBB244_401:                            ;   in Loop: Header=BB244_235 Depth=1
	s_or_b64 exec, exec, s[20:21]
.LBB244_402:                            ;   in Loop: Header=BB244_235 Depth=1
	s_or_b64 exec, exec, s[18:19]
.LBB244_403:                            ;   in Loop: Header=BB244_235 Depth=1
	s_or_b64 exec, exec, s[16:17]
	v_lshrrev_b32_e32 v14, 16, v48
	v_pk_mov_b32 v[56:57], 0, 0
	v_cmp_ne_u16_sdwa s[0:1], v14, v15 src0_sel:BYTE_0 src1_sel:DWORD
	v_pk_mov_b32 v[54:55], v[56:57], v[56:57] op_sel:[0,1]
	s_and_saveexec_b64 s[16:17], s[0:1]
	s_cbranch_execz .LBB244_409
; %bb.404:                              ;   in Loop: Header=BB244_235 Depth=1
	v_bfrev_b32_e32 v54, 1
	v_cmp_ne_u16_sdwa s[0:1], v14, s22 src0_sel:BYTE_0 src1_sel:DWORD
	v_mov_b32_e32 v55, 0
	s_and_saveexec_b64 s[18:19], s[0:1]
	s_cbranch_execz .LBB244_408
; %bb.405:                              ;   in Loop: Header=BB244_235 Depth=1
	v_bfe_u32 v49, v48, 16, 7
	v_mov_b32_e32 v54, 0x7f800001
	v_cmp_ne_u32_e64 s[0:1], s23, v49
	v_mov_b32_e32 v55, 0
	s_and_saveexec_b64 s[20:21], s[0:1]
	s_cbranch_execz .LBB244_407
; %bb.406:                              ;   in Loop: Header=BB244_235 Depth=1
	v_and_b32_e32 v58, 7, v14
	v_ffbh_u32_e32 v54, v58
	v_min_u32_e32 v71, 32, v54
	v_subrev_u32_e32 v54, 28, v71
	v_lshlrev_b64 v[54:55], v54, v[14:15]
	v_lshrrev_b32_e32 v59, 3, v49
	v_sub_u32_e32 v55, 29, v71
	v_and_b32_e32 v54, 7, v54
	v_cmp_gt_u32_e64 s[0:1], 8, v49
	v_cndmask_b32_e64 v49, v59, v55, s[0:1]
	v_cndmask_b32_e64 v54, v58, v54, s[0:1]
	v_lshlrev_b32_e32 v54, 20, v54
	v_and_b32_sdwa v14, sext(v14), s7 dst_sel:DWORD dst_unused:UNUSED_PAD src0_sel:BYTE_0 src1_sel:DWORD
	v_lshl_add_u32 v49, v49, 23, v35
	v_or3_b32 v14, v14, v49, v54
	v_pk_mov_b32 v[54:55], v[14:15], v[14:15] op_sel:[0,1]
.LBB244_407:                            ;   in Loop: Header=BB244_235 Depth=1
	s_or_b64 exec, exec, s[20:21]
.LBB244_408:                            ;   in Loop: Header=BB244_235 Depth=1
	s_or_b64 exec, exec, s[18:19]
.LBB244_409:                            ;   in Loop: Header=BB244_235 Depth=1
	s_or_b64 exec, exec, s[16:17]
	v_cmp_lt_u32_e64 s[0:1], s28, v48
	s_and_saveexec_b64 s[16:17], s[0:1]
	s_cbranch_execz .LBB244_415
; %bb.410:                              ;   in Loop: Header=BB244_235 Depth=1
	v_cmp_ne_u32_sdwa s[0:1], v48, s22 src0_sel:BYTE_3 src1_sel:DWORD
	v_pk_mov_b32 v[56:57], s[6:7], s[6:7] op_sel:[0,1]
	s_and_saveexec_b64 s[18:19], s[0:1]
	s_cbranch_execz .LBB244_414
; %bb.411:                              ;   in Loop: Header=BB244_235 Depth=1
	v_bfe_u32 v49, v48, 24, 7
	s_mov_b32 s14, s6
	v_cmp_ne_u32_e64 s[0:1], s23, v49
	v_pk_mov_b32 v[56:57], s[14:15], s[14:15] op_sel:[0,1]
	s_and_saveexec_b64 s[20:21], s[0:1]
	s_cbranch_execz .LBB244_413
; %bb.412:                              ;   in Loop: Header=BB244_235 Depth=1
	v_and_b32_sdwa v14, v48, v66 dst_sel:DWORD dst_unused:UNUSED_PAD src0_sel:BYTE_3 src1_sel:DWORD
	v_ffbh_u32_e32 v56, v14
	v_min_u32_e32 v59, 32, v56
	v_subrev_u32_e32 v56, 28, v59
	v_lshlrev_b64 v[56:57], v56, v[14:15]
	v_lshrrev_b32_e32 v58, 3, v49
	v_sub_u32_e32 v57, 29, v59
	v_cmp_gt_u32_e64 s[0:1], 8, v49
	v_and_b32_e32 v56, 7, v56
	v_cndmask_b32_e64 v49, v58, v57, s[0:1]
	v_cndmask_b32_e64 v14, v14, v56, s[0:1]
	v_lshlrev_b32_sdwa v48, v67, v48 dst_sel:DWORD dst_unused:UNUSED_PAD src0_sel:DWORD src1_sel:BYTE_3
	v_lshl_add_u32 v49, v49, 23, v35
	v_and_or_b32 v48, v48, s7, v49
	v_lshlrev_b32_e32 v14, 20, v14
	v_or_b32_e32 v57, v48, v14
	v_mov_b32_e32 v56, v15
.LBB244_413:                            ;   in Loop: Header=BB244_235 Depth=1
	s_or_b64 exec, exec, s[20:21]
.LBB244_414:                            ;   in Loop: Header=BB244_235 Depth=1
	s_or_b64 exec, exec, s[18:19]
.LBB244_415:                            ;   in Loop: Header=BB244_235 Depth=1
	s_or_b64 exec, exec, s[16:17]
	v_or_b32_e32 v49, v53, v51
	v_or_b32_e32 v48, v52, v50
	;; [unrolled: 1-line block ×4, first 2 shown]
	v_pk_mul_f32 v[48:49], s[10:11], v[48:49]
	v_pk_mul_f32 v[50:51], s[10:11], v[50:51]
	s_and_saveexec_b64 s[16:17], vcc
; %bb.416:                              ;   in Loop: Header=BB244_235 Depth=1
	v_cmp_gt_i32_e64 s[0:1], s29, v68
	v_cndmask_b32_e64 v48, 0, v48, s[0:1]
	v_cmp_gt_i32_e64 s[0:1], s29, v70
	v_cndmask_b32_e64 v49, 0, v49, s[0:1]
	v_cmp_gt_i32_e64 s[0:1], s29, v69
	v_cndmask_b32_e64 v50, 0, v50, s[0:1]
	v_cmp_gt_i32_e64 s[0:1], s29, v64
	v_cndmask_b32_e64 v51, 0, v51, s[0:1]
; %bb.417:                              ;   in Loop: Header=BB244_235 Depth=1
	s_or_b64 exec, exec, s[16:17]
	global_load_dword v24, v[24:25], off offset:1792
	v_pk_mov_b32 v[54:55], 0, 0
	v_pk_mov_b32 v[52:53], v[54:55], v[54:55] op_sel:[0,1]
	s_waitcnt vmcnt(0)
	v_cmp_ne_u16_sdwa s[0:1], v24, v15 src0_sel:BYTE_0 src1_sel:DWORD
	s_and_saveexec_b64 s[16:17], s[0:1]
	s_cbranch_execz .LBB244_423
; %bb.418:                              ;   in Loop: Header=BB244_235 Depth=1
	v_bfrev_b32_e32 v52, 1
	v_cmp_ne_u16_sdwa s[0:1], v24, s22 src0_sel:BYTE_0 src1_sel:DWORD
	v_mov_b32_e32 v53, 0
	s_and_saveexec_b64 s[18:19], s[0:1]
	s_cbranch_execz .LBB244_422
; %bb.419:                              ;   in Loop: Header=BB244_235 Depth=1
	v_and_b32_e32 v14, 0x7f, v24
	v_mov_b32_e32 v52, 0x7f800001
	v_cmp_ne_u32_e64 s[0:1], s23, v14
	v_mov_b32_e32 v53, 0
	s_and_saveexec_b64 s[20:21], s[0:1]
	s_cbranch_execz .LBB244_421
; %bb.420:                              ;   in Loop: Header=BB244_235 Depth=1
	v_and_b32_e32 v25, 7, v24
	v_ffbh_u32_e32 v52, v25
	v_min_u32_e32 v57, 32, v52
	v_subrev_u32_e32 v52, 28, v57
	v_lshlrev_b64 v[52:53], v52, v[24:25]
	v_lshrrev_b32_e32 v56, 3, v14
	v_sub_u32_e32 v53, 29, v57
	v_and_b32_e32 v52, 7, v52
	v_cmp_gt_u32_e64 s[0:1], 8, v14
	v_cndmask_b32_e64 v14, v56, v53, s[0:1]
	v_cndmask_b32_e64 v25, v25, v52, s[0:1]
	v_lshlrev_b32_e32 v25, 20, v25
	v_and_b32_sdwa v52, sext(v24), s7 dst_sel:DWORD dst_unused:UNUSED_PAD src0_sel:BYTE_0 src1_sel:DWORD
	v_lshl_add_u32 v14, v14, 23, v35
	v_or3_b32 v14, v52, v14, v25
	v_pk_mov_b32 v[52:53], v[14:15], v[14:15] op_sel:[0,1]
.LBB244_421:                            ;   in Loop: Header=BB244_235 Depth=1
	s_or_b64 exec, exec, s[20:21]
.LBB244_422:                            ;   in Loop: Header=BB244_235 Depth=1
	s_or_b64 exec, exec, s[18:19]
.LBB244_423:                            ;   in Loop: Header=BB244_235 Depth=1
	s_or_b64 exec, exec, s[16:17]
	v_cmp_ne_u16_sdwa s[0:1], v24, v15 src0_sel:BYTE_1 src1_sel:DWORD
	s_and_saveexec_b64 s[16:17], s[0:1]
	s_cbranch_execz .LBB244_429
; %bb.424:                              ;   in Loop: Header=BB244_235 Depth=1
	v_cmp_ne_u16_sdwa s[0:1], v24, s22 src0_sel:BYTE_1 src1_sel:DWORD
	v_pk_mov_b32 v[54:55], s[6:7], s[6:7] op_sel:[0,1]
	s_and_saveexec_b64 s[18:19], s[0:1]
	s_cbranch_execz .LBB244_428
; %bb.425:                              ;   in Loop: Header=BB244_235 Depth=1
	v_and_b32_sdwa v25, v24, s23 dst_sel:DWORD dst_unused:UNUSED_PAD src0_sel:BYTE_1 src1_sel:DWORD
	s_mov_b32 s14, s6
	v_cmp_ne_u32_e64 s[0:1], s23, v25
	v_pk_mov_b32 v[54:55], s[14:15], s[14:15] op_sel:[0,1]
	s_and_saveexec_b64 s[20:21], s[0:1]
	s_cbranch_execz .LBB244_427
; %bb.426:                              ;   in Loop: Header=BB244_235 Depth=1
	v_and_b32_sdwa v14, v24, v66 dst_sel:DWORD dst_unused:UNUSED_PAD src0_sel:BYTE_1 src1_sel:DWORD
	v_ffbh_u32_e32 v54, v14
	v_min_u32_e32 v57, 32, v54
	v_subrev_u32_e32 v54, 28, v57
	v_lshlrev_b64 v[54:55], v54, v[14:15]
	v_lshrrev_b32_e32 v56, 3, v25
	v_sub_u32_e32 v55, 29, v57
	v_cmp_gt_u32_e64 s[0:1], 8, v25
	v_and_b32_e32 v54, 7, v54
	v_cndmask_b32_e64 v25, v56, v55, s[0:1]
	v_cndmask_b32_e64 v14, v14, v54, s[0:1]
	v_lshlrev_b32_e32 v54, 16, v24
	v_lshl_add_u32 v25, v25, 23, v35
	v_and_or_b32 v25, v54, s7, v25
	v_lshlrev_b32_e32 v14, 20, v14
	v_or_b32_e32 v55, v25, v14
	v_mov_b32_e32 v54, v15
.LBB244_427:                            ;   in Loop: Header=BB244_235 Depth=1
	s_or_b64 exec, exec, s[20:21]
.LBB244_428:                            ;   in Loop: Header=BB244_235 Depth=1
	s_or_b64 exec, exec, s[18:19]
.LBB244_429:                            ;   in Loop: Header=BB244_235 Depth=1
	s_or_b64 exec, exec, s[16:17]
	v_lshrrev_b32_e32 v14, 16, v24
	v_pk_mov_b32 v[58:59], 0, 0
	v_cmp_ne_u16_sdwa s[0:1], v14, v15 src0_sel:BYTE_0 src1_sel:DWORD
	v_pk_mov_b32 v[56:57], v[58:59], v[58:59] op_sel:[0,1]
	s_and_saveexec_b64 s[16:17], s[0:1]
	s_cbranch_execz .LBB244_435
; %bb.430:                              ;   in Loop: Header=BB244_235 Depth=1
	v_bfrev_b32_e32 v56, 1
	v_cmp_ne_u16_sdwa s[0:1], v14, s22 src0_sel:BYTE_0 src1_sel:DWORD
	v_mov_b32_e32 v57, 0
	s_and_saveexec_b64 s[18:19], s[0:1]
	s_cbranch_execz .LBB244_434
; %bb.431:                              ;   in Loop: Header=BB244_235 Depth=1
	v_bfe_u32 v25, v24, 16, 7
	v_mov_b32_e32 v56, 0x7f800001
	v_cmp_ne_u32_e64 s[0:1], s23, v25
	v_mov_b32_e32 v57, 0
	s_and_saveexec_b64 s[20:21], s[0:1]
	s_cbranch_execz .LBB244_433
; %bb.432:                              ;   in Loop: Header=BB244_235 Depth=1
	v_and_b32_e32 v71, 7, v14
	v_ffbh_u32_e32 v56, v71
	v_min_u32_e32 v73, 32, v56
	v_subrev_u32_e32 v56, 28, v73
	v_lshlrev_b64 v[56:57], v56, v[14:15]
	v_lshrrev_b32_e32 v72, 3, v25
	v_sub_u32_e32 v57, 29, v73
	v_and_b32_e32 v56, 7, v56
	v_cmp_gt_u32_e64 s[0:1], 8, v25
	v_cndmask_b32_e64 v25, v72, v57, s[0:1]
	v_cndmask_b32_e64 v56, v71, v56, s[0:1]
	v_lshlrev_b32_e32 v56, 20, v56
	v_and_b32_sdwa v14, sext(v14), s7 dst_sel:DWORD dst_unused:UNUSED_PAD src0_sel:BYTE_0 src1_sel:DWORD
	v_lshl_add_u32 v25, v25, 23, v35
	v_or3_b32 v14, v14, v25, v56
	v_pk_mov_b32 v[56:57], v[14:15], v[14:15] op_sel:[0,1]
.LBB244_433:                            ;   in Loop: Header=BB244_235 Depth=1
	s_or_b64 exec, exec, s[20:21]
.LBB244_434:                            ;   in Loop: Header=BB244_235 Depth=1
	s_or_b64 exec, exec, s[18:19]
.LBB244_435:                            ;   in Loop: Header=BB244_235 Depth=1
	s_or_b64 exec, exec, s[16:17]
	v_cmp_lt_u32_e64 s[0:1], s28, v24
	s_and_saveexec_b64 s[16:17], s[0:1]
	s_cbranch_execz .LBB244_441
; %bb.436:                              ;   in Loop: Header=BB244_235 Depth=1
	v_cmp_ne_u32_sdwa s[0:1], v24, s22 src0_sel:BYTE_3 src1_sel:DWORD
	v_pk_mov_b32 v[58:59], s[6:7], s[6:7] op_sel:[0,1]
	s_and_saveexec_b64 s[18:19], s[0:1]
	s_cbranch_execz .LBB244_440
; %bb.437:                              ;   in Loop: Header=BB244_235 Depth=1
	v_bfe_u32 v25, v24, 24, 7
	s_mov_b32 s14, s6
	v_cmp_ne_u32_e64 s[0:1], s23, v25
	v_pk_mov_b32 v[58:59], s[14:15], s[14:15] op_sel:[0,1]
	s_and_saveexec_b64 s[20:21], s[0:1]
	s_cbranch_execz .LBB244_439
; %bb.438:                              ;   in Loop: Header=BB244_235 Depth=1
	v_and_b32_sdwa v14, v24, v66 dst_sel:DWORD dst_unused:UNUSED_PAD src0_sel:BYTE_3 src1_sel:DWORD
	v_ffbh_u32_e32 v58, v14
	v_min_u32_e32 v72, 32, v58
	v_subrev_u32_e32 v58, 28, v72
	v_lshlrev_b64 v[58:59], v58, v[14:15]
	v_lshrrev_b32_e32 v71, 3, v25
	v_sub_u32_e32 v59, 29, v72
	v_cmp_gt_u32_e64 s[0:1], 8, v25
	v_and_b32_e32 v58, 7, v58
	v_cndmask_b32_e64 v25, v71, v59, s[0:1]
	v_cndmask_b32_e64 v14, v14, v58, s[0:1]
	v_lshlrev_b32_sdwa v24, v67, v24 dst_sel:DWORD dst_unused:UNUSED_PAD src0_sel:DWORD src1_sel:BYTE_3
	v_lshl_add_u32 v25, v25, 23, v35
	v_and_or_b32 v24, v24, s7, v25
	v_lshlrev_b32_e32 v14, 20, v14
	v_or_b32_e32 v59, v24, v14
	v_mov_b32_e32 v58, v15
.LBB244_439:                            ;   in Loop: Header=BB244_235 Depth=1
	s_or_b64 exec, exec, s[20:21]
.LBB244_440:                            ;   in Loop: Header=BB244_235 Depth=1
	s_or_b64 exec, exec, s[18:19]
.LBB244_441:                            ;   in Loop: Header=BB244_235 Depth=1
	s_or_b64 exec, exec, s[16:17]
	v_or_b32_e32 v25, v55, v53
	v_or_b32_e32 v24, v54, v52
	;; [unrolled: 1-line block ×4, first 2 shown]
	v_pk_mul_f32 v[24:25], s[10:11], v[24:25]
	v_pk_mul_f32 v[52:53], s[10:11], v[52:53]
	s_and_saveexec_b64 s[0:1], vcc
	s_cbranch_execz .LBB244_234
; %bb.442:                              ;   in Loop: Header=BB244_235 Depth=1
	v_cmp_gt_i32_e32 vcc, s29, v68
	v_cndmask_b32_e32 v24, 0, v24, vcc
	v_cmp_gt_i32_e32 vcc, s29, v70
	v_cndmask_b32_e32 v25, 0, v25, vcc
	;; [unrolled: 2-line block ×4, first 2 shown]
	s_branch .LBB244_234
.LBB244_443:
	s_or_b64 exec, exec, s[12:13]
.LBB244_444:
	s_or_b64 exec, exec, s[4:5]
	ds_bpermute_b32 v4, v61, v10
	ds_bpermute_b32 v5, v61, v11
	;; [unrolled: 1-line block ×6, first 2 shown]
	s_waitcnt lgkmcnt(4)
	v_pk_add_f32 v[4:5], v[10:11], v[4:5]
	ds_bpermute_b32 v10, v60, v4
	ds_bpermute_b32 v11, v60, v5
	s_waitcnt lgkmcnt(4)
	v_pk_add_f32 v[2:3], v[12:13], v[2:3]
	s_waitcnt lgkmcnt(2)
	v_pk_add_f32 v[8:9], v[8:9], v[14:15]
	ds_bpermute_b32 v12, v60, v2
	ds_bpermute_b32 v13, v60, v3
	s_waitcnt lgkmcnt(2)
	v_pk_add_f32 v[4:5], v[4:5], v[10:11]
	ds_bpermute_b32 v10, v61, v6
	ds_bpermute_b32 v11, v61, v7
	;; [unrolled: 1-line block ×4, first 2 shown]
	s_waitcnt lgkmcnt(4)
	v_pk_add_f32 v[2:3], v[2:3], v[12:13]
	ds_bpermute_b32 v16, v62, v4
	s_waitcnt lgkmcnt(3)
	v_pk_add_f32 v[6:7], v[6:7], v[10:11]
	ds_bpermute_b32 v10, v60, v6
	ds_bpermute_b32 v11, v60, v7
	ds_bpermute_b32 v17, v62, v5
	s_waitcnt lgkmcnt(4)
	v_pk_add_f32 v[14:15], v[8:9], v[14:15]
	ds_bpermute_b32 v12, v62, v2
	ds_bpermute_b32 v13, v62, v3
	s_waitcnt lgkmcnt(3)
	v_pk_add_f32 v[10:11], v[6:7], v[10:11]
	ds_bpermute_b32 v20, v62, v10
	ds_bpermute_b32 v21, v62, v11
	;; [unrolled: 1-line block ×4, first 2 shown]
	s_waitcnt lgkmcnt(6)
	v_pk_add_f32 v[6:7], v[4:5], v[16:17]
	s_waitcnt lgkmcnt(4)
	v_pk_add_f32 v[8:9], v[2:3], v[12:13]
	;; [unrolled: 2-line block ×3, first 2 shown]
	v_and_b32_e32 v10, 0x3c7, v0
	s_waitcnt lgkmcnt(0)
	v_pk_add_f32 v[2:3], v[14:15], v[18:19]
	v_cmp_eq_u32_e32 vcc, 64, v10
	s_barrier
	s_and_saveexec_b64 s[0:1], vcc
	s_cbranch_execz .LBB244_446
; %bb.445:
	v_lshrrev_b32_e32 v1, 1, v1
	v_add_u32_e32 v1, 0x110, v1
	ds_write2_b32 v1, v8, v9 offset1:8
	ds_write2_b32 v1, v6, v7 offset0:16 offset1:24
	ds_write2_b32 v1, v2, v3 offset0:32 offset1:40
	;; [unrolled: 1-line block ×3, first 2 shown]
.LBB244_446:
	s_or_b64 exec, exec, s[0:1]
	v_cmp_gt_u32_e32 vcc, 64, v0
	s_waitcnt lgkmcnt(0)
	s_barrier
	s_and_saveexec_b64 s[0:1], vcc
	s_cbranch_execz .LBB244_457
; %bb.447:
	v_cmp_eq_u32_e32 vcc, 0, v63
	v_lshrrev_b32_e32 v1, 3, v0
	s_and_saveexec_b64 s[4:5], vcc
	s_cbranch_execnz .LBB244_460
; %bb.448:
	s_or_b64 exec, exec, s[4:5]
	s_and_saveexec_b64 s[4:5], vcc
	s_cbranch_execnz .LBB244_461
.LBB244_449:
	s_or_b64 exec, exec, s[4:5]
	s_and_saveexec_b64 s[4:5], vcc
	s_cbranch_execnz .LBB244_462
.LBB244_450:
	s_or_b64 exec, exec, s[4:5]
	s_and_saveexec_b64 s[4:5], vcc
	s_cbranch_execnz .LBB244_463
.LBB244_451:
	s_or_b64 exec, exec, s[4:5]
	s_and_saveexec_b64 s[4:5], vcc
	s_cbranch_execnz .LBB244_464
.LBB244_452:
	s_or_b64 exec, exec, s[4:5]
	s_and_saveexec_b64 s[4:5], vcc
	s_cbranch_execnz .LBB244_465
.LBB244_453:
	s_or_b64 exec, exec, s[4:5]
	s_and_saveexec_b64 s[4:5], vcc
	s_cbranch_execnz .LBB244_466
.LBB244_454:
	s_or_b64 exec, exec, s[4:5]
	s_and_saveexec_b64 s[4:5], vcc
	s_cbranch_execz .LBB244_456
.LBB244_455:
	v_mov_b32_e32 v11, 0x110
	v_lshl_add_u32 v1, v1, 2, v11
	ds_read_b32 v1, v1 offset:224
	s_waitcnt lgkmcnt(0)
	v_add_f32_e32 v5, v5, v1
.LBB244_456:
	s_or_b64 exec, exec, s[4:5]
.LBB244_457:
	s_or_b64 exec, exec, s[0:1]
	v_cmp_eq_u32_e32 vcc, 0, v10
	s_barrier
	s_and_saveexec_b64 s[0:1], vcc
	s_cbranch_execz .LBB244_459
; %bb.458:
	s_lshl_b32 s0, s2, 6
	s_ashr_i32 s1, s0, 31
	s_lshl_b64 s[0:1], s[0:1], 2
	s_add_u32 s2, s26, s0
	s_mul_i32 s0, s25, s24
	s_addc_u32 s3, s27, s1
	s_ashr_i32 s1, s0, 31
	s_lshl_b64 s[0:1], s[0:1], 2
	s_add_u32 s2, s2, s0
	s_addc_u32 s3, s3, s1
	s_lshl_b32 s0, s8, 6
	s_ashr_i32 s1, s0, 31
	s_lshl_b64 s[0:1], s[0:1], 2
	s_add_u32 s0, s2, s0
	s_addc_u32 s1, s3, s1
	v_lshrrev_b32_e32 v0, 1, v0
	global_store_dword v0, v8, s[0:1]
	global_store_dword v0, v9, s[0:1] offset:32
	global_store_dword v0, v6, s[0:1] offset:64
	;; [unrolled: 1-line block ×7, first 2 shown]
.LBB244_459:
	s_endpgm
.LBB244_460:
	v_mov_b32_e32 v11, 0x110
	v_lshl_add_u32 v11, v1, 2, v11
	ds_read_b32 v11, v11
	s_waitcnt lgkmcnt(0)
	v_add_f32_e32 v8, v8, v11
	s_or_b64 exec, exec, s[4:5]
	s_and_saveexec_b64 s[4:5], vcc
	s_cbranch_execz .LBB244_449
.LBB244_461:
	v_mov_b32_e32 v11, 0x110
	v_lshl_add_u32 v11, v1, 2, v11
	ds_read_b32 v11, v11 offset:32
	s_waitcnt lgkmcnt(0)
	v_add_f32_e32 v9, v9, v11
	s_or_b64 exec, exec, s[4:5]
	s_and_saveexec_b64 s[4:5], vcc
	s_cbranch_execz .LBB244_450
.LBB244_462:
	v_mov_b32_e32 v11, 0x110
	v_lshl_add_u32 v11, v1, 2, v11
	ds_read_b32 v11, v11 offset:64
	s_waitcnt lgkmcnt(0)
	v_add_f32_e32 v6, v6, v11
	s_or_b64 exec, exec, s[4:5]
	s_and_saveexec_b64 s[4:5], vcc
	s_cbranch_execz .LBB244_451
.LBB244_463:
	v_mov_b32_e32 v11, 0x110
	v_lshl_add_u32 v11, v1, 2, v11
	ds_read_b32 v11, v11 offset:96
	s_waitcnt lgkmcnt(0)
	v_add_f32_e32 v7, v7, v11
	s_or_b64 exec, exec, s[4:5]
	s_and_saveexec_b64 s[4:5], vcc
	s_cbranch_execz .LBB244_452
.LBB244_464:
	v_mov_b32_e32 v11, 0x110
	v_lshl_add_u32 v11, v1, 2, v11
	ds_read_b32 v11, v11 offset:128
	s_waitcnt lgkmcnt(0)
	v_add_f32_e32 v2, v2, v11
	s_or_b64 exec, exec, s[4:5]
	s_and_saveexec_b64 s[4:5], vcc
	s_cbranch_execz .LBB244_453
.LBB244_465:
	v_mov_b32_e32 v11, 0x110
	v_lshl_add_u32 v11, v1, 2, v11
	ds_read_b32 v11, v11 offset:160
	s_waitcnt lgkmcnt(0)
	v_add_f32_e32 v3, v3, v11
	s_or_b64 exec, exec, s[4:5]
	s_and_saveexec_b64 s[4:5], vcc
	s_cbranch_execz .LBB244_454
.LBB244_466:
	v_mov_b32_e32 v11, 0x110
	v_lshl_add_u32 v11, v1, 2, v11
	ds_read_b32 v11, v11 offset:192
	s_waitcnt lgkmcnt(0)
	v_add_f32_e32 v4, v4, v11
	s_or_b64 exec, exec, s[4:5]
	s_and_saveexec_b64 s[4:5], vcc
	s_cbranch_execnz .LBB244_455
	s_branch .LBB244_456
	.section	.rodata,"a",@progbits
	.p2align	6, 0x0
	.amdhsa_kernel _ZN4vllm25paged_attention_v2_kernelIfhLi64ELi32ELi128ELNS_18Fp8KVCacheDataTypeE1ELb0ELi512EEEvPfS2_PT_PKS3_PKT0_S9_ifPKiSB_iPKfiiiSD_SD_iiiii
		.amdhsa_group_segment_fixed_size 272
		.amdhsa_private_segment_fixed_size 0
		.amdhsa_kernarg_size 400
		.amdhsa_user_sgpr_count 6
		.amdhsa_user_sgpr_private_segment_buffer 1
		.amdhsa_user_sgpr_dispatch_ptr 0
		.amdhsa_user_sgpr_queue_ptr 0
		.amdhsa_user_sgpr_kernarg_segment_ptr 1
		.amdhsa_user_sgpr_dispatch_id 0
		.amdhsa_user_sgpr_flat_scratch_init 0
		.amdhsa_user_sgpr_kernarg_preload_length 0
		.amdhsa_user_sgpr_kernarg_preload_offset 0
		.amdhsa_user_sgpr_private_segment_size 0
		.amdhsa_uses_dynamic_stack 0
		.amdhsa_system_sgpr_private_segment_wavefront_offset 0
		.amdhsa_system_sgpr_workgroup_id_x 1
		.amdhsa_system_sgpr_workgroup_id_y 1
		.amdhsa_system_sgpr_workgroup_id_z 1
		.amdhsa_system_sgpr_workgroup_info 0
		.amdhsa_system_vgpr_workitem_id 0
		.amdhsa_next_free_vgpr 121
		.amdhsa_next_free_sgpr 56
		.amdhsa_accum_offset 124
		.amdhsa_reserve_vcc 1
		.amdhsa_reserve_flat_scratch 0
		.amdhsa_float_round_mode_32 0
		.amdhsa_float_round_mode_16_64 0
		.amdhsa_float_denorm_mode_32 3
		.amdhsa_float_denorm_mode_16_64 3
		.amdhsa_dx10_clamp 1
		.amdhsa_ieee_mode 1
		.amdhsa_fp16_overflow 0
		.amdhsa_tg_split 0
		.amdhsa_exception_fp_ieee_invalid_op 0
		.amdhsa_exception_fp_denorm_src 0
		.amdhsa_exception_fp_ieee_div_zero 0
		.amdhsa_exception_fp_ieee_overflow 0
		.amdhsa_exception_fp_ieee_underflow 0
		.amdhsa_exception_fp_ieee_inexact 0
		.amdhsa_exception_int_div_zero 0
	.end_amdhsa_kernel
	.section	.text._ZN4vllm25paged_attention_v2_kernelIfhLi64ELi32ELi128ELNS_18Fp8KVCacheDataTypeE1ELb0ELi512EEEvPfS2_PT_PKS3_PKT0_S9_ifPKiSB_iPKfiiiSD_SD_iiiii,"axG",@progbits,_ZN4vllm25paged_attention_v2_kernelIfhLi64ELi32ELi128ELNS_18Fp8KVCacheDataTypeE1ELb0ELi512EEEvPfS2_PT_PKS3_PKT0_S9_ifPKiSB_iPKfiiiSD_SD_iiiii,comdat
.Lfunc_end244:
	.size	_ZN4vllm25paged_attention_v2_kernelIfhLi64ELi32ELi128ELNS_18Fp8KVCacheDataTypeE1ELb0ELi512EEEvPfS2_PT_PKS3_PKT0_S9_ifPKiSB_iPKfiiiSD_SD_iiiii, .Lfunc_end244-_ZN4vllm25paged_attention_v2_kernelIfhLi64ELi32ELi128ELNS_18Fp8KVCacheDataTypeE1ELb0ELi512EEEvPfS2_PT_PKS3_PKT0_S9_ifPKiSB_iPKfiiiSD_SD_iiiii
                                        ; -- End function
	.section	.AMDGPU.csdata,"",@progbits
; Kernel info:
; codeLenInByte = 17568
; NumSgprs: 60
; NumVgprs: 121
; NumAgprs: 0
; TotalNumVgprs: 121
; ScratchSize: 0
; MemoryBound: 0
; FloatMode: 240
; IeeeMode: 1
; LDSByteSize: 272 bytes/workgroup (compile time only)
; SGPRBlocks: 7
; VGPRBlocks: 15
; NumSGPRsForWavesPerEU: 60
; NumVGPRsForWavesPerEU: 121
; AccumOffset: 124
; Occupancy: 4
; WaveLimiterHint : 1
; COMPUTE_PGM_RSRC2:SCRATCH_EN: 0
; COMPUTE_PGM_RSRC2:USER_SGPR: 6
; COMPUTE_PGM_RSRC2:TRAP_HANDLER: 0
; COMPUTE_PGM_RSRC2:TGID_X_EN: 1
; COMPUTE_PGM_RSRC2:TGID_Y_EN: 1
; COMPUTE_PGM_RSRC2:TGID_Z_EN: 1
; COMPUTE_PGM_RSRC2:TIDIG_COMP_CNT: 0
; COMPUTE_PGM_RSRC3_GFX90A:ACCUM_OFFSET: 30
; COMPUTE_PGM_RSRC3_GFX90A:TG_SPLIT: 0
	.section	.text._ZN4vllm25paged_attention_v2_kernelIfhLi80ELi32ELi128ELNS_18Fp8KVCacheDataTypeE1ELb0ELi512EEEvPfS2_PT_PKS3_PKT0_S9_ifPKiSB_iPKfiiiSD_SD_iiiii,"axG",@progbits,_ZN4vllm25paged_attention_v2_kernelIfhLi80ELi32ELi128ELNS_18Fp8KVCacheDataTypeE1ELb0ELi512EEEvPfS2_PT_PKS3_PKT0_S9_ifPKiSB_iPKfiiiSD_SD_iiiii,comdat
	.protected	_ZN4vllm25paged_attention_v2_kernelIfhLi80ELi32ELi128ELNS_18Fp8KVCacheDataTypeE1ELb0ELi512EEEvPfS2_PT_PKS3_PKT0_S9_ifPKiSB_iPKfiiiSD_SD_iiiii ; -- Begin function _ZN4vllm25paged_attention_v2_kernelIfhLi80ELi32ELi128ELNS_18Fp8KVCacheDataTypeE1ELb0ELi512EEEvPfS2_PT_PKS3_PKT0_S9_ifPKiSB_iPKfiiiSD_SD_iiiii
	.globl	_ZN4vllm25paged_attention_v2_kernelIfhLi80ELi32ELi128ELNS_18Fp8KVCacheDataTypeE1ELb0ELi512EEEvPfS2_PT_PKS3_PKT0_S9_ifPKiSB_iPKfiiiSD_SD_iiiii
	.p2align	8
	.type	_ZN4vllm25paged_attention_v2_kernelIfhLi80ELi32ELi128ELNS_18Fp8KVCacheDataTypeE1ELb0ELi512EEEvPfS2_PT_PKS3_PKT0_S9_ifPKiSB_iPKfiiiSD_SD_iiiii,@function
_ZN4vllm25paged_attention_v2_kernelIfhLi80ELi32ELi128ELNS_18Fp8KVCacheDataTypeE1ELb0ELi512EEEvPfS2_PT_PKS3_PKT0_S9_ifPKiSB_iPKfiiiSD_SD_iiiii: ; @_ZN4vllm25paged_attention_v2_kernelIfhLi80ELi32ELi128ELNS_18Fp8KVCacheDataTypeE1ELb0ELi512EEEvPfS2_PT_PKS3_PKT0_S9_ifPKiSB_iPKfiiiSD_SD_iiiii
; %bb.0:
	s_mov_b64 s[58:59], s[2:3]
	s_mov_b64 s[56:57], s[0:1]
	s_load_dwordx2 s[0:1], s[4:5], 0x40
	s_add_u32 s56, s56, s9
	s_addc_u32 s57, s57, 0
	s_mov_b32 s28, s7
	s_ashr_i32 s29, s7, 31
	s_lshl_b64 s[2:3], s[28:29], 2
	s_waitcnt lgkmcnt(0)
	s_add_u32 s0, s0, s2
	s_addc_u32 s1, s1, s3
	s_load_dword s29, s[0:1], 0x0
	s_lshl_b32 s50, s8, 9
	s_waitcnt lgkmcnt(0)
	s_cmp_ge_i32 s50, s29
	s_cbranch_scc1 .LBB245_563
; %bb.1:
	s_load_dword s9, s[4:5], 0x90
	s_load_dwordx2 s[10:11], s[4:5], 0x30
	s_mov_b32 s51, 0
	s_waitcnt lgkmcnt(0)
	s_abs_i32 s2, s9
	s_abs_i32 s0, s10
	v_cvt_f32_u32_e32 v1, s0
	s_sub_i32 s3, 0, s0
	s_xor_b32 s1, s9, s10
	s_ashr_i32 s1, s1, 31
	v_rcp_iflag_f32_e32 v1, v1
	v_mul_f32_e32 v1, 0x4f7ffffe, v1
	v_cvt_u32_f32_e32 v1, v1
	v_readfirstlane_b32 s7, v1
	s_mul_i32 s3, s3, s7
	s_mul_hi_u32 s3, s7, s3
	s_add_i32 s7, s7, s3
	s_mul_hi_u32 s3, s2, s7
	s_mul_i32 s7, s3, s0
	s_sub_i32 s2, s2, s7
	s_add_i32 s10, s3, 1
	s_sub_i32 s7, s2, s0
	s_cmp_ge_u32 s2, s0
	s_cselect_b32 s3, s10, s3
	s_cselect_b32 s2, s7, s2
	s_add_i32 s7, s3, 1
	s_cmp_ge_u32 s2, s0
	s_cselect_b32 s0, s7, s3
	s_xor_b32 s0, s0, s1
	s_sub_i32 s10, s0, s1
	s_abs_i32 s2, s10
	v_cvt_f32_u32_e32 v1, s2
	s_load_dwordx2 s[0:1], s[4:5], 0x50
	s_sub_i32 s7, 0, s2
	s_abs_i32 s3, s6
	v_rcp_iflag_f32_e32 v1, v1
	v_mul_f32_e32 v1, 0x4f7ffffe, v1
	v_cvt_u32_f32_e32 v1, v1
	v_readfirstlane_b32 s12, v1
	s_mul_i32 s7, s7, s12
	s_mul_hi_u32 s7, s12, s7
	s_add_i32 s12, s12, s7
	s_waitcnt lgkmcnt(0)
	s_cmp_eq_u64 s[0:1], 0
	s_mul_hi_u32 s16, s3, s12
	s_cbranch_scc1 .LBB245_3
; %bb.2:
	s_ashr_i32 s7, s6, 31
	s_lshl_b64 s[12:13], s[6:7], 2
	s_add_u32 s0, s0, s12
	s_addc_u32 s1, s1, s13
	s_load_dword s51, s[0:1], 0x0
.LBB245_3:
	s_load_dwordx4 s[12:15], s[4:5], 0x58
	s_ashr_i32 s17, s6, 31
	s_ashr_i32 s18, s10, 31
	v_and_b32_e32 v1, 1, v0
	s_mul_i32 s24, s6, 0x50
	v_cmp_gt_u32_e32 vcc, 40, v0
	v_lshlrev_b32_e32 v18, 2, v0
	s_and_saveexec_b64 s[0:1], vcc
	s_cbranch_execz .LBB245_5
; %bb.4:
	s_load_dwordx2 s[20:21], s[4:5], 0x18
	s_waitcnt lgkmcnt(0)
	s_mul_i32 s22, s28, s12
	s_ashr_i32 s23, s22, 31
	s_lshl_b64 s[22:23], s[22:23], 2
	v_lshlrev_b32_e32 v2, 3, v0
	s_add_u32 s7, s20, s22
	s_addc_u32 s10, s21, s23
	s_ashr_i32 s25, s24, 31
	s_lshl_b64 s[20:21], s[24:25], 2
	s_add_u32 s20, s7, s20
	s_addc_u32 s21, s10, s21
	global_load_dwordx2 v[2:3], v2, s[20:21]
	v_and_b32_e32 v4, 0xff8, v18
	s_movk_i32 s7, 0xa0
	v_mad_u32_u24 v4, v1, s7, v4
	s_waitcnt vmcnt(0)
	ds_write_b64 v4, v[2:3]
.LBB245_5:
	s_or_b64 exec, exec, s[0:1]
	s_add_i32 s0, s29, 31
	s_ashr_i32 s1, s0, 31
	s_lshr_b32 s1, s1, 27
	s_add_i32 s0, s0, s1
	s_lshl_b32 s10, s8, 4
	s_mul_i32 s1, s16, s2
	s_ashr_i32 s7, s0, 5
	s_add_i32 s0, s10, 16
	s_sub_i32 s1, s3, s1
	s_min_i32 s33, s0, s7
	s_xor_b32 s0, s17, s18
	s_add_i32 s3, s16, 1
	s_waitcnt lgkmcnt(0)
	s_sub_i32 s12, s1, s2
	s_cmp_ge_u32 s1, s2
	s_cselect_b32 s3, s3, s16
	s_cselect_b32 s1, s12, s1
	s_add_i32 s12, s3, 1
	s_cmp_ge_u32 s1, s2
	s_load_dwordx2 s[30:31], s[4:5], 0x38
	s_load_dword s2, s[4:5], 0x48
	v_lshrrev_b32_e32 v43, 6, v0
	s_cselect_b32 s1, s12, s3
	s_xor_b32 s1, s1, s0
	v_or_b32_e32 v4, s10, v43
	s_waitcnt lgkmcnt(0)
	s_mul_i32 s34, s28, s2
	s_sub_i32 s12, s1, s0
	s_ashr_i32 s35, s34, 31
	v_cmp_gt_i32_e64 s[0:1], s33, v4
	v_mov_b32_e32 v2, v4
	v_cmp_le_i32_e32 vcc, s33, v4
	v_mbcnt_lo_u32_b32 v42, -1, 0
	s_barrier
	s_waitcnt lgkmcnt(0)
                                        ; implicit-def: $sgpr15
                                        ; implicit-def: $vgpr9
                                        ; implicit-def: $vgpr10
	s_and_saveexec_b64 s[2:3], vcc
	s_xor_b64 s[2:3], exec, s[2:3]
; %bb.6:
	v_mbcnt_hi_u32_b32 v9, -1, v42
	v_and_b32_e32 v1, 64, v9
	v_add_u32_e32 v10, 64, v1
	s_mov_b32 s15, 0xff7fffff
                                        ; implicit-def: $vgpr1
                                        ; implicit-def: $vgpr42
; %bb.7:
	s_or_saveexec_b64 s[38:39], s[2:3]
	s_load_dwordx4 s[20:23], s[4:5], 0x0
	s_load_dwordx2 s[26:27], s[4:5], 0x10
	s_load_dword s25, s[4:5], 0x98
	s_load_dwordx2 s[36:37], s[4:5], 0x28
	s_load_dwordx4 s[16:19], s[4:5], 0x68
	v_mov_b32_e32 v4, s15
	s_mul_i32 s12, s12, s14
	v_ashrrev_i32_e32 v3, 31, v2
	buffer_store_dword v2, off, s[56:59], 0 ; 4-byte Folded Spill
	s_nop 0
	buffer_store_dword v3, off, s[56:59], 0 offset:4 ; 4-byte Folded Spill
	s_xor_b64 exec, exec, s[38:39]
	s_cbranch_execz .LBB245_253
; %bb.8:
	s_load_dwordx2 s[2:3], s[4:5], 0x20
	s_ashr_i32 s4, s12, 31
	buffer_store_dword v0, off, s[56:59], 0 offset:48 ; 4-byte Folded Spill
	v_bfe_u32 v0, v0, 1, 5
	v_lshlrev_b32_e32 v2, 4, v0
	s_waitcnt lgkmcnt(0)
	s_add_u32 s2, s2, s12
	s_addc_u32 s3, s3, s4
	v_mov_b32_e32 v3, s3
	v_add_co_u32_e32 v2, vcc, s2, v2
	v_addc_co_u32_e32 v3, vcc, 0, v3, vcc
	buffer_store_dword v18, off, s[56:59], 0 offset:52 ; 4-byte Folded Spill
	buffer_store_dword v2, off, s[56:59], 0 offset:12 ; 4-byte Folded Spill
	s_nop 0
	buffer_store_dword v3, off, s[56:59], 0 offset:16 ; 4-byte Folded Spill
	v_lshlrev_b32_e32 v2, 1, v1
	v_cmp_eq_u32_e64 s[2:3], 0, v1
	s_sub_i32 s53, 1, s29
	s_lshl_b64 s[40:41], s[34:35], 2
	s_add_u32 s40, s30, s40
	s_addc_u32 s41, s31, s41
	s_mov_b32 s14, 0
	s_mov_b32 s52, s13
	s_brev_b32 s15, 1
	v_mov_b32_e32 v45, 0
	v_cmp_neq_f32_e64 s[4:5], s51, 0
	s_movk_i32 s54, 0x80
	s_movk_i32 s55, 0x7f
	s_mov_b32 s43, 0x7f800001
	buffer_store_dword v2, off, s[56:59], 0 offset:20 ; 4-byte Folded Spill
	s_nop 0
	buffer_store_dword v3, off, s[56:59], 0 offset:24 ; 4-byte Folded Spill
	v_mul_u32_u24_e32 v2, 0xa0, v1
	ds_read_b128 v[4:7], v2
	s_waitcnt lgkmcnt(0)
	buffer_store_dword v4, off, s[56:59], 0 offset:28 ; 4-byte Folded Spill
	s_nop 0
	buffer_store_dword v5, off, s[56:59], 0 offset:32 ; 4-byte Folded Spill
	buffer_store_dword v6, off, s[56:59], 0 offset:36 ; 4-byte Folded Spill
	;; [unrolled: 1-line block ×3, first 2 shown]
	v_mbcnt_hi_u32_b32 v4, -1, v42
	v_and_b32_e32 v3, 64, v4
	ds_read_b128 v[6:9], v2 offset:16
	ds_read_b128 v[10:13], v2 offset:32
	;; [unrolled: 1-line block ×9, first 2 shown]
	v_xor_b32_e32 v2, 1, v4
	v_add_u32_e32 v3, 64, v3
	v_cmp_lt_i32_e32 vcc, v2, v3
	v_cndmask_b32_e32 v2, v4, v2, vcc
	v_lshlrev_b32_e32 v2, 2, v2
	buffer_store_dword v3, off, s[56:59], 0 offset:64 ; 4-byte Folded Spill
	buffer_store_dword v4, off, s[56:59], 0 offset:60 ; 4-byte Folded Spill
	;; [unrolled: 1-line block ×4, first 2 shown]
	s_load_dword s16, s[16:17], 0x0
	buffer_load_dword v4, off, s[56:59], 0  ; 4-byte Folded Reload
	buffer_load_dword v5, off, s[56:59], 0 offset:4 ; 4-byte Folded Reload
	v_lshlrev_b32_e32 v1, 5, v43
	v_add3_u32 v47, s50, v1, v0
	v_lshlrev_b32_e32 v0, 2, v0
	v_lshl_or_b32 v0, v43, 7, v0
	v_add_u32_e32 v42, 0x150, v0
	v_mov_b32_e32 v2, s41
	s_waitcnt lgkmcnt(0)
	s_mov_b32 s17, s16
	s_waitcnt vmcnt(0)
	v_lshlrev_b64 v[0:1], 2, v[4:5]
	v_add_co_u32_e32 v50, vcc, s40, v0
	v_addc_co_u32_e32 v51, vcc, v2, v1, vcc
	s_mov_b64 s[40:41], 0
	v_mov_b32_e32 v0, 0xff7fffff
	v_mov_b32_e32 v43, v4
	buffer_store_dword v0, off, s[56:59], 0 offset:8 ; 4-byte Folded Spill
	s_branch .LBB245_10
.LBB245_9:                              ;   in Loop: Header=BB245_10 Depth=1
	s_or_b64 exec, exec, s[44:45]
	v_add_u32_e32 v43, 2, v43
	v_cmp_le_i32_e32 vcc, s33, v43
	s_or_b64 s[40:41], vcc, s[40:41]
	v_add_co_u32_e32 v50, vcc, 8, v50
	v_add_u32_e32 v47, 64, v47
	v_add_u32_e32 v42, 0x100, v42
	v_addc_co_u32_e32 v51, vcc, 0, v51, vcc
	s_andn2_b64 exec, exec, s[40:41]
	s_cbranch_execz .LBB245_252
.LBB245_10:                             ; =>This Inner Loop Header: Depth=1
	global_load_dword v0, v[50:51], off
	buffer_load_dword v2, off, s[56:59], 0 offset:12 ; 4-byte Folded Reload
	buffer_load_dword v3, off, s[56:59], 0 offset:16 ; 4-byte Folded Reload
	v_pk_mov_b32 v[52:53], 0, 0
	v_pk_mov_b32 v[54:55], v[52:53], v[52:53] op_sel:[0,1]
	s_waitcnt vmcnt(0) lgkmcnt(0)
	v_mad_i64_i32 v[0:1], s[44:45], v0, s52, v[2:3]
	buffer_load_dword v2, off, s[56:59], 0 offset:20 ; 4-byte Folded Reload
	buffer_load_dword v3, off, s[56:59], 0 offset:24 ; 4-byte Folded Reload
	s_waitcnt vmcnt(1)
	v_add_co_u32_e32 v64, vcc, v0, v2
	v_addc_co_u32_e32 v65, vcc, 0, v1, vcc
	global_load_ushort v1, v[64:65], off
	s_waitcnt vmcnt(0)
	v_and_b32_e32 v0, 0xffff, v1
	v_cmp_ne_u16_sdwa s[46:47], v1, v45 src0_sel:BYTE_0 src1_sel:DWORD
	s_and_saveexec_b64 s[44:45], s[46:47]
	s_cbranch_execz .LBB245_16
; %bb.11:                               ;   in Loop: Header=BB245_10 Depth=1
	v_bfrev_b32_e32 v54, 1
	v_cmp_ne_u16_sdwa s[48:49], v0, s54 src0_sel:BYTE_0 src1_sel:DWORD
	v_mov_b32_e32 v55, 0
	s_and_saveexec_b64 s[46:47], s[48:49]
	s_cbranch_execz .LBB245_15
; %bb.12:                               ;   in Loop: Header=BB245_10 Depth=1
	v_and_b32_e32 v1, 0x7f, v0
	v_mov_b32_e32 v54, 0x7f800001
	v_cmp_ne_u32_e32 vcc, s55, v1
	v_mov_b32_e32 v55, 0
	s_and_saveexec_b64 s[48:49], vcc
	s_cbranch_execz .LBB245_14
; %bb.13:                               ;   in Loop: Header=BB245_10 Depth=1
	v_and_b32_e32 v4, 7, v0
	v_ffbh_u32_e32 v2, v4
	v_min_u32_e32 v44, 32, v2
	v_subrev_u32_e32 v2, 28, v44
	v_lshlrev_b64 v[2:3], v2, v[0:1]
	v_lshrrev_b32_e32 v5, 3, v1
	v_sub_u32_e32 v3, 29, v44
	v_and_b32_e32 v2, 7, v2
	v_cmp_gt_u32_e32 vcc, 8, v1
	v_cndmask_b32_e32 v1, v5, v3, vcc
	v_cndmask_b32_e32 v2, v4, v2, vcc
	v_bfrev_b32_e32 v4, 60
	v_lshlrev_b32_e32 v2, 20, v2
	v_and_b32_sdwa v3, sext(v0), s15 dst_sel:DWORD dst_unused:UNUSED_PAD src0_sel:BYTE_0 src1_sel:DWORD
	v_lshl_add_u32 v1, v1, 23, v4
	v_or3_b32 v44, v3, v1, v2
	v_pk_mov_b32 v[54:55], v[44:45], v[44:45] op_sel:[0,1]
.LBB245_14:                             ;   in Loop: Header=BB245_10 Depth=1
	s_or_b64 exec, exec, s[48:49]
.LBB245_15:                             ;   in Loop: Header=BB245_10 Depth=1
	s_or_b64 exec, exec, s[46:47]
.LBB245_16:                             ;   in Loop: Header=BB245_10 Depth=1
	s_or_b64 exec, exec, s[44:45]
	v_cmp_ne_u16_sdwa s[46:47], v0, v45 src0_sel:BYTE_1 src1_sel:DWORD
	s_and_saveexec_b64 s[44:45], s[46:47]
	s_cbranch_execz .LBB245_22
; %bb.17:                               ;   in Loop: Header=BB245_10 Depth=1
	v_cmp_ne_u16_sdwa s[48:49], v0, s54 src0_sel:BYTE_1 src1_sel:DWORD
	v_pk_mov_b32 v[52:53], s[14:15], s[14:15] op_sel:[0,1]
	s_and_saveexec_b64 s[46:47], s[48:49]
	s_cbranch_execz .LBB245_21
; %bb.18:                               ;   in Loop: Header=BB245_10 Depth=1
	v_and_b32_sdwa v1, v0, s55 dst_sel:DWORD dst_unused:UNUSED_PAD src0_sel:BYTE_1 src1_sel:DWORD
	s_mov_b32 s42, s14
	v_cmp_ne_u32_e32 vcc, s55, v1
	v_pk_mov_b32 v[52:53], s[42:43], s[42:43] op_sel:[0,1]
	s_and_saveexec_b64 s[48:49], vcc
	s_cbranch_execz .LBB245_20
; %bb.19:                               ;   in Loop: Header=BB245_10 Depth=1
	v_mov_b32_e32 v2, 7
	v_and_b32_sdwa v44, v0, v2 dst_sel:DWORD dst_unused:UNUSED_PAD src0_sel:BYTE_1 src1_sel:DWORD
	v_ffbh_u32_e32 v2, v44
	v_min_u32_e32 v5, 32, v2
	v_subrev_u32_e32 v2, 28, v5
	v_lshlrev_b64 v[2:3], v2, v[44:45]
	v_lshrrev_b32_e32 v4, 3, v1
	v_sub_u32_e32 v3, 29, v5
	v_cmp_gt_u32_e32 vcc, 8, v1
	v_and_b32_e32 v2, 7, v2
	v_cndmask_b32_e32 v1, v4, v3, vcc
	v_bfrev_b32_e32 v3, 60
	v_cndmask_b32_e32 v2, v44, v2, vcc
	v_lshlrev_b32_e32 v0, 16, v0
	v_lshl_add_u32 v1, v1, 23, v3
	v_and_or_b32 v0, v0, s15, v1
	v_lshlrev_b32_e32 v1, 20, v2
	v_or_b32_e32 v53, v0, v1
	v_mov_b32_e32 v52, v45
.LBB245_20:                             ;   in Loop: Header=BB245_10 Depth=1
	s_or_b64 exec, exec, s[48:49]
.LBB245_21:                             ;   in Loop: Header=BB245_10 Depth=1
	s_or_b64 exec, exec, s[46:47]
.LBB245_22:                             ;   in Loop: Header=BB245_10 Depth=1
	s_or_b64 exec, exec, s[44:45]
	global_load_ushort v1, v[64:65], off offset:4
	v_pk_mov_b32 v[56:57], 0, 0
	v_pk_mov_b32 v[58:59], v[56:57], v[56:57] op_sel:[0,1]
	s_waitcnt vmcnt(0)
	v_and_b32_e32 v0, 0xffff, v1
	v_cmp_ne_u16_sdwa s[46:47], v1, v45 src0_sel:BYTE_0 src1_sel:DWORD
	s_and_saveexec_b64 s[44:45], s[46:47]
	s_cbranch_execz .LBB245_28
; %bb.23:                               ;   in Loop: Header=BB245_10 Depth=1
	v_bfrev_b32_e32 v58, 1
	v_cmp_ne_u16_sdwa s[48:49], v0, s54 src0_sel:BYTE_0 src1_sel:DWORD
	v_mov_b32_e32 v59, 0
	s_and_saveexec_b64 s[46:47], s[48:49]
	s_cbranch_execz .LBB245_27
; %bb.24:                               ;   in Loop: Header=BB245_10 Depth=1
	v_and_b32_e32 v1, 0x7f, v0
	v_mov_b32_e32 v58, 0x7f800001
	v_cmp_ne_u32_e32 vcc, s55, v1
	v_mov_b32_e32 v59, 0
	s_and_saveexec_b64 s[48:49], vcc
	s_cbranch_execz .LBB245_26
; %bb.25:                               ;   in Loop: Header=BB245_10 Depth=1
	v_and_b32_e32 v4, 7, v0
	v_ffbh_u32_e32 v2, v4
	v_min_u32_e32 v44, 32, v2
	v_subrev_u32_e32 v2, 28, v44
	v_lshlrev_b64 v[2:3], v2, v[0:1]
	v_lshrrev_b32_e32 v5, 3, v1
	v_sub_u32_e32 v3, 29, v44
	v_and_b32_e32 v2, 7, v2
	v_cmp_gt_u32_e32 vcc, 8, v1
	v_cndmask_b32_e32 v1, v5, v3, vcc
	v_cndmask_b32_e32 v2, v4, v2, vcc
	v_bfrev_b32_e32 v4, 60
	v_lshlrev_b32_e32 v2, 20, v2
	v_and_b32_sdwa v3, sext(v0), s15 dst_sel:DWORD dst_unused:UNUSED_PAD src0_sel:BYTE_0 src1_sel:DWORD
	v_lshl_add_u32 v1, v1, 23, v4
	v_or3_b32 v44, v3, v1, v2
	v_pk_mov_b32 v[58:59], v[44:45], v[44:45] op_sel:[0,1]
.LBB245_26:                             ;   in Loop: Header=BB245_10 Depth=1
	s_or_b64 exec, exec, s[48:49]
.LBB245_27:                             ;   in Loop: Header=BB245_10 Depth=1
	s_or_b64 exec, exec, s[46:47]
.LBB245_28:                             ;   in Loop: Header=BB245_10 Depth=1
	s_or_b64 exec, exec, s[44:45]
	v_cmp_ne_u16_sdwa s[46:47], v0, v45 src0_sel:BYTE_1 src1_sel:DWORD
	s_and_saveexec_b64 s[44:45], s[46:47]
	s_cbranch_execz .LBB245_34
; %bb.29:                               ;   in Loop: Header=BB245_10 Depth=1
	v_cmp_ne_u16_sdwa s[48:49], v0, s54 src0_sel:BYTE_1 src1_sel:DWORD
	v_pk_mov_b32 v[56:57], s[14:15], s[14:15] op_sel:[0,1]
	s_and_saveexec_b64 s[46:47], s[48:49]
	s_cbranch_execz .LBB245_33
; %bb.30:                               ;   in Loop: Header=BB245_10 Depth=1
	v_and_b32_sdwa v1, v0, s55 dst_sel:DWORD dst_unused:UNUSED_PAD src0_sel:BYTE_1 src1_sel:DWORD
	s_mov_b32 s42, s14
	v_cmp_ne_u32_e32 vcc, s55, v1
	v_pk_mov_b32 v[56:57], s[42:43], s[42:43] op_sel:[0,1]
	s_and_saveexec_b64 s[48:49], vcc
	s_cbranch_execz .LBB245_32
; %bb.31:                               ;   in Loop: Header=BB245_10 Depth=1
	v_mov_b32_e32 v2, 7
	v_and_b32_sdwa v44, v0, v2 dst_sel:DWORD dst_unused:UNUSED_PAD src0_sel:BYTE_1 src1_sel:DWORD
	v_ffbh_u32_e32 v2, v44
	v_min_u32_e32 v5, 32, v2
	v_subrev_u32_e32 v2, 28, v5
	v_lshlrev_b64 v[2:3], v2, v[44:45]
	v_lshrrev_b32_e32 v4, 3, v1
	v_sub_u32_e32 v3, 29, v5
	v_cmp_gt_u32_e32 vcc, 8, v1
	v_and_b32_e32 v2, 7, v2
	v_cndmask_b32_e32 v1, v4, v3, vcc
	v_bfrev_b32_e32 v3, 60
	v_cndmask_b32_e32 v2, v44, v2, vcc
	v_lshlrev_b32_e32 v0, 16, v0
	v_lshl_add_u32 v1, v1, 23, v3
	v_and_or_b32 v0, v0, s15, v1
	v_lshlrev_b32_e32 v1, 20, v2
	v_or_b32_e32 v57, v0, v1
	v_mov_b32_e32 v56, v45
.LBB245_32:                             ;   in Loop: Header=BB245_10 Depth=1
	s_or_b64 exec, exec, s[48:49]
.LBB245_33:                             ;   in Loop: Header=BB245_10 Depth=1
	s_or_b64 exec, exec, s[46:47]
.LBB245_34:                             ;   in Loop: Header=BB245_10 Depth=1
	s_or_b64 exec, exec, s[44:45]
	global_load_ushort v1, v[64:65], off offset:8
	v_pk_mov_b32 v[60:61], 0, 0
	v_pk_mov_b32 v[62:63], v[60:61], v[60:61] op_sel:[0,1]
	s_waitcnt vmcnt(0)
	v_and_b32_e32 v0, 0xffff, v1
	v_cmp_ne_u16_sdwa s[46:47], v1, v45 src0_sel:BYTE_0 src1_sel:DWORD
	s_and_saveexec_b64 s[44:45], s[46:47]
	s_cbranch_execz .LBB245_40
; %bb.35:                               ;   in Loop: Header=BB245_10 Depth=1
	v_bfrev_b32_e32 v62, 1
	v_cmp_ne_u16_sdwa s[48:49], v0, s54 src0_sel:BYTE_0 src1_sel:DWORD
	v_mov_b32_e32 v63, 0
	s_and_saveexec_b64 s[46:47], s[48:49]
	s_cbranch_execz .LBB245_39
; %bb.36:                               ;   in Loop: Header=BB245_10 Depth=1
	v_and_b32_e32 v1, 0x7f, v0
	v_mov_b32_e32 v62, 0x7f800001
	v_cmp_ne_u32_e32 vcc, s55, v1
	v_mov_b32_e32 v63, 0
	s_and_saveexec_b64 s[48:49], vcc
	s_cbranch_execz .LBB245_38
; %bb.37:                               ;   in Loop: Header=BB245_10 Depth=1
	v_and_b32_e32 v4, 7, v0
	v_ffbh_u32_e32 v2, v4
	v_min_u32_e32 v44, 32, v2
	v_subrev_u32_e32 v2, 28, v44
	v_lshlrev_b64 v[2:3], v2, v[0:1]
	v_lshrrev_b32_e32 v5, 3, v1
	v_sub_u32_e32 v3, 29, v44
	v_and_b32_e32 v2, 7, v2
	v_cmp_gt_u32_e32 vcc, 8, v1
	v_cndmask_b32_e32 v1, v5, v3, vcc
	v_cndmask_b32_e32 v2, v4, v2, vcc
	v_bfrev_b32_e32 v4, 60
	v_lshlrev_b32_e32 v2, 20, v2
	v_and_b32_sdwa v3, sext(v0), s15 dst_sel:DWORD dst_unused:UNUSED_PAD src0_sel:BYTE_0 src1_sel:DWORD
	v_lshl_add_u32 v1, v1, 23, v4
	v_or3_b32 v44, v3, v1, v2
	v_pk_mov_b32 v[62:63], v[44:45], v[44:45] op_sel:[0,1]
.LBB245_38:                             ;   in Loop: Header=BB245_10 Depth=1
	s_or_b64 exec, exec, s[48:49]
.LBB245_39:                             ;   in Loop: Header=BB245_10 Depth=1
	s_or_b64 exec, exec, s[46:47]
.LBB245_40:                             ;   in Loop: Header=BB245_10 Depth=1
	s_or_b64 exec, exec, s[44:45]
	v_cmp_ne_u16_sdwa s[46:47], v0, v45 src0_sel:BYTE_1 src1_sel:DWORD
	s_and_saveexec_b64 s[44:45], s[46:47]
	s_cbranch_execz .LBB245_46
; %bb.41:                               ;   in Loop: Header=BB245_10 Depth=1
	v_cmp_ne_u16_sdwa s[48:49], v0, s54 src0_sel:BYTE_1 src1_sel:DWORD
	v_pk_mov_b32 v[60:61], s[14:15], s[14:15] op_sel:[0,1]
	s_and_saveexec_b64 s[46:47], s[48:49]
	s_cbranch_execz .LBB245_45
; %bb.42:                               ;   in Loop: Header=BB245_10 Depth=1
	v_and_b32_sdwa v1, v0, s55 dst_sel:DWORD dst_unused:UNUSED_PAD src0_sel:BYTE_1 src1_sel:DWORD
	s_mov_b32 s42, s14
	v_cmp_ne_u32_e32 vcc, s55, v1
	v_pk_mov_b32 v[60:61], s[42:43], s[42:43] op_sel:[0,1]
	s_and_saveexec_b64 s[48:49], vcc
	s_cbranch_execz .LBB245_44
; %bb.43:                               ;   in Loop: Header=BB245_10 Depth=1
	v_mov_b32_e32 v2, 7
	v_and_b32_sdwa v44, v0, v2 dst_sel:DWORD dst_unused:UNUSED_PAD src0_sel:BYTE_1 src1_sel:DWORD
	v_ffbh_u32_e32 v2, v44
	v_min_u32_e32 v5, 32, v2
	v_subrev_u32_e32 v2, 28, v5
	v_lshlrev_b64 v[2:3], v2, v[44:45]
	v_lshrrev_b32_e32 v4, 3, v1
	v_sub_u32_e32 v3, 29, v5
	v_cmp_gt_u32_e32 vcc, 8, v1
	v_and_b32_e32 v2, 7, v2
	v_cndmask_b32_e32 v1, v4, v3, vcc
	v_bfrev_b32_e32 v3, 60
	v_cndmask_b32_e32 v2, v44, v2, vcc
	v_lshlrev_b32_e32 v0, 16, v0
	v_lshl_add_u32 v1, v1, 23, v3
	v_and_or_b32 v0, v0, s15, v1
	v_lshlrev_b32_e32 v1, 20, v2
	v_or_b32_e32 v61, v0, v1
	v_mov_b32_e32 v60, v45
.LBB245_44:                             ;   in Loop: Header=BB245_10 Depth=1
	s_or_b64 exec, exec, s[48:49]
.LBB245_45:                             ;   in Loop: Header=BB245_10 Depth=1
	s_or_b64 exec, exec, s[46:47]
.LBB245_46:                             ;   in Loop: Header=BB245_10 Depth=1
	s_or_b64 exec, exec, s[44:45]
	global_load_ushort v1, v[64:65], off offset:12
	v_pk_mov_b32 v[66:67], 0, 0
	v_pk_mov_b32 v[68:69], v[66:67], v[66:67] op_sel:[0,1]
	s_waitcnt vmcnt(0)
	v_and_b32_e32 v0, 0xffff, v1
	v_cmp_ne_u16_sdwa s[46:47], v1, v45 src0_sel:BYTE_0 src1_sel:DWORD
	s_and_saveexec_b64 s[44:45], s[46:47]
	s_cbranch_execz .LBB245_52
; %bb.47:                               ;   in Loop: Header=BB245_10 Depth=1
	v_bfrev_b32_e32 v68, 1
	v_cmp_ne_u16_sdwa s[48:49], v0, s54 src0_sel:BYTE_0 src1_sel:DWORD
	v_mov_b32_e32 v69, 0
	s_and_saveexec_b64 s[46:47], s[48:49]
	s_cbranch_execz .LBB245_51
; %bb.48:                               ;   in Loop: Header=BB245_10 Depth=1
	v_and_b32_e32 v1, 0x7f, v0
	v_mov_b32_e32 v68, 0x7f800001
	v_cmp_ne_u32_e32 vcc, s55, v1
	v_mov_b32_e32 v69, 0
	s_and_saveexec_b64 s[48:49], vcc
	s_cbranch_execz .LBB245_50
; %bb.49:                               ;   in Loop: Header=BB245_10 Depth=1
	v_and_b32_e32 v4, 7, v0
	v_ffbh_u32_e32 v2, v4
	v_min_u32_e32 v44, 32, v2
	v_subrev_u32_e32 v2, 28, v44
	v_lshlrev_b64 v[2:3], v2, v[0:1]
	v_lshrrev_b32_e32 v5, 3, v1
	v_sub_u32_e32 v3, 29, v44
	v_and_b32_e32 v2, 7, v2
	v_cmp_gt_u32_e32 vcc, 8, v1
	v_cndmask_b32_e32 v1, v5, v3, vcc
	v_cndmask_b32_e32 v2, v4, v2, vcc
	v_bfrev_b32_e32 v4, 60
	v_lshlrev_b32_e32 v2, 20, v2
	v_and_b32_sdwa v3, sext(v0), s15 dst_sel:DWORD dst_unused:UNUSED_PAD src0_sel:BYTE_0 src1_sel:DWORD
	v_lshl_add_u32 v1, v1, 23, v4
	v_or3_b32 v44, v3, v1, v2
	v_pk_mov_b32 v[68:69], v[44:45], v[44:45] op_sel:[0,1]
.LBB245_50:                             ;   in Loop: Header=BB245_10 Depth=1
	s_or_b64 exec, exec, s[48:49]
.LBB245_51:                             ;   in Loop: Header=BB245_10 Depth=1
	s_or_b64 exec, exec, s[46:47]
.LBB245_52:                             ;   in Loop: Header=BB245_10 Depth=1
	s_or_b64 exec, exec, s[44:45]
	v_cmp_ne_u16_sdwa s[46:47], v0, v45 src0_sel:BYTE_1 src1_sel:DWORD
	s_and_saveexec_b64 s[44:45], s[46:47]
	s_cbranch_execz .LBB245_58
; %bb.53:                               ;   in Loop: Header=BB245_10 Depth=1
	v_cmp_ne_u16_sdwa s[48:49], v0, s54 src0_sel:BYTE_1 src1_sel:DWORD
	v_pk_mov_b32 v[66:67], s[14:15], s[14:15] op_sel:[0,1]
	s_and_saveexec_b64 s[46:47], s[48:49]
	s_cbranch_execz .LBB245_57
; %bb.54:                               ;   in Loop: Header=BB245_10 Depth=1
	v_and_b32_sdwa v1, v0, s55 dst_sel:DWORD dst_unused:UNUSED_PAD src0_sel:BYTE_1 src1_sel:DWORD
	s_mov_b32 s42, s14
	v_cmp_ne_u32_e32 vcc, s55, v1
	v_pk_mov_b32 v[66:67], s[42:43], s[42:43] op_sel:[0,1]
	s_and_saveexec_b64 s[48:49], vcc
	s_cbranch_execz .LBB245_56
; %bb.55:                               ;   in Loop: Header=BB245_10 Depth=1
	v_mov_b32_e32 v2, 7
	v_and_b32_sdwa v44, v0, v2 dst_sel:DWORD dst_unused:UNUSED_PAD src0_sel:BYTE_1 src1_sel:DWORD
	v_ffbh_u32_e32 v2, v44
	v_min_u32_e32 v5, 32, v2
	v_subrev_u32_e32 v2, 28, v5
	v_lshlrev_b64 v[2:3], v2, v[44:45]
	v_lshrrev_b32_e32 v4, 3, v1
	v_sub_u32_e32 v3, 29, v5
	v_cmp_gt_u32_e32 vcc, 8, v1
	v_and_b32_e32 v2, 7, v2
	v_cndmask_b32_e32 v1, v4, v3, vcc
	v_bfrev_b32_e32 v3, 60
	v_cndmask_b32_e32 v2, v44, v2, vcc
	v_lshlrev_b32_e32 v0, 16, v0
	v_lshl_add_u32 v1, v1, 23, v3
	v_and_or_b32 v0, v0, s15, v1
	v_lshlrev_b32_e32 v1, 20, v2
	v_or_b32_e32 v67, v0, v1
	v_mov_b32_e32 v66, v45
.LBB245_56:                             ;   in Loop: Header=BB245_10 Depth=1
	s_or_b64 exec, exec, s[48:49]
.LBB245_57:                             ;   in Loop: Header=BB245_10 Depth=1
	s_or_b64 exec, exec, s[46:47]
.LBB245_58:                             ;   in Loop: Header=BB245_10 Depth=1
	s_or_b64 exec, exec, s[44:45]
	global_load_ushort v1, v[64:65], off offset:512
	v_pk_mov_b32 v[70:71], 0, 0
	v_pk_mov_b32 v[72:73], v[70:71], v[70:71] op_sel:[0,1]
	s_waitcnt vmcnt(0)
	v_and_b32_e32 v0, 0xffff, v1
	v_cmp_ne_u16_sdwa s[46:47], v1, v45 src0_sel:BYTE_0 src1_sel:DWORD
	s_and_saveexec_b64 s[44:45], s[46:47]
	s_cbranch_execz .LBB245_64
; %bb.59:                               ;   in Loop: Header=BB245_10 Depth=1
	v_bfrev_b32_e32 v72, 1
	v_cmp_ne_u16_sdwa s[48:49], v0, s54 src0_sel:BYTE_0 src1_sel:DWORD
	v_mov_b32_e32 v73, 0
	s_and_saveexec_b64 s[46:47], s[48:49]
	s_cbranch_execz .LBB245_63
; %bb.60:                               ;   in Loop: Header=BB245_10 Depth=1
	v_and_b32_e32 v1, 0x7f, v0
	v_mov_b32_e32 v72, 0x7f800001
	v_cmp_ne_u32_e32 vcc, s55, v1
	v_mov_b32_e32 v73, 0
	s_and_saveexec_b64 s[48:49], vcc
	s_cbranch_execz .LBB245_62
; %bb.61:                               ;   in Loop: Header=BB245_10 Depth=1
	v_and_b32_e32 v4, 7, v0
	v_ffbh_u32_e32 v2, v4
	v_min_u32_e32 v44, 32, v2
	v_subrev_u32_e32 v2, 28, v44
	v_lshlrev_b64 v[2:3], v2, v[0:1]
	v_lshrrev_b32_e32 v5, 3, v1
	v_sub_u32_e32 v3, 29, v44
	v_and_b32_e32 v2, 7, v2
	v_cmp_gt_u32_e32 vcc, 8, v1
	v_cndmask_b32_e32 v1, v5, v3, vcc
	v_cndmask_b32_e32 v2, v4, v2, vcc
	v_bfrev_b32_e32 v4, 60
	v_lshlrev_b32_e32 v2, 20, v2
	v_and_b32_sdwa v3, sext(v0), s15 dst_sel:DWORD dst_unused:UNUSED_PAD src0_sel:BYTE_0 src1_sel:DWORD
	v_lshl_add_u32 v1, v1, 23, v4
	v_or3_b32 v44, v3, v1, v2
	v_pk_mov_b32 v[72:73], v[44:45], v[44:45] op_sel:[0,1]
.LBB245_62:                             ;   in Loop: Header=BB245_10 Depth=1
	s_or_b64 exec, exec, s[48:49]
.LBB245_63:                             ;   in Loop: Header=BB245_10 Depth=1
	s_or_b64 exec, exec, s[46:47]
.LBB245_64:                             ;   in Loop: Header=BB245_10 Depth=1
	s_or_b64 exec, exec, s[44:45]
	v_cmp_ne_u16_sdwa s[46:47], v0, v45 src0_sel:BYTE_1 src1_sel:DWORD
	s_and_saveexec_b64 s[44:45], s[46:47]
	s_cbranch_execz .LBB245_70
; %bb.65:                               ;   in Loop: Header=BB245_10 Depth=1
	v_cmp_ne_u16_sdwa s[48:49], v0, s54 src0_sel:BYTE_1 src1_sel:DWORD
	v_pk_mov_b32 v[70:71], s[14:15], s[14:15] op_sel:[0,1]
	s_and_saveexec_b64 s[46:47], s[48:49]
	s_cbranch_execz .LBB245_69
; %bb.66:                               ;   in Loop: Header=BB245_10 Depth=1
	v_and_b32_sdwa v1, v0, s55 dst_sel:DWORD dst_unused:UNUSED_PAD src0_sel:BYTE_1 src1_sel:DWORD
	s_mov_b32 s42, s14
	v_cmp_ne_u32_e32 vcc, s55, v1
	v_pk_mov_b32 v[70:71], s[42:43], s[42:43] op_sel:[0,1]
	s_and_saveexec_b64 s[48:49], vcc
	s_cbranch_execz .LBB245_68
; %bb.67:                               ;   in Loop: Header=BB245_10 Depth=1
	v_mov_b32_e32 v2, 7
	v_and_b32_sdwa v44, v0, v2 dst_sel:DWORD dst_unused:UNUSED_PAD src0_sel:BYTE_1 src1_sel:DWORD
	v_ffbh_u32_e32 v2, v44
	v_min_u32_e32 v5, 32, v2
	v_subrev_u32_e32 v2, 28, v5
	v_lshlrev_b64 v[2:3], v2, v[44:45]
	v_lshrrev_b32_e32 v4, 3, v1
	v_sub_u32_e32 v3, 29, v5
	v_cmp_gt_u32_e32 vcc, 8, v1
	v_and_b32_e32 v2, 7, v2
	v_cndmask_b32_e32 v1, v4, v3, vcc
	v_bfrev_b32_e32 v3, 60
	v_cndmask_b32_e32 v2, v44, v2, vcc
	v_lshlrev_b32_e32 v0, 16, v0
	v_lshl_add_u32 v1, v1, 23, v3
	v_and_or_b32 v0, v0, s15, v1
	v_lshlrev_b32_e32 v1, 20, v2
	v_or_b32_e32 v71, v0, v1
	v_mov_b32_e32 v70, v45
.LBB245_68:                             ;   in Loop: Header=BB245_10 Depth=1
	s_or_b64 exec, exec, s[48:49]
.LBB245_69:                             ;   in Loop: Header=BB245_10 Depth=1
	s_or_b64 exec, exec, s[46:47]
.LBB245_70:                             ;   in Loop: Header=BB245_10 Depth=1
	s_or_b64 exec, exec, s[44:45]
	global_load_ushort v1, v[64:65], off offset:516
	v_pk_mov_b32 v[74:75], 0, 0
	v_pk_mov_b32 v[76:77], v[74:75], v[74:75] op_sel:[0,1]
	s_waitcnt vmcnt(0)
	v_and_b32_e32 v0, 0xffff, v1
	v_cmp_ne_u16_sdwa s[46:47], v1, v45 src0_sel:BYTE_0 src1_sel:DWORD
	s_and_saveexec_b64 s[44:45], s[46:47]
	s_cbranch_execz .LBB245_76
; %bb.71:                               ;   in Loop: Header=BB245_10 Depth=1
	v_bfrev_b32_e32 v76, 1
	v_cmp_ne_u16_sdwa s[48:49], v0, s54 src0_sel:BYTE_0 src1_sel:DWORD
	v_mov_b32_e32 v77, 0
	s_and_saveexec_b64 s[46:47], s[48:49]
	s_cbranch_execz .LBB245_75
; %bb.72:                               ;   in Loop: Header=BB245_10 Depth=1
	v_and_b32_e32 v1, 0x7f, v0
	v_mov_b32_e32 v76, 0x7f800001
	v_cmp_ne_u32_e32 vcc, s55, v1
	v_mov_b32_e32 v77, 0
	s_and_saveexec_b64 s[48:49], vcc
	s_cbranch_execz .LBB245_74
; %bb.73:                               ;   in Loop: Header=BB245_10 Depth=1
	v_and_b32_e32 v4, 7, v0
	v_ffbh_u32_e32 v2, v4
	v_min_u32_e32 v44, 32, v2
	v_subrev_u32_e32 v2, 28, v44
	v_lshlrev_b64 v[2:3], v2, v[0:1]
	v_lshrrev_b32_e32 v5, 3, v1
	v_sub_u32_e32 v3, 29, v44
	v_and_b32_e32 v2, 7, v2
	v_cmp_gt_u32_e32 vcc, 8, v1
	v_cndmask_b32_e32 v1, v5, v3, vcc
	v_cndmask_b32_e32 v2, v4, v2, vcc
	v_bfrev_b32_e32 v4, 60
	v_lshlrev_b32_e32 v2, 20, v2
	v_and_b32_sdwa v3, sext(v0), s15 dst_sel:DWORD dst_unused:UNUSED_PAD src0_sel:BYTE_0 src1_sel:DWORD
	v_lshl_add_u32 v1, v1, 23, v4
	v_or3_b32 v44, v3, v1, v2
	v_pk_mov_b32 v[76:77], v[44:45], v[44:45] op_sel:[0,1]
.LBB245_74:                             ;   in Loop: Header=BB245_10 Depth=1
	s_or_b64 exec, exec, s[48:49]
.LBB245_75:                             ;   in Loop: Header=BB245_10 Depth=1
	s_or_b64 exec, exec, s[46:47]
.LBB245_76:                             ;   in Loop: Header=BB245_10 Depth=1
	s_or_b64 exec, exec, s[44:45]
	v_cmp_ne_u16_sdwa s[46:47], v0, v45 src0_sel:BYTE_1 src1_sel:DWORD
	s_and_saveexec_b64 s[44:45], s[46:47]
	s_cbranch_execz .LBB245_82
; %bb.77:                               ;   in Loop: Header=BB245_10 Depth=1
	v_cmp_ne_u16_sdwa s[48:49], v0, s54 src0_sel:BYTE_1 src1_sel:DWORD
	v_pk_mov_b32 v[74:75], s[14:15], s[14:15] op_sel:[0,1]
	s_and_saveexec_b64 s[46:47], s[48:49]
	s_cbranch_execz .LBB245_81
; %bb.78:                               ;   in Loop: Header=BB245_10 Depth=1
	v_and_b32_sdwa v1, v0, s55 dst_sel:DWORD dst_unused:UNUSED_PAD src0_sel:BYTE_1 src1_sel:DWORD
	s_mov_b32 s42, s14
	v_cmp_ne_u32_e32 vcc, s55, v1
	v_pk_mov_b32 v[74:75], s[42:43], s[42:43] op_sel:[0,1]
	s_and_saveexec_b64 s[48:49], vcc
	s_cbranch_execz .LBB245_80
; %bb.79:                               ;   in Loop: Header=BB245_10 Depth=1
	v_mov_b32_e32 v2, 7
	v_and_b32_sdwa v44, v0, v2 dst_sel:DWORD dst_unused:UNUSED_PAD src0_sel:BYTE_1 src1_sel:DWORD
	v_ffbh_u32_e32 v2, v44
	v_min_u32_e32 v5, 32, v2
	v_subrev_u32_e32 v2, 28, v5
	v_lshlrev_b64 v[2:3], v2, v[44:45]
	v_lshrrev_b32_e32 v4, 3, v1
	v_sub_u32_e32 v3, 29, v5
	v_cmp_gt_u32_e32 vcc, 8, v1
	v_and_b32_e32 v2, 7, v2
	v_cndmask_b32_e32 v1, v4, v3, vcc
	v_bfrev_b32_e32 v3, 60
	v_cndmask_b32_e32 v2, v44, v2, vcc
	v_lshlrev_b32_e32 v0, 16, v0
	v_lshl_add_u32 v1, v1, 23, v3
	v_and_or_b32 v0, v0, s15, v1
	v_lshlrev_b32_e32 v1, 20, v2
	v_or_b32_e32 v75, v0, v1
	v_mov_b32_e32 v74, v45
.LBB245_80:                             ;   in Loop: Header=BB245_10 Depth=1
	s_or_b64 exec, exec, s[48:49]
.LBB245_81:                             ;   in Loop: Header=BB245_10 Depth=1
	s_or_b64 exec, exec, s[46:47]
.LBB245_82:                             ;   in Loop: Header=BB245_10 Depth=1
	s_or_b64 exec, exec, s[44:45]
	v_add_co_u32_e32 v0, vcc, 0x200, v64
	v_addc_co_u32_e32 v1, vcc, 0, v65, vcc
	global_load_ushort v2, v[0:1], off offset:8
	v_pk_mov_b32 v[78:79], 0, 0
	v_pk_mov_b32 v[80:81], v[78:79], v[78:79] op_sel:[0,1]
	s_waitcnt vmcnt(0)
	v_and_b32_e32 v46, 0xffff, v2
	v_cmp_ne_u16_sdwa s[46:47], v2, v45 src0_sel:BYTE_0 src1_sel:DWORD
	s_and_saveexec_b64 s[44:45], s[46:47]
	s_cbranch_execz .LBB245_88
; %bb.83:                               ;   in Loop: Header=BB245_10 Depth=1
	v_bfrev_b32_e32 v80, 1
	v_cmp_ne_u16_sdwa s[48:49], v46, s54 src0_sel:BYTE_0 src1_sel:DWORD
	v_mov_b32_e32 v81, 0
	s_and_saveexec_b64 s[46:47], s[48:49]
	s_cbranch_execz .LBB245_87
; %bb.84:                               ;   in Loop: Header=BB245_10 Depth=1
	v_and_b32_e32 v44, 0x7f, v46
	v_mov_b32_e32 v80, 0x7f800001
	v_cmp_ne_u32_e32 vcc, s55, v44
	v_mov_b32_e32 v81, 0
	s_and_saveexec_b64 s[48:49], vcc
	s_cbranch_execz .LBB245_86
; %bb.85:                               ;   in Loop: Header=BB245_10 Depth=1
	v_and_b32_e32 v4, 7, v46
	v_ffbh_u32_e32 v2, v4
	v_min_u32_e32 v48, 32, v2
	v_subrev_u32_e32 v2, 28, v48
	v_lshlrev_b64 v[2:3], v2, v[46:47]
	v_lshrrev_b32_e32 v5, 3, v44
	v_sub_u32_e32 v3, 29, v48
	v_and_b32_e32 v2, 7, v2
	v_cmp_gt_u32_e32 vcc, 8, v44
	v_cndmask_b32_e32 v3, v5, v3, vcc
	v_cndmask_b32_e32 v2, v4, v2, vcc
	v_bfrev_b32_e32 v5, 60
	v_lshlrev_b32_e32 v2, 20, v2
	v_and_b32_sdwa v4, sext(v46), s15 dst_sel:DWORD dst_unused:UNUSED_PAD src0_sel:BYTE_0 src1_sel:DWORD
	v_lshl_add_u32 v3, v3, 23, v5
	v_or3_b32 v44, v4, v3, v2
	v_pk_mov_b32 v[80:81], v[44:45], v[44:45] op_sel:[0,1]
.LBB245_86:                             ;   in Loop: Header=BB245_10 Depth=1
	s_or_b64 exec, exec, s[48:49]
.LBB245_87:                             ;   in Loop: Header=BB245_10 Depth=1
	s_or_b64 exec, exec, s[46:47]
.LBB245_88:                             ;   in Loop: Header=BB245_10 Depth=1
	s_or_b64 exec, exec, s[44:45]
	v_cmp_ne_u16_sdwa s[46:47], v46, v45 src0_sel:BYTE_1 src1_sel:DWORD
	s_and_saveexec_b64 s[44:45], s[46:47]
	s_cbranch_execz .LBB245_94
; %bb.89:                               ;   in Loop: Header=BB245_10 Depth=1
	v_cmp_ne_u16_sdwa s[48:49], v46, s54 src0_sel:BYTE_1 src1_sel:DWORD
	v_pk_mov_b32 v[78:79], s[14:15], s[14:15] op_sel:[0,1]
	s_and_saveexec_b64 s[46:47], s[48:49]
	s_cbranch_execz .LBB245_93
; %bb.90:                               ;   in Loop: Header=BB245_10 Depth=1
	v_and_b32_sdwa v48, v46, s55 dst_sel:DWORD dst_unused:UNUSED_PAD src0_sel:BYTE_1 src1_sel:DWORD
	s_mov_b32 s42, s14
	v_cmp_ne_u32_e32 vcc, s55, v48
	v_pk_mov_b32 v[78:79], s[42:43], s[42:43] op_sel:[0,1]
	s_and_saveexec_b64 s[48:49], vcc
	s_cbranch_execz .LBB245_92
; %bb.91:                               ;   in Loop: Header=BB245_10 Depth=1
	v_mov_b32_e32 v2, 7
	v_and_b32_sdwa v44, v46, v2 dst_sel:DWORD dst_unused:UNUSED_PAD src0_sel:BYTE_1 src1_sel:DWORD
	v_ffbh_u32_e32 v2, v44
	v_min_u32_e32 v5, 32, v2
	v_subrev_u32_e32 v2, 28, v5
	v_lshlrev_b64 v[2:3], v2, v[44:45]
	v_lshrrev_b32_e32 v4, 3, v48
	v_sub_u32_e32 v3, 29, v5
	v_cmp_gt_u32_e32 vcc, 8, v48
	v_and_b32_e32 v2, 7, v2
	v_cndmask_b32_e32 v3, v4, v3, vcc
	v_bfrev_b32_e32 v5, 60
	v_cndmask_b32_e32 v2, v44, v2, vcc
	v_lshlrev_b32_e32 v4, 16, v46
	v_lshl_add_u32 v3, v3, 23, v5
	v_and_or_b32 v3, v4, s15, v3
	v_lshlrev_b32_e32 v2, 20, v2
	v_or_b32_e32 v79, v3, v2
	v_mov_b32_e32 v78, v45
.LBB245_92:                             ;   in Loop: Header=BB245_10 Depth=1
	s_or_b64 exec, exec, s[48:49]
.LBB245_93:                             ;   in Loop: Header=BB245_10 Depth=1
	s_or_b64 exec, exec, s[46:47]
.LBB245_94:                             ;   in Loop: Header=BB245_10 Depth=1
	s_or_b64 exec, exec, s[44:45]
	global_load_ushort v1, v[0:1], off offset:12
	v_pk_mov_b32 v[82:83], 0, 0
	v_pk_mov_b32 v[84:85], v[82:83], v[82:83] op_sel:[0,1]
	s_waitcnt vmcnt(0)
	v_and_b32_e32 v0, 0xffff, v1
	v_cmp_ne_u16_sdwa s[46:47], v1, v45 src0_sel:BYTE_0 src1_sel:DWORD
	s_and_saveexec_b64 s[44:45], s[46:47]
	s_cbranch_execz .LBB245_100
; %bb.95:                               ;   in Loop: Header=BB245_10 Depth=1
	v_bfrev_b32_e32 v84, 1
	v_cmp_ne_u16_sdwa s[48:49], v0, s54 src0_sel:BYTE_0 src1_sel:DWORD
	v_mov_b32_e32 v85, 0
	s_and_saveexec_b64 s[46:47], s[48:49]
	s_cbranch_execz .LBB245_99
; %bb.96:                               ;   in Loop: Header=BB245_10 Depth=1
	v_and_b32_e32 v1, 0x7f, v0
	v_mov_b32_e32 v84, 0x7f800001
	v_cmp_ne_u32_e32 vcc, s55, v1
	v_mov_b32_e32 v85, 0
	s_and_saveexec_b64 s[48:49], vcc
	s_cbranch_execz .LBB245_98
; %bb.97:                               ;   in Loop: Header=BB245_10 Depth=1
	v_and_b32_e32 v4, 7, v0
	v_ffbh_u32_e32 v2, v4
	v_min_u32_e32 v44, 32, v2
	v_subrev_u32_e32 v2, 28, v44
	v_lshlrev_b64 v[2:3], v2, v[0:1]
	v_lshrrev_b32_e32 v5, 3, v1
	v_sub_u32_e32 v3, 29, v44
	v_and_b32_e32 v2, 7, v2
	v_cmp_gt_u32_e32 vcc, 8, v1
	v_cndmask_b32_e32 v1, v5, v3, vcc
	v_cndmask_b32_e32 v2, v4, v2, vcc
	v_bfrev_b32_e32 v4, 60
	v_lshlrev_b32_e32 v2, 20, v2
	v_and_b32_sdwa v3, sext(v0), s15 dst_sel:DWORD dst_unused:UNUSED_PAD src0_sel:BYTE_0 src1_sel:DWORD
	v_lshl_add_u32 v1, v1, 23, v4
	v_or3_b32 v44, v3, v1, v2
	v_pk_mov_b32 v[84:85], v[44:45], v[44:45] op_sel:[0,1]
.LBB245_98:                             ;   in Loop: Header=BB245_10 Depth=1
	s_or_b64 exec, exec, s[48:49]
.LBB245_99:                             ;   in Loop: Header=BB245_10 Depth=1
	s_or_b64 exec, exec, s[46:47]
.LBB245_100:                            ;   in Loop: Header=BB245_10 Depth=1
	s_or_b64 exec, exec, s[44:45]
	v_cmp_ne_u16_sdwa s[46:47], v0, v45 src0_sel:BYTE_1 src1_sel:DWORD
	s_and_saveexec_b64 s[44:45], s[46:47]
	s_cbranch_execz .LBB245_106
; %bb.101:                              ;   in Loop: Header=BB245_10 Depth=1
	v_cmp_ne_u16_sdwa s[48:49], v0, s54 src0_sel:BYTE_1 src1_sel:DWORD
	v_pk_mov_b32 v[82:83], s[14:15], s[14:15] op_sel:[0,1]
	s_and_saveexec_b64 s[46:47], s[48:49]
	s_cbranch_execz .LBB245_105
; %bb.102:                              ;   in Loop: Header=BB245_10 Depth=1
	v_and_b32_sdwa v1, v0, s55 dst_sel:DWORD dst_unused:UNUSED_PAD src0_sel:BYTE_1 src1_sel:DWORD
	s_mov_b32 s42, s14
	v_cmp_ne_u32_e32 vcc, s55, v1
	v_pk_mov_b32 v[82:83], s[42:43], s[42:43] op_sel:[0,1]
	s_and_saveexec_b64 s[48:49], vcc
	s_cbranch_execz .LBB245_104
; %bb.103:                              ;   in Loop: Header=BB245_10 Depth=1
	v_mov_b32_e32 v2, 7
	v_and_b32_sdwa v44, v0, v2 dst_sel:DWORD dst_unused:UNUSED_PAD src0_sel:BYTE_1 src1_sel:DWORD
	v_ffbh_u32_e32 v2, v44
	v_min_u32_e32 v5, 32, v2
	v_subrev_u32_e32 v2, 28, v5
	v_lshlrev_b64 v[2:3], v2, v[44:45]
	v_lshrrev_b32_e32 v4, 3, v1
	v_sub_u32_e32 v3, 29, v5
	v_cmp_gt_u32_e32 vcc, 8, v1
	v_and_b32_e32 v2, 7, v2
	v_cndmask_b32_e32 v1, v4, v3, vcc
	v_bfrev_b32_e32 v3, 60
	v_cndmask_b32_e32 v2, v44, v2, vcc
	v_lshlrev_b32_e32 v0, 16, v0
	v_lshl_add_u32 v1, v1, 23, v3
	v_and_or_b32 v0, v0, s15, v1
	v_lshlrev_b32_e32 v1, 20, v2
	v_or_b32_e32 v83, v0, v1
	v_mov_b32_e32 v82, v45
.LBB245_104:                            ;   in Loop: Header=BB245_10 Depth=1
	s_or_b64 exec, exec, s[48:49]
.LBB245_105:                            ;   in Loop: Header=BB245_10 Depth=1
	s_or_b64 exec, exec, s[46:47]
.LBB245_106:                            ;   in Loop: Header=BB245_10 Depth=1
	s_or_b64 exec, exec, s[44:45]
	global_load_ushort v1, v[64:65], off offset:1024
	v_pk_mov_b32 v[86:87], 0, 0
	v_pk_mov_b32 v[88:89], v[86:87], v[86:87] op_sel:[0,1]
	s_waitcnt vmcnt(0)
	v_and_b32_e32 v0, 0xffff, v1
	v_cmp_ne_u16_sdwa s[46:47], v1, v45 src0_sel:BYTE_0 src1_sel:DWORD
	s_and_saveexec_b64 s[44:45], s[46:47]
	s_cbranch_execz .LBB245_112
; %bb.107:                              ;   in Loop: Header=BB245_10 Depth=1
	v_bfrev_b32_e32 v88, 1
	v_cmp_ne_u16_sdwa s[48:49], v0, s54 src0_sel:BYTE_0 src1_sel:DWORD
	v_mov_b32_e32 v89, 0
	s_and_saveexec_b64 s[46:47], s[48:49]
	s_cbranch_execz .LBB245_111
; %bb.108:                              ;   in Loop: Header=BB245_10 Depth=1
	v_and_b32_e32 v1, 0x7f, v0
	v_mov_b32_e32 v88, 0x7f800001
	v_cmp_ne_u32_e32 vcc, s55, v1
	v_mov_b32_e32 v89, 0
	s_and_saveexec_b64 s[48:49], vcc
	s_cbranch_execz .LBB245_110
; %bb.109:                              ;   in Loop: Header=BB245_10 Depth=1
	v_and_b32_e32 v4, 7, v0
	v_ffbh_u32_e32 v2, v4
	v_min_u32_e32 v44, 32, v2
	v_subrev_u32_e32 v2, 28, v44
	v_lshlrev_b64 v[2:3], v2, v[0:1]
	v_lshrrev_b32_e32 v5, 3, v1
	v_sub_u32_e32 v3, 29, v44
	v_and_b32_e32 v2, 7, v2
	v_cmp_gt_u32_e32 vcc, 8, v1
	v_cndmask_b32_e32 v1, v5, v3, vcc
	v_cndmask_b32_e32 v2, v4, v2, vcc
	v_bfrev_b32_e32 v4, 60
	v_lshlrev_b32_e32 v2, 20, v2
	v_and_b32_sdwa v3, sext(v0), s15 dst_sel:DWORD dst_unused:UNUSED_PAD src0_sel:BYTE_0 src1_sel:DWORD
	v_lshl_add_u32 v1, v1, 23, v4
	v_or3_b32 v44, v3, v1, v2
	v_pk_mov_b32 v[88:89], v[44:45], v[44:45] op_sel:[0,1]
.LBB245_110:                            ;   in Loop: Header=BB245_10 Depth=1
	s_or_b64 exec, exec, s[48:49]
.LBB245_111:                            ;   in Loop: Header=BB245_10 Depth=1
	s_or_b64 exec, exec, s[46:47]
.LBB245_112:                            ;   in Loop: Header=BB245_10 Depth=1
	s_or_b64 exec, exec, s[44:45]
	v_cmp_ne_u16_sdwa s[46:47], v0, v45 src0_sel:BYTE_1 src1_sel:DWORD
	s_and_saveexec_b64 s[44:45], s[46:47]
	s_cbranch_execz .LBB245_118
; %bb.113:                              ;   in Loop: Header=BB245_10 Depth=1
	v_cmp_ne_u16_sdwa s[48:49], v0, s54 src0_sel:BYTE_1 src1_sel:DWORD
	v_pk_mov_b32 v[86:87], s[14:15], s[14:15] op_sel:[0,1]
	s_and_saveexec_b64 s[46:47], s[48:49]
	s_cbranch_execz .LBB245_117
; %bb.114:                              ;   in Loop: Header=BB245_10 Depth=1
	v_and_b32_sdwa v1, v0, s55 dst_sel:DWORD dst_unused:UNUSED_PAD src0_sel:BYTE_1 src1_sel:DWORD
	s_mov_b32 s42, s14
	v_cmp_ne_u32_e32 vcc, s55, v1
	v_pk_mov_b32 v[86:87], s[42:43], s[42:43] op_sel:[0,1]
	s_and_saveexec_b64 s[48:49], vcc
	s_cbranch_execz .LBB245_116
; %bb.115:                              ;   in Loop: Header=BB245_10 Depth=1
	v_mov_b32_e32 v2, 7
	v_and_b32_sdwa v44, v0, v2 dst_sel:DWORD dst_unused:UNUSED_PAD src0_sel:BYTE_1 src1_sel:DWORD
	v_ffbh_u32_e32 v2, v44
	v_min_u32_e32 v5, 32, v2
	v_subrev_u32_e32 v2, 28, v5
	v_lshlrev_b64 v[2:3], v2, v[44:45]
	v_lshrrev_b32_e32 v4, 3, v1
	v_sub_u32_e32 v3, 29, v5
	v_cmp_gt_u32_e32 vcc, 8, v1
	v_and_b32_e32 v2, 7, v2
	v_cndmask_b32_e32 v1, v4, v3, vcc
	v_bfrev_b32_e32 v3, 60
	v_cndmask_b32_e32 v2, v44, v2, vcc
	v_lshlrev_b32_e32 v0, 16, v0
	v_lshl_add_u32 v1, v1, 23, v3
	v_and_or_b32 v0, v0, s15, v1
	v_lshlrev_b32_e32 v1, 20, v2
	v_or_b32_e32 v87, v0, v1
	v_mov_b32_e32 v86, v45
.LBB245_116:                            ;   in Loop: Header=BB245_10 Depth=1
	s_or_b64 exec, exec, s[48:49]
.LBB245_117:                            ;   in Loop: Header=BB245_10 Depth=1
	s_or_b64 exec, exec, s[46:47]
.LBB245_118:                            ;   in Loop: Header=BB245_10 Depth=1
	s_or_b64 exec, exec, s[44:45]
	global_load_ushort v1, v[64:65], off offset:1028
	v_pk_mov_b32 v[90:91], 0, 0
	v_pk_mov_b32 v[92:93], v[90:91], v[90:91] op_sel:[0,1]
	s_waitcnt vmcnt(0)
	v_and_b32_e32 v0, 0xffff, v1
	v_cmp_ne_u16_sdwa s[46:47], v1, v45 src0_sel:BYTE_0 src1_sel:DWORD
	s_and_saveexec_b64 s[44:45], s[46:47]
	s_cbranch_execz .LBB245_124
; %bb.119:                              ;   in Loop: Header=BB245_10 Depth=1
	v_bfrev_b32_e32 v92, 1
	v_cmp_ne_u16_sdwa s[48:49], v0, s54 src0_sel:BYTE_0 src1_sel:DWORD
	v_mov_b32_e32 v93, 0
	s_and_saveexec_b64 s[46:47], s[48:49]
	s_cbranch_execz .LBB245_123
; %bb.120:                              ;   in Loop: Header=BB245_10 Depth=1
	v_and_b32_e32 v1, 0x7f, v0
	v_mov_b32_e32 v92, 0x7f800001
	v_cmp_ne_u32_e32 vcc, s55, v1
	v_mov_b32_e32 v93, 0
	s_and_saveexec_b64 s[48:49], vcc
	s_cbranch_execz .LBB245_122
; %bb.121:                              ;   in Loop: Header=BB245_10 Depth=1
	v_and_b32_e32 v4, 7, v0
	v_ffbh_u32_e32 v2, v4
	v_min_u32_e32 v44, 32, v2
	v_subrev_u32_e32 v2, 28, v44
	v_lshlrev_b64 v[2:3], v2, v[0:1]
	v_lshrrev_b32_e32 v5, 3, v1
	v_sub_u32_e32 v3, 29, v44
	v_and_b32_e32 v2, 7, v2
	v_cmp_gt_u32_e32 vcc, 8, v1
	v_cndmask_b32_e32 v1, v5, v3, vcc
	v_cndmask_b32_e32 v2, v4, v2, vcc
	v_bfrev_b32_e32 v4, 60
	v_lshlrev_b32_e32 v2, 20, v2
	v_and_b32_sdwa v3, sext(v0), s15 dst_sel:DWORD dst_unused:UNUSED_PAD src0_sel:BYTE_0 src1_sel:DWORD
	v_lshl_add_u32 v1, v1, 23, v4
	v_or3_b32 v44, v3, v1, v2
	v_pk_mov_b32 v[92:93], v[44:45], v[44:45] op_sel:[0,1]
.LBB245_122:                            ;   in Loop: Header=BB245_10 Depth=1
	s_or_b64 exec, exec, s[48:49]
.LBB245_123:                            ;   in Loop: Header=BB245_10 Depth=1
	s_or_b64 exec, exec, s[46:47]
.LBB245_124:                            ;   in Loop: Header=BB245_10 Depth=1
	s_or_b64 exec, exec, s[44:45]
	v_cmp_ne_u16_sdwa s[46:47], v0, v45 src0_sel:BYTE_1 src1_sel:DWORD
	s_and_saveexec_b64 s[44:45], s[46:47]
	s_cbranch_execz .LBB245_130
; %bb.125:                              ;   in Loop: Header=BB245_10 Depth=1
	v_cmp_ne_u16_sdwa s[48:49], v0, s54 src0_sel:BYTE_1 src1_sel:DWORD
	v_pk_mov_b32 v[90:91], s[14:15], s[14:15] op_sel:[0,1]
	s_and_saveexec_b64 s[46:47], s[48:49]
	s_cbranch_execz .LBB245_129
; %bb.126:                              ;   in Loop: Header=BB245_10 Depth=1
	v_and_b32_sdwa v1, v0, s55 dst_sel:DWORD dst_unused:UNUSED_PAD src0_sel:BYTE_1 src1_sel:DWORD
	s_mov_b32 s42, s14
	v_cmp_ne_u32_e32 vcc, s55, v1
	v_pk_mov_b32 v[90:91], s[42:43], s[42:43] op_sel:[0,1]
	s_and_saveexec_b64 s[48:49], vcc
	s_cbranch_execz .LBB245_128
; %bb.127:                              ;   in Loop: Header=BB245_10 Depth=1
	v_mov_b32_e32 v2, 7
	v_and_b32_sdwa v44, v0, v2 dst_sel:DWORD dst_unused:UNUSED_PAD src0_sel:BYTE_1 src1_sel:DWORD
	v_ffbh_u32_e32 v2, v44
	v_min_u32_e32 v5, 32, v2
	v_subrev_u32_e32 v2, 28, v5
	v_lshlrev_b64 v[2:3], v2, v[44:45]
	v_lshrrev_b32_e32 v4, 3, v1
	v_sub_u32_e32 v3, 29, v5
	v_cmp_gt_u32_e32 vcc, 8, v1
	v_and_b32_e32 v2, 7, v2
	v_cndmask_b32_e32 v1, v4, v3, vcc
	v_bfrev_b32_e32 v3, 60
	v_cndmask_b32_e32 v2, v44, v2, vcc
	v_lshlrev_b32_e32 v0, 16, v0
	v_lshl_add_u32 v1, v1, 23, v3
	v_and_or_b32 v0, v0, s15, v1
	v_lshlrev_b32_e32 v1, 20, v2
	v_or_b32_e32 v91, v0, v1
	v_mov_b32_e32 v90, v45
.LBB245_128:                            ;   in Loop: Header=BB245_10 Depth=1
	s_or_b64 exec, exec, s[48:49]
.LBB245_129:                            ;   in Loop: Header=BB245_10 Depth=1
	s_or_b64 exec, exec, s[46:47]
.LBB245_130:                            ;   in Loop: Header=BB245_10 Depth=1
	s_or_b64 exec, exec, s[44:45]
	v_add_co_u32_e32 v0, vcc, 0x400, v64
	v_addc_co_u32_e32 v1, vcc, 0, v65, vcc
	global_load_ushort v2, v[0:1], off offset:8
	v_pk_mov_b32 v[94:95], 0, 0
	v_pk_mov_b32 v[96:97], v[94:95], v[94:95] op_sel:[0,1]
	s_waitcnt vmcnt(0)
	v_and_b32_e32 v46, 0xffff, v2
	v_cmp_ne_u16_sdwa s[46:47], v2, v45 src0_sel:BYTE_0 src1_sel:DWORD
	s_and_saveexec_b64 s[44:45], s[46:47]
	s_cbranch_execz .LBB245_136
; %bb.131:                              ;   in Loop: Header=BB245_10 Depth=1
	v_bfrev_b32_e32 v96, 1
	v_cmp_ne_u16_sdwa s[48:49], v46, s54 src0_sel:BYTE_0 src1_sel:DWORD
	v_mov_b32_e32 v97, 0
	s_and_saveexec_b64 s[46:47], s[48:49]
	s_cbranch_execz .LBB245_135
; %bb.132:                              ;   in Loop: Header=BB245_10 Depth=1
	v_and_b32_e32 v44, 0x7f, v46
	v_mov_b32_e32 v96, 0x7f800001
	v_cmp_ne_u32_e32 vcc, s55, v44
	v_mov_b32_e32 v97, 0
	s_and_saveexec_b64 s[48:49], vcc
	s_cbranch_execz .LBB245_134
; %bb.133:                              ;   in Loop: Header=BB245_10 Depth=1
	v_and_b32_e32 v4, 7, v46
	v_ffbh_u32_e32 v2, v4
	v_min_u32_e32 v48, 32, v2
	v_subrev_u32_e32 v2, 28, v48
	v_lshlrev_b64 v[2:3], v2, v[46:47]
	v_lshrrev_b32_e32 v5, 3, v44
	v_sub_u32_e32 v3, 29, v48
	v_and_b32_e32 v2, 7, v2
	v_cmp_gt_u32_e32 vcc, 8, v44
	v_cndmask_b32_e32 v3, v5, v3, vcc
	v_cndmask_b32_e32 v2, v4, v2, vcc
	v_bfrev_b32_e32 v5, 60
	v_lshlrev_b32_e32 v2, 20, v2
	v_and_b32_sdwa v4, sext(v46), s15 dst_sel:DWORD dst_unused:UNUSED_PAD src0_sel:BYTE_0 src1_sel:DWORD
	v_lshl_add_u32 v3, v3, 23, v5
	v_or3_b32 v44, v4, v3, v2
	v_pk_mov_b32 v[96:97], v[44:45], v[44:45] op_sel:[0,1]
.LBB245_134:                            ;   in Loop: Header=BB245_10 Depth=1
	s_or_b64 exec, exec, s[48:49]
.LBB245_135:                            ;   in Loop: Header=BB245_10 Depth=1
	s_or_b64 exec, exec, s[46:47]
.LBB245_136:                            ;   in Loop: Header=BB245_10 Depth=1
	s_or_b64 exec, exec, s[44:45]
	v_cmp_ne_u16_sdwa s[46:47], v46, v45 src0_sel:BYTE_1 src1_sel:DWORD
	s_and_saveexec_b64 s[44:45], s[46:47]
	s_cbranch_execz .LBB245_142
; %bb.137:                              ;   in Loop: Header=BB245_10 Depth=1
	v_cmp_ne_u16_sdwa s[48:49], v46, s54 src0_sel:BYTE_1 src1_sel:DWORD
	v_pk_mov_b32 v[94:95], s[14:15], s[14:15] op_sel:[0,1]
	s_and_saveexec_b64 s[46:47], s[48:49]
	s_cbranch_execz .LBB245_141
; %bb.138:                              ;   in Loop: Header=BB245_10 Depth=1
	v_and_b32_sdwa v48, v46, s55 dst_sel:DWORD dst_unused:UNUSED_PAD src0_sel:BYTE_1 src1_sel:DWORD
	s_mov_b32 s42, s14
	v_cmp_ne_u32_e32 vcc, s55, v48
	v_pk_mov_b32 v[94:95], s[42:43], s[42:43] op_sel:[0,1]
	s_and_saveexec_b64 s[48:49], vcc
	s_cbranch_execz .LBB245_140
; %bb.139:                              ;   in Loop: Header=BB245_10 Depth=1
	v_mov_b32_e32 v2, 7
	v_and_b32_sdwa v44, v46, v2 dst_sel:DWORD dst_unused:UNUSED_PAD src0_sel:BYTE_1 src1_sel:DWORD
	v_ffbh_u32_e32 v2, v44
	v_min_u32_e32 v5, 32, v2
	v_subrev_u32_e32 v2, 28, v5
	v_lshlrev_b64 v[2:3], v2, v[44:45]
	v_lshrrev_b32_e32 v4, 3, v48
	v_sub_u32_e32 v3, 29, v5
	v_cmp_gt_u32_e32 vcc, 8, v48
	v_and_b32_e32 v2, 7, v2
	v_cndmask_b32_e32 v3, v4, v3, vcc
	v_bfrev_b32_e32 v5, 60
	v_cndmask_b32_e32 v2, v44, v2, vcc
	v_lshlrev_b32_e32 v4, 16, v46
	v_lshl_add_u32 v3, v3, 23, v5
	v_and_or_b32 v3, v4, s15, v3
	v_lshlrev_b32_e32 v2, 20, v2
	v_or_b32_e32 v95, v3, v2
	v_mov_b32_e32 v94, v45
.LBB245_140:                            ;   in Loop: Header=BB245_10 Depth=1
	s_or_b64 exec, exec, s[48:49]
.LBB245_141:                            ;   in Loop: Header=BB245_10 Depth=1
	s_or_b64 exec, exec, s[46:47]
.LBB245_142:                            ;   in Loop: Header=BB245_10 Depth=1
	s_or_b64 exec, exec, s[44:45]
	global_load_ushort v1, v[0:1], off offset:12
	v_pk_mov_b32 v[98:99], 0, 0
	v_pk_mov_b32 v[100:101], v[98:99], v[98:99] op_sel:[0,1]
	s_waitcnt vmcnt(0)
	v_and_b32_e32 v0, 0xffff, v1
	v_cmp_ne_u16_sdwa s[46:47], v1, v45 src0_sel:BYTE_0 src1_sel:DWORD
	s_and_saveexec_b64 s[44:45], s[46:47]
	s_cbranch_execz .LBB245_148
; %bb.143:                              ;   in Loop: Header=BB245_10 Depth=1
	v_bfrev_b32_e32 v100, 1
	v_cmp_ne_u16_sdwa s[48:49], v0, s54 src0_sel:BYTE_0 src1_sel:DWORD
	v_mov_b32_e32 v101, 0
	s_and_saveexec_b64 s[46:47], s[48:49]
	s_cbranch_execz .LBB245_147
; %bb.144:                              ;   in Loop: Header=BB245_10 Depth=1
	v_and_b32_e32 v1, 0x7f, v0
	v_mov_b32_e32 v100, 0x7f800001
	v_cmp_ne_u32_e32 vcc, s55, v1
	v_mov_b32_e32 v101, 0
	s_and_saveexec_b64 s[48:49], vcc
	s_cbranch_execz .LBB245_146
; %bb.145:                              ;   in Loop: Header=BB245_10 Depth=1
	v_and_b32_e32 v4, 7, v0
	v_ffbh_u32_e32 v2, v4
	v_min_u32_e32 v44, 32, v2
	v_subrev_u32_e32 v2, 28, v44
	v_lshlrev_b64 v[2:3], v2, v[0:1]
	v_lshrrev_b32_e32 v5, 3, v1
	v_sub_u32_e32 v3, 29, v44
	v_and_b32_e32 v2, 7, v2
	v_cmp_gt_u32_e32 vcc, 8, v1
	v_cndmask_b32_e32 v1, v5, v3, vcc
	v_cndmask_b32_e32 v2, v4, v2, vcc
	v_bfrev_b32_e32 v4, 60
	v_lshlrev_b32_e32 v2, 20, v2
	v_and_b32_sdwa v3, sext(v0), s15 dst_sel:DWORD dst_unused:UNUSED_PAD src0_sel:BYTE_0 src1_sel:DWORD
	v_lshl_add_u32 v1, v1, 23, v4
	v_or3_b32 v44, v3, v1, v2
	v_pk_mov_b32 v[100:101], v[44:45], v[44:45] op_sel:[0,1]
.LBB245_146:                            ;   in Loop: Header=BB245_10 Depth=1
	s_or_b64 exec, exec, s[48:49]
.LBB245_147:                            ;   in Loop: Header=BB245_10 Depth=1
	s_or_b64 exec, exec, s[46:47]
.LBB245_148:                            ;   in Loop: Header=BB245_10 Depth=1
	s_or_b64 exec, exec, s[44:45]
	v_cmp_ne_u16_sdwa s[46:47], v0, v45 src0_sel:BYTE_1 src1_sel:DWORD
	s_and_saveexec_b64 s[44:45], s[46:47]
	s_cbranch_execz .LBB245_154
; %bb.149:                              ;   in Loop: Header=BB245_10 Depth=1
	v_cmp_ne_u16_sdwa s[48:49], v0, s54 src0_sel:BYTE_1 src1_sel:DWORD
	v_pk_mov_b32 v[98:99], s[14:15], s[14:15] op_sel:[0,1]
	s_and_saveexec_b64 s[46:47], s[48:49]
	s_cbranch_execz .LBB245_153
; %bb.150:                              ;   in Loop: Header=BB245_10 Depth=1
	v_and_b32_sdwa v1, v0, s55 dst_sel:DWORD dst_unused:UNUSED_PAD src0_sel:BYTE_1 src1_sel:DWORD
	s_mov_b32 s42, s14
	v_cmp_ne_u32_e32 vcc, s55, v1
	v_pk_mov_b32 v[98:99], s[42:43], s[42:43] op_sel:[0,1]
	s_and_saveexec_b64 s[48:49], vcc
	s_cbranch_execz .LBB245_152
; %bb.151:                              ;   in Loop: Header=BB245_10 Depth=1
	v_mov_b32_e32 v2, 7
	v_and_b32_sdwa v44, v0, v2 dst_sel:DWORD dst_unused:UNUSED_PAD src0_sel:BYTE_1 src1_sel:DWORD
	v_ffbh_u32_e32 v2, v44
	v_min_u32_e32 v5, 32, v2
	v_subrev_u32_e32 v2, 28, v5
	v_lshlrev_b64 v[2:3], v2, v[44:45]
	v_lshrrev_b32_e32 v4, 3, v1
	v_sub_u32_e32 v3, 29, v5
	v_cmp_gt_u32_e32 vcc, 8, v1
	v_and_b32_e32 v2, 7, v2
	v_cndmask_b32_e32 v1, v4, v3, vcc
	v_bfrev_b32_e32 v3, 60
	v_cndmask_b32_e32 v2, v44, v2, vcc
	v_lshlrev_b32_e32 v0, 16, v0
	v_lshl_add_u32 v1, v1, 23, v3
	v_and_or_b32 v0, v0, s15, v1
	v_lshlrev_b32_e32 v1, 20, v2
	v_or_b32_e32 v99, v0, v1
	v_mov_b32_e32 v98, v45
.LBB245_152:                            ;   in Loop: Header=BB245_10 Depth=1
	s_or_b64 exec, exec, s[48:49]
.LBB245_153:                            ;   in Loop: Header=BB245_10 Depth=1
	s_or_b64 exec, exec, s[46:47]
.LBB245_154:                            ;   in Loop: Header=BB245_10 Depth=1
	s_or_b64 exec, exec, s[44:45]
	global_load_ushort v1, v[64:65], off offset:1536
	v_pk_mov_b32 v[102:103], 0, 0
	v_pk_mov_b32 v[104:105], v[102:103], v[102:103] op_sel:[0,1]
	s_waitcnt vmcnt(0)
	v_and_b32_e32 v0, 0xffff, v1
	v_cmp_ne_u16_sdwa s[46:47], v1, v45 src0_sel:BYTE_0 src1_sel:DWORD
	s_and_saveexec_b64 s[44:45], s[46:47]
	s_cbranch_execz .LBB245_160
; %bb.155:                              ;   in Loop: Header=BB245_10 Depth=1
	v_bfrev_b32_e32 v104, 1
	v_cmp_ne_u16_sdwa s[48:49], v0, s54 src0_sel:BYTE_0 src1_sel:DWORD
	v_mov_b32_e32 v105, 0
	s_and_saveexec_b64 s[46:47], s[48:49]
	s_cbranch_execz .LBB245_159
; %bb.156:                              ;   in Loop: Header=BB245_10 Depth=1
	v_and_b32_e32 v1, 0x7f, v0
	v_mov_b32_e32 v104, 0x7f800001
	v_cmp_ne_u32_e32 vcc, s55, v1
	v_mov_b32_e32 v105, 0
	s_and_saveexec_b64 s[48:49], vcc
	s_cbranch_execz .LBB245_158
; %bb.157:                              ;   in Loop: Header=BB245_10 Depth=1
	v_and_b32_e32 v4, 7, v0
	v_ffbh_u32_e32 v2, v4
	v_min_u32_e32 v44, 32, v2
	v_subrev_u32_e32 v2, 28, v44
	v_lshlrev_b64 v[2:3], v2, v[0:1]
	v_lshrrev_b32_e32 v5, 3, v1
	v_sub_u32_e32 v3, 29, v44
	v_and_b32_e32 v2, 7, v2
	v_cmp_gt_u32_e32 vcc, 8, v1
	v_cndmask_b32_e32 v1, v5, v3, vcc
	v_cndmask_b32_e32 v2, v4, v2, vcc
	v_bfrev_b32_e32 v4, 60
	v_lshlrev_b32_e32 v2, 20, v2
	v_and_b32_sdwa v3, sext(v0), s15 dst_sel:DWORD dst_unused:UNUSED_PAD src0_sel:BYTE_0 src1_sel:DWORD
	v_lshl_add_u32 v1, v1, 23, v4
	v_or3_b32 v44, v3, v1, v2
	v_pk_mov_b32 v[104:105], v[44:45], v[44:45] op_sel:[0,1]
.LBB245_158:                            ;   in Loop: Header=BB245_10 Depth=1
	s_or_b64 exec, exec, s[48:49]
.LBB245_159:                            ;   in Loop: Header=BB245_10 Depth=1
	s_or_b64 exec, exec, s[46:47]
.LBB245_160:                            ;   in Loop: Header=BB245_10 Depth=1
	s_or_b64 exec, exec, s[44:45]
	v_cmp_ne_u16_sdwa s[46:47], v0, v45 src0_sel:BYTE_1 src1_sel:DWORD
	s_and_saveexec_b64 s[44:45], s[46:47]
	s_cbranch_execz .LBB245_166
; %bb.161:                              ;   in Loop: Header=BB245_10 Depth=1
	v_cmp_ne_u16_sdwa s[48:49], v0, s54 src0_sel:BYTE_1 src1_sel:DWORD
	v_pk_mov_b32 v[102:103], s[14:15], s[14:15] op_sel:[0,1]
	s_and_saveexec_b64 s[46:47], s[48:49]
	s_cbranch_execz .LBB245_165
; %bb.162:                              ;   in Loop: Header=BB245_10 Depth=1
	v_and_b32_sdwa v1, v0, s55 dst_sel:DWORD dst_unused:UNUSED_PAD src0_sel:BYTE_1 src1_sel:DWORD
	s_mov_b32 s42, s14
	v_cmp_ne_u32_e32 vcc, s55, v1
	v_pk_mov_b32 v[102:103], s[42:43], s[42:43] op_sel:[0,1]
	s_and_saveexec_b64 s[48:49], vcc
	s_cbranch_execz .LBB245_164
; %bb.163:                              ;   in Loop: Header=BB245_10 Depth=1
	v_mov_b32_e32 v2, 7
	v_and_b32_sdwa v44, v0, v2 dst_sel:DWORD dst_unused:UNUSED_PAD src0_sel:BYTE_1 src1_sel:DWORD
	v_ffbh_u32_e32 v2, v44
	v_min_u32_e32 v5, 32, v2
	v_subrev_u32_e32 v2, 28, v5
	v_lshlrev_b64 v[2:3], v2, v[44:45]
	v_lshrrev_b32_e32 v4, 3, v1
	v_sub_u32_e32 v3, 29, v5
	v_cmp_gt_u32_e32 vcc, 8, v1
	v_and_b32_e32 v2, 7, v2
	v_cndmask_b32_e32 v1, v4, v3, vcc
	v_bfrev_b32_e32 v3, 60
	v_cndmask_b32_e32 v2, v44, v2, vcc
	v_lshlrev_b32_e32 v0, 16, v0
	v_lshl_add_u32 v1, v1, 23, v3
	v_and_or_b32 v0, v0, s15, v1
	v_lshlrev_b32_e32 v1, 20, v2
	v_or_b32_e32 v103, v0, v1
	v_mov_b32_e32 v102, v45
.LBB245_164:                            ;   in Loop: Header=BB245_10 Depth=1
	s_or_b64 exec, exec, s[48:49]
.LBB245_165:                            ;   in Loop: Header=BB245_10 Depth=1
	s_or_b64 exec, exec, s[46:47]
.LBB245_166:                            ;   in Loop: Header=BB245_10 Depth=1
	s_or_b64 exec, exec, s[44:45]
	global_load_ushort v1, v[64:65], off offset:1540
	v_pk_mov_b32 v[106:107], 0, 0
	v_pk_mov_b32 v[108:109], v[106:107], v[106:107] op_sel:[0,1]
	s_waitcnt vmcnt(0)
	v_and_b32_e32 v0, 0xffff, v1
	v_cmp_ne_u16_sdwa s[46:47], v1, v45 src0_sel:BYTE_0 src1_sel:DWORD
	s_and_saveexec_b64 s[44:45], s[46:47]
	s_cbranch_execz .LBB245_172
; %bb.167:                              ;   in Loop: Header=BB245_10 Depth=1
	v_bfrev_b32_e32 v108, 1
	v_cmp_ne_u16_sdwa s[48:49], v0, s54 src0_sel:BYTE_0 src1_sel:DWORD
	v_mov_b32_e32 v109, 0
	s_and_saveexec_b64 s[46:47], s[48:49]
	s_cbranch_execz .LBB245_171
; %bb.168:                              ;   in Loop: Header=BB245_10 Depth=1
	v_and_b32_e32 v1, 0x7f, v0
	v_mov_b32_e32 v108, 0x7f800001
	v_cmp_ne_u32_e32 vcc, s55, v1
	v_mov_b32_e32 v109, 0
	s_and_saveexec_b64 s[48:49], vcc
	s_cbranch_execz .LBB245_170
; %bb.169:                              ;   in Loop: Header=BB245_10 Depth=1
	v_and_b32_e32 v4, 7, v0
	v_ffbh_u32_e32 v2, v4
	v_min_u32_e32 v44, 32, v2
	v_subrev_u32_e32 v2, 28, v44
	v_lshlrev_b64 v[2:3], v2, v[0:1]
	v_lshrrev_b32_e32 v5, 3, v1
	v_sub_u32_e32 v3, 29, v44
	v_and_b32_e32 v2, 7, v2
	v_cmp_gt_u32_e32 vcc, 8, v1
	v_cndmask_b32_e32 v1, v5, v3, vcc
	v_cndmask_b32_e32 v2, v4, v2, vcc
	v_bfrev_b32_e32 v4, 60
	v_lshlrev_b32_e32 v2, 20, v2
	v_and_b32_sdwa v3, sext(v0), s15 dst_sel:DWORD dst_unused:UNUSED_PAD src0_sel:BYTE_0 src1_sel:DWORD
	v_lshl_add_u32 v1, v1, 23, v4
	v_or3_b32 v44, v3, v1, v2
	v_pk_mov_b32 v[108:109], v[44:45], v[44:45] op_sel:[0,1]
.LBB245_170:                            ;   in Loop: Header=BB245_10 Depth=1
	s_or_b64 exec, exec, s[48:49]
.LBB245_171:                            ;   in Loop: Header=BB245_10 Depth=1
	s_or_b64 exec, exec, s[46:47]
.LBB245_172:                            ;   in Loop: Header=BB245_10 Depth=1
	s_or_b64 exec, exec, s[44:45]
	v_cmp_ne_u16_sdwa s[46:47], v0, v45 src0_sel:BYTE_1 src1_sel:DWORD
	s_and_saveexec_b64 s[44:45], s[46:47]
	s_cbranch_execz .LBB245_178
; %bb.173:                              ;   in Loop: Header=BB245_10 Depth=1
	v_cmp_ne_u16_sdwa s[48:49], v0, s54 src0_sel:BYTE_1 src1_sel:DWORD
	v_pk_mov_b32 v[106:107], s[14:15], s[14:15] op_sel:[0,1]
	s_and_saveexec_b64 s[46:47], s[48:49]
	s_cbranch_execz .LBB245_177
; %bb.174:                              ;   in Loop: Header=BB245_10 Depth=1
	v_and_b32_sdwa v1, v0, s55 dst_sel:DWORD dst_unused:UNUSED_PAD src0_sel:BYTE_1 src1_sel:DWORD
	s_mov_b32 s42, s14
	v_cmp_ne_u32_e32 vcc, s55, v1
	v_pk_mov_b32 v[106:107], s[42:43], s[42:43] op_sel:[0,1]
	s_and_saveexec_b64 s[48:49], vcc
	s_cbranch_execz .LBB245_176
; %bb.175:                              ;   in Loop: Header=BB245_10 Depth=1
	v_mov_b32_e32 v2, 7
	v_and_b32_sdwa v44, v0, v2 dst_sel:DWORD dst_unused:UNUSED_PAD src0_sel:BYTE_1 src1_sel:DWORD
	v_ffbh_u32_e32 v2, v44
	v_min_u32_e32 v5, 32, v2
	v_subrev_u32_e32 v2, 28, v5
	v_lshlrev_b64 v[2:3], v2, v[44:45]
	v_lshrrev_b32_e32 v4, 3, v1
	v_sub_u32_e32 v3, 29, v5
	v_cmp_gt_u32_e32 vcc, 8, v1
	v_and_b32_e32 v2, 7, v2
	v_cndmask_b32_e32 v1, v4, v3, vcc
	v_bfrev_b32_e32 v3, 60
	v_cndmask_b32_e32 v2, v44, v2, vcc
	v_lshlrev_b32_e32 v0, 16, v0
	v_lshl_add_u32 v1, v1, 23, v3
	v_and_or_b32 v0, v0, s15, v1
	v_lshlrev_b32_e32 v1, 20, v2
	v_or_b32_e32 v107, v0, v1
	v_mov_b32_e32 v106, v45
.LBB245_176:                            ;   in Loop: Header=BB245_10 Depth=1
	s_or_b64 exec, exec, s[48:49]
.LBB245_177:                            ;   in Loop: Header=BB245_10 Depth=1
	s_or_b64 exec, exec, s[46:47]
.LBB245_178:                            ;   in Loop: Header=BB245_10 Depth=1
	s_or_b64 exec, exec, s[44:45]
	v_add_co_u32_e32 v0, vcc, 0x600, v64
	v_addc_co_u32_e32 v1, vcc, 0, v65, vcc
	global_load_ushort v2, v[0:1], off offset:8
	v_pk_mov_b32 v[110:111], 0, 0
	v_pk_mov_b32 v[112:113], v[110:111], v[110:111] op_sel:[0,1]
	s_waitcnt vmcnt(0)
	v_and_b32_e32 v46, 0xffff, v2
	v_cmp_ne_u16_sdwa s[46:47], v2, v45 src0_sel:BYTE_0 src1_sel:DWORD
	s_and_saveexec_b64 s[44:45], s[46:47]
	s_cbranch_execz .LBB245_184
; %bb.179:                              ;   in Loop: Header=BB245_10 Depth=1
	v_bfrev_b32_e32 v112, 1
	v_cmp_ne_u16_sdwa s[48:49], v46, s54 src0_sel:BYTE_0 src1_sel:DWORD
	v_mov_b32_e32 v113, 0
	s_and_saveexec_b64 s[46:47], s[48:49]
	s_cbranch_execz .LBB245_183
; %bb.180:                              ;   in Loop: Header=BB245_10 Depth=1
	v_and_b32_e32 v2, 0x7f, v46
	v_mov_b32_e32 v112, 0x7f800001
	v_cmp_ne_u32_e32 vcc, s55, v2
	v_mov_b32_e32 v113, 0
	s_and_saveexec_b64 s[48:49], vcc
	s_cbranch_execz .LBB245_182
; %bb.181:                              ;   in Loop: Header=BB245_10 Depth=1
	v_and_b32_e32 v4, 7, v46
	v_lshrrev_b32_e32 v5, 3, v2
	v_cmp_gt_u32_e32 vcc, 8, v2
	v_ffbh_u32_e32 v2, v4
	v_min_u32_e32 v44, 32, v2
	v_subrev_u32_e32 v2, 28, v44
	v_lshlrev_b64 v[2:3], v2, v[46:47]
	v_sub_u32_e32 v3, 29, v44
	v_and_b32_e32 v2, 7, v2
	v_cndmask_b32_e32 v3, v5, v3, vcc
	v_cndmask_b32_e32 v2, v4, v2, vcc
	v_bfrev_b32_e32 v5, 60
	v_lshlrev_b32_e32 v2, 20, v2
	v_and_b32_sdwa v4, sext(v46), s15 dst_sel:DWORD dst_unused:UNUSED_PAD src0_sel:BYTE_0 src1_sel:DWORD
	v_lshl_add_u32 v3, v3, 23, v5
	v_or3_b32 v44, v4, v3, v2
	v_pk_mov_b32 v[112:113], v[44:45], v[44:45] op_sel:[0,1]
.LBB245_182:                            ;   in Loop: Header=BB245_10 Depth=1
	s_or_b64 exec, exec, s[48:49]
.LBB245_183:                            ;   in Loop: Header=BB245_10 Depth=1
	s_or_b64 exec, exec, s[46:47]
.LBB245_184:                            ;   in Loop: Header=BB245_10 Depth=1
	s_or_b64 exec, exec, s[44:45]
	v_cmp_ne_u16_sdwa s[46:47], v46, v45 src0_sel:BYTE_1 src1_sel:DWORD
	s_and_saveexec_b64 s[44:45], s[46:47]
	s_cbranch_execz .LBB245_190
; %bb.185:                              ;   in Loop: Header=BB245_10 Depth=1
	v_cmp_ne_u16_sdwa s[48:49], v46, s54 src0_sel:BYTE_1 src1_sel:DWORD
	v_pk_mov_b32 v[110:111], s[14:15], s[14:15] op_sel:[0,1]
	s_and_saveexec_b64 s[46:47], s[48:49]
	s_cbranch_execz .LBB245_189
; %bb.186:                              ;   in Loop: Header=BB245_10 Depth=1
	v_and_b32_sdwa v48, v46, s55 dst_sel:DWORD dst_unused:UNUSED_PAD src0_sel:BYTE_1 src1_sel:DWORD
	s_mov_b32 s42, s14
	v_cmp_ne_u32_e32 vcc, s55, v48
	v_pk_mov_b32 v[110:111], s[42:43], s[42:43] op_sel:[0,1]
	s_and_saveexec_b64 s[48:49], vcc
	s_cbranch_execz .LBB245_188
; %bb.187:                              ;   in Loop: Header=BB245_10 Depth=1
	v_mov_b32_e32 v2, 7
	v_and_b32_sdwa v44, v46, v2 dst_sel:DWORD dst_unused:UNUSED_PAD src0_sel:BYTE_1 src1_sel:DWORD
	v_ffbh_u32_e32 v2, v44
	v_min_u32_e32 v5, 32, v2
	v_subrev_u32_e32 v2, 28, v5
	v_lshlrev_b64 v[2:3], v2, v[44:45]
	v_lshrrev_b32_e32 v4, 3, v48
	v_cmp_gt_u32_e32 vcc, 8, v48
	v_sub_u32_e32 v3, 29, v5
	v_and_b32_e32 v2, 7, v2
	v_cndmask_b32_e32 v3, v4, v3, vcc
	v_bfrev_b32_e32 v5, 60
	v_cndmask_b32_e32 v2, v44, v2, vcc
	v_lshlrev_b32_e32 v4, 16, v46
	v_lshl_add_u32 v3, v3, 23, v5
	v_and_or_b32 v3, v4, s15, v3
	v_lshlrev_b32_e32 v2, 20, v2
	v_or_b32_e32 v111, v3, v2
	v_mov_b32_e32 v110, v45
.LBB245_188:                            ;   in Loop: Header=BB245_10 Depth=1
	s_or_b64 exec, exec, s[48:49]
.LBB245_189:                            ;   in Loop: Header=BB245_10 Depth=1
	s_or_b64 exec, exec, s[46:47]
.LBB245_190:                            ;   in Loop: Header=BB245_10 Depth=1
	s_or_b64 exec, exec, s[44:45]
	global_load_ushort v1, v[0:1], off offset:12
	v_pk_mov_b32 v[114:115], 0, 0
	v_pk_mov_b32 v[116:117], v[114:115], v[114:115] op_sel:[0,1]
	s_waitcnt vmcnt(0)
	v_and_b32_e32 v0, 0xffff, v1
	v_cmp_ne_u16_sdwa s[46:47], v1, v45 src0_sel:BYTE_0 src1_sel:DWORD
	s_and_saveexec_b64 s[44:45], s[46:47]
	s_cbranch_execz .LBB245_196
; %bb.191:                              ;   in Loop: Header=BB245_10 Depth=1
	v_bfrev_b32_e32 v116, 1
	v_cmp_ne_u16_sdwa s[48:49], v0, s54 src0_sel:BYTE_0 src1_sel:DWORD
	v_mov_b32_e32 v117, 0
	s_and_saveexec_b64 s[46:47], s[48:49]
	s_cbranch_execz .LBB245_195
; %bb.192:                              ;   in Loop: Header=BB245_10 Depth=1
	v_and_b32_e32 v1, 0x7f, v0
	v_mov_b32_e32 v116, 0x7f800001
	v_cmp_ne_u32_e32 vcc, s55, v1
	v_mov_b32_e32 v117, 0
	s_and_saveexec_b64 s[48:49], vcc
	s_cbranch_execz .LBB245_194
; %bb.193:                              ;   in Loop: Header=BB245_10 Depth=1
	v_and_b32_e32 v4, 7, v0
	v_lshrrev_b32_e32 v5, 3, v1
	v_cmp_gt_u32_e32 vcc, 8, v1
	v_ffbh_u32_e32 v1, v4
	v_min_u32_e32 v1, 32, v1
	v_subrev_u32_e32 v2, 28, v1
	v_lshlrev_b64 v[2:3], v2, v[0:1]
	v_sub_u32_e32 v1, 29, v1
	v_and_b32_e32 v2, 7, v2
	v_cndmask_b32_e32 v1, v5, v1, vcc
	v_cndmask_b32_e32 v2, v4, v2, vcc
	v_bfrev_b32_e32 v4, 60
	v_lshlrev_b32_e32 v2, 20, v2
	v_and_b32_sdwa v3, sext(v0), s15 dst_sel:DWORD dst_unused:UNUSED_PAD src0_sel:BYTE_0 src1_sel:DWORD
	v_lshl_add_u32 v1, v1, 23, v4
	v_or3_b32 v44, v3, v1, v2
	v_pk_mov_b32 v[116:117], v[44:45], v[44:45] op_sel:[0,1]
.LBB245_194:                            ;   in Loop: Header=BB245_10 Depth=1
	s_or_b64 exec, exec, s[48:49]
.LBB245_195:                            ;   in Loop: Header=BB245_10 Depth=1
	s_or_b64 exec, exec, s[46:47]
.LBB245_196:                            ;   in Loop: Header=BB245_10 Depth=1
	s_or_b64 exec, exec, s[44:45]
	v_cmp_ne_u16_sdwa s[46:47], v0, v45 src0_sel:BYTE_1 src1_sel:DWORD
	s_and_saveexec_b64 s[44:45], s[46:47]
	s_cbranch_execz .LBB245_202
; %bb.197:                              ;   in Loop: Header=BB245_10 Depth=1
	v_cmp_ne_u16_sdwa s[48:49], v0, s54 src0_sel:BYTE_1 src1_sel:DWORD
	v_pk_mov_b32 v[114:115], s[14:15], s[14:15] op_sel:[0,1]
	s_and_saveexec_b64 s[46:47], s[48:49]
	s_cbranch_execz .LBB245_201
; %bb.198:                              ;   in Loop: Header=BB245_10 Depth=1
	v_and_b32_sdwa v1, v0, s55 dst_sel:DWORD dst_unused:UNUSED_PAD src0_sel:BYTE_1 src1_sel:DWORD
	s_mov_b32 s42, s14
	v_cmp_ne_u32_e32 vcc, s55, v1
	v_pk_mov_b32 v[114:115], s[42:43], s[42:43] op_sel:[0,1]
	s_and_saveexec_b64 s[48:49], vcc
	s_cbranch_execz .LBB245_200
; %bb.199:                              ;   in Loop: Header=BB245_10 Depth=1
	v_mov_b32_e32 v2, 7
	v_and_b32_sdwa v44, v0, v2 dst_sel:DWORD dst_unused:UNUSED_PAD src0_sel:BYTE_1 src1_sel:DWORD
	v_lshrrev_b32_e32 v4, 3, v1
	v_cmp_gt_u32_e32 vcc, 8, v1
	v_ffbh_u32_e32 v1, v44
	v_min_u32_e32 v1, 32, v1
	v_subrev_u32_e32 v2, 28, v1
	v_lshlrev_b64 v[2:3], v2, v[44:45]
	v_sub_u32_e32 v1, 29, v1
	v_and_b32_e32 v2, 7, v2
	v_cndmask_b32_e32 v1, v4, v1, vcc
	v_bfrev_b32_e32 v3, 60
	v_cndmask_b32_e32 v2, v44, v2, vcc
	v_lshlrev_b32_e32 v0, 16, v0
	v_lshl_add_u32 v1, v1, 23, v3
	v_and_or_b32 v0, v0, s15, v1
	v_lshlrev_b32_e32 v1, 20, v2
	v_or_b32_e32 v115, v0, v1
	v_mov_b32_e32 v114, v45
.LBB245_200:                            ;   in Loop: Header=BB245_10 Depth=1
	s_or_b64 exec, exec, s[48:49]
.LBB245_201:                            ;   in Loop: Header=BB245_10 Depth=1
	s_or_b64 exec, exec, s[46:47]
.LBB245_202:                            ;   in Loop: Header=BB245_10 Depth=1
	s_or_b64 exec, exec, s[44:45]
	global_load_ushort v1, v[64:65], off offset:2048
	v_pk_mov_b32 v[118:119], 0, 0
	v_pk_mov_b32 v[120:121], v[118:119], v[118:119] op_sel:[0,1]
	s_waitcnt vmcnt(0)
	v_and_b32_e32 v0, 0xffff, v1
	v_cmp_ne_u16_sdwa s[46:47], v1, v45 src0_sel:BYTE_0 src1_sel:DWORD
	s_and_saveexec_b64 s[44:45], s[46:47]
	s_cbranch_execz .LBB245_208
; %bb.203:                              ;   in Loop: Header=BB245_10 Depth=1
	v_bfrev_b32_e32 v120, 1
	v_cmp_ne_u16_sdwa s[48:49], v0, s54 src0_sel:BYTE_0 src1_sel:DWORD
	v_mov_b32_e32 v121, 0
	s_and_saveexec_b64 s[46:47], s[48:49]
	s_cbranch_execz .LBB245_207
; %bb.204:                              ;   in Loop: Header=BB245_10 Depth=1
	v_and_b32_e32 v1, 0x7f, v0
	v_mov_b32_e32 v120, 0x7f800001
	v_cmp_ne_u32_e32 vcc, s55, v1
	v_mov_b32_e32 v121, 0
	s_and_saveexec_b64 s[48:49], vcc
	s_cbranch_execz .LBB245_206
; %bb.205:                              ;   in Loop: Header=BB245_10 Depth=1
	v_and_b32_e32 v4, 7, v0
	v_lshrrev_b32_e32 v5, 3, v1
	v_cmp_gt_u32_e32 vcc, 8, v1
	v_ffbh_u32_e32 v1, v4
	v_min_u32_e32 v1, 32, v1
	v_subrev_u32_e32 v2, 28, v1
	v_lshlrev_b64 v[2:3], v2, v[0:1]
	v_sub_u32_e32 v1, 29, v1
	v_and_b32_e32 v2, 7, v2
	v_cndmask_b32_e32 v1, v5, v1, vcc
	v_cndmask_b32_e32 v2, v4, v2, vcc
	v_bfrev_b32_e32 v4, 60
	v_lshlrev_b32_e32 v2, 20, v2
	v_and_b32_sdwa v3, sext(v0), s15 dst_sel:DWORD dst_unused:UNUSED_PAD src0_sel:BYTE_0 src1_sel:DWORD
	v_lshl_add_u32 v1, v1, 23, v4
	v_or3_b32 v44, v3, v1, v2
	v_pk_mov_b32 v[120:121], v[44:45], v[44:45] op_sel:[0,1]
.LBB245_206:                            ;   in Loop: Header=BB245_10 Depth=1
	s_or_b64 exec, exec, s[48:49]
.LBB245_207:                            ;   in Loop: Header=BB245_10 Depth=1
	s_or_b64 exec, exec, s[46:47]
.LBB245_208:                            ;   in Loop: Header=BB245_10 Depth=1
	s_or_b64 exec, exec, s[44:45]
	v_cmp_ne_u16_sdwa s[46:47], v0, v45 src0_sel:BYTE_1 src1_sel:DWORD
	s_and_saveexec_b64 s[44:45], s[46:47]
	s_cbranch_execz .LBB245_214
; %bb.209:                              ;   in Loop: Header=BB245_10 Depth=1
	v_cmp_ne_u16_sdwa s[48:49], v0, s54 src0_sel:BYTE_1 src1_sel:DWORD
	v_pk_mov_b32 v[118:119], s[14:15], s[14:15] op_sel:[0,1]
	s_and_saveexec_b64 s[46:47], s[48:49]
	s_cbranch_execz .LBB245_213
; %bb.210:                              ;   in Loop: Header=BB245_10 Depth=1
	v_and_b32_sdwa v1, v0, s55 dst_sel:DWORD dst_unused:UNUSED_PAD src0_sel:BYTE_1 src1_sel:DWORD
	s_mov_b32 s42, s14
	v_cmp_ne_u32_e32 vcc, s55, v1
	v_pk_mov_b32 v[118:119], s[42:43], s[42:43] op_sel:[0,1]
	s_and_saveexec_b64 s[48:49], vcc
	s_cbranch_execz .LBB245_212
; %bb.211:                              ;   in Loop: Header=BB245_10 Depth=1
	v_mov_b32_e32 v2, 7
	v_and_b32_sdwa v44, v0, v2 dst_sel:DWORD dst_unused:UNUSED_PAD src0_sel:BYTE_1 src1_sel:DWORD
	v_lshrrev_b32_e32 v4, 3, v1
	v_cmp_gt_u32_e32 vcc, 8, v1
	v_ffbh_u32_e32 v1, v44
	v_min_u32_e32 v1, 32, v1
	v_subrev_u32_e32 v2, 28, v1
	v_lshlrev_b64 v[2:3], v2, v[44:45]
	v_sub_u32_e32 v1, 29, v1
	v_and_b32_e32 v2, 7, v2
	v_cndmask_b32_e32 v1, v4, v1, vcc
	v_bfrev_b32_e32 v3, 60
	v_cndmask_b32_e32 v2, v44, v2, vcc
	v_lshlrev_b32_e32 v0, 16, v0
	v_lshl_add_u32 v1, v1, 23, v3
	v_and_or_b32 v0, v0, s15, v1
	v_lshlrev_b32_e32 v1, 20, v2
	v_or_b32_e32 v119, v0, v1
	v_mov_b32_e32 v118, v45
.LBB245_212:                            ;   in Loop: Header=BB245_10 Depth=1
	s_or_b64 exec, exec, s[48:49]
.LBB245_213:                            ;   in Loop: Header=BB245_10 Depth=1
	s_or_b64 exec, exec, s[46:47]
.LBB245_214:                            ;   in Loop: Header=BB245_10 Depth=1
	s_or_b64 exec, exec, s[44:45]
	global_load_ushort v1, v[64:65], off offset:2052
	v_pk_mov_b32 v[122:123], 0, 0
	v_pk_mov_b32 v[124:125], v[122:123], v[122:123] op_sel:[0,1]
	s_waitcnt vmcnt(0)
	v_and_b32_e32 v0, 0xffff, v1
	v_cmp_ne_u16_sdwa s[46:47], v1, v45 src0_sel:BYTE_0 src1_sel:DWORD
	s_and_saveexec_b64 s[44:45], s[46:47]
	s_cbranch_execz .LBB245_220
; %bb.215:                              ;   in Loop: Header=BB245_10 Depth=1
	v_bfrev_b32_e32 v124, 1
	v_cmp_ne_u16_sdwa s[48:49], v0, s54 src0_sel:BYTE_0 src1_sel:DWORD
	v_mov_b32_e32 v125, 0
	s_and_saveexec_b64 s[46:47], s[48:49]
	s_cbranch_execz .LBB245_219
; %bb.216:                              ;   in Loop: Header=BB245_10 Depth=1
	v_and_b32_e32 v1, 0x7f, v0
	v_mov_b32_e32 v124, 0x7f800001
	v_cmp_ne_u32_e32 vcc, s55, v1
	v_mov_b32_e32 v125, 0
	s_and_saveexec_b64 s[48:49], vcc
	s_cbranch_execz .LBB245_218
; %bb.217:                              ;   in Loop: Header=BB245_10 Depth=1
	v_and_b32_e32 v4, 7, v0
	v_lshrrev_b32_e32 v5, 3, v1
	v_cmp_gt_u32_e32 vcc, 8, v1
	v_ffbh_u32_e32 v1, v4
	v_min_u32_e32 v1, 32, v1
	v_subrev_u32_e32 v2, 28, v1
	v_lshlrev_b64 v[2:3], v2, v[0:1]
	v_sub_u32_e32 v1, 29, v1
	v_and_b32_e32 v2, 7, v2
	v_cndmask_b32_e32 v1, v5, v1, vcc
	v_cndmask_b32_e32 v2, v4, v2, vcc
	v_bfrev_b32_e32 v4, 60
	v_lshlrev_b32_e32 v2, 20, v2
	v_and_b32_sdwa v3, sext(v0), s15 dst_sel:DWORD dst_unused:UNUSED_PAD src0_sel:BYTE_0 src1_sel:DWORD
	v_lshl_add_u32 v1, v1, 23, v4
	v_or3_b32 v44, v3, v1, v2
	v_pk_mov_b32 v[124:125], v[44:45], v[44:45] op_sel:[0,1]
.LBB245_218:                            ;   in Loop: Header=BB245_10 Depth=1
	s_or_b64 exec, exec, s[48:49]
.LBB245_219:                            ;   in Loop: Header=BB245_10 Depth=1
	s_or_b64 exec, exec, s[46:47]
.LBB245_220:                            ;   in Loop: Header=BB245_10 Depth=1
	s_or_b64 exec, exec, s[44:45]
	v_cmp_ne_u16_sdwa s[46:47], v0, v45 src0_sel:BYTE_1 src1_sel:DWORD
	s_and_saveexec_b64 s[44:45], s[46:47]
	s_cbranch_execz .LBB245_226
; %bb.221:                              ;   in Loop: Header=BB245_10 Depth=1
	v_cmp_ne_u16_sdwa s[48:49], v0, s54 src0_sel:BYTE_1 src1_sel:DWORD
	v_pk_mov_b32 v[122:123], s[14:15], s[14:15] op_sel:[0,1]
	s_and_saveexec_b64 s[46:47], s[48:49]
	s_cbranch_execz .LBB245_225
; %bb.222:                              ;   in Loop: Header=BB245_10 Depth=1
	v_and_b32_sdwa v1, v0, s55 dst_sel:DWORD dst_unused:UNUSED_PAD src0_sel:BYTE_1 src1_sel:DWORD
	s_mov_b32 s42, s14
	v_cmp_ne_u32_e32 vcc, s55, v1
	v_pk_mov_b32 v[122:123], s[42:43], s[42:43] op_sel:[0,1]
	s_and_saveexec_b64 s[48:49], vcc
	s_cbranch_execz .LBB245_224
; %bb.223:                              ;   in Loop: Header=BB245_10 Depth=1
	v_mov_b32_e32 v2, 7
	v_and_b32_sdwa v44, v0, v2 dst_sel:DWORD dst_unused:UNUSED_PAD src0_sel:BYTE_1 src1_sel:DWORD
	v_lshrrev_b32_e32 v4, 3, v1
	v_cmp_gt_u32_e32 vcc, 8, v1
	v_ffbh_u32_e32 v1, v44
	v_min_u32_e32 v1, 32, v1
	v_subrev_u32_e32 v2, 28, v1
	v_lshlrev_b64 v[2:3], v2, v[44:45]
	v_sub_u32_e32 v1, 29, v1
	v_and_b32_e32 v2, 7, v2
	v_cndmask_b32_e32 v1, v4, v1, vcc
	v_bfrev_b32_e32 v3, 60
	v_cndmask_b32_e32 v2, v44, v2, vcc
	v_lshlrev_b32_e32 v0, 16, v0
	v_lshl_add_u32 v1, v1, 23, v3
	v_and_or_b32 v0, v0, s15, v1
	v_lshlrev_b32_e32 v1, 20, v2
	v_or_b32_e32 v123, v0, v1
	v_mov_b32_e32 v122, v45
.LBB245_224:                            ;   in Loop: Header=BB245_10 Depth=1
	s_or_b64 exec, exec, s[48:49]
.LBB245_225:                            ;   in Loop: Header=BB245_10 Depth=1
	s_or_b64 exec, exec, s[46:47]
.LBB245_226:                            ;   in Loop: Header=BB245_10 Depth=1
	s_or_b64 exec, exec, s[44:45]
	v_add_co_u32_e32 v0, vcc, 0x800, v64
	v_addc_co_u32_e32 v1, vcc, 0, v65, vcc
	global_load_ushort v2, v[0:1], off offset:8
	v_pk_mov_b32 v[64:65], 0, 0
	v_pk_mov_b32 v[126:127], v[64:65], v[64:65] op_sel:[0,1]
	s_waitcnt vmcnt(0)
	v_and_b32_e32 v46, 0xffff, v2
	v_cmp_ne_u16_sdwa s[46:47], v2, v45 src0_sel:BYTE_0 src1_sel:DWORD
	s_and_saveexec_b64 s[44:45], s[46:47]
	s_cbranch_execz .LBB245_232
; %bb.227:                              ;   in Loop: Header=BB245_10 Depth=1
	v_bfrev_b32_e32 v126, 1
	v_cmp_ne_u16_sdwa s[48:49], v46, s54 src0_sel:BYTE_0 src1_sel:DWORD
	v_mov_b32_e32 v127, 0
	s_and_saveexec_b64 s[46:47], s[48:49]
	s_cbranch_execz .LBB245_231
; %bb.228:                              ;   in Loop: Header=BB245_10 Depth=1
	v_and_b32_e32 v2, 0x7f, v46
	v_mov_b32_e32 v126, 0x7f800001
	v_cmp_ne_u32_e32 vcc, s55, v2
	v_mov_b32_e32 v127, 0
	s_and_saveexec_b64 s[48:49], vcc
	s_cbranch_execz .LBB245_230
; %bb.229:                              ;   in Loop: Header=BB245_10 Depth=1
	v_and_b32_e32 v4, 7, v46
	v_lshrrev_b32_e32 v5, 3, v2
	v_cmp_gt_u32_e32 vcc, 8, v2
	v_ffbh_u32_e32 v2, v4
	v_min_u32_e32 v44, 32, v2
	v_subrev_u32_e32 v2, 28, v44
	v_lshlrev_b64 v[2:3], v2, v[46:47]
	v_sub_u32_e32 v3, 29, v44
	v_and_b32_e32 v2, 7, v2
	v_cndmask_b32_e32 v3, v5, v3, vcc
	v_cndmask_b32_e32 v2, v4, v2, vcc
	v_bfrev_b32_e32 v5, 60
	v_lshlrev_b32_e32 v2, 20, v2
	v_and_b32_sdwa v4, sext(v46), s15 dst_sel:DWORD dst_unused:UNUSED_PAD src0_sel:BYTE_0 src1_sel:DWORD
	v_lshl_add_u32 v3, v3, 23, v5
	v_or3_b32 v44, v4, v3, v2
	v_pk_mov_b32 v[126:127], v[44:45], v[44:45] op_sel:[0,1]
.LBB245_230:                            ;   in Loop: Header=BB245_10 Depth=1
	s_or_b64 exec, exec, s[48:49]
.LBB245_231:                            ;   in Loop: Header=BB245_10 Depth=1
	s_or_b64 exec, exec, s[46:47]
.LBB245_232:                            ;   in Loop: Header=BB245_10 Depth=1
	s_or_b64 exec, exec, s[44:45]
	v_cmp_ne_u16_sdwa s[46:47], v46, v45 src0_sel:BYTE_1 src1_sel:DWORD
	s_and_saveexec_b64 s[44:45], s[46:47]
	s_cbranch_execz .LBB245_238
; %bb.233:                              ;   in Loop: Header=BB245_10 Depth=1
	v_cmp_ne_u16_sdwa s[48:49], v46, s54 src0_sel:BYTE_1 src1_sel:DWORD
	v_pk_mov_b32 v[64:65], s[14:15], s[14:15] op_sel:[0,1]
	s_and_saveexec_b64 s[46:47], s[48:49]
	s_cbranch_execz .LBB245_237
; %bb.234:                              ;   in Loop: Header=BB245_10 Depth=1
	v_and_b32_sdwa v48, v46, s55 dst_sel:DWORD dst_unused:UNUSED_PAD src0_sel:BYTE_1 src1_sel:DWORD
	s_mov_b32 s42, s14
	v_cmp_ne_u32_e32 vcc, s55, v48
	v_pk_mov_b32 v[64:65], s[42:43], s[42:43] op_sel:[0,1]
	s_and_saveexec_b64 s[48:49], vcc
	s_cbranch_execz .LBB245_236
; %bb.235:                              ;   in Loop: Header=BB245_10 Depth=1
	v_mov_b32_e32 v2, 7
	v_and_b32_sdwa v44, v46, v2 dst_sel:DWORD dst_unused:UNUSED_PAD src0_sel:BYTE_1 src1_sel:DWORD
	v_ffbh_u32_e32 v2, v44
	v_min_u32_e32 v5, 32, v2
	v_subrev_u32_e32 v2, 28, v5
	v_lshlrev_b64 v[2:3], v2, v[44:45]
	v_lshrrev_b32_e32 v4, 3, v48
	v_cmp_gt_u32_e32 vcc, 8, v48
	v_sub_u32_e32 v3, 29, v5
	v_and_b32_e32 v2, 7, v2
	v_cndmask_b32_e32 v3, v4, v3, vcc
	v_bfrev_b32_e32 v5, 60
	v_cndmask_b32_e32 v2, v44, v2, vcc
	v_lshlrev_b32_e32 v4, 16, v46
	v_lshl_add_u32 v3, v3, 23, v5
	v_and_or_b32 v3, v4, s15, v3
	v_lshlrev_b32_e32 v2, 20, v2
	v_or_b32_e32 v65, v3, v2
	v_mov_b32_e32 v64, v45
.LBB245_236:                            ;   in Loop: Header=BB245_10 Depth=1
	s_or_b64 exec, exec, s[48:49]
.LBB245_237:                            ;   in Loop: Header=BB245_10 Depth=1
	s_or_b64 exec, exec, s[46:47]
.LBB245_238:                            ;   in Loop: Header=BB245_10 Depth=1
	s_or_b64 exec, exec, s[44:45]
	global_load_ushort v0, v[0:1], off offset:12
	v_pk_mov_b32 v[48:49], 0, 0
	s_waitcnt vmcnt(0)
	v_and_b32_e32 v46, 0xffff, v0
	v_cmp_ne_u16_sdwa s[46:47], v0, v45 src0_sel:BYTE_0 src1_sel:DWORD
	v_pk_mov_b32 v[0:1], v[48:49], v[48:49] op_sel:[0,1]
	s_and_saveexec_b64 s[44:45], s[46:47]
	s_cbranch_execz .LBB245_244
; %bb.239:                              ;   in Loop: Header=BB245_10 Depth=1
	v_bfrev_b32_e32 v0, 1
	v_cmp_ne_u16_sdwa s[48:49], v46, s54 src0_sel:BYTE_0 src1_sel:DWORD
	v_mov_b32_e32 v1, 0
	s_and_saveexec_b64 s[46:47], s[48:49]
	s_cbranch_execz .LBB245_243
; %bb.240:                              ;   in Loop: Header=BB245_10 Depth=1
	v_and_b32_e32 v2, 0x7f, v46
	v_mov_b32_e32 v0, 0x7f800001
	v_cmp_ne_u32_e32 vcc, s55, v2
	v_mov_b32_e32 v1, 0
	s_and_saveexec_b64 s[48:49], vcc
	s_cbranch_execz .LBB245_242
; %bb.241:                              ;   in Loop: Header=BB245_10 Depth=1
	v_and_b32_e32 v3, 7, v46
	v_ffbh_u32_e32 v0, v3
	v_lshrrev_b32_e32 v4, 3, v2
	v_cmp_gt_u32_e32 vcc, 8, v2
	v_min_u32_e32 v2, 32, v0
	v_subrev_u32_e32 v0, 28, v2
	v_lshlrev_b64 v[0:1], v0, v[46:47]
	v_sub_u32_e32 v1, 29, v2
	v_and_b32_e32 v0, 7, v0
	v_cndmask_b32_e32 v1, v4, v1, vcc
	v_cndmask_b32_e32 v0, v3, v0, vcc
	v_bfrev_b32_e32 v3, 60
	v_lshlrev_b32_e32 v0, 20, v0
	v_and_b32_sdwa v2, sext(v46), s15 dst_sel:DWORD dst_unused:UNUSED_PAD src0_sel:BYTE_0 src1_sel:DWORD
	v_lshl_add_u32 v1, v1, 23, v3
	v_or3_b32 v44, v2, v1, v0
	v_pk_mov_b32 v[0:1], v[44:45], v[44:45] op_sel:[0,1]
.LBB245_242:                            ;   in Loop: Header=BB245_10 Depth=1
	s_or_b64 exec, exec, s[48:49]
.LBB245_243:                            ;   in Loop: Header=BB245_10 Depth=1
	s_or_b64 exec, exec, s[46:47]
.LBB245_244:                            ;   in Loop: Header=BB245_10 Depth=1
	s_or_b64 exec, exec, s[44:45]
	v_cmp_ne_u16_sdwa s[46:47], v46, v45 src0_sel:BYTE_1 src1_sel:DWORD
	s_and_saveexec_b64 s[44:45], s[46:47]
	s_cbranch_execz .LBB245_250
; %bb.245:                              ;   in Loop: Header=BB245_10 Depth=1
	v_cmp_ne_u16_sdwa s[48:49], v46, s54 src0_sel:BYTE_1 src1_sel:DWORD
	v_pk_mov_b32 v[48:49], s[14:15], s[14:15] op_sel:[0,1]
	s_and_saveexec_b64 s[46:47], s[48:49]
	s_cbranch_execz .LBB245_249
; %bb.246:                              ;   in Loop: Header=BB245_10 Depth=1
	v_and_b32_sdwa v2, v46, s55 dst_sel:DWORD dst_unused:UNUSED_PAD src0_sel:BYTE_1 src1_sel:DWORD
	s_mov_b32 s42, s14
	v_cmp_ne_u32_e32 vcc, s55, v2
	v_pk_mov_b32 v[48:49], s[42:43], s[42:43] op_sel:[0,1]
	s_and_saveexec_b64 s[48:49], vcc
	s_cbranch_execz .LBB245_248
; %bb.247:                              ;   in Loop: Header=BB245_10 Depth=1
	v_mov_b32_e32 v3, 7
	v_and_b32_sdwa v44, v46, v3 dst_sel:DWORD dst_unused:UNUSED_PAD src0_sel:BYTE_1 src1_sel:DWORD
	v_lshrrev_b32_e32 v4, 3, v2
	v_cmp_gt_u32_e32 vcc, 8, v2
	v_ffbh_u32_e32 v2, v44
	v_min_u32_e32 v5, 32, v2
	v_subrev_u32_e32 v2, 28, v5
	v_lshlrev_b64 v[2:3], v2, v[44:45]
	v_sub_u32_e32 v3, 29, v5
	v_and_b32_e32 v2, 7, v2
	v_cndmask_b32_e32 v3, v4, v3, vcc
	v_bfrev_b32_e32 v5, 60
	v_cndmask_b32_e32 v2, v44, v2, vcc
	v_lshlrev_b32_e32 v4, 16, v46
	v_lshl_add_u32 v3, v3, 23, v5
	v_and_or_b32 v3, v4, s15, v3
	v_lshlrev_b32_e32 v2, 20, v2
	v_or_b32_e32 v49, v3, v2
	v_mov_b32_e32 v48, v45
.LBB245_248:                            ;   in Loop: Header=BB245_10 Depth=1
	s_or_b64 exec, exec, s[48:49]
.LBB245_249:                            ;   in Loop: Header=BB245_10 Depth=1
	s_or_b64 exec, exec, s[46:47]
.LBB245_250:                            ;   in Loop: Header=BB245_10 Depth=1
	s_or_b64 exec, exec, s[44:45]
	v_or_b32_e32 v5, v103, v105
	v_or_b32_e32 v4, v102, v104
	;; [unrolled: 1-line block ×4, first 2 shown]
	buffer_load_dword v100, off, s[56:59], 0 offset:28 ; 4-byte Folded Reload
	buffer_load_dword v101, off, s[56:59], 0 offset:32 ; 4-byte Folded Reload
	;; [unrolled: 1-line block ×4, first 2 shown]
	v_or_b32_e32 v57, v57, v59
	v_or_b32_e32 v56, v56, v58
	v_pk_mul_f32 v[56:57], s[16:17], v[56:57]
	v_or_b32_e32 v53, v53, v55
	v_or_b32_e32 v52, v52, v54
	;; [unrolled: 1-line block ×4, first 2 shown]
	v_pk_mul_f32 v[52:53], s[16:17], v[52:53]
	v_or_b32_e32 v67, v67, v69
	v_or_b32_e32 v66, v66, v68
	v_pk_mul_f32 v[60:61], s[16:17], v[60:61]
	v_or_b32_e32 v71, v71, v73
	v_or_b32_e32 v70, v70, v72
	;; [unrolled: 3-line block ×6, first 2 shown]
	v_or_b32_e32 v87, v87, v89
	v_or_b32_e32 v86, v86, v88
	v_pk_mul_f32 v[82:83], s[16:17], v[82:83]
	v_pk_mul_f32 v[64:65], s[16:17], v[2:3]
	v_or_b32_e32 v3, v123, v125
	v_or_b32_e32 v2, v122, v124
	v_or_b32_e32 v91, v91, v93
	v_or_b32_e32 v90, v90, v92
	v_pk_mul_f32 v[86:87], s[16:17], v[86:87]
	v_pk_mul_f32 v[122:123], s[16:17], v[2:3]
	v_or_b32_e32 v3, v119, v121
	v_or_b32_e32 v2, v118, v120
	;; [unrolled: 6-line block ×3, first 2 shown]
	v_pk_mul_f32 v[94:95], s[16:17], v[94:95]
	v_pk_mul_f32 v[114:115], s[16:17], v[2:3]
	v_or_b32_e32 v3, v111, v113
	v_or_b32_e32 v2, v110, v112
	v_pk_mul_f32 v[98:99], s[16:17], v[98:99]
	v_pk_mul_f32 v[110:111], s[16:17], v[2:3]
	v_or_b32_e32 v3, v107, v109
	v_or_b32_e32 v2, v106, v108
	;; [unrolled: 4-line block ×3, first 2 shown]
	v_pk_mul_f32 v[0:1], s[16:17], v[0:1]
	s_waitcnt vmcnt(0)
	v_mul_f32_e32 v46, v103, v57
	v_fmac_f32_e32 v46, v101, v53
	v_fmac_f32_e32 v46, v7, v61
	;; [unrolled: 1-line block ×19, first 2 shown]
	buffer_load_dword v1, off, s[56:59], 0 offset:44 ; 4-byte Folded Reload
	v_mul_f32_e32 v44, v102, v56
	v_fmac_f32_e32 v44, v100, v52
	v_fmac_f32_e32 v44, v6, v60
	v_fmac_f32_e32 v44, v8, v66
	v_fmac_f32_e32 v44, v10, v70
	v_fmac_f32_e32 v44, v12, v74
	v_fmac_f32_e32 v44, v14, v78
	v_fmac_f32_e32 v44, v16, v82
	v_fmac_f32_e32 v44, v18, v86
	v_fmac_f32_e32 v44, v20, v90
	v_fmac_f32_e32 v44, v22, v94
	v_fmac_f32_e32 v44, v24, v98
	v_fmac_f32_e32 v44, v26, v4
	v_fmac_f32_e32 v44, v28, v2
	v_fmac_f32_e32 v44, v30, v110
	v_fmac_f32_e32 v44, v32, v114
	v_fmac_f32_e32 v44, v34, v118
	v_fmac_f32_e32 v44, v36, v122
	v_fmac_f32_e32 v44, v38, v64
	v_fmac_f32_e32 v44, v40, v0
	v_add_f32_e32 v0, v44, v46
	s_waitcnt vmcnt(0)
	ds_bpermute_b32 v1, v1, v0
	s_and_saveexec_b64 s[44:45], s[2:3]
	s_cbranch_execz .LBB245_9
; %bb.251:                              ;   in Loop: Header=BB245_10 Depth=1
	buffer_load_dword v3, off, s[56:59], 0 offset:8 ; 4-byte Folded Reload
	v_add_u32_e32 v2, s53, v47
	v_cvt_f32_i32_e32 v2, v2
	s_waitcnt lgkmcnt(0)
	v_add_f32_e32 v0, v0, v1
	v_cmp_gt_i32_e32 vcc, s29, v47
	v_mul_f32_e32 v2, s51, v2
	v_cndmask_b32_e64 v2, 0, v2, s[4:5]
	v_fmac_f32_e32 v2, s11, v0
	v_cndmask_b32_e32 v0, 0, v2, vcc
	ds_write_b32 v42, v0
	s_waitcnt vmcnt(0)
	v_max_f32_e32 v1, v3, v3
	v_max_f32_e32 v0, v1, v2
	v_cndmask_b32_e32 v3, v3, v0, vcc
	buffer_store_dword v3, off, s[56:59], 0 offset:8 ; 4-byte Folded Spill
	s_branch .LBB245_9
.LBB245_252:
	s_or_b64 exec, exec, s[40:41]
	buffer_load_dword v0, off, s[56:59], 0 offset:48 ; 4-byte Folded Reload
	buffer_load_dword v18, off, s[56:59], 0 offset:52 ; 4-byte Folded Reload
	;; [unrolled: 1-line block ×6, first 2 shown]
.LBB245_253:
	s_or_b64 exec, exec, s[38:39]
	s_waitcnt vmcnt(2) lgkmcnt(0)
	v_xor_b32_e32 v1, 32, v9
	s_waitcnt vmcnt(1)
	v_cmp_lt_i32_e32 vcc, v1, v10
	v_cndmask_b32_e32 v1, v9, v1, vcc
	v_lshlrev_b32_e32 v2, 2, v1
	s_waitcnt vmcnt(0)
	ds_bpermute_b32 v1, v2, v4
	v_max_f32_e32 v3, v4, v4
	v_xor_b32_e32 v4, 16, v9
	v_cmp_lt_i32_e32 vcc, v4, v10
	v_xor_b32_e32 v5, 8, v9
	s_waitcnt lgkmcnt(0)
	v_max_f32_e32 v1, v1, v1
	v_max_f32_e32 v1, v3, v1
	v_cndmask_b32_e32 v3, v9, v4, vcc
	v_lshlrev_b32_e32 v3, 2, v3
	ds_bpermute_b32 v4, v3, v1
	v_cmp_lt_i32_e32 vcc, v5, v10
	v_xor_b32_e32 v6, 4, v9
	s_waitcnt lgkmcnt(0)
	v_max_f32_e32 v4, v4, v4
	v_max_f32_e32 v1, v1, v4
	v_cndmask_b32_e32 v4, v9, v5, vcc
	v_lshlrev_b32_e32 v5, 2, v4
	ds_bpermute_b32 v4, v5, v1
	v_cmp_lt_i32_e32 vcc, v6, v10
	s_waitcnt lgkmcnt(0)
	v_max_f32_e32 v4, v4, v4
	v_max_f32_e32 v1, v1, v4
	v_cndmask_b32_e32 v4, v9, v6, vcc
	v_lshlrev_b32_e32 v70, 2, v4
	ds_bpermute_b32 v4, v70, v1
	v_xor_b32_e32 v6, 2, v9
	v_cmp_lt_i32_e32 vcc, v6, v10
	s_waitcnt lgkmcnt(0)
	v_max_f32_e32 v4, v4, v4
	v_max_f32_e32 v4, v1, v4
	v_cndmask_b32_e32 v1, v9, v6, vcc
	v_lshlrev_b32_e32 v71, 2, v1
	ds_bpermute_b32 v7, v71, v4
	v_and_b32_e32 v1, 63, v0
	v_cmp_eq_u32_e32 vcc, 0, v1
	v_lshlrev_b32_e32 v6, 2, v43
	s_and_saveexec_b64 s[2:3], vcc
	s_cbranch_execz .LBB245_255
; %bb.254:
	s_waitcnt lgkmcnt(0)
	v_max_f32_e32 v7, v7, v7
	v_max_f32_e32 v4, v4, v4
	v_max_f32_e32 v4, v4, v7
	ds_write_b32 v6, v4 offset:320
.LBB245_255:
	s_or_b64 exec, exec, s[2:3]
	v_cmp_gt_u32_e64 s[2:3], 2, v1
	v_mov_b32_e32 v4, 0xff7fffff
	s_waitcnt lgkmcnt(0)
	v_lshlrev_b32_e32 v7, 2, v1
	s_barrier
	s_and_saveexec_b64 s[4:5], s[2:3]
	s_cbranch_execz .LBB245_257
; %bb.256:
	ds_read_b32 v4, v7 offset:320
.LBB245_257:
	s_or_b64 exec, exec, s[4:5]
	v_xor_b32_e32 v8, 1, v9
	v_cmp_lt_i32_e64 s[4:5], v8, v10
	v_cndmask_b32_e64 v8, v9, v8, s[4:5]
	v_lshlrev_b32_e32 v72, 2, v8
	s_waitcnt lgkmcnt(0)
	ds_bpermute_b32 v8, v72, v4
	v_max_f32_e32 v4, v4, v4
	s_sub_i32 s4, s33, s10
	s_lshl_b32 s4, s4, 5
	s_add_i32 s4, s4, s50
	s_waitcnt lgkmcnt(0)
	v_max_f32_e32 v8, v8, v8
	v_max_f32_e32 v4, v4, v8
	v_lshlrev_b32_e32 v8, 2, v9
	v_and_b32_e32 v8, 0xffffff00, v8
	ds_bpermute_b32 v4, v8, v4
	s_min_i32 s39, s4, s29
	s_sub_i32 s38, s39, s50
	v_cmp_gt_i32_e64 s[4:5], s38, v0
	v_mov_b32_e32 v9, 0
	s_and_saveexec_b64 s[14:15], s[4:5]
	s_cbranch_execz .LBB245_261
; %bb.258:
	v_mov_b32_e32 v9, 0x150
	v_lshl_add_u32 v10, v0, 2, v9
	s_mov_b64 s[16:17], 0
	v_mov_b32_e32 v9, 0
	v_mov_b32_e32 v11, v0
.LBB245_259:                            ; =>This Inner Loop Header: Depth=1
	ds_read_b32 v12, v10
	v_add_u32_e32 v11, 0x80, v11
	v_cmp_le_i32_e64 s[10:11], s38, v11
	s_or_b64 s[16:17], s[10:11], s[16:17]
	s_waitcnt lgkmcnt(0)
	v_sub_f32_e32 v12, v12, v4
	v_mul_f32_e32 v12, 0x3fb8aa3b, v12
	v_exp_f32_e32 v12, v12
	ds_write_b32 v10, v12
	v_add_f32_e32 v9, v9, v12
	v_add_u32_e32 v10, 0x200, v10
	s_andn2_b64 exec, exec, s[16:17]
	s_cbranch_execnz .LBB245_259
; %bb.260:
	s_or_b64 exec, exec, s[16:17]
.LBB245_261:
	s_or_b64 exec, exec, s[14:15]
	ds_bpermute_b32 v2, v2, v9
	s_waitcnt lgkmcnt(0)
	v_add_f32_e32 v2, v9, v2
	ds_bpermute_b32 v3, v3, v2
	s_waitcnt lgkmcnt(0)
	v_add_f32_e32 v2, v2, v3
	;; [unrolled: 3-line block ×6, first 2 shown]
	s_and_saveexec_b64 s[10:11], vcc
	s_cbranch_execz .LBB245_263
; %bb.262:
	ds_write_b32 v6, v2 offset:328
.LBB245_263:
	s_or_b64 exec, exec, s[10:11]
	s_waitcnt lgkmcnt(0)
	s_barrier
	s_and_saveexec_b64 s[10:11], s[2:3]
	s_cbranch_execz .LBB245_265
; %bb.264:
	ds_read_b32 v2, v7 offset:328
.LBB245_265:
	s_or_b64 exec, exec, s[10:11]
	s_waitcnt lgkmcnt(0)
	ds_bpermute_b32 v3, v72, v2
	s_waitcnt lgkmcnt(0)
	v_add_f32_e32 v2, v2, v3
	ds_bpermute_b32 v5, v8, v2
	s_and_saveexec_b64 s[2:3], s[4:5]
	s_cbranch_execz .LBB245_278
; %bb.266:
	s_waitcnt lgkmcnt(0)
	v_add_f32_e32 v2, 0x358637bd, v5
	v_div_scale_f32 v3, s[4:5], v2, v2, 1.0
	v_rcp_f32_e32 v6, v3
	v_div_scale_f32 v7, vcc, 1.0, v2, 1.0
	s_movk_i32 s4, 0x7f
	v_fma_f32 v8, -v3, v6, 1.0
	v_fmac_f32_e32 v6, v8, v6
	v_mul_f32_e32 v8, v7, v6
	v_fma_f32 v9, -v3, v8, v7
	v_fmac_f32_e32 v8, v9, v6
	v_fma_f32 v3, -v3, v8, v7
	v_div_fmas_f32 v3, v3, v6, v8
	v_div_fixup_f32 v2, v3, v2, 1.0
	v_xad_u32 v3, v0, -1, s39
	v_subrev_u32_e32 v6, s50, v3
	v_cmp_lt_u32_e32 vcc, s4, v6
	s_mov_b64 s[10:11], -1
	v_mov_b32_e32 v3, v0
	s_and_saveexec_b64 s[4:5], vcc
	s_cbranch_execz .LBB245_275
; %bb.267:
	v_lshrrev_b32_e32 v6, 7, v6
	v_add_u32_e32 v8, -1, v6
	v_lshrrev_b32_e32 v7, 1, v8
	v_mov_b32_e32 v3, v2
	v_add_u32_e32 v7, 1, v7
	v_cmp_lt_u32_e32 vcc, 13, v8
	v_mov_b32_e32 v10, 0
	s_and_saveexec_b64 s[10:11], vcc
	s_cbranch_execz .LBB245_271
; %bb.268:
	v_mov_b32_e32 v9, 0x150
	v_and_b32_e32 v8, -8, v7
	v_lshl_add_u32 v9, v0, 2, v9
	s_mov_b32 s16, 0
	s_mov_b64 s[14:15], 0
.LBB245_269:                            ; =>This Inner Loop Header: Depth=1
	ds_read2st64_b32 v[10:11], v9 offset1:2
	ds_read2st64_b32 v[12:13], v9 offset0:4 offset1:6
	ds_read2st64_b32 v[14:15], v9 offset0:8 offset1:10
	;; [unrolled: 1-line block ×3, first 2 shown]
	v_add_u32_e32 v8, -8, v8
	s_waitcnt lgkmcnt(3)
	v_pk_mul_f32 v[10:11], v[2:3], v[10:11]
	s_waitcnt lgkmcnt(2)
	v_pk_mul_f32 v[12:13], v[2:3], v[12:13]
	ds_write2st64_b32 v9, v10, v11 offset1:2
	ds_write2st64_b32 v9, v12, v13 offset0:4 offset1:6
	ds_read2st64_b32 v[12:13], v9 offset0:16 offset1:18
	s_waitcnt lgkmcnt(4)
	v_pk_mul_f32 v[10:11], v[2:3], v[14:15]
	ds_write2st64_b32 v9, v10, v11 offset0:8 offset1:10
	s_waitcnt lgkmcnt(4)
	v_pk_mul_f32 v[10:11], v[2:3], v[16:17]
	ds_write2st64_b32 v9, v10, v11 offset0:12 offset1:14
	ds_read2st64_b32 v[10:11], v9 offset0:20 offset1:22
	s_waitcnt lgkmcnt(3)
	v_pk_mul_f32 v[12:13], v[2:3], v[12:13]
	ds_read2st64_b32 v[14:15], v9 offset0:24 offset1:26
	ds_write2st64_b32 v9, v12, v13 offset0:16 offset1:18
	ds_read2st64_b32 v[12:13], v9 offset0:28 offset1:30
	s_waitcnt lgkmcnt(3)
	v_pk_mul_f32 v[10:11], v[2:3], v[10:11]
	ds_write2st64_b32 v9, v10, v11 offset0:20 offset1:22
	s_waitcnt lgkmcnt(3)
	v_pk_mul_f32 v[10:11], v[2:3], v[14:15]
	ds_write2st64_b32 v9, v10, v11 offset0:24 offset1:26
	s_waitcnt lgkmcnt(2)
	v_pk_mul_f32 v[10:11], v[2:3], v[12:13]
	s_add_i32 s16, s16, 16
	v_cmp_eq_u32_e32 vcc, 0, v8
	ds_write2st64_b32 v9, v10, v11 offset0:28 offset1:30
	v_add_u32_e32 v9, 0x2000, v9
	s_or_b64 s[14:15], vcc, s[14:15]
	v_mov_b32_e32 v10, s16
	s_andn2_b64 exec, exec, s[14:15]
	s_cbranch_execnz .LBB245_269
; %bb.270:
	s_or_b64 exec, exec, s[14:15]
.LBB245_271:
	s_or_b64 exec, exec, s[10:11]
	v_and_b32_e32 v7, 7, v7
	v_cmp_ne_u32_e32 vcc, 0, v7
	s_and_saveexec_b64 s[10:11], vcc
	s_cbranch_execz .LBB245_274
; %bb.272:
	v_lshlrev_b32_e32 v8, 9, v10
	s_movk_i32 s14, 0x150
	v_add3_u32 v8, v8, v18, s14
	s_mov_b64 s[14:15], 0
.LBB245_273:                            ; =>This Inner Loop Header: Depth=1
	ds_read2st64_b32 v[10:11], v8 offset1:2
	v_add_u32_e32 v7, -1, v7
	v_cmp_eq_u32_e32 vcc, 0, v7
	s_or_b64 s[14:15], vcc, s[14:15]
	s_waitcnt lgkmcnt(0)
	v_pk_mul_f32 v[10:11], v[2:3], v[10:11]
	ds_write2st64_b32 v8, v10, v11 offset1:2
	v_add_u32_e32 v8, 0x400, v8
	s_andn2_b64 exec, exec, s[14:15]
	s_cbranch_execnz .LBB245_273
.LBB245_274:
	s_or_b64 exec, exec, s[10:11]
	v_add_u32_e32 v6, 1, v6
	v_and_b32_e32 v7, 0x3fffffe, v6
	v_cmp_ne_u32_e32 vcc, v6, v7
	v_lshl_add_u32 v3, v7, 7, v0
	s_orn2_b64 s[10:11], vcc, exec
.LBB245_275:
	s_or_b64 exec, exec, s[4:5]
	s_and_b64 exec, exec, s[10:11]
	s_cbranch_execz .LBB245_278
; %bb.276:
	v_mov_b32_e32 v6, 0x150
	v_lshl_add_u32 v6, v3, 2, v6
	s_mov_b64 s[4:5], 0
.LBB245_277:                            ; =>This Inner Loop Header: Depth=1
	ds_read_b32 v7, v6
	v_add_u32_e32 v3, 0x80, v3
	v_cmp_le_i32_e32 vcc, s38, v3
	s_or_b64 s[4:5], vcc, s[4:5]
	s_waitcnt lgkmcnt(0)
	v_mul_f32_e32 v7, v2, v7
	ds_write_b32 v6, v7
	v_add_u32_e32 v6, 0x200, v6
	s_andn2_b64 exec, exec, s[4:5]
	s_cbranch_execnz .LBB245_277
.LBB245_278:
	s_or_b64 exec, exec, s[2:3]
	s_mul_i32 s2, s25, s28
	v_cmp_eq_u32_e32 vcc, 0, v0
	s_mul_i32 s2, s2, s9
	s_waitcnt lgkmcnt(0)
	s_barrier
	s_and_saveexec_b64 s[4:5], vcc
	s_cbranch_execz .LBB245_280
; %bb.279:
	s_ashr_i32 s3, s2, 31
	s_lshl_b64 s[10:11], s[2:3], 2
	s_add_u32 s3, s22, s10
	s_mul_i32 s14, s25, s6
	s_addc_u32 s9, s23, s11
	s_ashr_i32 s15, s14, 31
	s_lshl_b64 s[14:15], s[14:15], 2
	s_add_u32 s3, s3, s14
	s_addc_u32 s6, s9, s15
	s_ashr_i32 s9, s8, 31
	s_lshl_b64 s[16:17], s[8:9], 2
	s_add_u32 s22, s3, s16
	s_addc_u32 s23, s6, s17
	s_add_u32 s3, s20, s10
	s_addc_u32 s6, s21, s11
	;; [unrolled: 2-line block ×3, first 2 shown]
	s_add_u32 s10, s3, s16
	v_mov_b32_e32 v2, 0
	s_addc_u32 s11, s6, s17
	global_store_dword v2, v4, s[22:23]
	global_store_dword v2, v5, s[10:11]
.LBB245_280:
	s_or_b64 exec, exec, s[4:5]
	s_mov_b32 s6, 0
	v_mov_b32_e32 v7, 0
	v_and_b32_e32 v73, 7, v0
	v_mov_b32_e32 v6, 0
	v_mov_b32_e32 v9, 0
	;; [unrolled: 1-line block ×9, first 2 shown]
	s_and_saveexec_b64 s[4:5], s[0:1]
	s_cbranch_execz .LBB245_544
; %bb.281:
	s_ashr_i32 s0, s12, 31
	s_add_u32 s1, s36, s12
	v_and_b32_e32 v3, 0xfc, v18
	v_and_b32_e32 v2, 28, v18
	v_add_co_u32_e32 v18, vcc, s1, v3
	v_lshl_add_u32 v3, v43, 5, s50
	v_add3_u32 v74, v3, v2, 3
	v_lshlrev_b32_e32 v2, 4, v73
	v_lshl_or_b32 v2, v43, 7, v2
	s_load_dword s10, s[18:19], 0x0
	v_add_u32_e32 v75, 0x150, v2
	buffer_load_dword v2, off, s[56:59], 0  ; 4-byte Folded Reload
	buffer_load_dword v3, off, s[56:59], 0 offset:4 ; 4-byte Folded Reload
	s_addc_u32 s0, s37, s0
	s_add_i32 s9, s7, -1
	v_mov_b32_e32 v4, s0
	s_lshl_b64 s[0:1], s[34:35], 2
	s_add_u32 s0, s30, s0
	v_addc_co_u32_e32 v19, vcc, 0, v4, vcc
	s_addc_u32 s1, s31, s1
	v_mov_b32_e32 v4, s1
	s_mov_b32 s3, s13
	s_waitcnt lgkmcnt(0)
	s_mov_b32 s11, s10
	v_mov_b32_e32 v17, 0
	s_mov_b64 s[12:13], 0
	s_movk_i32 s22, 0x80
	s_movk_i32 s23, 0x7f
	s_brev_b32 s7, 1
	s_mov_b32 s15, 0x7f800001
	s_mov_b32 s28, 0xffffff
	v_bfrev_b32_e32 v43, 60
	v_mov_b32_e32 v76, 7
	v_mov_b32_e32 v77, 24
	;; [unrolled: 1-line block ×12, first 2 shown]
	s_waitcnt vmcnt(0)
	v_lshlrev_b64 v[2:3], 2, v[2:3]
	v_add_co_u32_e32 v20, vcc, s0, v2
	v_addc_co_u32_e32 v21, vcc, v4, v3, vcc
	s_branch .LBB245_283
.LBB245_282:                            ;   in Loop: Header=BB245_283 Depth=1
	s_or_b64 exec, exec, s[0:1]
	s_waitcnt lgkmcnt(0)
	v_mul_f32_e32 v16, v3, v59
	v_fmac_f32_e32 v16, v2, v58
	v_fmac_f32_e32 v16, v4, v60
	v_fmac_f32_e32 v16, v5, v61
	v_add_f32_e32 v6, v6, v16
	v_mul_f32_e32 v16, v3, v55
	v_fmac_f32_e32 v16, v2, v54
	v_fmac_f32_e32 v16, v4, v56
	v_fmac_f32_e32 v16, v5, v57
	v_add_f32_e32 v9, v9, v16
	;; [unrolled: 5-line block ×8, first 2 shown]
	v_mul_f32_e32 v16, v3, v23
	v_mul_f32_e32 v3, v3, v27
	v_fmac_f32_e32 v3, v2, v26
	v_fmac_f32_e32 v3, v4, v62
	;; [unrolled: 1-line block ×4, first 2 shown]
	v_add_f32_e32 v7, v7, v3
	buffer_load_dword v2, off, s[56:59], 0  ; 4-byte Folded Reload
	buffer_load_dword v3, off, s[56:59], 0 offset:4 ; 4-byte Folded Reload
	v_fmac_f32_e32 v16, v4, v24
	v_fmac_f32_e32 v16, v5, v25
	v_add_f32_e32 v14, v14, v16
	v_add_u32_e32 v74, 64, v74
	v_add_u32_e32 v75, 0x100, v75
	s_waitcnt vmcnt(1)
	v_mov_b32_e32 v4, v2
	v_add_u32_e32 v4, 2, v4
	v_cmp_le_i32_e32 vcc, s33, v4
	s_or_b64 s[12:13], vcc, s[12:13]
	v_add_co_u32_e32 v20, vcc, 8, v20
	v_mov_b32_e32 v2, v4
	v_addc_co_u32_e32 v21, vcc, 0, v21, vcc
	s_waitcnt vmcnt(0)
	buffer_store_dword v2, off, s[56:59], 0 ; 4-byte Folded Spill
	s_nop 0
	buffer_store_dword v3, off, s[56:59], 0 offset:4 ; 4-byte Folded Spill
	s_andn2_b64 exec, exec, s[12:13]
	s_cbranch_execz .LBB245_543
.LBB245_283:                            ; =>This Inner Loop Header: Depth=1
	global_load_dword v2, v[20:21], off
	v_pk_mov_b32 v[28:29], 0, 0
	v_pk_mov_b32 v[24:25], v[28:29], v[28:29] op_sel:[0,1]
	s_waitcnt vmcnt(0)
	v_mad_i64_i32 v[26:27], s[0:1], v2, s3, v[18:19]
	global_load_dword v22, v[26:27], off
	ds_read_b128 v[2:5], v75
	s_waitcnt vmcnt(0)
	v_cmp_ne_u16_sdwa s[16:17], v22, v17 src0_sel:BYTE_0 src1_sel:DWORD
	s_and_saveexec_b64 s[0:1], s[16:17]
	s_cbranch_execz .LBB245_289
; %bb.284:                              ;   in Loop: Header=BB245_283 Depth=1
	v_bfrev_b32_e32 v24, 1
	v_cmp_ne_u16_sdwa s[18:19], v22, s22 src0_sel:BYTE_0 src1_sel:DWORD
	v_mov_b32_e32 v25, 0
	s_and_saveexec_b64 s[16:17], s[18:19]
	s_cbranch_execz .LBB245_288
; %bb.285:                              ;   in Loop: Header=BB245_283 Depth=1
	v_and_b32_e32 v16, 0x7f, v22
	v_mov_b32_e32 v24, 0x7f800001
	v_cmp_ne_u32_e32 vcc, s23, v16
	v_mov_b32_e32 v25, 0
	s_and_saveexec_b64 s[18:19], vcc
	s_cbranch_execz .LBB245_287
; %bb.286:                              ;   in Loop: Header=BB245_283 Depth=1
	v_and_b32_e32 v23, 7, v22
	v_ffbh_u32_e32 v24, v23
	v_min_u32_e32 v31, 32, v24
	v_subrev_u32_e32 v24, 28, v31
	v_lshlrev_b64 v[24:25], v24, v[22:23]
	v_lshrrev_b32_e32 v30, 3, v16
	v_sub_u32_e32 v25, 29, v31
	v_and_b32_e32 v24, 7, v24
	v_cmp_gt_u32_e32 vcc, 8, v16
	v_cndmask_b32_e32 v16, v30, v25, vcc
	v_cndmask_b32_e32 v23, v23, v24, vcc
	v_lshlrev_b32_e32 v23, 20, v23
	v_and_b32_sdwa v24, sext(v22), s7 dst_sel:DWORD dst_unused:UNUSED_PAD src0_sel:BYTE_0 src1_sel:DWORD
	v_lshl_add_u32 v16, v16, 23, v43
	v_or3_b32 v16, v24, v16, v23
	v_pk_mov_b32 v[24:25], v[16:17], v[16:17] op_sel:[0,1]
.LBB245_287:                            ;   in Loop: Header=BB245_283 Depth=1
	s_or_b64 exec, exec, s[18:19]
.LBB245_288:                            ;   in Loop: Header=BB245_283 Depth=1
	s_or_b64 exec, exec, s[16:17]
.LBB245_289:                            ;   in Loop: Header=BB245_283 Depth=1
	s_or_b64 exec, exec, s[0:1]
	v_cmp_ne_u16_sdwa s[16:17], v22, v17 src0_sel:BYTE_1 src1_sel:DWORD
	s_and_saveexec_b64 s[0:1], s[16:17]
	s_cbranch_execz .LBB245_295
; %bb.290:                              ;   in Loop: Header=BB245_283 Depth=1
	v_cmp_ne_u16_sdwa s[18:19], v22, s22 src0_sel:BYTE_1 src1_sel:DWORD
	v_pk_mov_b32 v[28:29], s[6:7], s[6:7] op_sel:[0,1]
	s_and_saveexec_b64 s[16:17], s[18:19]
	s_cbranch_execz .LBB245_294
; %bb.291:                              ;   in Loop: Header=BB245_283 Depth=1
	v_and_b32_sdwa v23, v22, s23 dst_sel:DWORD dst_unused:UNUSED_PAD src0_sel:BYTE_1 src1_sel:DWORD
	s_mov_b32 s14, s6
	v_cmp_ne_u32_e32 vcc, s23, v23
	v_pk_mov_b32 v[28:29], s[14:15], s[14:15] op_sel:[0,1]
	s_and_saveexec_b64 s[18:19], vcc
	s_cbranch_execz .LBB245_293
; %bb.292:                              ;   in Loop: Header=BB245_283 Depth=1
	v_and_b32_sdwa v16, v22, v76 dst_sel:DWORD dst_unused:UNUSED_PAD src0_sel:BYTE_1 src1_sel:DWORD
	v_ffbh_u32_e32 v28, v16
	v_min_u32_e32 v31, 32, v28
	v_subrev_u32_e32 v28, 28, v31
	v_lshlrev_b64 v[28:29], v28, v[16:17]
	v_lshrrev_b32_e32 v30, 3, v23
	v_sub_u32_e32 v29, 29, v31
	v_cmp_gt_u32_e32 vcc, 8, v23
	v_and_b32_e32 v28, 7, v28
	v_cndmask_b32_e32 v23, v30, v29, vcc
	v_cndmask_b32_e32 v16, v16, v28, vcc
	v_lshlrev_b32_e32 v28, 16, v22
	v_lshl_add_u32 v23, v23, 23, v43
	v_and_or_b32 v23, v28, s7, v23
	v_lshlrev_b32_e32 v16, 20, v16
	v_or_b32_e32 v29, v23, v16
	v_mov_b32_e32 v28, v17
.LBB245_293:                            ;   in Loop: Header=BB245_283 Depth=1
	s_or_b64 exec, exec, s[18:19]
.LBB245_294:                            ;   in Loop: Header=BB245_283 Depth=1
	s_or_b64 exec, exec, s[16:17]
.LBB245_295:                            ;   in Loop: Header=BB245_283 Depth=1
	s_or_b64 exec, exec, s[0:1]
	v_lshrrev_b32_e32 v16, 16, v22
	v_pk_mov_b32 v[32:33], 0, 0
	v_cmp_ne_u16_sdwa s[16:17], v16, v17 src0_sel:BYTE_0 src1_sel:DWORD
	v_pk_mov_b32 v[30:31], v[32:33], v[32:33] op_sel:[0,1]
	s_and_saveexec_b64 s[0:1], s[16:17]
	s_cbranch_execz .LBB245_301
; %bb.296:                              ;   in Loop: Header=BB245_283 Depth=1
	v_bfrev_b32_e32 v30, 1
	v_cmp_ne_u16_sdwa s[18:19], v16, s22 src0_sel:BYTE_0 src1_sel:DWORD
	v_mov_b32_e32 v31, 0
	s_and_saveexec_b64 s[16:17], s[18:19]
	s_cbranch_execz .LBB245_300
; %bb.297:                              ;   in Loop: Header=BB245_283 Depth=1
	v_bfe_u32 v23, v22, 16, 7
	v_mov_b32_e32 v30, 0x7f800001
	v_cmp_ne_u32_e32 vcc, s23, v23
	v_mov_b32_e32 v31, 0
	s_and_saveexec_b64 s[18:19], vcc
	s_cbranch_execz .LBB245_299
; %bb.298:                              ;   in Loop: Header=BB245_283 Depth=1
	v_and_b32_e32 v34, 7, v16
	v_ffbh_u32_e32 v30, v34
	v_min_u32_e32 v36, 32, v30
	v_subrev_u32_e32 v30, 28, v36
	v_lshlrev_b64 v[30:31], v30, v[16:17]
	v_lshrrev_b32_e32 v35, 3, v23
	v_sub_u32_e32 v31, 29, v36
	v_and_b32_e32 v30, 7, v30
	v_cmp_gt_u32_e32 vcc, 8, v23
	v_cndmask_b32_e32 v23, v35, v31, vcc
	v_cndmask_b32_e32 v30, v34, v30, vcc
	v_lshlrev_b32_e32 v30, 20, v30
	v_and_b32_sdwa v16, sext(v16), s7 dst_sel:DWORD dst_unused:UNUSED_PAD src0_sel:BYTE_0 src1_sel:DWORD
	v_lshl_add_u32 v23, v23, 23, v43
	v_or3_b32 v16, v16, v23, v30
	v_pk_mov_b32 v[30:31], v[16:17], v[16:17] op_sel:[0,1]
.LBB245_299:                            ;   in Loop: Header=BB245_283 Depth=1
	s_or_b64 exec, exec, s[18:19]
.LBB245_300:                            ;   in Loop: Header=BB245_283 Depth=1
	s_or_b64 exec, exec, s[16:17]
.LBB245_301:                            ;   in Loop: Header=BB245_283 Depth=1
	s_or_b64 exec, exec, s[0:1]
	v_cmp_lt_u32_e32 vcc, s28, v22
	s_and_saveexec_b64 s[0:1], vcc
	s_cbranch_execz .LBB245_307
; %bb.302:                              ;   in Loop: Header=BB245_283 Depth=1
	v_cmp_ne_u32_sdwa s[18:19], v22, s22 src0_sel:BYTE_3 src1_sel:DWORD
	v_pk_mov_b32 v[32:33], s[6:7], s[6:7] op_sel:[0,1]
	s_and_saveexec_b64 s[16:17], s[18:19]
	s_cbranch_execz .LBB245_306
; %bb.303:                              ;   in Loop: Header=BB245_283 Depth=1
	v_bfe_u32 v23, v22, 24, 7
	s_mov_b32 s14, s6
	v_cmp_ne_u32_e32 vcc, s23, v23
	v_pk_mov_b32 v[32:33], s[14:15], s[14:15] op_sel:[0,1]
	s_and_saveexec_b64 s[18:19], vcc
	s_cbranch_execz .LBB245_305
; %bb.304:                              ;   in Loop: Header=BB245_283 Depth=1
	v_and_b32_sdwa v16, v22, v76 dst_sel:DWORD dst_unused:UNUSED_PAD src0_sel:BYTE_3 src1_sel:DWORD
	v_ffbh_u32_e32 v32, v16
	v_min_u32_e32 v35, 32, v32
	v_subrev_u32_e32 v32, 28, v35
	v_lshlrev_b64 v[32:33], v32, v[16:17]
	v_lshrrev_b32_e32 v34, 3, v23
	v_sub_u32_e32 v33, 29, v35
	v_cmp_gt_u32_e32 vcc, 8, v23
	v_and_b32_e32 v32, 7, v32
	v_cndmask_b32_e32 v23, v34, v33, vcc
	v_cndmask_b32_e32 v16, v16, v32, vcc
	v_lshlrev_b32_sdwa v22, v77, v22 dst_sel:DWORD dst_unused:UNUSED_PAD src0_sel:DWORD src1_sel:BYTE_3
	v_lshl_add_u32 v23, v23, 23, v43
	v_and_or_b32 v22, v22, s7, v23
	v_lshlrev_b32_e32 v16, 20, v16
	v_or_b32_e32 v33, v22, v16
	v_mov_b32_e32 v32, v17
.LBB245_305:                            ;   in Loop: Header=BB245_283 Depth=1
	s_or_b64 exec, exec, s[18:19]
.LBB245_306:                            ;   in Loop: Header=BB245_283 Depth=1
	s_or_b64 exec, exec, s[16:17]
.LBB245_307:                            ;   in Loop: Header=BB245_283 Depth=1
	s_or_b64 exec, exec, s[0:1]
	buffer_load_dword v22, off, s[56:59], 0 ; 4-byte Folded Reload
	buffer_load_dword v23, off, s[56:59], 0 offset:4 ; 4-byte Folded Reload
	s_waitcnt vmcnt(0)
	v_or_b32_e32 v23, v29, v25
	v_or_b32_e32 v25, v33, v31
	v_add_u32_e32 v42, -3, v74
	v_add_u32_e32 v79, -2, v74
	;; [unrolled: 1-line block ×3, first 2 shown]
	v_cmp_eq_u32_e32 vcc, s9, v22
	v_or_b32_e32 v22, v28, v24
	v_or_b32_e32 v24, v32, v30
	v_pk_mul_f32 v[22:23], s[10:11], v[22:23]
	v_pk_mul_f32 v[24:25], s[10:11], v[24:25]
	s_and_saveexec_b64 s[16:17], vcc
; %bb.308:                              ;   in Loop: Header=BB245_283 Depth=1
	v_cmp_gt_i32_e64 s[0:1], s29, v42
	v_cndmask_b32_e64 v22, 0, v22, s[0:1]
	v_cmp_gt_i32_e64 s[0:1], s29, v79
	v_cndmask_b32_e64 v23, 0, v23, s[0:1]
	;; [unrolled: 2-line block ×4, first 2 shown]
; %bb.309:                              ;   in Loop: Header=BB245_283 Depth=1
	s_or_b64 exec, exec, s[16:17]
	global_load_dword v28, v[26:27], off offset:256
	v_pk_mov_b32 v[32:33], 0, 0
	v_pk_mov_b32 v[30:31], v[32:33], v[32:33] op_sel:[0,1]
	s_waitcnt vmcnt(0)
	v_cmp_ne_u16_sdwa s[0:1], v28, v17 src0_sel:BYTE_0 src1_sel:DWORD
	s_and_saveexec_b64 s[16:17], s[0:1]
	s_cbranch_execz .LBB245_315
; %bb.310:                              ;   in Loop: Header=BB245_283 Depth=1
	v_bfrev_b32_e32 v30, 1
	v_cmp_ne_u16_sdwa s[0:1], v28, s22 src0_sel:BYTE_0 src1_sel:DWORD
	v_mov_b32_e32 v31, 0
	s_and_saveexec_b64 s[18:19], s[0:1]
	s_cbranch_execz .LBB245_314
; %bb.311:                              ;   in Loop: Header=BB245_283 Depth=1
	v_and_b32_e32 v16, 0x7f, v28
	v_mov_b32_e32 v30, 0x7f800001
	v_cmp_ne_u32_e64 s[0:1], s23, v16
	v_mov_b32_e32 v31, 0
	s_and_saveexec_b64 s[20:21], s[0:1]
	s_cbranch_execz .LBB245_313
; %bb.312:                              ;   in Loop: Header=BB245_283 Depth=1
	v_and_b32_e32 v29, 7, v28
	v_ffbh_u32_e32 v30, v29
	v_min_u32_e32 v35, 32, v30
	v_subrev_u32_e32 v30, 28, v35
	v_lshlrev_b64 v[30:31], v30, v[28:29]
	v_lshrrev_b32_e32 v34, 3, v16
	v_sub_u32_e32 v31, 29, v35
	v_and_b32_e32 v30, 7, v30
	v_cmp_gt_u32_e64 s[0:1], 8, v16
	v_cndmask_b32_e64 v16, v34, v31, s[0:1]
	v_cndmask_b32_e64 v29, v29, v30, s[0:1]
	v_lshlrev_b32_e32 v29, 20, v29
	v_and_b32_sdwa v30, sext(v28), s7 dst_sel:DWORD dst_unused:UNUSED_PAD src0_sel:BYTE_0 src1_sel:DWORD
	v_lshl_add_u32 v16, v16, 23, v43
	v_or3_b32 v16, v30, v16, v29
	v_pk_mov_b32 v[30:31], v[16:17], v[16:17] op_sel:[0,1]
.LBB245_313:                            ;   in Loop: Header=BB245_283 Depth=1
	s_or_b64 exec, exec, s[20:21]
.LBB245_314:                            ;   in Loop: Header=BB245_283 Depth=1
	s_or_b64 exec, exec, s[18:19]
.LBB245_315:                            ;   in Loop: Header=BB245_283 Depth=1
	s_or_b64 exec, exec, s[16:17]
	v_cmp_ne_u16_sdwa s[0:1], v28, v17 src0_sel:BYTE_1 src1_sel:DWORD
	s_and_saveexec_b64 s[16:17], s[0:1]
	s_cbranch_execz .LBB245_321
; %bb.316:                              ;   in Loop: Header=BB245_283 Depth=1
	v_cmp_ne_u16_sdwa s[0:1], v28, s22 src0_sel:BYTE_1 src1_sel:DWORD
	v_pk_mov_b32 v[32:33], s[6:7], s[6:7] op_sel:[0,1]
	s_and_saveexec_b64 s[18:19], s[0:1]
	s_cbranch_execz .LBB245_320
; %bb.317:                              ;   in Loop: Header=BB245_283 Depth=1
	v_and_b32_sdwa v29, v28, s23 dst_sel:DWORD dst_unused:UNUSED_PAD src0_sel:BYTE_1 src1_sel:DWORD
	s_mov_b32 s14, s6
	v_cmp_ne_u32_e64 s[0:1], s23, v29
	v_pk_mov_b32 v[32:33], s[14:15], s[14:15] op_sel:[0,1]
	s_and_saveexec_b64 s[20:21], s[0:1]
	s_cbranch_execz .LBB245_319
; %bb.318:                              ;   in Loop: Header=BB245_283 Depth=1
	v_and_b32_sdwa v16, v28, v76 dst_sel:DWORD dst_unused:UNUSED_PAD src0_sel:BYTE_1 src1_sel:DWORD
	v_ffbh_u32_e32 v32, v16
	v_min_u32_e32 v35, 32, v32
	v_subrev_u32_e32 v32, 28, v35
	v_lshlrev_b64 v[32:33], v32, v[16:17]
	v_lshrrev_b32_e32 v34, 3, v29
	v_sub_u32_e32 v33, 29, v35
	v_cmp_gt_u32_e64 s[0:1], 8, v29
	v_and_b32_e32 v32, 7, v32
	v_cndmask_b32_e64 v29, v34, v33, s[0:1]
	v_cndmask_b32_e64 v16, v16, v32, s[0:1]
	v_lshlrev_b32_e32 v32, 16, v28
	v_lshl_add_u32 v29, v29, 23, v43
	v_and_or_b32 v29, v32, s7, v29
	v_lshlrev_b32_e32 v16, 20, v16
	v_or_b32_e32 v33, v29, v16
	v_mov_b32_e32 v32, v17
.LBB245_319:                            ;   in Loop: Header=BB245_283 Depth=1
	s_or_b64 exec, exec, s[20:21]
.LBB245_320:                            ;   in Loop: Header=BB245_283 Depth=1
	s_or_b64 exec, exec, s[18:19]
.LBB245_321:                            ;   in Loop: Header=BB245_283 Depth=1
	s_or_b64 exec, exec, s[16:17]
	v_lshrrev_b32_e32 v16, 16, v28
	v_pk_mov_b32 v[36:37], 0, 0
	v_cmp_ne_u16_sdwa s[0:1], v16, v17 src0_sel:BYTE_0 src1_sel:DWORD
	v_pk_mov_b32 v[34:35], v[36:37], v[36:37] op_sel:[0,1]
	s_and_saveexec_b64 s[16:17], s[0:1]
	s_cbranch_execz .LBB245_327
; %bb.322:                              ;   in Loop: Header=BB245_283 Depth=1
	v_bfrev_b32_e32 v34, 1
	v_cmp_ne_u16_sdwa s[0:1], v16, s22 src0_sel:BYTE_0 src1_sel:DWORD
	v_mov_b32_e32 v35, 0
	s_and_saveexec_b64 s[18:19], s[0:1]
	s_cbranch_execz .LBB245_326
; %bb.323:                              ;   in Loop: Header=BB245_283 Depth=1
	v_bfe_u32 v29, v28, 16, 7
	v_mov_b32_e32 v34, 0x7f800001
	v_cmp_ne_u32_e64 s[0:1], s23, v29
	v_mov_b32_e32 v35, 0
	s_and_saveexec_b64 s[20:21], s[0:1]
	s_cbranch_execz .LBB245_325
; %bb.324:                              ;   in Loop: Header=BB245_283 Depth=1
	v_and_b32_e32 v38, 7, v16
	v_ffbh_u32_e32 v34, v38
	v_min_u32_e32 v40, 32, v34
	v_subrev_u32_e32 v34, 28, v40
	v_lshlrev_b64 v[34:35], v34, v[16:17]
	v_lshrrev_b32_e32 v39, 3, v29
	v_sub_u32_e32 v35, 29, v40
	v_and_b32_e32 v34, 7, v34
	v_cmp_gt_u32_e64 s[0:1], 8, v29
	v_cndmask_b32_e64 v29, v39, v35, s[0:1]
	v_cndmask_b32_e64 v34, v38, v34, s[0:1]
	v_lshlrev_b32_e32 v34, 20, v34
	v_and_b32_sdwa v16, sext(v16), s7 dst_sel:DWORD dst_unused:UNUSED_PAD src0_sel:BYTE_0 src1_sel:DWORD
	v_lshl_add_u32 v29, v29, 23, v43
	v_or3_b32 v16, v16, v29, v34
	v_pk_mov_b32 v[34:35], v[16:17], v[16:17] op_sel:[0,1]
.LBB245_325:                            ;   in Loop: Header=BB245_283 Depth=1
	s_or_b64 exec, exec, s[20:21]
.LBB245_326:                            ;   in Loop: Header=BB245_283 Depth=1
	s_or_b64 exec, exec, s[18:19]
.LBB245_327:                            ;   in Loop: Header=BB245_283 Depth=1
	s_or_b64 exec, exec, s[16:17]
	v_cmp_lt_u32_e64 s[0:1], s28, v28
	s_and_saveexec_b64 s[16:17], s[0:1]
	s_cbranch_execz .LBB245_333
; %bb.328:                              ;   in Loop: Header=BB245_283 Depth=1
	v_cmp_ne_u32_sdwa s[0:1], v28, s22 src0_sel:BYTE_3 src1_sel:DWORD
	v_pk_mov_b32 v[36:37], s[6:7], s[6:7] op_sel:[0,1]
	s_and_saveexec_b64 s[18:19], s[0:1]
	s_cbranch_execz .LBB245_332
; %bb.329:                              ;   in Loop: Header=BB245_283 Depth=1
	v_bfe_u32 v29, v28, 24, 7
	s_mov_b32 s14, s6
	v_cmp_ne_u32_e64 s[0:1], s23, v29
	v_pk_mov_b32 v[36:37], s[14:15], s[14:15] op_sel:[0,1]
	s_and_saveexec_b64 s[20:21], s[0:1]
	s_cbranch_execz .LBB245_331
; %bb.330:                              ;   in Loop: Header=BB245_283 Depth=1
	v_and_b32_sdwa v16, v28, v76 dst_sel:DWORD dst_unused:UNUSED_PAD src0_sel:BYTE_3 src1_sel:DWORD
	v_ffbh_u32_e32 v36, v16
	v_min_u32_e32 v39, 32, v36
	v_subrev_u32_e32 v36, 28, v39
	v_lshlrev_b64 v[36:37], v36, v[16:17]
	v_lshrrev_b32_e32 v38, 3, v29
	v_sub_u32_e32 v37, 29, v39
	v_cmp_gt_u32_e64 s[0:1], 8, v29
	v_and_b32_e32 v36, 7, v36
	v_cndmask_b32_e64 v29, v38, v37, s[0:1]
	v_cndmask_b32_e64 v16, v16, v36, s[0:1]
	v_lshlrev_b32_sdwa v28, v77, v28 dst_sel:DWORD dst_unused:UNUSED_PAD src0_sel:DWORD src1_sel:BYTE_3
	v_lshl_add_u32 v29, v29, 23, v43
	v_and_or_b32 v28, v28, s7, v29
	v_lshlrev_b32_e32 v16, 20, v16
	v_or_b32_e32 v37, v28, v16
	v_mov_b32_e32 v36, v17
.LBB245_331:                            ;   in Loop: Header=BB245_283 Depth=1
	s_or_b64 exec, exec, s[20:21]
.LBB245_332:                            ;   in Loop: Header=BB245_283 Depth=1
	s_or_b64 exec, exec, s[18:19]
.LBB245_333:                            ;   in Loop: Header=BB245_283 Depth=1
	s_or_b64 exec, exec, s[16:17]
	v_or_b32_e32 v29, v33, v31
	v_or_b32_e32 v28, v32, v30
	;; [unrolled: 1-line block ×4, first 2 shown]
	v_pk_mul_f32 v[28:29], s[10:11], v[28:29]
	v_pk_mul_f32 v[30:31], s[10:11], v[30:31]
	s_and_saveexec_b64 s[16:17], vcc
; %bb.334:                              ;   in Loop: Header=BB245_283 Depth=1
	v_cmp_gt_i32_e64 s[0:1], s29, v42
	v_cndmask_b32_e64 v28, 0, v28, s[0:1]
	v_cmp_gt_i32_e64 s[0:1], s29, v79
	v_cndmask_b32_e64 v29, 0, v29, s[0:1]
	;; [unrolled: 2-line block ×4, first 2 shown]
; %bb.335:                              ;   in Loop: Header=BB245_283 Depth=1
	s_or_b64 exec, exec, s[16:17]
	global_load_dword v32, v[26:27], off offset:512
	v_pk_mov_b32 v[36:37], 0, 0
	v_pk_mov_b32 v[34:35], v[36:37], v[36:37] op_sel:[0,1]
	s_waitcnt vmcnt(0)
	v_cmp_ne_u16_sdwa s[0:1], v32, v17 src0_sel:BYTE_0 src1_sel:DWORD
	s_and_saveexec_b64 s[16:17], s[0:1]
	s_cbranch_execz .LBB245_341
; %bb.336:                              ;   in Loop: Header=BB245_283 Depth=1
	v_bfrev_b32_e32 v34, 1
	v_cmp_ne_u16_sdwa s[0:1], v32, s22 src0_sel:BYTE_0 src1_sel:DWORD
	v_mov_b32_e32 v35, 0
	s_and_saveexec_b64 s[18:19], s[0:1]
	s_cbranch_execz .LBB245_340
; %bb.337:                              ;   in Loop: Header=BB245_283 Depth=1
	v_and_b32_e32 v16, 0x7f, v32
	v_mov_b32_e32 v34, 0x7f800001
	v_cmp_ne_u32_e64 s[0:1], s23, v16
	v_mov_b32_e32 v35, 0
	s_and_saveexec_b64 s[20:21], s[0:1]
	s_cbranch_execz .LBB245_339
; %bb.338:                              ;   in Loop: Header=BB245_283 Depth=1
	v_and_b32_e32 v33, 7, v32
	v_ffbh_u32_e32 v34, v33
	v_min_u32_e32 v39, 32, v34
	v_subrev_u32_e32 v34, 28, v39
	v_lshlrev_b64 v[34:35], v34, v[32:33]
	v_lshrrev_b32_e32 v38, 3, v16
	v_sub_u32_e32 v35, 29, v39
	v_and_b32_e32 v34, 7, v34
	v_cmp_gt_u32_e64 s[0:1], 8, v16
	v_cndmask_b32_e64 v16, v38, v35, s[0:1]
	v_cndmask_b32_e64 v33, v33, v34, s[0:1]
	v_lshlrev_b32_e32 v33, 20, v33
	v_and_b32_sdwa v34, sext(v32), s7 dst_sel:DWORD dst_unused:UNUSED_PAD src0_sel:BYTE_0 src1_sel:DWORD
	v_lshl_add_u32 v16, v16, 23, v43
	v_or3_b32 v16, v34, v16, v33
	v_pk_mov_b32 v[34:35], v[16:17], v[16:17] op_sel:[0,1]
.LBB245_339:                            ;   in Loop: Header=BB245_283 Depth=1
	s_or_b64 exec, exec, s[20:21]
.LBB245_340:                            ;   in Loop: Header=BB245_283 Depth=1
	s_or_b64 exec, exec, s[18:19]
.LBB245_341:                            ;   in Loop: Header=BB245_283 Depth=1
	s_or_b64 exec, exec, s[16:17]
	v_cmp_ne_u16_sdwa s[0:1], v32, v17 src0_sel:BYTE_1 src1_sel:DWORD
	s_and_saveexec_b64 s[16:17], s[0:1]
	s_cbranch_execz .LBB245_347
; %bb.342:                              ;   in Loop: Header=BB245_283 Depth=1
	v_cmp_ne_u16_sdwa s[0:1], v32, s22 src0_sel:BYTE_1 src1_sel:DWORD
	v_pk_mov_b32 v[36:37], s[6:7], s[6:7] op_sel:[0,1]
	s_and_saveexec_b64 s[18:19], s[0:1]
	s_cbranch_execz .LBB245_346
; %bb.343:                              ;   in Loop: Header=BB245_283 Depth=1
	v_and_b32_sdwa v33, v32, s23 dst_sel:DWORD dst_unused:UNUSED_PAD src0_sel:BYTE_1 src1_sel:DWORD
	s_mov_b32 s14, s6
	v_cmp_ne_u32_e64 s[0:1], s23, v33
	v_pk_mov_b32 v[36:37], s[14:15], s[14:15] op_sel:[0,1]
	s_and_saveexec_b64 s[20:21], s[0:1]
	s_cbranch_execz .LBB245_345
; %bb.344:                              ;   in Loop: Header=BB245_283 Depth=1
	v_and_b32_sdwa v16, v32, v76 dst_sel:DWORD dst_unused:UNUSED_PAD src0_sel:BYTE_1 src1_sel:DWORD
	v_ffbh_u32_e32 v36, v16
	v_min_u32_e32 v39, 32, v36
	v_subrev_u32_e32 v36, 28, v39
	v_lshlrev_b64 v[36:37], v36, v[16:17]
	v_lshrrev_b32_e32 v38, 3, v33
	v_sub_u32_e32 v37, 29, v39
	v_cmp_gt_u32_e64 s[0:1], 8, v33
	v_and_b32_e32 v36, 7, v36
	v_cndmask_b32_e64 v33, v38, v37, s[0:1]
	v_cndmask_b32_e64 v16, v16, v36, s[0:1]
	v_lshlrev_b32_e32 v36, 16, v32
	v_lshl_add_u32 v33, v33, 23, v43
	v_and_or_b32 v33, v36, s7, v33
	v_lshlrev_b32_e32 v16, 20, v16
	v_or_b32_e32 v37, v33, v16
	v_mov_b32_e32 v36, v17
.LBB245_345:                            ;   in Loop: Header=BB245_283 Depth=1
	s_or_b64 exec, exec, s[20:21]
.LBB245_346:                            ;   in Loop: Header=BB245_283 Depth=1
	s_or_b64 exec, exec, s[18:19]
.LBB245_347:                            ;   in Loop: Header=BB245_283 Depth=1
	s_or_b64 exec, exec, s[16:17]
	v_lshrrev_b32_e32 v16, 16, v32
	v_pk_mov_b32 v[40:41], 0, 0
	v_cmp_ne_u16_sdwa s[0:1], v16, v17 src0_sel:BYTE_0 src1_sel:DWORD
	v_pk_mov_b32 v[38:39], v[40:41], v[40:41] op_sel:[0,1]
	s_and_saveexec_b64 s[16:17], s[0:1]
	s_cbranch_execz .LBB245_353
; %bb.348:                              ;   in Loop: Header=BB245_283 Depth=1
	v_bfrev_b32_e32 v38, 1
	v_cmp_ne_u16_sdwa s[0:1], v16, s22 src0_sel:BYTE_0 src1_sel:DWORD
	v_mov_b32_e32 v39, 0
	s_and_saveexec_b64 s[18:19], s[0:1]
	s_cbranch_execz .LBB245_352
; %bb.349:                              ;   in Loop: Header=BB245_283 Depth=1
	v_bfe_u32 v33, v32, 16, 7
	v_mov_b32_e32 v38, 0x7f800001
	v_cmp_ne_u32_e64 s[0:1], s23, v33
	v_mov_b32_e32 v39, 0
	s_and_saveexec_b64 s[20:21], s[0:1]
	s_cbranch_execz .LBB245_351
; %bb.350:                              ;   in Loop: Header=BB245_283 Depth=1
	v_and_b32_e32 v44, 7, v16
	v_ffbh_u32_e32 v38, v44
	v_min_u32_e32 v46, 32, v38
	v_subrev_u32_e32 v38, 28, v46
	v_lshlrev_b64 v[38:39], v38, v[16:17]
	v_lshrrev_b32_e32 v45, 3, v33
	v_sub_u32_e32 v39, 29, v46
	v_and_b32_e32 v38, 7, v38
	v_cmp_gt_u32_e64 s[0:1], 8, v33
	v_cndmask_b32_e64 v33, v45, v39, s[0:1]
	v_cndmask_b32_e64 v38, v44, v38, s[0:1]
	v_lshlrev_b32_e32 v38, 20, v38
	v_and_b32_sdwa v16, sext(v16), s7 dst_sel:DWORD dst_unused:UNUSED_PAD src0_sel:BYTE_0 src1_sel:DWORD
	v_lshl_add_u32 v33, v33, 23, v43
	v_or3_b32 v16, v16, v33, v38
	v_pk_mov_b32 v[38:39], v[16:17], v[16:17] op_sel:[0,1]
.LBB245_351:                            ;   in Loop: Header=BB245_283 Depth=1
	s_or_b64 exec, exec, s[20:21]
.LBB245_352:                            ;   in Loop: Header=BB245_283 Depth=1
	s_or_b64 exec, exec, s[18:19]
.LBB245_353:                            ;   in Loop: Header=BB245_283 Depth=1
	s_or_b64 exec, exec, s[16:17]
	v_cmp_lt_u32_e64 s[0:1], s28, v32
	s_and_saveexec_b64 s[16:17], s[0:1]
	s_cbranch_execz .LBB245_359
; %bb.354:                              ;   in Loop: Header=BB245_283 Depth=1
	v_cmp_ne_u32_sdwa s[0:1], v32, s22 src0_sel:BYTE_3 src1_sel:DWORD
	v_pk_mov_b32 v[40:41], s[6:7], s[6:7] op_sel:[0,1]
	s_and_saveexec_b64 s[18:19], s[0:1]
	s_cbranch_execz .LBB245_358
; %bb.355:                              ;   in Loop: Header=BB245_283 Depth=1
	v_bfe_u32 v33, v32, 24, 7
	s_mov_b32 s14, s6
	v_cmp_ne_u32_e64 s[0:1], s23, v33
	v_pk_mov_b32 v[40:41], s[14:15], s[14:15] op_sel:[0,1]
	s_and_saveexec_b64 s[20:21], s[0:1]
	s_cbranch_execz .LBB245_357
; %bb.356:                              ;   in Loop: Header=BB245_283 Depth=1
	v_and_b32_sdwa v16, v32, v76 dst_sel:DWORD dst_unused:UNUSED_PAD src0_sel:BYTE_3 src1_sel:DWORD
	v_ffbh_u32_e32 v40, v16
	v_min_u32_e32 v45, 32, v40
	v_subrev_u32_e32 v40, 28, v45
	v_lshlrev_b64 v[40:41], v40, v[16:17]
	v_lshrrev_b32_e32 v44, 3, v33
	v_sub_u32_e32 v41, 29, v45
	v_cmp_gt_u32_e64 s[0:1], 8, v33
	v_and_b32_e32 v40, 7, v40
	v_cndmask_b32_e64 v33, v44, v41, s[0:1]
	v_cndmask_b32_e64 v16, v16, v40, s[0:1]
	v_lshlrev_b32_sdwa v32, v77, v32 dst_sel:DWORD dst_unused:UNUSED_PAD src0_sel:DWORD src1_sel:BYTE_3
	v_lshl_add_u32 v33, v33, 23, v43
	v_and_or_b32 v32, v32, s7, v33
	v_lshlrev_b32_e32 v16, 20, v16
	v_or_b32_e32 v41, v32, v16
	v_mov_b32_e32 v40, v17
.LBB245_357:                            ;   in Loop: Header=BB245_283 Depth=1
	s_or_b64 exec, exec, s[20:21]
.LBB245_358:                            ;   in Loop: Header=BB245_283 Depth=1
	s_or_b64 exec, exec, s[18:19]
.LBB245_359:                            ;   in Loop: Header=BB245_283 Depth=1
	s_or_b64 exec, exec, s[16:17]
	v_or_b32_e32 v33, v37, v35
	v_or_b32_e32 v32, v36, v34
	;; [unrolled: 1-line block ×4, first 2 shown]
	v_pk_mul_f32 v[32:33], s[10:11], v[32:33]
	v_pk_mul_f32 v[34:35], s[10:11], v[34:35]
	s_and_saveexec_b64 s[16:17], vcc
; %bb.360:                              ;   in Loop: Header=BB245_283 Depth=1
	v_cmp_gt_i32_e64 s[0:1], s29, v42
	v_cndmask_b32_e64 v32, 0, v32, s[0:1]
	v_cmp_gt_i32_e64 s[0:1], s29, v79
	v_cndmask_b32_e64 v33, 0, v33, s[0:1]
	;; [unrolled: 2-line block ×4, first 2 shown]
; %bb.361:                              ;   in Loop: Header=BB245_283 Depth=1
	s_or_b64 exec, exec, s[16:17]
	global_load_dword v36, v[26:27], off offset:768
	v_pk_mov_b32 v[40:41], 0, 0
	v_pk_mov_b32 v[38:39], v[40:41], v[40:41] op_sel:[0,1]
	s_waitcnt vmcnt(0)
	v_cmp_ne_u16_sdwa s[0:1], v36, v17 src0_sel:BYTE_0 src1_sel:DWORD
	s_and_saveexec_b64 s[16:17], s[0:1]
	s_cbranch_execz .LBB245_367
; %bb.362:                              ;   in Loop: Header=BB245_283 Depth=1
	v_bfrev_b32_e32 v38, 1
	v_cmp_ne_u16_sdwa s[0:1], v36, s22 src0_sel:BYTE_0 src1_sel:DWORD
	v_mov_b32_e32 v39, 0
	s_and_saveexec_b64 s[18:19], s[0:1]
	s_cbranch_execz .LBB245_366
; %bb.363:                              ;   in Loop: Header=BB245_283 Depth=1
	v_and_b32_e32 v16, 0x7f, v36
	v_mov_b32_e32 v38, 0x7f800001
	v_cmp_ne_u32_e64 s[0:1], s23, v16
	v_mov_b32_e32 v39, 0
	s_and_saveexec_b64 s[20:21], s[0:1]
	s_cbranch_execz .LBB245_365
; %bb.364:                              ;   in Loop: Header=BB245_283 Depth=1
	v_and_b32_e32 v37, 7, v36
	v_ffbh_u32_e32 v38, v37
	v_min_u32_e32 v45, 32, v38
	v_subrev_u32_e32 v38, 28, v45
	v_lshlrev_b64 v[38:39], v38, v[36:37]
	v_lshrrev_b32_e32 v44, 3, v16
	v_sub_u32_e32 v39, 29, v45
	v_and_b32_e32 v38, 7, v38
	v_cmp_gt_u32_e64 s[0:1], 8, v16
	v_cndmask_b32_e64 v16, v44, v39, s[0:1]
	v_cndmask_b32_e64 v37, v37, v38, s[0:1]
	v_lshlrev_b32_e32 v37, 20, v37
	v_and_b32_sdwa v38, sext(v36), s7 dst_sel:DWORD dst_unused:UNUSED_PAD src0_sel:BYTE_0 src1_sel:DWORD
	v_lshl_add_u32 v16, v16, 23, v43
	v_or3_b32 v16, v38, v16, v37
	v_pk_mov_b32 v[38:39], v[16:17], v[16:17] op_sel:[0,1]
.LBB245_365:                            ;   in Loop: Header=BB245_283 Depth=1
	s_or_b64 exec, exec, s[20:21]
.LBB245_366:                            ;   in Loop: Header=BB245_283 Depth=1
	s_or_b64 exec, exec, s[18:19]
.LBB245_367:                            ;   in Loop: Header=BB245_283 Depth=1
	s_or_b64 exec, exec, s[16:17]
	v_cmp_ne_u16_sdwa s[0:1], v36, v17 src0_sel:BYTE_1 src1_sel:DWORD
	s_and_saveexec_b64 s[16:17], s[0:1]
	s_cbranch_execz .LBB245_373
; %bb.368:                              ;   in Loop: Header=BB245_283 Depth=1
	v_cmp_ne_u16_sdwa s[0:1], v36, s22 src0_sel:BYTE_1 src1_sel:DWORD
	v_pk_mov_b32 v[40:41], s[6:7], s[6:7] op_sel:[0,1]
	s_and_saveexec_b64 s[18:19], s[0:1]
	s_cbranch_execz .LBB245_372
; %bb.369:                              ;   in Loop: Header=BB245_283 Depth=1
	v_and_b32_sdwa v37, v36, s23 dst_sel:DWORD dst_unused:UNUSED_PAD src0_sel:BYTE_1 src1_sel:DWORD
	s_mov_b32 s14, s6
	v_cmp_ne_u32_e64 s[0:1], s23, v37
	v_pk_mov_b32 v[40:41], s[14:15], s[14:15] op_sel:[0,1]
	s_and_saveexec_b64 s[20:21], s[0:1]
	s_cbranch_execz .LBB245_371
; %bb.370:                              ;   in Loop: Header=BB245_283 Depth=1
	v_and_b32_sdwa v16, v36, v76 dst_sel:DWORD dst_unused:UNUSED_PAD src0_sel:BYTE_1 src1_sel:DWORD
	v_ffbh_u32_e32 v40, v16
	v_min_u32_e32 v45, 32, v40
	v_subrev_u32_e32 v40, 28, v45
	v_lshlrev_b64 v[40:41], v40, v[16:17]
	v_lshrrev_b32_e32 v44, 3, v37
	v_sub_u32_e32 v41, 29, v45
	v_cmp_gt_u32_e64 s[0:1], 8, v37
	v_and_b32_e32 v40, 7, v40
	v_cndmask_b32_e64 v37, v44, v41, s[0:1]
	v_cndmask_b32_e64 v16, v16, v40, s[0:1]
	v_lshlrev_b32_e32 v40, 16, v36
	v_lshl_add_u32 v37, v37, 23, v43
	v_and_or_b32 v37, v40, s7, v37
	v_lshlrev_b32_e32 v16, 20, v16
	v_or_b32_e32 v41, v37, v16
	v_mov_b32_e32 v40, v17
.LBB245_371:                            ;   in Loop: Header=BB245_283 Depth=1
	s_or_b64 exec, exec, s[20:21]
.LBB245_372:                            ;   in Loop: Header=BB245_283 Depth=1
	s_or_b64 exec, exec, s[18:19]
.LBB245_373:                            ;   in Loop: Header=BB245_283 Depth=1
	s_or_b64 exec, exec, s[16:17]
	v_lshrrev_b32_e32 v16, 16, v36
	v_pk_mov_b32 v[46:47], 0, 0
	v_cmp_ne_u16_sdwa s[0:1], v16, v17 src0_sel:BYTE_0 src1_sel:DWORD
	v_pk_mov_b32 v[44:45], v[46:47], v[46:47] op_sel:[0,1]
	s_and_saveexec_b64 s[16:17], s[0:1]
	s_cbranch_execz .LBB245_379
; %bb.374:                              ;   in Loop: Header=BB245_283 Depth=1
	v_bfrev_b32_e32 v44, 1
	v_cmp_ne_u16_sdwa s[0:1], v16, s22 src0_sel:BYTE_0 src1_sel:DWORD
	v_mov_b32_e32 v45, 0
	s_and_saveexec_b64 s[18:19], s[0:1]
	s_cbranch_execz .LBB245_378
; %bb.375:                              ;   in Loop: Header=BB245_283 Depth=1
	v_bfe_u32 v37, v36, 16, 7
	v_mov_b32_e32 v44, 0x7f800001
	v_cmp_ne_u32_e64 s[0:1], s23, v37
	v_mov_b32_e32 v45, 0
	s_and_saveexec_b64 s[20:21], s[0:1]
	s_cbranch_execz .LBB245_377
; %bb.376:                              ;   in Loop: Header=BB245_283 Depth=1
	v_and_b32_e32 v48, 7, v16
	v_ffbh_u32_e32 v44, v48
	v_min_u32_e32 v50, 32, v44
	v_subrev_u32_e32 v44, 28, v50
	v_lshlrev_b64 v[44:45], v44, v[16:17]
	v_lshrrev_b32_e32 v49, 3, v37
	v_sub_u32_e32 v45, 29, v50
	v_and_b32_e32 v44, 7, v44
	v_cmp_gt_u32_e64 s[0:1], 8, v37
	v_cndmask_b32_e64 v37, v49, v45, s[0:1]
	v_cndmask_b32_e64 v44, v48, v44, s[0:1]
	v_lshlrev_b32_e32 v44, 20, v44
	v_and_b32_sdwa v16, sext(v16), s7 dst_sel:DWORD dst_unused:UNUSED_PAD src0_sel:BYTE_0 src1_sel:DWORD
	v_lshl_add_u32 v37, v37, 23, v43
	v_or3_b32 v16, v16, v37, v44
	v_pk_mov_b32 v[44:45], v[16:17], v[16:17] op_sel:[0,1]
.LBB245_377:                            ;   in Loop: Header=BB245_283 Depth=1
	s_or_b64 exec, exec, s[20:21]
.LBB245_378:                            ;   in Loop: Header=BB245_283 Depth=1
	s_or_b64 exec, exec, s[18:19]
.LBB245_379:                            ;   in Loop: Header=BB245_283 Depth=1
	s_or_b64 exec, exec, s[16:17]
	v_cmp_lt_u32_e64 s[0:1], s28, v36
	s_and_saveexec_b64 s[16:17], s[0:1]
	s_cbranch_execz .LBB245_385
; %bb.380:                              ;   in Loop: Header=BB245_283 Depth=1
	v_cmp_ne_u32_sdwa s[0:1], v36, s22 src0_sel:BYTE_3 src1_sel:DWORD
	v_pk_mov_b32 v[46:47], s[6:7], s[6:7] op_sel:[0,1]
	s_and_saveexec_b64 s[18:19], s[0:1]
	s_cbranch_execz .LBB245_384
; %bb.381:                              ;   in Loop: Header=BB245_283 Depth=1
	v_bfe_u32 v37, v36, 24, 7
	s_mov_b32 s14, s6
	v_cmp_ne_u32_e64 s[0:1], s23, v37
	v_pk_mov_b32 v[46:47], s[14:15], s[14:15] op_sel:[0,1]
	s_and_saveexec_b64 s[20:21], s[0:1]
	s_cbranch_execz .LBB245_383
; %bb.382:                              ;   in Loop: Header=BB245_283 Depth=1
	v_and_b32_sdwa v16, v36, v76 dst_sel:DWORD dst_unused:UNUSED_PAD src0_sel:BYTE_3 src1_sel:DWORD
	v_ffbh_u32_e32 v46, v16
	v_min_u32_e32 v49, 32, v46
	v_subrev_u32_e32 v46, 28, v49
	v_lshlrev_b64 v[46:47], v46, v[16:17]
	v_lshrrev_b32_e32 v48, 3, v37
	v_sub_u32_e32 v47, 29, v49
	v_cmp_gt_u32_e64 s[0:1], 8, v37
	v_and_b32_e32 v46, 7, v46
	v_cndmask_b32_e64 v37, v48, v47, s[0:1]
	v_cndmask_b32_e64 v16, v16, v46, s[0:1]
	v_lshlrev_b32_sdwa v36, v77, v36 dst_sel:DWORD dst_unused:UNUSED_PAD src0_sel:DWORD src1_sel:BYTE_3
	v_lshl_add_u32 v37, v37, 23, v43
	v_and_or_b32 v36, v36, s7, v37
	v_lshlrev_b32_e32 v16, 20, v16
	v_or_b32_e32 v47, v36, v16
	v_mov_b32_e32 v46, v17
.LBB245_383:                            ;   in Loop: Header=BB245_283 Depth=1
	s_or_b64 exec, exec, s[20:21]
.LBB245_384:                            ;   in Loop: Header=BB245_283 Depth=1
	s_or_b64 exec, exec, s[18:19]
.LBB245_385:                            ;   in Loop: Header=BB245_283 Depth=1
	s_or_b64 exec, exec, s[16:17]
	v_or_b32_e32 v37, v41, v39
	v_or_b32_e32 v36, v40, v38
	;; [unrolled: 1-line block ×4, first 2 shown]
	v_pk_mul_f32 v[36:37], s[10:11], v[36:37]
	v_pk_mul_f32 v[38:39], s[10:11], v[38:39]
	s_and_saveexec_b64 s[16:17], vcc
; %bb.386:                              ;   in Loop: Header=BB245_283 Depth=1
	v_cmp_gt_i32_e64 s[0:1], s29, v42
	v_cndmask_b32_e64 v36, 0, v36, s[0:1]
	v_cmp_gt_i32_e64 s[0:1], s29, v79
	v_cndmask_b32_e64 v37, 0, v37, s[0:1]
	;; [unrolled: 2-line block ×4, first 2 shown]
; %bb.387:                              ;   in Loop: Header=BB245_283 Depth=1
	s_or_b64 exec, exec, s[16:17]
	global_load_dword v40, v[26:27], off offset:1024
	v_pk_mov_b32 v[46:47], 0, 0
	v_pk_mov_b32 v[44:45], v[46:47], v[46:47] op_sel:[0,1]
	s_waitcnt vmcnt(0)
	v_cmp_ne_u16_sdwa s[0:1], v40, v17 src0_sel:BYTE_0 src1_sel:DWORD
	s_and_saveexec_b64 s[16:17], s[0:1]
	s_cbranch_execz .LBB245_393
; %bb.388:                              ;   in Loop: Header=BB245_283 Depth=1
	v_bfrev_b32_e32 v44, 1
	v_cmp_ne_u16_sdwa s[0:1], v40, s22 src0_sel:BYTE_0 src1_sel:DWORD
	v_mov_b32_e32 v45, 0
	s_and_saveexec_b64 s[18:19], s[0:1]
	s_cbranch_execz .LBB245_392
; %bb.389:                              ;   in Loop: Header=BB245_283 Depth=1
	v_and_b32_e32 v16, 0x7f, v40
	v_mov_b32_e32 v44, 0x7f800001
	v_cmp_ne_u32_e64 s[0:1], s23, v16
	v_mov_b32_e32 v45, 0
	s_and_saveexec_b64 s[20:21], s[0:1]
	s_cbranch_execz .LBB245_391
; %bb.390:                              ;   in Loop: Header=BB245_283 Depth=1
	v_and_b32_e32 v41, 7, v40
	v_ffbh_u32_e32 v44, v41
	v_min_u32_e32 v49, 32, v44
	v_subrev_u32_e32 v44, 28, v49
	v_lshlrev_b64 v[44:45], v44, v[40:41]
	v_lshrrev_b32_e32 v48, 3, v16
	v_sub_u32_e32 v45, 29, v49
	v_and_b32_e32 v44, 7, v44
	v_cmp_gt_u32_e64 s[0:1], 8, v16
	v_cndmask_b32_e64 v16, v48, v45, s[0:1]
	v_cndmask_b32_e64 v41, v41, v44, s[0:1]
	v_lshlrev_b32_e32 v41, 20, v41
	v_and_b32_sdwa v44, sext(v40), s7 dst_sel:DWORD dst_unused:UNUSED_PAD src0_sel:BYTE_0 src1_sel:DWORD
	v_lshl_add_u32 v16, v16, 23, v43
	v_or3_b32 v16, v44, v16, v41
	v_pk_mov_b32 v[44:45], v[16:17], v[16:17] op_sel:[0,1]
.LBB245_391:                            ;   in Loop: Header=BB245_283 Depth=1
	s_or_b64 exec, exec, s[20:21]
.LBB245_392:                            ;   in Loop: Header=BB245_283 Depth=1
	s_or_b64 exec, exec, s[18:19]
.LBB245_393:                            ;   in Loop: Header=BB245_283 Depth=1
	s_or_b64 exec, exec, s[16:17]
	v_cmp_ne_u16_sdwa s[0:1], v40, v17 src0_sel:BYTE_1 src1_sel:DWORD
	s_and_saveexec_b64 s[16:17], s[0:1]
	s_cbranch_execz .LBB245_399
; %bb.394:                              ;   in Loop: Header=BB245_283 Depth=1
	v_cmp_ne_u16_sdwa s[0:1], v40, s22 src0_sel:BYTE_1 src1_sel:DWORD
	v_pk_mov_b32 v[46:47], s[6:7], s[6:7] op_sel:[0,1]
	s_and_saveexec_b64 s[18:19], s[0:1]
	s_cbranch_execz .LBB245_398
; %bb.395:                              ;   in Loop: Header=BB245_283 Depth=1
	v_and_b32_sdwa v41, v40, s23 dst_sel:DWORD dst_unused:UNUSED_PAD src0_sel:BYTE_1 src1_sel:DWORD
	s_mov_b32 s14, s6
	v_cmp_ne_u32_e64 s[0:1], s23, v41
	v_pk_mov_b32 v[46:47], s[14:15], s[14:15] op_sel:[0,1]
	s_and_saveexec_b64 s[20:21], s[0:1]
	s_cbranch_execz .LBB245_397
; %bb.396:                              ;   in Loop: Header=BB245_283 Depth=1
	v_and_b32_sdwa v16, v40, v76 dst_sel:DWORD dst_unused:UNUSED_PAD src0_sel:BYTE_1 src1_sel:DWORD
	v_ffbh_u32_e32 v46, v16
	v_min_u32_e32 v49, 32, v46
	v_subrev_u32_e32 v46, 28, v49
	v_lshlrev_b64 v[46:47], v46, v[16:17]
	v_lshrrev_b32_e32 v48, 3, v41
	v_sub_u32_e32 v47, 29, v49
	v_cmp_gt_u32_e64 s[0:1], 8, v41
	v_and_b32_e32 v46, 7, v46
	v_cndmask_b32_e64 v41, v48, v47, s[0:1]
	v_cndmask_b32_e64 v16, v16, v46, s[0:1]
	v_lshlrev_b32_e32 v46, 16, v40
	v_lshl_add_u32 v41, v41, 23, v43
	v_and_or_b32 v41, v46, s7, v41
	v_lshlrev_b32_e32 v16, 20, v16
	v_or_b32_e32 v47, v41, v16
	v_mov_b32_e32 v46, v17
.LBB245_397:                            ;   in Loop: Header=BB245_283 Depth=1
	s_or_b64 exec, exec, s[20:21]
.LBB245_398:                            ;   in Loop: Header=BB245_283 Depth=1
	s_or_b64 exec, exec, s[18:19]
.LBB245_399:                            ;   in Loop: Header=BB245_283 Depth=1
	s_or_b64 exec, exec, s[16:17]
	v_lshrrev_b32_e32 v16, 16, v40
	v_pk_mov_b32 v[50:51], 0, 0
	v_cmp_ne_u16_sdwa s[0:1], v16, v17 src0_sel:BYTE_0 src1_sel:DWORD
	v_pk_mov_b32 v[48:49], v[50:51], v[50:51] op_sel:[0,1]
	s_and_saveexec_b64 s[16:17], s[0:1]
	s_cbranch_execz .LBB245_405
; %bb.400:                              ;   in Loop: Header=BB245_283 Depth=1
	v_bfrev_b32_e32 v48, 1
	v_cmp_ne_u16_sdwa s[0:1], v16, s22 src0_sel:BYTE_0 src1_sel:DWORD
	v_mov_b32_e32 v49, 0
	s_and_saveexec_b64 s[18:19], s[0:1]
	s_cbranch_execz .LBB245_404
; %bb.401:                              ;   in Loop: Header=BB245_283 Depth=1
	v_bfe_u32 v41, v40, 16, 7
	v_mov_b32_e32 v48, 0x7f800001
	v_cmp_ne_u32_e64 s[0:1], s23, v41
	v_mov_b32_e32 v49, 0
	s_and_saveexec_b64 s[20:21], s[0:1]
	s_cbranch_execz .LBB245_403
; %bb.402:                              ;   in Loop: Header=BB245_283 Depth=1
	v_and_b32_e32 v52, 7, v16
	v_ffbh_u32_e32 v48, v52
	v_min_u32_e32 v54, 32, v48
	v_subrev_u32_e32 v48, 28, v54
	v_lshlrev_b64 v[48:49], v48, v[16:17]
	v_lshrrev_b32_e32 v53, 3, v41
	v_sub_u32_e32 v49, 29, v54
	v_and_b32_e32 v48, 7, v48
	v_cmp_gt_u32_e64 s[0:1], 8, v41
	v_cndmask_b32_e64 v41, v53, v49, s[0:1]
	v_cndmask_b32_e64 v48, v52, v48, s[0:1]
	v_lshlrev_b32_e32 v48, 20, v48
	v_and_b32_sdwa v16, sext(v16), s7 dst_sel:DWORD dst_unused:UNUSED_PAD src0_sel:BYTE_0 src1_sel:DWORD
	v_lshl_add_u32 v41, v41, 23, v43
	v_or3_b32 v16, v16, v41, v48
	v_pk_mov_b32 v[48:49], v[16:17], v[16:17] op_sel:[0,1]
.LBB245_403:                            ;   in Loop: Header=BB245_283 Depth=1
	s_or_b64 exec, exec, s[20:21]
.LBB245_404:                            ;   in Loop: Header=BB245_283 Depth=1
	s_or_b64 exec, exec, s[18:19]
.LBB245_405:                            ;   in Loop: Header=BB245_283 Depth=1
	s_or_b64 exec, exec, s[16:17]
	v_cmp_lt_u32_e64 s[0:1], s28, v40
	s_and_saveexec_b64 s[16:17], s[0:1]
	s_cbranch_execz .LBB245_411
; %bb.406:                              ;   in Loop: Header=BB245_283 Depth=1
	v_cmp_ne_u32_sdwa s[0:1], v40, s22 src0_sel:BYTE_3 src1_sel:DWORD
	v_pk_mov_b32 v[50:51], s[6:7], s[6:7] op_sel:[0,1]
	s_and_saveexec_b64 s[18:19], s[0:1]
	s_cbranch_execz .LBB245_410
; %bb.407:                              ;   in Loop: Header=BB245_283 Depth=1
	v_bfe_u32 v41, v40, 24, 7
	s_mov_b32 s14, s6
	v_cmp_ne_u32_e64 s[0:1], s23, v41
	v_pk_mov_b32 v[50:51], s[14:15], s[14:15] op_sel:[0,1]
	s_and_saveexec_b64 s[20:21], s[0:1]
	s_cbranch_execz .LBB245_409
; %bb.408:                              ;   in Loop: Header=BB245_283 Depth=1
	v_and_b32_sdwa v16, v40, v76 dst_sel:DWORD dst_unused:UNUSED_PAD src0_sel:BYTE_3 src1_sel:DWORD
	v_ffbh_u32_e32 v50, v16
	v_min_u32_e32 v53, 32, v50
	v_subrev_u32_e32 v50, 28, v53
	v_lshlrev_b64 v[50:51], v50, v[16:17]
	v_lshrrev_b32_e32 v52, 3, v41
	v_sub_u32_e32 v51, 29, v53
	v_cmp_gt_u32_e64 s[0:1], 8, v41
	v_and_b32_e32 v50, 7, v50
	v_cndmask_b32_e64 v41, v52, v51, s[0:1]
	v_cndmask_b32_e64 v16, v16, v50, s[0:1]
	v_lshlrev_b32_sdwa v40, v77, v40 dst_sel:DWORD dst_unused:UNUSED_PAD src0_sel:DWORD src1_sel:BYTE_3
	v_lshl_add_u32 v41, v41, 23, v43
	v_and_or_b32 v40, v40, s7, v41
	v_lshlrev_b32_e32 v16, 20, v16
	v_or_b32_e32 v51, v40, v16
	v_mov_b32_e32 v50, v17
.LBB245_409:                            ;   in Loop: Header=BB245_283 Depth=1
	s_or_b64 exec, exec, s[20:21]
.LBB245_410:                            ;   in Loop: Header=BB245_283 Depth=1
	s_or_b64 exec, exec, s[18:19]
.LBB245_411:                            ;   in Loop: Header=BB245_283 Depth=1
	s_or_b64 exec, exec, s[16:17]
	v_or_b32_e32 v41, v47, v45
	v_or_b32_e32 v40, v46, v44
	;; [unrolled: 1-line block ×4, first 2 shown]
	v_pk_mul_f32 v[40:41], s[10:11], v[40:41]
	v_pk_mul_f32 v[44:45], s[10:11], v[44:45]
	s_and_saveexec_b64 s[16:17], vcc
; %bb.412:                              ;   in Loop: Header=BB245_283 Depth=1
	v_cmp_gt_i32_e64 s[0:1], s29, v42
	v_cndmask_b32_e64 v40, 0, v40, s[0:1]
	v_cmp_gt_i32_e64 s[0:1], s29, v79
	v_cndmask_b32_e64 v41, 0, v41, s[0:1]
	;; [unrolled: 2-line block ×4, first 2 shown]
; %bb.413:                              ;   in Loop: Header=BB245_283 Depth=1
	s_or_b64 exec, exec, s[16:17]
	global_load_dword v46, v[26:27], off offset:1280
	v_pk_mov_b32 v[50:51], 0, 0
	v_pk_mov_b32 v[48:49], v[50:51], v[50:51] op_sel:[0,1]
	s_waitcnt vmcnt(0)
	v_cmp_ne_u16_sdwa s[0:1], v46, v17 src0_sel:BYTE_0 src1_sel:DWORD
	s_and_saveexec_b64 s[16:17], s[0:1]
	s_cbranch_execz .LBB245_419
; %bb.414:                              ;   in Loop: Header=BB245_283 Depth=1
	v_bfrev_b32_e32 v48, 1
	v_cmp_ne_u16_sdwa s[0:1], v46, s22 src0_sel:BYTE_0 src1_sel:DWORD
	v_mov_b32_e32 v49, 0
	s_and_saveexec_b64 s[18:19], s[0:1]
	s_cbranch_execz .LBB245_418
; %bb.415:                              ;   in Loop: Header=BB245_283 Depth=1
	v_and_b32_e32 v16, 0x7f, v46
	v_mov_b32_e32 v48, 0x7f800001
	v_cmp_ne_u32_e64 s[0:1], s23, v16
	v_mov_b32_e32 v49, 0
	s_and_saveexec_b64 s[20:21], s[0:1]
	s_cbranch_execz .LBB245_417
; %bb.416:                              ;   in Loop: Header=BB245_283 Depth=1
	v_and_b32_e32 v47, 7, v46
	v_ffbh_u32_e32 v48, v47
	v_min_u32_e32 v53, 32, v48
	v_subrev_u32_e32 v48, 28, v53
	v_lshlrev_b64 v[48:49], v48, v[46:47]
	v_lshrrev_b32_e32 v52, 3, v16
	v_sub_u32_e32 v49, 29, v53
	v_and_b32_e32 v48, 7, v48
	v_cmp_gt_u32_e64 s[0:1], 8, v16
	v_cndmask_b32_e64 v16, v52, v49, s[0:1]
	v_cndmask_b32_e64 v47, v47, v48, s[0:1]
	v_lshlrev_b32_e32 v47, 20, v47
	v_and_b32_sdwa v48, sext(v46), s7 dst_sel:DWORD dst_unused:UNUSED_PAD src0_sel:BYTE_0 src1_sel:DWORD
	v_lshl_add_u32 v16, v16, 23, v43
	v_or3_b32 v16, v48, v16, v47
	v_pk_mov_b32 v[48:49], v[16:17], v[16:17] op_sel:[0,1]
.LBB245_417:                            ;   in Loop: Header=BB245_283 Depth=1
	s_or_b64 exec, exec, s[20:21]
.LBB245_418:                            ;   in Loop: Header=BB245_283 Depth=1
	s_or_b64 exec, exec, s[18:19]
.LBB245_419:                            ;   in Loop: Header=BB245_283 Depth=1
	s_or_b64 exec, exec, s[16:17]
	v_cmp_ne_u16_sdwa s[0:1], v46, v17 src0_sel:BYTE_1 src1_sel:DWORD
	s_and_saveexec_b64 s[16:17], s[0:1]
	s_cbranch_execz .LBB245_425
; %bb.420:                              ;   in Loop: Header=BB245_283 Depth=1
	v_cmp_ne_u16_sdwa s[0:1], v46, s22 src0_sel:BYTE_1 src1_sel:DWORD
	v_pk_mov_b32 v[50:51], s[6:7], s[6:7] op_sel:[0,1]
	s_and_saveexec_b64 s[18:19], s[0:1]
	s_cbranch_execz .LBB245_424
; %bb.421:                              ;   in Loop: Header=BB245_283 Depth=1
	v_and_b32_sdwa v47, v46, s23 dst_sel:DWORD dst_unused:UNUSED_PAD src0_sel:BYTE_1 src1_sel:DWORD
	s_mov_b32 s14, s6
	v_cmp_ne_u32_e64 s[0:1], s23, v47
	v_pk_mov_b32 v[50:51], s[14:15], s[14:15] op_sel:[0,1]
	s_and_saveexec_b64 s[20:21], s[0:1]
	s_cbranch_execz .LBB245_423
; %bb.422:                              ;   in Loop: Header=BB245_283 Depth=1
	v_and_b32_sdwa v16, v46, v76 dst_sel:DWORD dst_unused:UNUSED_PAD src0_sel:BYTE_1 src1_sel:DWORD
	v_ffbh_u32_e32 v50, v16
	v_min_u32_e32 v53, 32, v50
	v_subrev_u32_e32 v50, 28, v53
	v_lshlrev_b64 v[50:51], v50, v[16:17]
	v_lshrrev_b32_e32 v52, 3, v47
	v_sub_u32_e32 v51, 29, v53
	v_cmp_gt_u32_e64 s[0:1], 8, v47
	v_and_b32_e32 v50, 7, v50
	v_cndmask_b32_e64 v47, v52, v51, s[0:1]
	v_cndmask_b32_e64 v16, v16, v50, s[0:1]
	v_lshlrev_b32_e32 v50, 16, v46
	v_lshl_add_u32 v47, v47, 23, v43
	v_and_or_b32 v47, v50, s7, v47
	v_lshlrev_b32_e32 v16, 20, v16
	v_or_b32_e32 v51, v47, v16
	v_mov_b32_e32 v50, v17
.LBB245_423:                            ;   in Loop: Header=BB245_283 Depth=1
	s_or_b64 exec, exec, s[20:21]
.LBB245_424:                            ;   in Loop: Header=BB245_283 Depth=1
	s_or_b64 exec, exec, s[18:19]
.LBB245_425:                            ;   in Loop: Header=BB245_283 Depth=1
	s_or_b64 exec, exec, s[16:17]
	v_lshrrev_b32_e32 v16, 16, v46
	v_pk_mov_b32 v[54:55], 0, 0
	v_cmp_ne_u16_sdwa s[0:1], v16, v17 src0_sel:BYTE_0 src1_sel:DWORD
	v_pk_mov_b32 v[52:53], v[54:55], v[54:55] op_sel:[0,1]
	s_and_saveexec_b64 s[16:17], s[0:1]
	s_cbranch_execz .LBB245_431
; %bb.426:                              ;   in Loop: Header=BB245_283 Depth=1
	v_bfrev_b32_e32 v52, 1
	v_cmp_ne_u16_sdwa s[0:1], v16, s22 src0_sel:BYTE_0 src1_sel:DWORD
	v_mov_b32_e32 v53, 0
	s_and_saveexec_b64 s[18:19], s[0:1]
	s_cbranch_execz .LBB245_430
; %bb.427:                              ;   in Loop: Header=BB245_283 Depth=1
	v_bfe_u32 v47, v46, 16, 7
	v_mov_b32_e32 v52, 0x7f800001
	v_cmp_ne_u32_e64 s[0:1], s23, v47
	v_mov_b32_e32 v53, 0
	s_and_saveexec_b64 s[20:21], s[0:1]
	s_cbranch_execz .LBB245_429
; %bb.428:                              ;   in Loop: Header=BB245_283 Depth=1
	v_and_b32_e32 v56, 7, v16
	v_ffbh_u32_e32 v52, v56
	v_min_u32_e32 v58, 32, v52
	v_subrev_u32_e32 v52, 28, v58
	v_lshlrev_b64 v[52:53], v52, v[16:17]
	v_lshrrev_b32_e32 v57, 3, v47
	v_sub_u32_e32 v53, 29, v58
	v_and_b32_e32 v52, 7, v52
	v_cmp_gt_u32_e64 s[0:1], 8, v47
	v_cndmask_b32_e64 v47, v57, v53, s[0:1]
	v_cndmask_b32_e64 v52, v56, v52, s[0:1]
	v_lshlrev_b32_e32 v52, 20, v52
	v_and_b32_sdwa v16, sext(v16), s7 dst_sel:DWORD dst_unused:UNUSED_PAD src0_sel:BYTE_0 src1_sel:DWORD
	v_lshl_add_u32 v47, v47, 23, v43
	v_or3_b32 v16, v16, v47, v52
	v_pk_mov_b32 v[52:53], v[16:17], v[16:17] op_sel:[0,1]
.LBB245_429:                            ;   in Loop: Header=BB245_283 Depth=1
	s_or_b64 exec, exec, s[20:21]
.LBB245_430:                            ;   in Loop: Header=BB245_283 Depth=1
	s_or_b64 exec, exec, s[18:19]
.LBB245_431:                            ;   in Loop: Header=BB245_283 Depth=1
	s_or_b64 exec, exec, s[16:17]
	v_cmp_lt_u32_e64 s[0:1], s28, v46
	s_and_saveexec_b64 s[16:17], s[0:1]
	s_cbranch_execz .LBB245_437
; %bb.432:                              ;   in Loop: Header=BB245_283 Depth=1
	v_cmp_ne_u32_sdwa s[0:1], v46, s22 src0_sel:BYTE_3 src1_sel:DWORD
	v_pk_mov_b32 v[54:55], s[6:7], s[6:7] op_sel:[0,1]
	s_and_saveexec_b64 s[18:19], s[0:1]
	s_cbranch_execz .LBB245_436
; %bb.433:                              ;   in Loop: Header=BB245_283 Depth=1
	v_bfe_u32 v47, v46, 24, 7
	s_mov_b32 s14, s6
	v_cmp_ne_u32_e64 s[0:1], s23, v47
	v_pk_mov_b32 v[54:55], s[14:15], s[14:15] op_sel:[0,1]
	s_and_saveexec_b64 s[20:21], s[0:1]
	s_cbranch_execz .LBB245_435
; %bb.434:                              ;   in Loop: Header=BB245_283 Depth=1
	v_and_b32_sdwa v16, v46, v76 dst_sel:DWORD dst_unused:UNUSED_PAD src0_sel:BYTE_3 src1_sel:DWORD
	v_ffbh_u32_e32 v54, v16
	v_min_u32_e32 v57, 32, v54
	v_subrev_u32_e32 v54, 28, v57
	v_lshlrev_b64 v[54:55], v54, v[16:17]
	v_lshrrev_b32_e32 v56, 3, v47
	v_sub_u32_e32 v55, 29, v57
	v_cmp_gt_u32_e64 s[0:1], 8, v47
	v_and_b32_e32 v54, 7, v54
	v_cndmask_b32_e64 v47, v56, v55, s[0:1]
	v_cndmask_b32_e64 v16, v16, v54, s[0:1]
	v_lshlrev_b32_sdwa v46, v77, v46 dst_sel:DWORD dst_unused:UNUSED_PAD src0_sel:DWORD src1_sel:BYTE_3
	v_lshl_add_u32 v47, v47, 23, v43
	v_and_or_b32 v46, v46, s7, v47
	v_lshlrev_b32_e32 v16, 20, v16
	v_or_b32_e32 v55, v46, v16
	v_mov_b32_e32 v54, v17
.LBB245_435:                            ;   in Loop: Header=BB245_283 Depth=1
	s_or_b64 exec, exec, s[20:21]
.LBB245_436:                            ;   in Loop: Header=BB245_283 Depth=1
	s_or_b64 exec, exec, s[18:19]
.LBB245_437:                            ;   in Loop: Header=BB245_283 Depth=1
	s_or_b64 exec, exec, s[16:17]
	v_or_b32_e32 v47, v51, v49
	v_or_b32_e32 v46, v50, v48
	;; [unrolled: 1-line block ×4, first 2 shown]
	v_pk_mul_f32 v[46:47], s[10:11], v[46:47]
	v_pk_mul_f32 v[48:49], s[10:11], v[48:49]
	s_and_saveexec_b64 s[16:17], vcc
; %bb.438:                              ;   in Loop: Header=BB245_283 Depth=1
	v_cmp_gt_i32_e64 s[0:1], s29, v42
	v_cndmask_b32_e64 v46, 0, v46, s[0:1]
	v_cmp_gt_i32_e64 s[0:1], s29, v79
	v_cndmask_b32_e64 v47, 0, v47, s[0:1]
	;; [unrolled: 2-line block ×4, first 2 shown]
; %bb.439:                              ;   in Loop: Header=BB245_283 Depth=1
	s_or_b64 exec, exec, s[16:17]
	global_load_dword v50, v[26:27], off offset:1536
	v_pk_mov_b32 v[54:55], 0, 0
	v_pk_mov_b32 v[52:53], v[54:55], v[54:55] op_sel:[0,1]
	s_waitcnt vmcnt(0)
	v_cmp_ne_u16_sdwa s[0:1], v50, v17 src0_sel:BYTE_0 src1_sel:DWORD
	s_and_saveexec_b64 s[16:17], s[0:1]
	s_cbranch_execz .LBB245_445
; %bb.440:                              ;   in Loop: Header=BB245_283 Depth=1
	v_bfrev_b32_e32 v52, 1
	v_cmp_ne_u16_sdwa s[0:1], v50, s22 src0_sel:BYTE_0 src1_sel:DWORD
	v_mov_b32_e32 v53, 0
	s_and_saveexec_b64 s[18:19], s[0:1]
	s_cbranch_execz .LBB245_444
; %bb.441:                              ;   in Loop: Header=BB245_283 Depth=1
	v_and_b32_e32 v16, 0x7f, v50
	v_mov_b32_e32 v52, 0x7f800001
	v_cmp_ne_u32_e64 s[0:1], s23, v16
	v_mov_b32_e32 v53, 0
	s_and_saveexec_b64 s[20:21], s[0:1]
	s_cbranch_execz .LBB245_443
; %bb.442:                              ;   in Loop: Header=BB245_283 Depth=1
	v_and_b32_e32 v51, 7, v50
	v_ffbh_u32_e32 v52, v51
	v_min_u32_e32 v57, 32, v52
	v_subrev_u32_e32 v52, 28, v57
	v_lshlrev_b64 v[52:53], v52, v[50:51]
	v_lshrrev_b32_e32 v56, 3, v16
	v_sub_u32_e32 v53, 29, v57
	v_and_b32_e32 v52, 7, v52
	v_cmp_gt_u32_e64 s[0:1], 8, v16
	v_cndmask_b32_e64 v16, v56, v53, s[0:1]
	v_cndmask_b32_e64 v51, v51, v52, s[0:1]
	v_lshlrev_b32_e32 v51, 20, v51
	v_and_b32_sdwa v52, sext(v50), s7 dst_sel:DWORD dst_unused:UNUSED_PAD src0_sel:BYTE_0 src1_sel:DWORD
	v_lshl_add_u32 v16, v16, 23, v43
	v_or3_b32 v16, v52, v16, v51
	v_pk_mov_b32 v[52:53], v[16:17], v[16:17] op_sel:[0,1]
.LBB245_443:                            ;   in Loop: Header=BB245_283 Depth=1
	s_or_b64 exec, exec, s[20:21]
.LBB245_444:                            ;   in Loop: Header=BB245_283 Depth=1
	s_or_b64 exec, exec, s[18:19]
.LBB245_445:                            ;   in Loop: Header=BB245_283 Depth=1
	s_or_b64 exec, exec, s[16:17]
	v_cmp_ne_u16_sdwa s[0:1], v50, v17 src0_sel:BYTE_1 src1_sel:DWORD
	s_and_saveexec_b64 s[16:17], s[0:1]
	s_cbranch_execz .LBB245_451
; %bb.446:                              ;   in Loop: Header=BB245_283 Depth=1
	v_cmp_ne_u16_sdwa s[0:1], v50, s22 src0_sel:BYTE_1 src1_sel:DWORD
	v_pk_mov_b32 v[54:55], s[6:7], s[6:7] op_sel:[0,1]
	s_and_saveexec_b64 s[18:19], s[0:1]
	s_cbranch_execz .LBB245_450
; %bb.447:                              ;   in Loop: Header=BB245_283 Depth=1
	v_and_b32_sdwa v51, v50, s23 dst_sel:DWORD dst_unused:UNUSED_PAD src0_sel:BYTE_1 src1_sel:DWORD
	s_mov_b32 s14, s6
	v_cmp_ne_u32_e64 s[0:1], s23, v51
	v_pk_mov_b32 v[54:55], s[14:15], s[14:15] op_sel:[0,1]
	s_and_saveexec_b64 s[20:21], s[0:1]
	s_cbranch_execz .LBB245_449
; %bb.448:                              ;   in Loop: Header=BB245_283 Depth=1
	v_and_b32_sdwa v16, v50, v76 dst_sel:DWORD dst_unused:UNUSED_PAD src0_sel:BYTE_1 src1_sel:DWORD
	v_ffbh_u32_e32 v54, v16
	v_min_u32_e32 v57, 32, v54
	v_subrev_u32_e32 v54, 28, v57
	v_lshlrev_b64 v[54:55], v54, v[16:17]
	v_lshrrev_b32_e32 v56, 3, v51
	v_sub_u32_e32 v55, 29, v57
	v_cmp_gt_u32_e64 s[0:1], 8, v51
	v_and_b32_e32 v54, 7, v54
	v_cndmask_b32_e64 v51, v56, v55, s[0:1]
	v_cndmask_b32_e64 v16, v16, v54, s[0:1]
	v_lshlrev_b32_e32 v54, 16, v50
	v_lshl_add_u32 v51, v51, 23, v43
	v_and_or_b32 v51, v54, s7, v51
	v_lshlrev_b32_e32 v16, 20, v16
	v_or_b32_e32 v55, v51, v16
	v_mov_b32_e32 v54, v17
.LBB245_449:                            ;   in Loop: Header=BB245_283 Depth=1
	s_or_b64 exec, exec, s[20:21]
.LBB245_450:                            ;   in Loop: Header=BB245_283 Depth=1
	s_or_b64 exec, exec, s[18:19]
.LBB245_451:                            ;   in Loop: Header=BB245_283 Depth=1
	s_or_b64 exec, exec, s[16:17]
	v_lshrrev_b32_e32 v16, 16, v50
	v_pk_mov_b32 v[58:59], 0, 0
	v_cmp_ne_u16_sdwa s[0:1], v16, v17 src0_sel:BYTE_0 src1_sel:DWORD
	v_pk_mov_b32 v[56:57], v[58:59], v[58:59] op_sel:[0,1]
	s_and_saveexec_b64 s[16:17], s[0:1]
	s_cbranch_execz .LBB245_457
; %bb.452:                              ;   in Loop: Header=BB245_283 Depth=1
	v_bfrev_b32_e32 v56, 1
	v_cmp_ne_u16_sdwa s[0:1], v16, s22 src0_sel:BYTE_0 src1_sel:DWORD
	v_mov_b32_e32 v57, 0
	s_and_saveexec_b64 s[18:19], s[0:1]
	s_cbranch_execz .LBB245_456
; %bb.453:                              ;   in Loop: Header=BB245_283 Depth=1
	v_bfe_u32 v51, v50, 16, 7
	v_mov_b32_e32 v56, 0x7f800001
	v_cmp_ne_u32_e64 s[0:1], s23, v51
	v_mov_b32_e32 v57, 0
	s_and_saveexec_b64 s[20:21], s[0:1]
	s_cbranch_execz .LBB245_455
; %bb.454:                              ;   in Loop: Header=BB245_283 Depth=1
	v_and_b32_e32 v60, 7, v16
	v_ffbh_u32_e32 v56, v60
	v_min_u32_e32 v62, 32, v56
	v_subrev_u32_e32 v56, 28, v62
	v_lshlrev_b64 v[56:57], v56, v[16:17]
	v_lshrrev_b32_e32 v61, 3, v51
	v_sub_u32_e32 v57, 29, v62
	v_and_b32_e32 v56, 7, v56
	v_cmp_gt_u32_e64 s[0:1], 8, v51
	v_cndmask_b32_e64 v51, v61, v57, s[0:1]
	v_cndmask_b32_e64 v56, v60, v56, s[0:1]
	v_lshlrev_b32_e32 v56, 20, v56
	v_and_b32_sdwa v16, sext(v16), s7 dst_sel:DWORD dst_unused:UNUSED_PAD src0_sel:BYTE_0 src1_sel:DWORD
	v_lshl_add_u32 v51, v51, 23, v43
	v_or3_b32 v16, v16, v51, v56
	v_pk_mov_b32 v[56:57], v[16:17], v[16:17] op_sel:[0,1]
.LBB245_455:                            ;   in Loop: Header=BB245_283 Depth=1
	s_or_b64 exec, exec, s[20:21]
.LBB245_456:                            ;   in Loop: Header=BB245_283 Depth=1
	s_or_b64 exec, exec, s[18:19]
.LBB245_457:                            ;   in Loop: Header=BB245_283 Depth=1
	s_or_b64 exec, exec, s[16:17]
	v_cmp_lt_u32_e64 s[0:1], s28, v50
	s_and_saveexec_b64 s[16:17], s[0:1]
	s_cbranch_execz .LBB245_463
; %bb.458:                              ;   in Loop: Header=BB245_283 Depth=1
	v_cmp_ne_u32_sdwa s[0:1], v50, s22 src0_sel:BYTE_3 src1_sel:DWORD
	v_pk_mov_b32 v[58:59], s[6:7], s[6:7] op_sel:[0,1]
	s_and_saveexec_b64 s[18:19], s[0:1]
	s_cbranch_execz .LBB245_462
; %bb.459:                              ;   in Loop: Header=BB245_283 Depth=1
	v_bfe_u32 v51, v50, 24, 7
	s_mov_b32 s14, s6
	v_cmp_ne_u32_e64 s[0:1], s23, v51
	v_pk_mov_b32 v[58:59], s[14:15], s[14:15] op_sel:[0,1]
	s_and_saveexec_b64 s[20:21], s[0:1]
	s_cbranch_execz .LBB245_461
; %bb.460:                              ;   in Loop: Header=BB245_283 Depth=1
	v_and_b32_sdwa v16, v50, v76 dst_sel:DWORD dst_unused:UNUSED_PAD src0_sel:BYTE_3 src1_sel:DWORD
	v_ffbh_u32_e32 v58, v16
	v_min_u32_e32 v61, 32, v58
	v_subrev_u32_e32 v58, 28, v61
	v_lshlrev_b64 v[58:59], v58, v[16:17]
	v_lshrrev_b32_e32 v60, 3, v51
	v_sub_u32_e32 v59, 29, v61
	v_cmp_gt_u32_e64 s[0:1], 8, v51
	v_and_b32_e32 v58, 7, v58
	v_cndmask_b32_e64 v51, v60, v59, s[0:1]
	v_cndmask_b32_e64 v16, v16, v58, s[0:1]
	v_lshlrev_b32_sdwa v50, v77, v50 dst_sel:DWORD dst_unused:UNUSED_PAD src0_sel:DWORD src1_sel:BYTE_3
	v_lshl_add_u32 v51, v51, 23, v43
	v_and_or_b32 v50, v50, s7, v51
	v_lshlrev_b32_e32 v16, 20, v16
	v_or_b32_e32 v59, v50, v16
	v_mov_b32_e32 v58, v17
.LBB245_461:                            ;   in Loop: Header=BB245_283 Depth=1
	s_or_b64 exec, exec, s[20:21]
.LBB245_462:                            ;   in Loop: Header=BB245_283 Depth=1
	s_or_b64 exec, exec, s[18:19]
.LBB245_463:                            ;   in Loop: Header=BB245_283 Depth=1
	s_or_b64 exec, exec, s[16:17]
	v_or_b32_e32 v51, v55, v53
	v_or_b32_e32 v50, v54, v52
	;; [unrolled: 1-line block ×4, first 2 shown]
	v_pk_mul_f32 v[50:51], s[10:11], v[50:51]
	v_pk_mul_f32 v[52:53], s[10:11], v[52:53]
	s_and_saveexec_b64 s[16:17], vcc
; %bb.464:                              ;   in Loop: Header=BB245_283 Depth=1
	v_cmp_gt_i32_e64 s[0:1], s29, v42
	v_cndmask_b32_e64 v50, 0, v50, s[0:1]
	v_cmp_gt_i32_e64 s[0:1], s29, v79
	v_cndmask_b32_e64 v51, 0, v51, s[0:1]
	;; [unrolled: 2-line block ×4, first 2 shown]
; %bb.465:                              ;   in Loop: Header=BB245_283 Depth=1
	s_or_b64 exec, exec, s[16:17]
	global_load_dword v54, v[26:27], off offset:1792
	v_pk_mov_b32 v[58:59], 0, 0
	v_pk_mov_b32 v[56:57], v[58:59], v[58:59] op_sel:[0,1]
	s_waitcnt vmcnt(0)
	v_cmp_ne_u16_sdwa s[0:1], v54, v17 src0_sel:BYTE_0 src1_sel:DWORD
	s_and_saveexec_b64 s[16:17], s[0:1]
	s_cbranch_execz .LBB245_471
; %bb.466:                              ;   in Loop: Header=BB245_283 Depth=1
	v_bfrev_b32_e32 v56, 1
	v_cmp_ne_u16_sdwa s[0:1], v54, s22 src0_sel:BYTE_0 src1_sel:DWORD
	v_mov_b32_e32 v57, 0
	s_and_saveexec_b64 s[18:19], s[0:1]
	s_cbranch_execz .LBB245_470
; %bb.467:                              ;   in Loop: Header=BB245_283 Depth=1
	v_and_b32_e32 v16, 0x7f, v54
	v_mov_b32_e32 v56, 0x7f800001
	v_cmp_ne_u32_e64 s[0:1], s23, v16
	v_mov_b32_e32 v57, 0
	s_and_saveexec_b64 s[20:21], s[0:1]
	s_cbranch_execz .LBB245_469
; %bb.468:                              ;   in Loop: Header=BB245_283 Depth=1
	v_and_b32_e32 v55, 7, v54
	v_ffbh_u32_e32 v56, v55
	v_min_u32_e32 v61, 32, v56
	v_subrev_u32_e32 v56, 28, v61
	v_lshlrev_b64 v[56:57], v56, v[54:55]
	v_lshrrev_b32_e32 v60, 3, v16
	v_sub_u32_e32 v57, 29, v61
	v_and_b32_e32 v56, 7, v56
	v_cmp_gt_u32_e64 s[0:1], 8, v16
	v_cndmask_b32_e64 v16, v60, v57, s[0:1]
	v_cndmask_b32_e64 v55, v55, v56, s[0:1]
	v_lshlrev_b32_e32 v55, 20, v55
	v_and_b32_sdwa v56, sext(v54), s7 dst_sel:DWORD dst_unused:UNUSED_PAD src0_sel:BYTE_0 src1_sel:DWORD
	v_lshl_add_u32 v16, v16, 23, v43
	v_or3_b32 v16, v56, v16, v55
	v_pk_mov_b32 v[56:57], v[16:17], v[16:17] op_sel:[0,1]
.LBB245_469:                            ;   in Loop: Header=BB245_283 Depth=1
	s_or_b64 exec, exec, s[20:21]
.LBB245_470:                            ;   in Loop: Header=BB245_283 Depth=1
	s_or_b64 exec, exec, s[18:19]
.LBB245_471:                            ;   in Loop: Header=BB245_283 Depth=1
	s_or_b64 exec, exec, s[16:17]
	v_cmp_ne_u16_sdwa s[0:1], v54, v17 src0_sel:BYTE_1 src1_sel:DWORD
	s_and_saveexec_b64 s[16:17], s[0:1]
	s_cbranch_execz .LBB245_477
; %bb.472:                              ;   in Loop: Header=BB245_283 Depth=1
	v_cmp_ne_u16_sdwa s[0:1], v54, s22 src0_sel:BYTE_1 src1_sel:DWORD
	v_pk_mov_b32 v[58:59], s[6:7], s[6:7] op_sel:[0,1]
	s_and_saveexec_b64 s[18:19], s[0:1]
	s_cbranch_execz .LBB245_476
; %bb.473:                              ;   in Loop: Header=BB245_283 Depth=1
	v_and_b32_sdwa v55, v54, s23 dst_sel:DWORD dst_unused:UNUSED_PAD src0_sel:BYTE_1 src1_sel:DWORD
	s_mov_b32 s14, s6
	v_cmp_ne_u32_e64 s[0:1], s23, v55
	v_pk_mov_b32 v[58:59], s[14:15], s[14:15] op_sel:[0,1]
	s_and_saveexec_b64 s[20:21], s[0:1]
	s_cbranch_execz .LBB245_475
; %bb.474:                              ;   in Loop: Header=BB245_283 Depth=1
	v_and_b32_sdwa v16, v54, v76 dst_sel:DWORD dst_unused:UNUSED_PAD src0_sel:BYTE_1 src1_sel:DWORD
	v_ffbh_u32_e32 v58, v16
	v_min_u32_e32 v61, 32, v58
	v_subrev_u32_e32 v58, 28, v61
	v_lshlrev_b64 v[58:59], v58, v[16:17]
	v_lshrrev_b32_e32 v60, 3, v55
	v_sub_u32_e32 v59, 29, v61
	v_cmp_gt_u32_e64 s[0:1], 8, v55
	v_and_b32_e32 v58, 7, v58
	v_cndmask_b32_e64 v55, v60, v59, s[0:1]
	v_cndmask_b32_e64 v16, v16, v58, s[0:1]
	v_lshlrev_b32_e32 v58, 16, v54
	v_lshl_add_u32 v55, v55, 23, v43
	v_and_or_b32 v55, v58, s7, v55
	v_lshlrev_b32_e32 v16, 20, v16
	v_or_b32_e32 v59, v55, v16
	v_mov_b32_e32 v58, v17
.LBB245_475:                            ;   in Loop: Header=BB245_283 Depth=1
	s_or_b64 exec, exec, s[20:21]
.LBB245_476:                            ;   in Loop: Header=BB245_283 Depth=1
	s_or_b64 exec, exec, s[18:19]
.LBB245_477:                            ;   in Loop: Header=BB245_283 Depth=1
	s_or_b64 exec, exec, s[16:17]
	v_lshrrev_b32_e32 v16, 16, v54
	v_pk_mov_b32 v[62:63], 0, 0
	v_cmp_ne_u16_sdwa s[0:1], v16, v17 src0_sel:BYTE_0 src1_sel:DWORD
	v_pk_mov_b32 v[60:61], v[62:63], v[62:63] op_sel:[0,1]
	s_and_saveexec_b64 s[16:17], s[0:1]
	s_cbranch_execz .LBB245_483
; %bb.478:                              ;   in Loop: Header=BB245_283 Depth=1
	v_bfrev_b32_e32 v60, 1
	v_cmp_ne_u16_sdwa s[0:1], v16, s22 src0_sel:BYTE_0 src1_sel:DWORD
	v_mov_b32_e32 v61, 0
	s_and_saveexec_b64 s[18:19], s[0:1]
	s_cbranch_execz .LBB245_482
; %bb.479:                              ;   in Loop: Header=BB245_283 Depth=1
	v_bfe_u32 v55, v54, 16, 7
	v_mov_b32_e32 v60, 0x7f800001
	v_cmp_ne_u32_e64 s[0:1], s23, v55
	v_mov_b32_e32 v61, 0
	s_and_saveexec_b64 s[20:21], s[0:1]
	s_cbranch_execz .LBB245_481
; %bb.480:                              ;   in Loop: Header=BB245_283 Depth=1
	v_and_b32_e32 v64, 7, v16
	v_ffbh_u32_e32 v60, v64
	v_min_u32_e32 v66, 32, v60
	v_subrev_u32_e32 v60, 28, v66
	v_lshlrev_b64 v[60:61], v60, v[16:17]
	v_lshrrev_b32_e32 v65, 3, v55
	v_sub_u32_e32 v61, 29, v66
	v_and_b32_e32 v60, 7, v60
	v_cmp_gt_u32_e64 s[0:1], 8, v55
	v_cndmask_b32_e64 v55, v65, v61, s[0:1]
	v_cndmask_b32_e64 v60, v64, v60, s[0:1]
	v_lshlrev_b32_e32 v60, 20, v60
	v_and_b32_sdwa v16, sext(v16), s7 dst_sel:DWORD dst_unused:UNUSED_PAD src0_sel:BYTE_0 src1_sel:DWORD
	v_lshl_add_u32 v55, v55, 23, v43
	v_or3_b32 v16, v16, v55, v60
	v_pk_mov_b32 v[60:61], v[16:17], v[16:17] op_sel:[0,1]
.LBB245_481:                            ;   in Loop: Header=BB245_283 Depth=1
	s_or_b64 exec, exec, s[20:21]
.LBB245_482:                            ;   in Loop: Header=BB245_283 Depth=1
	s_or_b64 exec, exec, s[18:19]
.LBB245_483:                            ;   in Loop: Header=BB245_283 Depth=1
	s_or_b64 exec, exec, s[16:17]
	v_cmp_lt_u32_e64 s[0:1], s28, v54
	s_and_saveexec_b64 s[16:17], s[0:1]
	s_cbranch_execz .LBB245_489
; %bb.484:                              ;   in Loop: Header=BB245_283 Depth=1
	v_cmp_ne_u32_sdwa s[0:1], v54, s22 src0_sel:BYTE_3 src1_sel:DWORD
	v_pk_mov_b32 v[62:63], s[6:7], s[6:7] op_sel:[0,1]
	s_and_saveexec_b64 s[18:19], s[0:1]
	s_cbranch_execz .LBB245_488
; %bb.485:                              ;   in Loop: Header=BB245_283 Depth=1
	v_bfe_u32 v55, v54, 24, 7
	s_mov_b32 s14, s6
	v_cmp_ne_u32_e64 s[0:1], s23, v55
	v_pk_mov_b32 v[62:63], s[14:15], s[14:15] op_sel:[0,1]
	s_and_saveexec_b64 s[20:21], s[0:1]
	s_cbranch_execz .LBB245_487
; %bb.486:                              ;   in Loop: Header=BB245_283 Depth=1
	v_and_b32_sdwa v16, v54, v76 dst_sel:DWORD dst_unused:UNUSED_PAD src0_sel:BYTE_3 src1_sel:DWORD
	v_ffbh_u32_e32 v62, v16
	v_min_u32_e32 v65, 32, v62
	v_subrev_u32_e32 v62, 28, v65
	v_lshlrev_b64 v[62:63], v62, v[16:17]
	v_lshrrev_b32_e32 v64, 3, v55
	v_sub_u32_e32 v63, 29, v65
	v_cmp_gt_u32_e64 s[0:1], 8, v55
	v_and_b32_e32 v62, 7, v62
	v_cndmask_b32_e64 v55, v64, v63, s[0:1]
	v_cndmask_b32_e64 v16, v16, v62, s[0:1]
	v_lshlrev_b32_sdwa v54, v77, v54 dst_sel:DWORD dst_unused:UNUSED_PAD src0_sel:DWORD src1_sel:BYTE_3
	v_lshl_add_u32 v55, v55, 23, v43
	v_and_or_b32 v54, v54, s7, v55
	v_lshlrev_b32_e32 v16, 20, v16
	v_or_b32_e32 v63, v54, v16
	v_mov_b32_e32 v62, v17
.LBB245_487:                            ;   in Loop: Header=BB245_283 Depth=1
	s_or_b64 exec, exec, s[20:21]
.LBB245_488:                            ;   in Loop: Header=BB245_283 Depth=1
	s_or_b64 exec, exec, s[18:19]
.LBB245_489:                            ;   in Loop: Header=BB245_283 Depth=1
	s_or_b64 exec, exec, s[16:17]
	v_or_b32_e32 v55, v59, v57
	v_or_b32_e32 v54, v58, v56
	;; [unrolled: 1-line block ×4, first 2 shown]
	v_pk_mul_f32 v[54:55], s[10:11], v[54:55]
	v_pk_mul_f32 v[56:57], s[10:11], v[56:57]
	s_and_saveexec_b64 s[16:17], vcc
; %bb.490:                              ;   in Loop: Header=BB245_283 Depth=1
	v_cmp_gt_i32_e64 s[0:1], s29, v42
	v_cndmask_b32_e64 v54, 0, v54, s[0:1]
	v_cmp_gt_i32_e64 s[0:1], s29, v79
	v_cndmask_b32_e64 v55, 0, v55, s[0:1]
	v_cmp_gt_i32_e64 s[0:1], s29, v78
	v_cndmask_b32_e64 v56, 0, v56, s[0:1]
	v_cmp_gt_i32_e64 s[0:1], s29, v74
	v_cndmask_b32_e64 v57, 0, v57, s[0:1]
; %bb.491:                              ;   in Loop: Header=BB245_283 Depth=1
	s_or_b64 exec, exec, s[16:17]
	global_load_dword v58, v[26:27], off offset:2048
	v_pk_mov_b32 v[62:63], 0, 0
	v_pk_mov_b32 v[60:61], v[62:63], v[62:63] op_sel:[0,1]
	s_waitcnt vmcnt(0)
	v_cmp_ne_u16_sdwa s[0:1], v58, v17 src0_sel:BYTE_0 src1_sel:DWORD
	s_and_saveexec_b64 s[16:17], s[0:1]
	s_cbranch_execz .LBB245_497
; %bb.492:                              ;   in Loop: Header=BB245_283 Depth=1
	v_bfrev_b32_e32 v60, 1
	v_cmp_ne_u16_sdwa s[0:1], v58, s22 src0_sel:BYTE_0 src1_sel:DWORD
	v_mov_b32_e32 v61, 0
	s_and_saveexec_b64 s[18:19], s[0:1]
	s_cbranch_execz .LBB245_496
; %bb.493:                              ;   in Loop: Header=BB245_283 Depth=1
	v_and_b32_e32 v16, 0x7f, v58
	v_mov_b32_e32 v60, 0x7f800001
	v_cmp_ne_u32_e64 s[0:1], s23, v16
	v_mov_b32_e32 v61, 0
	s_and_saveexec_b64 s[20:21], s[0:1]
	s_cbranch_execz .LBB245_495
; %bb.494:                              ;   in Loop: Header=BB245_283 Depth=1
	v_and_b32_e32 v59, 7, v58
	v_ffbh_u32_e32 v60, v59
	v_min_u32_e32 v65, 32, v60
	v_subrev_u32_e32 v60, 28, v65
	v_lshlrev_b64 v[60:61], v60, v[58:59]
	v_lshrrev_b32_e32 v64, 3, v16
	v_sub_u32_e32 v61, 29, v65
	v_and_b32_e32 v60, 7, v60
	v_cmp_gt_u32_e64 s[0:1], 8, v16
	v_cndmask_b32_e64 v16, v64, v61, s[0:1]
	v_cndmask_b32_e64 v59, v59, v60, s[0:1]
	v_lshlrev_b32_e32 v59, 20, v59
	v_and_b32_sdwa v60, sext(v58), s7 dst_sel:DWORD dst_unused:UNUSED_PAD src0_sel:BYTE_0 src1_sel:DWORD
	v_lshl_add_u32 v16, v16, 23, v43
	v_or3_b32 v16, v60, v16, v59
	v_pk_mov_b32 v[60:61], v[16:17], v[16:17] op_sel:[0,1]
.LBB245_495:                            ;   in Loop: Header=BB245_283 Depth=1
	s_or_b64 exec, exec, s[20:21]
.LBB245_496:                            ;   in Loop: Header=BB245_283 Depth=1
	s_or_b64 exec, exec, s[18:19]
.LBB245_497:                            ;   in Loop: Header=BB245_283 Depth=1
	s_or_b64 exec, exec, s[16:17]
	v_cmp_ne_u16_sdwa s[0:1], v58, v17 src0_sel:BYTE_1 src1_sel:DWORD
	s_and_saveexec_b64 s[16:17], s[0:1]
	s_cbranch_execz .LBB245_503
; %bb.498:                              ;   in Loop: Header=BB245_283 Depth=1
	v_cmp_ne_u16_sdwa s[0:1], v58, s22 src0_sel:BYTE_1 src1_sel:DWORD
	v_pk_mov_b32 v[62:63], s[6:7], s[6:7] op_sel:[0,1]
	s_and_saveexec_b64 s[18:19], s[0:1]
	s_cbranch_execz .LBB245_502
; %bb.499:                              ;   in Loop: Header=BB245_283 Depth=1
	v_and_b32_sdwa v59, v58, s23 dst_sel:DWORD dst_unused:UNUSED_PAD src0_sel:BYTE_1 src1_sel:DWORD
	s_mov_b32 s14, s6
	v_cmp_ne_u32_e64 s[0:1], s23, v59
	v_pk_mov_b32 v[62:63], s[14:15], s[14:15] op_sel:[0,1]
	s_and_saveexec_b64 s[20:21], s[0:1]
	s_cbranch_execz .LBB245_501
; %bb.500:                              ;   in Loop: Header=BB245_283 Depth=1
	v_and_b32_sdwa v16, v58, v76 dst_sel:DWORD dst_unused:UNUSED_PAD src0_sel:BYTE_1 src1_sel:DWORD
	v_ffbh_u32_e32 v62, v16
	v_min_u32_e32 v65, 32, v62
	v_subrev_u32_e32 v62, 28, v65
	v_lshlrev_b64 v[62:63], v62, v[16:17]
	v_lshrrev_b32_e32 v64, 3, v59
	v_sub_u32_e32 v63, 29, v65
	v_cmp_gt_u32_e64 s[0:1], 8, v59
	v_and_b32_e32 v62, 7, v62
	v_cndmask_b32_e64 v59, v64, v63, s[0:1]
	v_cndmask_b32_e64 v16, v16, v62, s[0:1]
	v_lshlrev_b32_e32 v62, 16, v58
	v_lshl_add_u32 v59, v59, 23, v43
	v_and_or_b32 v59, v62, s7, v59
	v_lshlrev_b32_e32 v16, 20, v16
	v_or_b32_e32 v63, v59, v16
	v_mov_b32_e32 v62, v17
.LBB245_501:                            ;   in Loop: Header=BB245_283 Depth=1
	s_or_b64 exec, exec, s[20:21]
.LBB245_502:                            ;   in Loop: Header=BB245_283 Depth=1
	s_or_b64 exec, exec, s[18:19]
.LBB245_503:                            ;   in Loop: Header=BB245_283 Depth=1
	s_or_b64 exec, exec, s[16:17]
	v_lshrrev_b32_e32 v16, 16, v58
	v_pk_mov_b32 v[66:67], 0, 0
	v_cmp_ne_u16_sdwa s[0:1], v16, v17 src0_sel:BYTE_0 src1_sel:DWORD
	v_pk_mov_b32 v[64:65], v[66:67], v[66:67] op_sel:[0,1]
	s_and_saveexec_b64 s[16:17], s[0:1]
	s_cbranch_execz .LBB245_509
; %bb.504:                              ;   in Loop: Header=BB245_283 Depth=1
	v_bfrev_b32_e32 v64, 1
	v_cmp_ne_u16_sdwa s[0:1], v16, s22 src0_sel:BYTE_0 src1_sel:DWORD
	v_mov_b32_e32 v65, 0
	s_and_saveexec_b64 s[18:19], s[0:1]
	s_cbranch_execz .LBB245_508
; %bb.505:                              ;   in Loop: Header=BB245_283 Depth=1
	v_bfe_u32 v59, v58, 16, 7
	v_mov_b32_e32 v64, 0x7f800001
	v_cmp_ne_u32_e64 s[0:1], s23, v59
	v_mov_b32_e32 v65, 0
	s_and_saveexec_b64 s[20:21], s[0:1]
	s_cbranch_execz .LBB245_507
; %bb.506:                              ;   in Loop: Header=BB245_283 Depth=1
	v_and_b32_e32 v68, 7, v16
	v_ffbh_u32_e32 v64, v68
	v_min_u32_e32 v80, 32, v64
	v_subrev_u32_e32 v64, 28, v80
	v_lshlrev_b64 v[64:65], v64, v[16:17]
	v_lshrrev_b32_e32 v69, 3, v59
	v_sub_u32_e32 v65, 29, v80
	v_and_b32_e32 v64, 7, v64
	v_cmp_gt_u32_e64 s[0:1], 8, v59
	v_cndmask_b32_e64 v59, v69, v65, s[0:1]
	v_cndmask_b32_e64 v64, v68, v64, s[0:1]
	v_lshlrev_b32_e32 v64, 20, v64
	v_and_b32_sdwa v16, sext(v16), s7 dst_sel:DWORD dst_unused:UNUSED_PAD src0_sel:BYTE_0 src1_sel:DWORD
	v_lshl_add_u32 v59, v59, 23, v43
	v_or3_b32 v16, v16, v59, v64
	v_pk_mov_b32 v[64:65], v[16:17], v[16:17] op_sel:[0,1]
.LBB245_507:                            ;   in Loop: Header=BB245_283 Depth=1
	s_or_b64 exec, exec, s[20:21]
.LBB245_508:                            ;   in Loop: Header=BB245_283 Depth=1
	s_or_b64 exec, exec, s[18:19]
.LBB245_509:                            ;   in Loop: Header=BB245_283 Depth=1
	s_or_b64 exec, exec, s[16:17]
	v_cmp_lt_u32_e64 s[0:1], s28, v58
	s_and_saveexec_b64 s[16:17], s[0:1]
	s_cbranch_execz .LBB245_515
; %bb.510:                              ;   in Loop: Header=BB245_283 Depth=1
	v_cmp_ne_u32_sdwa s[0:1], v58, s22 src0_sel:BYTE_3 src1_sel:DWORD
	v_pk_mov_b32 v[66:67], s[6:7], s[6:7] op_sel:[0,1]
	s_and_saveexec_b64 s[18:19], s[0:1]
	s_cbranch_execz .LBB245_514
; %bb.511:                              ;   in Loop: Header=BB245_283 Depth=1
	v_bfe_u32 v59, v58, 24, 7
	s_mov_b32 s14, s6
	v_cmp_ne_u32_e64 s[0:1], s23, v59
	v_pk_mov_b32 v[66:67], s[14:15], s[14:15] op_sel:[0,1]
	s_and_saveexec_b64 s[20:21], s[0:1]
	s_cbranch_execz .LBB245_513
; %bb.512:                              ;   in Loop: Header=BB245_283 Depth=1
	v_and_b32_sdwa v16, v58, v76 dst_sel:DWORD dst_unused:UNUSED_PAD src0_sel:BYTE_3 src1_sel:DWORD
	v_ffbh_u32_e32 v66, v16
	v_min_u32_e32 v69, 32, v66
	v_subrev_u32_e32 v66, 28, v69
	v_lshlrev_b64 v[66:67], v66, v[16:17]
	v_lshrrev_b32_e32 v68, 3, v59
	v_sub_u32_e32 v67, 29, v69
	v_cmp_gt_u32_e64 s[0:1], 8, v59
	v_and_b32_e32 v66, 7, v66
	v_cndmask_b32_e64 v59, v68, v67, s[0:1]
	v_cndmask_b32_e64 v16, v16, v66, s[0:1]
	v_lshlrev_b32_sdwa v58, v77, v58 dst_sel:DWORD dst_unused:UNUSED_PAD src0_sel:DWORD src1_sel:BYTE_3
	v_lshl_add_u32 v59, v59, 23, v43
	v_and_or_b32 v58, v58, s7, v59
	v_lshlrev_b32_e32 v16, 20, v16
	v_or_b32_e32 v67, v58, v16
	v_mov_b32_e32 v66, v17
.LBB245_513:                            ;   in Loop: Header=BB245_283 Depth=1
	s_or_b64 exec, exec, s[20:21]
.LBB245_514:                            ;   in Loop: Header=BB245_283 Depth=1
	s_or_b64 exec, exec, s[18:19]
.LBB245_515:                            ;   in Loop: Header=BB245_283 Depth=1
	s_or_b64 exec, exec, s[16:17]
	v_or_b32_e32 v59, v63, v61
	v_or_b32_e32 v58, v62, v60
	;; [unrolled: 1-line block ×4, first 2 shown]
	v_pk_mul_f32 v[58:59], s[10:11], v[58:59]
	v_pk_mul_f32 v[60:61], s[10:11], v[60:61]
	s_and_saveexec_b64 s[16:17], vcc
; %bb.516:                              ;   in Loop: Header=BB245_283 Depth=1
	v_cmp_gt_i32_e64 s[0:1], s29, v42
	v_cndmask_b32_e64 v58, 0, v58, s[0:1]
	v_cmp_gt_i32_e64 s[0:1], s29, v79
	v_cndmask_b32_e64 v59, 0, v59, s[0:1]
	;; [unrolled: 2-line block ×4, first 2 shown]
; %bb.517:                              ;   in Loop: Header=BB245_283 Depth=1
	s_or_b64 exec, exec, s[16:17]
	global_load_dword v26, v[26:27], off offset:2304
	v_pk_mov_b32 v[64:65], 0, 0
	v_pk_mov_b32 v[62:63], v[64:65], v[64:65] op_sel:[0,1]
	s_waitcnt vmcnt(0)
	v_cmp_ne_u16_sdwa s[0:1], v26, v17 src0_sel:BYTE_0 src1_sel:DWORD
	s_and_saveexec_b64 s[16:17], s[0:1]
	s_cbranch_execz .LBB245_523
; %bb.518:                              ;   in Loop: Header=BB245_283 Depth=1
	v_bfrev_b32_e32 v62, 1
	v_cmp_ne_u16_sdwa s[0:1], v26, s22 src0_sel:BYTE_0 src1_sel:DWORD
	v_mov_b32_e32 v63, 0
	s_and_saveexec_b64 s[18:19], s[0:1]
	s_cbranch_execz .LBB245_522
; %bb.519:                              ;   in Loop: Header=BB245_283 Depth=1
	v_and_b32_e32 v16, 0x7f, v26
	v_mov_b32_e32 v62, 0x7f800001
	v_cmp_ne_u32_e64 s[0:1], s23, v16
	v_mov_b32_e32 v63, 0
	s_and_saveexec_b64 s[20:21], s[0:1]
	s_cbranch_execz .LBB245_521
; %bb.520:                              ;   in Loop: Header=BB245_283 Depth=1
	v_and_b32_e32 v27, 7, v26
	v_ffbh_u32_e32 v62, v27
	v_min_u32_e32 v67, 32, v62
	v_subrev_u32_e32 v62, 28, v67
	v_lshlrev_b64 v[62:63], v62, v[26:27]
	v_lshrrev_b32_e32 v66, 3, v16
	v_sub_u32_e32 v63, 29, v67
	v_and_b32_e32 v62, 7, v62
	v_cmp_gt_u32_e64 s[0:1], 8, v16
	v_cndmask_b32_e64 v16, v66, v63, s[0:1]
	v_cndmask_b32_e64 v27, v27, v62, s[0:1]
	v_lshlrev_b32_e32 v27, 20, v27
	v_and_b32_sdwa v62, sext(v26), s7 dst_sel:DWORD dst_unused:UNUSED_PAD src0_sel:BYTE_0 src1_sel:DWORD
	v_lshl_add_u32 v16, v16, 23, v43
	v_or3_b32 v16, v62, v16, v27
	v_pk_mov_b32 v[62:63], v[16:17], v[16:17] op_sel:[0,1]
.LBB245_521:                            ;   in Loop: Header=BB245_283 Depth=1
	s_or_b64 exec, exec, s[20:21]
.LBB245_522:                            ;   in Loop: Header=BB245_283 Depth=1
	s_or_b64 exec, exec, s[18:19]
.LBB245_523:                            ;   in Loop: Header=BB245_283 Depth=1
	s_or_b64 exec, exec, s[16:17]
	v_cmp_ne_u16_sdwa s[0:1], v26, v17 src0_sel:BYTE_1 src1_sel:DWORD
	s_and_saveexec_b64 s[16:17], s[0:1]
	s_cbranch_execz .LBB245_529
; %bb.524:                              ;   in Loop: Header=BB245_283 Depth=1
	v_cmp_ne_u16_sdwa s[0:1], v26, s22 src0_sel:BYTE_1 src1_sel:DWORD
	v_pk_mov_b32 v[64:65], s[6:7], s[6:7] op_sel:[0,1]
	s_and_saveexec_b64 s[18:19], s[0:1]
	s_cbranch_execz .LBB245_528
; %bb.525:                              ;   in Loop: Header=BB245_283 Depth=1
	v_and_b32_sdwa v27, v26, s23 dst_sel:DWORD dst_unused:UNUSED_PAD src0_sel:BYTE_1 src1_sel:DWORD
	s_mov_b32 s14, s6
	v_cmp_ne_u32_e64 s[0:1], s23, v27
	v_pk_mov_b32 v[64:65], s[14:15], s[14:15] op_sel:[0,1]
	s_and_saveexec_b64 s[20:21], s[0:1]
	s_cbranch_execz .LBB245_527
; %bb.526:                              ;   in Loop: Header=BB245_283 Depth=1
	v_and_b32_sdwa v16, v26, v76 dst_sel:DWORD dst_unused:UNUSED_PAD src0_sel:BYTE_1 src1_sel:DWORD
	v_ffbh_u32_e32 v64, v16
	v_min_u32_e32 v67, 32, v64
	v_subrev_u32_e32 v64, 28, v67
	v_lshlrev_b64 v[64:65], v64, v[16:17]
	v_lshrrev_b32_e32 v66, 3, v27
	v_sub_u32_e32 v65, 29, v67
	v_cmp_gt_u32_e64 s[0:1], 8, v27
	v_and_b32_e32 v64, 7, v64
	v_cndmask_b32_e64 v27, v66, v65, s[0:1]
	v_cndmask_b32_e64 v16, v16, v64, s[0:1]
	v_lshlrev_b32_e32 v64, 16, v26
	v_lshl_add_u32 v27, v27, 23, v43
	v_and_or_b32 v27, v64, s7, v27
	v_lshlrev_b32_e32 v16, 20, v16
	v_or_b32_e32 v65, v27, v16
	v_mov_b32_e32 v64, v17
.LBB245_527:                            ;   in Loop: Header=BB245_283 Depth=1
	s_or_b64 exec, exec, s[20:21]
.LBB245_528:                            ;   in Loop: Header=BB245_283 Depth=1
	s_or_b64 exec, exec, s[18:19]
.LBB245_529:                            ;   in Loop: Header=BB245_283 Depth=1
	s_or_b64 exec, exec, s[16:17]
	v_lshrrev_b32_e32 v16, 16, v26
	v_pk_mov_b32 v[68:69], 0, 0
	v_cmp_ne_u16_sdwa s[0:1], v16, v17 src0_sel:BYTE_0 src1_sel:DWORD
	v_pk_mov_b32 v[66:67], v[68:69], v[68:69] op_sel:[0,1]
	s_and_saveexec_b64 s[16:17], s[0:1]
	s_cbranch_execz .LBB245_535
; %bb.530:                              ;   in Loop: Header=BB245_283 Depth=1
	v_bfrev_b32_e32 v66, 1
	v_cmp_ne_u16_sdwa s[0:1], v16, s22 src0_sel:BYTE_0 src1_sel:DWORD
	v_mov_b32_e32 v67, 0
	s_and_saveexec_b64 s[18:19], s[0:1]
	s_cbranch_execz .LBB245_534
; %bb.531:                              ;   in Loop: Header=BB245_283 Depth=1
	v_bfe_u32 v27, v26, 16, 7
	v_mov_b32_e32 v66, 0x7f800001
	v_cmp_ne_u32_e64 s[0:1], s23, v27
	v_mov_b32_e32 v67, 0
	s_and_saveexec_b64 s[20:21], s[0:1]
	s_cbranch_execz .LBB245_533
; %bb.532:                              ;   in Loop: Header=BB245_283 Depth=1
	v_and_b32_e32 v80, 7, v16
	v_ffbh_u32_e32 v66, v80
	v_min_u32_e32 v82, 32, v66
	v_subrev_u32_e32 v66, 28, v82
	v_lshlrev_b64 v[66:67], v66, v[16:17]
	v_lshrrev_b32_e32 v81, 3, v27
	v_sub_u32_e32 v67, 29, v82
	v_and_b32_e32 v66, 7, v66
	v_cmp_gt_u32_e64 s[0:1], 8, v27
	v_cndmask_b32_e64 v27, v81, v67, s[0:1]
	v_cndmask_b32_e64 v66, v80, v66, s[0:1]
	v_lshlrev_b32_e32 v66, 20, v66
	v_and_b32_sdwa v16, sext(v16), s7 dst_sel:DWORD dst_unused:UNUSED_PAD src0_sel:BYTE_0 src1_sel:DWORD
	v_lshl_add_u32 v27, v27, 23, v43
	v_or3_b32 v16, v16, v27, v66
	v_pk_mov_b32 v[66:67], v[16:17], v[16:17] op_sel:[0,1]
.LBB245_533:                            ;   in Loop: Header=BB245_283 Depth=1
	s_or_b64 exec, exec, s[20:21]
.LBB245_534:                            ;   in Loop: Header=BB245_283 Depth=1
	s_or_b64 exec, exec, s[18:19]
.LBB245_535:                            ;   in Loop: Header=BB245_283 Depth=1
	s_or_b64 exec, exec, s[16:17]
	v_cmp_lt_u32_e64 s[0:1], s28, v26
	s_and_saveexec_b64 s[16:17], s[0:1]
	s_cbranch_execz .LBB245_541
; %bb.536:                              ;   in Loop: Header=BB245_283 Depth=1
	v_cmp_ne_u32_sdwa s[0:1], v26, s22 src0_sel:BYTE_3 src1_sel:DWORD
	v_pk_mov_b32 v[68:69], s[6:7], s[6:7] op_sel:[0,1]
	s_and_saveexec_b64 s[18:19], s[0:1]
	s_cbranch_execz .LBB245_540
; %bb.537:                              ;   in Loop: Header=BB245_283 Depth=1
	v_bfe_u32 v27, v26, 24, 7
	s_mov_b32 s14, s6
	v_cmp_ne_u32_e64 s[0:1], s23, v27
	v_pk_mov_b32 v[68:69], s[14:15], s[14:15] op_sel:[0,1]
	s_and_saveexec_b64 s[20:21], s[0:1]
	s_cbranch_execz .LBB245_539
; %bb.538:                              ;   in Loop: Header=BB245_283 Depth=1
	v_and_b32_sdwa v16, v26, v76 dst_sel:DWORD dst_unused:UNUSED_PAD src0_sel:BYTE_3 src1_sel:DWORD
	v_ffbh_u32_e32 v68, v16
	v_min_u32_e32 v81, 32, v68
	v_subrev_u32_e32 v68, 28, v81
	v_lshlrev_b64 v[68:69], v68, v[16:17]
	v_lshrrev_b32_e32 v80, 3, v27
	v_sub_u32_e32 v69, 29, v81
	v_cmp_gt_u32_e64 s[0:1], 8, v27
	v_and_b32_e32 v68, 7, v68
	v_cndmask_b32_e64 v27, v80, v69, s[0:1]
	v_cndmask_b32_e64 v16, v16, v68, s[0:1]
	v_lshlrev_b32_sdwa v26, v77, v26 dst_sel:DWORD dst_unused:UNUSED_PAD src0_sel:DWORD src1_sel:BYTE_3
	v_lshl_add_u32 v27, v27, 23, v43
	v_and_or_b32 v26, v26, s7, v27
	v_lshlrev_b32_e32 v16, 20, v16
	v_or_b32_e32 v69, v26, v16
	v_mov_b32_e32 v68, v17
.LBB245_539:                            ;   in Loop: Header=BB245_283 Depth=1
	s_or_b64 exec, exec, s[20:21]
.LBB245_540:                            ;   in Loop: Header=BB245_283 Depth=1
	s_or_b64 exec, exec, s[18:19]
.LBB245_541:                            ;   in Loop: Header=BB245_283 Depth=1
	s_or_b64 exec, exec, s[16:17]
	v_or_b32_e32 v27, v65, v63
	v_or_b32_e32 v26, v64, v62
	;; [unrolled: 1-line block ×4, first 2 shown]
	v_pk_mul_f32 v[26:27], s[10:11], v[26:27]
	v_pk_mul_f32 v[62:63], s[10:11], v[62:63]
	s_and_saveexec_b64 s[0:1], vcc
	s_cbranch_execz .LBB245_282
; %bb.542:                              ;   in Loop: Header=BB245_283 Depth=1
	v_cmp_gt_i32_e32 vcc, s29, v42
	v_cndmask_b32_e32 v26, 0, v26, vcc
	v_cmp_gt_i32_e32 vcc, s29, v79
	v_cndmask_b32_e32 v27, 0, v27, vcc
	;; [unrolled: 2-line block ×4, first 2 shown]
	s_branch .LBB245_282
.LBB245_543:
	s_or_b64 exec, exec, s[12:13]
.LBB245_544:
	s_or_b64 exec, exec, s[4:5]
	ds_bpermute_b32 v2, v70, v14
	ds_bpermute_b32 v3, v70, v15
	ds_bpermute_b32 v4, v70, v12
	ds_bpermute_b32 v5, v70, v13
	ds_bpermute_b32 v16, v70, v10
	ds_bpermute_b32 v17, v70, v11
	s_waitcnt lgkmcnt(4)
	v_pk_add_f32 v[2:3], v[14:15], v[2:3]
	ds_bpermute_b32 v14, v71, v2
	ds_bpermute_b32 v15, v71, v3
	s_waitcnt lgkmcnt(4)
	v_pk_add_f32 v[4:5], v[12:13], v[4:5]
	s_waitcnt lgkmcnt(2)
	v_pk_add_f32 v[10:11], v[10:11], v[16:17]
	ds_bpermute_b32 v18, v70, v8
	ds_bpermute_b32 v19, v70, v9
	s_waitcnt lgkmcnt(2)
	v_pk_add_f32 v[2:3], v[2:3], v[14:15]
	ds_bpermute_b32 v14, v71, v4
	ds_bpermute_b32 v15, v71, v5
	;; [unrolled: 1-line block ×6, first 2 shown]
	s_waitcnt lgkmcnt(6)
	v_pk_add_f32 v[8:9], v[8:9], v[18:19]
	s_waitcnt lgkmcnt(4)
	v_pk_add_f32 v[4:5], v[4:5], v[14:15]
	;; [unrolled: 2-line block ×3, first 2 shown]
	ds_bpermute_b32 v16, v71, v8
	ds_bpermute_b32 v17, v71, v9
	s_waitcnt lgkmcnt(2)
	v_pk_add_f32 v[20:21], v[6:7], v[20:21]
	ds_bpermute_b32 v14, v72, v4
	ds_bpermute_b32 v15, v72, v5
	;; [unrolled: 1-line block ×8, first 2 shown]
	s_waitcnt lgkmcnt(8)
	v_pk_add_f32 v[16:17], v[8:9], v[16:17]
	ds_bpermute_b32 v22, v72, v16
	ds_bpermute_b32 v23, v72, v17
	s_waitcnt lgkmcnt(8)
	v_pk_add_f32 v[6:7], v[4:5], v[14:15]
	s_waitcnt lgkmcnt(6)
	v_pk_add_f32 v[4:5], v[10:11], v[18:19]
	;; [unrolled: 2-line block ×4, first 2 shown]
	ds_bpermute_b32 v12, v72, v10
	ds_bpermute_b32 v13, v72, v11
	v_and_b32_e32 v14, 0x3c7, v0
	s_waitcnt lgkmcnt(2)
	v_pk_add_f32 v[2:3], v[16:17], v[22:23]
	v_cmp_ne_u32_e32 vcc, 64, v14
	s_waitcnt lgkmcnt(0)
	s_barrier
	s_and_saveexec_b64 s[0:1], vcc
	s_xor_b64 s[0:1], exec, s[0:1]
; %bb.545:
                                        ; implicit-def: $vgpr1
; %bb.546:
	s_or_saveexec_b64 s[0:1], s[0:1]
	v_pk_add_f32 v[10:11], v[10:11], v[12:13]
	s_xor_b64 exec, exec, s[0:1]
	s_cbranch_execz .LBB245_548
; %bb.547:
	v_lshrrev_b32_e32 v1, 1, v1
	v_add_u32_e32 v1, 0x150, v1
	ds_write2_b32 v1, v8, v9 offset1:8
	ds_write2_b32 v1, v6, v7 offset0:16 offset1:24
	ds_write2_b32 v1, v4, v5 offset0:32 offset1:40
	;; [unrolled: 1-line block ×4, first 2 shown]
.LBB245_548:
	s_or_b64 exec, exec, s[0:1]
	v_cmp_gt_u32_e32 vcc, 64, v0
	s_waitcnt lgkmcnt(0)
	s_barrier
	s_and_saveexec_b64 s[0:1], vcc
	s_cbranch_execz .LBB245_561
; %bb.549:
	v_cmp_eq_u32_e32 vcc, 0, v73
	v_lshrrev_b32_e32 v1, 3, v0
	s_and_saveexec_b64 s[4:5], vcc
	s_cbranch_execnz .LBB245_564
; %bb.550:
	s_or_b64 exec, exec, s[4:5]
	s_and_saveexec_b64 s[4:5], vcc
	s_cbranch_execnz .LBB245_565
.LBB245_551:
	s_or_b64 exec, exec, s[4:5]
	s_and_saveexec_b64 s[4:5], vcc
	s_cbranch_execnz .LBB245_566
.LBB245_552:
	s_or_b64 exec, exec, s[4:5]
	s_and_saveexec_b64 s[4:5], vcc
	s_cbranch_execnz .LBB245_567
.LBB245_553:
	s_or_b64 exec, exec, s[4:5]
	s_and_saveexec_b64 s[4:5], vcc
	s_cbranch_execnz .LBB245_568
.LBB245_554:
	s_or_b64 exec, exec, s[4:5]
	s_and_saveexec_b64 s[4:5], vcc
	s_cbranch_execnz .LBB245_569
.LBB245_555:
	s_or_b64 exec, exec, s[4:5]
	s_and_saveexec_b64 s[4:5], vcc
	s_cbranch_execnz .LBB245_570
.LBB245_556:
	s_or_b64 exec, exec, s[4:5]
	s_and_saveexec_b64 s[4:5], vcc
	s_cbranch_execnz .LBB245_571
.LBB245_557:
	s_or_b64 exec, exec, s[4:5]
	s_and_saveexec_b64 s[4:5], vcc
	s_cbranch_execnz .LBB245_572
.LBB245_558:
	s_or_b64 exec, exec, s[4:5]
	s_and_saveexec_b64 s[4:5], vcc
	s_cbranch_execz .LBB245_560
.LBB245_559:
	v_mov_b32_e32 v12, 0x150
	v_lshl_add_u32 v1, v1, 2, v12
	ds_read_b32 v1, v1 offset:288
	s_waitcnt lgkmcnt(0)
	v_add_f32_e32 v11, v11, v1
.LBB245_560:
	s_or_b64 exec, exec, s[4:5]
.LBB245_561:
	s_or_b64 exec, exec, s[0:1]
	v_cmp_eq_u32_e32 vcc, 0, v14
	s_barrier
	s_and_saveexec_b64 s[0:1], vcc
	s_cbranch_execz .LBB245_563
; %bb.562:
	s_mul_i32 s0, s2, 0x50
	s_ashr_i32 s1, s0, 31
	s_lshl_b64 s[0:1], s[0:1], 2
	s_add_u32 s2, s26, s0
	s_mul_i32 s0, s25, s24
	s_addc_u32 s3, s27, s1
	s_ashr_i32 s1, s0, 31
	s_lshl_b64 s[0:1], s[0:1], 2
	s_add_u32 s2, s2, s0
	s_mul_i32 s0, s8, 0x50
	s_addc_u32 s3, s3, s1
	s_ashr_i32 s1, s0, 31
	s_lshl_b64 s[0:1], s[0:1], 2
	s_add_u32 s0, s2, s0
	s_addc_u32 s1, s3, s1
	v_lshrrev_b32_e32 v0, 1, v0
	global_store_dword v0, v8, s[0:1]
	global_store_dword v0, v9, s[0:1] offset:32
	global_store_dword v0, v6, s[0:1] offset:64
	;; [unrolled: 1-line block ×9, first 2 shown]
.LBB245_563:
	s_endpgm
.LBB245_564:
	v_mov_b32_e32 v12, 0x150
	v_lshl_add_u32 v12, v1, 2, v12
	ds_read_b32 v12, v12
	s_waitcnt lgkmcnt(0)
	v_add_f32_e32 v8, v8, v12
	s_or_b64 exec, exec, s[4:5]
	s_and_saveexec_b64 s[4:5], vcc
	s_cbranch_execz .LBB245_551
.LBB245_565:
	v_mov_b32_e32 v12, 0x150
	v_lshl_add_u32 v12, v1, 2, v12
	ds_read_b32 v12, v12 offset:32
	s_waitcnt lgkmcnt(0)
	v_add_f32_e32 v9, v9, v12
	s_or_b64 exec, exec, s[4:5]
	s_and_saveexec_b64 s[4:5], vcc
	s_cbranch_execz .LBB245_552
.LBB245_566:
	v_mov_b32_e32 v12, 0x150
	v_lshl_add_u32 v12, v1, 2, v12
	ds_read_b32 v12, v12 offset:64
	s_waitcnt lgkmcnt(0)
	v_add_f32_e32 v6, v6, v12
	s_or_b64 exec, exec, s[4:5]
	s_and_saveexec_b64 s[4:5], vcc
	s_cbranch_execz .LBB245_553
.LBB245_567:
	v_mov_b32_e32 v12, 0x150
	v_lshl_add_u32 v12, v1, 2, v12
	ds_read_b32 v12, v12 offset:96
	s_waitcnt lgkmcnt(0)
	v_add_f32_e32 v7, v7, v12
	s_or_b64 exec, exec, s[4:5]
	s_and_saveexec_b64 s[4:5], vcc
	s_cbranch_execz .LBB245_554
.LBB245_568:
	v_mov_b32_e32 v12, 0x150
	v_lshl_add_u32 v12, v1, 2, v12
	ds_read_b32 v12, v12 offset:128
	s_waitcnt lgkmcnt(0)
	v_add_f32_e32 v4, v4, v12
	s_or_b64 exec, exec, s[4:5]
	s_and_saveexec_b64 s[4:5], vcc
	s_cbranch_execz .LBB245_555
.LBB245_569:
	v_mov_b32_e32 v12, 0x150
	v_lshl_add_u32 v12, v1, 2, v12
	ds_read_b32 v12, v12 offset:160
	s_waitcnt lgkmcnt(0)
	v_add_f32_e32 v5, v5, v12
	s_or_b64 exec, exec, s[4:5]
	s_and_saveexec_b64 s[4:5], vcc
	s_cbranch_execz .LBB245_556
.LBB245_570:
	v_mov_b32_e32 v12, 0x150
	v_lshl_add_u32 v12, v1, 2, v12
	ds_read_b32 v12, v12 offset:192
	s_waitcnt lgkmcnt(0)
	v_add_f32_e32 v2, v2, v12
	s_or_b64 exec, exec, s[4:5]
	s_and_saveexec_b64 s[4:5], vcc
	s_cbranch_execz .LBB245_557
.LBB245_571:
	v_mov_b32_e32 v12, 0x150
	v_lshl_add_u32 v12, v1, 2, v12
	ds_read_b32 v12, v12 offset:224
	s_waitcnt lgkmcnt(0)
	v_add_f32_e32 v3, v3, v12
	s_or_b64 exec, exec, s[4:5]
	s_and_saveexec_b64 s[4:5], vcc
	s_cbranch_execz .LBB245_558
.LBB245_572:
	v_mov_b32_e32 v12, 0x150
	v_lshl_add_u32 v12, v1, 2, v12
	ds_read_b32 v12, v12 offset:256
	s_waitcnt lgkmcnt(0)
	v_add_f32_e32 v10, v10, v12
	s_or_b64 exec, exec, s[4:5]
	s_and_saveexec_b64 s[4:5], vcc
	s_cbranch_execnz .LBB245_559
	s_branch .LBB245_560
	.section	.rodata,"a",@progbits
	.p2align	6, 0x0
	.amdhsa_kernel _ZN4vllm25paged_attention_v2_kernelIfhLi80ELi32ELi128ELNS_18Fp8KVCacheDataTypeE1ELb0ELi512EEEvPfS2_PT_PKS3_PKT0_S9_ifPKiSB_iPKfiiiSD_SD_iiiii
		.amdhsa_group_segment_fixed_size 336
		.amdhsa_private_segment_fixed_size 72
		.amdhsa_kernarg_size 400
		.amdhsa_user_sgpr_count 6
		.amdhsa_user_sgpr_private_segment_buffer 1
		.amdhsa_user_sgpr_dispatch_ptr 0
		.amdhsa_user_sgpr_queue_ptr 0
		.amdhsa_user_sgpr_kernarg_segment_ptr 1
		.amdhsa_user_sgpr_dispatch_id 0
		.amdhsa_user_sgpr_flat_scratch_init 0
		.amdhsa_user_sgpr_kernarg_preload_length 0
		.amdhsa_user_sgpr_kernarg_preload_offset 0
		.amdhsa_user_sgpr_private_segment_size 0
		.amdhsa_uses_dynamic_stack 0
		.amdhsa_system_sgpr_private_segment_wavefront_offset 1
		.amdhsa_system_sgpr_workgroup_id_x 1
		.amdhsa_system_sgpr_workgroup_id_y 1
		.amdhsa_system_sgpr_workgroup_id_z 1
		.amdhsa_system_sgpr_workgroup_info 0
		.amdhsa_system_vgpr_workitem_id 0
		.amdhsa_next_free_vgpr 128
		.amdhsa_next_free_sgpr 60
		.amdhsa_accum_offset 128
		.amdhsa_reserve_vcc 1
		.amdhsa_reserve_flat_scratch 0
		.amdhsa_float_round_mode_32 0
		.amdhsa_float_round_mode_16_64 0
		.amdhsa_float_denorm_mode_32 3
		.amdhsa_float_denorm_mode_16_64 3
		.amdhsa_dx10_clamp 1
		.amdhsa_ieee_mode 1
		.amdhsa_fp16_overflow 0
		.amdhsa_tg_split 0
		.amdhsa_exception_fp_ieee_invalid_op 0
		.amdhsa_exception_fp_denorm_src 0
		.amdhsa_exception_fp_ieee_div_zero 0
		.amdhsa_exception_fp_ieee_overflow 0
		.amdhsa_exception_fp_ieee_underflow 0
		.amdhsa_exception_fp_ieee_inexact 0
		.amdhsa_exception_int_div_zero 0
	.end_amdhsa_kernel
	.section	.text._ZN4vllm25paged_attention_v2_kernelIfhLi80ELi32ELi128ELNS_18Fp8KVCacheDataTypeE1ELb0ELi512EEEvPfS2_PT_PKS3_PKT0_S9_ifPKiSB_iPKfiiiSD_SD_iiiii,"axG",@progbits,_ZN4vllm25paged_attention_v2_kernelIfhLi80ELi32ELi128ELNS_18Fp8KVCacheDataTypeE1ELb0ELi512EEEvPfS2_PT_PKS3_PKT0_S9_ifPKiSB_iPKfiiiSD_SD_iiiii,comdat
.Lfunc_end245:
	.size	_ZN4vllm25paged_attention_v2_kernelIfhLi80ELi32ELi128ELNS_18Fp8KVCacheDataTypeE1ELb0ELi512EEEvPfS2_PT_PKS3_PKT0_S9_ifPKiSB_iPKfiiiSD_SD_iiiii, .Lfunc_end245-_ZN4vllm25paged_attention_v2_kernelIfhLi80ELi32ELi128ELNS_18Fp8KVCacheDataTypeE1ELb0ELi512EEEvPfS2_PT_PKS3_PKT0_S9_ifPKiSB_iPKfiiiSD_SD_iiiii
                                        ; -- End function
	.section	.AMDGPU.csdata,"",@progbits
; Kernel info:
; codeLenInByte = 21956
; NumSgprs: 64
; NumVgprs: 128
; NumAgprs: 0
; TotalNumVgprs: 128
; ScratchSize: 72
; MemoryBound: 0
; FloatMode: 240
; IeeeMode: 1
; LDSByteSize: 336 bytes/workgroup (compile time only)
; SGPRBlocks: 7
; VGPRBlocks: 15
; NumSGPRsForWavesPerEU: 64
; NumVGPRsForWavesPerEU: 128
; AccumOffset: 128
; Occupancy: 4
; WaveLimiterHint : 1
; COMPUTE_PGM_RSRC2:SCRATCH_EN: 1
; COMPUTE_PGM_RSRC2:USER_SGPR: 6
; COMPUTE_PGM_RSRC2:TRAP_HANDLER: 0
; COMPUTE_PGM_RSRC2:TGID_X_EN: 1
; COMPUTE_PGM_RSRC2:TGID_Y_EN: 1
; COMPUTE_PGM_RSRC2:TGID_Z_EN: 1
; COMPUTE_PGM_RSRC2:TIDIG_COMP_CNT: 0
; COMPUTE_PGM_RSRC3_GFX90A:ACCUM_OFFSET: 31
; COMPUTE_PGM_RSRC3_GFX90A:TG_SPLIT: 0
	.section	.text._ZN4vllm25paged_attention_v2_kernelIfhLi96ELi32ELi128ELNS_18Fp8KVCacheDataTypeE1ELb0ELi512EEEvPfS2_PT_PKS3_PKT0_S9_ifPKiSB_iPKfiiiSD_SD_iiiii,"axG",@progbits,_ZN4vllm25paged_attention_v2_kernelIfhLi96ELi32ELi128ELNS_18Fp8KVCacheDataTypeE1ELb0ELi512EEEvPfS2_PT_PKS3_PKT0_S9_ifPKiSB_iPKfiiiSD_SD_iiiii,comdat
	.protected	_ZN4vllm25paged_attention_v2_kernelIfhLi96ELi32ELi128ELNS_18Fp8KVCacheDataTypeE1ELb0ELi512EEEvPfS2_PT_PKS3_PKT0_S9_ifPKiSB_iPKfiiiSD_SD_iiiii ; -- Begin function _ZN4vllm25paged_attention_v2_kernelIfhLi96ELi32ELi128ELNS_18Fp8KVCacheDataTypeE1ELb0ELi512EEEvPfS2_PT_PKS3_PKT0_S9_ifPKiSB_iPKfiiiSD_SD_iiiii
	.globl	_ZN4vllm25paged_attention_v2_kernelIfhLi96ELi32ELi128ELNS_18Fp8KVCacheDataTypeE1ELb0ELi512EEEvPfS2_PT_PKS3_PKT0_S9_ifPKiSB_iPKfiiiSD_SD_iiiii
	.p2align	8
	.type	_ZN4vllm25paged_attention_v2_kernelIfhLi96ELi32ELi128ELNS_18Fp8KVCacheDataTypeE1ELb0ELi512EEEvPfS2_PT_PKS3_PKT0_S9_ifPKiSB_iPKfiiiSD_SD_iiiii,@function
_ZN4vllm25paged_attention_v2_kernelIfhLi96ELi32ELi128ELNS_18Fp8KVCacheDataTypeE1ELb0ELi512EEEvPfS2_PT_PKS3_PKT0_S9_ifPKiSB_iPKfiiiSD_SD_iiiii: ; @_ZN4vllm25paged_attention_v2_kernelIfhLi96ELi32ELi128ELNS_18Fp8KVCacheDataTypeE1ELb0ELi512EEEvPfS2_PT_PKS3_PKT0_S9_ifPKiSB_iPKfiiiSD_SD_iiiii
; %bb.0:
	s_mov_b64 s[58:59], s[2:3]
	s_mov_b64 s[56:57], s[0:1]
	s_load_dwordx2 s[0:1], s[4:5], 0x40
	s_add_u32 s56, s56, s9
	s_addc_u32 s57, s57, 0
	s_mov_b32 s28, s7
	s_ashr_i32 s29, s7, 31
	s_lshl_b64 s[2:3], s[28:29], 2
	s_waitcnt lgkmcnt(0)
	s_add_u32 s0, s0, s2
	s_addc_u32 s1, s1, s3
	s_load_dword s29, s[0:1], 0x0
	s_lshl_b32 s50, s8, 9
	s_waitcnt lgkmcnt(0)
	s_cmp_ge_i32 s50, s29
	s_cbranch_scc1 .LBB246_665
; %bb.1:
	s_load_dword s9, s[4:5], 0x90
	s_load_dwordx2 s[10:11], s[4:5], 0x30
	s_mov_b32 s51, 0
	s_waitcnt lgkmcnt(0)
	s_abs_i32 s2, s9
	s_abs_i32 s0, s10
	v_cvt_f32_u32_e32 v1, s0
	s_sub_i32 s3, 0, s0
	s_xor_b32 s1, s9, s10
	s_ashr_i32 s1, s1, 31
	v_rcp_iflag_f32_e32 v1, v1
	v_mul_f32_e32 v1, 0x4f7ffffe, v1
	v_cvt_u32_f32_e32 v1, v1
	v_readfirstlane_b32 s7, v1
	s_mul_i32 s3, s3, s7
	s_mul_hi_u32 s3, s7, s3
	s_add_i32 s7, s7, s3
	s_mul_hi_u32 s3, s2, s7
	s_mul_i32 s7, s3, s0
	s_sub_i32 s2, s2, s7
	s_add_i32 s10, s3, 1
	s_sub_i32 s7, s2, s0
	s_cmp_ge_u32 s2, s0
	s_cselect_b32 s3, s10, s3
	s_cselect_b32 s2, s7, s2
	s_add_i32 s7, s3, 1
	s_cmp_ge_u32 s2, s0
	s_cselect_b32 s0, s7, s3
	s_xor_b32 s0, s0, s1
	s_sub_i32 s10, s0, s1
	s_abs_i32 s2, s10
	v_cvt_f32_u32_e32 v1, s2
	s_load_dwordx2 s[0:1], s[4:5], 0x50
	s_sub_i32 s7, 0, s2
	s_abs_i32 s3, s6
	v_rcp_iflag_f32_e32 v1, v1
	v_mul_f32_e32 v1, 0x4f7ffffe, v1
	v_cvt_u32_f32_e32 v1, v1
	v_readfirstlane_b32 s12, v1
	s_mul_i32 s7, s7, s12
	s_mul_hi_u32 s7, s12, s7
	s_add_i32 s12, s12, s7
	s_waitcnt lgkmcnt(0)
	s_cmp_eq_u64 s[0:1], 0
	s_mul_hi_u32 s16, s3, s12
	s_cbranch_scc1 .LBB246_3
; %bb.2:
	s_ashr_i32 s7, s6, 31
	s_lshl_b64 s[12:13], s[6:7], 2
	s_add_u32 s0, s0, s12
	s_addc_u32 s1, s1, s13
	s_load_dword s51, s[0:1], 0x0
.LBB246_3:
	s_load_dwordx4 s[12:15], s[4:5], 0x58
	s_ashr_i32 s17, s6, 31
	s_ashr_i32 s18, s10, 31
	v_and_b32_e32 v1, 1, v0
	s_mul_i32 s24, s6, 0x60
	v_cmp_gt_u32_e32 vcc, 48, v0
	v_lshlrev_b32_e32 v18, 2, v0
	s_and_saveexec_b64 s[0:1], vcc
	s_cbranch_execz .LBB246_5
; %bb.4:
	s_load_dwordx2 s[20:21], s[4:5], 0x18
	s_waitcnt lgkmcnt(0)
	s_mul_i32 s22, s28, s12
	s_ashr_i32 s23, s22, 31
	s_lshl_b64 s[22:23], s[22:23], 2
	v_lshlrev_b32_e32 v2, 3, v0
	s_add_u32 s7, s20, s22
	s_addc_u32 s10, s21, s23
	s_ashr_i32 s25, s24, 31
	s_lshl_b64 s[20:21], s[24:25], 2
	s_add_u32 s20, s7, s20
	s_addc_u32 s21, s10, s21
	global_load_dwordx2 v[2:3], v2, s[20:21]
	v_and_b32_e32 v4, 0xff8, v18
	s_movk_i32 s7, 0xc0
	v_mad_u32_u24 v4, v1, s7, v4
	s_waitcnt vmcnt(0)
	ds_write_b64 v4, v[2:3]
.LBB246_5:
	s_or_b64 exec, exec, s[0:1]
	s_add_i32 s0, s29, 31
	s_ashr_i32 s1, s0, 31
	s_lshr_b32 s1, s1, 27
	s_add_i32 s0, s0, s1
	s_lshl_b32 s10, s8, 4
	s_mul_i32 s1, s16, s2
	s_ashr_i32 s7, s0, 5
	s_add_i32 s0, s10, 16
	s_sub_i32 s1, s3, s1
	s_min_i32 s33, s0, s7
	s_xor_b32 s0, s17, s18
	s_add_i32 s3, s16, 1
	s_waitcnt lgkmcnt(0)
	s_sub_i32 s12, s1, s2
	s_cmp_ge_u32 s1, s2
	s_cselect_b32 s3, s3, s16
	s_cselect_b32 s1, s12, s1
	s_add_i32 s12, s3, 1
	s_cmp_ge_u32 s1, s2
	s_load_dwordx2 s[30:31], s[4:5], 0x38
	s_load_dword s2, s[4:5], 0x48
	v_lshrrev_b32_e32 v22, 6, v0
	s_cselect_b32 s1, s12, s3
	s_xor_b32 s1, s1, s0
	v_or_b32_e32 v2, s10, v22
	s_waitcnt lgkmcnt(0)
	s_mul_i32 s34, s28, s2
	s_sub_i32 s12, s1, s0
	s_ashr_i32 s35, s34, 31
	v_cmp_gt_i32_e64 s[0:1], s33, v2
	v_mov_b32_e32 v4, v2
	v_cmp_le_i32_e32 vcc, s33, v2
	v_mbcnt_lo_u32_b32 v2, -1, 0
	s_barrier
	s_waitcnt lgkmcnt(0)
                                        ; implicit-def: $sgpr15
                                        ; implicit-def: $vgpr9
                                        ; implicit-def: $vgpr10
	s_and_saveexec_b64 s[2:3], vcc
	s_xor_b64 s[2:3], exec, s[2:3]
; %bb.6:
	v_mbcnt_hi_u32_b32 v9, -1, v2
	v_and_b32_e32 v1, 64, v9
	v_add_u32_e32 v10, 64, v1
	s_mov_b32 s15, 0xff7fffff
                                        ; implicit-def: $vgpr1
                                        ; implicit-def: $vgpr2
; %bb.7:
	s_or_saveexec_b64 s[38:39], s[2:3]
	s_load_dwordx4 s[20:23], s[4:5], 0x0
	s_load_dwordx2 s[26:27], s[4:5], 0x10
	s_load_dword s25, s[4:5], 0x98
	s_load_dwordx2 s[36:37], s[4:5], 0x28
	s_load_dwordx4 s[16:19], s[4:5], 0x68
	v_mov_b32_e32 v3, s15
	s_mul_i32 s12, s12, s14
	v_ashrrev_i32_e32 v5, 31, v4
	buffer_store_dword v4, off, s[56:59], 0 ; 4-byte Folded Spill
	s_nop 0
	buffer_store_dword v5, off, s[56:59], 0 offset:4 ; 4-byte Folded Spill
	s_xor_b64 exec, exec, s[38:39]
	s_cbranch_execz .LBB246_301
; %bb.8:
	s_load_dwordx2 s[2:3], s[4:5], 0x20
	s_ashr_i32 s4, s12, 31
	buffer_store_dword v0, off, s[56:59], 0 offset:144 ; 4-byte Folded Spill
	v_bfe_u32 v0, v0, 1, 5
	v_lshlrev_b32_e32 v3, 4, v0
	s_waitcnt lgkmcnt(0)
	s_add_u32 s2, s2, s12
	s_addc_u32 s3, s3, s4
	v_mov_b32_e32 v4, s3
	v_add_co_u32_e32 v6, vcc, s2, v3
	v_addc_co_u32_e32 v7, vcc, 0, v4, vcc
	v_lshlrev_b32_e32 v4, 1, v1
	buffer_store_dword v18, off, s[56:59], 0 offset:148 ; 4-byte Folded Spill
	buffer_store_dword v6, off, s[56:59], 0 offset:12 ; 4-byte Folded Spill
	s_nop 0
	buffer_store_dword v7, off, s[56:59], 0 offset:16 ; 4-byte Folded Spill
	buffer_store_dword v4, off, s[56:59], 0 offset:20 ; 4-byte Folded Spill
	s_nop 0
	buffer_store_dword v5, off, s[56:59], 0 offset:24 ; 4-byte Folded Spill
	v_mul_u32_u24_e32 v3, 0xc0, v1
	ds_read_b128 v[4:7], v3
	s_waitcnt lgkmcnt(0)
	buffer_store_dword v4, off, s[56:59], 0 offset:28 ; 4-byte Folded Spill
	s_nop 0
	buffer_store_dword v5, off, s[56:59], 0 offset:32 ; 4-byte Folded Spill
	buffer_store_dword v6, off, s[56:59], 0 offset:36 ; 4-byte Folded Spill
	buffer_store_dword v7, off, s[56:59], 0 offset:40 ; 4-byte Folded Spill
	ds_read_b128 v[4:7], v3 offset:16
	s_waitcnt lgkmcnt(0)
	buffer_store_dword v4, off, s[56:59], 0 offset:44 ; 4-byte Folded Spill
	s_nop 0
	buffer_store_dword v5, off, s[56:59], 0 offset:48 ; 4-byte Folded Spill
	buffer_store_dword v6, off, s[56:59], 0 offset:52 ; 4-byte Folded Spill
	buffer_store_dword v7, off, s[56:59], 0 offset:56 ; 4-byte Folded Spill
	ds_read_b128 v[4:7], v3 offset:32
	s_waitcnt lgkmcnt(0)
	buffer_store_dword v4, off, s[56:59], 0 offset:60 ; 4-byte Folded Spill
	s_nop 0
	buffer_store_dword v5, off, s[56:59], 0 offset:64 ; 4-byte Folded Spill
	buffer_store_dword v6, off, s[56:59], 0 offset:68 ; 4-byte Folded Spill
	buffer_store_dword v7, off, s[56:59], 0 offset:72 ; 4-byte Folded Spill
	ds_read_b128 v[4:7], v3 offset:48
	s_waitcnt lgkmcnt(0)
	buffer_store_dword v4, off, s[56:59], 0 offset:76 ; 4-byte Folded Spill
	s_nop 0
	buffer_store_dword v5, off, s[56:59], 0 offset:80 ; 4-byte Folded Spill
	buffer_store_dword v6, off, s[56:59], 0 offset:84 ; 4-byte Folded Spill
	buffer_store_dword v7, off, s[56:59], 0 offset:88 ; 4-byte Folded Spill
	ds_read_b128 v[4:7], v3 offset:64
	s_waitcnt lgkmcnt(0)
	buffer_store_dword v4, off, s[56:59], 0 offset:92 ; 4-byte Folded Spill
	s_nop 0
	buffer_store_dword v5, off, s[56:59], 0 offset:96 ; 4-byte Folded Spill
	buffer_store_dword v6, off, s[56:59], 0 offset:100 ; 4-byte Folded Spill
	buffer_store_dword v7, off, s[56:59], 0 offset:104 ; 4-byte Folded Spill
	ds_read_b128 v[4:7], v3 offset:80
	s_waitcnt lgkmcnt(0)
	buffer_store_dword v4, off, s[56:59], 0 offset:108 ; 4-byte Folded Spill
	s_nop 0
	buffer_store_dword v5, off, s[56:59], 0 offset:112 ; 4-byte Folded Spill
	buffer_store_dword v6, off, s[56:59], 0 offset:116 ; 4-byte Folded Spill
	buffer_store_dword v7, off, s[56:59], 0 offset:120 ; 4-byte Folded Spill
	ds_read_b128 v[4:7], v3 offset:96
	s_waitcnt lgkmcnt(0)
	buffer_store_dword v4, off, s[56:59], 0 offset:124 ; 4-byte Folded Spill
	s_nop 0
	buffer_store_dword v5, off, s[56:59], 0 offset:128 ; 4-byte Folded Spill
	buffer_store_dword v6, off, s[56:59], 0 offset:132 ; 4-byte Folded Spill
	;; [unrolled: 1-line block ×3, first 2 shown]
	v_mbcnt_hi_u32_b32 v5, -1, v2
	v_and_b32_e32 v4, 64, v5
	v_xor_b32_e32 v2, 1, v5
	v_add_u32_e32 v4, 64, v4
	v_cmp_lt_i32_e32 vcc, v2, v4
	v_cndmask_b32_e32 v2, v5, v2, vcc
	v_lshlrev_b32_e32 v2, 2, v2
	buffer_store_dword v4, off, s[56:59], 0 offset:160 ; 4-byte Folded Spill
	buffer_store_dword v5, off, s[56:59], 0 offset:156 ; 4-byte Folded Spill
	;; [unrolled: 1-line block ×4, first 2 shown]
	ds_read_b128 v[30:33], v3 offset:112
	s_load_dword s16, s[16:17], 0x0
	buffer_load_dword v4, off, s[56:59], 0  ; 4-byte Folded Reload
	buffer_load_dword v5, off, s[56:59], 0 offset:4 ; 4-byte Folded Reload
	v_cmp_eq_u32_e64 s[2:3], 0, v1
	v_lshlrev_b32_e32 v1, 5, v22
	v_add3_u32 v23, s50, v1, v0
	v_lshlrev_b32_e32 v0, 2, v0
	s_sub_i32 s53, 1, s29
	v_lshl_or_b32 v0, v22, 7, v0
	s_lshl_b64 s[40:41], s[34:35], 2
	v_add_u32_e32 v25, 0x190, v0
	s_add_u32 s40, s30, s40
	s_addc_u32 s41, s31, s41
	s_mov_b32 s14, 0
	v_mov_b32_e32 v2, s41
	s_mov_b32 s52, s13
	s_brev_b32 s15, 1
	v_mov_b32_e32 v53, 0
	v_cmp_neq_f32_e64 s[4:5], s51, 0
	s_waitcnt lgkmcnt(0)
	s_mov_b32 s17, s16
	s_movk_i32 s54, 0x80
	s_movk_i32 s55, 0x7f
	s_mov_b32 s43, 0x7f800001
	s_waitcnt vmcnt(0)
	v_lshlrev_b64 v[0:1], 2, v[4:5]
	v_add_co_u32_e32 v58, vcc, s40, v0
	v_mov_b32_e32 v0, 0xff7fffff
	buffer_store_dword v0, off, s[56:59], 0 offset:8 ; 4-byte Folded Spill
	ds_read_b128 v[34:37], v3 offset:128
	ds_read_b128 v[38:41], v3 offset:144
	;; [unrolled: 1-line block ×4, first 2 shown]
	v_addc_co_u32_e32 v59, vcc, v2, v1, vcc
	s_mov_b64 s[40:41], 0
	v_mov_b32_e32 v24, v4
	s_branch .LBB246_10
.LBB246_9:                              ;   in Loop: Header=BB246_10 Depth=1
	s_or_b64 exec, exec, s[44:45]
	v_add_u32_e32 v24, 2, v24
	v_cmp_le_i32_e32 vcc, s33, v24
	s_or_b64 s[40:41], vcc, s[40:41]
	v_add_co_u32_e32 v58, vcc, 8, v58
	v_add_u32_e32 v23, 64, v23
	v_add_u32_e32 v25, 0x100, v25
	v_addc_co_u32_e32 v59, vcc, 0, v59, vcc
	s_andn2_b64 exec, exec, s[40:41]
	s_cbranch_execz .LBB246_300
.LBB246_10:                             ; =>This Inner Loop Header: Depth=1
	global_load_dword v0, v[58:59], off
	buffer_load_dword v2, off, s[56:59], 0 offset:12 ; 4-byte Folded Reload
	buffer_load_dword v3, off, s[56:59], 0 offset:16 ; 4-byte Folded Reload
	v_pk_mov_b32 v[60:61], 0, 0
	v_pk_mov_b32 v[62:63], v[60:61], v[60:61] op_sel:[0,1]
	s_waitcnt vmcnt(0) lgkmcnt(0)
	v_mad_i64_i32 v[0:1], s[44:45], v0, s52, v[2:3]
	buffer_load_dword v2, off, s[56:59], 0 offset:20 ; 4-byte Folded Reload
	buffer_load_dword v3, off, s[56:59], 0 offset:24 ; 4-byte Folded Reload
	s_waitcnt vmcnt(1)
	v_add_co_u32_e32 v72, vcc, v0, v2
	v_addc_co_u32_e32 v73, vcc, 0, v1, vcc
	global_load_ushort v1, v[72:73], off
	s_waitcnt vmcnt(0)
	v_and_b32_e32 v0, 0xffff, v1
	v_cmp_ne_u16_sdwa s[46:47], v1, v53 src0_sel:BYTE_0 src1_sel:DWORD
	s_and_saveexec_b64 s[44:45], s[46:47]
	s_cbranch_execz .LBB246_16
; %bb.11:                               ;   in Loop: Header=BB246_10 Depth=1
	v_bfrev_b32_e32 v62, 1
	v_cmp_ne_u16_sdwa s[48:49], v0, s54 src0_sel:BYTE_0 src1_sel:DWORD
	v_mov_b32_e32 v63, 0
	s_and_saveexec_b64 s[46:47], s[48:49]
	s_cbranch_execz .LBB246_15
; %bb.12:                               ;   in Loop: Header=BB246_10 Depth=1
	v_and_b32_e32 v1, 0x7f, v0
	v_mov_b32_e32 v62, 0x7f800001
	v_cmp_ne_u32_e32 vcc, s55, v1
	v_mov_b32_e32 v63, 0
	s_and_saveexec_b64 s[48:49], vcc
	s_cbranch_execz .LBB246_14
; %bb.13:                               ;   in Loop: Header=BB246_10 Depth=1
	v_and_b32_e32 v4, 7, v0
	v_ffbh_u32_e32 v2, v4
	v_min_u32_e32 v6, 32, v2
	v_subrev_u32_e32 v2, 28, v6
	v_lshlrev_b64 v[2:3], v2, v[0:1]
	v_lshrrev_b32_e32 v5, 3, v1
	v_sub_u32_e32 v3, 29, v6
	v_and_b32_e32 v2, 7, v2
	v_cmp_gt_u32_e32 vcc, 8, v1
	v_cndmask_b32_e32 v1, v5, v3, vcc
	v_cndmask_b32_e32 v2, v4, v2, vcc
	v_bfrev_b32_e32 v4, 60
	v_lshlrev_b32_e32 v2, 20, v2
	v_and_b32_sdwa v3, sext(v0), s15 dst_sel:DWORD dst_unused:UNUSED_PAD src0_sel:BYTE_0 src1_sel:DWORD
	v_lshl_add_u32 v1, v1, 23, v4
	v_or3_b32 v52, v3, v1, v2
	v_pk_mov_b32 v[62:63], v[52:53], v[52:53] op_sel:[0,1]
.LBB246_14:                             ;   in Loop: Header=BB246_10 Depth=1
	s_or_b64 exec, exec, s[48:49]
.LBB246_15:                             ;   in Loop: Header=BB246_10 Depth=1
	s_or_b64 exec, exec, s[46:47]
.LBB246_16:                             ;   in Loop: Header=BB246_10 Depth=1
	s_or_b64 exec, exec, s[44:45]
	v_cmp_ne_u16_sdwa s[46:47], v0, v53 src0_sel:BYTE_1 src1_sel:DWORD
	s_and_saveexec_b64 s[44:45], s[46:47]
	s_cbranch_execz .LBB246_22
; %bb.17:                               ;   in Loop: Header=BB246_10 Depth=1
	v_cmp_ne_u16_sdwa s[48:49], v0, s54 src0_sel:BYTE_1 src1_sel:DWORD
	v_pk_mov_b32 v[60:61], s[14:15], s[14:15] op_sel:[0,1]
	s_and_saveexec_b64 s[46:47], s[48:49]
	s_cbranch_execz .LBB246_21
; %bb.18:                               ;   in Loop: Header=BB246_10 Depth=1
	v_and_b32_sdwa v1, v0, s55 dst_sel:DWORD dst_unused:UNUSED_PAD src0_sel:BYTE_1 src1_sel:DWORD
	s_mov_b32 s42, s14
	v_cmp_ne_u32_e32 vcc, s55, v1
	v_pk_mov_b32 v[60:61], s[42:43], s[42:43] op_sel:[0,1]
	s_and_saveexec_b64 s[48:49], vcc
	s_cbranch_execz .LBB246_20
; %bb.19:                               ;   in Loop: Header=BB246_10 Depth=1
	v_mov_b32_e32 v2, 7
	v_and_b32_sdwa v52, v0, v2 dst_sel:DWORD dst_unused:UNUSED_PAD src0_sel:BYTE_1 src1_sel:DWORD
	v_ffbh_u32_e32 v2, v52
	v_min_u32_e32 v5, 32, v2
	v_subrev_u32_e32 v2, 28, v5
	v_lshlrev_b64 v[2:3], v2, v[52:53]
	v_lshrrev_b32_e32 v4, 3, v1
	v_sub_u32_e32 v3, 29, v5
	v_cmp_gt_u32_e32 vcc, 8, v1
	v_and_b32_e32 v2, 7, v2
	v_cndmask_b32_e32 v1, v4, v3, vcc
	v_bfrev_b32_e32 v3, 60
	v_cndmask_b32_e32 v2, v52, v2, vcc
	v_lshlrev_b32_e32 v0, 16, v0
	v_lshl_add_u32 v1, v1, 23, v3
	v_and_or_b32 v0, v0, s15, v1
	v_lshlrev_b32_e32 v1, 20, v2
	v_or_b32_e32 v61, v0, v1
	v_mov_b32_e32 v60, v53
.LBB246_20:                             ;   in Loop: Header=BB246_10 Depth=1
	s_or_b64 exec, exec, s[48:49]
.LBB246_21:                             ;   in Loop: Header=BB246_10 Depth=1
	s_or_b64 exec, exec, s[46:47]
.LBB246_22:                             ;   in Loop: Header=BB246_10 Depth=1
	s_or_b64 exec, exec, s[44:45]
	global_load_ushort v1, v[72:73], off offset:4
	v_pk_mov_b32 v[64:65], 0, 0
	v_pk_mov_b32 v[66:67], v[64:65], v[64:65] op_sel:[0,1]
	s_waitcnt vmcnt(0)
	v_and_b32_e32 v0, 0xffff, v1
	v_cmp_ne_u16_sdwa s[46:47], v1, v53 src0_sel:BYTE_0 src1_sel:DWORD
	s_and_saveexec_b64 s[44:45], s[46:47]
	s_cbranch_execz .LBB246_28
; %bb.23:                               ;   in Loop: Header=BB246_10 Depth=1
	v_bfrev_b32_e32 v66, 1
	v_cmp_ne_u16_sdwa s[48:49], v0, s54 src0_sel:BYTE_0 src1_sel:DWORD
	v_mov_b32_e32 v67, 0
	s_and_saveexec_b64 s[46:47], s[48:49]
	s_cbranch_execz .LBB246_27
; %bb.24:                               ;   in Loop: Header=BB246_10 Depth=1
	v_and_b32_e32 v1, 0x7f, v0
	v_mov_b32_e32 v66, 0x7f800001
	v_cmp_ne_u32_e32 vcc, s55, v1
	v_mov_b32_e32 v67, 0
	s_and_saveexec_b64 s[48:49], vcc
	s_cbranch_execz .LBB246_26
; %bb.25:                               ;   in Loop: Header=BB246_10 Depth=1
	v_and_b32_e32 v4, 7, v0
	v_ffbh_u32_e32 v2, v4
	v_min_u32_e32 v6, 32, v2
	v_subrev_u32_e32 v2, 28, v6
	v_lshlrev_b64 v[2:3], v2, v[0:1]
	v_lshrrev_b32_e32 v5, 3, v1
	v_sub_u32_e32 v3, 29, v6
	v_and_b32_e32 v2, 7, v2
	v_cmp_gt_u32_e32 vcc, 8, v1
	v_cndmask_b32_e32 v1, v5, v3, vcc
	v_cndmask_b32_e32 v2, v4, v2, vcc
	v_bfrev_b32_e32 v4, 60
	v_lshlrev_b32_e32 v2, 20, v2
	v_and_b32_sdwa v3, sext(v0), s15 dst_sel:DWORD dst_unused:UNUSED_PAD src0_sel:BYTE_0 src1_sel:DWORD
	v_lshl_add_u32 v1, v1, 23, v4
	v_or3_b32 v52, v3, v1, v2
	v_pk_mov_b32 v[66:67], v[52:53], v[52:53] op_sel:[0,1]
.LBB246_26:                             ;   in Loop: Header=BB246_10 Depth=1
	s_or_b64 exec, exec, s[48:49]
.LBB246_27:                             ;   in Loop: Header=BB246_10 Depth=1
	s_or_b64 exec, exec, s[46:47]
.LBB246_28:                             ;   in Loop: Header=BB246_10 Depth=1
	s_or_b64 exec, exec, s[44:45]
	v_cmp_ne_u16_sdwa s[46:47], v0, v53 src0_sel:BYTE_1 src1_sel:DWORD
	s_and_saveexec_b64 s[44:45], s[46:47]
	s_cbranch_execz .LBB246_34
; %bb.29:                               ;   in Loop: Header=BB246_10 Depth=1
	v_cmp_ne_u16_sdwa s[48:49], v0, s54 src0_sel:BYTE_1 src1_sel:DWORD
	v_pk_mov_b32 v[64:65], s[14:15], s[14:15] op_sel:[0,1]
	s_and_saveexec_b64 s[46:47], s[48:49]
	s_cbranch_execz .LBB246_33
; %bb.30:                               ;   in Loop: Header=BB246_10 Depth=1
	v_and_b32_sdwa v1, v0, s55 dst_sel:DWORD dst_unused:UNUSED_PAD src0_sel:BYTE_1 src1_sel:DWORD
	s_mov_b32 s42, s14
	v_cmp_ne_u32_e32 vcc, s55, v1
	v_pk_mov_b32 v[64:65], s[42:43], s[42:43] op_sel:[0,1]
	s_and_saveexec_b64 s[48:49], vcc
	s_cbranch_execz .LBB246_32
; %bb.31:                               ;   in Loop: Header=BB246_10 Depth=1
	v_mov_b32_e32 v2, 7
	v_and_b32_sdwa v52, v0, v2 dst_sel:DWORD dst_unused:UNUSED_PAD src0_sel:BYTE_1 src1_sel:DWORD
	v_ffbh_u32_e32 v2, v52
	v_min_u32_e32 v5, 32, v2
	v_subrev_u32_e32 v2, 28, v5
	v_lshlrev_b64 v[2:3], v2, v[52:53]
	v_lshrrev_b32_e32 v4, 3, v1
	v_sub_u32_e32 v3, 29, v5
	v_cmp_gt_u32_e32 vcc, 8, v1
	v_and_b32_e32 v2, 7, v2
	v_cndmask_b32_e32 v1, v4, v3, vcc
	v_bfrev_b32_e32 v3, 60
	v_cndmask_b32_e32 v2, v52, v2, vcc
	v_lshlrev_b32_e32 v0, 16, v0
	v_lshl_add_u32 v1, v1, 23, v3
	v_and_or_b32 v0, v0, s15, v1
	v_lshlrev_b32_e32 v1, 20, v2
	v_or_b32_e32 v65, v0, v1
	v_mov_b32_e32 v64, v53
.LBB246_32:                             ;   in Loop: Header=BB246_10 Depth=1
	s_or_b64 exec, exec, s[48:49]
.LBB246_33:                             ;   in Loop: Header=BB246_10 Depth=1
	s_or_b64 exec, exec, s[46:47]
.LBB246_34:                             ;   in Loop: Header=BB246_10 Depth=1
	s_or_b64 exec, exec, s[44:45]
	global_load_ushort v1, v[72:73], off offset:8
	v_pk_mov_b32 v[68:69], 0, 0
	v_pk_mov_b32 v[70:71], v[68:69], v[68:69] op_sel:[0,1]
	s_waitcnt vmcnt(0)
	v_and_b32_e32 v0, 0xffff, v1
	v_cmp_ne_u16_sdwa s[46:47], v1, v53 src0_sel:BYTE_0 src1_sel:DWORD
	s_and_saveexec_b64 s[44:45], s[46:47]
	s_cbranch_execz .LBB246_40
; %bb.35:                               ;   in Loop: Header=BB246_10 Depth=1
	v_bfrev_b32_e32 v70, 1
	v_cmp_ne_u16_sdwa s[48:49], v0, s54 src0_sel:BYTE_0 src1_sel:DWORD
	v_mov_b32_e32 v71, 0
	s_and_saveexec_b64 s[46:47], s[48:49]
	s_cbranch_execz .LBB246_39
; %bb.36:                               ;   in Loop: Header=BB246_10 Depth=1
	v_and_b32_e32 v1, 0x7f, v0
	v_mov_b32_e32 v70, 0x7f800001
	v_cmp_ne_u32_e32 vcc, s55, v1
	v_mov_b32_e32 v71, 0
	s_and_saveexec_b64 s[48:49], vcc
	s_cbranch_execz .LBB246_38
; %bb.37:                               ;   in Loop: Header=BB246_10 Depth=1
	v_and_b32_e32 v4, 7, v0
	v_ffbh_u32_e32 v2, v4
	v_min_u32_e32 v6, 32, v2
	v_subrev_u32_e32 v2, 28, v6
	v_lshlrev_b64 v[2:3], v2, v[0:1]
	v_lshrrev_b32_e32 v5, 3, v1
	v_sub_u32_e32 v3, 29, v6
	v_and_b32_e32 v2, 7, v2
	v_cmp_gt_u32_e32 vcc, 8, v1
	v_cndmask_b32_e32 v1, v5, v3, vcc
	v_cndmask_b32_e32 v2, v4, v2, vcc
	v_bfrev_b32_e32 v4, 60
	v_lshlrev_b32_e32 v2, 20, v2
	v_and_b32_sdwa v3, sext(v0), s15 dst_sel:DWORD dst_unused:UNUSED_PAD src0_sel:BYTE_0 src1_sel:DWORD
	v_lshl_add_u32 v1, v1, 23, v4
	v_or3_b32 v52, v3, v1, v2
	v_pk_mov_b32 v[70:71], v[52:53], v[52:53] op_sel:[0,1]
.LBB246_38:                             ;   in Loop: Header=BB246_10 Depth=1
	s_or_b64 exec, exec, s[48:49]
.LBB246_39:                             ;   in Loop: Header=BB246_10 Depth=1
	s_or_b64 exec, exec, s[46:47]
.LBB246_40:                             ;   in Loop: Header=BB246_10 Depth=1
	s_or_b64 exec, exec, s[44:45]
	v_cmp_ne_u16_sdwa s[46:47], v0, v53 src0_sel:BYTE_1 src1_sel:DWORD
	s_and_saveexec_b64 s[44:45], s[46:47]
	s_cbranch_execz .LBB246_46
; %bb.41:                               ;   in Loop: Header=BB246_10 Depth=1
	v_cmp_ne_u16_sdwa s[48:49], v0, s54 src0_sel:BYTE_1 src1_sel:DWORD
	v_pk_mov_b32 v[68:69], s[14:15], s[14:15] op_sel:[0,1]
	s_and_saveexec_b64 s[46:47], s[48:49]
	s_cbranch_execz .LBB246_45
; %bb.42:                               ;   in Loop: Header=BB246_10 Depth=1
	v_and_b32_sdwa v1, v0, s55 dst_sel:DWORD dst_unused:UNUSED_PAD src0_sel:BYTE_1 src1_sel:DWORD
	s_mov_b32 s42, s14
	v_cmp_ne_u32_e32 vcc, s55, v1
	v_pk_mov_b32 v[68:69], s[42:43], s[42:43] op_sel:[0,1]
	s_and_saveexec_b64 s[48:49], vcc
	s_cbranch_execz .LBB246_44
; %bb.43:                               ;   in Loop: Header=BB246_10 Depth=1
	v_mov_b32_e32 v2, 7
	v_and_b32_sdwa v52, v0, v2 dst_sel:DWORD dst_unused:UNUSED_PAD src0_sel:BYTE_1 src1_sel:DWORD
	v_ffbh_u32_e32 v2, v52
	v_min_u32_e32 v5, 32, v2
	v_subrev_u32_e32 v2, 28, v5
	v_lshlrev_b64 v[2:3], v2, v[52:53]
	v_lshrrev_b32_e32 v4, 3, v1
	v_sub_u32_e32 v3, 29, v5
	v_cmp_gt_u32_e32 vcc, 8, v1
	v_and_b32_e32 v2, 7, v2
	v_cndmask_b32_e32 v1, v4, v3, vcc
	v_bfrev_b32_e32 v3, 60
	v_cndmask_b32_e32 v2, v52, v2, vcc
	v_lshlrev_b32_e32 v0, 16, v0
	v_lshl_add_u32 v1, v1, 23, v3
	v_and_or_b32 v0, v0, s15, v1
	v_lshlrev_b32_e32 v1, 20, v2
	v_or_b32_e32 v69, v0, v1
	v_mov_b32_e32 v68, v53
.LBB246_44:                             ;   in Loop: Header=BB246_10 Depth=1
	s_or_b64 exec, exec, s[48:49]
.LBB246_45:                             ;   in Loop: Header=BB246_10 Depth=1
	s_or_b64 exec, exec, s[46:47]
.LBB246_46:                             ;   in Loop: Header=BB246_10 Depth=1
	s_or_b64 exec, exec, s[44:45]
	global_load_ushort v1, v[72:73], off offset:12
	v_pk_mov_b32 v[74:75], 0, 0
	v_pk_mov_b32 v[76:77], v[74:75], v[74:75] op_sel:[0,1]
	s_waitcnt vmcnt(0)
	v_and_b32_e32 v0, 0xffff, v1
	v_cmp_ne_u16_sdwa s[46:47], v1, v53 src0_sel:BYTE_0 src1_sel:DWORD
	s_and_saveexec_b64 s[44:45], s[46:47]
	s_cbranch_execz .LBB246_52
; %bb.47:                               ;   in Loop: Header=BB246_10 Depth=1
	v_bfrev_b32_e32 v76, 1
	v_cmp_ne_u16_sdwa s[48:49], v0, s54 src0_sel:BYTE_0 src1_sel:DWORD
	v_mov_b32_e32 v77, 0
	s_and_saveexec_b64 s[46:47], s[48:49]
	s_cbranch_execz .LBB246_51
; %bb.48:                               ;   in Loop: Header=BB246_10 Depth=1
	v_and_b32_e32 v1, 0x7f, v0
	v_mov_b32_e32 v76, 0x7f800001
	v_cmp_ne_u32_e32 vcc, s55, v1
	v_mov_b32_e32 v77, 0
	s_and_saveexec_b64 s[48:49], vcc
	s_cbranch_execz .LBB246_50
; %bb.49:                               ;   in Loop: Header=BB246_10 Depth=1
	v_and_b32_e32 v4, 7, v0
	v_ffbh_u32_e32 v2, v4
	v_min_u32_e32 v6, 32, v2
	v_subrev_u32_e32 v2, 28, v6
	v_lshlrev_b64 v[2:3], v2, v[0:1]
	v_lshrrev_b32_e32 v5, 3, v1
	v_sub_u32_e32 v3, 29, v6
	v_and_b32_e32 v2, 7, v2
	v_cmp_gt_u32_e32 vcc, 8, v1
	v_cndmask_b32_e32 v1, v5, v3, vcc
	v_cndmask_b32_e32 v2, v4, v2, vcc
	v_bfrev_b32_e32 v4, 60
	v_lshlrev_b32_e32 v2, 20, v2
	v_and_b32_sdwa v3, sext(v0), s15 dst_sel:DWORD dst_unused:UNUSED_PAD src0_sel:BYTE_0 src1_sel:DWORD
	v_lshl_add_u32 v1, v1, 23, v4
	v_or3_b32 v52, v3, v1, v2
	v_pk_mov_b32 v[76:77], v[52:53], v[52:53] op_sel:[0,1]
.LBB246_50:                             ;   in Loop: Header=BB246_10 Depth=1
	s_or_b64 exec, exec, s[48:49]
.LBB246_51:                             ;   in Loop: Header=BB246_10 Depth=1
	s_or_b64 exec, exec, s[46:47]
.LBB246_52:                             ;   in Loop: Header=BB246_10 Depth=1
	s_or_b64 exec, exec, s[44:45]
	v_cmp_ne_u16_sdwa s[46:47], v0, v53 src0_sel:BYTE_1 src1_sel:DWORD
	s_and_saveexec_b64 s[44:45], s[46:47]
	s_cbranch_execz .LBB246_58
; %bb.53:                               ;   in Loop: Header=BB246_10 Depth=1
	v_cmp_ne_u16_sdwa s[48:49], v0, s54 src0_sel:BYTE_1 src1_sel:DWORD
	v_pk_mov_b32 v[74:75], s[14:15], s[14:15] op_sel:[0,1]
	s_and_saveexec_b64 s[46:47], s[48:49]
	s_cbranch_execz .LBB246_57
; %bb.54:                               ;   in Loop: Header=BB246_10 Depth=1
	v_and_b32_sdwa v1, v0, s55 dst_sel:DWORD dst_unused:UNUSED_PAD src0_sel:BYTE_1 src1_sel:DWORD
	s_mov_b32 s42, s14
	v_cmp_ne_u32_e32 vcc, s55, v1
	v_pk_mov_b32 v[74:75], s[42:43], s[42:43] op_sel:[0,1]
	s_and_saveexec_b64 s[48:49], vcc
	s_cbranch_execz .LBB246_56
; %bb.55:                               ;   in Loop: Header=BB246_10 Depth=1
	v_mov_b32_e32 v2, 7
	v_and_b32_sdwa v52, v0, v2 dst_sel:DWORD dst_unused:UNUSED_PAD src0_sel:BYTE_1 src1_sel:DWORD
	v_ffbh_u32_e32 v2, v52
	v_min_u32_e32 v5, 32, v2
	v_subrev_u32_e32 v2, 28, v5
	v_lshlrev_b64 v[2:3], v2, v[52:53]
	v_lshrrev_b32_e32 v4, 3, v1
	v_sub_u32_e32 v3, 29, v5
	v_cmp_gt_u32_e32 vcc, 8, v1
	v_and_b32_e32 v2, 7, v2
	v_cndmask_b32_e32 v1, v4, v3, vcc
	v_bfrev_b32_e32 v3, 60
	v_cndmask_b32_e32 v2, v52, v2, vcc
	v_lshlrev_b32_e32 v0, 16, v0
	v_lshl_add_u32 v1, v1, 23, v3
	v_and_or_b32 v0, v0, s15, v1
	v_lshlrev_b32_e32 v1, 20, v2
	v_or_b32_e32 v75, v0, v1
	v_mov_b32_e32 v74, v53
.LBB246_56:                             ;   in Loop: Header=BB246_10 Depth=1
	s_or_b64 exec, exec, s[48:49]
.LBB246_57:                             ;   in Loop: Header=BB246_10 Depth=1
	s_or_b64 exec, exec, s[46:47]
.LBB246_58:                             ;   in Loop: Header=BB246_10 Depth=1
	s_or_b64 exec, exec, s[44:45]
	global_load_ushort v1, v[72:73], off offset:512
	v_pk_mov_b32 v[78:79], 0, 0
	v_pk_mov_b32 v[80:81], v[78:79], v[78:79] op_sel:[0,1]
	s_waitcnt vmcnt(0)
	v_and_b32_e32 v0, 0xffff, v1
	v_cmp_ne_u16_sdwa s[46:47], v1, v53 src0_sel:BYTE_0 src1_sel:DWORD
	s_and_saveexec_b64 s[44:45], s[46:47]
	s_cbranch_execz .LBB246_64
; %bb.59:                               ;   in Loop: Header=BB246_10 Depth=1
	v_bfrev_b32_e32 v80, 1
	v_cmp_ne_u16_sdwa s[48:49], v0, s54 src0_sel:BYTE_0 src1_sel:DWORD
	v_mov_b32_e32 v81, 0
	s_and_saveexec_b64 s[46:47], s[48:49]
	s_cbranch_execz .LBB246_63
; %bb.60:                               ;   in Loop: Header=BB246_10 Depth=1
	v_and_b32_e32 v1, 0x7f, v0
	v_mov_b32_e32 v80, 0x7f800001
	v_cmp_ne_u32_e32 vcc, s55, v1
	v_mov_b32_e32 v81, 0
	s_and_saveexec_b64 s[48:49], vcc
	s_cbranch_execz .LBB246_62
; %bb.61:                               ;   in Loop: Header=BB246_10 Depth=1
	v_and_b32_e32 v4, 7, v0
	v_ffbh_u32_e32 v2, v4
	v_min_u32_e32 v6, 32, v2
	v_subrev_u32_e32 v2, 28, v6
	v_lshlrev_b64 v[2:3], v2, v[0:1]
	v_lshrrev_b32_e32 v5, 3, v1
	v_sub_u32_e32 v3, 29, v6
	v_and_b32_e32 v2, 7, v2
	v_cmp_gt_u32_e32 vcc, 8, v1
	v_cndmask_b32_e32 v1, v5, v3, vcc
	v_cndmask_b32_e32 v2, v4, v2, vcc
	v_bfrev_b32_e32 v4, 60
	v_lshlrev_b32_e32 v2, 20, v2
	v_and_b32_sdwa v3, sext(v0), s15 dst_sel:DWORD dst_unused:UNUSED_PAD src0_sel:BYTE_0 src1_sel:DWORD
	v_lshl_add_u32 v1, v1, 23, v4
	v_or3_b32 v52, v3, v1, v2
	v_pk_mov_b32 v[80:81], v[52:53], v[52:53] op_sel:[0,1]
.LBB246_62:                             ;   in Loop: Header=BB246_10 Depth=1
	s_or_b64 exec, exec, s[48:49]
.LBB246_63:                             ;   in Loop: Header=BB246_10 Depth=1
	s_or_b64 exec, exec, s[46:47]
.LBB246_64:                             ;   in Loop: Header=BB246_10 Depth=1
	s_or_b64 exec, exec, s[44:45]
	v_cmp_ne_u16_sdwa s[46:47], v0, v53 src0_sel:BYTE_1 src1_sel:DWORD
	s_and_saveexec_b64 s[44:45], s[46:47]
	s_cbranch_execz .LBB246_70
; %bb.65:                               ;   in Loop: Header=BB246_10 Depth=1
	v_cmp_ne_u16_sdwa s[48:49], v0, s54 src0_sel:BYTE_1 src1_sel:DWORD
	v_pk_mov_b32 v[78:79], s[14:15], s[14:15] op_sel:[0,1]
	s_and_saveexec_b64 s[46:47], s[48:49]
	s_cbranch_execz .LBB246_69
; %bb.66:                               ;   in Loop: Header=BB246_10 Depth=1
	v_and_b32_sdwa v1, v0, s55 dst_sel:DWORD dst_unused:UNUSED_PAD src0_sel:BYTE_1 src1_sel:DWORD
	s_mov_b32 s42, s14
	v_cmp_ne_u32_e32 vcc, s55, v1
	v_pk_mov_b32 v[78:79], s[42:43], s[42:43] op_sel:[0,1]
	s_and_saveexec_b64 s[48:49], vcc
	s_cbranch_execz .LBB246_68
; %bb.67:                               ;   in Loop: Header=BB246_10 Depth=1
	v_mov_b32_e32 v2, 7
	v_and_b32_sdwa v52, v0, v2 dst_sel:DWORD dst_unused:UNUSED_PAD src0_sel:BYTE_1 src1_sel:DWORD
	v_ffbh_u32_e32 v2, v52
	v_min_u32_e32 v5, 32, v2
	v_subrev_u32_e32 v2, 28, v5
	v_lshlrev_b64 v[2:3], v2, v[52:53]
	v_lshrrev_b32_e32 v4, 3, v1
	v_sub_u32_e32 v3, 29, v5
	v_cmp_gt_u32_e32 vcc, 8, v1
	v_and_b32_e32 v2, 7, v2
	v_cndmask_b32_e32 v1, v4, v3, vcc
	v_bfrev_b32_e32 v3, 60
	v_cndmask_b32_e32 v2, v52, v2, vcc
	v_lshlrev_b32_e32 v0, 16, v0
	v_lshl_add_u32 v1, v1, 23, v3
	v_and_or_b32 v0, v0, s15, v1
	v_lshlrev_b32_e32 v1, 20, v2
	v_or_b32_e32 v79, v0, v1
	v_mov_b32_e32 v78, v53
.LBB246_68:                             ;   in Loop: Header=BB246_10 Depth=1
	s_or_b64 exec, exec, s[48:49]
.LBB246_69:                             ;   in Loop: Header=BB246_10 Depth=1
	s_or_b64 exec, exec, s[46:47]
.LBB246_70:                             ;   in Loop: Header=BB246_10 Depth=1
	s_or_b64 exec, exec, s[44:45]
	global_load_ushort v1, v[72:73], off offset:516
	v_pk_mov_b32 v[82:83], 0, 0
	v_pk_mov_b32 v[84:85], v[82:83], v[82:83] op_sel:[0,1]
	s_waitcnt vmcnt(0)
	v_and_b32_e32 v0, 0xffff, v1
	v_cmp_ne_u16_sdwa s[46:47], v1, v53 src0_sel:BYTE_0 src1_sel:DWORD
	s_and_saveexec_b64 s[44:45], s[46:47]
	s_cbranch_execz .LBB246_76
; %bb.71:                               ;   in Loop: Header=BB246_10 Depth=1
	v_bfrev_b32_e32 v84, 1
	v_cmp_ne_u16_sdwa s[48:49], v0, s54 src0_sel:BYTE_0 src1_sel:DWORD
	v_mov_b32_e32 v85, 0
	s_and_saveexec_b64 s[46:47], s[48:49]
	s_cbranch_execz .LBB246_75
; %bb.72:                               ;   in Loop: Header=BB246_10 Depth=1
	v_and_b32_e32 v1, 0x7f, v0
	v_mov_b32_e32 v84, 0x7f800001
	v_cmp_ne_u32_e32 vcc, s55, v1
	v_mov_b32_e32 v85, 0
	s_and_saveexec_b64 s[48:49], vcc
	s_cbranch_execz .LBB246_74
; %bb.73:                               ;   in Loop: Header=BB246_10 Depth=1
	v_and_b32_e32 v4, 7, v0
	v_ffbh_u32_e32 v2, v4
	v_min_u32_e32 v6, 32, v2
	v_subrev_u32_e32 v2, 28, v6
	v_lshlrev_b64 v[2:3], v2, v[0:1]
	v_lshrrev_b32_e32 v5, 3, v1
	v_sub_u32_e32 v3, 29, v6
	v_and_b32_e32 v2, 7, v2
	v_cmp_gt_u32_e32 vcc, 8, v1
	v_cndmask_b32_e32 v1, v5, v3, vcc
	v_cndmask_b32_e32 v2, v4, v2, vcc
	v_bfrev_b32_e32 v4, 60
	v_lshlrev_b32_e32 v2, 20, v2
	v_and_b32_sdwa v3, sext(v0), s15 dst_sel:DWORD dst_unused:UNUSED_PAD src0_sel:BYTE_0 src1_sel:DWORD
	v_lshl_add_u32 v1, v1, 23, v4
	v_or3_b32 v52, v3, v1, v2
	v_pk_mov_b32 v[84:85], v[52:53], v[52:53] op_sel:[0,1]
.LBB246_74:                             ;   in Loop: Header=BB246_10 Depth=1
	s_or_b64 exec, exec, s[48:49]
.LBB246_75:                             ;   in Loop: Header=BB246_10 Depth=1
	s_or_b64 exec, exec, s[46:47]
.LBB246_76:                             ;   in Loop: Header=BB246_10 Depth=1
	s_or_b64 exec, exec, s[44:45]
	v_cmp_ne_u16_sdwa s[46:47], v0, v53 src0_sel:BYTE_1 src1_sel:DWORD
	s_and_saveexec_b64 s[44:45], s[46:47]
	s_cbranch_execz .LBB246_82
; %bb.77:                               ;   in Loop: Header=BB246_10 Depth=1
	v_cmp_ne_u16_sdwa s[48:49], v0, s54 src0_sel:BYTE_1 src1_sel:DWORD
	v_pk_mov_b32 v[82:83], s[14:15], s[14:15] op_sel:[0,1]
	s_and_saveexec_b64 s[46:47], s[48:49]
	s_cbranch_execz .LBB246_81
; %bb.78:                               ;   in Loop: Header=BB246_10 Depth=1
	v_and_b32_sdwa v1, v0, s55 dst_sel:DWORD dst_unused:UNUSED_PAD src0_sel:BYTE_1 src1_sel:DWORD
	s_mov_b32 s42, s14
	v_cmp_ne_u32_e32 vcc, s55, v1
	v_pk_mov_b32 v[82:83], s[42:43], s[42:43] op_sel:[0,1]
	s_and_saveexec_b64 s[48:49], vcc
	s_cbranch_execz .LBB246_80
; %bb.79:                               ;   in Loop: Header=BB246_10 Depth=1
	v_mov_b32_e32 v2, 7
	v_and_b32_sdwa v52, v0, v2 dst_sel:DWORD dst_unused:UNUSED_PAD src0_sel:BYTE_1 src1_sel:DWORD
	v_ffbh_u32_e32 v2, v52
	v_min_u32_e32 v5, 32, v2
	v_subrev_u32_e32 v2, 28, v5
	v_lshlrev_b64 v[2:3], v2, v[52:53]
	v_lshrrev_b32_e32 v4, 3, v1
	v_sub_u32_e32 v3, 29, v5
	v_cmp_gt_u32_e32 vcc, 8, v1
	v_and_b32_e32 v2, 7, v2
	v_cndmask_b32_e32 v1, v4, v3, vcc
	v_bfrev_b32_e32 v3, 60
	v_cndmask_b32_e32 v2, v52, v2, vcc
	v_lshlrev_b32_e32 v0, 16, v0
	v_lshl_add_u32 v1, v1, 23, v3
	v_and_or_b32 v0, v0, s15, v1
	v_lshlrev_b32_e32 v1, 20, v2
	v_or_b32_e32 v83, v0, v1
	v_mov_b32_e32 v82, v53
.LBB246_80:                             ;   in Loop: Header=BB246_10 Depth=1
	s_or_b64 exec, exec, s[48:49]
.LBB246_81:                             ;   in Loop: Header=BB246_10 Depth=1
	s_or_b64 exec, exec, s[46:47]
.LBB246_82:                             ;   in Loop: Header=BB246_10 Depth=1
	s_or_b64 exec, exec, s[44:45]
	v_add_co_u32_e32 v0, vcc, 0x200, v72
	v_addc_co_u32_e32 v1, vcc, 0, v73, vcc
	global_load_ushort v3, v[0:1], off offset:8
	v_pk_mov_b32 v[86:87], 0, 0
	v_pk_mov_b32 v[88:89], v[86:87], v[86:87] op_sel:[0,1]
	s_waitcnt vmcnt(0)
	v_and_b32_e32 v2, 0xffff, v3
	v_cmp_ne_u16_sdwa s[46:47], v3, v53 src0_sel:BYTE_0 src1_sel:DWORD
	s_and_saveexec_b64 s[44:45], s[46:47]
	s_cbranch_execz .LBB246_88
; %bb.83:                               ;   in Loop: Header=BB246_10 Depth=1
	v_bfrev_b32_e32 v88, 1
	v_cmp_ne_u16_sdwa s[48:49], v2, s54 src0_sel:BYTE_0 src1_sel:DWORD
	v_mov_b32_e32 v89, 0
	s_and_saveexec_b64 s[46:47], s[48:49]
	s_cbranch_execz .LBB246_87
; %bb.84:                               ;   in Loop: Header=BB246_10 Depth=1
	v_and_b32_e32 v3, 0x7f, v2
	v_mov_b32_e32 v88, 0x7f800001
	v_cmp_ne_u32_e32 vcc, s55, v3
	v_mov_b32_e32 v89, 0
	s_and_saveexec_b64 s[48:49], vcc
	s_cbranch_execz .LBB246_86
; %bb.85:                               ;   in Loop: Header=BB246_10 Depth=1
	v_and_b32_e32 v6, 7, v2
	v_ffbh_u32_e32 v4, v6
	v_min_u32_e32 v8, 32, v4
	v_subrev_u32_e32 v4, 28, v8
	v_lshlrev_b64 v[4:5], v4, v[2:3]
	v_lshrrev_b32_e32 v7, 3, v3
	v_sub_u32_e32 v5, 29, v8
	v_and_b32_e32 v4, 7, v4
	v_cmp_gt_u32_e32 vcc, 8, v3
	v_cndmask_b32_e32 v3, v7, v5, vcc
	v_cndmask_b32_e32 v4, v6, v4, vcc
	v_bfrev_b32_e32 v6, 60
	v_lshlrev_b32_e32 v4, 20, v4
	v_and_b32_sdwa v5, sext(v2), s15 dst_sel:DWORD dst_unused:UNUSED_PAD src0_sel:BYTE_0 src1_sel:DWORD
	v_lshl_add_u32 v3, v3, 23, v6
	v_or3_b32 v52, v5, v3, v4
	v_pk_mov_b32 v[88:89], v[52:53], v[52:53] op_sel:[0,1]
.LBB246_86:                             ;   in Loop: Header=BB246_10 Depth=1
	s_or_b64 exec, exec, s[48:49]
.LBB246_87:                             ;   in Loop: Header=BB246_10 Depth=1
	s_or_b64 exec, exec, s[46:47]
.LBB246_88:                             ;   in Loop: Header=BB246_10 Depth=1
	s_or_b64 exec, exec, s[44:45]
	v_cmp_ne_u16_sdwa s[46:47], v2, v53 src0_sel:BYTE_1 src1_sel:DWORD
	s_and_saveexec_b64 s[44:45], s[46:47]
	s_cbranch_execz .LBB246_94
; %bb.89:                               ;   in Loop: Header=BB246_10 Depth=1
	v_cmp_ne_u16_sdwa s[48:49], v2, s54 src0_sel:BYTE_1 src1_sel:DWORD
	v_pk_mov_b32 v[86:87], s[14:15], s[14:15] op_sel:[0,1]
	s_and_saveexec_b64 s[46:47], s[48:49]
	s_cbranch_execz .LBB246_93
; %bb.90:                               ;   in Loop: Header=BB246_10 Depth=1
	v_and_b32_sdwa v3, v2, s55 dst_sel:DWORD dst_unused:UNUSED_PAD src0_sel:BYTE_1 src1_sel:DWORD
	s_mov_b32 s42, s14
	v_cmp_ne_u32_e32 vcc, s55, v3
	v_pk_mov_b32 v[86:87], s[42:43], s[42:43] op_sel:[0,1]
	s_and_saveexec_b64 s[48:49], vcc
	s_cbranch_execz .LBB246_92
; %bb.91:                               ;   in Loop: Header=BB246_10 Depth=1
	v_mov_b32_e32 v4, 7
	v_and_b32_sdwa v52, v2, v4 dst_sel:DWORD dst_unused:UNUSED_PAD src0_sel:BYTE_1 src1_sel:DWORD
	v_ffbh_u32_e32 v4, v52
	v_min_u32_e32 v7, 32, v4
	v_subrev_u32_e32 v4, 28, v7
	v_lshlrev_b64 v[4:5], v4, v[52:53]
	v_lshrrev_b32_e32 v6, 3, v3
	v_sub_u32_e32 v5, 29, v7
	v_cmp_gt_u32_e32 vcc, 8, v3
	v_and_b32_e32 v4, 7, v4
	v_cndmask_b32_e32 v3, v6, v5, vcc
	v_bfrev_b32_e32 v5, 60
	v_cndmask_b32_e32 v4, v52, v4, vcc
	v_lshlrev_b32_e32 v2, 16, v2
	v_lshl_add_u32 v3, v3, 23, v5
	v_and_or_b32 v2, v2, s15, v3
	v_lshlrev_b32_e32 v3, 20, v4
	v_or_b32_e32 v87, v2, v3
	v_mov_b32_e32 v86, v53
.LBB246_92:                             ;   in Loop: Header=BB246_10 Depth=1
	s_or_b64 exec, exec, s[48:49]
.LBB246_93:                             ;   in Loop: Header=BB246_10 Depth=1
	s_or_b64 exec, exec, s[46:47]
.LBB246_94:                             ;   in Loop: Header=BB246_10 Depth=1
	s_or_b64 exec, exec, s[44:45]
	global_load_ushort v1, v[0:1], off offset:12
	v_pk_mov_b32 v[90:91], 0, 0
	v_pk_mov_b32 v[92:93], v[90:91], v[90:91] op_sel:[0,1]
	s_waitcnt vmcnt(0)
	v_and_b32_e32 v0, 0xffff, v1
	v_cmp_ne_u16_sdwa s[46:47], v1, v53 src0_sel:BYTE_0 src1_sel:DWORD
	s_and_saveexec_b64 s[44:45], s[46:47]
	s_cbranch_execz .LBB246_100
; %bb.95:                               ;   in Loop: Header=BB246_10 Depth=1
	v_bfrev_b32_e32 v92, 1
	v_cmp_ne_u16_sdwa s[48:49], v0, s54 src0_sel:BYTE_0 src1_sel:DWORD
	v_mov_b32_e32 v93, 0
	s_and_saveexec_b64 s[46:47], s[48:49]
	s_cbranch_execz .LBB246_99
; %bb.96:                               ;   in Loop: Header=BB246_10 Depth=1
	v_and_b32_e32 v1, 0x7f, v0
	v_mov_b32_e32 v92, 0x7f800001
	v_cmp_ne_u32_e32 vcc, s55, v1
	v_mov_b32_e32 v93, 0
	s_and_saveexec_b64 s[48:49], vcc
	s_cbranch_execz .LBB246_98
; %bb.97:                               ;   in Loop: Header=BB246_10 Depth=1
	v_and_b32_e32 v4, 7, v0
	v_ffbh_u32_e32 v2, v4
	v_min_u32_e32 v6, 32, v2
	v_subrev_u32_e32 v2, 28, v6
	v_lshlrev_b64 v[2:3], v2, v[0:1]
	v_lshrrev_b32_e32 v5, 3, v1
	v_sub_u32_e32 v3, 29, v6
	v_and_b32_e32 v2, 7, v2
	v_cmp_gt_u32_e32 vcc, 8, v1
	v_cndmask_b32_e32 v1, v5, v3, vcc
	v_cndmask_b32_e32 v2, v4, v2, vcc
	v_bfrev_b32_e32 v4, 60
	v_lshlrev_b32_e32 v2, 20, v2
	v_and_b32_sdwa v3, sext(v0), s15 dst_sel:DWORD dst_unused:UNUSED_PAD src0_sel:BYTE_0 src1_sel:DWORD
	v_lshl_add_u32 v1, v1, 23, v4
	v_or3_b32 v52, v3, v1, v2
	v_pk_mov_b32 v[92:93], v[52:53], v[52:53] op_sel:[0,1]
.LBB246_98:                             ;   in Loop: Header=BB246_10 Depth=1
	s_or_b64 exec, exec, s[48:49]
.LBB246_99:                             ;   in Loop: Header=BB246_10 Depth=1
	s_or_b64 exec, exec, s[46:47]
.LBB246_100:                            ;   in Loop: Header=BB246_10 Depth=1
	s_or_b64 exec, exec, s[44:45]
	v_cmp_ne_u16_sdwa s[46:47], v0, v53 src0_sel:BYTE_1 src1_sel:DWORD
	s_and_saveexec_b64 s[44:45], s[46:47]
	s_cbranch_execz .LBB246_106
; %bb.101:                              ;   in Loop: Header=BB246_10 Depth=1
	v_cmp_ne_u16_sdwa s[48:49], v0, s54 src0_sel:BYTE_1 src1_sel:DWORD
	v_pk_mov_b32 v[90:91], s[14:15], s[14:15] op_sel:[0,1]
	s_and_saveexec_b64 s[46:47], s[48:49]
	s_cbranch_execz .LBB246_105
; %bb.102:                              ;   in Loop: Header=BB246_10 Depth=1
	v_and_b32_sdwa v1, v0, s55 dst_sel:DWORD dst_unused:UNUSED_PAD src0_sel:BYTE_1 src1_sel:DWORD
	s_mov_b32 s42, s14
	v_cmp_ne_u32_e32 vcc, s55, v1
	v_pk_mov_b32 v[90:91], s[42:43], s[42:43] op_sel:[0,1]
	s_and_saveexec_b64 s[48:49], vcc
	s_cbranch_execz .LBB246_104
; %bb.103:                              ;   in Loop: Header=BB246_10 Depth=1
	v_mov_b32_e32 v2, 7
	v_and_b32_sdwa v52, v0, v2 dst_sel:DWORD dst_unused:UNUSED_PAD src0_sel:BYTE_1 src1_sel:DWORD
	v_ffbh_u32_e32 v2, v52
	v_min_u32_e32 v5, 32, v2
	v_subrev_u32_e32 v2, 28, v5
	v_lshlrev_b64 v[2:3], v2, v[52:53]
	v_lshrrev_b32_e32 v4, 3, v1
	v_sub_u32_e32 v3, 29, v5
	v_cmp_gt_u32_e32 vcc, 8, v1
	v_and_b32_e32 v2, 7, v2
	v_cndmask_b32_e32 v1, v4, v3, vcc
	v_bfrev_b32_e32 v3, 60
	v_cndmask_b32_e32 v2, v52, v2, vcc
	v_lshlrev_b32_e32 v0, 16, v0
	v_lshl_add_u32 v1, v1, 23, v3
	v_and_or_b32 v0, v0, s15, v1
	v_lshlrev_b32_e32 v1, 20, v2
	v_or_b32_e32 v91, v0, v1
	v_mov_b32_e32 v90, v53
.LBB246_104:                            ;   in Loop: Header=BB246_10 Depth=1
	s_or_b64 exec, exec, s[48:49]
.LBB246_105:                            ;   in Loop: Header=BB246_10 Depth=1
	s_or_b64 exec, exec, s[46:47]
.LBB246_106:                            ;   in Loop: Header=BB246_10 Depth=1
	s_or_b64 exec, exec, s[44:45]
	global_load_ushort v1, v[72:73], off offset:1024
	v_pk_mov_b32 v[94:95], 0, 0
	v_pk_mov_b32 v[96:97], v[94:95], v[94:95] op_sel:[0,1]
	s_waitcnt vmcnt(0)
	v_and_b32_e32 v0, 0xffff, v1
	v_cmp_ne_u16_sdwa s[46:47], v1, v53 src0_sel:BYTE_0 src1_sel:DWORD
	s_and_saveexec_b64 s[44:45], s[46:47]
	s_cbranch_execz .LBB246_112
; %bb.107:                              ;   in Loop: Header=BB246_10 Depth=1
	v_bfrev_b32_e32 v96, 1
	v_cmp_ne_u16_sdwa s[48:49], v0, s54 src0_sel:BYTE_0 src1_sel:DWORD
	v_mov_b32_e32 v97, 0
	s_and_saveexec_b64 s[46:47], s[48:49]
	s_cbranch_execz .LBB246_111
; %bb.108:                              ;   in Loop: Header=BB246_10 Depth=1
	v_and_b32_e32 v1, 0x7f, v0
	v_mov_b32_e32 v96, 0x7f800001
	v_cmp_ne_u32_e32 vcc, s55, v1
	v_mov_b32_e32 v97, 0
	s_and_saveexec_b64 s[48:49], vcc
	s_cbranch_execz .LBB246_110
; %bb.109:                              ;   in Loop: Header=BB246_10 Depth=1
	v_and_b32_e32 v4, 7, v0
	v_ffbh_u32_e32 v2, v4
	v_min_u32_e32 v6, 32, v2
	v_subrev_u32_e32 v2, 28, v6
	v_lshlrev_b64 v[2:3], v2, v[0:1]
	v_lshrrev_b32_e32 v5, 3, v1
	v_sub_u32_e32 v3, 29, v6
	v_and_b32_e32 v2, 7, v2
	v_cmp_gt_u32_e32 vcc, 8, v1
	v_cndmask_b32_e32 v1, v5, v3, vcc
	v_cndmask_b32_e32 v2, v4, v2, vcc
	v_bfrev_b32_e32 v4, 60
	v_lshlrev_b32_e32 v2, 20, v2
	v_and_b32_sdwa v3, sext(v0), s15 dst_sel:DWORD dst_unused:UNUSED_PAD src0_sel:BYTE_0 src1_sel:DWORD
	v_lshl_add_u32 v1, v1, 23, v4
	v_or3_b32 v52, v3, v1, v2
	v_pk_mov_b32 v[96:97], v[52:53], v[52:53] op_sel:[0,1]
.LBB246_110:                            ;   in Loop: Header=BB246_10 Depth=1
	s_or_b64 exec, exec, s[48:49]
.LBB246_111:                            ;   in Loop: Header=BB246_10 Depth=1
	s_or_b64 exec, exec, s[46:47]
.LBB246_112:                            ;   in Loop: Header=BB246_10 Depth=1
	s_or_b64 exec, exec, s[44:45]
	v_cmp_ne_u16_sdwa s[46:47], v0, v53 src0_sel:BYTE_1 src1_sel:DWORD
	s_and_saveexec_b64 s[44:45], s[46:47]
	s_cbranch_execz .LBB246_118
; %bb.113:                              ;   in Loop: Header=BB246_10 Depth=1
	v_cmp_ne_u16_sdwa s[48:49], v0, s54 src0_sel:BYTE_1 src1_sel:DWORD
	v_pk_mov_b32 v[94:95], s[14:15], s[14:15] op_sel:[0,1]
	s_and_saveexec_b64 s[46:47], s[48:49]
	s_cbranch_execz .LBB246_117
; %bb.114:                              ;   in Loop: Header=BB246_10 Depth=1
	v_and_b32_sdwa v1, v0, s55 dst_sel:DWORD dst_unused:UNUSED_PAD src0_sel:BYTE_1 src1_sel:DWORD
	s_mov_b32 s42, s14
	v_cmp_ne_u32_e32 vcc, s55, v1
	v_pk_mov_b32 v[94:95], s[42:43], s[42:43] op_sel:[0,1]
	s_and_saveexec_b64 s[48:49], vcc
	s_cbranch_execz .LBB246_116
; %bb.115:                              ;   in Loop: Header=BB246_10 Depth=1
	v_mov_b32_e32 v2, 7
	v_and_b32_sdwa v52, v0, v2 dst_sel:DWORD dst_unused:UNUSED_PAD src0_sel:BYTE_1 src1_sel:DWORD
	v_ffbh_u32_e32 v2, v52
	v_min_u32_e32 v5, 32, v2
	v_subrev_u32_e32 v2, 28, v5
	v_lshlrev_b64 v[2:3], v2, v[52:53]
	v_lshrrev_b32_e32 v4, 3, v1
	v_sub_u32_e32 v3, 29, v5
	v_cmp_gt_u32_e32 vcc, 8, v1
	v_and_b32_e32 v2, 7, v2
	v_cndmask_b32_e32 v1, v4, v3, vcc
	v_bfrev_b32_e32 v3, 60
	v_cndmask_b32_e32 v2, v52, v2, vcc
	v_lshlrev_b32_e32 v0, 16, v0
	v_lshl_add_u32 v1, v1, 23, v3
	v_and_or_b32 v0, v0, s15, v1
	v_lshlrev_b32_e32 v1, 20, v2
	v_or_b32_e32 v95, v0, v1
	v_mov_b32_e32 v94, v53
.LBB246_116:                            ;   in Loop: Header=BB246_10 Depth=1
	s_or_b64 exec, exec, s[48:49]
.LBB246_117:                            ;   in Loop: Header=BB246_10 Depth=1
	s_or_b64 exec, exec, s[46:47]
.LBB246_118:                            ;   in Loop: Header=BB246_10 Depth=1
	s_or_b64 exec, exec, s[44:45]
	global_load_ushort v1, v[72:73], off offset:1028
	v_pk_mov_b32 v[98:99], 0, 0
	v_pk_mov_b32 v[100:101], v[98:99], v[98:99] op_sel:[0,1]
	s_waitcnt vmcnt(0)
	v_and_b32_e32 v0, 0xffff, v1
	v_cmp_ne_u16_sdwa s[46:47], v1, v53 src0_sel:BYTE_0 src1_sel:DWORD
	s_and_saveexec_b64 s[44:45], s[46:47]
	s_cbranch_execz .LBB246_124
; %bb.119:                              ;   in Loop: Header=BB246_10 Depth=1
	v_bfrev_b32_e32 v100, 1
	v_cmp_ne_u16_sdwa s[48:49], v0, s54 src0_sel:BYTE_0 src1_sel:DWORD
	v_mov_b32_e32 v101, 0
	s_and_saveexec_b64 s[46:47], s[48:49]
	s_cbranch_execz .LBB246_123
; %bb.120:                              ;   in Loop: Header=BB246_10 Depth=1
	v_and_b32_e32 v1, 0x7f, v0
	v_mov_b32_e32 v100, 0x7f800001
	v_cmp_ne_u32_e32 vcc, s55, v1
	v_mov_b32_e32 v101, 0
	s_and_saveexec_b64 s[48:49], vcc
	s_cbranch_execz .LBB246_122
; %bb.121:                              ;   in Loop: Header=BB246_10 Depth=1
	v_and_b32_e32 v4, 7, v0
	v_ffbh_u32_e32 v2, v4
	v_min_u32_e32 v6, 32, v2
	v_subrev_u32_e32 v2, 28, v6
	v_lshlrev_b64 v[2:3], v2, v[0:1]
	v_lshrrev_b32_e32 v5, 3, v1
	v_sub_u32_e32 v3, 29, v6
	v_and_b32_e32 v2, 7, v2
	v_cmp_gt_u32_e32 vcc, 8, v1
	v_cndmask_b32_e32 v1, v5, v3, vcc
	v_cndmask_b32_e32 v2, v4, v2, vcc
	v_bfrev_b32_e32 v4, 60
	v_lshlrev_b32_e32 v2, 20, v2
	v_and_b32_sdwa v3, sext(v0), s15 dst_sel:DWORD dst_unused:UNUSED_PAD src0_sel:BYTE_0 src1_sel:DWORD
	v_lshl_add_u32 v1, v1, 23, v4
	v_or3_b32 v52, v3, v1, v2
	v_pk_mov_b32 v[100:101], v[52:53], v[52:53] op_sel:[0,1]
.LBB246_122:                            ;   in Loop: Header=BB246_10 Depth=1
	s_or_b64 exec, exec, s[48:49]
.LBB246_123:                            ;   in Loop: Header=BB246_10 Depth=1
	s_or_b64 exec, exec, s[46:47]
.LBB246_124:                            ;   in Loop: Header=BB246_10 Depth=1
	s_or_b64 exec, exec, s[44:45]
	v_cmp_ne_u16_sdwa s[46:47], v0, v53 src0_sel:BYTE_1 src1_sel:DWORD
	s_and_saveexec_b64 s[44:45], s[46:47]
	s_cbranch_execz .LBB246_130
; %bb.125:                              ;   in Loop: Header=BB246_10 Depth=1
	v_cmp_ne_u16_sdwa s[48:49], v0, s54 src0_sel:BYTE_1 src1_sel:DWORD
	v_pk_mov_b32 v[98:99], s[14:15], s[14:15] op_sel:[0,1]
	s_and_saveexec_b64 s[46:47], s[48:49]
	s_cbranch_execz .LBB246_129
; %bb.126:                              ;   in Loop: Header=BB246_10 Depth=1
	v_and_b32_sdwa v1, v0, s55 dst_sel:DWORD dst_unused:UNUSED_PAD src0_sel:BYTE_1 src1_sel:DWORD
	s_mov_b32 s42, s14
	v_cmp_ne_u32_e32 vcc, s55, v1
	v_pk_mov_b32 v[98:99], s[42:43], s[42:43] op_sel:[0,1]
	s_and_saveexec_b64 s[48:49], vcc
	s_cbranch_execz .LBB246_128
; %bb.127:                              ;   in Loop: Header=BB246_10 Depth=1
	v_mov_b32_e32 v2, 7
	v_and_b32_sdwa v52, v0, v2 dst_sel:DWORD dst_unused:UNUSED_PAD src0_sel:BYTE_1 src1_sel:DWORD
	v_ffbh_u32_e32 v2, v52
	v_min_u32_e32 v5, 32, v2
	v_subrev_u32_e32 v2, 28, v5
	v_lshlrev_b64 v[2:3], v2, v[52:53]
	v_lshrrev_b32_e32 v4, 3, v1
	v_sub_u32_e32 v3, 29, v5
	v_cmp_gt_u32_e32 vcc, 8, v1
	v_and_b32_e32 v2, 7, v2
	v_cndmask_b32_e32 v1, v4, v3, vcc
	v_bfrev_b32_e32 v3, 60
	v_cndmask_b32_e32 v2, v52, v2, vcc
	v_lshlrev_b32_e32 v0, 16, v0
	v_lshl_add_u32 v1, v1, 23, v3
	v_and_or_b32 v0, v0, s15, v1
	v_lshlrev_b32_e32 v1, 20, v2
	v_or_b32_e32 v99, v0, v1
	v_mov_b32_e32 v98, v53
.LBB246_128:                            ;   in Loop: Header=BB246_10 Depth=1
	s_or_b64 exec, exec, s[48:49]
.LBB246_129:                            ;   in Loop: Header=BB246_10 Depth=1
	s_or_b64 exec, exec, s[46:47]
.LBB246_130:                            ;   in Loop: Header=BB246_10 Depth=1
	s_or_b64 exec, exec, s[44:45]
	v_add_co_u32_e32 v0, vcc, 0x400, v72
	v_addc_co_u32_e32 v1, vcc, 0, v73, vcc
	global_load_ushort v3, v[0:1], off offset:8
	v_pk_mov_b32 v[102:103], 0, 0
	v_pk_mov_b32 v[104:105], v[102:103], v[102:103] op_sel:[0,1]
	s_waitcnt vmcnt(0)
	v_and_b32_e32 v2, 0xffff, v3
	v_cmp_ne_u16_sdwa s[46:47], v3, v53 src0_sel:BYTE_0 src1_sel:DWORD
	s_and_saveexec_b64 s[44:45], s[46:47]
	s_cbranch_execz .LBB246_136
; %bb.131:                              ;   in Loop: Header=BB246_10 Depth=1
	v_bfrev_b32_e32 v104, 1
	v_cmp_ne_u16_sdwa s[48:49], v2, s54 src0_sel:BYTE_0 src1_sel:DWORD
	v_mov_b32_e32 v105, 0
	s_and_saveexec_b64 s[46:47], s[48:49]
	s_cbranch_execz .LBB246_135
; %bb.132:                              ;   in Loop: Header=BB246_10 Depth=1
	v_and_b32_e32 v3, 0x7f, v2
	v_mov_b32_e32 v104, 0x7f800001
	v_cmp_ne_u32_e32 vcc, s55, v3
	v_mov_b32_e32 v105, 0
	s_and_saveexec_b64 s[48:49], vcc
	s_cbranch_execz .LBB246_134
; %bb.133:                              ;   in Loop: Header=BB246_10 Depth=1
	v_and_b32_e32 v6, 7, v2
	v_ffbh_u32_e32 v4, v6
	v_min_u32_e32 v8, 32, v4
	v_subrev_u32_e32 v4, 28, v8
	v_lshlrev_b64 v[4:5], v4, v[2:3]
	v_lshrrev_b32_e32 v7, 3, v3
	v_sub_u32_e32 v5, 29, v8
	v_and_b32_e32 v4, 7, v4
	v_cmp_gt_u32_e32 vcc, 8, v3
	v_cndmask_b32_e32 v3, v7, v5, vcc
	v_cndmask_b32_e32 v4, v6, v4, vcc
	v_bfrev_b32_e32 v6, 60
	v_lshlrev_b32_e32 v4, 20, v4
	v_and_b32_sdwa v5, sext(v2), s15 dst_sel:DWORD dst_unused:UNUSED_PAD src0_sel:BYTE_0 src1_sel:DWORD
	v_lshl_add_u32 v3, v3, 23, v6
	v_or3_b32 v52, v5, v3, v4
	v_pk_mov_b32 v[104:105], v[52:53], v[52:53] op_sel:[0,1]
.LBB246_134:                            ;   in Loop: Header=BB246_10 Depth=1
	s_or_b64 exec, exec, s[48:49]
.LBB246_135:                            ;   in Loop: Header=BB246_10 Depth=1
	s_or_b64 exec, exec, s[46:47]
.LBB246_136:                            ;   in Loop: Header=BB246_10 Depth=1
	s_or_b64 exec, exec, s[44:45]
	v_cmp_ne_u16_sdwa s[46:47], v2, v53 src0_sel:BYTE_1 src1_sel:DWORD
	s_and_saveexec_b64 s[44:45], s[46:47]
	s_cbranch_execz .LBB246_142
; %bb.137:                              ;   in Loop: Header=BB246_10 Depth=1
	v_cmp_ne_u16_sdwa s[48:49], v2, s54 src0_sel:BYTE_1 src1_sel:DWORD
	v_pk_mov_b32 v[102:103], s[14:15], s[14:15] op_sel:[0,1]
	s_and_saveexec_b64 s[46:47], s[48:49]
	s_cbranch_execz .LBB246_141
; %bb.138:                              ;   in Loop: Header=BB246_10 Depth=1
	v_and_b32_sdwa v3, v2, s55 dst_sel:DWORD dst_unused:UNUSED_PAD src0_sel:BYTE_1 src1_sel:DWORD
	s_mov_b32 s42, s14
	v_cmp_ne_u32_e32 vcc, s55, v3
	v_pk_mov_b32 v[102:103], s[42:43], s[42:43] op_sel:[0,1]
	s_and_saveexec_b64 s[48:49], vcc
	s_cbranch_execz .LBB246_140
; %bb.139:                              ;   in Loop: Header=BB246_10 Depth=1
	v_mov_b32_e32 v4, 7
	v_and_b32_sdwa v52, v2, v4 dst_sel:DWORD dst_unused:UNUSED_PAD src0_sel:BYTE_1 src1_sel:DWORD
	v_ffbh_u32_e32 v4, v52
	v_min_u32_e32 v7, 32, v4
	v_subrev_u32_e32 v4, 28, v7
	v_lshlrev_b64 v[4:5], v4, v[52:53]
	v_lshrrev_b32_e32 v6, 3, v3
	v_sub_u32_e32 v5, 29, v7
	v_cmp_gt_u32_e32 vcc, 8, v3
	v_and_b32_e32 v4, 7, v4
	v_cndmask_b32_e32 v3, v6, v5, vcc
	v_bfrev_b32_e32 v5, 60
	v_cndmask_b32_e32 v4, v52, v4, vcc
	v_lshlrev_b32_e32 v2, 16, v2
	v_lshl_add_u32 v3, v3, 23, v5
	v_and_or_b32 v2, v2, s15, v3
	v_lshlrev_b32_e32 v3, 20, v4
	v_or_b32_e32 v103, v2, v3
	v_mov_b32_e32 v102, v53
.LBB246_140:                            ;   in Loop: Header=BB246_10 Depth=1
	s_or_b64 exec, exec, s[48:49]
.LBB246_141:                            ;   in Loop: Header=BB246_10 Depth=1
	s_or_b64 exec, exec, s[46:47]
.LBB246_142:                            ;   in Loop: Header=BB246_10 Depth=1
	s_or_b64 exec, exec, s[44:45]
	global_load_ushort v1, v[0:1], off offset:12
	v_pk_mov_b32 v[106:107], 0, 0
	v_pk_mov_b32 v[108:109], v[106:107], v[106:107] op_sel:[0,1]
	s_waitcnt vmcnt(0)
	v_and_b32_e32 v0, 0xffff, v1
	v_cmp_ne_u16_sdwa s[46:47], v1, v53 src0_sel:BYTE_0 src1_sel:DWORD
	s_and_saveexec_b64 s[44:45], s[46:47]
	s_cbranch_execz .LBB246_148
; %bb.143:                              ;   in Loop: Header=BB246_10 Depth=1
	v_bfrev_b32_e32 v108, 1
	v_cmp_ne_u16_sdwa s[48:49], v0, s54 src0_sel:BYTE_0 src1_sel:DWORD
	v_mov_b32_e32 v109, 0
	s_and_saveexec_b64 s[46:47], s[48:49]
	s_cbranch_execz .LBB246_147
; %bb.144:                              ;   in Loop: Header=BB246_10 Depth=1
	v_and_b32_e32 v1, 0x7f, v0
	v_mov_b32_e32 v108, 0x7f800001
	v_cmp_ne_u32_e32 vcc, s55, v1
	v_mov_b32_e32 v109, 0
	s_and_saveexec_b64 s[48:49], vcc
	s_cbranch_execz .LBB246_146
; %bb.145:                              ;   in Loop: Header=BB246_10 Depth=1
	v_and_b32_e32 v4, 7, v0
	v_ffbh_u32_e32 v2, v4
	v_min_u32_e32 v6, 32, v2
	v_subrev_u32_e32 v2, 28, v6
	v_lshlrev_b64 v[2:3], v2, v[0:1]
	v_lshrrev_b32_e32 v5, 3, v1
	v_sub_u32_e32 v3, 29, v6
	v_and_b32_e32 v2, 7, v2
	v_cmp_gt_u32_e32 vcc, 8, v1
	v_cndmask_b32_e32 v1, v5, v3, vcc
	v_cndmask_b32_e32 v2, v4, v2, vcc
	v_bfrev_b32_e32 v4, 60
	v_lshlrev_b32_e32 v2, 20, v2
	v_and_b32_sdwa v3, sext(v0), s15 dst_sel:DWORD dst_unused:UNUSED_PAD src0_sel:BYTE_0 src1_sel:DWORD
	v_lshl_add_u32 v1, v1, 23, v4
	v_or3_b32 v52, v3, v1, v2
	v_pk_mov_b32 v[108:109], v[52:53], v[52:53] op_sel:[0,1]
.LBB246_146:                            ;   in Loop: Header=BB246_10 Depth=1
	s_or_b64 exec, exec, s[48:49]
.LBB246_147:                            ;   in Loop: Header=BB246_10 Depth=1
	s_or_b64 exec, exec, s[46:47]
.LBB246_148:                            ;   in Loop: Header=BB246_10 Depth=1
	s_or_b64 exec, exec, s[44:45]
	v_cmp_ne_u16_sdwa s[46:47], v0, v53 src0_sel:BYTE_1 src1_sel:DWORD
	s_and_saveexec_b64 s[44:45], s[46:47]
	s_cbranch_execz .LBB246_154
; %bb.149:                              ;   in Loop: Header=BB246_10 Depth=1
	v_cmp_ne_u16_sdwa s[48:49], v0, s54 src0_sel:BYTE_1 src1_sel:DWORD
	v_pk_mov_b32 v[106:107], s[14:15], s[14:15] op_sel:[0,1]
	s_and_saveexec_b64 s[46:47], s[48:49]
	s_cbranch_execz .LBB246_153
; %bb.150:                              ;   in Loop: Header=BB246_10 Depth=1
	v_and_b32_sdwa v1, v0, s55 dst_sel:DWORD dst_unused:UNUSED_PAD src0_sel:BYTE_1 src1_sel:DWORD
	s_mov_b32 s42, s14
	v_cmp_ne_u32_e32 vcc, s55, v1
	v_pk_mov_b32 v[106:107], s[42:43], s[42:43] op_sel:[0,1]
	s_and_saveexec_b64 s[48:49], vcc
	s_cbranch_execz .LBB246_152
; %bb.151:                              ;   in Loop: Header=BB246_10 Depth=1
	v_mov_b32_e32 v2, 7
	v_and_b32_sdwa v52, v0, v2 dst_sel:DWORD dst_unused:UNUSED_PAD src0_sel:BYTE_1 src1_sel:DWORD
	v_ffbh_u32_e32 v2, v52
	v_min_u32_e32 v5, 32, v2
	v_subrev_u32_e32 v2, 28, v5
	v_lshlrev_b64 v[2:3], v2, v[52:53]
	v_lshrrev_b32_e32 v4, 3, v1
	v_sub_u32_e32 v3, 29, v5
	v_cmp_gt_u32_e32 vcc, 8, v1
	v_and_b32_e32 v2, 7, v2
	v_cndmask_b32_e32 v1, v4, v3, vcc
	v_bfrev_b32_e32 v3, 60
	v_cndmask_b32_e32 v2, v52, v2, vcc
	v_lshlrev_b32_e32 v0, 16, v0
	v_lshl_add_u32 v1, v1, 23, v3
	v_and_or_b32 v0, v0, s15, v1
	v_lshlrev_b32_e32 v1, 20, v2
	v_or_b32_e32 v107, v0, v1
	v_mov_b32_e32 v106, v53
.LBB246_152:                            ;   in Loop: Header=BB246_10 Depth=1
	s_or_b64 exec, exec, s[48:49]
.LBB246_153:                            ;   in Loop: Header=BB246_10 Depth=1
	s_or_b64 exec, exec, s[46:47]
.LBB246_154:                            ;   in Loop: Header=BB246_10 Depth=1
	s_or_b64 exec, exec, s[44:45]
	global_load_ushort v1, v[72:73], off offset:1536
	v_pk_mov_b32 v[110:111], 0, 0
	v_pk_mov_b32 v[112:113], v[110:111], v[110:111] op_sel:[0,1]
	s_waitcnt vmcnt(0)
	v_and_b32_e32 v0, 0xffff, v1
	v_cmp_ne_u16_sdwa s[46:47], v1, v53 src0_sel:BYTE_0 src1_sel:DWORD
	s_and_saveexec_b64 s[44:45], s[46:47]
	s_cbranch_execz .LBB246_160
; %bb.155:                              ;   in Loop: Header=BB246_10 Depth=1
	v_bfrev_b32_e32 v112, 1
	v_cmp_ne_u16_sdwa s[48:49], v0, s54 src0_sel:BYTE_0 src1_sel:DWORD
	v_mov_b32_e32 v113, 0
	s_and_saveexec_b64 s[46:47], s[48:49]
	s_cbranch_execz .LBB246_159
; %bb.156:                              ;   in Loop: Header=BB246_10 Depth=1
	v_and_b32_e32 v1, 0x7f, v0
	v_mov_b32_e32 v112, 0x7f800001
	v_cmp_ne_u32_e32 vcc, s55, v1
	v_mov_b32_e32 v113, 0
	s_and_saveexec_b64 s[48:49], vcc
	s_cbranch_execz .LBB246_158
; %bb.157:                              ;   in Loop: Header=BB246_10 Depth=1
	v_and_b32_e32 v4, 7, v0
	v_ffbh_u32_e32 v2, v4
	v_min_u32_e32 v6, 32, v2
	v_subrev_u32_e32 v2, 28, v6
	v_lshlrev_b64 v[2:3], v2, v[0:1]
	v_lshrrev_b32_e32 v5, 3, v1
	v_sub_u32_e32 v3, 29, v6
	v_and_b32_e32 v2, 7, v2
	v_cmp_gt_u32_e32 vcc, 8, v1
	v_cndmask_b32_e32 v1, v5, v3, vcc
	v_cndmask_b32_e32 v2, v4, v2, vcc
	v_bfrev_b32_e32 v4, 60
	v_lshlrev_b32_e32 v2, 20, v2
	v_and_b32_sdwa v3, sext(v0), s15 dst_sel:DWORD dst_unused:UNUSED_PAD src0_sel:BYTE_0 src1_sel:DWORD
	v_lshl_add_u32 v1, v1, 23, v4
	v_or3_b32 v52, v3, v1, v2
	v_pk_mov_b32 v[112:113], v[52:53], v[52:53] op_sel:[0,1]
.LBB246_158:                            ;   in Loop: Header=BB246_10 Depth=1
	s_or_b64 exec, exec, s[48:49]
.LBB246_159:                            ;   in Loop: Header=BB246_10 Depth=1
	s_or_b64 exec, exec, s[46:47]
.LBB246_160:                            ;   in Loop: Header=BB246_10 Depth=1
	s_or_b64 exec, exec, s[44:45]
	v_cmp_ne_u16_sdwa s[46:47], v0, v53 src0_sel:BYTE_1 src1_sel:DWORD
	s_and_saveexec_b64 s[44:45], s[46:47]
	s_cbranch_execz .LBB246_166
; %bb.161:                              ;   in Loop: Header=BB246_10 Depth=1
	v_cmp_ne_u16_sdwa s[48:49], v0, s54 src0_sel:BYTE_1 src1_sel:DWORD
	v_pk_mov_b32 v[110:111], s[14:15], s[14:15] op_sel:[0,1]
	s_and_saveexec_b64 s[46:47], s[48:49]
	s_cbranch_execz .LBB246_165
; %bb.162:                              ;   in Loop: Header=BB246_10 Depth=1
	v_and_b32_sdwa v1, v0, s55 dst_sel:DWORD dst_unused:UNUSED_PAD src0_sel:BYTE_1 src1_sel:DWORD
	s_mov_b32 s42, s14
	v_cmp_ne_u32_e32 vcc, s55, v1
	v_pk_mov_b32 v[110:111], s[42:43], s[42:43] op_sel:[0,1]
	s_and_saveexec_b64 s[48:49], vcc
	s_cbranch_execz .LBB246_164
; %bb.163:                              ;   in Loop: Header=BB246_10 Depth=1
	v_mov_b32_e32 v2, 7
	v_and_b32_sdwa v52, v0, v2 dst_sel:DWORD dst_unused:UNUSED_PAD src0_sel:BYTE_1 src1_sel:DWORD
	v_ffbh_u32_e32 v2, v52
	v_min_u32_e32 v5, 32, v2
	v_subrev_u32_e32 v2, 28, v5
	v_lshlrev_b64 v[2:3], v2, v[52:53]
	v_lshrrev_b32_e32 v4, 3, v1
	v_sub_u32_e32 v3, 29, v5
	v_cmp_gt_u32_e32 vcc, 8, v1
	v_and_b32_e32 v2, 7, v2
	v_cndmask_b32_e32 v1, v4, v3, vcc
	v_bfrev_b32_e32 v3, 60
	v_cndmask_b32_e32 v2, v52, v2, vcc
	v_lshlrev_b32_e32 v0, 16, v0
	v_lshl_add_u32 v1, v1, 23, v3
	v_and_or_b32 v0, v0, s15, v1
	v_lshlrev_b32_e32 v1, 20, v2
	v_or_b32_e32 v111, v0, v1
	v_mov_b32_e32 v110, v53
.LBB246_164:                            ;   in Loop: Header=BB246_10 Depth=1
	s_or_b64 exec, exec, s[48:49]
.LBB246_165:                            ;   in Loop: Header=BB246_10 Depth=1
	s_or_b64 exec, exec, s[46:47]
.LBB246_166:                            ;   in Loop: Header=BB246_10 Depth=1
	s_or_b64 exec, exec, s[44:45]
	global_load_ushort v1, v[72:73], off offset:1540
	v_pk_mov_b32 v[114:115], 0, 0
	v_pk_mov_b32 v[116:117], v[114:115], v[114:115] op_sel:[0,1]
	s_waitcnt vmcnt(0)
	v_and_b32_e32 v0, 0xffff, v1
	v_cmp_ne_u16_sdwa s[46:47], v1, v53 src0_sel:BYTE_0 src1_sel:DWORD
	s_and_saveexec_b64 s[44:45], s[46:47]
	s_cbranch_execz .LBB246_172
; %bb.167:                              ;   in Loop: Header=BB246_10 Depth=1
	v_bfrev_b32_e32 v116, 1
	v_cmp_ne_u16_sdwa s[48:49], v0, s54 src0_sel:BYTE_0 src1_sel:DWORD
	v_mov_b32_e32 v117, 0
	s_and_saveexec_b64 s[46:47], s[48:49]
	s_cbranch_execz .LBB246_171
; %bb.168:                              ;   in Loop: Header=BB246_10 Depth=1
	v_and_b32_e32 v1, 0x7f, v0
	v_mov_b32_e32 v116, 0x7f800001
	v_cmp_ne_u32_e32 vcc, s55, v1
	v_mov_b32_e32 v117, 0
	s_and_saveexec_b64 s[48:49], vcc
	s_cbranch_execz .LBB246_170
; %bb.169:                              ;   in Loop: Header=BB246_10 Depth=1
	v_and_b32_e32 v4, 7, v0
	v_lshrrev_b32_e32 v5, 3, v1
	v_cmp_gt_u32_e32 vcc, 8, v1
	v_ffbh_u32_e32 v1, v4
	v_min_u32_e32 v1, 32, v1
	v_subrev_u32_e32 v2, 28, v1
	v_lshlrev_b64 v[2:3], v2, v[0:1]
	v_sub_u32_e32 v1, 29, v1
	v_and_b32_e32 v2, 7, v2
	v_cndmask_b32_e32 v1, v5, v1, vcc
	v_cndmask_b32_e32 v2, v4, v2, vcc
	v_bfrev_b32_e32 v4, 60
	v_lshlrev_b32_e32 v2, 20, v2
	v_and_b32_sdwa v3, sext(v0), s15 dst_sel:DWORD dst_unused:UNUSED_PAD src0_sel:BYTE_0 src1_sel:DWORD
	v_lshl_add_u32 v1, v1, 23, v4
	v_or3_b32 v52, v3, v1, v2
	v_pk_mov_b32 v[116:117], v[52:53], v[52:53] op_sel:[0,1]
.LBB246_170:                            ;   in Loop: Header=BB246_10 Depth=1
	s_or_b64 exec, exec, s[48:49]
.LBB246_171:                            ;   in Loop: Header=BB246_10 Depth=1
	s_or_b64 exec, exec, s[46:47]
.LBB246_172:                            ;   in Loop: Header=BB246_10 Depth=1
	s_or_b64 exec, exec, s[44:45]
	v_cmp_ne_u16_sdwa s[46:47], v0, v53 src0_sel:BYTE_1 src1_sel:DWORD
	s_and_saveexec_b64 s[44:45], s[46:47]
	s_cbranch_execz .LBB246_178
; %bb.173:                              ;   in Loop: Header=BB246_10 Depth=1
	v_cmp_ne_u16_sdwa s[48:49], v0, s54 src0_sel:BYTE_1 src1_sel:DWORD
	v_pk_mov_b32 v[114:115], s[14:15], s[14:15] op_sel:[0,1]
	s_and_saveexec_b64 s[46:47], s[48:49]
	s_cbranch_execz .LBB246_177
; %bb.174:                              ;   in Loop: Header=BB246_10 Depth=1
	v_and_b32_sdwa v1, v0, s55 dst_sel:DWORD dst_unused:UNUSED_PAD src0_sel:BYTE_1 src1_sel:DWORD
	s_mov_b32 s42, s14
	v_cmp_ne_u32_e32 vcc, s55, v1
	v_pk_mov_b32 v[114:115], s[42:43], s[42:43] op_sel:[0,1]
	s_and_saveexec_b64 s[48:49], vcc
	s_cbranch_execz .LBB246_176
; %bb.175:                              ;   in Loop: Header=BB246_10 Depth=1
	v_mov_b32_e32 v2, 7
	v_and_b32_sdwa v52, v0, v2 dst_sel:DWORD dst_unused:UNUSED_PAD src0_sel:BYTE_1 src1_sel:DWORD
	v_lshrrev_b32_e32 v4, 3, v1
	v_cmp_gt_u32_e32 vcc, 8, v1
	v_ffbh_u32_e32 v1, v52
	v_min_u32_e32 v1, 32, v1
	v_subrev_u32_e32 v2, 28, v1
	v_lshlrev_b64 v[2:3], v2, v[52:53]
	v_sub_u32_e32 v1, 29, v1
	v_and_b32_e32 v2, 7, v2
	v_cndmask_b32_e32 v1, v4, v1, vcc
	v_bfrev_b32_e32 v3, 60
	v_cndmask_b32_e32 v2, v52, v2, vcc
	v_lshlrev_b32_e32 v0, 16, v0
	v_lshl_add_u32 v1, v1, 23, v3
	v_and_or_b32 v0, v0, s15, v1
	v_lshlrev_b32_e32 v1, 20, v2
	v_or_b32_e32 v115, v0, v1
	v_mov_b32_e32 v114, v53
.LBB246_176:                            ;   in Loop: Header=BB246_10 Depth=1
	s_or_b64 exec, exec, s[48:49]
.LBB246_177:                            ;   in Loop: Header=BB246_10 Depth=1
	s_or_b64 exec, exec, s[46:47]
.LBB246_178:                            ;   in Loop: Header=BB246_10 Depth=1
	s_or_b64 exec, exec, s[44:45]
	v_add_co_u32_e32 v0, vcc, 0x600, v72
	v_addc_co_u32_e32 v1, vcc, 0, v73, vcc
	global_load_ushort v3, v[0:1], off offset:8
	v_pk_mov_b32 v[118:119], 0, 0
	v_pk_mov_b32 v[120:121], v[118:119], v[118:119] op_sel:[0,1]
	s_waitcnt vmcnt(0)
	v_and_b32_e32 v2, 0xffff, v3
	v_cmp_ne_u16_sdwa s[46:47], v3, v53 src0_sel:BYTE_0 src1_sel:DWORD
	s_and_saveexec_b64 s[44:45], s[46:47]
	s_cbranch_execz .LBB246_184
; %bb.179:                              ;   in Loop: Header=BB246_10 Depth=1
	v_bfrev_b32_e32 v120, 1
	v_cmp_ne_u16_sdwa s[48:49], v2, s54 src0_sel:BYTE_0 src1_sel:DWORD
	v_mov_b32_e32 v121, 0
	s_and_saveexec_b64 s[46:47], s[48:49]
	s_cbranch_execz .LBB246_183
; %bb.180:                              ;   in Loop: Header=BB246_10 Depth=1
	v_and_b32_e32 v3, 0x7f, v2
	v_mov_b32_e32 v120, 0x7f800001
	v_cmp_ne_u32_e32 vcc, s55, v3
	v_mov_b32_e32 v121, 0
	s_and_saveexec_b64 s[48:49], vcc
	s_cbranch_execz .LBB246_182
; %bb.181:                              ;   in Loop: Header=BB246_10 Depth=1
	v_and_b32_e32 v6, 7, v2
	v_lshrrev_b32_e32 v7, 3, v3
	v_cmp_gt_u32_e32 vcc, 8, v3
	v_ffbh_u32_e32 v3, v6
	v_min_u32_e32 v3, 32, v3
	v_subrev_u32_e32 v4, 28, v3
	v_lshlrev_b64 v[4:5], v4, v[2:3]
	v_sub_u32_e32 v3, 29, v3
	v_and_b32_e32 v4, 7, v4
	v_cndmask_b32_e32 v3, v7, v3, vcc
	v_cndmask_b32_e32 v4, v6, v4, vcc
	v_bfrev_b32_e32 v6, 60
	v_lshlrev_b32_e32 v4, 20, v4
	v_and_b32_sdwa v5, sext(v2), s15 dst_sel:DWORD dst_unused:UNUSED_PAD src0_sel:BYTE_0 src1_sel:DWORD
	v_lshl_add_u32 v3, v3, 23, v6
	v_or3_b32 v52, v5, v3, v4
	v_pk_mov_b32 v[120:121], v[52:53], v[52:53] op_sel:[0,1]
.LBB246_182:                            ;   in Loop: Header=BB246_10 Depth=1
	s_or_b64 exec, exec, s[48:49]
.LBB246_183:                            ;   in Loop: Header=BB246_10 Depth=1
	s_or_b64 exec, exec, s[46:47]
.LBB246_184:                            ;   in Loop: Header=BB246_10 Depth=1
	s_or_b64 exec, exec, s[44:45]
	v_cmp_ne_u16_sdwa s[46:47], v2, v53 src0_sel:BYTE_1 src1_sel:DWORD
	s_and_saveexec_b64 s[44:45], s[46:47]
	s_cbranch_execz .LBB246_190
; %bb.185:                              ;   in Loop: Header=BB246_10 Depth=1
	v_cmp_ne_u16_sdwa s[48:49], v2, s54 src0_sel:BYTE_1 src1_sel:DWORD
	v_pk_mov_b32 v[118:119], s[14:15], s[14:15] op_sel:[0,1]
	s_and_saveexec_b64 s[46:47], s[48:49]
	s_cbranch_execz .LBB246_189
; %bb.186:                              ;   in Loop: Header=BB246_10 Depth=1
	v_and_b32_sdwa v3, v2, s55 dst_sel:DWORD dst_unused:UNUSED_PAD src0_sel:BYTE_1 src1_sel:DWORD
	s_mov_b32 s42, s14
	v_cmp_ne_u32_e32 vcc, s55, v3
	v_pk_mov_b32 v[118:119], s[42:43], s[42:43] op_sel:[0,1]
	s_and_saveexec_b64 s[48:49], vcc
	s_cbranch_execz .LBB246_188
; %bb.187:                              ;   in Loop: Header=BB246_10 Depth=1
	v_mov_b32_e32 v4, 7
	v_and_b32_sdwa v52, v2, v4 dst_sel:DWORD dst_unused:UNUSED_PAD src0_sel:BYTE_1 src1_sel:DWORD
	v_lshrrev_b32_e32 v6, 3, v3
	v_cmp_gt_u32_e32 vcc, 8, v3
	v_ffbh_u32_e32 v3, v52
	v_min_u32_e32 v3, 32, v3
	v_subrev_u32_e32 v4, 28, v3
	v_lshlrev_b64 v[4:5], v4, v[52:53]
	v_sub_u32_e32 v3, 29, v3
	v_and_b32_e32 v4, 7, v4
	v_cndmask_b32_e32 v3, v6, v3, vcc
	v_bfrev_b32_e32 v5, 60
	v_cndmask_b32_e32 v4, v52, v4, vcc
	v_lshlrev_b32_e32 v2, 16, v2
	v_lshl_add_u32 v3, v3, 23, v5
	v_and_or_b32 v2, v2, s15, v3
	v_lshlrev_b32_e32 v3, 20, v4
	v_or_b32_e32 v119, v2, v3
	v_mov_b32_e32 v118, v53
.LBB246_188:                            ;   in Loop: Header=BB246_10 Depth=1
	s_or_b64 exec, exec, s[48:49]
.LBB246_189:                            ;   in Loop: Header=BB246_10 Depth=1
	s_or_b64 exec, exec, s[46:47]
.LBB246_190:                            ;   in Loop: Header=BB246_10 Depth=1
	s_or_b64 exec, exec, s[44:45]
	global_load_ushort v1, v[0:1], off offset:12
	v_pk_mov_b32 v[122:123], 0, 0
	v_pk_mov_b32 v[124:125], v[122:123], v[122:123] op_sel:[0,1]
	s_waitcnt vmcnt(0)
	v_and_b32_e32 v0, 0xffff, v1
	v_cmp_ne_u16_sdwa s[46:47], v1, v53 src0_sel:BYTE_0 src1_sel:DWORD
	s_and_saveexec_b64 s[44:45], s[46:47]
	s_cbranch_execz .LBB246_196
; %bb.191:                              ;   in Loop: Header=BB246_10 Depth=1
	v_bfrev_b32_e32 v124, 1
	v_cmp_ne_u16_sdwa s[48:49], v0, s54 src0_sel:BYTE_0 src1_sel:DWORD
	v_mov_b32_e32 v125, 0
	s_and_saveexec_b64 s[46:47], s[48:49]
	s_cbranch_execz .LBB246_195
; %bb.192:                              ;   in Loop: Header=BB246_10 Depth=1
	v_and_b32_e32 v1, 0x7f, v0
	v_mov_b32_e32 v124, 0x7f800001
	v_cmp_ne_u32_e32 vcc, s55, v1
	v_mov_b32_e32 v125, 0
	s_and_saveexec_b64 s[48:49], vcc
	s_cbranch_execz .LBB246_194
; %bb.193:                              ;   in Loop: Header=BB246_10 Depth=1
	v_and_b32_e32 v4, 7, v0
	v_lshrrev_b32_e32 v5, 3, v1
	v_cmp_gt_u32_e32 vcc, 8, v1
	v_ffbh_u32_e32 v1, v4
	v_min_u32_e32 v1, 32, v1
	v_subrev_u32_e32 v2, 28, v1
	v_lshlrev_b64 v[2:3], v2, v[0:1]
	v_sub_u32_e32 v1, 29, v1
	v_and_b32_e32 v2, 7, v2
	v_cndmask_b32_e32 v1, v5, v1, vcc
	v_cndmask_b32_e32 v2, v4, v2, vcc
	v_bfrev_b32_e32 v4, 60
	v_lshlrev_b32_e32 v2, 20, v2
	v_and_b32_sdwa v3, sext(v0), s15 dst_sel:DWORD dst_unused:UNUSED_PAD src0_sel:BYTE_0 src1_sel:DWORD
	v_lshl_add_u32 v1, v1, 23, v4
	v_or3_b32 v52, v3, v1, v2
	v_pk_mov_b32 v[124:125], v[52:53], v[52:53] op_sel:[0,1]
.LBB246_194:                            ;   in Loop: Header=BB246_10 Depth=1
	s_or_b64 exec, exec, s[48:49]
.LBB246_195:                            ;   in Loop: Header=BB246_10 Depth=1
	s_or_b64 exec, exec, s[46:47]
.LBB246_196:                            ;   in Loop: Header=BB246_10 Depth=1
	s_or_b64 exec, exec, s[44:45]
	v_cmp_ne_u16_sdwa s[46:47], v0, v53 src0_sel:BYTE_1 src1_sel:DWORD
	s_and_saveexec_b64 s[44:45], s[46:47]
	s_cbranch_execz .LBB246_202
; %bb.197:                              ;   in Loop: Header=BB246_10 Depth=1
	v_cmp_ne_u16_sdwa s[48:49], v0, s54 src0_sel:BYTE_1 src1_sel:DWORD
	v_pk_mov_b32 v[122:123], s[14:15], s[14:15] op_sel:[0,1]
	s_and_saveexec_b64 s[46:47], s[48:49]
	s_cbranch_execz .LBB246_201
; %bb.198:                              ;   in Loop: Header=BB246_10 Depth=1
	v_and_b32_sdwa v1, v0, s55 dst_sel:DWORD dst_unused:UNUSED_PAD src0_sel:BYTE_1 src1_sel:DWORD
	s_mov_b32 s42, s14
	v_cmp_ne_u32_e32 vcc, s55, v1
	v_pk_mov_b32 v[122:123], s[42:43], s[42:43] op_sel:[0,1]
	s_and_saveexec_b64 s[48:49], vcc
	s_cbranch_execz .LBB246_200
; %bb.199:                              ;   in Loop: Header=BB246_10 Depth=1
	v_mov_b32_e32 v2, 7
	v_and_b32_sdwa v52, v0, v2 dst_sel:DWORD dst_unused:UNUSED_PAD src0_sel:BYTE_1 src1_sel:DWORD
	v_lshrrev_b32_e32 v4, 3, v1
	v_cmp_gt_u32_e32 vcc, 8, v1
	v_ffbh_u32_e32 v1, v52
	v_min_u32_e32 v1, 32, v1
	v_subrev_u32_e32 v2, 28, v1
	v_lshlrev_b64 v[2:3], v2, v[52:53]
	v_sub_u32_e32 v1, 29, v1
	v_and_b32_e32 v2, 7, v2
	v_cndmask_b32_e32 v1, v4, v1, vcc
	v_bfrev_b32_e32 v3, 60
	v_cndmask_b32_e32 v2, v52, v2, vcc
	v_lshlrev_b32_e32 v0, 16, v0
	v_lshl_add_u32 v1, v1, 23, v3
	v_and_or_b32 v0, v0, s15, v1
	v_lshlrev_b32_e32 v1, 20, v2
	v_or_b32_e32 v123, v0, v1
	v_mov_b32_e32 v122, v53
.LBB246_200:                            ;   in Loop: Header=BB246_10 Depth=1
	s_or_b64 exec, exec, s[48:49]
.LBB246_201:                            ;   in Loop: Header=BB246_10 Depth=1
	s_or_b64 exec, exec, s[46:47]
.LBB246_202:                            ;   in Loop: Header=BB246_10 Depth=1
	s_or_b64 exec, exec, s[44:45]
	global_load_ushort v1, v[72:73], off offset:2048
	v_pk_mov_b32 v[126:127], 0, 0
	v_pk_mov_b32 v[56:57], v[126:127], v[126:127] op_sel:[0,1]
	s_waitcnt vmcnt(0)
	v_and_b32_e32 v0, 0xffff, v1
	v_cmp_ne_u16_sdwa s[46:47], v1, v53 src0_sel:BYTE_0 src1_sel:DWORD
	s_and_saveexec_b64 s[44:45], s[46:47]
	s_cbranch_execz .LBB246_208
; %bb.203:                              ;   in Loop: Header=BB246_10 Depth=1
	v_bfrev_b32_e32 v56, 1
	v_cmp_ne_u16_sdwa s[48:49], v0, s54 src0_sel:BYTE_0 src1_sel:DWORD
	v_mov_b32_e32 v57, 0
	s_and_saveexec_b64 s[46:47], s[48:49]
	s_cbranch_execz .LBB246_207
; %bb.204:                              ;   in Loop: Header=BB246_10 Depth=1
	v_and_b32_e32 v1, 0x7f, v0
	v_mov_b32_e32 v56, 0x7f800001
	v_cmp_ne_u32_e32 vcc, s55, v1
	v_mov_b32_e32 v57, 0
	s_and_saveexec_b64 s[48:49], vcc
	s_cbranch_execz .LBB246_206
; %bb.205:                              ;   in Loop: Header=BB246_10 Depth=1
	v_and_b32_e32 v4, 7, v0
	v_lshrrev_b32_e32 v5, 3, v1
	v_cmp_gt_u32_e32 vcc, 8, v1
	v_ffbh_u32_e32 v1, v4
	v_min_u32_e32 v1, 32, v1
	v_subrev_u32_e32 v2, 28, v1
	v_lshlrev_b64 v[2:3], v2, v[0:1]
	v_sub_u32_e32 v1, 29, v1
	v_and_b32_e32 v2, 7, v2
	v_cndmask_b32_e32 v1, v5, v1, vcc
	v_cndmask_b32_e32 v2, v4, v2, vcc
	v_bfrev_b32_e32 v4, 60
	v_lshlrev_b32_e32 v2, 20, v2
	v_and_b32_sdwa v3, sext(v0), s15 dst_sel:DWORD dst_unused:UNUSED_PAD src0_sel:BYTE_0 src1_sel:DWORD
	v_lshl_add_u32 v1, v1, 23, v4
	v_or3_b32 v52, v3, v1, v2
	v_pk_mov_b32 v[56:57], v[52:53], v[52:53] op_sel:[0,1]
.LBB246_206:                            ;   in Loop: Header=BB246_10 Depth=1
	s_or_b64 exec, exec, s[48:49]
.LBB246_207:                            ;   in Loop: Header=BB246_10 Depth=1
	s_or_b64 exec, exec, s[46:47]
.LBB246_208:                            ;   in Loop: Header=BB246_10 Depth=1
	s_or_b64 exec, exec, s[44:45]
	v_cmp_ne_u16_sdwa s[46:47], v0, v53 src0_sel:BYTE_1 src1_sel:DWORD
	s_and_saveexec_b64 s[44:45], s[46:47]
	s_cbranch_execz .LBB246_214
; %bb.209:                              ;   in Loop: Header=BB246_10 Depth=1
	v_cmp_ne_u16_sdwa s[48:49], v0, s54 src0_sel:BYTE_1 src1_sel:DWORD
	v_pk_mov_b32 v[126:127], s[14:15], s[14:15] op_sel:[0,1]
	s_and_saveexec_b64 s[46:47], s[48:49]
	s_cbranch_execz .LBB246_213
; %bb.210:                              ;   in Loop: Header=BB246_10 Depth=1
	v_and_b32_sdwa v1, v0, s55 dst_sel:DWORD dst_unused:UNUSED_PAD src0_sel:BYTE_1 src1_sel:DWORD
	s_mov_b32 s42, s14
	v_cmp_ne_u32_e32 vcc, s55, v1
	v_pk_mov_b32 v[126:127], s[42:43], s[42:43] op_sel:[0,1]
	s_and_saveexec_b64 s[48:49], vcc
	s_cbranch_execz .LBB246_212
; %bb.211:                              ;   in Loop: Header=BB246_10 Depth=1
	v_mov_b32_e32 v2, 7
	v_and_b32_sdwa v52, v0, v2 dst_sel:DWORD dst_unused:UNUSED_PAD src0_sel:BYTE_1 src1_sel:DWORD
	v_lshrrev_b32_e32 v4, 3, v1
	v_cmp_gt_u32_e32 vcc, 8, v1
	v_ffbh_u32_e32 v1, v52
	v_min_u32_e32 v1, 32, v1
	v_subrev_u32_e32 v2, 28, v1
	v_lshlrev_b64 v[2:3], v2, v[52:53]
	v_sub_u32_e32 v1, 29, v1
	v_and_b32_e32 v2, 7, v2
	v_cndmask_b32_e32 v1, v4, v1, vcc
	v_bfrev_b32_e32 v3, 60
	v_cndmask_b32_e32 v2, v52, v2, vcc
	v_lshlrev_b32_e32 v0, 16, v0
	v_lshl_add_u32 v1, v1, 23, v3
	v_and_or_b32 v0, v0, s15, v1
	v_lshlrev_b32_e32 v1, 20, v2
	v_or_b32_e32 v127, v0, v1
	v_mov_b32_e32 v126, v53
.LBB246_212:                            ;   in Loop: Header=BB246_10 Depth=1
	s_or_b64 exec, exec, s[48:49]
.LBB246_213:                            ;   in Loop: Header=BB246_10 Depth=1
	s_or_b64 exec, exec, s[46:47]
.LBB246_214:                            ;   in Loop: Header=BB246_10 Depth=1
	s_or_b64 exec, exec, s[44:45]
	global_load_ushort v3, v[72:73], off offset:2052
	v_pk_mov_b32 v[0:1], 0, 0
	v_pk_mov_b32 v[54:55], v[0:1], v[0:1] op_sel:[0,1]
	s_waitcnt vmcnt(0)
	v_and_b32_e32 v2, 0xffff, v3
	v_cmp_ne_u16_sdwa s[46:47], v3, v53 src0_sel:BYTE_0 src1_sel:DWORD
	s_and_saveexec_b64 s[44:45], s[46:47]
	s_cbranch_execz .LBB246_220
; %bb.215:                              ;   in Loop: Header=BB246_10 Depth=1
	v_bfrev_b32_e32 v54, 1
	v_cmp_ne_u16_sdwa s[48:49], v2, s54 src0_sel:BYTE_0 src1_sel:DWORD
	v_mov_b32_e32 v55, 0
	s_and_saveexec_b64 s[46:47], s[48:49]
	s_cbranch_execz .LBB246_219
; %bb.216:                              ;   in Loop: Header=BB246_10 Depth=1
	v_and_b32_e32 v3, 0x7f, v2
	v_mov_b32_e32 v54, 0x7f800001
	v_cmp_ne_u32_e32 vcc, s55, v3
	v_mov_b32_e32 v55, 0
	s_and_saveexec_b64 s[48:49], vcc
	s_cbranch_execz .LBB246_218
; %bb.217:                              ;   in Loop: Header=BB246_10 Depth=1
	v_and_b32_e32 v6, 7, v2
	v_lshrrev_b32_e32 v7, 3, v3
	v_cmp_gt_u32_e32 vcc, 8, v3
	v_ffbh_u32_e32 v3, v6
	v_min_u32_e32 v3, 32, v3
	v_subrev_u32_e32 v4, 28, v3
	v_lshlrev_b64 v[4:5], v4, v[2:3]
	v_sub_u32_e32 v3, 29, v3
	v_and_b32_e32 v4, 7, v4
	v_cndmask_b32_e32 v3, v7, v3, vcc
	v_cndmask_b32_e32 v4, v6, v4, vcc
	v_bfrev_b32_e32 v6, 60
	v_lshlrev_b32_e32 v4, 20, v4
	v_and_b32_sdwa v5, sext(v2), s15 dst_sel:DWORD dst_unused:UNUSED_PAD src0_sel:BYTE_0 src1_sel:DWORD
	v_lshl_add_u32 v3, v3, 23, v6
	v_or3_b32 v52, v5, v3, v4
	v_pk_mov_b32 v[54:55], v[52:53], v[52:53] op_sel:[0,1]
.LBB246_218:                            ;   in Loop: Header=BB246_10 Depth=1
	s_or_b64 exec, exec, s[48:49]
.LBB246_219:                            ;   in Loop: Header=BB246_10 Depth=1
	s_or_b64 exec, exec, s[46:47]
.LBB246_220:                            ;   in Loop: Header=BB246_10 Depth=1
	s_or_b64 exec, exec, s[44:45]
	v_cmp_ne_u16_sdwa s[46:47], v2, v53 src0_sel:BYTE_1 src1_sel:DWORD
	s_and_saveexec_b64 s[44:45], s[46:47]
	s_cbranch_execz .LBB246_226
; %bb.221:                              ;   in Loop: Header=BB246_10 Depth=1
	v_cmp_ne_u16_sdwa s[48:49], v2, s54 src0_sel:BYTE_1 src1_sel:DWORD
	v_pk_mov_b32 v[0:1], s[14:15], s[14:15] op_sel:[0,1]
	s_and_saveexec_b64 s[46:47], s[48:49]
	s_cbranch_execz .LBB246_225
; %bb.222:                              ;   in Loop: Header=BB246_10 Depth=1
	v_and_b32_sdwa v3, v2, s55 dst_sel:DWORD dst_unused:UNUSED_PAD src0_sel:BYTE_1 src1_sel:DWORD
	s_mov_b32 s42, s14
	v_cmp_ne_u32_e32 vcc, s55, v3
	v_pk_mov_b32 v[0:1], s[42:43], s[42:43] op_sel:[0,1]
	s_and_saveexec_b64 s[48:49], vcc
	s_cbranch_execz .LBB246_224
; %bb.223:                              ;   in Loop: Header=BB246_10 Depth=1
	v_mov_b32_e32 v0, 7
	v_and_b32_sdwa v52, v2, v0 dst_sel:DWORD dst_unused:UNUSED_PAD src0_sel:BYTE_1 src1_sel:DWORD
	v_ffbh_u32_e32 v0, v52
	v_lshrrev_b32_e32 v4, 3, v3
	v_cmp_gt_u32_e32 vcc, 8, v3
	v_min_u32_e32 v3, 32, v0
	v_subrev_u32_e32 v0, 28, v3
	v_lshlrev_b64 v[0:1], v0, v[52:53]
	v_sub_u32_e32 v1, 29, v3
	v_and_b32_e32 v0, 7, v0
	v_cndmask_b32_e32 v1, v4, v1, vcc
	v_bfrev_b32_e32 v3, 60
	v_cndmask_b32_e32 v0, v52, v0, vcc
	v_lshlrev_b32_e32 v2, 16, v2
	v_lshl_add_u32 v1, v1, 23, v3
	v_and_or_b32 v1, v2, s15, v1
	v_lshlrev_b32_e32 v0, 20, v0
	v_or_b32_e32 v1, v1, v0
	v_mov_b32_e32 v0, v53
.LBB246_224:                            ;   in Loop: Header=BB246_10 Depth=1
	s_or_b64 exec, exec, s[48:49]
.LBB246_225:                            ;   in Loop: Header=BB246_10 Depth=1
	s_or_b64 exec, exec, s[46:47]
.LBB246_226:                            ;   in Loop: Header=BB246_10 Depth=1
	s_or_b64 exec, exec, s[44:45]
	v_add_co_u32_e32 v4, vcc, 0x800, v72
	v_addc_co_u32_e32 v5, vcc, 0, v73, vcc
	global_load_ushort v2, v[4:5], off offset:8
	v_pk_mov_b32 v[50:51], 0, 0
	s_waitcnt vmcnt(0)
	v_and_b32_e32 v6, 0xffff, v2
	v_cmp_ne_u16_sdwa s[46:47], v2, v53 src0_sel:BYTE_0 src1_sel:DWORD
	v_pk_mov_b32 v[2:3], v[50:51], v[50:51] op_sel:[0,1]
	s_and_saveexec_b64 s[44:45], s[46:47]
	s_cbranch_execz .LBB246_232
; %bb.227:                              ;   in Loop: Header=BB246_10 Depth=1
	v_bfrev_b32_e32 v2, 1
	v_cmp_ne_u16_sdwa s[48:49], v6, s54 src0_sel:BYTE_0 src1_sel:DWORD
	v_mov_b32_e32 v3, 0
	s_and_saveexec_b64 s[46:47], s[48:49]
	s_cbranch_execz .LBB246_231
; %bb.228:                              ;   in Loop: Header=BB246_10 Depth=1
	v_and_b32_e32 v7, 0x7f, v6
	v_mov_b32_e32 v2, 0x7f800001
	v_cmp_ne_u32_e32 vcc, s55, v7
	v_mov_b32_e32 v3, 0
	s_and_saveexec_b64 s[48:49], vcc
	s_cbranch_execz .LBB246_230
; %bb.229:                              ;   in Loop: Header=BB246_10 Depth=1
	v_and_b32_e32 v8, 7, v6
	v_ffbh_u32_e32 v2, v8
	v_lshrrev_b32_e32 v9, 3, v7
	v_cmp_gt_u32_e32 vcc, 8, v7
	v_min_u32_e32 v7, 32, v2
	v_subrev_u32_e32 v2, 28, v7
	v_lshlrev_b64 v[2:3], v2, v[6:7]
	v_sub_u32_e32 v3, 29, v7
	v_and_b32_e32 v2, 7, v2
	v_cndmask_b32_e32 v3, v9, v3, vcc
	v_cndmask_b32_e32 v2, v8, v2, vcc
	v_bfrev_b32_e32 v8, 60
	v_lshlrev_b32_e32 v2, 20, v2
	v_and_b32_sdwa v7, sext(v6), s15 dst_sel:DWORD dst_unused:UNUSED_PAD src0_sel:BYTE_0 src1_sel:DWORD
	v_lshl_add_u32 v3, v3, 23, v8
	v_or3_b32 v52, v7, v3, v2
	v_pk_mov_b32 v[2:3], v[52:53], v[52:53] op_sel:[0,1]
.LBB246_230:                            ;   in Loop: Header=BB246_10 Depth=1
	s_or_b64 exec, exec, s[48:49]
.LBB246_231:                            ;   in Loop: Header=BB246_10 Depth=1
	s_or_b64 exec, exec, s[46:47]
.LBB246_232:                            ;   in Loop: Header=BB246_10 Depth=1
	s_or_b64 exec, exec, s[44:45]
	v_cmp_ne_u16_sdwa s[46:47], v6, v53 src0_sel:BYTE_1 src1_sel:DWORD
	s_and_saveexec_b64 s[44:45], s[46:47]
	s_cbranch_execz .LBB246_238
; %bb.233:                              ;   in Loop: Header=BB246_10 Depth=1
	v_cmp_ne_u16_sdwa s[48:49], v6, s54 src0_sel:BYTE_1 src1_sel:DWORD
	v_pk_mov_b32 v[50:51], s[14:15], s[14:15] op_sel:[0,1]
	s_and_saveexec_b64 s[46:47], s[48:49]
	s_cbranch_execz .LBB246_237
; %bb.234:                              ;   in Loop: Header=BB246_10 Depth=1
	v_and_b32_sdwa v7, v6, s55 dst_sel:DWORD dst_unused:UNUSED_PAD src0_sel:BYTE_1 src1_sel:DWORD
	s_mov_b32 s42, s14
	v_cmp_ne_u32_e32 vcc, s55, v7
	v_pk_mov_b32 v[50:51], s[42:43], s[42:43] op_sel:[0,1]
	s_and_saveexec_b64 s[48:49], vcc
	s_cbranch_execz .LBB246_236
; %bb.235:                              ;   in Loop: Header=BB246_10 Depth=1
	v_mov_b32_e32 v8, 7
	v_and_b32_sdwa v52, v6, v8 dst_sel:DWORD dst_unused:UNUSED_PAD src0_sel:BYTE_1 src1_sel:DWORD
	v_lshrrev_b32_e32 v10, 3, v7
	v_cmp_gt_u32_e32 vcc, 8, v7
	v_ffbh_u32_e32 v7, v52
	v_min_u32_e32 v7, 32, v7
	v_subrev_u32_e32 v8, 28, v7
	v_lshlrev_b64 v[8:9], v8, v[52:53]
	v_sub_u32_e32 v7, 29, v7
	v_and_b32_e32 v8, 7, v8
	v_cndmask_b32_e32 v7, v10, v7, vcc
	v_bfrev_b32_e32 v9, 60
	v_cndmask_b32_e32 v8, v52, v8, vcc
	v_lshlrev_b32_e32 v6, 16, v6
	v_lshl_add_u32 v7, v7, 23, v9
	v_and_or_b32 v6, v6, s15, v7
	v_lshlrev_b32_e32 v7, 20, v8
	v_or_b32_e32 v51, v6, v7
	v_mov_b32_e32 v50, v53
.LBB246_236:                            ;   in Loop: Header=BB246_10 Depth=1
	s_or_b64 exec, exec, s[48:49]
.LBB246_237:                            ;   in Loop: Header=BB246_10 Depth=1
	s_or_b64 exec, exec, s[46:47]
.LBB246_238:                            ;   in Loop: Header=BB246_10 Depth=1
	s_or_b64 exec, exec, s[44:45]
	global_load_ushort v6, v[4:5], off offset:12
	v_pk_mov_b32 v[4:5], 0, 0
	s_waitcnt vmcnt(0)
	v_and_b32_e32 v8, 0xffff, v6
	v_cmp_ne_u16_sdwa s[46:47], v6, v53 src0_sel:BYTE_0 src1_sel:DWORD
	v_pk_mov_b32 v[6:7], v[4:5], v[4:5] op_sel:[0,1]
	s_and_saveexec_b64 s[44:45], s[46:47]
	s_cbranch_execz .LBB246_244
; %bb.239:                              ;   in Loop: Header=BB246_10 Depth=1
	v_bfrev_b32_e32 v6, 1
	v_cmp_ne_u16_sdwa s[48:49], v8, s54 src0_sel:BYTE_0 src1_sel:DWORD
	v_mov_b32_e32 v7, 0
	s_and_saveexec_b64 s[46:47], s[48:49]
	s_cbranch_execz .LBB246_243
; %bb.240:                              ;   in Loop: Header=BB246_10 Depth=1
	v_and_b32_e32 v9, 0x7f, v8
	v_mov_b32_e32 v6, 0x7f800001
	v_cmp_ne_u32_e32 vcc, s55, v9
	v_mov_b32_e32 v7, 0
	s_and_saveexec_b64 s[48:49], vcc
	s_cbranch_execz .LBB246_242
; %bb.241:                              ;   in Loop: Header=BB246_10 Depth=1
	v_and_b32_e32 v10, 7, v8
	v_ffbh_u32_e32 v6, v10
	v_lshrrev_b32_e32 v11, 3, v9
	v_cmp_gt_u32_e32 vcc, 8, v9
	v_min_u32_e32 v9, 32, v6
	v_subrev_u32_e32 v6, 28, v9
	v_lshlrev_b64 v[6:7], v6, v[8:9]
	v_sub_u32_e32 v7, 29, v9
	v_and_b32_e32 v6, 7, v6
	v_cndmask_b32_e32 v7, v11, v7, vcc
	v_cndmask_b32_e32 v6, v10, v6, vcc
	v_bfrev_b32_e32 v10, 60
	v_lshlrev_b32_e32 v6, 20, v6
	v_and_b32_sdwa v9, sext(v8), s15 dst_sel:DWORD dst_unused:UNUSED_PAD src0_sel:BYTE_0 src1_sel:DWORD
	v_lshl_add_u32 v7, v7, 23, v10
	v_or3_b32 v52, v9, v7, v6
	v_pk_mov_b32 v[6:7], v[52:53], v[52:53] op_sel:[0,1]
.LBB246_242:                            ;   in Loop: Header=BB246_10 Depth=1
	s_or_b64 exec, exec, s[48:49]
.LBB246_243:                            ;   in Loop: Header=BB246_10 Depth=1
	s_or_b64 exec, exec, s[46:47]
.LBB246_244:                            ;   in Loop: Header=BB246_10 Depth=1
	s_or_b64 exec, exec, s[44:45]
	v_cmp_ne_u16_sdwa s[46:47], v8, v53 src0_sel:BYTE_1 src1_sel:DWORD
	s_and_saveexec_b64 s[44:45], s[46:47]
	s_cbranch_execz .LBB246_250
; %bb.245:                              ;   in Loop: Header=BB246_10 Depth=1
	v_cmp_ne_u16_sdwa s[48:49], v8, s54 src0_sel:BYTE_1 src1_sel:DWORD
	v_pk_mov_b32 v[4:5], s[14:15], s[14:15] op_sel:[0,1]
	s_and_saveexec_b64 s[46:47], s[48:49]
	s_cbranch_execz .LBB246_249
; %bb.246:                              ;   in Loop: Header=BB246_10 Depth=1
	v_and_b32_sdwa v9, v8, s55 dst_sel:DWORD dst_unused:UNUSED_PAD src0_sel:BYTE_1 src1_sel:DWORD
	s_mov_b32 s42, s14
	v_cmp_ne_u32_e32 vcc, s55, v9
	v_pk_mov_b32 v[4:5], s[42:43], s[42:43] op_sel:[0,1]
	s_and_saveexec_b64 s[48:49], vcc
	s_cbranch_execz .LBB246_248
; %bb.247:                              ;   in Loop: Header=BB246_10 Depth=1
	v_mov_b32_e32 v4, 7
	v_and_b32_sdwa v52, v8, v4 dst_sel:DWORD dst_unused:UNUSED_PAD src0_sel:BYTE_1 src1_sel:DWORD
	v_ffbh_u32_e32 v4, v52
	v_lshrrev_b32_e32 v10, 3, v9
	v_cmp_gt_u32_e32 vcc, 8, v9
	v_min_u32_e32 v9, 32, v4
	v_subrev_u32_e32 v4, 28, v9
	v_lshlrev_b64 v[4:5], v4, v[52:53]
	v_sub_u32_e32 v5, 29, v9
	v_and_b32_e32 v4, 7, v4
	v_cndmask_b32_e32 v5, v10, v5, vcc
	v_bfrev_b32_e32 v9, 60
	v_cndmask_b32_e32 v4, v52, v4, vcc
	v_lshlrev_b32_e32 v8, 16, v8
	v_lshl_add_u32 v5, v5, 23, v9
	v_and_or_b32 v5, v8, s15, v5
	v_lshlrev_b32_e32 v4, 20, v4
	v_or_b32_e32 v5, v5, v4
	v_mov_b32_e32 v4, v53
.LBB246_248:                            ;   in Loop: Header=BB246_10 Depth=1
	s_or_b64 exec, exec, s[48:49]
.LBB246_249:                            ;   in Loop: Header=BB246_10 Depth=1
	s_or_b64 exec, exec, s[46:47]
.LBB246_250:                            ;   in Loop: Header=BB246_10 Depth=1
	s_or_b64 exec, exec, s[44:45]
	global_load_ushort v10, v[72:73], off offset:2560
	v_pk_mov_b32 v[8:9], 0, 0
	s_waitcnt vmcnt(0)
	v_and_b32_e32 v12, 0xffff, v10
	v_cmp_ne_u16_sdwa s[46:47], v10, v53 src0_sel:BYTE_0 src1_sel:DWORD
	v_pk_mov_b32 v[10:11], v[8:9], v[8:9] op_sel:[0,1]
	s_and_saveexec_b64 s[44:45], s[46:47]
	s_cbranch_execz .LBB246_256
; %bb.251:                              ;   in Loop: Header=BB246_10 Depth=1
	v_bfrev_b32_e32 v10, 1
	v_cmp_ne_u16_sdwa s[48:49], v12, s54 src0_sel:BYTE_0 src1_sel:DWORD
	v_mov_b32_e32 v11, 0
	s_and_saveexec_b64 s[46:47], s[48:49]
	s_cbranch_execz .LBB246_255
; %bb.252:                              ;   in Loop: Header=BB246_10 Depth=1
	v_and_b32_e32 v13, 0x7f, v12
	v_mov_b32_e32 v10, 0x7f800001
	v_cmp_ne_u32_e32 vcc, s55, v13
	v_mov_b32_e32 v11, 0
	s_and_saveexec_b64 s[48:49], vcc
	s_cbranch_execz .LBB246_254
; %bb.253:                              ;   in Loop: Header=BB246_10 Depth=1
	v_and_b32_e32 v14, 7, v12
	v_ffbh_u32_e32 v10, v14
	v_lshrrev_b32_e32 v15, 3, v13
	v_cmp_gt_u32_e32 vcc, 8, v13
	v_min_u32_e32 v13, 32, v10
	v_subrev_u32_e32 v10, 28, v13
	v_lshlrev_b64 v[10:11], v10, v[12:13]
	v_sub_u32_e32 v11, 29, v13
	v_and_b32_e32 v10, 7, v10
	v_cndmask_b32_e32 v11, v15, v11, vcc
	v_cndmask_b32_e32 v10, v14, v10, vcc
	v_bfrev_b32_e32 v14, 60
	v_lshlrev_b32_e32 v10, 20, v10
	v_and_b32_sdwa v13, sext(v12), s15 dst_sel:DWORD dst_unused:UNUSED_PAD src0_sel:BYTE_0 src1_sel:DWORD
	v_lshl_add_u32 v11, v11, 23, v14
	v_or3_b32 v52, v13, v11, v10
	v_pk_mov_b32 v[10:11], v[52:53], v[52:53] op_sel:[0,1]
.LBB246_254:                            ;   in Loop: Header=BB246_10 Depth=1
	s_or_b64 exec, exec, s[48:49]
.LBB246_255:                            ;   in Loop: Header=BB246_10 Depth=1
	s_or_b64 exec, exec, s[46:47]
.LBB246_256:                            ;   in Loop: Header=BB246_10 Depth=1
	s_or_b64 exec, exec, s[44:45]
	v_cmp_ne_u16_sdwa s[46:47], v12, v53 src0_sel:BYTE_1 src1_sel:DWORD
	s_and_saveexec_b64 s[44:45], s[46:47]
	s_cbranch_execz .LBB246_262
; %bb.257:                              ;   in Loop: Header=BB246_10 Depth=1
	v_cmp_ne_u16_sdwa s[48:49], v12, s54 src0_sel:BYTE_1 src1_sel:DWORD
	v_pk_mov_b32 v[8:9], s[14:15], s[14:15] op_sel:[0,1]
	s_and_saveexec_b64 s[46:47], s[48:49]
	s_cbranch_execz .LBB246_261
; %bb.258:                              ;   in Loop: Header=BB246_10 Depth=1
	v_and_b32_sdwa v13, v12, s55 dst_sel:DWORD dst_unused:UNUSED_PAD src0_sel:BYTE_1 src1_sel:DWORD
	s_mov_b32 s42, s14
	v_cmp_ne_u32_e32 vcc, s55, v13
	v_pk_mov_b32 v[8:9], s[42:43], s[42:43] op_sel:[0,1]
	s_and_saveexec_b64 s[48:49], vcc
	s_cbranch_execz .LBB246_260
; %bb.259:                              ;   in Loop: Header=BB246_10 Depth=1
	v_mov_b32_e32 v8, 7
	v_and_b32_sdwa v52, v12, v8 dst_sel:DWORD dst_unused:UNUSED_PAD src0_sel:BYTE_1 src1_sel:DWORD
	v_ffbh_u32_e32 v8, v52
	v_lshrrev_b32_e32 v14, 3, v13
	v_cmp_gt_u32_e32 vcc, 8, v13
	v_min_u32_e32 v13, 32, v8
	v_subrev_u32_e32 v8, 28, v13
	v_lshlrev_b64 v[8:9], v8, v[52:53]
	v_sub_u32_e32 v9, 29, v13
	v_and_b32_e32 v8, 7, v8
	v_cndmask_b32_e32 v9, v14, v9, vcc
	v_bfrev_b32_e32 v13, 60
	v_cndmask_b32_e32 v8, v52, v8, vcc
	v_lshlrev_b32_e32 v12, 16, v12
	v_lshl_add_u32 v9, v9, 23, v13
	v_and_or_b32 v9, v12, s15, v9
	v_lshlrev_b32_e32 v8, 20, v8
	v_or_b32_e32 v9, v9, v8
	v_mov_b32_e32 v8, v53
.LBB246_260:                            ;   in Loop: Header=BB246_10 Depth=1
	s_or_b64 exec, exec, s[48:49]
.LBB246_261:                            ;   in Loop: Header=BB246_10 Depth=1
	s_or_b64 exec, exec, s[46:47]
.LBB246_262:                            ;   in Loop: Header=BB246_10 Depth=1
	s_or_b64 exec, exec, s[44:45]
	global_load_ushort v14, v[72:73], off offset:2564
	v_pk_mov_b32 v[12:13], 0, 0
	s_waitcnt vmcnt(0)
	v_and_b32_e32 v16, 0xffff, v14
	v_cmp_ne_u16_sdwa s[46:47], v14, v53 src0_sel:BYTE_0 src1_sel:DWORD
	v_pk_mov_b32 v[14:15], v[12:13], v[12:13] op_sel:[0,1]
	s_and_saveexec_b64 s[44:45], s[46:47]
	s_cbranch_execz .LBB246_268
; %bb.263:                              ;   in Loop: Header=BB246_10 Depth=1
	v_bfrev_b32_e32 v14, 1
	v_cmp_ne_u16_sdwa s[48:49], v16, s54 src0_sel:BYTE_0 src1_sel:DWORD
	v_mov_b32_e32 v15, 0
	s_and_saveexec_b64 s[46:47], s[48:49]
	s_cbranch_execz .LBB246_267
; %bb.264:                              ;   in Loop: Header=BB246_10 Depth=1
	v_and_b32_e32 v17, 0x7f, v16
	v_mov_b32_e32 v14, 0x7f800001
	v_cmp_ne_u32_e32 vcc, s55, v17
	v_mov_b32_e32 v15, 0
	s_and_saveexec_b64 s[48:49], vcc
	s_cbranch_execz .LBB246_266
; %bb.265:                              ;   in Loop: Header=BB246_10 Depth=1
	v_and_b32_e32 v18, 7, v16
	v_ffbh_u32_e32 v14, v18
	v_lshrrev_b32_e32 v19, 3, v17
	v_cmp_gt_u32_e32 vcc, 8, v17
	v_min_u32_e32 v17, 32, v14
	v_subrev_u32_e32 v14, 28, v17
	v_lshlrev_b64 v[14:15], v14, v[16:17]
	v_sub_u32_e32 v15, 29, v17
	v_and_b32_e32 v14, 7, v14
	v_cndmask_b32_e32 v15, v19, v15, vcc
	v_cndmask_b32_e32 v14, v18, v14, vcc
	v_bfrev_b32_e32 v18, 60
	v_lshlrev_b32_e32 v14, 20, v14
	v_and_b32_sdwa v17, sext(v16), s15 dst_sel:DWORD dst_unused:UNUSED_PAD src0_sel:BYTE_0 src1_sel:DWORD
	v_lshl_add_u32 v15, v15, 23, v18
	v_or3_b32 v52, v17, v15, v14
	v_pk_mov_b32 v[14:15], v[52:53], v[52:53] op_sel:[0,1]
.LBB246_266:                            ;   in Loop: Header=BB246_10 Depth=1
	s_or_b64 exec, exec, s[48:49]
.LBB246_267:                            ;   in Loop: Header=BB246_10 Depth=1
	s_or_b64 exec, exec, s[46:47]
.LBB246_268:                            ;   in Loop: Header=BB246_10 Depth=1
	s_or_b64 exec, exec, s[44:45]
	v_cmp_ne_u16_sdwa s[46:47], v16, v53 src0_sel:BYTE_1 src1_sel:DWORD
	s_and_saveexec_b64 s[44:45], s[46:47]
	s_cbranch_execz .LBB246_274
; %bb.269:                              ;   in Loop: Header=BB246_10 Depth=1
	v_cmp_ne_u16_sdwa s[48:49], v16, s54 src0_sel:BYTE_1 src1_sel:DWORD
	v_pk_mov_b32 v[12:13], s[14:15], s[14:15] op_sel:[0,1]
	s_and_saveexec_b64 s[46:47], s[48:49]
	s_cbranch_execz .LBB246_273
; %bb.270:                              ;   in Loop: Header=BB246_10 Depth=1
	v_and_b32_sdwa v17, v16, s55 dst_sel:DWORD dst_unused:UNUSED_PAD src0_sel:BYTE_1 src1_sel:DWORD
	s_mov_b32 s42, s14
	v_cmp_ne_u32_e32 vcc, s55, v17
	v_pk_mov_b32 v[12:13], s[42:43], s[42:43] op_sel:[0,1]
	s_and_saveexec_b64 s[48:49], vcc
	s_cbranch_execz .LBB246_272
; %bb.271:                              ;   in Loop: Header=BB246_10 Depth=1
	v_mov_b32_e32 v12, 7
	v_and_b32_sdwa v52, v16, v12 dst_sel:DWORD dst_unused:UNUSED_PAD src0_sel:BYTE_1 src1_sel:DWORD
	v_ffbh_u32_e32 v12, v52
	v_lshrrev_b32_e32 v18, 3, v17
	v_cmp_gt_u32_e32 vcc, 8, v17
	v_min_u32_e32 v17, 32, v12
	v_subrev_u32_e32 v12, 28, v17
	v_lshlrev_b64 v[12:13], v12, v[52:53]
	v_sub_u32_e32 v13, 29, v17
	v_and_b32_e32 v12, 7, v12
	v_cndmask_b32_e32 v13, v18, v13, vcc
	v_bfrev_b32_e32 v17, 60
	v_cndmask_b32_e32 v12, v52, v12, vcc
	v_lshlrev_b32_e32 v16, 16, v16
	v_lshl_add_u32 v13, v13, 23, v17
	v_and_or_b32 v13, v16, s15, v13
	v_lshlrev_b32_e32 v12, 20, v12
	v_or_b32_e32 v13, v13, v12
	v_mov_b32_e32 v12, v53
.LBB246_272:                            ;   in Loop: Header=BB246_10 Depth=1
	s_or_b64 exec, exec, s[48:49]
.LBB246_273:                            ;   in Loop: Header=BB246_10 Depth=1
	s_or_b64 exec, exec, s[46:47]
.LBB246_274:                            ;   in Loop: Header=BB246_10 Depth=1
	s_or_b64 exec, exec, s[44:45]
	v_add_co_u32_e32 v16, vcc, 0xa00, v72
	v_addc_co_u32_e32 v17, vcc, 0, v73, vcc
	global_load_ushort v20, v[16:17], off offset:8
	v_pk_mov_b32 v[18:19], 0, 0
	s_waitcnt vmcnt(0)
	v_and_b32_e32 v22, 0xffff, v20
	v_cmp_ne_u16_sdwa s[46:47], v20, v53 src0_sel:BYTE_0 src1_sel:DWORD
	v_pk_mov_b32 v[20:21], v[18:19], v[18:19] op_sel:[0,1]
	s_and_saveexec_b64 s[44:45], s[46:47]
	s_cbranch_execz .LBB246_280
; %bb.275:                              ;   in Loop: Header=BB246_10 Depth=1
	v_bfrev_b32_e32 v20, 1
	v_cmp_ne_u16_sdwa s[48:49], v22, s54 src0_sel:BYTE_0 src1_sel:DWORD
	v_mov_b32_e32 v21, 0
	s_and_saveexec_b64 s[46:47], s[48:49]
	s_cbranch_execz .LBB246_279
; %bb.276:                              ;   in Loop: Header=BB246_10 Depth=1
	v_and_b32_e32 v26, 0x7f, v22
	v_mov_b32_e32 v20, 0x7f800001
	v_cmp_ne_u32_e32 vcc, s55, v26
	v_mov_b32_e32 v21, 0
	s_and_saveexec_b64 s[48:49], vcc
	s_cbranch_execz .LBB246_278
; %bb.277:                              ;   in Loop: Header=BB246_10 Depth=1
	v_and_b32_e32 v27, 7, v22
	v_ffbh_u32_e32 v20, v27
	v_lshrrev_b32_e32 v28, 3, v26
	v_cmp_gt_u32_e32 vcc, 8, v26
	v_min_u32_e32 v26, 32, v20
	v_subrev_u32_e32 v20, 28, v26
	v_lshlrev_b64 v[20:21], v20, v[22:23]
	v_sub_u32_e32 v21, 29, v26
	v_and_b32_e32 v20, 7, v20
	v_cndmask_b32_e32 v21, v28, v21, vcc
	v_cndmask_b32_e32 v20, v27, v20, vcc
	v_bfrev_b32_e32 v27, 60
	v_lshlrev_b32_e32 v20, 20, v20
	v_and_b32_sdwa v26, sext(v22), s15 dst_sel:DWORD dst_unused:UNUSED_PAD src0_sel:BYTE_0 src1_sel:DWORD
	v_lshl_add_u32 v21, v21, 23, v27
	v_or3_b32 v52, v26, v21, v20
	v_pk_mov_b32 v[20:21], v[52:53], v[52:53] op_sel:[0,1]
.LBB246_278:                            ;   in Loop: Header=BB246_10 Depth=1
	s_or_b64 exec, exec, s[48:49]
.LBB246_279:                            ;   in Loop: Header=BB246_10 Depth=1
	s_or_b64 exec, exec, s[46:47]
.LBB246_280:                            ;   in Loop: Header=BB246_10 Depth=1
	s_or_b64 exec, exec, s[44:45]
	v_cmp_ne_u16_sdwa s[46:47], v22, v53 src0_sel:BYTE_1 src1_sel:DWORD
	s_and_saveexec_b64 s[44:45], s[46:47]
	s_cbranch_execz .LBB246_286
; %bb.281:                              ;   in Loop: Header=BB246_10 Depth=1
	v_cmp_ne_u16_sdwa s[48:49], v22, s54 src0_sel:BYTE_1 src1_sel:DWORD
	v_pk_mov_b32 v[18:19], s[14:15], s[14:15] op_sel:[0,1]
	s_and_saveexec_b64 s[46:47], s[48:49]
	s_cbranch_execz .LBB246_285
; %bb.282:                              ;   in Loop: Header=BB246_10 Depth=1
	v_and_b32_sdwa v72, v22, s55 dst_sel:DWORD dst_unused:UNUSED_PAD src0_sel:BYTE_1 src1_sel:DWORD
	s_mov_b32 s42, s14
	v_cmp_ne_u32_e32 vcc, s55, v72
	v_pk_mov_b32 v[18:19], s[42:43], s[42:43] op_sel:[0,1]
	s_and_saveexec_b64 s[48:49], vcc
	s_cbranch_execz .LBB246_284
; %bb.283:                              ;   in Loop: Header=BB246_10 Depth=1
	v_mov_b32_e32 v18, 7
	v_and_b32_sdwa v52, v22, v18 dst_sel:DWORD dst_unused:UNUSED_PAD src0_sel:BYTE_1 src1_sel:DWORD
	v_ffbh_u32_e32 v18, v52
	v_min_u32_e32 v27, 32, v18
	v_subrev_u32_e32 v18, 28, v27
	v_lshlrev_b64 v[18:19], v18, v[52:53]
	v_lshrrev_b32_e32 v26, 3, v72
	v_cmp_gt_u32_e32 vcc, 8, v72
	v_sub_u32_e32 v19, 29, v27
	v_and_b32_e32 v18, 7, v18
	v_cndmask_b32_e32 v19, v26, v19, vcc
	v_bfrev_b32_e32 v26, 60
	v_cndmask_b32_e32 v18, v52, v18, vcc
	v_lshlrev_b32_e32 v22, 16, v22
	v_lshl_add_u32 v19, v19, 23, v26
	v_and_or_b32 v19, v22, s15, v19
	v_lshlrev_b32_e32 v18, 20, v18
	v_or_b32_e32 v19, v19, v18
	v_mov_b32_e32 v18, v53
.LBB246_284:                            ;   in Loop: Header=BB246_10 Depth=1
	s_or_b64 exec, exec, s[48:49]
.LBB246_285:                            ;   in Loop: Header=BB246_10 Depth=1
	s_or_b64 exec, exec, s[46:47]
.LBB246_286:                            ;   in Loop: Header=BB246_10 Depth=1
	s_or_b64 exec, exec, s[44:45]
	global_load_ushort v26, v[16:17], off offset:12
	v_pk_mov_b32 v[16:17], 0, 0
	v_pk_mov_b32 v[72:73], v[16:17], v[16:17] op_sel:[0,1]
	s_waitcnt vmcnt(0)
	v_and_b32_e32 v22, 0xffff, v26
	v_cmp_ne_u16_sdwa s[46:47], v26, v53 src0_sel:BYTE_0 src1_sel:DWORD
	s_and_saveexec_b64 s[44:45], s[46:47]
	s_cbranch_execz .LBB246_292
; %bb.287:                              ;   in Loop: Header=BB246_10 Depth=1
	v_bfrev_b32_e32 v72, 1
	v_cmp_ne_u16_sdwa s[48:49], v22, s54 src0_sel:BYTE_0 src1_sel:DWORD
	v_mov_b32_e32 v73, 0
	s_and_saveexec_b64 s[46:47], s[48:49]
	s_cbranch_execz .LBB246_291
; %bb.288:                              ;   in Loop: Header=BB246_10 Depth=1
	v_and_b32_e32 v26, 0x7f, v22
	v_mov_b32_e32 v72, 0x7f800001
	v_cmp_ne_u32_e32 vcc, s55, v26
	v_mov_b32_e32 v73, 0
	s_and_saveexec_b64 s[48:49], vcc
	s_cbranch_execz .LBB246_290
; %bb.289:                              ;   in Loop: Header=BB246_10 Depth=1
	v_and_b32_e32 v28, 7, v22
	v_lshrrev_b32_e32 v29, 3, v26
	v_cmp_gt_u32_e32 vcc, 8, v26
	v_ffbh_u32_e32 v26, v28
	v_min_u32_e32 v52, 32, v26
	v_subrev_u32_e32 v26, 28, v52
	v_lshlrev_b64 v[26:27], v26, v[22:23]
	v_sub_u32_e32 v27, 29, v52
	v_and_b32_e32 v26, 7, v26
	v_cndmask_b32_e32 v27, v29, v27, vcc
	v_cndmask_b32_e32 v26, v28, v26, vcc
	v_bfrev_b32_e32 v29, 60
	v_lshlrev_b32_e32 v26, 20, v26
	v_and_b32_sdwa v28, sext(v22), s15 dst_sel:DWORD dst_unused:UNUSED_PAD src0_sel:BYTE_0 src1_sel:DWORD
	v_lshl_add_u32 v27, v27, 23, v29
	v_or3_b32 v52, v28, v27, v26
	v_pk_mov_b32 v[72:73], v[52:53], v[52:53] op_sel:[0,1]
.LBB246_290:                            ;   in Loop: Header=BB246_10 Depth=1
	s_or_b64 exec, exec, s[48:49]
.LBB246_291:                            ;   in Loop: Header=BB246_10 Depth=1
	s_or_b64 exec, exec, s[46:47]
.LBB246_292:                            ;   in Loop: Header=BB246_10 Depth=1
	s_or_b64 exec, exec, s[44:45]
	v_cmp_ne_u16_sdwa s[46:47], v22, v53 src0_sel:BYTE_1 src1_sel:DWORD
	s_and_saveexec_b64 s[44:45], s[46:47]
	s_cbranch_execz .LBB246_298
; %bb.293:                              ;   in Loop: Header=BB246_10 Depth=1
	v_cmp_ne_u16_sdwa s[48:49], v22, s54 src0_sel:BYTE_1 src1_sel:DWORD
	v_pk_mov_b32 v[16:17], s[14:15], s[14:15] op_sel:[0,1]
	s_and_saveexec_b64 s[46:47], s[48:49]
	s_cbranch_execz .LBB246_297
; %bb.294:                              ;   in Loop: Header=BB246_10 Depth=1
	v_and_b32_sdwa v26, v22, s55 dst_sel:DWORD dst_unused:UNUSED_PAD src0_sel:BYTE_1 src1_sel:DWORD
	s_mov_b32 s42, s14
	v_cmp_ne_u32_e32 vcc, s55, v26
	v_pk_mov_b32 v[16:17], s[42:43], s[42:43] op_sel:[0,1]
	s_and_saveexec_b64 s[48:49], vcc
	s_cbranch_execz .LBB246_296
; %bb.295:                              ;   in Loop: Header=BB246_10 Depth=1
	v_mov_b32_e32 v16, 7
	v_and_b32_sdwa v52, v22, v16 dst_sel:DWORD dst_unused:UNUSED_PAD src0_sel:BYTE_1 src1_sel:DWORD
	v_ffbh_u32_e32 v16, v52
	v_lshrrev_b32_e32 v27, 3, v26
	v_cmp_gt_u32_e32 vcc, 8, v26
	v_min_u32_e32 v26, 32, v16
	v_subrev_u32_e32 v16, 28, v26
	v_lshlrev_b64 v[16:17], v16, v[52:53]
	v_sub_u32_e32 v17, 29, v26
	v_and_b32_e32 v16, 7, v16
	v_cndmask_b32_e32 v17, v27, v17, vcc
	v_bfrev_b32_e32 v26, 60
	v_cndmask_b32_e32 v16, v52, v16, vcc
	v_lshlrev_b32_e32 v22, 16, v22
	v_lshl_add_u32 v17, v17, 23, v26
	v_and_or_b32 v17, v22, s15, v17
	v_lshlrev_b32_e32 v16, 20, v16
	v_or_b32_e32 v17, v17, v16
	v_mov_b32_e32 v16, v53
.LBB246_296:                            ;   in Loop: Header=BB246_10 Depth=1
	s_or_b64 exec, exec, s[48:49]
.LBB246_297:                            ;   in Loop: Header=BB246_10 Depth=1
	s_or_b64 exec, exec, s[46:47]
.LBB246_298:                            ;   in Loop: Header=BB246_10 Depth=1
	s_or_b64 exec, exec, s[44:45]
	v_or_b32_e32 v69, v69, v71
	v_or_b32_e32 v68, v68, v70
	;; [unrolled: 1-line block ×4, first 2 shown]
	buffer_load_dword v70, off, s[56:59], 0 offset:28 ; 4-byte Folded Reload
	buffer_load_dword v71, off, s[56:59], 0 offset:32 ; 4-byte Folded Reload
	;; [unrolled: 1-line block ×4, first 2 shown]
	v_or_b32_e32 v65, v65, v67
	v_or_b32_e32 v64, v64, v66
	v_pk_mul_f32 v[64:65], s[16:17], v[64:65]
	v_or_b32_e32 v61, v61, v63
	v_or_b32_e32 v60, v60, v62
	v_pk_mul_f32 v[60:61], s[16:17], v[60:61]
	;; [unrolled: 3-line block ×3, first 2 shown]
	v_pk_mul_f32 v[74:75], s[16:17], v[74:75]
	v_or_b32_e32 v79, v79, v81
	v_or_b32_e32 v78, v78, v80
	;; [unrolled: 1-line block ×4, first 2 shown]
	v_pk_mul_f32 v[78:79], s[16:17], v[78:79]
	v_pk_mul_f32 v[82:83], s[16:17], v[82:83]
	v_or_b32_e32 v87, v87, v89
	v_or_b32_e32 v86, v86, v88
	;; [unrolled: 1-line block ×4, first 2 shown]
	v_pk_mul_f32 v[86:87], s[16:17], v[86:87]
	v_pk_mul_f32 v[90:91], s[16:17], v[90:91]
	v_or_b32_e32 v19, v19, v21
	v_or_b32_e32 v18, v18, v20
	;; [unrolled: 1-line block ×20, first 2 shown]
	v_pk_mul_f32 v[2:3], s[16:17], v[12:13]
	v_pk_mul_f32 v[12:13], s[16:17], v[20:21]
	v_pk_mul_f32 v[20:21], s[16:17], v[50:51]
	v_pk_mul_f32 v[50:51], s[16:17], v[54:55]
	v_pk_mul_f32 v[54:55], s[16:17], v[56:57]
	v_or_b32_e32 v57, v95, v97
	v_or_b32_e32 v56, v94, v96
	v_pk_mul_f32 v[0:1], s[16:17], v[18:19]
	v_pk_mul_f32 v[18:19], s[16:17], v[28:29]
	v_or_b32_e32 v29, v99, v101
	v_or_b32_e32 v28, v98, v100
	v_pk_mul_f32 v[56:57], s[16:17], v[56:57]
	v_pk_mul_f32 v[28:29], s[16:17], v[28:29]
	v_or_b32_e32 v27, v123, v125
	v_or_b32_e32 v26, v122, v124
	v_or_b32_e32 v7, v5, v7
	v_or_b32_e32 v6, v4, v6
	v_pk_mul_f32 v[4:5], s[16:17], v[8:9]
	v_pk_mul_f32 v[8:9], s[16:17], v[10:11]
	v_pk_mul_f32 v[10:11], s[16:17], v[14:15]
	v_pk_mul_f32 v[14:15], s[16:17], v[26:27]
	v_or_b32_e32 v27, v103, v105
	v_or_b32_e32 v26, v102, v104
	v_pk_mul_f32 v[26:27], s[16:17], v[26:27]
	v_pk_mul_f32 v[6:7], s[16:17], v[6:7]
	;; [unrolled: 1-line block ×3, first 2 shown]
	s_waitcnt vmcnt(1)
	v_mul_f32_e32 v22, v72, v64
	s_waitcnt vmcnt(0)
	v_mul_f32_e32 v52, v73, v65
	v_fmac_f32_e32 v22, v70, v60
	v_fmac_f32_e32 v52, v71, v61
	buffer_load_dword v60, off, s[56:59], 0 offset:44 ; 4-byte Folded Reload
	buffer_load_dword v61, off, s[56:59], 0 offset:48 ; 4-byte Folded Reload
	buffer_load_dword v62, off, s[56:59], 0 offset:52 ; 4-byte Folded Reload
	buffer_load_dword v63, off, s[56:59], 0 offset:56 ; 4-byte Folded Reload
	s_waitcnt vmcnt(3)
	v_fmac_f32_e32 v22, v60, v68
	s_waitcnt vmcnt(2)
	v_fmac_f32_e32 v52, v61, v69
	s_waitcnt vmcnt(1)
	v_fmac_f32_e32 v22, v62, v74
	s_waitcnt vmcnt(0)
	v_fmac_f32_e32 v52, v63, v75
	buffer_load_dword v60, off, s[56:59], 0 offset:60 ; 4-byte Folded Reload
	buffer_load_dword v61, off, s[56:59], 0 offset:64 ; 4-byte Folded Reload
	buffer_load_dword v62, off, s[56:59], 0 offset:68 ; 4-byte Folded Reload
	buffer_load_dword v63, off, s[56:59], 0 offset:72 ; 4-byte Folded Reload
	s_waitcnt vmcnt(3)
	v_fmac_f32_e32 v22, v60, v78
	s_waitcnt vmcnt(2)
	v_fmac_f32_e32 v52, v61, v79
	s_waitcnt vmcnt(1)
	v_fmac_f32_e32 v22, v62, v82
	s_waitcnt vmcnt(0)
	v_fmac_f32_e32 v52, v63, v83
	buffer_load_dword v60, off, s[56:59], 0 offset:76 ; 4-byte Folded Reload
	buffer_load_dword v61, off, s[56:59], 0 offset:80 ; 4-byte Folded Reload
	buffer_load_dword v62, off, s[56:59], 0 offset:84 ; 4-byte Folded Reload
	buffer_load_dword v63, off, s[56:59], 0 offset:88 ; 4-byte Folded Reload
	s_waitcnt vmcnt(3)
	v_fmac_f32_e32 v22, v60, v86
	s_waitcnt vmcnt(2)
	v_fmac_f32_e32 v52, v61, v87
	s_waitcnt vmcnt(1)
	v_fmac_f32_e32 v22, v62, v90
	s_waitcnt vmcnt(0)
	v_fmac_f32_e32 v52, v63, v91
	buffer_load_dword v60, off, s[56:59], 0 offset:92 ; 4-byte Folded Reload
	buffer_load_dword v61, off, s[56:59], 0 offset:96 ; 4-byte Folded Reload
	buffer_load_dword v62, off, s[56:59], 0 offset:100 ; 4-byte Folded Reload
	buffer_load_dword v63, off, s[56:59], 0 offset:104 ; 4-byte Folded Reload
	s_waitcnt vmcnt(3)
	v_fmac_f32_e32 v22, v60, v56
	s_waitcnt vmcnt(2)
	v_fmac_f32_e32 v52, v61, v57
	s_waitcnt vmcnt(1)
	v_fmac_f32_e32 v22, v62, v28
	s_waitcnt vmcnt(0)
	v_fmac_f32_e32 v52, v63, v29
	buffer_load_dword v60, off, s[56:59], 0 offset:108 ; 4-byte Folded Reload
	buffer_load_dword v61, off, s[56:59], 0 offset:112 ; 4-byte Folded Reload
	;; [unrolled: 1-line block ×4, first 2 shown]
	s_waitcnt vmcnt(3)
	v_fmac_f32_e32 v22, v60, v26
	s_waitcnt vmcnt(2)
	v_fmac_f32_e32 v52, v61, v27
	buffer_load_dword v26, off, s[56:59], 0 offset:124 ; 4-byte Folded Reload
	buffer_load_dword v27, off, s[56:59], 0 offset:128 ; 4-byte Folded Reload
	;; [unrolled: 1-line block ×4, first 2 shown]
	s_waitcnt vmcnt(4)
	v_fmac_f32_e32 v52, v63, v55
	v_fmac_f32_e32 v22, v62, v54
	s_waitcnt vmcnt(2)
	v_fmac_f32_e32 v52, v27, v51
	s_waitcnt vmcnt(0)
	v_fmac_f32_e32 v52, v29, v21
	v_fmac_f32_e32 v52, v31, v19
	;; [unrolled: 1-line block ×3, first 2 shown]
	s_waitcnt lgkmcnt(3)
	v_fmac_f32_e32 v52, v35, v13
	v_fmac_f32_e32 v52, v37, v11
	s_waitcnt lgkmcnt(2)
	v_fmac_f32_e32 v52, v39, v9
	v_fmac_f32_e32 v52, v41, v7
	;; [unrolled: 3-line block ×3, first 2 shown]
	s_waitcnt lgkmcnt(0)
	v_fmac_f32_e32 v52, v47, v1
	buffer_load_dword v1, off, s[56:59], 0 offset:140 ; 4-byte Folded Reload
	v_fmac_f32_e32 v22, v26, v50
	v_fmac_f32_e32 v22, v28, v20
	;; [unrolled: 1-line block ×13, first 2 shown]
	v_add_f32_e32 v0, v22, v52
	s_waitcnt vmcnt(0)
	ds_bpermute_b32 v1, v1, v0
	s_and_saveexec_b64 s[44:45], s[2:3]
	s_cbranch_execz .LBB246_9
; %bb.299:                              ;   in Loop: Header=BB246_10 Depth=1
	buffer_load_dword v3, off, s[56:59], 0 offset:8 ; 4-byte Folded Reload
	v_add_u32_e32 v2, s53, v23
	v_cvt_f32_i32_e32 v2, v2
	s_waitcnt lgkmcnt(0)
	v_add_f32_e32 v0, v0, v1
	v_cmp_gt_i32_e32 vcc, s29, v23
	v_mul_f32_e32 v2, s51, v2
	v_cndmask_b32_e64 v2, 0, v2, s[4:5]
	v_fmac_f32_e32 v2, s11, v0
	v_cndmask_b32_e32 v0, 0, v2, vcc
	ds_write_b32 v25, v0
	s_waitcnt vmcnt(0)
	v_max_f32_e32 v1, v3, v3
	v_max_f32_e32 v0, v1, v2
	v_cndmask_b32_e32 v3, v3, v0, vcc
	buffer_store_dword v3, off, s[56:59], 0 offset:8 ; 4-byte Folded Spill
	s_branch .LBB246_9
.LBB246_300:
	s_or_b64 exec, exec, s[40:41]
	buffer_load_dword v0, off, s[56:59], 0 offset:144 ; 4-byte Folded Reload
	buffer_load_dword v18, off, s[56:59], 0 offset:148 ; 4-byte Folded Reload
	;; [unrolled: 1-line block ×6, first 2 shown]
.LBB246_301:
	s_or_b64 exec, exec, s[38:39]
	s_waitcnt vmcnt(2) lgkmcnt(0)
	v_xor_b32_e32 v1, 32, v9
	s_waitcnt vmcnt(1)
	v_cmp_lt_i32_e32 vcc, v1, v10
	v_cndmask_b32_e32 v1, v9, v1, vcc
	v_lshlrev_b32_e32 v2, 2, v1
	s_waitcnt vmcnt(0)
	ds_bpermute_b32 v1, v2, v3
	v_xor_b32_e32 v4, 16, v9
	v_max_f32_e32 v3, v3, v3
	v_cmp_lt_i32_e32 vcc, v4, v10
	v_xor_b32_e32 v5, 8, v9
	s_waitcnt lgkmcnt(0)
	v_max_f32_e32 v1, v1, v1
	v_max_f32_e32 v1, v3, v1
	v_cndmask_b32_e32 v3, v9, v4, vcc
	v_lshlrev_b32_e32 v3, 2, v3
	ds_bpermute_b32 v4, v3, v1
	v_cmp_lt_i32_e32 vcc, v5, v10
	v_xor_b32_e32 v6, 4, v9
	s_waitcnt lgkmcnt(0)
	v_max_f32_e32 v4, v4, v4
	v_max_f32_e32 v1, v1, v4
	v_cndmask_b32_e32 v4, v9, v5, vcc
	v_lshlrev_b32_e32 v5, 2, v4
	ds_bpermute_b32 v4, v5, v1
	v_cmp_lt_i32_e32 vcc, v6, v10
	s_waitcnt lgkmcnt(0)
	v_max_f32_e32 v4, v4, v4
	v_max_f32_e32 v1, v1, v4
	v_cndmask_b32_e32 v4, v9, v6, vcc
	v_lshlrev_b32_e32 v78, 2, v4
	ds_bpermute_b32 v4, v78, v1
	v_xor_b32_e32 v6, 2, v9
	v_cmp_lt_i32_e32 vcc, v6, v10
	s_waitcnt lgkmcnt(0)
	v_max_f32_e32 v4, v4, v4
	v_max_f32_e32 v4, v1, v4
	v_cndmask_b32_e32 v1, v9, v6, vcc
	v_lshlrev_b32_e32 v79, 2, v1
	ds_bpermute_b32 v7, v79, v4
	v_and_b32_e32 v1, 63, v0
	v_cmp_eq_u32_e32 vcc, 0, v1
	v_lshlrev_b32_e32 v6, 2, v22
	s_and_saveexec_b64 s[2:3], vcc
	s_cbranch_execz .LBB246_303
; %bb.302:
	s_waitcnt lgkmcnt(0)
	v_max_f32_e32 v7, v7, v7
	v_max_f32_e32 v4, v4, v4
	;; [unrolled: 1-line block ×3, first 2 shown]
	ds_write_b32 v6, v4 offset:384
.LBB246_303:
	s_or_b64 exec, exec, s[2:3]
	v_cmp_gt_u32_e64 s[2:3], 2, v1
	v_mov_b32_e32 v4, 0xff7fffff
	s_waitcnt lgkmcnt(0)
	v_lshlrev_b32_e32 v7, 2, v1
	s_barrier
	s_and_saveexec_b64 s[4:5], s[2:3]
	s_cbranch_execz .LBB246_305
; %bb.304:
	ds_read_b32 v4, v7 offset:384
.LBB246_305:
	s_or_b64 exec, exec, s[4:5]
	v_xor_b32_e32 v8, 1, v9
	v_cmp_lt_i32_e64 s[4:5], v8, v10
	v_cndmask_b32_e64 v8, v9, v8, s[4:5]
	v_lshlrev_b32_e32 v80, 2, v8
	s_waitcnt lgkmcnt(0)
	ds_bpermute_b32 v8, v80, v4
	v_max_f32_e32 v4, v4, v4
	s_sub_i32 s4, s33, s10
	s_lshl_b32 s4, s4, 5
	s_add_i32 s4, s4, s50
	s_waitcnt lgkmcnt(0)
	v_max_f32_e32 v8, v8, v8
	v_max_f32_e32 v4, v4, v8
	v_lshlrev_b32_e32 v8, 2, v9
	v_and_b32_e32 v8, 0xffffff00, v8
	ds_bpermute_b32 v4, v8, v4
	s_min_i32 s39, s4, s29
	s_sub_i32 s38, s39, s50
	v_cmp_gt_i32_e64 s[4:5], s38, v0
	v_mov_b32_e32 v9, 0
	s_and_saveexec_b64 s[14:15], s[4:5]
	s_cbranch_execz .LBB246_309
; %bb.306:
	v_mov_b32_e32 v9, 0x190
	v_lshl_add_u32 v10, v0, 2, v9
	s_mov_b64 s[16:17], 0
	v_mov_b32_e32 v9, 0
	v_mov_b32_e32 v11, v0
.LBB246_307:                            ; =>This Inner Loop Header: Depth=1
	ds_read_b32 v12, v10
	v_add_u32_e32 v11, 0x80, v11
	v_cmp_le_i32_e64 s[10:11], s38, v11
	s_or_b64 s[16:17], s[10:11], s[16:17]
	s_waitcnt lgkmcnt(0)
	v_sub_f32_e32 v12, v12, v4
	v_mul_f32_e32 v12, 0x3fb8aa3b, v12
	v_exp_f32_e32 v12, v12
	ds_write_b32 v10, v12
	v_add_f32_e32 v9, v9, v12
	v_add_u32_e32 v10, 0x200, v10
	s_andn2_b64 exec, exec, s[16:17]
	s_cbranch_execnz .LBB246_307
; %bb.308:
	s_or_b64 exec, exec, s[16:17]
.LBB246_309:
	s_or_b64 exec, exec, s[14:15]
	ds_bpermute_b32 v2, v2, v9
	s_waitcnt lgkmcnt(0)
	v_add_f32_e32 v2, v9, v2
	ds_bpermute_b32 v3, v3, v2
	s_waitcnt lgkmcnt(0)
	v_add_f32_e32 v2, v2, v3
	;; [unrolled: 3-line block ×6, first 2 shown]
	s_and_saveexec_b64 s[10:11], vcc
	s_cbranch_execz .LBB246_311
; %bb.310:
	ds_write_b32 v6, v2 offset:392
.LBB246_311:
	s_or_b64 exec, exec, s[10:11]
	s_waitcnt lgkmcnt(0)
	s_barrier
	s_and_saveexec_b64 s[10:11], s[2:3]
	s_cbranch_execz .LBB246_313
; %bb.312:
	ds_read_b32 v2, v7 offset:392
.LBB246_313:
	s_or_b64 exec, exec, s[10:11]
	s_waitcnt lgkmcnt(0)
	ds_bpermute_b32 v3, v80, v2
	s_waitcnt lgkmcnt(0)
	v_add_f32_e32 v2, v2, v3
	ds_bpermute_b32 v5, v8, v2
	s_and_saveexec_b64 s[2:3], s[4:5]
	s_cbranch_execz .LBB246_326
; %bb.314:
	s_waitcnt lgkmcnt(0)
	v_add_f32_e32 v2, 0x358637bd, v5
	v_div_scale_f32 v3, s[4:5], v2, v2, 1.0
	v_rcp_f32_e32 v6, v3
	v_div_scale_f32 v7, vcc, 1.0, v2, 1.0
	s_movk_i32 s4, 0x7f
	v_fma_f32 v8, -v3, v6, 1.0
	v_fmac_f32_e32 v6, v8, v6
	v_mul_f32_e32 v8, v7, v6
	v_fma_f32 v9, -v3, v8, v7
	v_fmac_f32_e32 v8, v9, v6
	v_fma_f32 v3, -v3, v8, v7
	v_div_fmas_f32 v3, v3, v6, v8
	v_div_fixup_f32 v2, v3, v2, 1.0
	v_xad_u32 v3, v0, -1, s39
	v_subrev_u32_e32 v6, s50, v3
	v_cmp_lt_u32_e32 vcc, s4, v6
	s_mov_b64 s[10:11], -1
	v_mov_b32_e32 v3, v0
	s_and_saveexec_b64 s[4:5], vcc
	s_cbranch_execz .LBB246_323
; %bb.315:
	v_lshrrev_b32_e32 v6, 7, v6
	v_add_u32_e32 v8, -1, v6
	v_lshrrev_b32_e32 v7, 1, v8
	v_mov_b32_e32 v3, v2
	v_add_u32_e32 v7, 1, v7
	v_cmp_lt_u32_e32 vcc, 13, v8
	v_mov_b32_e32 v10, 0
	s_and_saveexec_b64 s[10:11], vcc
	s_cbranch_execz .LBB246_319
; %bb.316:
	v_mov_b32_e32 v9, 0x190
	v_and_b32_e32 v8, -8, v7
	v_lshl_add_u32 v9, v0, 2, v9
	s_mov_b32 s16, 0
	s_mov_b64 s[14:15], 0
.LBB246_317:                            ; =>This Inner Loop Header: Depth=1
	ds_read2st64_b32 v[10:11], v9 offset1:2
	ds_read2st64_b32 v[12:13], v9 offset0:4 offset1:6
	ds_read2st64_b32 v[14:15], v9 offset0:8 offset1:10
	;; [unrolled: 1-line block ×3, first 2 shown]
	v_add_u32_e32 v8, -8, v8
	s_waitcnt lgkmcnt(3)
	v_pk_mul_f32 v[10:11], v[2:3], v[10:11]
	s_waitcnt lgkmcnt(2)
	v_pk_mul_f32 v[12:13], v[2:3], v[12:13]
	ds_write2st64_b32 v9, v10, v11 offset1:2
	ds_write2st64_b32 v9, v12, v13 offset0:4 offset1:6
	ds_read2st64_b32 v[12:13], v9 offset0:16 offset1:18
	s_waitcnt lgkmcnt(4)
	v_pk_mul_f32 v[10:11], v[2:3], v[14:15]
	ds_write2st64_b32 v9, v10, v11 offset0:8 offset1:10
	s_waitcnt lgkmcnt(4)
	v_pk_mul_f32 v[10:11], v[2:3], v[16:17]
	ds_write2st64_b32 v9, v10, v11 offset0:12 offset1:14
	ds_read2st64_b32 v[10:11], v9 offset0:20 offset1:22
	s_waitcnt lgkmcnt(3)
	v_pk_mul_f32 v[12:13], v[2:3], v[12:13]
	ds_read2st64_b32 v[14:15], v9 offset0:24 offset1:26
	ds_write2st64_b32 v9, v12, v13 offset0:16 offset1:18
	ds_read2st64_b32 v[12:13], v9 offset0:28 offset1:30
	s_waitcnt lgkmcnt(3)
	v_pk_mul_f32 v[10:11], v[2:3], v[10:11]
	ds_write2st64_b32 v9, v10, v11 offset0:20 offset1:22
	s_waitcnt lgkmcnt(3)
	v_pk_mul_f32 v[10:11], v[2:3], v[14:15]
	ds_write2st64_b32 v9, v10, v11 offset0:24 offset1:26
	s_waitcnt lgkmcnt(2)
	v_pk_mul_f32 v[10:11], v[2:3], v[12:13]
	s_add_i32 s16, s16, 16
	v_cmp_eq_u32_e32 vcc, 0, v8
	ds_write2st64_b32 v9, v10, v11 offset0:28 offset1:30
	v_add_u32_e32 v9, 0x2000, v9
	s_or_b64 s[14:15], vcc, s[14:15]
	v_mov_b32_e32 v10, s16
	s_andn2_b64 exec, exec, s[14:15]
	s_cbranch_execnz .LBB246_317
; %bb.318:
	s_or_b64 exec, exec, s[14:15]
.LBB246_319:
	s_or_b64 exec, exec, s[10:11]
	v_and_b32_e32 v7, 7, v7
	v_cmp_ne_u32_e32 vcc, 0, v7
	s_and_saveexec_b64 s[10:11], vcc
	s_cbranch_execz .LBB246_322
; %bb.320:
	v_lshlrev_b32_e32 v8, 9, v10
	s_movk_i32 s14, 0x190
	v_add3_u32 v8, v8, v18, s14
	s_mov_b64 s[14:15], 0
.LBB246_321:                            ; =>This Inner Loop Header: Depth=1
	ds_read2st64_b32 v[10:11], v8 offset1:2
	v_add_u32_e32 v7, -1, v7
	v_cmp_eq_u32_e32 vcc, 0, v7
	s_or_b64 s[14:15], vcc, s[14:15]
	s_waitcnt lgkmcnt(0)
	v_pk_mul_f32 v[10:11], v[2:3], v[10:11]
	ds_write2st64_b32 v8, v10, v11 offset1:2
	v_add_u32_e32 v8, 0x400, v8
	s_andn2_b64 exec, exec, s[14:15]
	s_cbranch_execnz .LBB246_321
.LBB246_322:
	s_or_b64 exec, exec, s[10:11]
	v_add_u32_e32 v6, 1, v6
	v_and_b32_e32 v7, 0x3fffffe, v6
	v_cmp_ne_u32_e32 vcc, v6, v7
	v_lshl_add_u32 v3, v7, 7, v0
	s_orn2_b64 s[10:11], vcc, exec
.LBB246_323:
	s_or_b64 exec, exec, s[4:5]
	s_and_b64 exec, exec, s[10:11]
	s_cbranch_execz .LBB246_326
; %bb.324:
	v_mov_b32_e32 v6, 0x190
	v_lshl_add_u32 v6, v3, 2, v6
	s_mov_b64 s[4:5], 0
.LBB246_325:                            ; =>This Inner Loop Header: Depth=1
	ds_read_b32 v7, v6
	v_add_u32_e32 v3, 0x80, v3
	v_cmp_le_i32_e32 vcc, s38, v3
	s_or_b64 s[4:5], vcc, s[4:5]
	s_waitcnt lgkmcnt(0)
	v_mul_f32_e32 v7, v2, v7
	ds_write_b32 v6, v7
	v_add_u32_e32 v6, 0x200, v6
	s_andn2_b64 exec, exec, s[4:5]
	s_cbranch_execnz .LBB246_325
.LBB246_326:
	s_or_b64 exec, exec, s[2:3]
	s_mul_i32 s2, s25, s28
	v_cmp_eq_u32_e32 vcc, 0, v0
	s_mul_i32 s2, s2, s9
	s_waitcnt lgkmcnt(0)
	s_barrier
	s_and_saveexec_b64 s[4:5], vcc
	s_cbranch_execz .LBB246_328
; %bb.327:
	s_ashr_i32 s3, s2, 31
	s_lshl_b64 s[10:11], s[2:3], 2
	s_add_u32 s3, s22, s10
	s_mul_i32 s14, s25, s6
	s_addc_u32 s9, s23, s11
	s_ashr_i32 s15, s14, 31
	s_lshl_b64 s[14:15], s[14:15], 2
	s_add_u32 s3, s3, s14
	s_addc_u32 s6, s9, s15
	s_ashr_i32 s9, s8, 31
	s_lshl_b64 s[16:17], s[8:9], 2
	s_add_u32 s22, s3, s16
	s_addc_u32 s23, s6, s17
	s_add_u32 s3, s20, s10
	s_addc_u32 s6, s21, s11
	;; [unrolled: 2-line block ×3, first 2 shown]
	s_add_u32 s10, s3, s16
	v_mov_b32_e32 v2, 0
	s_addc_u32 s11, s6, s17
	global_store_dword v2, v4, s[22:23]
	global_store_dword v2, v5, s[10:11]
.LBB246_328:
	s_or_b64 exec, exec, s[4:5]
	s_mov_b32 s6, 0
	v_mov_b32_e32 v7, 0
	v_and_b32_e32 v81, 7, v0
	v_mov_b32_e32 v6, 0
	v_mov_b32_e32 v9, 0
	;; [unrolled: 1-line block ×11, first 2 shown]
	s_and_saveexec_b64 s[4:5], s[0:1]
	s_cbranch_execz .LBB246_644
; %bb.329:
	s_ashr_i32 s0, s12, 31
	s_add_u32 s1, s36, s12
	v_and_b32_e32 v3, 0xfc, v18
	v_and_b32_e32 v2, 28, v18
	v_add_co_u32_e32 v20, vcc, s1, v3
	v_lshl_add_u32 v3, v22, 5, s50
	v_add3_u32 v82, v3, v2, 3
	v_lshlrev_b32_e32 v2, 4, v81
	v_lshl_or_b32 v2, v22, 7, v2
	s_load_dword s10, s[18:19], 0x0
	v_add_u32_e32 v83, 0x190, v2
	buffer_load_dword v2, off, s[56:59], 0  ; 4-byte Folded Reload
	buffer_load_dword v3, off, s[56:59], 0 offset:4 ; 4-byte Folded Reload
	s_addc_u32 s0, s37, s0
	s_add_i32 s9, s7, -1
	v_mov_b32_e32 v4, s0
	s_lshl_b64 s[0:1], s[34:35], 2
	s_add_u32 s0, s30, s0
	v_addc_co_u32_e32 v21, vcc, 0, v4, vcc
	s_addc_u32 s1, s31, s1
	v_mov_b32_e32 v4, s1
	s_mov_b32 s3, s13
	s_waitcnt lgkmcnt(0)
	s_mov_b32 s11, s10
	v_mov_b32_e32 v19, 0
	s_mov_b64 s[12:13], 0
	s_movk_i32 s22, 0x80
	s_movk_i32 s23, 0x7f
	s_brev_b32 s7, 1
	s_mov_b32 s15, 0x7f800001
	s_mov_b32 s28, 0xffffff
	v_bfrev_b32_e32 v84, 60
	v_mov_b32_e32 v85, 7
	v_mov_b32_e32 v86, 24
	;; [unrolled: 1-line block ×14, first 2 shown]
	s_waitcnt vmcnt(0)
	v_lshlrev_b64 v[2:3], 2, v[2:3]
	v_add_co_u32_e32 v22, vcc, s0, v2
	v_addc_co_u32_e32 v23, vcc, v4, v3, vcc
	s_branch .LBB246_331
.LBB246_330:                            ;   in Loop: Header=BB246_331 Depth=1
	s_or_b64 exec, exec, s[0:1]
	s_waitcnt lgkmcnt(0)
	v_mul_f32_e32 v18, v3, v67
	v_fmac_f32_e32 v18, v2, v66
	v_fmac_f32_e32 v18, v4, v68
	v_fmac_f32_e32 v18, v5, v69
	v_add_f32_e32 v6, v6, v18
	v_mul_f32_e32 v18, v3, v51
	v_fmac_f32_e32 v18, v2, v50
	v_fmac_f32_e32 v18, v4, v64
	v_fmac_f32_e32 v18, v5, v65
	v_add_f32_e32 v9, v9, v18
	v_mul_f32_e32 v18, v3, v61
	v_fmac_f32_e32 v18, v2, v60
	v_fmac_f32_e32 v18, v4, v62
	v_fmac_f32_e32 v18, v5, v63
	v_add_f32_e32 v8, v8, v18
	v_mul_f32_e32 v18, v3, v57
	v_fmac_f32_e32 v18, v2, v56
	v_fmac_f32_e32 v18, v4, v58
	v_fmac_f32_e32 v18, v5, v59
	v_add_f32_e32 v11, v11, v18
	v_mul_f32_e32 v18, v3, v53
	v_fmac_f32_e32 v18, v2, v52
	v_fmac_f32_e32 v18, v4, v54
	v_fmac_f32_e32 v18, v5, v55
	v_add_f32_e32 v10, v10, v18
	v_mul_f32_e32 v18, v3, v47
	v_fmac_f32_e32 v18, v2, v46
	v_fmac_f32_e32 v18, v4, v48
	v_fmac_f32_e32 v18, v5, v49
	v_add_f32_e32 v13, v13, v18
	v_mul_f32_e32 v18, v3, v43
	v_fmac_f32_e32 v18, v2, v42
	v_fmac_f32_e32 v18, v4, v44
	v_fmac_f32_e32 v18, v5, v45
	v_add_f32_e32 v12, v12, v18
	v_mul_f32_e32 v18, v3, v39
	v_fmac_f32_e32 v18, v2, v38
	v_fmac_f32_e32 v18, v4, v40
	v_fmac_f32_e32 v18, v5, v41
	v_add_f32_e32 v15, v15, v18
	v_mul_f32_e32 v18, v3, v35
	v_fmac_f32_e32 v18, v2, v34
	v_fmac_f32_e32 v18, v4, v36
	v_fmac_f32_e32 v18, v5, v37
	v_add_f32_e32 v14, v14, v18
	v_mul_f32_e32 v18, v3, v31
	v_fmac_f32_e32 v18, v2, v30
	v_fmac_f32_e32 v18, v4, v32
	v_fmac_f32_e32 v18, v5, v33
	v_add_f32_e32 v17, v17, v18
	v_mul_f32_e32 v18, v3, v25
	v_mul_f32_e32 v3, v3, v29
	v_fmac_f32_e32 v3, v2, v28
	v_fmac_f32_e32 v3, v4, v70
	;; [unrolled: 1-line block ×4, first 2 shown]
	v_add_f32_e32 v7, v7, v3
	buffer_load_dword v2, off, s[56:59], 0  ; 4-byte Folded Reload
	buffer_load_dword v3, off, s[56:59], 0 offset:4 ; 4-byte Folded Reload
	v_fmac_f32_e32 v18, v4, v26
	v_fmac_f32_e32 v18, v5, v27
	v_add_f32_e32 v16, v16, v18
	v_add_u32_e32 v82, 64, v82
	v_add_u32_e32 v83, 0x100, v83
	s_waitcnt vmcnt(1)
	v_mov_b32_e32 v4, v2
	v_add_u32_e32 v4, 2, v4
	v_cmp_le_i32_e32 vcc, s33, v4
	s_or_b64 s[12:13], vcc, s[12:13]
	v_add_co_u32_e32 v22, vcc, 8, v22
	v_mov_b32_e32 v2, v4
	v_addc_co_u32_e32 v23, vcc, 0, v23, vcc
	s_waitcnt vmcnt(0)
	buffer_store_dword v2, off, s[56:59], 0 ; 4-byte Folded Spill
	s_nop 0
	buffer_store_dword v3, off, s[56:59], 0 offset:4 ; 4-byte Folded Spill
	s_andn2_b64 exec, exec, s[12:13]
	s_cbranch_execz .LBB246_643
.LBB246_331:                            ; =>This Inner Loop Header: Depth=1
	global_load_dword v2, v[22:23], off
	v_pk_mov_b32 v[30:31], 0, 0
	v_pk_mov_b32 v[26:27], v[30:31], v[30:31] op_sel:[0,1]
	s_waitcnt vmcnt(0)
	v_mad_i64_i32 v[28:29], s[0:1], v2, s3, v[20:21]
	global_load_dword v24, v[28:29], off
	ds_read_b128 v[2:5], v83
	s_waitcnt vmcnt(0)
	v_cmp_ne_u16_sdwa s[16:17], v24, v19 src0_sel:BYTE_0 src1_sel:DWORD
	s_and_saveexec_b64 s[0:1], s[16:17]
	s_cbranch_execz .LBB246_337
; %bb.332:                              ;   in Loop: Header=BB246_331 Depth=1
	v_bfrev_b32_e32 v26, 1
	v_cmp_ne_u16_sdwa s[18:19], v24, s22 src0_sel:BYTE_0 src1_sel:DWORD
	v_mov_b32_e32 v27, 0
	s_and_saveexec_b64 s[16:17], s[18:19]
	s_cbranch_execz .LBB246_336
; %bb.333:                              ;   in Loop: Header=BB246_331 Depth=1
	v_and_b32_e32 v18, 0x7f, v24
	v_mov_b32_e32 v26, 0x7f800001
	v_cmp_ne_u32_e32 vcc, s23, v18
	v_mov_b32_e32 v27, 0
	s_and_saveexec_b64 s[18:19], vcc
	s_cbranch_execz .LBB246_335
; %bb.334:                              ;   in Loop: Header=BB246_331 Depth=1
	v_and_b32_e32 v25, 7, v24
	v_ffbh_u32_e32 v26, v25
	v_min_u32_e32 v33, 32, v26
	v_subrev_u32_e32 v26, 28, v33
	v_lshlrev_b64 v[26:27], v26, v[24:25]
	v_lshrrev_b32_e32 v32, 3, v18
	v_sub_u32_e32 v27, 29, v33
	v_and_b32_e32 v26, 7, v26
	v_cmp_gt_u32_e32 vcc, 8, v18
	v_cndmask_b32_e32 v18, v32, v27, vcc
	v_cndmask_b32_e32 v25, v25, v26, vcc
	v_lshlrev_b32_e32 v25, 20, v25
	v_and_b32_sdwa v26, sext(v24), s7 dst_sel:DWORD dst_unused:UNUSED_PAD src0_sel:BYTE_0 src1_sel:DWORD
	v_lshl_add_u32 v18, v18, 23, v84
	v_or3_b32 v18, v26, v18, v25
	v_pk_mov_b32 v[26:27], v[18:19], v[18:19] op_sel:[0,1]
.LBB246_335:                            ;   in Loop: Header=BB246_331 Depth=1
	s_or_b64 exec, exec, s[18:19]
.LBB246_336:                            ;   in Loop: Header=BB246_331 Depth=1
	s_or_b64 exec, exec, s[16:17]
.LBB246_337:                            ;   in Loop: Header=BB246_331 Depth=1
	s_or_b64 exec, exec, s[0:1]
	v_cmp_ne_u16_sdwa s[16:17], v24, v19 src0_sel:BYTE_1 src1_sel:DWORD
	s_and_saveexec_b64 s[0:1], s[16:17]
	s_cbranch_execz .LBB246_343
; %bb.338:                              ;   in Loop: Header=BB246_331 Depth=1
	v_cmp_ne_u16_sdwa s[18:19], v24, s22 src0_sel:BYTE_1 src1_sel:DWORD
	v_pk_mov_b32 v[30:31], s[6:7], s[6:7] op_sel:[0,1]
	s_and_saveexec_b64 s[16:17], s[18:19]
	s_cbranch_execz .LBB246_342
; %bb.339:                              ;   in Loop: Header=BB246_331 Depth=1
	v_and_b32_sdwa v25, v24, s23 dst_sel:DWORD dst_unused:UNUSED_PAD src0_sel:BYTE_1 src1_sel:DWORD
	s_mov_b32 s14, s6
	v_cmp_ne_u32_e32 vcc, s23, v25
	v_pk_mov_b32 v[30:31], s[14:15], s[14:15] op_sel:[0,1]
	s_and_saveexec_b64 s[18:19], vcc
	s_cbranch_execz .LBB246_341
; %bb.340:                              ;   in Loop: Header=BB246_331 Depth=1
	v_and_b32_sdwa v18, v24, v85 dst_sel:DWORD dst_unused:UNUSED_PAD src0_sel:BYTE_1 src1_sel:DWORD
	v_ffbh_u32_e32 v30, v18
	v_min_u32_e32 v33, 32, v30
	v_subrev_u32_e32 v30, 28, v33
	v_lshlrev_b64 v[30:31], v30, v[18:19]
	v_lshrrev_b32_e32 v32, 3, v25
	v_sub_u32_e32 v31, 29, v33
	v_cmp_gt_u32_e32 vcc, 8, v25
	v_and_b32_e32 v30, 7, v30
	v_cndmask_b32_e32 v25, v32, v31, vcc
	v_cndmask_b32_e32 v18, v18, v30, vcc
	v_lshlrev_b32_e32 v30, 16, v24
	v_lshl_add_u32 v25, v25, 23, v84
	v_and_or_b32 v25, v30, s7, v25
	v_lshlrev_b32_e32 v18, 20, v18
	v_or_b32_e32 v31, v25, v18
	v_mov_b32_e32 v30, v19
.LBB246_341:                            ;   in Loop: Header=BB246_331 Depth=1
	s_or_b64 exec, exec, s[18:19]
.LBB246_342:                            ;   in Loop: Header=BB246_331 Depth=1
	s_or_b64 exec, exec, s[16:17]
.LBB246_343:                            ;   in Loop: Header=BB246_331 Depth=1
	s_or_b64 exec, exec, s[0:1]
	v_lshrrev_b32_e32 v18, 16, v24
	v_pk_mov_b32 v[34:35], 0, 0
	v_cmp_ne_u16_sdwa s[16:17], v18, v19 src0_sel:BYTE_0 src1_sel:DWORD
	v_pk_mov_b32 v[32:33], v[34:35], v[34:35] op_sel:[0,1]
	s_and_saveexec_b64 s[0:1], s[16:17]
	s_cbranch_execz .LBB246_349
; %bb.344:                              ;   in Loop: Header=BB246_331 Depth=1
	v_bfrev_b32_e32 v32, 1
	v_cmp_ne_u16_sdwa s[18:19], v18, s22 src0_sel:BYTE_0 src1_sel:DWORD
	v_mov_b32_e32 v33, 0
	s_and_saveexec_b64 s[16:17], s[18:19]
	s_cbranch_execz .LBB246_348
; %bb.345:                              ;   in Loop: Header=BB246_331 Depth=1
	v_bfe_u32 v25, v24, 16, 7
	v_mov_b32_e32 v32, 0x7f800001
	v_cmp_ne_u32_e32 vcc, s23, v25
	v_mov_b32_e32 v33, 0
	s_and_saveexec_b64 s[18:19], vcc
	s_cbranch_execz .LBB246_347
; %bb.346:                              ;   in Loop: Header=BB246_331 Depth=1
	v_and_b32_e32 v36, 7, v18
	v_ffbh_u32_e32 v32, v36
	v_min_u32_e32 v38, 32, v32
	v_subrev_u32_e32 v32, 28, v38
	v_lshlrev_b64 v[32:33], v32, v[18:19]
	v_lshrrev_b32_e32 v37, 3, v25
	v_sub_u32_e32 v33, 29, v38
	v_and_b32_e32 v32, 7, v32
	v_cmp_gt_u32_e32 vcc, 8, v25
	v_cndmask_b32_e32 v25, v37, v33, vcc
	v_cndmask_b32_e32 v32, v36, v32, vcc
	v_lshlrev_b32_e32 v32, 20, v32
	v_and_b32_sdwa v18, sext(v18), s7 dst_sel:DWORD dst_unused:UNUSED_PAD src0_sel:BYTE_0 src1_sel:DWORD
	v_lshl_add_u32 v25, v25, 23, v84
	v_or3_b32 v18, v18, v25, v32
	v_pk_mov_b32 v[32:33], v[18:19], v[18:19] op_sel:[0,1]
.LBB246_347:                            ;   in Loop: Header=BB246_331 Depth=1
	s_or_b64 exec, exec, s[18:19]
.LBB246_348:                            ;   in Loop: Header=BB246_331 Depth=1
	s_or_b64 exec, exec, s[16:17]
.LBB246_349:                            ;   in Loop: Header=BB246_331 Depth=1
	s_or_b64 exec, exec, s[0:1]
	v_cmp_lt_u32_e32 vcc, s28, v24
	s_and_saveexec_b64 s[0:1], vcc
	s_cbranch_execz .LBB246_355
; %bb.350:                              ;   in Loop: Header=BB246_331 Depth=1
	v_cmp_ne_u32_sdwa s[18:19], v24, s22 src0_sel:BYTE_3 src1_sel:DWORD
	v_pk_mov_b32 v[34:35], s[6:7], s[6:7] op_sel:[0,1]
	s_and_saveexec_b64 s[16:17], s[18:19]
	s_cbranch_execz .LBB246_354
; %bb.351:                              ;   in Loop: Header=BB246_331 Depth=1
	v_bfe_u32 v25, v24, 24, 7
	s_mov_b32 s14, s6
	v_cmp_ne_u32_e32 vcc, s23, v25
	v_pk_mov_b32 v[34:35], s[14:15], s[14:15] op_sel:[0,1]
	s_and_saveexec_b64 s[18:19], vcc
	s_cbranch_execz .LBB246_353
; %bb.352:                              ;   in Loop: Header=BB246_331 Depth=1
	v_and_b32_sdwa v18, v24, v85 dst_sel:DWORD dst_unused:UNUSED_PAD src0_sel:BYTE_3 src1_sel:DWORD
	v_ffbh_u32_e32 v34, v18
	v_min_u32_e32 v37, 32, v34
	v_subrev_u32_e32 v34, 28, v37
	v_lshlrev_b64 v[34:35], v34, v[18:19]
	v_lshrrev_b32_e32 v36, 3, v25
	v_sub_u32_e32 v35, 29, v37
	v_cmp_gt_u32_e32 vcc, 8, v25
	v_and_b32_e32 v34, 7, v34
	v_cndmask_b32_e32 v25, v36, v35, vcc
	v_cndmask_b32_e32 v18, v18, v34, vcc
	v_lshlrev_b32_sdwa v24, v86, v24 dst_sel:DWORD dst_unused:UNUSED_PAD src0_sel:DWORD src1_sel:BYTE_3
	v_lshl_add_u32 v25, v25, 23, v84
	v_and_or_b32 v24, v24, s7, v25
	v_lshlrev_b32_e32 v18, 20, v18
	v_or_b32_e32 v35, v24, v18
	v_mov_b32_e32 v34, v19
.LBB246_353:                            ;   in Loop: Header=BB246_331 Depth=1
	s_or_b64 exec, exec, s[18:19]
.LBB246_354:                            ;   in Loop: Header=BB246_331 Depth=1
	s_or_b64 exec, exec, s[16:17]
.LBB246_355:                            ;   in Loop: Header=BB246_331 Depth=1
	s_or_b64 exec, exec, s[0:1]
	buffer_load_dword v24, off, s[56:59], 0 ; 4-byte Folded Reload
	buffer_load_dword v25, off, s[56:59], 0 offset:4 ; 4-byte Folded Reload
	s_waitcnt vmcnt(0)
	v_or_b32_e32 v25, v31, v27
	v_or_b32_e32 v27, v35, v33
	v_add_u32_e32 v87, -3, v82
	v_add_u32_e32 v89, -2, v82
	;; [unrolled: 1-line block ×3, first 2 shown]
	v_cmp_eq_u32_e32 vcc, s9, v24
	v_or_b32_e32 v24, v30, v26
	v_or_b32_e32 v26, v34, v32
	v_pk_mul_f32 v[24:25], s[10:11], v[24:25]
	v_pk_mul_f32 v[26:27], s[10:11], v[26:27]
	s_and_saveexec_b64 s[16:17], vcc
; %bb.356:                              ;   in Loop: Header=BB246_331 Depth=1
	v_cmp_gt_i32_e64 s[0:1], s29, v87
	v_cndmask_b32_e64 v24, 0, v24, s[0:1]
	v_cmp_gt_i32_e64 s[0:1], s29, v89
	v_cndmask_b32_e64 v25, 0, v25, s[0:1]
	;; [unrolled: 2-line block ×4, first 2 shown]
; %bb.357:                              ;   in Loop: Header=BB246_331 Depth=1
	s_or_b64 exec, exec, s[16:17]
	global_load_dword v30, v[28:29], off offset:256
	v_pk_mov_b32 v[34:35], 0, 0
	v_pk_mov_b32 v[32:33], v[34:35], v[34:35] op_sel:[0,1]
	s_waitcnt vmcnt(0)
	v_cmp_ne_u16_sdwa s[0:1], v30, v19 src0_sel:BYTE_0 src1_sel:DWORD
	s_and_saveexec_b64 s[16:17], s[0:1]
	s_cbranch_execz .LBB246_363
; %bb.358:                              ;   in Loop: Header=BB246_331 Depth=1
	v_bfrev_b32_e32 v32, 1
	v_cmp_ne_u16_sdwa s[0:1], v30, s22 src0_sel:BYTE_0 src1_sel:DWORD
	v_mov_b32_e32 v33, 0
	s_and_saveexec_b64 s[18:19], s[0:1]
	s_cbranch_execz .LBB246_362
; %bb.359:                              ;   in Loop: Header=BB246_331 Depth=1
	v_and_b32_e32 v18, 0x7f, v30
	v_mov_b32_e32 v32, 0x7f800001
	v_cmp_ne_u32_e64 s[0:1], s23, v18
	v_mov_b32_e32 v33, 0
	s_and_saveexec_b64 s[20:21], s[0:1]
	s_cbranch_execz .LBB246_361
; %bb.360:                              ;   in Loop: Header=BB246_331 Depth=1
	v_and_b32_e32 v31, 7, v30
	v_ffbh_u32_e32 v32, v31
	v_min_u32_e32 v37, 32, v32
	v_subrev_u32_e32 v32, 28, v37
	v_lshlrev_b64 v[32:33], v32, v[30:31]
	v_lshrrev_b32_e32 v36, 3, v18
	v_sub_u32_e32 v33, 29, v37
	v_and_b32_e32 v32, 7, v32
	v_cmp_gt_u32_e64 s[0:1], 8, v18
	v_cndmask_b32_e64 v18, v36, v33, s[0:1]
	v_cndmask_b32_e64 v31, v31, v32, s[0:1]
	v_lshlrev_b32_e32 v31, 20, v31
	v_and_b32_sdwa v32, sext(v30), s7 dst_sel:DWORD dst_unused:UNUSED_PAD src0_sel:BYTE_0 src1_sel:DWORD
	v_lshl_add_u32 v18, v18, 23, v84
	v_or3_b32 v18, v32, v18, v31
	v_pk_mov_b32 v[32:33], v[18:19], v[18:19] op_sel:[0,1]
.LBB246_361:                            ;   in Loop: Header=BB246_331 Depth=1
	s_or_b64 exec, exec, s[20:21]
.LBB246_362:                            ;   in Loop: Header=BB246_331 Depth=1
	s_or_b64 exec, exec, s[18:19]
.LBB246_363:                            ;   in Loop: Header=BB246_331 Depth=1
	s_or_b64 exec, exec, s[16:17]
	v_cmp_ne_u16_sdwa s[0:1], v30, v19 src0_sel:BYTE_1 src1_sel:DWORD
	s_and_saveexec_b64 s[16:17], s[0:1]
	s_cbranch_execz .LBB246_369
; %bb.364:                              ;   in Loop: Header=BB246_331 Depth=1
	v_cmp_ne_u16_sdwa s[0:1], v30, s22 src0_sel:BYTE_1 src1_sel:DWORD
	v_pk_mov_b32 v[34:35], s[6:7], s[6:7] op_sel:[0,1]
	s_and_saveexec_b64 s[18:19], s[0:1]
	s_cbranch_execz .LBB246_368
; %bb.365:                              ;   in Loop: Header=BB246_331 Depth=1
	v_and_b32_sdwa v31, v30, s23 dst_sel:DWORD dst_unused:UNUSED_PAD src0_sel:BYTE_1 src1_sel:DWORD
	s_mov_b32 s14, s6
	v_cmp_ne_u32_e64 s[0:1], s23, v31
	v_pk_mov_b32 v[34:35], s[14:15], s[14:15] op_sel:[0,1]
	s_and_saveexec_b64 s[20:21], s[0:1]
	s_cbranch_execz .LBB246_367
; %bb.366:                              ;   in Loop: Header=BB246_331 Depth=1
	v_and_b32_sdwa v18, v30, v85 dst_sel:DWORD dst_unused:UNUSED_PAD src0_sel:BYTE_1 src1_sel:DWORD
	v_ffbh_u32_e32 v34, v18
	v_min_u32_e32 v37, 32, v34
	v_subrev_u32_e32 v34, 28, v37
	v_lshlrev_b64 v[34:35], v34, v[18:19]
	v_lshrrev_b32_e32 v36, 3, v31
	v_sub_u32_e32 v35, 29, v37
	v_cmp_gt_u32_e64 s[0:1], 8, v31
	v_and_b32_e32 v34, 7, v34
	v_cndmask_b32_e64 v31, v36, v35, s[0:1]
	v_cndmask_b32_e64 v18, v18, v34, s[0:1]
	v_lshlrev_b32_e32 v34, 16, v30
	v_lshl_add_u32 v31, v31, 23, v84
	v_and_or_b32 v31, v34, s7, v31
	v_lshlrev_b32_e32 v18, 20, v18
	v_or_b32_e32 v35, v31, v18
	v_mov_b32_e32 v34, v19
.LBB246_367:                            ;   in Loop: Header=BB246_331 Depth=1
	s_or_b64 exec, exec, s[20:21]
.LBB246_368:                            ;   in Loop: Header=BB246_331 Depth=1
	s_or_b64 exec, exec, s[18:19]
.LBB246_369:                            ;   in Loop: Header=BB246_331 Depth=1
	s_or_b64 exec, exec, s[16:17]
	v_lshrrev_b32_e32 v18, 16, v30
	v_pk_mov_b32 v[38:39], 0, 0
	v_cmp_ne_u16_sdwa s[0:1], v18, v19 src0_sel:BYTE_0 src1_sel:DWORD
	v_pk_mov_b32 v[36:37], v[38:39], v[38:39] op_sel:[0,1]
	s_and_saveexec_b64 s[16:17], s[0:1]
	s_cbranch_execz .LBB246_375
; %bb.370:                              ;   in Loop: Header=BB246_331 Depth=1
	v_bfrev_b32_e32 v36, 1
	v_cmp_ne_u16_sdwa s[0:1], v18, s22 src0_sel:BYTE_0 src1_sel:DWORD
	v_mov_b32_e32 v37, 0
	s_and_saveexec_b64 s[18:19], s[0:1]
	s_cbranch_execz .LBB246_374
; %bb.371:                              ;   in Loop: Header=BB246_331 Depth=1
	v_bfe_u32 v31, v30, 16, 7
	v_mov_b32_e32 v36, 0x7f800001
	v_cmp_ne_u32_e64 s[0:1], s23, v31
	v_mov_b32_e32 v37, 0
	s_and_saveexec_b64 s[20:21], s[0:1]
	s_cbranch_execz .LBB246_373
; %bb.372:                              ;   in Loop: Header=BB246_331 Depth=1
	v_and_b32_e32 v40, 7, v18
	v_ffbh_u32_e32 v36, v40
	v_min_u32_e32 v42, 32, v36
	v_subrev_u32_e32 v36, 28, v42
	v_lshlrev_b64 v[36:37], v36, v[18:19]
	v_lshrrev_b32_e32 v41, 3, v31
	v_sub_u32_e32 v37, 29, v42
	v_and_b32_e32 v36, 7, v36
	v_cmp_gt_u32_e64 s[0:1], 8, v31
	v_cndmask_b32_e64 v31, v41, v37, s[0:1]
	v_cndmask_b32_e64 v36, v40, v36, s[0:1]
	v_lshlrev_b32_e32 v36, 20, v36
	v_and_b32_sdwa v18, sext(v18), s7 dst_sel:DWORD dst_unused:UNUSED_PAD src0_sel:BYTE_0 src1_sel:DWORD
	v_lshl_add_u32 v31, v31, 23, v84
	v_or3_b32 v18, v18, v31, v36
	v_pk_mov_b32 v[36:37], v[18:19], v[18:19] op_sel:[0,1]
.LBB246_373:                            ;   in Loop: Header=BB246_331 Depth=1
	s_or_b64 exec, exec, s[20:21]
.LBB246_374:                            ;   in Loop: Header=BB246_331 Depth=1
	s_or_b64 exec, exec, s[18:19]
.LBB246_375:                            ;   in Loop: Header=BB246_331 Depth=1
	s_or_b64 exec, exec, s[16:17]
	v_cmp_lt_u32_e64 s[0:1], s28, v30
	s_and_saveexec_b64 s[16:17], s[0:1]
	s_cbranch_execz .LBB246_381
; %bb.376:                              ;   in Loop: Header=BB246_331 Depth=1
	v_cmp_ne_u32_sdwa s[0:1], v30, s22 src0_sel:BYTE_3 src1_sel:DWORD
	v_pk_mov_b32 v[38:39], s[6:7], s[6:7] op_sel:[0,1]
	s_and_saveexec_b64 s[18:19], s[0:1]
	s_cbranch_execz .LBB246_380
; %bb.377:                              ;   in Loop: Header=BB246_331 Depth=1
	v_bfe_u32 v31, v30, 24, 7
	s_mov_b32 s14, s6
	v_cmp_ne_u32_e64 s[0:1], s23, v31
	v_pk_mov_b32 v[38:39], s[14:15], s[14:15] op_sel:[0,1]
	s_and_saveexec_b64 s[20:21], s[0:1]
	s_cbranch_execz .LBB246_379
; %bb.378:                              ;   in Loop: Header=BB246_331 Depth=1
	v_and_b32_sdwa v18, v30, v85 dst_sel:DWORD dst_unused:UNUSED_PAD src0_sel:BYTE_3 src1_sel:DWORD
	v_ffbh_u32_e32 v38, v18
	v_min_u32_e32 v41, 32, v38
	v_subrev_u32_e32 v38, 28, v41
	v_lshlrev_b64 v[38:39], v38, v[18:19]
	v_lshrrev_b32_e32 v40, 3, v31
	v_sub_u32_e32 v39, 29, v41
	v_cmp_gt_u32_e64 s[0:1], 8, v31
	v_and_b32_e32 v38, 7, v38
	v_cndmask_b32_e64 v31, v40, v39, s[0:1]
	v_cndmask_b32_e64 v18, v18, v38, s[0:1]
	v_lshlrev_b32_sdwa v30, v86, v30 dst_sel:DWORD dst_unused:UNUSED_PAD src0_sel:DWORD src1_sel:BYTE_3
	v_lshl_add_u32 v31, v31, 23, v84
	v_and_or_b32 v30, v30, s7, v31
	v_lshlrev_b32_e32 v18, 20, v18
	v_or_b32_e32 v39, v30, v18
	v_mov_b32_e32 v38, v19
.LBB246_379:                            ;   in Loop: Header=BB246_331 Depth=1
	s_or_b64 exec, exec, s[20:21]
.LBB246_380:                            ;   in Loop: Header=BB246_331 Depth=1
	s_or_b64 exec, exec, s[18:19]
.LBB246_381:                            ;   in Loop: Header=BB246_331 Depth=1
	s_or_b64 exec, exec, s[16:17]
	v_or_b32_e32 v31, v35, v33
	v_or_b32_e32 v30, v34, v32
	;; [unrolled: 1-line block ×4, first 2 shown]
	v_pk_mul_f32 v[30:31], s[10:11], v[30:31]
	v_pk_mul_f32 v[32:33], s[10:11], v[32:33]
	s_and_saveexec_b64 s[16:17], vcc
; %bb.382:                              ;   in Loop: Header=BB246_331 Depth=1
	v_cmp_gt_i32_e64 s[0:1], s29, v87
	v_cndmask_b32_e64 v30, 0, v30, s[0:1]
	v_cmp_gt_i32_e64 s[0:1], s29, v89
	v_cndmask_b32_e64 v31, 0, v31, s[0:1]
	;; [unrolled: 2-line block ×4, first 2 shown]
; %bb.383:                              ;   in Loop: Header=BB246_331 Depth=1
	s_or_b64 exec, exec, s[16:17]
	global_load_dword v34, v[28:29], off offset:512
	v_pk_mov_b32 v[38:39], 0, 0
	v_pk_mov_b32 v[36:37], v[38:39], v[38:39] op_sel:[0,1]
	s_waitcnt vmcnt(0)
	v_cmp_ne_u16_sdwa s[0:1], v34, v19 src0_sel:BYTE_0 src1_sel:DWORD
	s_and_saveexec_b64 s[16:17], s[0:1]
	s_cbranch_execz .LBB246_389
; %bb.384:                              ;   in Loop: Header=BB246_331 Depth=1
	v_bfrev_b32_e32 v36, 1
	v_cmp_ne_u16_sdwa s[0:1], v34, s22 src0_sel:BYTE_0 src1_sel:DWORD
	v_mov_b32_e32 v37, 0
	s_and_saveexec_b64 s[18:19], s[0:1]
	s_cbranch_execz .LBB246_388
; %bb.385:                              ;   in Loop: Header=BB246_331 Depth=1
	v_and_b32_e32 v18, 0x7f, v34
	v_mov_b32_e32 v36, 0x7f800001
	v_cmp_ne_u32_e64 s[0:1], s23, v18
	v_mov_b32_e32 v37, 0
	s_and_saveexec_b64 s[20:21], s[0:1]
	s_cbranch_execz .LBB246_387
; %bb.386:                              ;   in Loop: Header=BB246_331 Depth=1
	v_and_b32_e32 v35, 7, v34
	v_ffbh_u32_e32 v36, v35
	v_min_u32_e32 v41, 32, v36
	v_subrev_u32_e32 v36, 28, v41
	v_lshlrev_b64 v[36:37], v36, v[34:35]
	v_lshrrev_b32_e32 v40, 3, v18
	v_sub_u32_e32 v37, 29, v41
	v_and_b32_e32 v36, 7, v36
	v_cmp_gt_u32_e64 s[0:1], 8, v18
	v_cndmask_b32_e64 v18, v40, v37, s[0:1]
	v_cndmask_b32_e64 v35, v35, v36, s[0:1]
	v_lshlrev_b32_e32 v35, 20, v35
	v_and_b32_sdwa v36, sext(v34), s7 dst_sel:DWORD dst_unused:UNUSED_PAD src0_sel:BYTE_0 src1_sel:DWORD
	v_lshl_add_u32 v18, v18, 23, v84
	v_or3_b32 v18, v36, v18, v35
	v_pk_mov_b32 v[36:37], v[18:19], v[18:19] op_sel:[0,1]
.LBB246_387:                            ;   in Loop: Header=BB246_331 Depth=1
	s_or_b64 exec, exec, s[20:21]
.LBB246_388:                            ;   in Loop: Header=BB246_331 Depth=1
	s_or_b64 exec, exec, s[18:19]
.LBB246_389:                            ;   in Loop: Header=BB246_331 Depth=1
	s_or_b64 exec, exec, s[16:17]
	v_cmp_ne_u16_sdwa s[0:1], v34, v19 src0_sel:BYTE_1 src1_sel:DWORD
	s_and_saveexec_b64 s[16:17], s[0:1]
	s_cbranch_execz .LBB246_395
; %bb.390:                              ;   in Loop: Header=BB246_331 Depth=1
	v_cmp_ne_u16_sdwa s[0:1], v34, s22 src0_sel:BYTE_1 src1_sel:DWORD
	v_pk_mov_b32 v[38:39], s[6:7], s[6:7] op_sel:[0,1]
	s_and_saveexec_b64 s[18:19], s[0:1]
	s_cbranch_execz .LBB246_394
; %bb.391:                              ;   in Loop: Header=BB246_331 Depth=1
	v_and_b32_sdwa v35, v34, s23 dst_sel:DWORD dst_unused:UNUSED_PAD src0_sel:BYTE_1 src1_sel:DWORD
	s_mov_b32 s14, s6
	v_cmp_ne_u32_e64 s[0:1], s23, v35
	v_pk_mov_b32 v[38:39], s[14:15], s[14:15] op_sel:[0,1]
	s_and_saveexec_b64 s[20:21], s[0:1]
	s_cbranch_execz .LBB246_393
; %bb.392:                              ;   in Loop: Header=BB246_331 Depth=1
	v_and_b32_sdwa v18, v34, v85 dst_sel:DWORD dst_unused:UNUSED_PAD src0_sel:BYTE_1 src1_sel:DWORD
	v_ffbh_u32_e32 v38, v18
	v_min_u32_e32 v41, 32, v38
	v_subrev_u32_e32 v38, 28, v41
	v_lshlrev_b64 v[38:39], v38, v[18:19]
	v_lshrrev_b32_e32 v40, 3, v35
	v_sub_u32_e32 v39, 29, v41
	v_cmp_gt_u32_e64 s[0:1], 8, v35
	v_and_b32_e32 v38, 7, v38
	v_cndmask_b32_e64 v35, v40, v39, s[0:1]
	v_cndmask_b32_e64 v18, v18, v38, s[0:1]
	v_lshlrev_b32_e32 v38, 16, v34
	v_lshl_add_u32 v35, v35, 23, v84
	v_and_or_b32 v35, v38, s7, v35
	v_lshlrev_b32_e32 v18, 20, v18
	v_or_b32_e32 v39, v35, v18
	v_mov_b32_e32 v38, v19
.LBB246_393:                            ;   in Loop: Header=BB246_331 Depth=1
	s_or_b64 exec, exec, s[20:21]
.LBB246_394:                            ;   in Loop: Header=BB246_331 Depth=1
	s_or_b64 exec, exec, s[18:19]
.LBB246_395:                            ;   in Loop: Header=BB246_331 Depth=1
	s_or_b64 exec, exec, s[16:17]
	v_lshrrev_b32_e32 v18, 16, v34
	v_pk_mov_b32 v[42:43], 0, 0
	v_cmp_ne_u16_sdwa s[0:1], v18, v19 src0_sel:BYTE_0 src1_sel:DWORD
	v_pk_mov_b32 v[40:41], v[42:43], v[42:43] op_sel:[0,1]
	s_and_saveexec_b64 s[16:17], s[0:1]
	s_cbranch_execz .LBB246_401
; %bb.396:                              ;   in Loop: Header=BB246_331 Depth=1
	v_bfrev_b32_e32 v40, 1
	v_cmp_ne_u16_sdwa s[0:1], v18, s22 src0_sel:BYTE_0 src1_sel:DWORD
	v_mov_b32_e32 v41, 0
	s_and_saveexec_b64 s[18:19], s[0:1]
	s_cbranch_execz .LBB246_400
; %bb.397:                              ;   in Loop: Header=BB246_331 Depth=1
	v_bfe_u32 v35, v34, 16, 7
	v_mov_b32_e32 v40, 0x7f800001
	v_cmp_ne_u32_e64 s[0:1], s23, v35
	v_mov_b32_e32 v41, 0
	s_and_saveexec_b64 s[20:21], s[0:1]
	s_cbranch_execz .LBB246_399
; %bb.398:                              ;   in Loop: Header=BB246_331 Depth=1
	v_and_b32_e32 v44, 7, v18
	v_ffbh_u32_e32 v40, v44
	v_min_u32_e32 v46, 32, v40
	v_subrev_u32_e32 v40, 28, v46
	v_lshlrev_b64 v[40:41], v40, v[18:19]
	v_lshrrev_b32_e32 v45, 3, v35
	v_sub_u32_e32 v41, 29, v46
	v_and_b32_e32 v40, 7, v40
	v_cmp_gt_u32_e64 s[0:1], 8, v35
	v_cndmask_b32_e64 v35, v45, v41, s[0:1]
	v_cndmask_b32_e64 v40, v44, v40, s[0:1]
	v_lshlrev_b32_e32 v40, 20, v40
	v_and_b32_sdwa v18, sext(v18), s7 dst_sel:DWORD dst_unused:UNUSED_PAD src0_sel:BYTE_0 src1_sel:DWORD
	v_lshl_add_u32 v35, v35, 23, v84
	v_or3_b32 v18, v18, v35, v40
	v_pk_mov_b32 v[40:41], v[18:19], v[18:19] op_sel:[0,1]
.LBB246_399:                            ;   in Loop: Header=BB246_331 Depth=1
	s_or_b64 exec, exec, s[20:21]
.LBB246_400:                            ;   in Loop: Header=BB246_331 Depth=1
	s_or_b64 exec, exec, s[18:19]
.LBB246_401:                            ;   in Loop: Header=BB246_331 Depth=1
	s_or_b64 exec, exec, s[16:17]
	v_cmp_lt_u32_e64 s[0:1], s28, v34
	s_and_saveexec_b64 s[16:17], s[0:1]
	s_cbranch_execz .LBB246_407
; %bb.402:                              ;   in Loop: Header=BB246_331 Depth=1
	v_cmp_ne_u32_sdwa s[0:1], v34, s22 src0_sel:BYTE_3 src1_sel:DWORD
	v_pk_mov_b32 v[42:43], s[6:7], s[6:7] op_sel:[0,1]
	s_and_saveexec_b64 s[18:19], s[0:1]
	s_cbranch_execz .LBB246_406
; %bb.403:                              ;   in Loop: Header=BB246_331 Depth=1
	v_bfe_u32 v35, v34, 24, 7
	s_mov_b32 s14, s6
	v_cmp_ne_u32_e64 s[0:1], s23, v35
	v_pk_mov_b32 v[42:43], s[14:15], s[14:15] op_sel:[0,1]
	s_and_saveexec_b64 s[20:21], s[0:1]
	s_cbranch_execz .LBB246_405
; %bb.404:                              ;   in Loop: Header=BB246_331 Depth=1
	v_and_b32_sdwa v18, v34, v85 dst_sel:DWORD dst_unused:UNUSED_PAD src0_sel:BYTE_3 src1_sel:DWORD
	v_ffbh_u32_e32 v42, v18
	v_min_u32_e32 v45, 32, v42
	v_subrev_u32_e32 v42, 28, v45
	v_lshlrev_b64 v[42:43], v42, v[18:19]
	v_lshrrev_b32_e32 v44, 3, v35
	v_sub_u32_e32 v43, 29, v45
	v_cmp_gt_u32_e64 s[0:1], 8, v35
	v_and_b32_e32 v42, 7, v42
	v_cndmask_b32_e64 v35, v44, v43, s[0:1]
	v_cndmask_b32_e64 v18, v18, v42, s[0:1]
	v_lshlrev_b32_sdwa v34, v86, v34 dst_sel:DWORD dst_unused:UNUSED_PAD src0_sel:DWORD src1_sel:BYTE_3
	v_lshl_add_u32 v35, v35, 23, v84
	v_and_or_b32 v34, v34, s7, v35
	v_lshlrev_b32_e32 v18, 20, v18
	v_or_b32_e32 v43, v34, v18
	v_mov_b32_e32 v42, v19
.LBB246_405:                            ;   in Loop: Header=BB246_331 Depth=1
	s_or_b64 exec, exec, s[20:21]
.LBB246_406:                            ;   in Loop: Header=BB246_331 Depth=1
	s_or_b64 exec, exec, s[18:19]
.LBB246_407:                            ;   in Loop: Header=BB246_331 Depth=1
	s_or_b64 exec, exec, s[16:17]
	v_or_b32_e32 v35, v39, v37
	v_or_b32_e32 v34, v38, v36
	;; [unrolled: 1-line block ×4, first 2 shown]
	v_pk_mul_f32 v[34:35], s[10:11], v[34:35]
	v_pk_mul_f32 v[36:37], s[10:11], v[36:37]
	s_and_saveexec_b64 s[16:17], vcc
; %bb.408:                              ;   in Loop: Header=BB246_331 Depth=1
	v_cmp_gt_i32_e64 s[0:1], s29, v87
	v_cndmask_b32_e64 v34, 0, v34, s[0:1]
	v_cmp_gt_i32_e64 s[0:1], s29, v89
	v_cndmask_b32_e64 v35, 0, v35, s[0:1]
	;; [unrolled: 2-line block ×4, first 2 shown]
; %bb.409:                              ;   in Loop: Header=BB246_331 Depth=1
	s_or_b64 exec, exec, s[16:17]
	global_load_dword v38, v[28:29], off offset:768
	v_pk_mov_b32 v[42:43], 0, 0
	v_pk_mov_b32 v[40:41], v[42:43], v[42:43] op_sel:[0,1]
	s_waitcnt vmcnt(0)
	v_cmp_ne_u16_sdwa s[0:1], v38, v19 src0_sel:BYTE_0 src1_sel:DWORD
	s_and_saveexec_b64 s[16:17], s[0:1]
	s_cbranch_execz .LBB246_415
; %bb.410:                              ;   in Loop: Header=BB246_331 Depth=1
	v_bfrev_b32_e32 v40, 1
	v_cmp_ne_u16_sdwa s[0:1], v38, s22 src0_sel:BYTE_0 src1_sel:DWORD
	v_mov_b32_e32 v41, 0
	s_and_saveexec_b64 s[18:19], s[0:1]
	s_cbranch_execz .LBB246_414
; %bb.411:                              ;   in Loop: Header=BB246_331 Depth=1
	v_and_b32_e32 v18, 0x7f, v38
	v_mov_b32_e32 v40, 0x7f800001
	v_cmp_ne_u32_e64 s[0:1], s23, v18
	v_mov_b32_e32 v41, 0
	s_and_saveexec_b64 s[20:21], s[0:1]
	s_cbranch_execz .LBB246_413
; %bb.412:                              ;   in Loop: Header=BB246_331 Depth=1
	v_and_b32_e32 v39, 7, v38
	v_ffbh_u32_e32 v40, v39
	v_min_u32_e32 v45, 32, v40
	v_subrev_u32_e32 v40, 28, v45
	v_lshlrev_b64 v[40:41], v40, v[38:39]
	v_lshrrev_b32_e32 v44, 3, v18
	v_sub_u32_e32 v41, 29, v45
	v_and_b32_e32 v40, 7, v40
	v_cmp_gt_u32_e64 s[0:1], 8, v18
	v_cndmask_b32_e64 v18, v44, v41, s[0:1]
	v_cndmask_b32_e64 v39, v39, v40, s[0:1]
	v_lshlrev_b32_e32 v39, 20, v39
	v_and_b32_sdwa v40, sext(v38), s7 dst_sel:DWORD dst_unused:UNUSED_PAD src0_sel:BYTE_0 src1_sel:DWORD
	v_lshl_add_u32 v18, v18, 23, v84
	v_or3_b32 v18, v40, v18, v39
	v_pk_mov_b32 v[40:41], v[18:19], v[18:19] op_sel:[0,1]
.LBB246_413:                            ;   in Loop: Header=BB246_331 Depth=1
	s_or_b64 exec, exec, s[20:21]
.LBB246_414:                            ;   in Loop: Header=BB246_331 Depth=1
	s_or_b64 exec, exec, s[18:19]
.LBB246_415:                            ;   in Loop: Header=BB246_331 Depth=1
	s_or_b64 exec, exec, s[16:17]
	v_cmp_ne_u16_sdwa s[0:1], v38, v19 src0_sel:BYTE_1 src1_sel:DWORD
	s_and_saveexec_b64 s[16:17], s[0:1]
	s_cbranch_execz .LBB246_421
; %bb.416:                              ;   in Loop: Header=BB246_331 Depth=1
	v_cmp_ne_u16_sdwa s[0:1], v38, s22 src0_sel:BYTE_1 src1_sel:DWORD
	v_pk_mov_b32 v[42:43], s[6:7], s[6:7] op_sel:[0,1]
	s_and_saveexec_b64 s[18:19], s[0:1]
	s_cbranch_execz .LBB246_420
; %bb.417:                              ;   in Loop: Header=BB246_331 Depth=1
	v_and_b32_sdwa v39, v38, s23 dst_sel:DWORD dst_unused:UNUSED_PAD src0_sel:BYTE_1 src1_sel:DWORD
	s_mov_b32 s14, s6
	v_cmp_ne_u32_e64 s[0:1], s23, v39
	v_pk_mov_b32 v[42:43], s[14:15], s[14:15] op_sel:[0,1]
	s_and_saveexec_b64 s[20:21], s[0:1]
	s_cbranch_execz .LBB246_419
; %bb.418:                              ;   in Loop: Header=BB246_331 Depth=1
	v_and_b32_sdwa v18, v38, v85 dst_sel:DWORD dst_unused:UNUSED_PAD src0_sel:BYTE_1 src1_sel:DWORD
	v_ffbh_u32_e32 v42, v18
	v_min_u32_e32 v45, 32, v42
	v_subrev_u32_e32 v42, 28, v45
	v_lshlrev_b64 v[42:43], v42, v[18:19]
	v_lshrrev_b32_e32 v44, 3, v39
	v_sub_u32_e32 v43, 29, v45
	v_cmp_gt_u32_e64 s[0:1], 8, v39
	v_and_b32_e32 v42, 7, v42
	v_cndmask_b32_e64 v39, v44, v43, s[0:1]
	v_cndmask_b32_e64 v18, v18, v42, s[0:1]
	v_lshlrev_b32_e32 v42, 16, v38
	v_lshl_add_u32 v39, v39, 23, v84
	v_and_or_b32 v39, v42, s7, v39
	v_lshlrev_b32_e32 v18, 20, v18
	v_or_b32_e32 v43, v39, v18
	v_mov_b32_e32 v42, v19
.LBB246_419:                            ;   in Loop: Header=BB246_331 Depth=1
	s_or_b64 exec, exec, s[20:21]
.LBB246_420:                            ;   in Loop: Header=BB246_331 Depth=1
	s_or_b64 exec, exec, s[18:19]
.LBB246_421:                            ;   in Loop: Header=BB246_331 Depth=1
	s_or_b64 exec, exec, s[16:17]
	v_lshrrev_b32_e32 v18, 16, v38
	v_pk_mov_b32 v[46:47], 0, 0
	v_cmp_ne_u16_sdwa s[0:1], v18, v19 src0_sel:BYTE_0 src1_sel:DWORD
	v_pk_mov_b32 v[44:45], v[46:47], v[46:47] op_sel:[0,1]
	s_and_saveexec_b64 s[16:17], s[0:1]
	s_cbranch_execz .LBB246_427
; %bb.422:                              ;   in Loop: Header=BB246_331 Depth=1
	v_bfrev_b32_e32 v44, 1
	v_cmp_ne_u16_sdwa s[0:1], v18, s22 src0_sel:BYTE_0 src1_sel:DWORD
	v_mov_b32_e32 v45, 0
	s_and_saveexec_b64 s[18:19], s[0:1]
	s_cbranch_execz .LBB246_426
; %bb.423:                              ;   in Loop: Header=BB246_331 Depth=1
	v_bfe_u32 v39, v38, 16, 7
	v_mov_b32_e32 v44, 0x7f800001
	v_cmp_ne_u32_e64 s[0:1], s23, v39
	v_mov_b32_e32 v45, 0
	s_and_saveexec_b64 s[20:21], s[0:1]
	s_cbranch_execz .LBB246_425
; %bb.424:                              ;   in Loop: Header=BB246_331 Depth=1
	v_and_b32_e32 v48, 7, v18
	v_ffbh_u32_e32 v44, v48
	v_min_u32_e32 v50, 32, v44
	v_subrev_u32_e32 v44, 28, v50
	v_lshlrev_b64 v[44:45], v44, v[18:19]
	v_lshrrev_b32_e32 v49, 3, v39
	v_sub_u32_e32 v45, 29, v50
	v_and_b32_e32 v44, 7, v44
	v_cmp_gt_u32_e64 s[0:1], 8, v39
	v_cndmask_b32_e64 v39, v49, v45, s[0:1]
	v_cndmask_b32_e64 v44, v48, v44, s[0:1]
	v_lshlrev_b32_e32 v44, 20, v44
	v_and_b32_sdwa v18, sext(v18), s7 dst_sel:DWORD dst_unused:UNUSED_PAD src0_sel:BYTE_0 src1_sel:DWORD
	v_lshl_add_u32 v39, v39, 23, v84
	v_or3_b32 v18, v18, v39, v44
	v_pk_mov_b32 v[44:45], v[18:19], v[18:19] op_sel:[0,1]
.LBB246_425:                            ;   in Loop: Header=BB246_331 Depth=1
	s_or_b64 exec, exec, s[20:21]
.LBB246_426:                            ;   in Loop: Header=BB246_331 Depth=1
	s_or_b64 exec, exec, s[18:19]
.LBB246_427:                            ;   in Loop: Header=BB246_331 Depth=1
	s_or_b64 exec, exec, s[16:17]
	v_cmp_lt_u32_e64 s[0:1], s28, v38
	s_and_saveexec_b64 s[16:17], s[0:1]
	s_cbranch_execz .LBB246_433
; %bb.428:                              ;   in Loop: Header=BB246_331 Depth=1
	v_cmp_ne_u32_sdwa s[0:1], v38, s22 src0_sel:BYTE_3 src1_sel:DWORD
	v_pk_mov_b32 v[46:47], s[6:7], s[6:7] op_sel:[0,1]
	s_and_saveexec_b64 s[18:19], s[0:1]
	s_cbranch_execz .LBB246_432
; %bb.429:                              ;   in Loop: Header=BB246_331 Depth=1
	v_bfe_u32 v39, v38, 24, 7
	s_mov_b32 s14, s6
	v_cmp_ne_u32_e64 s[0:1], s23, v39
	v_pk_mov_b32 v[46:47], s[14:15], s[14:15] op_sel:[0,1]
	s_and_saveexec_b64 s[20:21], s[0:1]
	s_cbranch_execz .LBB246_431
; %bb.430:                              ;   in Loop: Header=BB246_331 Depth=1
	v_and_b32_sdwa v18, v38, v85 dst_sel:DWORD dst_unused:UNUSED_PAD src0_sel:BYTE_3 src1_sel:DWORD
	v_ffbh_u32_e32 v46, v18
	v_min_u32_e32 v49, 32, v46
	v_subrev_u32_e32 v46, 28, v49
	v_lshlrev_b64 v[46:47], v46, v[18:19]
	v_lshrrev_b32_e32 v48, 3, v39
	v_sub_u32_e32 v47, 29, v49
	v_cmp_gt_u32_e64 s[0:1], 8, v39
	v_and_b32_e32 v46, 7, v46
	v_cndmask_b32_e64 v39, v48, v47, s[0:1]
	v_cndmask_b32_e64 v18, v18, v46, s[0:1]
	v_lshlrev_b32_sdwa v38, v86, v38 dst_sel:DWORD dst_unused:UNUSED_PAD src0_sel:DWORD src1_sel:BYTE_3
	v_lshl_add_u32 v39, v39, 23, v84
	v_and_or_b32 v38, v38, s7, v39
	v_lshlrev_b32_e32 v18, 20, v18
	v_or_b32_e32 v47, v38, v18
	v_mov_b32_e32 v46, v19
.LBB246_431:                            ;   in Loop: Header=BB246_331 Depth=1
	s_or_b64 exec, exec, s[20:21]
.LBB246_432:                            ;   in Loop: Header=BB246_331 Depth=1
	s_or_b64 exec, exec, s[18:19]
.LBB246_433:                            ;   in Loop: Header=BB246_331 Depth=1
	s_or_b64 exec, exec, s[16:17]
	v_or_b32_e32 v39, v43, v41
	v_or_b32_e32 v38, v42, v40
	;; [unrolled: 1-line block ×4, first 2 shown]
	v_pk_mul_f32 v[38:39], s[10:11], v[38:39]
	v_pk_mul_f32 v[40:41], s[10:11], v[40:41]
	s_and_saveexec_b64 s[16:17], vcc
; %bb.434:                              ;   in Loop: Header=BB246_331 Depth=1
	v_cmp_gt_i32_e64 s[0:1], s29, v87
	v_cndmask_b32_e64 v38, 0, v38, s[0:1]
	v_cmp_gt_i32_e64 s[0:1], s29, v89
	v_cndmask_b32_e64 v39, 0, v39, s[0:1]
	;; [unrolled: 2-line block ×4, first 2 shown]
; %bb.435:                              ;   in Loop: Header=BB246_331 Depth=1
	s_or_b64 exec, exec, s[16:17]
	global_load_dword v42, v[28:29], off offset:1024
	v_pk_mov_b32 v[46:47], 0, 0
	v_pk_mov_b32 v[44:45], v[46:47], v[46:47] op_sel:[0,1]
	s_waitcnt vmcnt(0)
	v_cmp_ne_u16_sdwa s[0:1], v42, v19 src0_sel:BYTE_0 src1_sel:DWORD
	s_and_saveexec_b64 s[16:17], s[0:1]
	s_cbranch_execz .LBB246_441
; %bb.436:                              ;   in Loop: Header=BB246_331 Depth=1
	v_bfrev_b32_e32 v44, 1
	v_cmp_ne_u16_sdwa s[0:1], v42, s22 src0_sel:BYTE_0 src1_sel:DWORD
	v_mov_b32_e32 v45, 0
	s_and_saveexec_b64 s[18:19], s[0:1]
	s_cbranch_execz .LBB246_440
; %bb.437:                              ;   in Loop: Header=BB246_331 Depth=1
	v_and_b32_e32 v18, 0x7f, v42
	v_mov_b32_e32 v44, 0x7f800001
	v_cmp_ne_u32_e64 s[0:1], s23, v18
	v_mov_b32_e32 v45, 0
	s_and_saveexec_b64 s[20:21], s[0:1]
	s_cbranch_execz .LBB246_439
; %bb.438:                              ;   in Loop: Header=BB246_331 Depth=1
	v_and_b32_e32 v43, 7, v42
	v_ffbh_u32_e32 v44, v43
	v_min_u32_e32 v49, 32, v44
	v_subrev_u32_e32 v44, 28, v49
	v_lshlrev_b64 v[44:45], v44, v[42:43]
	v_lshrrev_b32_e32 v48, 3, v18
	v_sub_u32_e32 v45, 29, v49
	v_and_b32_e32 v44, 7, v44
	v_cmp_gt_u32_e64 s[0:1], 8, v18
	v_cndmask_b32_e64 v18, v48, v45, s[0:1]
	v_cndmask_b32_e64 v43, v43, v44, s[0:1]
	v_lshlrev_b32_e32 v43, 20, v43
	v_and_b32_sdwa v44, sext(v42), s7 dst_sel:DWORD dst_unused:UNUSED_PAD src0_sel:BYTE_0 src1_sel:DWORD
	v_lshl_add_u32 v18, v18, 23, v84
	v_or3_b32 v18, v44, v18, v43
	v_pk_mov_b32 v[44:45], v[18:19], v[18:19] op_sel:[0,1]
.LBB246_439:                            ;   in Loop: Header=BB246_331 Depth=1
	s_or_b64 exec, exec, s[20:21]
.LBB246_440:                            ;   in Loop: Header=BB246_331 Depth=1
	s_or_b64 exec, exec, s[18:19]
.LBB246_441:                            ;   in Loop: Header=BB246_331 Depth=1
	s_or_b64 exec, exec, s[16:17]
	v_cmp_ne_u16_sdwa s[0:1], v42, v19 src0_sel:BYTE_1 src1_sel:DWORD
	s_and_saveexec_b64 s[16:17], s[0:1]
	s_cbranch_execz .LBB246_447
; %bb.442:                              ;   in Loop: Header=BB246_331 Depth=1
	v_cmp_ne_u16_sdwa s[0:1], v42, s22 src0_sel:BYTE_1 src1_sel:DWORD
	v_pk_mov_b32 v[46:47], s[6:7], s[6:7] op_sel:[0,1]
	s_and_saveexec_b64 s[18:19], s[0:1]
	s_cbranch_execz .LBB246_446
; %bb.443:                              ;   in Loop: Header=BB246_331 Depth=1
	v_and_b32_sdwa v43, v42, s23 dst_sel:DWORD dst_unused:UNUSED_PAD src0_sel:BYTE_1 src1_sel:DWORD
	s_mov_b32 s14, s6
	v_cmp_ne_u32_e64 s[0:1], s23, v43
	v_pk_mov_b32 v[46:47], s[14:15], s[14:15] op_sel:[0,1]
	s_and_saveexec_b64 s[20:21], s[0:1]
	s_cbranch_execz .LBB246_445
; %bb.444:                              ;   in Loop: Header=BB246_331 Depth=1
	v_and_b32_sdwa v18, v42, v85 dst_sel:DWORD dst_unused:UNUSED_PAD src0_sel:BYTE_1 src1_sel:DWORD
	v_ffbh_u32_e32 v46, v18
	v_min_u32_e32 v49, 32, v46
	v_subrev_u32_e32 v46, 28, v49
	v_lshlrev_b64 v[46:47], v46, v[18:19]
	v_lshrrev_b32_e32 v48, 3, v43
	v_sub_u32_e32 v47, 29, v49
	v_cmp_gt_u32_e64 s[0:1], 8, v43
	v_and_b32_e32 v46, 7, v46
	v_cndmask_b32_e64 v43, v48, v47, s[0:1]
	v_cndmask_b32_e64 v18, v18, v46, s[0:1]
	v_lshlrev_b32_e32 v46, 16, v42
	v_lshl_add_u32 v43, v43, 23, v84
	v_and_or_b32 v43, v46, s7, v43
	v_lshlrev_b32_e32 v18, 20, v18
	v_or_b32_e32 v47, v43, v18
	v_mov_b32_e32 v46, v19
.LBB246_445:                            ;   in Loop: Header=BB246_331 Depth=1
	s_or_b64 exec, exec, s[20:21]
.LBB246_446:                            ;   in Loop: Header=BB246_331 Depth=1
	s_or_b64 exec, exec, s[18:19]
.LBB246_447:                            ;   in Loop: Header=BB246_331 Depth=1
	s_or_b64 exec, exec, s[16:17]
	v_lshrrev_b32_e32 v18, 16, v42
	v_pk_mov_b32 v[50:51], 0, 0
	v_cmp_ne_u16_sdwa s[0:1], v18, v19 src0_sel:BYTE_0 src1_sel:DWORD
	v_pk_mov_b32 v[48:49], v[50:51], v[50:51] op_sel:[0,1]
	s_and_saveexec_b64 s[16:17], s[0:1]
	s_cbranch_execz .LBB246_453
; %bb.448:                              ;   in Loop: Header=BB246_331 Depth=1
	v_bfrev_b32_e32 v48, 1
	v_cmp_ne_u16_sdwa s[0:1], v18, s22 src0_sel:BYTE_0 src1_sel:DWORD
	v_mov_b32_e32 v49, 0
	s_and_saveexec_b64 s[18:19], s[0:1]
	s_cbranch_execz .LBB246_452
; %bb.449:                              ;   in Loop: Header=BB246_331 Depth=1
	v_bfe_u32 v43, v42, 16, 7
	v_mov_b32_e32 v48, 0x7f800001
	v_cmp_ne_u32_e64 s[0:1], s23, v43
	v_mov_b32_e32 v49, 0
	s_and_saveexec_b64 s[20:21], s[0:1]
	s_cbranch_execz .LBB246_451
; %bb.450:                              ;   in Loop: Header=BB246_331 Depth=1
	v_and_b32_e32 v52, 7, v18
	v_ffbh_u32_e32 v48, v52
	v_min_u32_e32 v54, 32, v48
	v_subrev_u32_e32 v48, 28, v54
	v_lshlrev_b64 v[48:49], v48, v[18:19]
	v_lshrrev_b32_e32 v53, 3, v43
	v_sub_u32_e32 v49, 29, v54
	v_and_b32_e32 v48, 7, v48
	v_cmp_gt_u32_e64 s[0:1], 8, v43
	v_cndmask_b32_e64 v43, v53, v49, s[0:1]
	v_cndmask_b32_e64 v48, v52, v48, s[0:1]
	v_lshlrev_b32_e32 v48, 20, v48
	v_and_b32_sdwa v18, sext(v18), s7 dst_sel:DWORD dst_unused:UNUSED_PAD src0_sel:BYTE_0 src1_sel:DWORD
	v_lshl_add_u32 v43, v43, 23, v84
	v_or3_b32 v18, v18, v43, v48
	v_pk_mov_b32 v[48:49], v[18:19], v[18:19] op_sel:[0,1]
.LBB246_451:                            ;   in Loop: Header=BB246_331 Depth=1
	s_or_b64 exec, exec, s[20:21]
.LBB246_452:                            ;   in Loop: Header=BB246_331 Depth=1
	s_or_b64 exec, exec, s[18:19]
.LBB246_453:                            ;   in Loop: Header=BB246_331 Depth=1
	s_or_b64 exec, exec, s[16:17]
	v_cmp_lt_u32_e64 s[0:1], s28, v42
	s_and_saveexec_b64 s[16:17], s[0:1]
	s_cbranch_execz .LBB246_459
; %bb.454:                              ;   in Loop: Header=BB246_331 Depth=1
	v_cmp_ne_u32_sdwa s[0:1], v42, s22 src0_sel:BYTE_3 src1_sel:DWORD
	v_pk_mov_b32 v[50:51], s[6:7], s[6:7] op_sel:[0,1]
	s_and_saveexec_b64 s[18:19], s[0:1]
	s_cbranch_execz .LBB246_458
; %bb.455:                              ;   in Loop: Header=BB246_331 Depth=1
	v_bfe_u32 v43, v42, 24, 7
	s_mov_b32 s14, s6
	v_cmp_ne_u32_e64 s[0:1], s23, v43
	v_pk_mov_b32 v[50:51], s[14:15], s[14:15] op_sel:[0,1]
	s_and_saveexec_b64 s[20:21], s[0:1]
	s_cbranch_execz .LBB246_457
; %bb.456:                              ;   in Loop: Header=BB246_331 Depth=1
	v_and_b32_sdwa v18, v42, v85 dst_sel:DWORD dst_unused:UNUSED_PAD src0_sel:BYTE_3 src1_sel:DWORD
	v_ffbh_u32_e32 v50, v18
	v_min_u32_e32 v53, 32, v50
	v_subrev_u32_e32 v50, 28, v53
	v_lshlrev_b64 v[50:51], v50, v[18:19]
	v_lshrrev_b32_e32 v52, 3, v43
	v_sub_u32_e32 v51, 29, v53
	v_cmp_gt_u32_e64 s[0:1], 8, v43
	v_and_b32_e32 v50, 7, v50
	v_cndmask_b32_e64 v43, v52, v51, s[0:1]
	v_cndmask_b32_e64 v18, v18, v50, s[0:1]
	v_lshlrev_b32_sdwa v42, v86, v42 dst_sel:DWORD dst_unused:UNUSED_PAD src0_sel:DWORD src1_sel:BYTE_3
	v_lshl_add_u32 v43, v43, 23, v84
	v_and_or_b32 v42, v42, s7, v43
	v_lshlrev_b32_e32 v18, 20, v18
	v_or_b32_e32 v51, v42, v18
	v_mov_b32_e32 v50, v19
.LBB246_457:                            ;   in Loop: Header=BB246_331 Depth=1
	s_or_b64 exec, exec, s[20:21]
.LBB246_458:                            ;   in Loop: Header=BB246_331 Depth=1
	s_or_b64 exec, exec, s[18:19]
.LBB246_459:                            ;   in Loop: Header=BB246_331 Depth=1
	s_or_b64 exec, exec, s[16:17]
	v_or_b32_e32 v43, v47, v45
	v_or_b32_e32 v42, v46, v44
	v_or_b32_e32 v45, v51, v49
	v_or_b32_e32 v44, v50, v48
	v_pk_mul_f32 v[42:43], s[10:11], v[42:43]
	v_pk_mul_f32 v[44:45], s[10:11], v[44:45]
	s_and_saveexec_b64 s[16:17], vcc
; %bb.460:                              ;   in Loop: Header=BB246_331 Depth=1
	v_cmp_gt_i32_e64 s[0:1], s29, v87
	v_cndmask_b32_e64 v42, 0, v42, s[0:1]
	v_cmp_gt_i32_e64 s[0:1], s29, v89
	v_cndmask_b32_e64 v43, 0, v43, s[0:1]
	v_cmp_gt_i32_e64 s[0:1], s29, v88
	v_cndmask_b32_e64 v44, 0, v44, s[0:1]
	v_cmp_gt_i32_e64 s[0:1], s29, v82
	v_cndmask_b32_e64 v45, 0, v45, s[0:1]
; %bb.461:                              ;   in Loop: Header=BB246_331 Depth=1
	s_or_b64 exec, exec, s[16:17]
	global_load_dword v46, v[28:29], off offset:1280
	v_pk_mov_b32 v[50:51], 0, 0
	v_pk_mov_b32 v[48:49], v[50:51], v[50:51] op_sel:[0,1]
	s_waitcnt vmcnt(0)
	v_cmp_ne_u16_sdwa s[0:1], v46, v19 src0_sel:BYTE_0 src1_sel:DWORD
	s_and_saveexec_b64 s[16:17], s[0:1]
	s_cbranch_execz .LBB246_467
; %bb.462:                              ;   in Loop: Header=BB246_331 Depth=1
	v_bfrev_b32_e32 v48, 1
	v_cmp_ne_u16_sdwa s[0:1], v46, s22 src0_sel:BYTE_0 src1_sel:DWORD
	v_mov_b32_e32 v49, 0
	s_and_saveexec_b64 s[18:19], s[0:1]
	s_cbranch_execz .LBB246_466
; %bb.463:                              ;   in Loop: Header=BB246_331 Depth=1
	v_and_b32_e32 v18, 0x7f, v46
	v_mov_b32_e32 v48, 0x7f800001
	v_cmp_ne_u32_e64 s[0:1], s23, v18
	v_mov_b32_e32 v49, 0
	s_and_saveexec_b64 s[20:21], s[0:1]
	s_cbranch_execz .LBB246_465
; %bb.464:                              ;   in Loop: Header=BB246_331 Depth=1
	v_and_b32_e32 v47, 7, v46
	v_ffbh_u32_e32 v48, v47
	v_min_u32_e32 v53, 32, v48
	v_subrev_u32_e32 v48, 28, v53
	v_lshlrev_b64 v[48:49], v48, v[46:47]
	v_lshrrev_b32_e32 v52, 3, v18
	v_sub_u32_e32 v49, 29, v53
	v_and_b32_e32 v48, 7, v48
	v_cmp_gt_u32_e64 s[0:1], 8, v18
	v_cndmask_b32_e64 v18, v52, v49, s[0:1]
	v_cndmask_b32_e64 v47, v47, v48, s[0:1]
	v_lshlrev_b32_e32 v47, 20, v47
	v_and_b32_sdwa v48, sext(v46), s7 dst_sel:DWORD dst_unused:UNUSED_PAD src0_sel:BYTE_0 src1_sel:DWORD
	v_lshl_add_u32 v18, v18, 23, v84
	v_or3_b32 v18, v48, v18, v47
	v_pk_mov_b32 v[48:49], v[18:19], v[18:19] op_sel:[0,1]
.LBB246_465:                            ;   in Loop: Header=BB246_331 Depth=1
	s_or_b64 exec, exec, s[20:21]
.LBB246_466:                            ;   in Loop: Header=BB246_331 Depth=1
	s_or_b64 exec, exec, s[18:19]
.LBB246_467:                            ;   in Loop: Header=BB246_331 Depth=1
	s_or_b64 exec, exec, s[16:17]
	v_cmp_ne_u16_sdwa s[0:1], v46, v19 src0_sel:BYTE_1 src1_sel:DWORD
	s_and_saveexec_b64 s[16:17], s[0:1]
	s_cbranch_execz .LBB246_473
; %bb.468:                              ;   in Loop: Header=BB246_331 Depth=1
	v_cmp_ne_u16_sdwa s[0:1], v46, s22 src0_sel:BYTE_1 src1_sel:DWORD
	v_pk_mov_b32 v[50:51], s[6:7], s[6:7] op_sel:[0,1]
	s_and_saveexec_b64 s[18:19], s[0:1]
	s_cbranch_execz .LBB246_472
; %bb.469:                              ;   in Loop: Header=BB246_331 Depth=1
	v_and_b32_sdwa v47, v46, s23 dst_sel:DWORD dst_unused:UNUSED_PAD src0_sel:BYTE_1 src1_sel:DWORD
	s_mov_b32 s14, s6
	v_cmp_ne_u32_e64 s[0:1], s23, v47
	v_pk_mov_b32 v[50:51], s[14:15], s[14:15] op_sel:[0,1]
	s_and_saveexec_b64 s[20:21], s[0:1]
	s_cbranch_execz .LBB246_471
; %bb.470:                              ;   in Loop: Header=BB246_331 Depth=1
	v_and_b32_sdwa v18, v46, v85 dst_sel:DWORD dst_unused:UNUSED_PAD src0_sel:BYTE_1 src1_sel:DWORD
	v_ffbh_u32_e32 v50, v18
	v_min_u32_e32 v53, 32, v50
	v_subrev_u32_e32 v50, 28, v53
	v_lshlrev_b64 v[50:51], v50, v[18:19]
	v_lshrrev_b32_e32 v52, 3, v47
	v_sub_u32_e32 v51, 29, v53
	v_cmp_gt_u32_e64 s[0:1], 8, v47
	v_and_b32_e32 v50, 7, v50
	v_cndmask_b32_e64 v47, v52, v51, s[0:1]
	v_cndmask_b32_e64 v18, v18, v50, s[0:1]
	v_lshlrev_b32_e32 v50, 16, v46
	v_lshl_add_u32 v47, v47, 23, v84
	v_and_or_b32 v47, v50, s7, v47
	v_lshlrev_b32_e32 v18, 20, v18
	v_or_b32_e32 v51, v47, v18
	v_mov_b32_e32 v50, v19
.LBB246_471:                            ;   in Loop: Header=BB246_331 Depth=1
	s_or_b64 exec, exec, s[20:21]
.LBB246_472:                            ;   in Loop: Header=BB246_331 Depth=1
	s_or_b64 exec, exec, s[18:19]
.LBB246_473:                            ;   in Loop: Header=BB246_331 Depth=1
	s_or_b64 exec, exec, s[16:17]
	v_lshrrev_b32_e32 v18, 16, v46
	v_pk_mov_b32 v[54:55], 0, 0
	v_cmp_ne_u16_sdwa s[0:1], v18, v19 src0_sel:BYTE_0 src1_sel:DWORD
	v_pk_mov_b32 v[52:53], v[54:55], v[54:55] op_sel:[0,1]
	s_and_saveexec_b64 s[16:17], s[0:1]
	s_cbranch_execz .LBB246_479
; %bb.474:                              ;   in Loop: Header=BB246_331 Depth=1
	v_bfrev_b32_e32 v52, 1
	v_cmp_ne_u16_sdwa s[0:1], v18, s22 src0_sel:BYTE_0 src1_sel:DWORD
	v_mov_b32_e32 v53, 0
	s_and_saveexec_b64 s[18:19], s[0:1]
	s_cbranch_execz .LBB246_478
; %bb.475:                              ;   in Loop: Header=BB246_331 Depth=1
	v_bfe_u32 v47, v46, 16, 7
	v_mov_b32_e32 v52, 0x7f800001
	v_cmp_ne_u32_e64 s[0:1], s23, v47
	v_mov_b32_e32 v53, 0
	s_and_saveexec_b64 s[20:21], s[0:1]
	s_cbranch_execz .LBB246_477
; %bb.476:                              ;   in Loop: Header=BB246_331 Depth=1
	v_and_b32_e32 v56, 7, v18
	v_ffbh_u32_e32 v52, v56
	v_min_u32_e32 v58, 32, v52
	v_subrev_u32_e32 v52, 28, v58
	v_lshlrev_b64 v[52:53], v52, v[18:19]
	v_lshrrev_b32_e32 v57, 3, v47
	v_sub_u32_e32 v53, 29, v58
	v_and_b32_e32 v52, 7, v52
	v_cmp_gt_u32_e64 s[0:1], 8, v47
	v_cndmask_b32_e64 v47, v57, v53, s[0:1]
	v_cndmask_b32_e64 v52, v56, v52, s[0:1]
	v_lshlrev_b32_e32 v52, 20, v52
	v_and_b32_sdwa v18, sext(v18), s7 dst_sel:DWORD dst_unused:UNUSED_PAD src0_sel:BYTE_0 src1_sel:DWORD
	v_lshl_add_u32 v47, v47, 23, v84
	v_or3_b32 v18, v18, v47, v52
	v_pk_mov_b32 v[52:53], v[18:19], v[18:19] op_sel:[0,1]
.LBB246_477:                            ;   in Loop: Header=BB246_331 Depth=1
	s_or_b64 exec, exec, s[20:21]
.LBB246_478:                            ;   in Loop: Header=BB246_331 Depth=1
	s_or_b64 exec, exec, s[18:19]
.LBB246_479:                            ;   in Loop: Header=BB246_331 Depth=1
	s_or_b64 exec, exec, s[16:17]
	v_cmp_lt_u32_e64 s[0:1], s28, v46
	s_and_saveexec_b64 s[16:17], s[0:1]
	s_cbranch_execz .LBB246_485
; %bb.480:                              ;   in Loop: Header=BB246_331 Depth=1
	v_cmp_ne_u32_sdwa s[0:1], v46, s22 src0_sel:BYTE_3 src1_sel:DWORD
	v_pk_mov_b32 v[54:55], s[6:7], s[6:7] op_sel:[0,1]
	s_and_saveexec_b64 s[18:19], s[0:1]
	s_cbranch_execz .LBB246_484
; %bb.481:                              ;   in Loop: Header=BB246_331 Depth=1
	v_bfe_u32 v47, v46, 24, 7
	s_mov_b32 s14, s6
	v_cmp_ne_u32_e64 s[0:1], s23, v47
	v_pk_mov_b32 v[54:55], s[14:15], s[14:15] op_sel:[0,1]
	s_and_saveexec_b64 s[20:21], s[0:1]
	s_cbranch_execz .LBB246_483
; %bb.482:                              ;   in Loop: Header=BB246_331 Depth=1
	v_and_b32_sdwa v18, v46, v85 dst_sel:DWORD dst_unused:UNUSED_PAD src0_sel:BYTE_3 src1_sel:DWORD
	v_ffbh_u32_e32 v54, v18
	v_min_u32_e32 v57, 32, v54
	v_subrev_u32_e32 v54, 28, v57
	v_lshlrev_b64 v[54:55], v54, v[18:19]
	v_lshrrev_b32_e32 v56, 3, v47
	v_sub_u32_e32 v55, 29, v57
	v_cmp_gt_u32_e64 s[0:1], 8, v47
	v_and_b32_e32 v54, 7, v54
	v_cndmask_b32_e64 v47, v56, v55, s[0:1]
	v_cndmask_b32_e64 v18, v18, v54, s[0:1]
	v_lshlrev_b32_sdwa v46, v86, v46 dst_sel:DWORD dst_unused:UNUSED_PAD src0_sel:DWORD src1_sel:BYTE_3
	v_lshl_add_u32 v47, v47, 23, v84
	v_and_or_b32 v46, v46, s7, v47
	v_lshlrev_b32_e32 v18, 20, v18
	v_or_b32_e32 v55, v46, v18
	v_mov_b32_e32 v54, v19
.LBB246_483:                            ;   in Loop: Header=BB246_331 Depth=1
	s_or_b64 exec, exec, s[20:21]
.LBB246_484:                            ;   in Loop: Header=BB246_331 Depth=1
	s_or_b64 exec, exec, s[18:19]
.LBB246_485:                            ;   in Loop: Header=BB246_331 Depth=1
	s_or_b64 exec, exec, s[16:17]
	v_or_b32_e32 v47, v51, v49
	v_or_b32_e32 v46, v50, v48
	;; [unrolled: 1-line block ×4, first 2 shown]
	v_pk_mul_f32 v[46:47], s[10:11], v[46:47]
	v_pk_mul_f32 v[48:49], s[10:11], v[48:49]
	s_and_saveexec_b64 s[16:17], vcc
; %bb.486:                              ;   in Loop: Header=BB246_331 Depth=1
	v_cmp_gt_i32_e64 s[0:1], s29, v87
	v_cndmask_b32_e64 v46, 0, v46, s[0:1]
	v_cmp_gt_i32_e64 s[0:1], s29, v89
	v_cndmask_b32_e64 v47, 0, v47, s[0:1]
	;; [unrolled: 2-line block ×4, first 2 shown]
; %bb.487:                              ;   in Loop: Header=BB246_331 Depth=1
	s_or_b64 exec, exec, s[16:17]
	global_load_dword v50, v[28:29], off offset:1536
	v_pk_mov_b32 v[54:55], 0, 0
	v_pk_mov_b32 v[52:53], v[54:55], v[54:55] op_sel:[0,1]
	s_waitcnt vmcnt(0)
	v_cmp_ne_u16_sdwa s[0:1], v50, v19 src0_sel:BYTE_0 src1_sel:DWORD
	s_and_saveexec_b64 s[16:17], s[0:1]
	s_cbranch_execz .LBB246_493
; %bb.488:                              ;   in Loop: Header=BB246_331 Depth=1
	v_bfrev_b32_e32 v52, 1
	v_cmp_ne_u16_sdwa s[0:1], v50, s22 src0_sel:BYTE_0 src1_sel:DWORD
	v_mov_b32_e32 v53, 0
	s_and_saveexec_b64 s[18:19], s[0:1]
	s_cbranch_execz .LBB246_492
; %bb.489:                              ;   in Loop: Header=BB246_331 Depth=1
	v_and_b32_e32 v18, 0x7f, v50
	v_mov_b32_e32 v52, 0x7f800001
	v_cmp_ne_u32_e64 s[0:1], s23, v18
	v_mov_b32_e32 v53, 0
	s_and_saveexec_b64 s[20:21], s[0:1]
	s_cbranch_execz .LBB246_491
; %bb.490:                              ;   in Loop: Header=BB246_331 Depth=1
	v_and_b32_e32 v51, 7, v50
	v_ffbh_u32_e32 v52, v51
	v_min_u32_e32 v57, 32, v52
	v_subrev_u32_e32 v52, 28, v57
	v_lshlrev_b64 v[52:53], v52, v[50:51]
	v_lshrrev_b32_e32 v56, 3, v18
	v_sub_u32_e32 v53, 29, v57
	v_and_b32_e32 v52, 7, v52
	v_cmp_gt_u32_e64 s[0:1], 8, v18
	v_cndmask_b32_e64 v18, v56, v53, s[0:1]
	v_cndmask_b32_e64 v51, v51, v52, s[0:1]
	v_lshlrev_b32_e32 v51, 20, v51
	v_and_b32_sdwa v52, sext(v50), s7 dst_sel:DWORD dst_unused:UNUSED_PAD src0_sel:BYTE_0 src1_sel:DWORD
	v_lshl_add_u32 v18, v18, 23, v84
	v_or3_b32 v18, v52, v18, v51
	v_pk_mov_b32 v[52:53], v[18:19], v[18:19] op_sel:[0,1]
.LBB246_491:                            ;   in Loop: Header=BB246_331 Depth=1
	s_or_b64 exec, exec, s[20:21]
.LBB246_492:                            ;   in Loop: Header=BB246_331 Depth=1
	s_or_b64 exec, exec, s[18:19]
.LBB246_493:                            ;   in Loop: Header=BB246_331 Depth=1
	s_or_b64 exec, exec, s[16:17]
	v_cmp_ne_u16_sdwa s[0:1], v50, v19 src0_sel:BYTE_1 src1_sel:DWORD
	s_and_saveexec_b64 s[16:17], s[0:1]
	s_cbranch_execz .LBB246_499
; %bb.494:                              ;   in Loop: Header=BB246_331 Depth=1
	v_cmp_ne_u16_sdwa s[0:1], v50, s22 src0_sel:BYTE_1 src1_sel:DWORD
	v_pk_mov_b32 v[54:55], s[6:7], s[6:7] op_sel:[0,1]
	s_and_saveexec_b64 s[18:19], s[0:1]
	s_cbranch_execz .LBB246_498
; %bb.495:                              ;   in Loop: Header=BB246_331 Depth=1
	v_and_b32_sdwa v51, v50, s23 dst_sel:DWORD dst_unused:UNUSED_PAD src0_sel:BYTE_1 src1_sel:DWORD
	s_mov_b32 s14, s6
	v_cmp_ne_u32_e64 s[0:1], s23, v51
	v_pk_mov_b32 v[54:55], s[14:15], s[14:15] op_sel:[0,1]
	s_and_saveexec_b64 s[20:21], s[0:1]
	s_cbranch_execz .LBB246_497
; %bb.496:                              ;   in Loop: Header=BB246_331 Depth=1
	v_and_b32_sdwa v18, v50, v85 dst_sel:DWORD dst_unused:UNUSED_PAD src0_sel:BYTE_1 src1_sel:DWORD
	v_ffbh_u32_e32 v54, v18
	v_min_u32_e32 v57, 32, v54
	v_subrev_u32_e32 v54, 28, v57
	v_lshlrev_b64 v[54:55], v54, v[18:19]
	v_lshrrev_b32_e32 v56, 3, v51
	v_sub_u32_e32 v55, 29, v57
	v_cmp_gt_u32_e64 s[0:1], 8, v51
	v_and_b32_e32 v54, 7, v54
	v_cndmask_b32_e64 v51, v56, v55, s[0:1]
	v_cndmask_b32_e64 v18, v18, v54, s[0:1]
	v_lshlrev_b32_e32 v54, 16, v50
	v_lshl_add_u32 v51, v51, 23, v84
	v_and_or_b32 v51, v54, s7, v51
	v_lshlrev_b32_e32 v18, 20, v18
	v_or_b32_e32 v55, v51, v18
	v_mov_b32_e32 v54, v19
.LBB246_497:                            ;   in Loop: Header=BB246_331 Depth=1
	s_or_b64 exec, exec, s[20:21]
.LBB246_498:                            ;   in Loop: Header=BB246_331 Depth=1
	s_or_b64 exec, exec, s[18:19]
.LBB246_499:                            ;   in Loop: Header=BB246_331 Depth=1
	s_or_b64 exec, exec, s[16:17]
	v_lshrrev_b32_e32 v18, 16, v50
	v_pk_mov_b32 v[58:59], 0, 0
	v_cmp_ne_u16_sdwa s[0:1], v18, v19 src0_sel:BYTE_0 src1_sel:DWORD
	v_pk_mov_b32 v[56:57], v[58:59], v[58:59] op_sel:[0,1]
	s_and_saveexec_b64 s[16:17], s[0:1]
	s_cbranch_execz .LBB246_505
; %bb.500:                              ;   in Loop: Header=BB246_331 Depth=1
	v_bfrev_b32_e32 v56, 1
	v_cmp_ne_u16_sdwa s[0:1], v18, s22 src0_sel:BYTE_0 src1_sel:DWORD
	v_mov_b32_e32 v57, 0
	s_and_saveexec_b64 s[18:19], s[0:1]
	s_cbranch_execz .LBB246_504
; %bb.501:                              ;   in Loop: Header=BB246_331 Depth=1
	v_bfe_u32 v51, v50, 16, 7
	v_mov_b32_e32 v56, 0x7f800001
	v_cmp_ne_u32_e64 s[0:1], s23, v51
	v_mov_b32_e32 v57, 0
	s_and_saveexec_b64 s[20:21], s[0:1]
	s_cbranch_execz .LBB246_503
; %bb.502:                              ;   in Loop: Header=BB246_331 Depth=1
	v_and_b32_e32 v60, 7, v18
	v_ffbh_u32_e32 v56, v60
	v_min_u32_e32 v62, 32, v56
	v_subrev_u32_e32 v56, 28, v62
	v_lshlrev_b64 v[56:57], v56, v[18:19]
	v_lshrrev_b32_e32 v61, 3, v51
	v_sub_u32_e32 v57, 29, v62
	v_and_b32_e32 v56, 7, v56
	v_cmp_gt_u32_e64 s[0:1], 8, v51
	v_cndmask_b32_e64 v51, v61, v57, s[0:1]
	v_cndmask_b32_e64 v56, v60, v56, s[0:1]
	v_lshlrev_b32_e32 v56, 20, v56
	v_and_b32_sdwa v18, sext(v18), s7 dst_sel:DWORD dst_unused:UNUSED_PAD src0_sel:BYTE_0 src1_sel:DWORD
	v_lshl_add_u32 v51, v51, 23, v84
	v_or3_b32 v18, v18, v51, v56
	v_pk_mov_b32 v[56:57], v[18:19], v[18:19] op_sel:[0,1]
.LBB246_503:                            ;   in Loop: Header=BB246_331 Depth=1
	s_or_b64 exec, exec, s[20:21]
.LBB246_504:                            ;   in Loop: Header=BB246_331 Depth=1
	s_or_b64 exec, exec, s[18:19]
.LBB246_505:                            ;   in Loop: Header=BB246_331 Depth=1
	s_or_b64 exec, exec, s[16:17]
	v_cmp_lt_u32_e64 s[0:1], s28, v50
	s_and_saveexec_b64 s[16:17], s[0:1]
	s_cbranch_execz .LBB246_511
; %bb.506:                              ;   in Loop: Header=BB246_331 Depth=1
	v_cmp_ne_u32_sdwa s[0:1], v50, s22 src0_sel:BYTE_3 src1_sel:DWORD
	v_pk_mov_b32 v[58:59], s[6:7], s[6:7] op_sel:[0,1]
	s_and_saveexec_b64 s[18:19], s[0:1]
	s_cbranch_execz .LBB246_510
; %bb.507:                              ;   in Loop: Header=BB246_331 Depth=1
	v_bfe_u32 v51, v50, 24, 7
	s_mov_b32 s14, s6
	v_cmp_ne_u32_e64 s[0:1], s23, v51
	v_pk_mov_b32 v[58:59], s[14:15], s[14:15] op_sel:[0,1]
	s_and_saveexec_b64 s[20:21], s[0:1]
	s_cbranch_execz .LBB246_509
; %bb.508:                              ;   in Loop: Header=BB246_331 Depth=1
	v_and_b32_sdwa v18, v50, v85 dst_sel:DWORD dst_unused:UNUSED_PAD src0_sel:BYTE_3 src1_sel:DWORD
	v_ffbh_u32_e32 v58, v18
	v_min_u32_e32 v61, 32, v58
	v_subrev_u32_e32 v58, 28, v61
	v_lshlrev_b64 v[58:59], v58, v[18:19]
	v_lshrrev_b32_e32 v60, 3, v51
	v_sub_u32_e32 v59, 29, v61
	v_cmp_gt_u32_e64 s[0:1], 8, v51
	v_and_b32_e32 v58, 7, v58
	v_cndmask_b32_e64 v51, v60, v59, s[0:1]
	v_cndmask_b32_e64 v18, v18, v58, s[0:1]
	v_lshlrev_b32_sdwa v50, v86, v50 dst_sel:DWORD dst_unused:UNUSED_PAD src0_sel:DWORD src1_sel:BYTE_3
	v_lshl_add_u32 v51, v51, 23, v84
	v_and_or_b32 v50, v50, s7, v51
	v_lshlrev_b32_e32 v18, 20, v18
	v_or_b32_e32 v59, v50, v18
	v_mov_b32_e32 v58, v19
.LBB246_509:                            ;   in Loop: Header=BB246_331 Depth=1
	s_or_b64 exec, exec, s[20:21]
.LBB246_510:                            ;   in Loop: Header=BB246_331 Depth=1
	s_or_b64 exec, exec, s[18:19]
.LBB246_511:                            ;   in Loop: Header=BB246_331 Depth=1
	s_or_b64 exec, exec, s[16:17]
	v_or_b32_e32 v51, v55, v53
	v_or_b32_e32 v50, v54, v52
	v_pk_mul_f32 v[52:53], s[10:11], v[50:51]
	v_or_b32_e32 v51, v59, v57
	v_or_b32_e32 v50, v58, v56
	v_pk_mul_f32 v[54:55], s[10:11], v[50:51]
	s_and_saveexec_b64 s[16:17], vcc
; %bb.512:                              ;   in Loop: Header=BB246_331 Depth=1
	v_cmp_gt_i32_e64 s[0:1], s29, v87
	v_cndmask_b32_e64 v52, 0, v52, s[0:1]
	v_cmp_gt_i32_e64 s[0:1], s29, v89
	v_cndmask_b32_e64 v53, 0, v53, s[0:1]
	;; [unrolled: 2-line block ×4, first 2 shown]
; %bb.513:                              ;   in Loop: Header=BB246_331 Depth=1
	s_or_b64 exec, exec, s[16:17]
	global_load_dword v50, v[28:29], off offset:1792
	v_pk_mov_b32 v[58:59], 0, 0
	v_pk_mov_b32 v[56:57], v[58:59], v[58:59] op_sel:[0,1]
	s_waitcnt vmcnt(0)
	v_cmp_ne_u16_sdwa s[0:1], v50, v19 src0_sel:BYTE_0 src1_sel:DWORD
	s_and_saveexec_b64 s[16:17], s[0:1]
	s_cbranch_execz .LBB246_519
; %bb.514:                              ;   in Loop: Header=BB246_331 Depth=1
	v_bfrev_b32_e32 v56, 1
	v_cmp_ne_u16_sdwa s[0:1], v50, s22 src0_sel:BYTE_0 src1_sel:DWORD
	v_mov_b32_e32 v57, 0
	s_and_saveexec_b64 s[18:19], s[0:1]
	s_cbranch_execz .LBB246_518
; %bb.515:                              ;   in Loop: Header=BB246_331 Depth=1
	v_and_b32_e32 v18, 0x7f, v50
	v_mov_b32_e32 v56, 0x7f800001
	v_cmp_ne_u32_e64 s[0:1], s23, v18
	v_mov_b32_e32 v57, 0
	s_and_saveexec_b64 s[20:21], s[0:1]
	s_cbranch_execz .LBB246_517
; %bb.516:                              ;   in Loop: Header=BB246_331 Depth=1
	v_and_b32_e32 v51, 7, v50
	v_ffbh_u32_e32 v56, v51
	v_min_u32_e32 v61, 32, v56
	v_subrev_u32_e32 v56, 28, v61
	v_lshlrev_b64 v[56:57], v56, v[50:51]
	v_lshrrev_b32_e32 v60, 3, v18
	v_sub_u32_e32 v57, 29, v61
	v_and_b32_e32 v56, 7, v56
	v_cmp_gt_u32_e64 s[0:1], 8, v18
	v_cndmask_b32_e64 v18, v60, v57, s[0:1]
	v_cndmask_b32_e64 v51, v51, v56, s[0:1]
	v_lshlrev_b32_e32 v51, 20, v51
	v_and_b32_sdwa v56, sext(v50), s7 dst_sel:DWORD dst_unused:UNUSED_PAD src0_sel:BYTE_0 src1_sel:DWORD
	v_lshl_add_u32 v18, v18, 23, v84
	v_or3_b32 v18, v56, v18, v51
	v_pk_mov_b32 v[56:57], v[18:19], v[18:19] op_sel:[0,1]
.LBB246_517:                            ;   in Loop: Header=BB246_331 Depth=1
	s_or_b64 exec, exec, s[20:21]
.LBB246_518:                            ;   in Loop: Header=BB246_331 Depth=1
	s_or_b64 exec, exec, s[18:19]
.LBB246_519:                            ;   in Loop: Header=BB246_331 Depth=1
	s_or_b64 exec, exec, s[16:17]
	v_cmp_ne_u16_sdwa s[0:1], v50, v19 src0_sel:BYTE_1 src1_sel:DWORD
	s_and_saveexec_b64 s[16:17], s[0:1]
	s_cbranch_execz .LBB246_525
; %bb.520:                              ;   in Loop: Header=BB246_331 Depth=1
	v_cmp_ne_u16_sdwa s[0:1], v50, s22 src0_sel:BYTE_1 src1_sel:DWORD
	v_pk_mov_b32 v[58:59], s[6:7], s[6:7] op_sel:[0,1]
	s_and_saveexec_b64 s[18:19], s[0:1]
	s_cbranch_execz .LBB246_524
; %bb.521:                              ;   in Loop: Header=BB246_331 Depth=1
	v_and_b32_sdwa v51, v50, s23 dst_sel:DWORD dst_unused:UNUSED_PAD src0_sel:BYTE_1 src1_sel:DWORD
	s_mov_b32 s14, s6
	v_cmp_ne_u32_e64 s[0:1], s23, v51
	v_pk_mov_b32 v[58:59], s[14:15], s[14:15] op_sel:[0,1]
	s_and_saveexec_b64 s[20:21], s[0:1]
	s_cbranch_execz .LBB246_523
; %bb.522:                              ;   in Loop: Header=BB246_331 Depth=1
	v_and_b32_sdwa v18, v50, v85 dst_sel:DWORD dst_unused:UNUSED_PAD src0_sel:BYTE_1 src1_sel:DWORD
	v_ffbh_u32_e32 v58, v18
	v_min_u32_e32 v61, 32, v58
	v_subrev_u32_e32 v58, 28, v61
	v_lshlrev_b64 v[58:59], v58, v[18:19]
	v_lshrrev_b32_e32 v60, 3, v51
	v_sub_u32_e32 v59, 29, v61
	v_cmp_gt_u32_e64 s[0:1], 8, v51
	v_and_b32_e32 v58, 7, v58
	v_cndmask_b32_e64 v51, v60, v59, s[0:1]
	v_cndmask_b32_e64 v18, v18, v58, s[0:1]
	v_lshlrev_b32_e32 v58, 16, v50
	v_lshl_add_u32 v51, v51, 23, v84
	v_and_or_b32 v51, v58, s7, v51
	v_lshlrev_b32_e32 v18, 20, v18
	v_or_b32_e32 v59, v51, v18
	v_mov_b32_e32 v58, v19
.LBB246_523:                            ;   in Loop: Header=BB246_331 Depth=1
	s_or_b64 exec, exec, s[20:21]
.LBB246_524:                            ;   in Loop: Header=BB246_331 Depth=1
	s_or_b64 exec, exec, s[18:19]
.LBB246_525:                            ;   in Loop: Header=BB246_331 Depth=1
	s_or_b64 exec, exec, s[16:17]
	v_lshrrev_b32_e32 v18, 16, v50
	v_pk_mov_b32 v[62:63], 0, 0
	v_cmp_ne_u16_sdwa s[0:1], v18, v19 src0_sel:BYTE_0 src1_sel:DWORD
	v_pk_mov_b32 v[60:61], v[62:63], v[62:63] op_sel:[0,1]
	s_and_saveexec_b64 s[16:17], s[0:1]
	s_cbranch_execz .LBB246_531
; %bb.526:                              ;   in Loop: Header=BB246_331 Depth=1
	v_bfrev_b32_e32 v60, 1
	v_cmp_ne_u16_sdwa s[0:1], v18, s22 src0_sel:BYTE_0 src1_sel:DWORD
	v_mov_b32_e32 v61, 0
	s_and_saveexec_b64 s[18:19], s[0:1]
	s_cbranch_execz .LBB246_530
; %bb.527:                              ;   in Loop: Header=BB246_331 Depth=1
	v_bfe_u32 v51, v50, 16, 7
	v_mov_b32_e32 v60, 0x7f800001
	v_cmp_ne_u32_e64 s[0:1], s23, v51
	v_mov_b32_e32 v61, 0
	s_and_saveexec_b64 s[20:21], s[0:1]
	s_cbranch_execz .LBB246_529
; %bb.528:                              ;   in Loop: Header=BB246_331 Depth=1
	v_and_b32_e32 v64, 7, v18
	v_ffbh_u32_e32 v60, v64
	v_min_u32_e32 v66, 32, v60
	v_subrev_u32_e32 v60, 28, v66
	v_lshlrev_b64 v[60:61], v60, v[18:19]
	v_lshrrev_b32_e32 v65, 3, v51
	v_sub_u32_e32 v61, 29, v66
	v_and_b32_e32 v60, 7, v60
	v_cmp_gt_u32_e64 s[0:1], 8, v51
	v_cndmask_b32_e64 v51, v65, v61, s[0:1]
	v_cndmask_b32_e64 v60, v64, v60, s[0:1]
	v_lshlrev_b32_e32 v60, 20, v60
	v_and_b32_sdwa v18, sext(v18), s7 dst_sel:DWORD dst_unused:UNUSED_PAD src0_sel:BYTE_0 src1_sel:DWORD
	v_lshl_add_u32 v51, v51, 23, v84
	v_or3_b32 v18, v18, v51, v60
	v_pk_mov_b32 v[60:61], v[18:19], v[18:19] op_sel:[0,1]
.LBB246_529:                            ;   in Loop: Header=BB246_331 Depth=1
	s_or_b64 exec, exec, s[20:21]
.LBB246_530:                            ;   in Loop: Header=BB246_331 Depth=1
	s_or_b64 exec, exec, s[18:19]
.LBB246_531:                            ;   in Loop: Header=BB246_331 Depth=1
	s_or_b64 exec, exec, s[16:17]
	v_cmp_lt_u32_e64 s[0:1], s28, v50
	s_and_saveexec_b64 s[16:17], s[0:1]
	s_cbranch_execz .LBB246_537
; %bb.532:                              ;   in Loop: Header=BB246_331 Depth=1
	v_cmp_ne_u32_sdwa s[0:1], v50, s22 src0_sel:BYTE_3 src1_sel:DWORD
	v_pk_mov_b32 v[62:63], s[6:7], s[6:7] op_sel:[0,1]
	s_and_saveexec_b64 s[18:19], s[0:1]
	s_cbranch_execz .LBB246_536
; %bb.533:                              ;   in Loop: Header=BB246_331 Depth=1
	v_bfe_u32 v51, v50, 24, 7
	s_mov_b32 s14, s6
	v_cmp_ne_u32_e64 s[0:1], s23, v51
	v_pk_mov_b32 v[62:63], s[14:15], s[14:15] op_sel:[0,1]
	s_and_saveexec_b64 s[20:21], s[0:1]
	s_cbranch_execz .LBB246_535
; %bb.534:                              ;   in Loop: Header=BB246_331 Depth=1
	v_and_b32_sdwa v18, v50, v85 dst_sel:DWORD dst_unused:UNUSED_PAD src0_sel:BYTE_3 src1_sel:DWORD
	v_ffbh_u32_e32 v62, v18
	v_min_u32_e32 v65, 32, v62
	v_subrev_u32_e32 v62, 28, v65
	v_lshlrev_b64 v[62:63], v62, v[18:19]
	v_lshrrev_b32_e32 v64, 3, v51
	v_sub_u32_e32 v63, 29, v65
	v_cmp_gt_u32_e64 s[0:1], 8, v51
	v_and_b32_e32 v62, 7, v62
	v_cndmask_b32_e64 v51, v64, v63, s[0:1]
	v_cndmask_b32_e64 v18, v18, v62, s[0:1]
	v_lshlrev_b32_sdwa v50, v86, v50 dst_sel:DWORD dst_unused:UNUSED_PAD src0_sel:DWORD src1_sel:BYTE_3
	v_lshl_add_u32 v51, v51, 23, v84
	v_and_or_b32 v50, v50, s7, v51
	v_lshlrev_b32_e32 v18, 20, v18
	v_or_b32_e32 v63, v50, v18
	v_mov_b32_e32 v62, v19
.LBB246_535:                            ;   in Loop: Header=BB246_331 Depth=1
	s_or_b64 exec, exec, s[20:21]
.LBB246_536:                            ;   in Loop: Header=BB246_331 Depth=1
	s_or_b64 exec, exec, s[18:19]
.LBB246_537:                            ;   in Loop: Header=BB246_331 Depth=1
	s_or_b64 exec, exec, s[16:17]
	v_or_b32_e32 v51, v59, v57
	v_or_b32_e32 v50, v58, v56
	v_pk_mul_f32 v[56:57], s[10:11], v[50:51]
	v_or_b32_e32 v51, v63, v61
	v_or_b32_e32 v50, v62, v60
	v_pk_mul_f32 v[58:59], s[10:11], v[50:51]
	s_and_saveexec_b64 s[16:17], vcc
; %bb.538:                              ;   in Loop: Header=BB246_331 Depth=1
	v_cmp_gt_i32_e64 s[0:1], s29, v87
	v_cndmask_b32_e64 v56, 0, v56, s[0:1]
	v_cmp_gt_i32_e64 s[0:1], s29, v89
	v_cndmask_b32_e64 v57, 0, v57, s[0:1]
	;; [unrolled: 2-line block ×4, first 2 shown]
; %bb.539:                              ;   in Loop: Header=BB246_331 Depth=1
	s_or_b64 exec, exec, s[16:17]
	global_load_dword v50, v[28:29], off offset:2048
	v_pk_mov_b32 v[62:63], 0, 0
	v_pk_mov_b32 v[60:61], v[62:63], v[62:63] op_sel:[0,1]
	s_waitcnt vmcnt(0)
	v_cmp_ne_u16_sdwa s[0:1], v50, v19 src0_sel:BYTE_0 src1_sel:DWORD
	s_and_saveexec_b64 s[16:17], s[0:1]
	s_cbranch_execz .LBB246_545
; %bb.540:                              ;   in Loop: Header=BB246_331 Depth=1
	v_bfrev_b32_e32 v60, 1
	v_cmp_ne_u16_sdwa s[0:1], v50, s22 src0_sel:BYTE_0 src1_sel:DWORD
	v_mov_b32_e32 v61, 0
	s_and_saveexec_b64 s[18:19], s[0:1]
	s_cbranch_execz .LBB246_544
; %bb.541:                              ;   in Loop: Header=BB246_331 Depth=1
	v_and_b32_e32 v18, 0x7f, v50
	v_mov_b32_e32 v60, 0x7f800001
	v_cmp_ne_u32_e64 s[0:1], s23, v18
	v_mov_b32_e32 v61, 0
	s_and_saveexec_b64 s[20:21], s[0:1]
	s_cbranch_execz .LBB246_543
; %bb.542:                              ;   in Loop: Header=BB246_331 Depth=1
	v_and_b32_e32 v51, 7, v50
	v_ffbh_u32_e32 v60, v51
	v_min_u32_e32 v65, 32, v60
	v_subrev_u32_e32 v60, 28, v65
	v_lshlrev_b64 v[60:61], v60, v[50:51]
	v_lshrrev_b32_e32 v64, 3, v18
	v_sub_u32_e32 v61, 29, v65
	v_and_b32_e32 v60, 7, v60
	v_cmp_gt_u32_e64 s[0:1], 8, v18
	v_cndmask_b32_e64 v18, v64, v61, s[0:1]
	v_cndmask_b32_e64 v51, v51, v60, s[0:1]
	v_lshlrev_b32_e32 v51, 20, v51
	v_and_b32_sdwa v60, sext(v50), s7 dst_sel:DWORD dst_unused:UNUSED_PAD src0_sel:BYTE_0 src1_sel:DWORD
	v_lshl_add_u32 v18, v18, 23, v84
	v_or3_b32 v18, v60, v18, v51
	v_pk_mov_b32 v[60:61], v[18:19], v[18:19] op_sel:[0,1]
.LBB246_543:                            ;   in Loop: Header=BB246_331 Depth=1
	s_or_b64 exec, exec, s[20:21]
.LBB246_544:                            ;   in Loop: Header=BB246_331 Depth=1
	s_or_b64 exec, exec, s[18:19]
.LBB246_545:                            ;   in Loop: Header=BB246_331 Depth=1
	s_or_b64 exec, exec, s[16:17]
	v_cmp_ne_u16_sdwa s[0:1], v50, v19 src0_sel:BYTE_1 src1_sel:DWORD
	s_and_saveexec_b64 s[16:17], s[0:1]
	s_cbranch_execz .LBB246_551
; %bb.546:                              ;   in Loop: Header=BB246_331 Depth=1
	v_cmp_ne_u16_sdwa s[0:1], v50, s22 src0_sel:BYTE_1 src1_sel:DWORD
	v_pk_mov_b32 v[62:63], s[6:7], s[6:7] op_sel:[0,1]
	s_and_saveexec_b64 s[18:19], s[0:1]
	s_cbranch_execz .LBB246_550
; %bb.547:                              ;   in Loop: Header=BB246_331 Depth=1
	v_and_b32_sdwa v51, v50, s23 dst_sel:DWORD dst_unused:UNUSED_PAD src0_sel:BYTE_1 src1_sel:DWORD
	s_mov_b32 s14, s6
	v_cmp_ne_u32_e64 s[0:1], s23, v51
	v_pk_mov_b32 v[62:63], s[14:15], s[14:15] op_sel:[0,1]
	s_and_saveexec_b64 s[20:21], s[0:1]
	s_cbranch_execz .LBB246_549
; %bb.548:                              ;   in Loop: Header=BB246_331 Depth=1
	v_and_b32_sdwa v18, v50, v85 dst_sel:DWORD dst_unused:UNUSED_PAD src0_sel:BYTE_1 src1_sel:DWORD
	v_ffbh_u32_e32 v62, v18
	v_min_u32_e32 v65, 32, v62
	v_subrev_u32_e32 v62, 28, v65
	v_lshlrev_b64 v[62:63], v62, v[18:19]
	v_lshrrev_b32_e32 v64, 3, v51
	v_sub_u32_e32 v63, 29, v65
	v_cmp_gt_u32_e64 s[0:1], 8, v51
	v_and_b32_e32 v62, 7, v62
	v_cndmask_b32_e64 v51, v64, v63, s[0:1]
	v_cndmask_b32_e64 v18, v18, v62, s[0:1]
	v_lshlrev_b32_e32 v62, 16, v50
	v_lshl_add_u32 v51, v51, 23, v84
	v_and_or_b32 v51, v62, s7, v51
	v_lshlrev_b32_e32 v18, 20, v18
	v_or_b32_e32 v63, v51, v18
	v_mov_b32_e32 v62, v19
.LBB246_549:                            ;   in Loop: Header=BB246_331 Depth=1
	s_or_b64 exec, exec, s[20:21]
.LBB246_550:                            ;   in Loop: Header=BB246_331 Depth=1
	s_or_b64 exec, exec, s[18:19]
.LBB246_551:                            ;   in Loop: Header=BB246_331 Depth=1
	s_or_b64 exec, exec, s[16:17]
	v_lshrrev_b32_e32 v18, 16, v50
	v_pk_mov_b32 v[66:67], 0, 0
	v_cmp_ne_u16_sdwa s[0:1], v18, v19 src0_sel:BYTE_0 src1_sel:DWORD
	v_pk_mov_b32 v[64:65], v[66:67], v[66:67] op_sel:[0,1]
	s_and_saveexec_b64 s[16:17], s[0:1]
	s_cbranch_execz .LBB246_557
; %bb.552:                              ;   in Loop: Header=BB246_331 Depth=1
	v_bfrev_b32_e32 v64, 1
	v_cmp_ne_u16_sdwa s[0:1], v18, s22 src0_sel:BYTE_0 src1_sel:DWORD
	v_mov_b32_e32 v65, 0
	s_and_saveexec_b64 s[18:19], s[0:1]
	s_cbranch_execz .LBB246_556
; %bb.553:                              ;   in Loop: Header=BB246_331 Depth=1
	v_bfe_u32 v51, v50, 16, 7
	v_mov_b32_e32 v64, 0x7f800001
	v_cmp_ne_u32_e64 s[0:1], s23, v51
	v_mov_b32_e32 v65, 0
	s_and_saveexec_b64 s[20:21], s[0:1]
	s_cbranch_execz .LBB246_555
; %bb.554:                              ;   in Loop: Header=BB246_331 Depth=1
	v_and_b32_e32 v68, 7, v18
	v_ffbh_u32_e32 v64, v68
	v_min_u32_e32 v70, 32, v64
	v_subrev_u32_e32 v64, 28, v70
	v_lshlrev_b64 v[64:65], v64, v[18:19]
	v_lshrrev_b32_e32 v69, 3, v51
	v_sub_u32_e32 v65, 29, v70
	v_and_b32_e32 v64, 7, v64
	v_cmp_gt_u32_e64 s[0:1], 8, v51
	v_cndmask_b32_e64 v51, v69, v65, s[0:1]
	v_cndmask_b32_e64 v64, v68, v64, s[0:1]
	v_lshlrev_b32_e32 v64, 20, v64
	v_and_b32_sdwa v18, sext(v18), s7 dst_sel:DWORD dst_unused:UNUSED_PAD src0_sel:BYTE_0 src1_sel:DWORD
	v_lshl_add_u32 v51, v51, 23, v84
	v_or3_b32 v18, v18, v51, v64
	v_pk_mov_b32 v[64:65], v[18:19], v[18:19] op_sel:[0,1]
.LBB246_555:                            ;   in Loop: Header=BB246_331 Depth=1
	s_or_b64 exec, exec, s[20:21]
.LBB246_556:                            ;   in Loop: Header=BB246_331 Depth=1
	s_or_b64 exec, exec, s[18:19]
.LBB246_557:                            ;   in Loop: Header=BB246_331 Depth=1
	s_or_b64 exec, exec, s[16:17]
	v_cmp_lt_u32_e64 s[0:1], s28, v50
	s_and_saveexec_b64 s[16:17], s[0:1]
	s_cbranch_execz .LBB246_563
; %bb.558:                              ;   in Loop: Header=BB246_331 Depth=1
	v_cmp_ne_u32_sdwa s[0:1], v50, s22 src0_sel:BYTE_3 src1_sel:DWORD
	v_pk_mov_b32 v[66:67], s[6:7], s[6:7] op_sel:[0,1]
	s_and_saveexec_b64 s[18:19], s[0:1]
	s_cbranch_execz .LBB246_562
; %bb.559:                              ;   in Loop: Header=BB246_331 Depth=1
	v_bfe_u32 v51, v50, 24, 7
	s_mov_b32 s14, s6
	v_cmp_ne_u32_e64 s[0:1], s23, v51
	v_pk_mov_b32 v[66:67], s[14:15], s[14:15] op_sel:[0,1]
	s_and_saveexec_b64 s[20:21], s[0:1]
	s_cbranch_execz .LBB246_561
; %bb.560:                              ;   in Loop: Header=BB246_331 Depth=1
	v_and_b32_sdwa v18, v50, v85 dst_sel:DWORD dst_unused:UNUSED_PAD src0_sel:BYTE_3 src1_sel:DWORD
	v_ffbh_u32_e32 v66, v18
	v_min_u32_e32 v69, 32, v66
	v_subrev_u32_e32 v66, 28, v69
	v_lshlrev_b64 v[66:67], v66, v[18:19]
	v_lshrrev_b32_e32 v68, 3, v51
	v_sub_u32_e32 v67, 29, v69
	v_cmp_gt_u32_e64 s[0:1], 8, v51
	v_and_b32_e32 v66, 7, v66
	v_cndmask_b32_e64 v51, v68, v67, s[0:1]
	v_cndmask_b32_e64 v18, v18, v66, s[0:1]
	v_lshlrev_b32_sdwa v50, v86, v50 dst_sel:DWORD dst_unused:UNUSED_PAD src0_sel:DWORD src1_sel:BYTE_3
	v_lshl_add_u32 v51, v51, 23, v84
	v_and_or_b32 v50, v50, s7, v51
	v_lshlrev_b32_e32 v18, 20, v18
	v_or_b32_e32 v67, v50, v18
	v_mov_b32_e32 v66, v19
.LBB246_561:                            ;   in Loop: Header=BB246_331 Depth=1
	s_or_b64 exec, exec, s[20:21]
.LBB246_562:                            ;   in Loop: Header=BB246_331 Depth=1
	s_or_b64 exec, exec, s[18:19]
.LBB246_563:                            ;   in Loop: Header=BB246_331 Depth=1
	s_or_b64 exec, exec, s[16:17]
	v_or_b32_e32 v51, v63, v61
	v_or_b32_e32 v50, v62, v60
	v_pk_mul_f32 v[60:61], s[10:11], v[50:51]
	v_or_b32_e32 v51, v67, v65
	v_or_b32_e32 v50, v66, v64
	v_pk_mul_f32 v[62:63], s[10:11], v[50:51]
	s_and_saveexec_b64 s[16:17], vcc
; %bb.564:                              ;   in Loop: Header=BB246_331 Depth=1
	v_cmp_gt_i32_e64 s[0:1], s29, v87
	v_cndmask_b32_e64 v60, 0, v60, s[0:1]
	v_cmp_gt_i32_e64 s[0:1], s29, v89
	v_cndmask_b32_e64 v61, 0, v61, s[0:1]
	;; [unrolled: 2-line block ×4, first 2 shown]
; %bb.565:                              ;   in Loop: Header=BB246_331 Depth=1
	s_or_b64 exec, exec, s[16:17]
	global_load_dword v50, v[28:29], off offset:2304
	v_pk_mov_b32 v[66:67], 0, 0
	v_pk_mov_b32 v[64:65], v[66:67], v[66:67] op_sel:[0,1]
	s_waitcnt vmcnt(0)
	v_cmp_ne_u16_sdwa s[0:1], v50, v19 src0_sel:BYTE_0 src1_sel:DWORD
	s_and_saveexec_b64 s[16:17], s[0:1]
	s_cbranch_execz .LBB246_571
; %bb.566:                              ;   in Loop: Header=BB246_331 Depth=1
	v_bfrev_b32_e32 v64, 1
	v_cmp_ne_u16_sdwa s[0:1], v50, s22 src0_sel:BYTE_0 src1_sel:DWORD
	v_mov_b32_e32 v65, 0
	s_and_saveexec_b64 s[18:19], s[0:1]
	s_cbranch_execz .LBB246_570
; %bb.567:                              ;   in Loop: Header=BB246_331 Depth=1
	v_and_b32_e32 v18, 0x7f, v50
	v_mov_b32_e32 v64, 0x7f800001
	v_cmp_ne_u32_e64 s[0:1], s23, v18
	v_mov_b32_e32 v65, 0
	s_and_saveexec_b64 s[20:21], s[0:1]
	s_cbranch_execz .LBB246_569
; %bb.568:                              ;   in Loop: Header=BB246_331 Depth=1
	v_and_b32_e32 v51, 7, v50
	v_ffbh_u32_e32 v64, v51
	v_min_u32_e32 v69, 32, v64
	v_subrev_u32_e32 v64, 28, v69
	v_lshlrev_b64 v[64:65], v64, v[50:51]
	v_lshrrev_b32_e32 v68, 3, v18
	v_sub_u32_e32 v65, 29, v69
	v_and_b32_e32 v64, 7, v64
	v_cmp_gt_u32_e64 s[0:1], 8, v18
	v_cndmask_b32_e64 v18, v68, v65, s[0:1]
	v_cndmask_b32_e64 v51, v51, v64, s[0:1]
	v_lshlrev_b32_e32 v51, 20, v51
	v_and_b32_sdwa v64, sext(v50), s7 dst_sel:DWORD dst_unused:UNUSED_PAD src0_sel:BYTE_0 src1_sel:DWORD
	v_lshl_add_u32 v18, v18, 23, v84
	v_or3_b32 v18, v64, v18, v51
	v_pk_mov_b32 v[64:65], v[18:19], v[18:19] op_sel:[0,1]
.LBB246_569:                            ;   in Loop: Header=BB246_331 Depth=1
	s_or_b64 exec, exec, s[20:21]
.LBB246_570:                            ;   in Loop: Header=BB246_331 Depth=1
	s_or_b64 exec, exec, s[18:19]
.LBB246_571:                            ;   in Loop: Header=BB246_331 Depth=1
	s_or_b64 exec, exec, s[16:17]
	v_cmp_ne_u16_sdwa s[0:1], v50, v19 src0_sel:BYTE_1 src1_sel:DWORD
	s_and_saveexec_b64 s[16:17], s[0:1]
	s_cbranch_execz .LBB246_577
; %bb.572:                              ;   in Loop: Header=BB246_331 Depth=1
	v_cmp_ne_u16_sdwa s[0:1], v50, s22 src0_sel:BYTE_1 src1_sel:DWORD
	v_pk_mov_b32 v[66:67], s[6:7], s[6:7] op_sel:[0,1]
	s_and_saveexec_b64 s[18:19], s[0:1]
	s_cbranch_execz .LBB246_576
; %bb.573:                              ;   in Loop: Header=BB246_331 Depth=1
	v_and_b32_sdwa v51, v50, s23 dst_sel:DWORD dst_unused:UNUSED_PAD src0_sel:BYTE_1 src1_sel:DWORD
	s_mov_b32 s14, s6
	v_cmp_ne_u32_e64 s[0:1], s23, v51
	v_pk_mov_b32 v[66:67], s[14:15], s[14:15] op_sel:[0,1]
	s_and_saveexec_b64 s[20:21], s[0:1]
	s_cbranch_execz .LBB246_575
; %bb.574:                              ;   in Loop: Header=BB246_331 Depth=1
	v_and_b32_sdwa v18, v50, v85 dst_sel:DWORD dst_unused:UNUSED_PAD src0_sel:BYTE_1 src1_sel:DWORD
	v_ffbh_u32_e32 v66, v18
	v_min_u32_e32 v69, 32, v66
	v_subrev_u32_e32 v66, 28, v69
	v_lshlrev_b64 v[66:67], v66, v[18:19]
	v_lshrrev_b32_e32 v68, 3, v51
	v_sub_u32_e32 v67, 29, v69
	v_cmp_gt_u32_e64 s[0:1], 8, v51
	v_and_b32_e32 v66, 7, v66
	v_cndmask_b32_e64 v51, v68, v67, s[0:1]
	v_cndmask_b32_e64 v18, v18, v66, s[0:1]
	v_lshlrev_b32_e32 v66, 16, v50
	v_lshl_add_u32 v51, v51, 23, v84
	v_and_or_b32 v51, v66, s7, v51
	v_lshlrev_b32_e32 v18, 20, v18
	v_or_b32_e32 v67, v51, v18
	v_mov_b32_e32 v66, v19
.LBB246_575:                            ;   in Loop: Header=BB246_331 Depth=1
	s_or_b64 exec, exec, s[20:21]
.LBB246_576:                            ;   in Loop: Header=BB246_331 Depth=1
	s_or_b64 exec, exec, s[18:19]
.LBB246_577:                            ;   in Loop: Header=BB246_331 Depth=1
	s_or_b64 exec, exec, s[16:17]
	v_lshrrev_b32_e32 v18, 16, v50
	v_pk_mov_b32 v[70:71], 0, 0
	v_cmp_ne_u16_sdwa s[0:1], v18, v19 src0_sel:BYTE_0 src1_sel:DWORD
	v_pk_mov_b32 v[68:69], v[70:71], v[70:71] op_sel:[0,1]
	s_and_saveexec_b64 s[16:17], s[0:1]
	s_cbranch_execz .LBB246_583
; %bb.578:                              ;   in Loop: Header=BB246_331 Depth=1
	v_bfrev_b32_e32 v68, 1
	v_cmp_ne_u16_sdwa s[0:1], v18, s22 src0_sel:BYTE_0 src1_sel:DWORD
	v_mov_b32_e32 v69, 0
	s_and_saveexec_b64 s[18:19], s[0:1]
	s_cbranch_execz .LBB246_582
; %bb.579:                              ;   in Loop: Header=BB246_331 Depth=1
	v_bfe_u32 v51, v50, 16, 7
	v_mov_b32_e32 v68, 0x7f800001
	v_cmp_ne_u32_e64 s[0:1], s23, v51
	v_mov_b32_e32 v69, 0
	s_and_saveexec_b64 s[20:21], s[0:1]
	s_cbranch_execz .LBB246_581
; %bb.580:                              ;   in Loop: Header=BB246_331 Depth=1
	v_and_b32_e32 v72, 7, v18
	v_ffbh_u32_e32 v68, v72
	v_min_u32_e32 v74, 32, v68
	v_subrev_u32_e32 v68, 28, v74
	v_lshlrev_b64 v[68:69], v68, v[18:19]
	v_lshrrev_b32_e32 v73, 3, v51
	v_sub_u32_e32 v69, 29, v74
	v_and_b32_e32 v68, 7, v68
	v_cmp_gt_u32_e64 s[0:1], 8, v51
	v_cndmask_b32_e64 v51, v73, v69, s[0:1]
	v_cndmask_b32_e64 v68, v72, v68, s[0:1]
	v_lshlrev_b32_e32 v68, 20, v68
	v_and_b32_sdwa v18, sext(v18), s7 dst_sel:DWORD dst_unused:UNUSED_PAD src0_sel:BYTE_0 src1_sel:DWORD
	v_lshl_add_u32 v51, v51, 23, v84
	v_or3_b32 v18, v18, v51, v68
	v_pk_mov_b32 v[68:69], v[18:19], v[18:19] op_sel:[0,1]
.LBB246_581:                            ;   in Loop: Header=BB246_331 Depth=1
	s_or_b64 exec, exec, s[20:21]
.LBB246_582:                            ;   in Loop: Header=BB246_331 Depth=1
	s_or_b64 exec, exec, s[18:19]
.LBB246_583:                            ;   in Loop: Header=BB246_331 Depth=1
	s_or_b64 exec, exec, s[16:17]
	v_cmp_lt_u32_e64 s[0:1], s28, v50
	s_and_saveexec_b64 s[16:17], s[0:1]
	s_cbranch_execz .LBB246_589
; %bb.584:                              ;   in Loop: Header=BB246_331 Depth=1
	v_cmp_ne_u32_sdwa s[0:1], v50, s22 src0_sel:BYTE_3 src1_sel:DWORD
	v_pk_mov_b32 v[70:71], s[6:7], s[6:7] op_sel:[0,1]
	s_and_saveexec_b64 s[18:19], s[0:1]
	s_cbranch_execz .LBB246_588
; %bb.585:                              ;   in Loop: Header=BB246_331 Depth=1
	v_bfe_u32 v51, v50, 24, 7
	s_mov_b32 s14, s6
	v_cmp_ne_u32_e64 s[0:1], s23, v51
	v_pk_mov_b32 v[70:71], s[14:15], s[14:15] op_sel:[0,1]
	s_and_saveexec_b64 s[20:21], s[0:1]
	s_cbranch_execz .LBB246_587
; %bb.586:                              ;   in Loop: Header=BB246_331 Depth=1
	v_and_b32_sdwa v18, v50, v85 dst_sel:DWORD dst_unused:UNUSED_PAD src0_sel:BYTE_3 src1_sel:DWORD
	v_ffbh_u32_e32 v70, v18
	v_min_u32_e32 v73, 32, v70
	v_subrev_u32_e32 v70, 28, v73
	v_lshlrev_b64 v[70:71], v70, v[18:19]
	v_lshrrev_b32_e32 v72, 3, v51
	v_sub_u32_e32 v71, 29, v73
	v_cmp_gt_u32_e64 s[0:1], 8, v51
	v_and_b32_e32 v70, 7, v70
	v_cndmask_b32_e64 v51, v72, v71, s[0:1]
	v_cndmask_b32_e64 v18, v18, v70, s[0:1]
	v_lshlrev_b32_sdwa v50, v86, v50 dst_sel:DWORD dst_unused:UNUSED_PAD src0_sel:DWORD src1_sel:BYTE_3
	v_lshl_add_u32 v51, v51, 23, v84
	v_and_or_b32 v50, v50, s7, v51
	v_lshlrev_b32_e32 v18, 20, v18
	v_or_b32_e32 v71, v50, v18
	v_mov_b32_e32 v70, v19
.LBB246_587:                            ;   in Loop: Header=BB246_331 Depth=1
	s_or_b64 exec, exec, s[20:21]
.LBB246_588:                            ;   in Loop: Header=BB246_331 Depth=1
	s_or_b64 exec, exec, s[18:19]
.LBB246_589:                            ;   in Loop: Header=BB246_331 Depth=1
	s_or_b64 exec, exec, s[16:17]
	v_or_b32_e32 v51, v67, v65
	v_or_b32_e32 v50, v66, v64
	;; [unrolled: 1-line block ×4, first 2 shown]
	v_pk_mul_f32 v[50:51], s[10:11], v[50:51]
	v_pk_mul_f32 v[64:65], s[10:11], v[64:65]
	s_and_saveexec_b64 s[16:17], vcc
; %bb.590:                              ;   in Loop: Header=BB246_331 Depth=1
	v_cmp_gt_i32_e64 s[0:1], s29, v87
	v_cndmask_b32_e64 v50, 0, v50, s[0:1]
	v_cmp_gt_i32_e64 s[0:1], s29, v89
	v_cndmask_b32_e64 v51, 0, v51, s[0:1]
	;; [unrolled: 2-line block ×4, first 2 shown]
; %bb.591:                              ;   in Loop: Header=BB246_331 Depth=1
	s_or_b64 exec, exec, s[16:17]
	global_load_dword v66, v[28:29], off offset:2560
	v_pk_mov_b32 v[70:71], 0, 0
	v_pk_mov_b32 v[68:69], v[70:71], v[70:71] op_sel:[0,1]
	s_waitcnt vmcnt(0)
	v_cmp_ne_u16_sdwa s[0:1], v66, v19 src0_sel:BYTE_0 src1_sel:DWORD
	s_and_saveexec_b64 s[16:17], s[0:1]
	s_cbranch_execz .LBB246_597
; %bb.592:                              ;   in Loop: Header=BB246_331 Depth=1
	v_bfrev_b32_e32 v68, 1
	v_cmp_ne_u16_sdwa s[0:1], v66, s22 src0_sel:BYTE_0 src1_sel:DWORD
	v_mov_b32_e32 v69, 0
	s_and_saveexec_b64 s[18:19], s[0:1]
	s_cbranch_execz .LBB246_596
; %bb.593:                              ;   in Loop: Header=BB246_331 Depth=1
	v_and_b32_e32 v18, 0x7f, v66
	v_mov_b32_e32 v68, 0x7f800001
	v_cmp_ne_u32_e64 s[0:1], s23, v18
	v_mov_b32_e32 v69, 0
	s_and_saveexec_b64 s[20:21], s[0:1]
	s_cbranch_execz .LBB246_595
; %bb.594:                              ;   in Loop: Header=BB246_331 Depth=1
	v_and_b32_e32 v67, 7, v66
	v_ffbh_u32_e32 v68, v67
	v_min_u32_e32 v73, 32, v68
	v_subrev_u32_e32 v68, 28, v73
	v_lshlrev_b64 v[68:69], v68, v[66:67]
	v_lshrrev_b32_e32 v72, 3, v18
	v_sub_u32_e32 v69, 29, v73
	v_and_b32_e32 v68, 7, v68
	v_cmp_gt_u32_e64 s[0:1], 8, v18
	v_cndmask_b32_e64 v18, v72, v69, s[0:1]
	v_cndmask_b32_e64 v67, v67, v68, s[0:1]
	v_lshlrev_b32_e32 v67, 20, v67
	v_and_b32_sdwa v68, sext(v66), s7 dst_sel:DWORD dst_unused:UNUSED_PAD src0_sel:BYTE_0 src1_sel:DWORD
	v_lshl_add_u32 v18, v18, 23, v84
	v_or3_b32 v18, v68, v18, v67
	v_pk_mov_b32 v[68:69], v[18:19], v[18:19] op_sel:[0,1]
.LBB246_595:                            ;   in Loop: Header=BB246_331 Depth=1
	s_or_b64 exec, exec, s[20:21]
.LBB246_596:                            ;   in Loop: Header=BB246_331 Depth=1
	s_or_b64 exec, exec, s[18:19]
.LBB246_597:                            ;   in Loop: Header=BB246_331 Depth=1
	s_or_b64 exec, exec, s[16:17]
	v_cmp_ne_u16_sdwa s[0:1], v66, v19 src0_sel:BYTE_1 src1_sel:DWORD
	s_and_saveexec_b64 s[16:17], s[0:1]
	s_cbranch_execz .LBB246_603
; %bb.598:                              ;   in Loop: Header=BB246_331 Depth=1
	v_cmp_ne_u16_sdwa s[0:1], v66, s22 src0_sel:BYTE_1 src1_sel:DWORD
	v_pk_mov_b32 v[70:71], s[6:7], s[6:7] op_sel:[0,1]
	s_and_saveexec_b64 s[18:19], s[0:1]
	s_cbranch_execz .LBB246_602
; %bb.599:                              ;   in Loop: Header=BB246_331 Depth=1
	v_and_b32_sdwa v67, v66, s23 dst_sel:DWORD dst_unused:UNUSED_PAD src0_sel:BYTE_1 src1_sel:DWORD
	s_mov_b32 s14, s6
	v_cmp_ne_u32_e64 s[0:1], s23, v67
	v_pk_mov_b32 v[70:71], s[14:15], s[14:15] op_sel:[0,1]
	s_and_saveexec_b64 s[20:21], s[0:1]
	s_cbranch_execz .LBB246_601
; %bb.600:                              ;   in Loop: Header=BB246_331 Depth=1
	v_and_b32_sdwa v18, v66, v85 dst_sel:DWORD dst_unused:UNUSED_PAD src0_sel:BYTE_1 src1_sel:DWORD
	v_ffbh_u32_e32 v70, v18
	v_min_u32_e32 v73, 32, v70
	v_subrev_u32_e32 v70, 28, v73
	v_lshlrev_b64 v[70:71], v70, v[18:19]
	v_lshrrev_b32_e32 v72, 3, v67
	v_sub_u32_e32 v71, 29, v73
	v_cmp_gt_u32_e64 s[0:1], 8, v67
	v_and_b32_e32 v70, 7, v70
	v_cndmask_b32_e64 v67, v72, v71, s[0:1]
	v_cndmask_b32_e64 v18, v18, v70, s[0:1]
	v_lshlrev_b32_e32 v70, 16, v66
	v_lshl_add_u32 v67, v67, 23, v84
	v_and_or_b32 v67, v70, s7, v67
	v_lshlrev_b32_e32 v18, 20, v18
	v_or_b32_e32 v71, v67, v18
	v_mov_b32_e32 v70, v19
.LBB246_601:                            ;   in Loop: Header=BB246_331 Depth=1
	s_or_b64 exec, exec, s[20:21]
.LBB246_602:                            ;   in Loop: Header=BB246_331 Depth=1
	s_or_b64 exec, exec, s[18:19]
.LBB246_603:                            ;   in Loop: Header=BB246_331 Depth=1
	s_or_b64 exec, exec, s[16:17]
	v_lshrrev_b32_e32 v18, 16, v66
	v_pk_mov_b32 v[74:75], 0, 0
	v_cmp_ne_u16_sdwa s[0:1], v18, v19 src0_sel:BYTE_0 src1_sel:DWORD
	v_pk_mov_b32 v[72:73], v[74:75], v[74:75] op_sel:[0,1]
	s_and_saveexec_b64 s[16:17], s[0:1]
	s_cbranch_execz .LBB246_609
; %bb.604:                              ;   in Loop: Header=BB246_331 Depth=1
	v_bfrev_b32_e32 v72, 1
	v_cmp_ne_u16_sdwa s[0:1], v18, s22 src0_sel:BYTE_0 src1_sel:DWORD
	v_mov_b32_e32 v73, 0
	s_and_saveexec_b64 s[18:19], s[0:1]
	s_cbranch_execz .LBB246_608
; %bb.605:                              ;   in Loop: Header=BB246_331 Depth=1
	v_bfe_u32 v67, v66, 16, 7
	v_mov_b32_e32 v72, 0x7f800001
	v_cmp_ne_u32_e64 s[0:1], s23, v67
	v_mov_b32_e32 v73, 0
	s_and_saveexec_b64 s[20:21], s[0:1]
	s_cbranch_execz .LBB246_607
; %bb.606:                              ;   in Loop: Header=BB246_331 Depth=1
	v_and_b32_e32 v76, 7, v18
	v_ffbh_u32_e32 v72, v76
	v_min_u32_e32 v90, 32, v72
	v_subrev_u32_e32 v72, 28, v90
	v_lshlrev_b64 v[72:73], v72, v[18:19]
	v_lshrrev_b32_e32 v77, 3, v67
	v_sub_u32_e32 v73, 29, v90
	v_and_b32_e32 v72, 7, v72
	v_cmp_gt_u32_e64 s[0:1], 8, v67
	v_cndmask_b32_e64 v67, v77, v73, s[0:1]
	v_cndmask_b32_e64 v72, v76, v72, s[0:1]
	v_lshlrev_b32_e32 v72, 20, v72
	v_and_b32_sdwa v18, sext(v18), s7 dst_sel:DWORD dst_unused:UNUSED_PAD src0_sel:BYTE_0 src1_sel:DWORD
	v_lshl_add_u32 v67, v67, 23, v84
	v_or3_b32 v18, v18, v67, v72
	v_pk_mov_b32 v[72:73], v[18:19], v[18:19] op_sel:[0,1]
.LBB246_607:                            ;   in Loop: Header=BB246_331 Depth=1
	s_or_b64 exec, exec, s[20:21]
.LBB246_608:                            ;   in Loop: Header=BB246_331 Depth=1
	s_or_b64 exec, exec, s[18:19]
.LBB246_609:                            ;   in Loop: Header=BB246_331 Depth=1
	s_or_b64 exec, exec, s[16:17]
	v_cmp_lt_u32_e64 s[0:1], s28, v66
	s_and_saveexec_b64 s[16:17], s[0:1]
	s_cbranch_execz .LBB246_615
; %bb.610:                              ;   in Loop: Header=BB246_331 Depth=1
	v_cmp_ne_u32_sdwa s[0:1], v66, s22 src0_sel:BYTE_3 src1_sel:DWORD
	v_pk_mov_b32 v[74:75], s[6:7], s[6:7] op_sel:[0,1]
	s_and_saveexec_b64 s[18:19], s[0:1]
	s_cbranch_execz .LBB246_614
; %bb.611:                              ;   in Loop: Header=BB246_331 Depth=1
	v_bfe_u32 v67, v66, 24, 7
	s_mov_b32 s14, s6
	v_cmp_ne_u32_e64 s[0:1], s23, v67
	v_pk_mov_b32 v[74:75], s[14:15], s[14:15] op_sel:[0,1]
	s_and_saveexec_b64 s[20:21], s[0:1]
	s_cbranch_execz .LBB246_613
; %bb.612:                              ;   in Loop: Header=BB246_331 Depth=1
	v_and_b32_sdwa v18, v66, v85 dst_sel:DWORD dst_unused:UNUSED_PAD src0_sel:BYTE_3 src1_sel:DWORD
	v_ffbh_u32_e32 v74, v18
	v_min_u32_e32 v77, 32, v74
	v_subrev_u32_e32 v74, 28, v77
	v_lshlrev_b64 v[74:75], v74, v[18:19]
	v_lshrrev_b32_e32 v76, 3, v67
	v_sub_u32_e32 v75, 29, v77
	v_cmp_gt_u32_e64 s[0:1], 8, v67
	v_and_b32_e32 v74, 7, v74
	v_cndmask_b32_e64 v67, v76, v75, s[0:1]
	v_cndmask_b32_e64 v18, v18, v74, s[0:1]
	v_lshlrev_b32_sdwa v66, v86, v66 dst_sel:DWORD dst_unused:UNUSED_PAD src0_sel:DWORD src1_sel:BYTE_3
	v_lshl_add_u32 v67, v67, 23, v84
	v_and_or_b32 v66, v66, s7, v67
	v_lshlrev_b32_e32 v18, 20, v18
	v_or_b32_e32 v75, v66, v18
	v_mov_b32_e32 v74, v19
.LBB246_613:                            ;   in Loop: Header=BB246_331 Depth=1
	s_or_b64 exec, exec, s[20:21]
.LBB246_614:                            ;   in Loop: Header=BB246_331 Depth=1
	s_or_b64 exec, exec, s[18:19]
.LBB246_615:                            ;   in Loop: Header=BB246_331 Depth=1
	s_or_b64 exec, exec, s[16:17]
	v_or_b32_e32 v67, v71, v69
	v_or_b32_e32 v66, v70, v68
	;; [unrolled: 1-line block ×4, first 2 shown]
	v_pk_mul_f32 v[66:67], s[10:11], v[66:67]
	v_pk_mul_f32 v[68:69], s[10:11], v[68:69]
	s_and_saveexec_b64 s[16:17], vcc
; %bb.616:                              ;   in Loop: Header=BB246_331 Depth=1
	v_cmp_gt_i32_e64 s[0:1], s29, v87
	v_cndmask_b32_e64 v66, 0, v66, s[0:1]
	v_cmp_gt_i32_e64 s[0:1], s29, v89
	v_cndmask_b32_e64 v67, 0, v67, s[0:1]
	;; [unrolled: 2-line block ×4, first 2 shown]
; %bb.617:                              ;   in Loop: Header=BB246_331 Depth=1
	s_or_b64 exec, exec, s[16:17]
	global_load_dword v28, v[28:29], off offset:2816
	v_pk_mov_b32 v[72:73], 0, 0
	v_pk_mov_b32 v[70:71], v[72:73], v[72:73] op_sel:[0,1]
	s_waitcnt vmcnt(0)
	v_cmp_ne_u16_sdwa s[0:1], v28, v19 src0_sel:BYTE_0 src1_sel:DWORD
	s_and_saveexec_b64 s[16:17], s[0:1]
	s_cbranch_execz .LBB246_623
; %bb.618:                              ;   in Loop: Header=BB246_331 Depth=1
	v_bfrev_b32_e32 v70, 1
	v_cmp_ne_u16_sdwa s[0:1], v28, s22 src0_sel:BYTE_0 src1_sel:DWORD
	v_mov_b32_e32 v71, 0
	s_and_saveexec_b64 s[18:19], s[0:1]
	s_cbranch_execz .LBB246_622
; %bb.619:                              ;   in Loop: Header=BB246_331 Depth=1
	v_and_b32_e32 v18, 0x7f, v28
	v_mov_b32_e32 v70, 0x7f800001
	v_cmp_ne_u32_e64 s[0:1], s23, v18
	v_mov_b32_e32 v71, 0
	s_and_saveexec_b64 s[20:21], s[0:1]
	s_cbranch_execz .LBB246_621
; %bb.620:                              ;   in Loop: Header=BB246_331 Depth=1
	v_and_b32_e32 v29, 7, v28
	v_ffbh_u32_e32 v70, v29
	v_min_u32_e32 v75, 32, v70
	v_subrev_u32_e32 v70, 28, v75
	v_lshlrev_b64 v[70:71], v70, v[28:29]
	v_lshrrev_b32_e32 v74, 3, v18
	v_sub_u32_e32 v71, 29, v75
	v_and_b32_e32 v70, 7, v70
	v_cmp_gt_u32_e64 s[0:1], 8, v18
	v_cndmask_b32_e64 v18, v74, v71, s[0:1]
	v_cndmask_b32_e64 v29, v29, v70, s[0:1]
	v_lshlrev_b32_e32 v29, 20, v29
	v_and_b32_sdwa v70, sext(v28), s7 dst_sel:DWORD dst_unused:UNUSED_PAD src0_sel:BYTE_0 src1_sel:DWORD
	v_lshl_add_u32 v18, v18, 23, v84
	v_or3_b32 v18, v70, v18, v29
	v_pk_mov_b32 v[70:71], v[18:19], v[18:19] op_sel:[0,1]
.LBB246_621:                            ;   in Loop: Header=BB246_331 Depth=1
	s_or_b64 exec, exec, s[20:21]
.LBB246_622:                            ;   in Loop: Header=BB246_331 Depth=1
	s_or_b64 exec, exec, s[18:19]
.LBB246_623:                            ;   in Loop: Header=BB246_331 Depth=1
	s_or_b64 exec, exec, s[16:17]
	v_cmp_ne_u16_sdwa s[0:1], v28, v19 src0_sel:BYTE_1 src1_sel:DWORD
	s_and_saveexec_b64 s[16:17], s[0:1]
	s_cbranch_execz .LBB246_629
; %bb.624:                              ;   in Loop: Header=BB246_331 Depth=1
	v_cmp_ne_u16_sdwa s[0:1], v28, s22 src0_sel:BYTE_1 src1_sel:DWORD
	v_pk_mov_b32 v[72:73], s[6:7], s[6:7] op_sel:[0,1]
	s_and_saveexec_b64 s[18:19], s[0:1]
	s_cbranch_execz .LBB246_628
; %bb.625:                              ;   in Loop: Header=BB246_331 Depth=1
	v_and_b32_sdwa v29, v28, s23 dst_sel:DWORD dst_unused:UNUSED_PAD src0_sel:BYTE_1 src1_sel:DWORD
	s_mov_b32 s14, s6
	v_cmp_ne_u32_e64 s[0:1], s23, v29
	v_pk_mov_b32 v[72:73], s[14:15], s[14:15] op_sel:[0,1]
	s_and_saveexec_b64 s[20:21], s[0:1]
	s_cbranch_execz .LBB246_627
; %bb.626:                              ;   in Loop: Header=BB246_331 Depth=1
	v_and_b32_sdwa v18, v28, v85 dst_sel:DWORD dst_unused:UNUSED_PAD src0_sel:BYTE_1 src1_sel:DWORD
	v_ffbh_u32_e32 v72, v18
	v_min_u32_e32 v75, 32, v72
	v_subrev_u32_e32 v72, 28, v75
	v_lshlrev_b64 v[72:73], v72, v[18:19]
	v_lshrrev_b32_e32 v74, 3, v29
	v_sub_u32_e32 v73, 29, v75
	v_cmp_gt_u32_e64 s[0:1], 8, v29
	v_and_b32_e32 v72, 7, v72
	v_cndmask_b32_e64 v29, v74, v73, s[0:1]
	v_cndmask_b32_e64 v18, v18, v72, s[0:1]
	v_lshlrev_b32_e32 v72, 16, v28
	v_lshl_add_u32 v29, v29, 23, v84
	v_and_or_b32 v29, v72, s7, v29
	v_lshlrev_b32_e32 v18, 20, v18
	v_or_b32_e32 v73, v29, v18
	v_mov_b32_e32 v72, v19
.LBB246_627:                            ;   in Loop: Header=BB246_331 Depth=1
	s_or_b64 exec, exec, s[20:21]
.LBB246_628:                            ;   in Loop: Header=BB246_331 Depth=1
	s_or_b64 exec, exec, s[18:19]
.LBB246_629:                            ;   in Loop: Header=BB246_331 Depth=1
	s_or_b64 exec, exec, s[16:17]
	v_lshrrev_b32_e32 v18, 16, v28
	v_pk_mov_b32 v[76:77], 0, 0
	v_cmp_ne_u16_sdwa s[0:1], v18, v19 src0_sel:BYTE_0 src1_sel:DWORD
	v_pk_mov_b32 v[74:75], v[76:77], v[76:77] op_sel:[0,1]
	s_and_saveexec_b64 s[16:17], s[0:1]
	s_cbranch_execz .LBB246_635
; %bb.630:                              ;   in Loop: Header=BB246_331 Depth=1
	v_bfrev_b32_e32 v74, 1
	v_cmp_ne_u16_sdwa s[0:1], v18, s22 src0_sel:BYTE_0 src1_sel:DWORD
	v_mov_b32_e32 v75, 0
	s_and_saveexec_b64 s[18:19], s[0:1]
	s_cbranch_execz .LBB246_634
; %bb.631:                              ;   in Loop: Header=BB246_331 Depth=1
	v_bfe_u32 v29, v28, 16, 7
	v_mov_b32_e32 v74, 0x7f800001
	v_cmp_ne_u32_e64 s[0:1], s23, v29
	v_mov_b32_e32 v75, 0
	s_and_saveexec_b64 s[20:21], s[0:1]
	s_cbranch_execz .LBB246_633
; %bb.632:                              ;   in Loop: Header=BB246_331 Depth=1
	v_and_b32_e32 v90, 7, v18
	v_ffbh_u32_e32 v74, v90
	v_min_u32_e32 v92, 32, v74
	v_subrev_u32_e32 v74, 28, v92
	v_lshlrev_b64 v[74:75], v74, v[18:19]
	v_lshrrev_b32_e32 v91, 3, v29
	v_sub_u32_e32 v75, 29, v92
	v_and_b32_e32 v74, 7, v74
	v_cmp_gt_u32_e64 s[0:1], 8, v29
	v_cndmask_b32_e64 v29, v91, v75, s[0:1]
	v_cndmask_b32_e64 v74, v90, v74, s[0:1]
	v_lshlrev_b32_e32 v74, 20, v74
	v_and_b32_sdwa v18, sext(v18), s7 dst_sel:DWORD dst_unused:UNUSED_PAD src0_sel:BYTE_0 src1_sel:DWORD
	v_lshl_add_u32 v29, v29, 23, v84
	v_or3_b32 v18, v18, v29, v74
	v_pk_mov_b32 v[74:75], v[18:19], v[18:19] op_sel:[0,1]
.LBB246_633:                            ;   in Loop: Header=BB246_331 Depth=1
	s_or_b64 exec, exec, s[20:21]
.LBB246_634:                            ;   in Loop: Header=BB246_331 Depth=1
	s_or_b64 exec, exec, s[18:19]
.LBB246_635:                            ;   in Loop: Header=BB246_331 Depth=1
	s_or_b64 exec, exec, s[16:17]
	v_cmp_lt_u32_e64 s[0:1], s28, v28
	s_and_saveexec_b64 s[16:17], s[0:1]
	s_cbranch_execz .LBB246_641
; %bb.636:                              ;   in Loop: Header=BB246_331 Depth=1
	v_cmp_ne_u32_sdwa s[0:1], v28, s22 src0_sel:BYTE_3 src1_sel:DWORD
	v_pk_mov_b32 v[76:77], s[6:7], s[6:7] op_sel:[0,1]
	s_and_saveexec_b64 s[18:19], s[0:1]
	s_cbranch_execz .LBB246_640
; %bb.637:                              ;   in Loop: Header=BB246_331 Depth=1
	v_bfe_u32 v29, v28, 24, 7
	s_mov_b32 s14, s6
	v_cmp_ne_u32_e64 s[0:1], s23, v29
	v_pk_mov_b32 v[76:77], s[14:15], s[14:15] op_sel:[0,1]
	s_and_saveexec_b64 s[20:21], s[0:1]
	s_cbranch_execz .LBB246_639
; %bb.638:                              ;   in Loop: Header=BB246_331 Depth=1
	v_and_b32_sdwa v18, v28, v85 dst_sel:DWORD dst_unused:UNUSED_PAD src0_sel:BYTE_3 src1_sel:DWORD
	v_ffbh_u32_e32 v76, v18
	v_min_u32_e32 v91, 32, v76
	v_subrev_u32_e32 v76, 28, v91
	v_lshlrev_b64 v[76:77], v76, v[18:19]
	v_lshrrev_b32_e32 v90, 3, v29
	v_sub_u32_e32 v77, 29, v91
	v_cmp_gt_u32_e64 s[0:1], 8, v29
	v_and_b32_e32 v76, 7, v76
	v_cndmask_b32_e64 v29, v90, v77, s[0:1]
	v_cndmask_b32_e64 v18, v18, v76, s[0:1]
	v_lshlrev_b32_sdwa v28, v86, v28 dst_sel:DWORD dst_unused:UNUSED_PAD src0_sel:DWORD src1_sel:BYTE_3
	v_lshl_add_u32 v29, v29, 23, v84
	v_and_or_b32 v28, v28, s7, v29
	v_lshlrev_b32_e32 v18, 20, v18
	v_or_b32_e32 v77, v28, v18
	v_mov_b32_e32 v76, v19
.LBB246_639:                            ;   in Loop: Header=BB246_331 Depth=1
	s_or_b64 exec, exec, s[20:21]
.LBB246_640:                            ;   in Loop: Header=BB246_331 Depth=1
	s_or_b64 exec, exec, s[18:19]
.LBB246_641:                            ;   in Loop: Header=BB246_331 Depth=1
	s_or_b64 exec, exec, s[16:17]
	v_or_b32_e32 v29, v73, v71
	v_or_b32_e32 v28, v72, v70
	;; [unrolled: 1-line block ×4, first 2 shown]
	v_pk_mul_f32 v[28:29], s[10:11], v[28:29]
	v_pk_mul_f32 v[70:71], s[10:11], v[70:71]
	s_and_saveexec_b64 s[0:1], vcc
	s_cbranch_execz .LBB246_330
; %bb.642:                              ;   in Loop: Header=BB246_331 Depth=1
	v_cmp_gt_i32_e32 vcc, s29, v87
	v_cndmask_b32_e32 v28, 0, v28, vcc
	v_cmp_gt_i32_e32 vcc, s29, v89
	v_cndmask_b32_e32 v29, 0, v29, vcc
	v_cmp_gt_i32_e32 vcc, s29, v88
	v_cndmask_b32_e32 v70, 0, v70, vcc
	v_cmp_gt_i32_e32 vcc, s29, v82
	v_cndmask_b32_e32 v71, 0, v71, vcc
	s_branch .LBB246_330
.LBB246_643:
	s_or_b64 exec, exec, s[12:13]
.LBB246_644:
	s_or_b64 exec, exec, s[4:5]
	ds_bpermute_b32 v2, v78, v16
	ds_bpermute_b32 v3, v78, v17
	;; [unrolled: 1-line block ×6, first 2 shown]
	s_waitcnt lgkmcnt(4)
	v_pk_add_f32 v[2:3], v[16:17], v[2:3]
	ds_bpermute_b32 v16, v79, v2
	ds_bpermute_b32 v17, v79, v3
	s_waitcnt lgkmcnt(4)
	v_pk_add_f32 v[12:13], v[12:13], v[18:19]
	ds_bpermute_b32 v20, v78, v8
	ds_bpermute_b32 v21, v78, v9
	s_waitcnt lgkmcnt(4)
	v_pk_add_f32 v[4:5], v[14:15], v[4:5]
	s_waitcnt lgkmcnt(2)
	v_pk_add_f32 v[2:3], v[2:3], v[16:17]
	ds_bpermute_b32 v16, v80, v2
	ds_bpermute_b32 v17, v80, v3
	ds_bpermute_b32 v18, v79, v12
	ds_bpermute_b32 v19, v79, v13
	ds_bpermute_b32 v22, v78, v6
	ds_bpermute_b32 v23, v78, v7
	s_waitcnt lgkmcnt(4)
	v_pk_add_f32 v[2:3], v[2:3], v[16:17]
	ds_bpermute_b32 v16, v78, v10
	ds_bpermute_b32 v17, v78, v11
	;; [unrolled: 1-line block ×4, first 2 shown]
	v_pk_add_f32 v[8:9], v[8:9], v[20:21]
	s_waitcnt lgkmcnt(6)
	v_pk_add_f32 v[12:13], v[12:13], v[18:19]
	s_waitcnt lgkmcnt(2)
	v_pk_add_f32 v[10:11], v[10:11], v[16:17]
	ds_bpermute_b32 v16, v79, v10
	ds_bpermute_b32 v17, v79, v11
	v_pk_add_f32 v[22:23], v[6:7], v[22:23]
	s_waitcnt lgkmcnt(2)
	v_pk_add_f32 v[4:5], v[4:5], v[14:15]
	ds_bpermute_b32 v18, v80, v12
	ds_bpermute_b32 v19, v80, v13
	s_waitcnt lgkmcnt(2)
	v_pk_add_f32 v[16:17], v[10:11], v[16:17]
	ds_bpermute_b32 v10, v79, v8
	ds_bpermute_b32 v11, v79, v9
	;; [unrolled: 1-line block ×8, first 2 shown]
	s_waitcnt lgkmcnt(6)
	v_pk_add_f32 v[24:25], v[8:9], v[10:11]
	ds_bpermute_b32 v26, v80, v24
	ds_bpermute_b32 v27, v80, v25
	v_pk_add_f32 v[8:9], v[12:13], v[18:19]
	s_waitcnt lgkmcnt(6)
	v_pk_add_f32 v[12:13], v[22:23], v[28:29]
	s_waitcnt lgkmcnt(4)
	v_pk_add_f32 v[10:11], v[4:5], v[14:15]
	ds_bpermute_b32 v14, v80, v12
	ds_bpermute_b32 v15, v80, v13
	s_waitcnt lgkmcnt(4)
	v_pk_add_f32 v[6:7], v[16:17], v[20:21]
	v_and_b32_e32 v16, 0x3c7, v0
	s_waitcnt lgkmcnt(2)
	v_pk_add_f32 v[4:5], v[24:25], v[26:27]
	v_cmp_ne_u32_e32 vcc, 64, v16
	s_waitcnt lgkmcnt(0)
	s_barrier
	s_and_saveexec_b64 s[0:1], vcc
	s_xor_b64 s[0:1], exec, s[0:1]
; %bb.645:
                                        ; implicit-def: $vgpr1
; %bb.646:
	s_or_saveexec_b64 s[0:1], s[0:1]
	v_pk_add_f32 v[12:13], v[12:13], v[14:15]
	s_xor_b64 exec, exec, s[0:1]
	s_cbranch_execz .LBB246_648
; %bb.647:
	v_lshrrev_b32_e32 v1, 1, v1
	v_add_u32_e32 v1, 0x190, v1
	ds_write2_b32 v1, v2, v3 offset1:8
	ds_write2_b32 v1, v10, v11 offset0:16 offset1:24
	ds_write2_b32 v1, v8, v9 offset0:32 offset1:40
	;; [unrolled: 1-line block ×5, first 2 shown]
.LBB246_648:
	s_or_b64 exec, exec, s[0:1]
	v_cmp_gt_u32_e32 vcc, 64, v0
	s_waitcnt lgkmcnt(0)
	s_barrier
	s_and_saveexec_b64 s[0:1], vcc
	s_cbranch_execz .LBB246_663
; %bb.649:
	v_cmp_eq_u32_e32 vcc, 0, v81
	v_lshrrev_b32_e32 v1, 3, v0
	s_and_saveexec_b64 s[4:5], vcc
	s_cbranch_execnz .LBB246_666
; %bb.650:
	s_or_b64 exec, exec, s[4:5]
	s_and_saveexec_b64 s[4:5], vcc
	s_cbranch_execnz .LBB246_667
.LBB246_651:
	s_or_b64 exec, exec, s[4:5]
	s_and_saveexec_b64 s[4:5], vcc
	s_cbranch_execnz .LBB246_668
.LBB246_652:
	s_or_b64 exec, exec, s[4:5]
	s_and_saveexec_b64 s[4:5], vcc
	s_cbranch_execnz .LBB246_669
.LBB246_653:
	s_or_b64 exec, exec, s[4:5]
	s_and_saveexec_b64 s[4:5], vcc
	s_cbranch_execnz .LBB246_670
.LBB246_654:
	s_or_b64 exec, exec, s[4:5]
	s_and_saveexec_b64 s[4:5], vcc
	s_cbranch_execnz .LBB246_671
.LBB246_655:
	s_or_b64 exec, exec, s[4:5]
	s_and_saveexec_b64 s[4:5], vcc
	s_cbranch_execnz .LBB246_672
.LBB246_656:
	s_or_b64 exec, exec, s[4:5]
	s_and_saveexec_b64 s[4:5], vcc
	s_cbranch_execnz .LBB246_673
.LBB246_657:
	s_or_b64 exec, exec, s[4:5]
	s_and_saveexec_b64 s[4:5], vcc
	s_cbranch_execnz .LBB246_674
.LBB246_658:
	s_or_b64 exec, exec, s[4:5]
	s_and_saveexec_b64 s[4:5], vcc
	s_cbranch_execnz .LBB246_675
.LBB246_659:
	s_or_b64 exec, exec, s[4:5]
	s_and_saveexec_b64 s[4:5], vcc
	s_cbranch_execnz .LBB246_676
.LBB246_660:
	s_or_b64 exec, exec, s[4:5]
	s_and_saveexec_b64 s[4:5], vcc
	s_cbranch_execz .LBB246_662
.LBB246_661:
	v_mov_b32_e32 v14, 0x190
	v_lshl_add_u32 v1, v1, 2, v14
	ds_read_b32 v1, v1 offset:352
	s_waitcnt lgkmcnt(0)
	v_add_f32_e32 v13, v13, v1
.LBB246_662:
	s_or_b64 exec, exec, s[4:5]
.LBB246_663:
	s_or_b64 exec, exec, s[0:1]
	v_cmp_eq_u32_e32 vcc, 0, v16
	s_barrier
	s_and_saveexec_b64 s[0:1], vcc
	s_cbranch_execz .LBB246_665
; %bb.664:
	s_mul_i32 s0, s2, 0x60
	s_ashr_i32 s1, s0, 31
	s_lshl_b64 s[0:1], s[0:1], 2
	s_add_u32 s2, s26, s0
	s_mul_i32 s0, s25, s24
	s_addc_u32 s3, s27, s1
	s_ashr_i32 s1, s0, 31
	s_lshl_b64 s[0:1], s[0:1], 2
	s_add_u32 s2, s2, s0
	s_mul_i32 s0, s8, 0x60
	s_addc_u32 s3, s3, s1
	s_ashr_i32 s1, s0, 31
	s_lshl_b64 s[0:1], s[0:1], 2
	s_add_u32 s0, s2, s0
	s_addc_u32 s1, s3, s1
	v_lshrrev_b32_e32 v0, 1, v0
	global_store_dword v0, v2, s[0:1]
	global_store_dword v0, v3, s[0:1] offset:32
	global_store_dword v0, v10, s[0:1] offset:64
	;; [unrolled: 1-line block ×11, first 2 shown]
.LBB246_665:
	s_endpgm
.LBB246_666:
	v_mov_b32_e32 v14, 0x190
	v_lshl_add_u32 v14, v1, 2, v14
	ds_read_b32 v14, v14
	s_waitcnt lgkmcnt(0)
	v_add_f32_e32 v2, v2, v14
	s_or_b64 exec, exec, s[4:5]
	s_and_saveexec_b64 s[4:5], vcc
	s_cbranch_execz .LBB246_651
.LBB246_667:
	v_mov_b32_e32 v14, 0x190
	v_lshl_add_u32 v14, v1, 2, v14
	ds_read_b32 v14, v14 offset:32
	s_waitcnt lgkmcnt(0)
	v_add_f32_e32 v3, v3, v14
	s_or_b64 exec, exec, s[4:5]
	s_and_saveexec_b64 s[4:5], vcc
	s_cbranch_execz .LBB246_652
.LBB246_668:
	v_mov_b32_e32 v14, 0x190
	v_lshl_add_u32 v14, v1, 2, v14
	ds_read_b32 v14, v14 offset:64
	s_waitcnt lgkmcnt(0)
	v_add_f32_e32 v10, v10, v14
	s_or_b64 exec, exec, s[4:5]
	s_and_saveexec_b64 s[4:5], vcc
	s_cbranch_execz .LBB246_653
.LBB246_669:
	v_mov_b32_e32 v14, 0x190
	v_lshl_add_u32 v14, v1, 2, v14
	ds_read_b32 v14, v14 offset:96
	s_waitcnt lgkmcnt(0)
	v_add_f32_e32 v11, v11, v14
	s_or_b64 exec, exec, s[4:5]
	s_and_saveexec_b64 s[4:5], vcc
	s_cbranch_execz .LBB246_654
.LBB246_670:
	v_mov_b32_e32 v14, 0x190
	v_lshl_add_u32 v14, v1, 2, v14
	ds_read_b32 v14, v14 offset:128
	s_waitcnt lgkmcnt(0)
	v_add_f32_e32 v8, v8, v14
	s_or_b64 exec, exec, s[4:5]
	s_and_saveexec_b64 s[4:5], vcc
	s_cbranch_execz .LBB246_655
.LBB246_671:
	v_mov_b32_e32 v14, 0x190
	v_lshl_add_u32 v14, v1, 2, v14
	ds_read_b32 v14, v14 offset:160
	s_waitcnt lgkmcnt(0)
	v_add_f32_e32 v9, v9, v14
	s_or_b64 exec, exec, s[4:5]
	s_and_saveexec_b64 s[4:5], vcc
	s_cbranch_execz .LBB246_656
.LBB246_672:
	v_mov_b32_e32 v14, 0x190
	v_lshl_add_u32 v14, v1, 2, v14
	ds_read_b32 v14, v14 offset:192
	s_waitcnt lgkmcnt(0)
	v_add_f32_e32 v6, v6, v14
	s_or_b64 exec, exec, s[4:5]
	s_and_saveexec_b64 s[4:5], vcc
	s_cbranch_execz .LBB246_657
.LBB246_673:
	v_mov_b32_e32 v14, 0x190
	v_lshl_add_u32 v14, v1, 2, v14
	ds_read_b32 v14, v14 offset:224
	s_waitcnt lgkmcnt(0)
	v_add_f32_e32 v7, v7, v14
	s_or_b64 exec, exec, s[4:5]
	s_and_saveexec_b64 s[4:5], vcc
	s_cbranch_execz .LBB246_658
.LBB246_674:
	v_mov_b32_e32 v14, 0x190
	v_lshl_add_u32 v14, v1, 2, v14
	ds_read_b32 v14, v14 offset:256
	s_waitcnt lgkmcnt(0)
	v_add_f32_e32 v4, v4, v14
	s_or_b64 exec, exec, s[4:5]
	s_and_saveexec_b64 s[4:5], vcc
	s_cbranch_execz .LBB246_659
.LBB246_675:
	v_mov_b32_e32 v14, 0x190
	v_lshl_add_u32 v14, v1, 2, v14
	ds_read_b32 v14, v14 offset:288
	s_waitcnt lgkmcnt(0)
	v_add_f32_e32 v5, v5, v14
	s_or_b64 exec, exec, s[4:5]
	s_and_saveexec_b64 s[4:5], vcc
	s_cbranch_execz .LBB246_660
.LBB246_676:
	v_mov_b32_e32 v14, 0x190
	v_lshl_add_u32 v14, v1, 2, v14
	ds_read_b32 v14, v14 offset:320
	s_waitcnt lgkmcnt(0)
	v_add_f32_e32 v12, v12, v14
	s_or_b64 exec, exec, s[4:5]
	s_and_saveexec_b64 s[4:5], vcc
	s_cbranch_execnz .LBB246_661
	s_branch .LBB246_662
	.section	.rodata,"a",@progbits
	.p2align	6, 0x0
	.amdhsa_kernel _ZN4vllm25paged_attention_v2_kernelIfhLi96ELi32ELi128ELNS_18Fp8KVCacheDataTypeE1ELb0ELi512EEEvPfS2_PT_PKS3_PKT0_S9_ifPKiSB_iPKfiiiSD_SD_iiiii
		.amdhsa_group_segment_fixed_size 400
		.amdhsa_private_segment_fixed_size 168
		.amdhsa_kernarg_size 400
		.amdhsa_user_sgpr_count 6
		.amdhsa_user_sgpr_private_segment_buffer 1
		.amdhsa_user_sgpr_dispatch_ptr 0
		.amdhsa_user_sgpr_queue_ptr 0
		.amdhsa_user_sgpr_kernarg_segment_ptr 1
		.amdhsa_user_sgpr_dispatch_id 0
		.amdhsa_user_sgpr_flat_scratch_init 0
		.amdhsa_user_sgpr_kernarg_preload_length 0
		.amdhsa_user_sgpr_kernarg_preload_offset 0
		.amdhsa_user_sgpr_private_segment_size 0
		.amdhsa_uses_dynamic_stack 0
		.amdhsa_system_sgpr_private_segment_wavefront_offset 1
		.amdhsa_system_sgpr_workgroup_id_x 1
		.amdhsa_system_sgpr_workgroup_id_y 1
		.amdhsa_system_sgpr_workgroup_id_z 1
		.amdhsa_system_sgpr_workgroup_info 0
		.amdhsa_system_vgpr_workitem_id 0
		.amdhsa_next_free_vgpr 128
		.amdhsa_next_free_sgpr 60
		.amdhsa_accum_offset 128
		.amdhsa_reserve_vcc 1
		.amdhsa_reserve_flat_scratch 0
		.amdhsa_float_round_mode_32 0
		.amdhsa_float_round_mode_16_64 0
		.amdhsa_float_denorm_mode_32 3
		.amdhsa_float_denorm_mode_16_64 3
		.amdhsa_dx10_clamp 1
		.amdhsa_ieee_mode 1
		.amdhsa_fp16_overflow 0
		.amdhsa_tg_split 0
		.amdhsa_exception_fp_ieee_invalid_op 0
		.amdhsa_exception_fp_denorm_src 0
		.amdhsa_exception_fp_ieee_div_zero 0
		.amdhsa_exception_fp_ieee_overflow 0
		.amdhsa_exception_fp_ieee_underflow 0
		.amdhsa_exception_fp_ieee_inexact 0
		.amdhsa_exception_int_div_zero 0
	.end_amdhsa_kernel
	.section	.text._ZN4vllm25paged_attention_v2_kernelIfhLi96ELi32ELi128ELNS_18Fp8KVCacheDataTypeE1ELb0ELi512EEEvPfS2_PT_PKS3_PKT0_S9_ifPKiSB_iPKfiiiSD_SD_iiiii,"axG",@progbits,_ZN4vllm25paged_attention_v2_kernelIfhLi96ELi32ELi128ELNS_18Fp8KVCacheDataTypeE1ELb0ELi512EEEvPfS2_PT_PKS3_PKT0_S9_ifPKiSB_iPKfiiiSD_SD_iiiii,comdat
.Lfunc_end246:
	.size	_ZN4vllm25paged_attention_v2_kernelIfhLi96ELi32ELi128ELNS_18Fp8KVCacheDataTypeE1ELb0ELi512EEEvPfS2_PT_PKS3_PKT0_S9_ifPKiSB_iPKfiiiSD_SD_iiiii, .Lfunc_end246-_ZN4vllm25paged_attention_v2_kernelIfhLi96ELi32ELi128ELNS_18Fp8KVCacheDataTypeE1ELb0ELi512EEEvPfS2_PT_PKS3_PKT0_S9_ifPKiSB_iPKfiiiSD_SD_iiiii
                                        ; -- End function
	.section	.AMDGPU.csdata,"",@progbits
; Kernel info:
; codeLenInByte = 26200
; NumSgprs: 64
; NumVgprs: 128
; NumAgprs: 0
; TotalNumVgprs: 128
; ScratchSize: 168
; MemoryBound: 0
; FloatMode: 240
; IeeeMode: 1
; LDSByteSize: 400 bytes/workgroup (compile time only)
; SGPRBlocks: 7
; VGPRBlocks: 15
; NumSGPRsForWavesPerEU: 64
; NumVGPRsForWavesPerEU: 128
; AccumOffset: 128
; Occupancy: 4
; WaveLimiterHint : 1
; COMPUTE_PGM_RSRC2:SCRATCH_EN: 1
; COMPUTE_PGM_RSRC2:USER_SGPR: 6
; COMPUTE_PGM_RSRC2:TRAP_HANDLER: 0
; COMPUTE_PGM_RSRC2:TGID_X_EN: 1
; COMPUTE_PGM_RSRC2:TGID_Y_EN: 1
; COMPUTE_PGM_RSRC2:TGID_Z_EN: 1
; COMPUTE_PGM_RSRC2:TIDIG_COMP_CNT: 0
; COMPUTE_PGM_RSRC3_GFX90A:ACCUM_OFFSET: 31
; COMPUTE_PGM_RSRC3_GFX90A:TG_SPLIT: 0
	.text
	.p2align	2                               ; -- Begin function _ZN4vllm22paged_attention_kernelIfhLi112ELi32ELi128ELNS_18Fp8KVCacheDataTypeE1ELb0ELi512EEEvPfS2_PT_PKS3_PKT0_S9_ifPKiSB_iPKfiiiSD_SD_iiiii
	.type	_ZN4vllm22paged_attention_kernelIfhLi112ELi32ELi128ELNS_18Fp8KVCacheDataTypeE1ELb0ELi512EEEvPfS2_PT_PKS3_PKT0_S9_ifPKiSB_iPKfiiiSD_SD_iiiii,@function
_ZN4vllm22paged_attention_kernelIfhLi112ELi32ELi128ELNS_18Fp8KVCacheDataTypeE1ELb0ELi512EEEvPfS2_PT_PKS3_PKT0_S9_ifPKiSB_iPKfiiiSD_SD_iiiii: ; @_ZN4vllm22paged_attention_kernelIfhLi112ELi32ELi128ELNS_18Fp8KVCacheDataTypeE1ELb0ELi512EEEvPfS2_PT_PKS3_PKT0_S9_ifPKiSB_iPKfiiiSD_SD_iiiii
; %bb.0:
	s_waitcnt vmcnt(0) expcnt(0) lgkmcnt(0)
	s_or_saveexec_b64 s[4:5], -1
	buffer_store_dword v63, off, s[0:3], s32 offset:564 ; 4-byte Folded Spill
	s_mov_b64 exec, s[4:5]
	buffer_store_dword v40, off, s[0:3], s32 offset:184 ; 4-byte Folded Spill
	buffer_store_dword v41, off, s[0:3], s32 offset:180 ; 4-byte Folded Spill
	;; [unrolled: 1-line block ×46, first 2 shown]
	buffer_store_dword a63, off, s[0:3], s32 ; 4-byte Folded Spill
	v_writelane_b32 v63, s34, 0
	v_writelane_b32 v63, s35, 1
	v_writelane_b32 v63, s36, 2
	v_writelane_b32 v63, s37, 3
	v_writelane_b32 v63, s38, 4
	v_writelane_b32 v63, s39, 5
	v_writelane_b32 v63, s40, 6
	v_writelane_b32 v63, s41, 7
	v_writelane_b32 v63, s30, 8
	v_writelane_b32 v63, s31, 9
	s_mov_b32 s22, s13
	s_ashr_i32 s23, s13, 31
	s_lshl_b64 s[4:5], s[22:23], 2
	buffer_store_dword v24, off, s[0:3], s32 offset:216 ; 4-byte Folded Spill
	s_nop 0
	buffer_store_dword v25, off, s[0:3], s32 offset:220 ; 4-byte Folded Spill
	buffer_store_dword v22, off, s[0:3], s32 offset:196 ; 4-byte Folded Spill
	s_nop 0
	buffer_store_dword v23, off, s[0:3], s32 offset:200 ; 4-byte Folded Spill
	buffer_store_dword v5, off, s[0:3], s32 offset:484 ; 4-byte Folded Spill
	;; [unrolled: 1-line block ×3, first 2 shown]
	v_mov_b32_e32 v5, s5
	v_add_co_u32_e32 v4, vcc, s4, v16
	v_addc_co_u32_e32 v5, vcc, v17, v5, vcc
	flat_load_dword v62, v[4:5]
	s_lshl_b32 s23, s14, 9
	v_mov_b32_e32 v25, v20
	v_mov_b32_e32 v24, v19
	;; [unrolled: 1-line block ×3, first 2 shown]
	v_accvgpr_write_b32 a63, v13
	s_waitcnt vmcnt(0) lgkmcnt(0)
	v_cmp_lt_i32_e32 vcc, s23, v62
	s_and_saveexec_b64 s[16:17], vcc
	s_cbranch_execz .LBB247_767
; %bb.1:
	v_sub_u32_e32 v4, 0, v12
	v_max_i32_e32 v4, v12, v4
	v_cvt_f32_u32_e32 v5, v4
	s_load_dword s4, s[8:9], 0x10
	s_load_dword s6, s[8:9], 0x0
	v_sub_u32_e32 v13, 0, v4
	s_mov_b32 s18, s15
	v_rcp_iflag_f32_e32 v5, v5
	s_waitcnt lgkmcnt(0)
	s_lshr_b32 s4, s4, 16
	s_cmp_lg_u32 s4, 0
	s_cselect_b64 s[4:5], -1, 0
	v_mul_f32_e32 v5, 0x4f7ffffe, v5
	v_cvt_u32_f32_e32 v5, v5
	s_cmp_lg_u64 s[4:5], 0
	s_addc_u32 s15, s6, 0
	s_abs_i32 s4, s15
	v_mul_lo_u32 v13, v13, v5
	v_mul_hi_u32 v13, v5, v13
	v_add_u32_e32 v5, v5, v13
	v_mul_hi_u32 v5, s4, v5
	v_mul_lo_u32 v13, v5, v4
	v_sub_u32_e32 v13, s4, v13
	v_add_u32_e32 v14, 1, v5
	v_cmp_ge_u32_e32 vcc, v13, v4
	v_cndmask_b32_e32 v5, v5, v14, vcc
	v_sub_u32_e32 v14, v13, v4
	v_cndmask_b32_e32 v13, v13, v14, vcc
	v_xor_b32_e32 v12, s15, v12
	v_add_u32_e32 v14, 1, v5
	v_cmp_ge_u32_e32 vcc, v13, v4
	v_ashrrev_i32_e32 v12, 31, v12
	v_cndmask_b32_e32 v4, v5, v14, vcc
	v_xor_b32_e32 v4, v4, v12
	v_sub_u32_e32 v12, v4, v12
	v_sub_u32_e32 v4, 0, v12
	v_max_i32_e32 v13, v12, v4
	v_cvt_f32_u32_e32 v4, v13
	v_sub_u32_e32 v5, 0, v13
	s_abs_i32 s6, s12
	v_cmp_ne_u64_e32 vcc, 0, v[24:25]
	v_rcp_iflag_f32_e32 v4, v4
	v_mul_f32_e32 v4, 0x4f7ffffe, v4
	v_cvt_u32_f32_e32 v4, v4
	v_mul_lo_u32 v5, v5, v4
	v_mul_hi_u32 v5, v4, v5
	v_add_u32_e32 v4, v4, v5
	v_mad_u64_u32 v[4:5], s[4:5], s6, v4, 0
	v_mov_b32_e32 v4, 0
	buffer_store_dword v4, off, s[0:3], s32 offset:472 ; 4-byte Folded Spill
	s_and_saveexec_b64 s[4:5], vcc
	s_cbranch_execz .LBB247_3
; %bb.2:
	s_ashr_i32 s13, s12, 31
	s_lshl_b64 s[10:11], s[12:13], 2
	v_mov_b32_e32 v4, s11
	v_add_co_u32_e32 v16, vcc, s10, v24
	v_addc_co_u32_e32 v17, vcc, v25, v4, vcc
	flat_load_dword v4, v[16:17]
	s_waitcnt vmcnt(0) lgkmcnt(0)
	buffer_store_dword v4, off, s[0:3], s32 offset:472 ; 4-byte Folded Spill
.LBB247_3:
	s_or_b64 exec, exec, s[4:5]
	v_and_b32_e32 v16, 0x3ff, v31
	s_ashr_i32 s7, s12, 31
	v_ashrrev_i32_e32 v4, 31, v12
	v_and_b32_e32 v12, 1, v16
	s_mul_i32 s20, s12, 0x70
	v_cmp_gt_u32_e32 vcc, 56, v16
	v_lshlrev_b32_e32 v32, 2, v16
	s_and_saveexec_b64 s[4:5], vcc
	s_cbranch_execz .LBB247_5
; %bb.4:
	v_mul_lo_u32 v20, s22, v21
	v_ashrrev_i32_e32 v21, 31, v20
	v_lshlrev_b64 v[20:21], 2, v[20:21]
	v_add_co_u32_e32 v6, vcc, v6, v20
	s_ashr_i32 s21, s20, 31
	v_addc_co_u32_e32 v7, vcc, v7, v21, vcc
	s_lshl_b64 s[10:11], s[20:21], 2
	v_mov_b32_e32 v14, s11
	v_add_co_u32_e32 v6, vcc, s10, v6
	v_addc_co_u32_e32 v7, vcc, v7, v14, vcc
	v_lshlrev_b32_e32 v14, 3, v16
	v_add_co_u32_e32 v6, vcc, v6, v14
	v_addc_co_u32_e32 v7, vcc, 0, v7, vcc
	flat_load_dwordx2 v[6:7], v[6:7]
	v_and_b32_e32 v14, 0xff8, v32
	s_movk_i32 s10, 0xe0
	v_mad_u32_u24 v14, v12, s10, v14
	s_waitcnt vmcnt(0) lgkmcnt(0)
	ds_write_b64 v14, v[6:7]
.LBB247_5:
	s_or_b64 exec, exec, s[4:5]
	v_add_u32_e32 v6, 31, v62
	v_ashrrev_i32_e32 v7, 31, v6
	v_lshrrev_b32_e32 v7, 27, v7
	v_add_u32_e32 v6, v6, v7
	v_ashrrev_i32_e32 v33, 5, v6
	v_mul_lo_u32 v6, v5, v13
	v_sub_u32_e32 v6, s6, v6
	v_add_u32_e32 v7, 1, v5
	v_cmp_ge_u32_e32 vcc, v6, v13
	v_cndmask_b32_e32 v5, v5, v7, vcc
	v_sub_u32_e32 v7, v6, v13
	v_cndmask_b32_e32 v6, v6, v7, vcc
	v_add_u32_e32 v7, 1, v5
	v_cmp_ge_u32_e32 vcc, v6, v13
	s_lshl_b32 s21, s14, 4
	v_xor_b32_e32 v4, s7, v4
	v_cndmask_b32_e32 v5, v5, v7, vcc
	s_add_i32 s4, s21, 16
	v_lshrrev_b32_e32 v25, 6, v16
	v_xor_b32_e32 v5, v5, v4
	v_min_i32_e32 v14, s4, v33
	v_sub_u32_e32 v7, v5, v4
	v_mul_lo_u32 v4, s22, v18
	v_or_b32_e32 v6, s21, v25
	buffer_store_dword v16, off, s[0:3], s32 offset:476 ; 4-byte Folded Spill
	v_ashrrev_i32_e32 v5, 31, v4
	v_cmp_lt_i32_e64 s[4:5], v6, v14
	v_mov_b32_e32 v16, v6
	v_cmp_ge_i32_e32 vcc, v6, v14
	v_mbcnt_lo_u32_b32 v6, -1, 0
	s_waitcnt lgkmcnt(0)
	s_barrier
	buffer_store_dword v14, off, s[0:3], s32 offset:204 ; 4-byte Folded Spill
                                        ; implicit-def: $sgpr19
                                        ; implicit-def: $vgpr14
                                        ; implicit-def: $vgpr13
	s_and_saveexec_b64 s[6:7], vcc
	s_xor_b64 s[6:7], exec, s[6:7]
	s_cbranch_execz .LBB247_7
; %bb.6:
	v_mbcnt_hi_u32_b32 v14, -1, v6
	v_and_b32_e32 v6, 64, v14
	v_add_u32_e32 v13, 64, v6
                                        ; implicit-def: $vgpr6
                                        ; kill: killed $vgpr6
                                        ; implicit-def: $vgpr6
	s_mov_b32 s19, 0xff7fffff
	buffer_store_dword v6, off, s[0:3], s32 offset:216 ; 4-byte Folded Spill
	s_nop 0
	buffer_store_dword v7, off, s[0:3], s32 offset:220 ; 4-byte Folded Spill
                                        ; implicit-def: $agpr63
                                        ; implicit-def: $vgpr8
                                        ; implicit-def: $vgpr9
                                        ; implicit-def: $vgpr12
                                        ; implicit-def: $vgpr6
.LBB247_7:
	s_or_saveexec_b64 s[10:11], s[6:7]
	s_load_dword s40, s[8:9], 0x14
	s_load_dword s13, s[8:9], 0x8
	v_mul_lo_u32 v34, v7, v23
	v_mov_b32_e32 v18, s19
	v_ashrrev_i32_e32 v17, 31, v16
	v_ashrrev_i32_e32 v35, 31, v34
	v_lshlrev_b64 v[4:5], 2, v[4:5]
	buffer_store_dword v16, off, s[0:3], s32 offset:188 ; 4-byte Folded Spill
	s_nop 0
	buffer_store_dword v17, off, s[0:3], s32 offset:192 ; 4-byte Folded Spill
	buffer_store_dword v4, off, s[0:3], s32 offset:488 ; 4-byte Folded Spill
	s_nop 0
	buffer_store_dword v5, off, s[0:3], s32 offset:492 ; 4-byte Folded Spill
	s_xor_b64 exec, exec, s[10:11]
	s_cbranch_execz .LBB247_349
; %bb.8:
	buffer_store_dword v33, off, s[0:3], s32 offset:508 ; 4-byte Folded Spill
	buffer_store_dword v32, off, s[0:3], s32 offset:496 ; 4-byte Folded Spill
	;; [unrolled: 1-line block ×3, first 2 shown]
	s_nop 0
	buffer_store_dword v27, off, s[0:3], s32 offset:536 ; 4-byte Folded Spill
	buffer_store_dword v2, off, s[0:3], s32 offset:524 ; 4-byte Folded Spill
	;; [unrolled: 1-line block ×7, first 2 shown]
	buffer_load_dword v0, off, s[0:3], s32 offset:476 ; 4-byte Folded Reload
	v_mbcnt_hi_u32_b32 v4, -1, v6
	buffer_store_dword v34, off, s[0:3], s32 offset:500 ; 4-byte Folded Spill
	buffer_store_dword v35, off, s[0:3], s32 offset:504 ; 4-byte Folded Spill
	s_ashr_i32 s19, s18, 31
	s_lshl_b64 s[26:27], s[18:19], 2
	s_getpc_b64 s[28:29]
	s_add_u32 s28, s28, llvm.amdgcn.dynlds.offset.table@rel32@lo+4
	s_addc_u32 s29, s29, llvm.amdgcn.dynlds.offset.table@rel32@hi+12
	s_mov_b32 s24, 0
	s_add_u32 s26, s26, s28
	s_brev_b32 s25, 1
	v_mov_b32_e32 v39, 0
	v_cmp_eq_u32_e64 s[6:7], 0, v12
	s_addc_u32 s27, s27, s29
	s_mov_b64 s[28:29], 0
	s_movk_i32 s19, 0x80
	s_movk_i32 s41, 0x7f
	s_mov_b32 s31, 0x7f800001
	s_waitcnt vmcnt(2)
	v_bfe_u32 v2, v0, 1, 5
	v_add_co_u32_e32 v0, vcc, v8, v34
	v_addc_co_u32_e32 v1, vcc, v9, v35, vcc
	v_lshlrev_b32_e32 v3, 4, v2
	v_add_co_u32_e32 v0, vcc, v0, v3
	v_addc_co_u32_e32 v1, vcc, 0, v1, vcc
	buffer_store_dword v0, off, s[0:3], s32 offset:256 ; 4-byte Folded Spill
	s_nop 0
	buffer_store_dword v1, off, s[0:3], s32 offset:260 ; 4-byte Folded Spill
	v_lshlrev_b32_e32 v0, 1, v12
	v_mul_u32_u24_e32 v3, 0xe0, v12
	buffer_store_dword v0, off, s[0:3], s32 offset:232 ; 4-byte Folded Spill
	s_nop 0
	buffer_store_dword v1, off, s[0:3], s32 offset:236 ; 4-byte Folded Spill
	ds_read_b128 v[8:11], v3
	s_waitcnt lgkmcnt(0)
	buffer_store_dword v8, off, s[0:3], s32 offset:240 ; 4-byte Folded Spill
	s_nop 0
	buffer_store_dword v9, off, s[0:3], s32 offset:244 ; 4-byte Folded Spill
	buffer_store_dword v10, off, s[0:3], s32 offset:248 ; 4-byte Folded Spill
	buffer_store_dword v11, off, s[0:3], s32 offset:252 ; 4-byte Folded Spill
	ds_read_b128 v[8:11], v3 offset:16
	s_waitcnt lgkmcnt(0)
	buffer_store_dword v8, off, s[0:3], s32 offset:264 ; 4-byte Folded Spill
	s_nop 0
	buffer_store_dword v9, off, s[0:3], s32 offset:268 ; 4-byte Folded Spill
	buffer_store_dword v10, off, s[0:3], s32 offset:272 ; 4-byte Folded Spill
	buffer_store_dword v11, off, s[0:3], s32 offset:276 ; 4-byte Folded Spill
	ds_read_b128 v[8:11], v3 offset:32
	;; [unrolled: 7-line block ×5, first 2 shown]
	v_and_b32_e32 v1, 64, v4
	v_xor_b32_e32 v0, 1, v4
	v_add_u32_e32 v1, 64, v1
	v_cmp_lt_i32_e32 vcc, v0, v1
	v_cndmask_b32_e32 v0, v4, v0, vcc
	v_lshlrev_b32_e32 v0, 2, v0
	s_waitcnt lgkmcnt(0)
	buffer_store_dword v8, off, s[0:3], s32 offset:328 ; 4-byte Folded Spill
	s_nop 0
	buffer_store_dword v9, off, s[0:3], s32 offset:332 ; 4-byte Folded Spill
	buffer_store_dword v10, off, s[0:3], s32 offset:336 ; 4-byte Folded Spill
	;; [unrolled: 1-line block ×6, first 2 shown]
	buffer_load_dword v0, off, s[0:3], s32 offset:472 ; 4-byte Folded Reload
	s_nop 0
	buffer_load_dword v4, off, s[0:3], s32 offset:188 ; 4-byte Folded Reload
	buffer_load_dword v5, off, s[0:3], s32 offset:192 ; 4-byte Folded Reload
	;; [unrolled: 1-line block ×4, first 2 shown]
	ds_read_b128 v[8:11], v3 offset:96
	buffer_store_dword v29, off, s[0:3], s32 offset:556 ; 4-byte Folded Spill
	buffer_store_dword v15, off, s[0:3], s32 offset:560 ; 4-byte Folded Spill
	buffer_store_dword v25, off, s[0:3], s32 offset:520 ; 4-byte Folded Spill
	s_waitcnt vmcnt(7)
	v_cmp_neq_f32_e64 s[8:9], 0, v0
	s_waitcnt vmcnt(5)
	v_lshlrev_b64 v[0:1], 2, v[4:5]
	s_waitcnt vmcnt(4)
	v_add_co_u32_e32 v0, vcc, v6, v0
	s_waitcnt vmcnt(3)
	v_addc_co_u32_e32 v1, vcc, v7, v1, vcc
	v_add_co_u32_e32 v6, vcc, v29, v0
	v_lshlrev_b32_e32 v0, 5, v25
	v_add3_u32 v0, s23, v0, v2
	v_accvgpr_write_b32 a60, v0
	v_lshlrev_b32_e32 v0, 2, v2
	v_lshl_or_b32 v0, v25, 7, v0
	v_accvgpr_write_b32 a61, v0
	v_mov_b32_e32 v0, 0xff7fffff
	buffer_store_dword v0, off, s[0:3], s32 offset:224 ; 4-byte Folded Spill
	s_waitcnt lgkmcnt(0)
	buffer_store_dword v8, off, s[0:3], s32 offset:344 ; 4-byte Folded Spill
	s_nop 0
	buffer_store_dword v9, off, s[0:3], s32 offset:348 ; 4-byte Folded Spill
	buffer_store_dword v10, off, s[0:3], s32 offset:352 ; 4-byte Folded Spill
	buffer_store_dword v11, off, s[0:3], s32 offset:356 ; 4-byte Folded Spill
	ds_read_b128 v[8:11], v3 offset:112
	s_waitcnt lgkmcnt(0)
	buffer_store_dword v8, off, s[0:3], s32 offset:360 ; 4-byte Folded Spill
	s_nop 0
	buffer_store_dword v9, off, s[0:3], s32 offset:364 ; 4-byte Folded Spill
	buffer_store_dword v10, off, s[0:3], s32 offset:368 ; 4-byte Folded Spill
	buffer_store_dword v11, off, s[0:3], s32 offset:372 ; 4-byte Folded Spill
	ds_read_b128 v[8:11], v3 offset:128
	;; [unrolled: 7-line block ×6, first 2 shown]
	s_waitcnt lgkmcnt(0)
	buffer_store_dword v8, off, s[0:3], s32 offset:440 ; 4-byte Folded Spill
	s_nop 0
	buffer_store_dword v9, off, s[0:3], s32 offset:444 ; 4-byte Folded Spill
	buffer_store_dword v10, off, s[0:3], s32 offset:448 ; 4-byte Folded Spill
	;; [unrolled: 1-line block ×3, first 2 shown]
	v_addc_co_u32_e32 v7, vcc, v15, v1, vcc
	ds_read_b128 v[0:3], v3 offset:208
	v_mov_b32_e32 v41, v4
	s_waitcnt lgkmcnt(0)
	buffer_store_dword v0, off, s[0:3], s32 offset:456 ; 4-byte Folded Spill
	s_nop 0
	buffer_store_dword v1, off, s[0:3], s32 offset:460 ; 4-byte Folded Spill
	buffer_store_dword v2, off, s[0:3], s32 offset:464 ; 4-byte Folded Spill
	;; [unrolled: 1-line block ×3, first 2 shown]
	s_branch .LBB247_10
.LBB247_9:                              ;   in Loop: Header=BB247_10 Depth=1
	s_or_b64 exec, exec, s[34:35]
	buffer_load_dword v6, off, s[0:3], s32 offset:208 ; 4-byte Folded Reload
	buffer_load_dword v7, off, s[0:3], s32 offset:212 ; 4-byte Folded Reload
	v_accvgpr_read_b32 v0, a60
	v_add_u32_e32 v0, 64, v0
	v_accvgpr_write_b32 a60, v0
	buffer_load_dword v0, off, s[0:3], s32 offset:204 ; 4-byte Folded Reload
	v_add_u32_e32 v41, 2, v41
	s_waitcnt vmcnt(2)
	v_add_co_u32_e32 v6, vcc, 8, v6
	s_waitcnt vmcnt(1)
	v_addc_co_u32_e32 v7, vcc, 0, v7, vcc
	s_waitcnt vmcnt(0)
	v_cmp_ge_i32_e32 vcc, v41, v0
	v_accvgpr_read_b32 v0, a61
	v_add_u32_e32 v0, 0x100, v0
	s_or_b64 s[28:29], vcc, s[28:29]
	v_accvgpr_write_b32 a61, v0
	s_andn2_b64 exec, exec, s[28:29]
	s_cbranch_execz .LBB247_348
.LBB247_10:                             ; =>This Inner Loop Header: Depth=1
	buffer_store_dword v6, off, s[0:3], s32 offset:208 ; 4-byte Folded Spill
	s_nop 0
	buffer_store_dword v7, off, s[0:3], s32 offset:212 ; 4-byte Folded Spill
	flat_load_dword v0, v[6:7]
	buffer_load_dword v2, off, s[0:3], s32 offset:196 ; 4-byte Folded Reload
	buffer_load_dword v3, off, s[0:3], s32 offset:200 ; 4-byte Folded Reload
	;; [unrolled: 1-line block ×4, first 2 shown]
	s_waitcnt vmcnt(0) lgkmcnt(0)
	v_mad_i64_i32 v[0:1], vcc, v0, v2, v[4:5]
	buffer_load_dword v2, off, s[0:3], s32 offset:232 ; 4-byte Folded Reload
	buffer_load_dword v3, off, s[0:3], s32 offset:236 ; 4-byte Folded Reload
	s_waitcnt vmcnt(1)
	v_add_co_u32_e32 v32, vcc, v0, v2
	v_addc_co_u32_e32 v33, vcc, 0, v1, vcc
	flat_load_ushort v1, v[32:33]
	buffer_load_dword v2, off, s[0:3], s32 offset:216 ; 4-byte Folded Reload
	buffer_load_dword v3, off, s[0:3], s32 offset:220 ; 4-byte Folded Reload
	s_waitcnt vmcnt(0) lgkmcnt(0)
	v_and_b32_e32 v0, 0xffff, v1
	flat_load_dword v40, v[2:3]
	v_pk_mov_b32 v[2:3], 0, 0
	v_accvgpr_write_b32 a39, v3
	v_accvgpr_write_b32 a23, v3
	;; [unrolled: 1-line block ×4, first 2 shown]
	v_cmp_ne_u16_sdwa vcc, v1, v39 src0_sel:BYTE_0 src1_sel:DWORD
	s_mov_b64 s[34:35], exec
	s_and_b64 vcc, s[34:35], vcc
	v_accvgpr_write_b32 a62, v41
	s_mov_b64 exec, vcc
	s_cbranch_execz .LBB247_16
; %bb.11:                               ;   in Loop: Header=BB247_10 Depth=1
	v_bfrev_b32_e32 v2, 1
	v_mov_b32_e32 v3, 0
	v_accvgpr_write_b32 a23, v3
	v_cmp_ne_u16_sdwa vcc, v0, s19 src0_sel:BYTE_0 src1_sel:DWORD
	v_accvgpr_write_b32 a22, v2
	s_and_saveexec_b64 s[36:37], vcc
	s_cbranch_execz .LBB247_15
; %bb.12:                               ;   in Loop: Header=BB247_10 Depth=1
	v_mov_b32_e32 v2, 0x7f800001
	v_mov_b32_e32 v3, 0
	v_and_b32_e32 v1, 0x7f, v0
	v_accvgpr_write_b32 a23, v3
	v_cmp_ne_u32_e32 vcc, s41, v1
	v_accvgpr_write_b32 a22, v2
	s_and_saveexec_b64 s[38:39], vcc
	s_cbranch_execz .LBB247_14
; %bb.13:                               ;   in Loop: Header=BB247_10 Depth=1
	v_and_b32_e32 v4, 7, v0
	v_ffbh_u32_e32 v2, v4
	v_min_u32_e32 v6, 32, v2
	v_subrev_u32_e32 v2, 28, v6
	v_lshlrev_b64 v[2:3], v2, v[0:1]
	v_lshrrev_b32_e32 v5, 3, v1
	v_sub_u32_e32 v3, 29, v6
	v_and_b32_e32 v2, 7, v2
	v_cmp_gt_u32_e32 vcc, 8, v1
	v_cndmask_b32_e32 v1, v5, v3, vcc
	v_cndmask_b32_e32 v2, v4, v2, vcc
	v_bfrev_b32_e32 v4, 60
	v_lshlrev_b32_e32 v2, 20, v2
	v_and_b32_sdwa v3, sext(v0), s25 dst_sel:DWORD dst_unused:UNUSED_PAD src0_sel:BYTE_0 src1_sel:DWORD
	v_lshl_add_u32 v1, v1, 23, v4
	v_or3_b32 v38, v3, v1, v2
	v_accvgpr_write_b32 a22, v38
	v_accvgpr_write_b32 a23, v39
	v_accvgpr_read_b32 v41, a62
.LBB247_14:                             ;   in Loop: Header=BB247_10 Depth=1
	s_or_b64 exec, exec, s[38:39]
.LBB247_15:                             ;   in Loop: Header=BB247_10 Depth=1
	s_or_b64 exec, exec, s[36:37]
.LBB247_16:                             ;   in Loop: Header=BB247_10 Depth=1
	s_or_b64 exec, exec, s[34:35]
	v_cmp_ne_u16_sdwa vcc, v0, v39 src0_sel:BYTE_1 src1_sel:DWORD
	s_and_saveexec_b64 s[34:35], vcc
	s_cbranch_execz .LBB247_22
; %bb.17:                               ;   in Loop: Header=BB247_10 Depth=1
	v_accvgpr_write_b32 a39, s25
	v_cmp_ne_u16_sdwa vcc, v0, s19 src0_sel:BYTE_1 src1_sel:DWORD
	v_accvgpr_write_b32 a38, s24
	s_and_saveexec_b64 s[36:37], vcc
	s_cbranch_execz .LBB247_21
; %bb.18:                               ;   in Loop: Header=BB247_10 Depth=1
	v_and_b32_sdwa v1, v0, s41 dst_sel:DWORD dst_unused:UNUSED_PAD src0_sel:BYTE_1 src1_sel:DWORD
	s_mov_b32 s30, s24
	v_accvgpr_write_b32 a39, s31
	v_cmp_ne_u32_e32 vcc, s41, v1
	v_accvgpr_write_b32 a38, s30
	s_and_saveexec_b64 s[38:39], vcc
	s_cbranch_execz .LBB247_20
; %bb.19:                               ;   in Loop: Header=BB247_10 Depth=1
	v_mov_b32_e32 v2, 7
	v_and_b32_sdwa v38, v0, v2 dst_sel:DWORD dst_unused:UNUSED_PAD src0_sel:BYTE_1 src1_sel:DWORD
	v_ffbh_u32_e32 v2, v38
	v_min_u32_e32 v5, 32, v2
	v_subrev_u32_e32 v2, 28, v5
	v_lshlrev_b64 v[2:3], v2, v[38:39]
	v_lshrrev_b32_e32 v4, 3, v1
	v_sub_u32_e32 v3, 29, v5
	v_cmp_gt_u32_e32 vcc, 8, v1
	v_and_b32_e32 v2, 7, v2
	v_cndmask_b32_e32 v1, v4, v3, vcc
	v_bfrev_b32_e32 v3, 60
	v_cndmask_b32_e32 v2, v38, v2, vcc
	v_lshlrev_b32_e32 v0, 16, v0
	v_lshl_add_u32 v1, v1, 23, v3
	v_and_or_b32 v0, v0, s25, v1
	v_lshlrev_b32_e32 v1, 20, v2
	v_or_b32_e32 v1, v0, v1
	v_mov_b32_e32 v0, v39
	v_accvgpr_write_b32 a39, v1
	v_accvgpr_read_b32 v41, a62
	v_accvgpr_write_b32 a38, v0
.LBB247_20:                             ;   in Loop: Header=BB247_10 Depth=1
	s_or_b64 exec, exec, s[38:39]
.LBB247_21:                             ;   in Loop: Header=BB247_10 Depth=1
	s_or_b64 exec, exec, s[36:37]
.LBB247_22:                             ;   in Loop: Header=BB247_10 Depth=1
	s_or_b64 exec, exec, s[34:35]
	flat_load_ushort v1, v[32:33] offset:4
	v_pk_mov_b32 v[2:3], 0, 0
	v_accvgpr_write_b32 a43, v3
	v_accvgpr_write_b32 a45, v3
	;; [unrolled: 1-line block ×4, first 2 shown]
	s_waitcnt vmcnt(0) lgkmcnt(0)
	v_and_b32_e32 v0, 0xffff, v1
	v_cmp_ne_u16_sdwa vcc, v1, v39 src0_sel:BYTE_0 src1_sel:DWORD
	s_and_saveexec_b64 s[34:35], vcc
	s_cbranch_execz .LBB247_28
; %bb.23:                               ;   in Loop: Header=BB247_10 Depth=1
	v_bfrev_b32_e32 v2, 1
	v_mov_b32_e32 v3, 0
	v_accvgpr_write_b32 a45, v3
	v_cmp_ne_u16_sdwa vcc, v0, s19 src0_sel:BYTE_0 src1_sel:DWORD
	v_accvgpr_write_b32 a44, v2
	s_and_saveexec_b64 s[36:37], vcc
	s_cbranch_execz .LBB247_27
; %bb.24:                               ;   in Loop: Header=BB247_10 Depth=1
	v_mov_b32_e32 v2, 0x7f800001
	v_mov_b32_e32 v3, 0
	v_and_b32_e32 v1, 0x7f, v0
	v_accvgpr_write_b32 a45, v3
	v_cmp_ne_u32_e32 vcc, s41, v1
	v_accvgpr_write_b32 a44, v2
	s_and_saveexec_b64 s[38:39], vcc
	s_cbranch_execz .LBB247_26
; %bb.25:                               ;   in Loop: Header=BB247_10 Depth=1
	v_and_b32_e32 v4, 7, v0
	v_ffbh_u32_e32 v2, v4
	v_min_u32_e32 v6, 32, v2
	v_subrev_u32_e32 v2, 28, v6
	v_lshlrev_b64 v[2:3], v2, v[0:1]
	v_lshrrev_b32_e32 v5, 3, v1
	v_sub_u32_e32 v3, 29, v6
	v_and_b32_e32 v2, 7, v2
	v_cmp_gt_u32_e32 vcc, 8, v1
	v_cndmask_b32_e32 v1, v5, v3, vcc
	v_cndmask_b32_e32 v2, v4, v2, vcc
	v_bfrev_b32_e32 v4, 60
	v_lshlrev_b32_e32 v2, 20, v2
	v_and_b32_sdwa v3, sext(v0), s25 dst_sel:DWORD dst_unused:UNUSED_PAD src0_sel:BYTE_0 src1_sel:DWORD
	v_lshl_add_u32 v1, v1, 23, v4
	v_or3_b32 v38, v3, v1, v2
	v_accvgpr_write_b32 a45, v39
	v_accvgpr_write_b32 a44, v38
	v_accvgpr_read_b32 v41, a62
.LBB247_26:                             ;   in Loop: Header=BB247_10 Depth=1
	s_or_b64 exec, exec, s[38:39]
.LBB247_27:                             ;   in Loop: Header=BB247_10 Depth=1
	s_or_b64 exec, exec, s[36:37]
.LBB247_28:                             ;   in Loop: Header=BB247_10 Depth=1
	s_or_b64 exec, exec, s[34:35]
	v_cmp_ne_u16_sdwa vcc, v0, v39 src0_sel:BYTE_1 src1_sel:DWORD
	s_and_saveexec_b64 s[34:35], vcc
	s_cbranch_execz .LBB247_34
; %bb.29:                               ;   in Loop: Header=BB247_10 Depth=1
	v_accvgpr_write_b32 a43, s25
	v_cmp_ne_u16_sdwa vcc, v0, s19 src0_sel:BYTE_1 src1_sel:DWORD
	v_accvgpr_write_b32 a42, s24
	s_and_saveexec_b64 s[36:37], vcc
	s_cbranch_execz .LBB247_33
; %bb.30:                               ;   in Loop: Header=BB247_10 Depth=1
	v_and_b32_sdwa v1, v0, s41 dst_sel:DWORD dst_unused:UNUSED_PAD src0_sel:BYTE_1 src1_sel:DWORD
	s_mov_b32 s30, s24
	v_accvgpr_write_b32 a43, s31
	v_cmp_ne_u32_e32 vcc, s41, v1
	v_accvgpr_write_b32 a42, s30
	s_and_saveexec_b64 s[38:39], vcc
	s_cbranch_execz .LBB247_32
; %bb.31:                               ;   in Loop: Header=BB247_10 Depth=1
	v_mov_b32_e32 v2, 7
	v_and_b32_sdwa v38, v0, v2 dst_sel:DWORD dst_unused:UNUSED_PAD src0_sel:BYTE_1 src1_sel:DWORD
	v_ffbh_u32_e32 v2, v38
	v_min_u32_e32 v5, 32, v2
	v_subrev_u32_e32 v2, 28, v5
	v_lshlrev_b64 v[2:3], v2, v[38:39]
	v_lshrrev_b32_e32 v4, 3, v1
	v_sub_u32_e32 v3, 29, v5
	v_cmp_gt_u32_e32 vcc, 8, v1
	v_and_b32_e32 v2, 7, v2
	v_cndmask_b32_e32 v1, v4, v3, vcc
	v_bfrev_b32_e32 v3, 60
	v_cndmask_b32_e32 v2, v38, v2, vcc
	v_lshlrev_b32_e32 v0, 16, v0
	v_lshl_add_u32 v1, v1, 23, v3
	v_and_or_b32 v0, v0, s25, v1
	v_lshlrev_b32_e32 v1, 20, v2
	v_or_b32_e32 v1, v0, v1
	v_mov_b32_e32 v0, v39
	v_accvgpr_write_b32 a43, v1
	v_accvgpr_read_b32 v41, a62
	v_accvgpr_write_b32 a42, v0
.LBB247_32:                             ;   in Loop: Header=BB247_10 Depth=1
	s_or_b64 exec, exec, s[38:39]
.LBB247_33:                             ;   in Loop: Header=BB247_10 Depth=1
	s_or_b64 exec, exec, s[36:37]
.LBB247_34:                             ;   in Loop: Header=BB247_10 Depth=1
	s_or_b64 exec, exec, s[34:35]
	flat_load_ushort v1, v[32:33] offset:8
	v_pk_mov_b32 v[2:3], 0, 0
	v_accvgpr_write_b32 a47, v3
	v_accvgpr_write_b32 a49, v3
	;; [unrolled: 1-line block ×4, first 2 shown]
	s_waitcnt vmcnt(0) lgkmcnt(0)
	v_and_b32_e32 v0, 0xffff, v1
	v_cmp_ne_u16_sdwa vcc, v1, v39 src0_sel:BYTE_0 src1_sel:DWORD
	s_and_saveexec_b64 s[34:35], vcc
	s_cbranch_execz .LBB247_40
; %bb.35:                               ;   in Loop: Header=BB247_10 Depth=1
	v_bfrev_b32_e32 v2, 1
	v_mov_b32_e32 v3, 0
	v_accvgpr_write_b32 a49, v3
	v_cmp_ne_u16_sdwa vcc, v0, s19 src0_sel:BYTE_0 src1_sel:DWORD
	v_accvgpr_write_b32 a48, v2
	s_and_saveexec_b64 s[36:37], vcc
	s_cbranch_execz .LBB247_39
; %bb.36:                               ;   in Loop: Header=BB247_10 Depth=1
	v_mov_b32_e32 v2, 0x7f800001
	v_mov_b32_e32 v3, 0
	v_and_b32_e32 v1, 0x7f, v0
	v_accvgpr_write_b32 a49, v3
	v_cmp_ne_u32_e32 vcc, s41, v1
	v_accvgpr_write_b32 a48, v2
	s_and_saveexec_b64 s[38:39], vcc
	s_cbranch_execz .LBB247_38
; %bb.37:                               ;   in Loop: Header=BB247_10 Depth=1
	v_and_b32_e32 v4, 7, v0
	v_ffbh_u32_e32 v2, v4
	v_min_u32_e32 v6, 32, v2
	v_subrev_u32_e32 v2, 28, v6
	v_lshlrev_b64 v[2:3], v2, v[0:1]
	v_lshrrev_b32_e32 v5, 3, v1
	v_sub_u32_e32 v3, 29, v6
	v_and_b32_e32 v2, 7, v2
	v_cmp_gt_u32_e32 vcc, 8, v1
	v_cndmask_b32_e32 v1, v5, v3, vcc
	v_cndmask_b32_e32 v2, v4, v2, vcc
	v_bfrev_b32_e32 v4, 60
	v_lshlrev_b32_e32 v2, 20, v2
	v_and_b32_sdwa v3, sext(v0), s25 dst_sel:DWORD dst_unused:UNUSED_PAD src0_sel:BYTE_0 src1_sel:DWORD
	v_lshl_add_u32 v1, v1, 23, v4
	v_or3_b32 v38, v3, v1, v2
	v_accvgpr_write_b32 a49, v39
	v_accvgpr_write_b32 a48, v38
	v_accvgpr_read_b32 v41, a62
.LBB247_38:                             ;   in Loop: Header=BB247_10 Depth=1
	s_or_b64 exec, exec, s[38:39]
.LBB247_39:                             ;   in Loop: Header=BB247_10 Depth=1
	s_or_b64 exec, exec, s[36:37]
.LBB247_40:                             ;   in Loop: Header=BB247_10 Depth=1
	s_or_b64 exec, exec, s[34:35]
	v_cmp_ne_u16_sdwa vcc, v0, v39 src0_sel:BYTE_1 src1_sel:DWORD
	s_and_saveexec_b64 s[34:35], vcc
	s_cbranch_execz .LBB247_46
; %bb.41:                               ;   in Loop: Header=BB247_10 Depth=1
	v_accvgpr_write_b32 a47, s25
	v_cmp_ne_u16_sdwa vcc, v0, s19 src0_sel:BYTE_1 src1_sel:DWORD
	v_accvgpr_write_b32 a46, s24
	s_and_saveexec_b64 s[36:37], vcc
	s_cbranch_execz .LBB247_45
; %bb.42:                               ;   in Loop: Header=BB247_10 Depth=1
	v_and_b32_sdwa v1, v0, s41 dst_sel:DWORD dst_unused:UNUSED_PAD src0_sel:BYTE_1 src1_sel:DWORD
	s_mov_b32 s30, s24
	v_accvgpr_write_b32 a47, s31
	v_cmp_ne_u32_e32 vcc, s41, v1
	v_accvgpr_write_b32 a46, s30
	s_and_saveexec_b64 s[38:39], vcc
	s_cbranch_execz .LBB247_44
; %bb.43:                               ;   in Loop: Header=BB247_10 Depth=1
	v_mov_b32_e32 v2, 7
	v_and_b32_sdwa v38, v0, v2 dst_sel:DWORD dst_unused:UNUSED_PAD src0_sel:BYTE_1 src1_sel:DWORD
	v_ffbh_u32_e32 v2, v38
	v_min_u32_e32 v5, 32, v2
	v_subrev_u32_e32 v2, 28, v5
	v_lshlrev_b64 v[2:3], v2, v[38:39]
	v_lshrrev_b32_e32 v4, 3, v1
	v_sub_u32_e32 v3, 29, v5
	v_cmp_gt_u32_e32 vcc, 8, v1
	v_and_b32_e32 v2, 7, v2
	v_cndmask_b32_e32 v1, v4, v3, vcc
	v_bfrev_b32_e32 v3, 60
	v_cndmask_b32_e32 v2, v38, v2, vcc
	v_lshlrev_b32_e32 v0, 16, v0
	v_lshl_add_u32 v1, v1, 23, v3
	v_and_or_b32 v0, v0, s25, v1
	v_lshlrev_b32_e32 v1, 20, v2
	v_or_b32_e32 v1, v0, v1
	v_mov_b32_e32 v0, v39
	v_accvgpr_write_b32 a47, v1
	v_accvgpr_read_b32 v41, a62
	v_accvgpr_write_b32 a46, v0
.LBB247_44:                             ;   in Loop: Header=BB247_10 Depth=1
	s_or_b64 exec, exec, s[38:39]
.LBB247_45:                             ;   in Loop: Header=BB247_10 Depth=1
	s_or_b64 exec, exec, s[36:37]
.LBB247_46:                             ;   in Loop: Header=BB247_10 Depth=1
	s_or_b64 exec, exec, s[34:35]
	flat_load_ushort v1, v[32:33] offset:12
	v_pk_mov_b32 v[2:3], 0, 0
	v_accvgpr_write_b32 a51, v3
	v_accvgpr_write_b32 a53, v3
	;; [unrolled: 1-line block ×4, first 2 shown]
	s_waitcnt vmcnt(0) lgkmcnt(0)
	v_and_b32_e32 v0, 0xffff, v1
	v_cmp_ne_u16_sdwa vcc, v1, v39 src0_sel:BYTE_0 src1_sel:DWORD
	s_and_saveexec_b64 s[34:35], vcc
	s_cbranch_execz .LBB247_52
; %bb.47:                               ;   in Loop: Header=BB247_10 Depth=1
	v_bfrev_b32_e32 v2, 1
	v_mov_b32_e32 v3, 0
	v_accvgpr_write_b32 a53, v3
	v_cmp_ne_u16_sdwa vcc, v0, s19 src0_sel:BYTE_0 src1_sel:DWORD
	v_accvgpr_write_b32 a52, v2
	s_and_saveexec_b64 s[36:37], vcc
	s_cbranch_execz .LBB247_51
; %bb.48:                               ;   in Loop: Header=BB247_10 Depth=1
	v_mov_b32_e32 v2, 0x7f800001
	v_mov_b32_e32 v3, 0
	v_and_b32_e32 v1, 0x7f, v0
	v_accvgpr_write_b32 a53, v3
	v_cmp_ne_u32_e32 vcc, s41, v1
	v_accvgpr_write_b32 a52, v2
	s_and_saveexec_b64 s[38:39], vcc
	s_cbranch_execz .LBB247_50
; %bb.49:                               ;   in Loop: Header=BB247_10 Depth=1
	v_and_b32_e32 v4, 7, v0
	v_ffbh_u32_e32 v2, v4
	v_min_u32_e32 v6, 32, v2
	v_subrev_u32_e32 v2, 28, v6
	v_lshlrev_b64 v[2:3], v2, v[0:1]
	v_lshrrev_b32_e32 v5, 3, v1
	v_sub_u32_e32 v3, 29, v6
	v_and_b32_e32 v2, 7, v2
	v_cmp_gt_u32_e32 vcc, 8, v1
	v_cndmask_b32_e32 v1, v5, v3, vcc
	v_cndmask_b32_e32 v2, v4, v2, vcc
	v_bfrev_b32_e32 v4, 60
	v_lshlrev_b32_e32 v2, 20, v2
	v_and_b32_sdwa v3, sext(v0), s25 dst_sel:DWORD dst_unused:UNUSED_PAD src0_sel:BYTE_0 src1_sel:DWORD
	v_lshl_add_u32 v1, v1, 23, v4
	v_or3_b32 v38, v3, v1, v2
	v_accvgpr_write_b32 a53, v39
	v_accvgpr_write_b32 a52, v38
	v_accvgpr_read_b32 v41, a62
.LBB247_50:                             ;   in Loop: Header=BB247_10 Depth=1
	s_or_b64 exec, exec, s[38:39]
.LBB247_51:                             ;   in Loop: Header=BB247_10 Depth=1
	s_or_b64 exec, exec, s[36:37]
.LBB247_52:                             ;   in Loop: Header=BB247_10 Depth=1
	s_or_b64 exec, exec, s[34:35]
	v_cmp_ne_u16_sdwa vcc, v0, v39 src0_sel:BYTE_1 src1_sel:DWORD
	s_and_saveexec_b64 s[34:35], vcc
	s_cbranch_execz .LBB247_58
; %bb.53:                               ;   in Loop: Header=BB247_10 Depth=1
	v_accvgpr_write_b32 a51, s25
	v_cmp_ne_u16_sdwa vcc, v0, s19 src0_sel:BYTE_1 src1_sel:DWORD
	v_accvgpr_write_b32 a50, s24
	s_and_saveexec_b64 s[36:37], vcc
	s_cbranch_execz .LBB247_57
; %bb.54:                               ;   in Loop: Header=BB247_10 Depth=1
	v_and_b32_sdwa v1, v0, s41 dst_sel:DWORD dst_unused:UNUSED_PAD src0_sel:BYTE_1 src1_sel:DWORD
	s_mov_b32 s30, s24
	v_accvgpr_write_b32 a51, s31
	v_cmp_ne_u32_e32 vcc, s41, v1
	v_accvgpr_write_b32 a50, s30
	s_and_saveexec_b64 s[38:39], vcc
	s_cbranch_execz .LBB247_56
; %bb.55:                               ;   in Loop: Header=BB247_10 Depth=1
	v_mov_b32_e32 v2, 7
	v_and_b32_sdwa v38, v0, v2 dst_sel:DWORD dst_unused:UNUSED_PAD src0_sel:BYTE_1 src1_sel:DWORD
	v_ffbh_u32_e32 v2, v38
	v_min_u32_e32 v5, 32, v2
	v_subrev_u32_e32 v2, 28, v5
	v_lshlrev_b64 v[2:3], v2, v[38:39]
	v_lshrrev_b32_e32 v4, 3, v1
	v_sub_u32_e32 v3, 29, v5
	v_cmp_gt_u32_e32 vcc, 8, v1
	v_and_b32_e32 v2, 7, v2
	v_cndmask_b32_e32 v1, v4, v3, vcc
	v_bfrev_b32_e32 v3, 60
	v_cndmask_b32_e32 v2, v38, v2, vcc
	v_lshlrev_b32_e32 v0, 16, v0
	v_lshl_add_u32 v1, v1, 23, v3
	v_and_or_b32 v0, v0, s25, v1
	v_lshlrev_b32_e32 v1, 20, v2
	v_or_b32_e32 v1, v0, v1
	v_mov_b32_e32 v0, v39
	v_accvgpr_write_b32 a51, v1
	v_accvgpr_read_b32 v41, a62
	v_accvgpr_write_b32 a50, v0
.LBB247_56:                             ;   in Loop: Header=BB247_10 Depth=1
	s_or_b64 exec, exec, s[38:39]
.LBB247_57:                             ;   in Loop: Header=BB247_10 Depth=1
	s_or_b64 exec, exec, s[36:37]
.LBB247_58:                             ;   in Loop: Header=BB247_10 Depth=1
	s_or_b64 exec, exec, s[34:35]
	flat_load_ushort v1, v[32:33] offset:512
	v_pk_mov_b32 v[12:13], 0, 0
	v_accvgpr_write_b32 a57, v13
	v_accvgpr_write_b32 a56, v12
	s_waitcnt vmcnt(0) lgkmcnt(0)
	v_and_b32_e32 v0, 0xffff, v1
	v_cmp_ne_u16_sdwa vcc, v1, v39 src0_sel:BYTE_0 src1_sel:DWORD
	s_and_saveexec_b64 s[34:35], vcc
	s_cbranch_execz .LBB247_64
; %bb.59:                               ;   in Loop: Header=BB247_10 Depth=1
	v_bfrev_b32_e32 v2, 1
	v_mov_b32_e32 v3, 0
	v_accvgpr_write_b32 a57, v3
	v_cmp_ne_u16_sdwa vcc, v0, s19 src0_sel:BYTE_0 src1_sel:DWORD
	v_accvgpr_write_b32 a56, v2
	s_and_saveexec_b64 s[36:37], vcc
	s_cbranch_execz .LBB247_63
; %bb.60:                               ;   in Loop: Header=BB247_10 Depth=1
	v_mov_b32_e32 v2, 0x7f800001
	v_mov_b32_e32 v3, 0
	v_and_b32_e32 v1, 0x7f, v0
	v_accvgpr_write_b32 a57, v3
	v_cmp_ne_u32_e32 vcc, s41, v1
	v_accvgpr_write_b32 a56, v2
	s_and_saveexec_b64 s[38:39], vcc
	s_cbranch_execz .LBB247_62
; %bb.61:                               ;   in Loop: Header=BB247_10 Depth=1
	v_and_b32_e32 v4, 7, v0
	v_lshrrev_b32_e32 v5, 3, v1
	v_cmp_gt_u32_e32 vcc, 8, v1
	v_ffbh_u32_e32 v1, v4
	v_min_u32_e32 v1, 32, v1
	v_subrev_u32_e32 v2, 28, v1
	v_lshlrev_b64 v[2:3], v2, v[0:1]
	v_sub_u32_e32 v1, 29, v1
	v_and_b32_e32 v2, 7, v2
	v_cndmask_b32_e32 v1, v5, v1, vcc
	v_cndmask_b32_e32 v2, v4, v2, vcc
	v_bfrev_b32_e32 v4, 60
	v_lshlrev_b32_e32 v2, 20, v2
	v_and_b32_sdwa v3, sext(v0), s25 dst_sel:DWORD dst_unused:UNUSED_PAD src0_sel:BYTE_0 src1_sel:DWORD
	v_lshl_add_u32 v1, v1, 23, v4
	v_or3_b32 v38, v3, v1, v2
	v_accvgpr_write_b32 a57, v39
	v_accvgpr_write_b32 a56, v38
	v_accvgpr_read_b32 v41, a62
.LBB247_62:                             ;   in Loop: Header=BB247_10 Depth=1
	s_or_b64 exec, exec, s[38:39]
.LBB247_63:                             ;   in Loop: Header=BB247_10 Depth=1
	s_or_b64 exec, exec, s[36:37]
.LBB247_64:                             ;   in Loop: Header=BB247_10 Depth=1
	s_or_b64 exec, exec, s[34:35]
	v_cmp_ne_u16_sdwa vcc, v0, v39 src0_sel:BYTE_1 src1_sel:DWORD
	s_and_saveexec_b64 s[34:35], vcc
	s_cbranch_execz .LBB247_70
; %bb.65:                               ;   in Loop: Header=BB247_10 Depth=1
	v_cmp_ne_u16_sdwa vcc, v0, s19 src0_sel:BYTE_1 src1_sel:DWORD
	v_pk_mov_b32 v[12:13], s[24:25], s[24:25] op_sel:[0,1]
	s_and_saveexec_b64 s[36:37], vcc
	s_cbranch_execz .LBB247_69
; %bb.66:                               ;   in Loop: Header=BB247_10 Depth=1
	v_and_b32_sdwa v1, v0, s41 dst_sel:DWORD dst_unused:UNUSED_PAD src0_sel:BYTE_1 src1_sel:DWORD
	s_mov_b32 s30, s24
	v_cmp_ne_u32_e32 vcc, s41, v1
	v_pk_mov_b32 v[12:13], s[30:31], s[30:31] op_sel:[0,1]
	s_and_saveexec_b64 s[38:39], vcc
	s_cbranch_execz .LBB247_68
; %bb.67:                               ;   in Loop: Header=BB247_10 Depth=1
	v_mov_b32_e32 v2, 7
	v_and_b32_sdwa v38, v0, v2 dst_sel:DWORD dst_unused:UNUSED_PAD src0_sel:BYTE_1 src1_sel:DWORD
	v_lshrrev_b32_e32 v4, 3, v1
	v_cmp_gt_u32_e32 vcc, 8, v1
	v_ffbh_u32_e32 v1, v38
	v_min_u32_e32 v1, 32, v1
	v_subrev_u32_e32 v2, 28, v1
	v_lshlrev_b64 v[2:3], v2, v[38:39]
	v_sub_u32_e32 v1, 29, v1
	v_and_b32_e32 v2, 7, v2
	v_cndmask_b32_e32 v1, v4, v1, vcc
	v_bfrev_b32_e32 v3, 60
	v_cndmask_b32_e32 v2, v38, v2, vcc
	v_lshlrev_b32_e32 v0, 16, v0
	v_lshl_add_u32 v1, v1, 23, v3
	v_and_or_b32 v0, v0, s25, v1
	v_lshlrev_b32_e32 v1, 20, v2
	v_accvgpr_read_b32 v41, a62
	v_or_b32_e32 v13, v0, v1
	v_mov_b32_e32 v12, v39
.LBB247_68:                             ;   in Loop: Header=BB247_10 Depth=1
	s_or_b64 exec, exec, s[38:39]
.LBB247_69:                             ;   in Loop: Header=BB247_10 Depth=1
	s_or_b64 exec, exec, s[36:37]
.LBB247_70:                             ;   in Loop: Header=BB247_10 Depth=1
	s_or_b64 exec, exec, s[34:35]
	flat_load_ushort v1, v[32:33] offset:516
	v_pk_mov_b32 v[2:3], 0, 0
	v_accvgpr_write_b32 a19, v3
	v_accvgpr_write_b32 a21, v3
	;; [unrolled: 1-line block ×4, first 2 shown]
	s_waitcnt vmcnt(0) lgkmcnt(0)
	v_and_b32_e32 v0, 0xffff, v1
	v_cmp_ne_u16_sdwa vcc, v1, v39 src0_sel:BYTE_0 src1_sel:DWORD
	s_and_saveexec_b64 s[34:35], vcc
	s_cbranch_execz .LBB247_76
; %bb.71:                               ;   in Loop: Header=BB247_10 Depth=1
	v_bfrev_b32_e32 v2, 1
	v_mov_b32_e32 v3, 0
	v_accvgpr_write_b32 a21, v3
	v_cmp_ne_u16_sdwa vcc, v0, s19 src0_sel:BYTE_0 src1_sel:DWORD
	v_accvgpr_write_b32 a20, v2
	s_and_saveexec_b64 s[36:37], vcc
	s_cbranch_execz .LBB247_75
; %bb.72:                               ;   in Loop: Header=BB247_10 Depth=1
	v_mov_b32_e32 v2, 0x7f800001
	v_mov_b32_e32 v3, 0
	v_and_b32_e32 v1, 0x7f, v0
	v_accvgpr_write_b32 a21, v3
	v_cmp_ne_u32_e32 vcc, s41, v1
	v_accvgpr_write_b32 a20, v2
	s_and_saveexec_b64 s[38:39], vcc
	s_cbranch_execz .LBB247_74
; %bb.73:                               ;   in Loop: Header=BB247_10 Depth=1
	v_and_b32_e32 v4, 7, v0
	v_lshrrev_b32_e32 v5, 3, v1
	v_cmp_gt_u32_e32 vcc, 8, v1
	v_ffbh_u32_e32 v1, v4
	v_min_u32_e32 v1, 32, v1
	v_subrev_u32_e32 v2, 28, v1
	v_lshlrev_b64 v[2:3], v2, v[0:1]
	v_sub_u32_e32 v1, 29, v1
	v_and_b32_e32 v2, 7, v2
	v_cndmask_b32_e32 v1, v5, v1, vcc
	v_cndmask_b32_e32 v2, v4, v2, vcc
	v_bfrev_b32_e32 v4, 60
	v_lshlrev_b32_e32 v2, 20, v2
	v_and_b32_sdwa v3, sext(v0), s25 dst_sel:DWORD dst_unused:UNUSED_PAD src0_sel:BYTE_0 src1_sel:DWORD
	v_lshl_add_u32 v1, v1, 23, v4
	v_or3_b32 v38, v3, v1, v2
	v_accvgpr_write_b32 a20, v38
	v_accvgpr_write_b32 a21, v39
	v_accvgpr_read_b32 v41, a62
.LBB247_74:                             ;   in Loop: Header=BB247_10 Depth=1
	s_or_b64 exec, exec, s[38:39]
.LBB247_75:                             ;   in Loop: Header=BB247_10 Depth=1
	s_or_b64 exec, exec, s[36:37]
.LBB247_76:                             ;   in Loop: Header=BB247_10 Depth=1
	s_or_b64 exec, exec, s[34:35]
	v_cmp_ne_u16_sdwa vcc, v0, v39 src0_sel:BYTE_1 src1_sel:DWORD
	s_and_saveexec_b64 s[34:35], vcc
	s_cbranch_execz .LBB247_82
; %bb.77:                               ;   in Loop: Header=BB247_10 Depth=1
	v_accvgpr_write_b32 a18, s24
	v_cmp_ne_u16_sdwa vcc, v0, s19 src0_sel:BYTE_1 src1_sel:DWORD
	v_accvgpr_write_b32 a19, s25
	s_and_saveexec_b64 s[36:37], vcc
	s_cbranch_execz .LBB247_81
; %bb.78:                               ;   in Loop: Header=BB247_10 Depth=1
	s_mov_b32 s30, s24
	v_and_b32_sdwa v1, v0, s41 dst_sel:DWORD dst_unused:UNUSED_PAD src0_sel:BYTE_1 src1_sel:DWORD
	v_accvgpr_write_b32 a18, s30
	v_cmp_ne_u32_e32 vcc, s41, v1
	v_accvgpr_write_b32 a19, s31
	s_and_saveexec_b64 s[38:39], vcc
	s_cbranch_execz .LBB247_80
; %bb.79:                               ;   in Loop: Header=BB247_10 Depth=1
	v_mov_b32_e32 v2, 7
	v_and_b32_sdwa v38, v0, v2 dst_sel:DWORD dst_unused:UNUSED_PAD src0_sel:BYTE_1 src1_sel:DWORD
	v_lshrrev_b32_e32 v4, 3, v1
	v_cmp_gt_u32_e32 vcc, 8, v1
	v_ffbh_u32_e32 v1, v38
	v_min_u32_e32 v1, 32, v1
	v_subrev_u32_e32 v2, 28, v1
	v_lshlrev_b64 v[2:3], v2, v[38:39]
	v_sub_u32_e32 v1, 29, v1
	v_and_b32_e32 v2, 7, v2
	v_cndmask_b32_e32 v1, v4, v1, vcc
	v_bfrev_b32_e32 v3, 60
	v_cndmask_b32_e32 v2, v38, v2, vcc
	v_lshlrev_b32_e32 v0, 16, v0
	v_lshl_add_u32 v1, v1, 23, v3
	v_and_or_b32 v0, v0, s25, v1
	v_lshlrev_b32_e32 v1, 20, v2
	v_or_b32_e32 v1, v0, v1
	v_mov_b32_e32 v0, v39
	v_accvgpr_write_b32 a19, v1
	v_accvgpr_read_b32 v41, a62
	v_accvgpr_write_b32 a18, v0
.LBB247_80:                             ;   in Loop: Header=BB247_10 Depth=1
	s_or_b64 exec, exec, s[38:39]
.LBB247_81:                             ;   in Loop: Header=BB247_10 Depth=1
	s_or_b64 exec, exec, s[36:37]
.LBB247_82:                             ;   in Loop: Header=BB247_10 Depth=1
	s_or_b64 exec, exec, s[34:35]
	v_add_co_u32_e32 v0, vcc, 0x200, v32
	v_addc_co_u32_e32 v1, vcc, 0, v33, vcc
	flat_load_ushort v3, v[0:1] offset:8
	v_pk_mov_b32 v[4:5], 0, 0
	v_accvgpr_write_b32 a0, v4
	v_accvgpr_write_b32 a2, v4
	;; [unrolled: 1-line block ×4, first 2 shown]
	s_waitcnt vmcnt(0) lgkmcnt(0)
	v_and_b32_e32 v2, 0xffff, v3
	v_cmp_ne_u16_sdwa vcc, v3, v39 src0_sel:BYTE_0 src1_sel:DWORD
	s_and_saveexec_b64 s[34:35], vcc
	s_cbranch_execz .LBB247_88
; %bb.83:                               ;   in Loop: Header=BB247_10 Depth=1
	v_bfrev_b32_e32 v4, 1
	v_mov_b32_e32 v5, 0
	v_accvgpr_write_b32 a2, v4
	v_cmp_ne_u16_sdwa vcc, v2, s19 src0_sel:BYTE_0 src1_sel:DWORD
	v_accvgpr_write_b32 a3, v5
	s_and_saveexec_b64 s[36:37], vcc
	s_cbranch_execz .LBB247_87
; %bb.84:                               ;   in Loop: Header=BB247_10 Depth=1
	v_mov_b32_e32 v4, 0x7f800001
	v_and_b32_e32 v3, 0x7f, v2
	v_mov_b32_e32 v5, 0
	v_accvgpr_write_b32 a2, v4
	v_cmp_ne_u32_e32 vcc, s41, v3
	v_accvgpr_write_b32 a3, v5
	s_and_saveexec_b64 s[38:39], vcc
	s_cbranch_execz .LBB247_86
; %bb.85:                               ;   in Loop: Header=BB247_10 Depth=1
	v_and_b32_e32 v4, 7, v2
	v_lshrrev_b32_e32 v5, 3, v3
	v_cmp_gt_u32_e32 vcc, 8, v3
	v_ffbh_u32_e32 v3, v4
	v_min_u32_e32 v3, 32, v3
	v_subrev_u32_e32 v6, 28, v3
	v_lshlrev_b64 v[6:7], v6, v[2:3]
	v_sub_u32_e32 v3, 29, v3
	v_and_b32_e32 v6, 7, v6
	v_cndmask_b32_e32 v3, v5, v3, vcc
	v_cndmask_b32_e32 v4, v4, v6, vcc
	v_bfrev_b32_e32 v6, 60
	v_lshlrev_b32_e32 v4, 20, v4
	v_and_b32_sdwa v5, sext(v2), s25 dst_sel:DWORD dst_unused:UNUSED_PAD src0_sel:BYTE_0 src1_sel:DWORD
	v_lshl_add_u32 v3, v3, 23, v6
	v_or3_b32 v38, v5, v3, v4
	v_accvgpr_write_b32 a2, v38
	v_accvgpr_write_b32 a3, v39
	v_accvgpr_read_b32 v41, a62
.LBB247_86:                             ;   in Loop: Header=BB247_10 Depth=1
	s_or_b64 exec, exec, s[38:39]
.LBB247_87:                             ;   in Loop: Header=BB247_10 Depth=1
	s_or_b64 exec, exec, s[36:37]
.LBB247_88:                             ;   in Loop: Header=BB247_10 Depth=1
	s_or_b64 exec, exec, s[34:35]
	v_cmp_ne_u16_sdwa vcc, v2, v39 src0_sel:BYTE_1 src1_sel:DWORD
	s_and_saveexec_b64 s[34:35], vcc
	s_cbranch_execz .LBB247_94
; %bb.89:                               ;   in Loop: Header=BB247_10 Depth=1
	v_accvgpr_write_b32 a0, s24
	v_cmp_ne_u16_sdwa vcc, v2, s19 src0_sel:BYTE_1 src1_sel:DWORD
	v_accvgpr_write_b32 a1, s25
	s_and_saveexec_b64 s[36:37], vcc
	s_cbranch_execz .LBB247_93
; %bb.90:                               ;   in Loop: Header=BB247_10 Depth=1
	s_mov_b32 s30, s24
	v_and_b32_sdwa v3, v2, s41 dst_sel:DWORD dst_unused:UNUSED_PAD src0_sel:BYTE_1 src1_sel:DWORD
	v_accvgpr_write_b32 a0, s30
	v_cmp_ne_u32_e32 vcc, s41, v3
	v_accvgpr_write_b32 a1, s31
	s_and_saveexec_b64 s[38:39], vcc
	s_cbranch_execz .LBB247_92
; %bb.91:                               ;   in Loop: Header=BB247_10 Depth=1
	v_mov_b32_e32 v4, 7
	v_and_b32_sdwa v38, v2, v4 dst_sel:DWORD dst_unused:UNUSED_PAD src0_sel:BYTE_1 src1_sel:DWORD
	v_lshrrev_b32_e32 v4, 3, v3
	v_cmp_gt_u32_e32 vcc, 8, v3
	v_ffbh_u32_e32 v3, v38
	v_min_u32_e32 v3, 32, v3
	v_subrev_u32_e32 v5, 28, v3
	v_lshlrev_b64 v[6:7], v5, v[38:39]
	v_sub_u32_e32 v3, 29, v3
	v_and_b32_e32 v5, 7, v6
	v_cndmask_b32_e32 v3, v4, v3, vcc
	v_cndmask_b32_e32 v4, v38, v5, vcc
	v_bfrev_b32_e32 v5, 60
	v_lshlrev_b32_e32 v2, 16, v2
	v_lshl_add_u32 v3, v3, 23, v5
	v_and_or_b32 v2, v2, s25, v3
	v_lshlrev_b32_e32 v3, 20, v4
	v_or_b32_e32 v3, v2, v3
	v_mov_b32_e32 v2, v39
	v_accvgpr_write_b32 a0, v2
	v_accvgpr_read_b32 v41, a62
	v_accvgpr_write_b32 a1, v3
.LBB247_92:                             ;   in Loop: Header=BB247_10 Depth=1
	s_or_b64 exec, exec, s[38:39]
.LBB247_93:                             ;   in Loop: Header=BB247_10 Depth=1
	s_or_b64 exec, exec, s[36:37]
.LBB247_94:                             ;   in Loop: Header=BB247_10 Depth=1
	s_or_b64 exec, exec, s[34:35]
	flat_load_ushort v1, v[0:1] offset:12
	v_pk_mov_b32 v[2:3], 0, 0
	v_accvgpr_write_b32 a15, v3
	v_accvgpr_write_b32 a17, v3
	;; [unrolled: 1-line block ×4, first 2 shown]
	s_waitcnt vmcnt(0) lgkmcnt(0)
	v_and_b32_e32 v0, 0xffff, v1
	v_cmp_ne_u16_sdwa vcc, v1, v39 src0_sel:BYTE_0 src1_sel:DWORD
	s_and_saveexec_b64 s[34:35], vcc
	s_cbranch_execz .LBB247_100
; %bb.95:                               ;   in Loop: Header=BB247_10 Depth=1
	v_bfrev_b32_e32 v2, 1
	v_mov_b32_e32 v3, 0
	v_accvgpr_write_b32 a17, v3
	v_cmp_ne_u16_sdwa vcc, v0, s19 src0_sel:BYTE_0 src1_sel:DWORD
	v_accvgpr_write_b32 a16, v2
	s_and_saveexec_b64 s[36:37], vcc
	s_cbranch_execz .LBB247_99
; %bb.96:                               ;   in Loop: Header=BB247_10 Depth=1
	v_mov_b32_e32 v2, 0x7f800001
	v_mov_b32_e32 v3, 0
	v_and_b32_e32 v1, 0x7f, v0
	v_accvgpr_write_b32 a17, v3
	v_cmp_ne_u32_e32 vcc, s41, v1
	v_accvgpr_write_b32 a16, v2
	s_and_saveexec_b64 s[38:39], vcc
	s_cbranch_execz .LBB247_98
; %bb.97:                               ;   in Loop: Header=BB247_10 Depth=1
	v_and_b32_e32 v4, 7, v0
	v_lshrrev_b32_e32 v5, 3, v1
	v_cmp_gt_u32_e32 vcc, 8, v1
	v_ffbh_u32_e32 v1, v4
	v_min_u32_e32 v1, 32, v1
	v_subrev_u32_e32 v2, 28, v1
	v_lshlrev_b64 v[2:3], v2, v[0:1]
	v_sub_u32_e32 v1, 29, v1
	v_and_b32_e32 v2, 7, v2
	v_cndmask_b32_e32 v1, v5, v1, vcc
	v_cndmask_b32_e32 v2, v4, v2, vcc
	v_bfrev_b32_e32 v4, 60
	v_lshlrev_b32_e32 v2, 20, v2
	v_and_b32_sdwa v3, sext(v0), s25 dst_sel:DWORD dst_unused:UNUSED_PAD src0_sel:BYTE_0 src1_sel:DWORD
	v_lshl_add_u32 v1, v1, 23, v4
	v_or3_b32 v38, v3, v1, v2
	v_accvgpr_write_b32 a16, v38
	v_accvgpr_write_b32 a17, v39
	v_accvgpr_read_b32 v41, a62
.LBB247_98:                             ;   in Loop: Header=BB247_10 Depth=1
	s_or_b64 exec, exec, s[38:39]
.LBB247_99:                             ;   in Loop: Header=BB247_10 Depth=1
	s_or_b64 exec, exec, s[36:37]
.LBB247_100:                            ;   in Loop: Header=BB247_10 Depth=1
	s_or_b64 exec, exec, s[34:35]
	v_cmp_ne_u16_sdwa vcc, v0, v39 src0_sel:BYTE_1 src1_sel:DWORD
	s_and_saveexec_b64 s[34:35], vcc
	s_cbranch_execz .LBB247_106
; %bb.101:                              ;   in Loop: Header=BB247_10 Depth=1
	v_accvgpr_write_b32 a14, s24
	v_cmp_ne_u16_sdwa vcc, v0, s19 src0_sel:BYTE_1 src1_sel:DWORD
	v_accvgpr_write_b32 a15, s25
	s_and_saveexec_b64 s[36:37], vcc
	s_cbranch_execz .LBB247_105
; %bb.102:                              ;   in Loop: Header=BB247_10 Depth=1
	s_mov_b32 s30, s24
	v_and_b32_sdwa v1, v0, s41 dst_sel:DWORD dst_unused:UNUSED_PAD src0_sel:BYTE_1 src1_sel:DWORD
	v_accvgpr_write_b32 a14, s30
	v_cmp_ne_u32_e32 vcc, s41, v1
	v_accvgpr_write_b32 a15, s31
	s_and_saveexec_b64 s[38:39], vcc
	s_cbranch_execz .LBB247_104
; %bb.103:                              ;   in Loop: Header=BB247_10 Depth=1
	v_mov_b32_e32 v2, 7
	v_and_b32_sdwa v38, v0, v2 dst_sel:DWORD dst_unused:UNUSED_PAD src0_sel:BYTE_1 src1_sel:DWORD
	v_lshrrev_b32_e32 v4, 3, v1
	v_cmp_gt_u32_e32 vcc, 8, v1
	v_ffbh_u32_e32 v1, v38
	v_min_u32_e32 v1, 32, v1
	v_subrev_u32_e32 v2, 28, v1
	v_lshlrev_b64 v[2:3], v2, v[38:39]
	v_sub_u32_e32 v1, 29, v1
	v_and_b32_e32 v2, 7, v2
	v_cndmask_b32_e32 v1, v4, v1, vcc
	v_bfrev_b32_e32 v3, 60
	v_cndmask_b32_e32 v2, v38, v2, vcc
	v_lshlrev_b32_e32 v0, 16, v0
	v_lshl_add_u32 v1, v1, 23, v3
	v_and_or_b32 v0, v0, s25, v1
	v_lshlrev_b32_e32 v1, 20, v2
	v_or_b32_e32 v1, v0, v1
	v_mov_b32_e32 v0, v39
	v_accvgpr_write_b32 a15, v1
	v_accvgpr_read_b32 v41, a62
	v_accvgpr_write_b32 a14, v0
.LBB247_104:                            ;   in Loop: Header=BB247_10 Depth=1
	s_or_b64 exec, exec, s[38:39]
.LBB247_105:                            ;   in Loop: Header=BB247_10 Depth=1
	s_or_b64 exec, exec, s[36:37]
.LBB247_106:                            ;   in Loop: Header=BB247_10 Depth=1
	s_or_b64 exec, exec, s[34:35]
	flat_load_ushort v1, v[32:33] offset:1024
	v_pk_mov_b32 v[2:3], 0, 0
	v_accvgpr_write_b32 a5, v3
	v_accvgpr_write_b32 a7, v3
	;; [unrolled: 1-line block ×4, first 2 shown]
	s_waitcnt vmcnt(0) lgkmcnt(0)
	v_and_b32_e32 v0, 0xffff, v1
	v_cmp_ne_u16_sdwa vcc, v1, v39 src0_sel:BYTE_0 src1_sel:DWORD
	s_and_saveexec_b64 s[34:35], vcc
	s_cbranch_execz .LBB247_112
; %bb.107:                              ;   in Loop: Header=BB247_10 Depth=1
	v_bfrev_b32_e32 v2, 1
	v_mov_b32_e32 v3, 0
	v_accvgpr_write_b32 a7, v3
	v_cmp_ne_u16_sdwa vcc, v0, s19 src0_sel:BYTE_0 src1_sel:DWORD
	v_accvgpr_write_b32 a6, v2
	s_and_saveexec_b64 s[36:37], vcc
	s_cbranch_execz .LBB247_111
; %bb.108:                              ;   in Loop: Header=BB247_10 Depth=1
	v_mov_b32_e32 v2, 0x7f800001
	v_mov_b32_e32 v3, 0
	v_and_b32_e32 v1, 0x7f, v0
	v_accvgpr_write_b32 a7, v3
	v_cmp_ne_u32_e32 vcc, s41, v1
	v_accvgpr_write_b32 a6, v2
	s_and_saveexec_b64 s[38:39], vcc
	s_cbranch_execz .LBB247_110
; %bb.109:                              ;   in Loop: Header=BB247_10 Depth=1
	v_and_b32_e32 v4, 7, v0
	v_lshrrev_b32_e32 v5, 3, v1
	v_cmp_gt_u32_e32 vcc, 8, v1
	v_ffbh_u32_e32 v1, v4
	v_min_u32_e32 v1, 32, v1
	v_subrev_u32_e32 v2, 28, v1
	v_lshlrev_b64 v[2:3], v2, v[0:1]
	v_sub_u32_e32 v1, 29, v1
	v_and_b32_e32 v2, 7, v2
	v_cndmask_b32_e32 v1, v5, v1, vcc
	v_cndmask_b32_e32 v2, v4, v2, vcc
	v_bfrev_b32_e32 v4, 60
	v_lshlrev_b32_e32 v2, 20, v2
	v_and_b32_sdwa v3, sext(v0), s25 dst_sel:DWORD dst_unused:UNUSED_PAD src0_sel:BYTE_0 src1_sel:DWORD
	v_lshl_add_u32 v1, v1, 23, v4
	v_or3_b32 v38, v3, v1, v2
	v_accvgpr_write_b32 a6, v38
	v_accvgpr_write_b32 a7, v39
	v_accvgpr_read_b32 v41, a62
.LBB247_110:                            ;   in Loop: Header=BB247_10 Depth=1
	s_or_b64 exec, exec, s[38:39]
.LBB247_111:                            ;   in Loop: Header=BB247_10 Depth=1
	s_or_b64 exec, exec, s[36:37]
.LBB247_112:                            ;   in Loop: Header=BB247_10 Depth=1
	s_or_b64 exec, exec, s[34:35]
	v_cmp_ne_u16_sdwa vcc, v0, v39 src0_sel:BYTE_1 src1_sel:DWORD
	s_and_saveexec_b64 s[34:35], vcc
	s_cbranch_execz .LBB247_118
; %bb.113:                              ;   in Loop: Header=BB247_10 Depth=1
	v_accvgpr_write_b32 a4, s24
	v_cmp_ne_u16_sdwa vcc, v0, s19 src0_sel:BYTE_1 src1_sel:DWORD
	v_accvgpr_write_b32 a5, s25
	s_and_saveexec_b64 s[36:37], vcc
	s_cbranch_execz .LBB247_117
; %bb.114:                              ;   in Loop: Header=BB247_10 Depth=1
	s_mov_b32 s30, s24
	v_and_b32_sdwa v1, v0, s41 dst_sel:DWORD dst_unused:UNUSED_PAD src0_sel:BYTE_1 src1_sel:DWORD
	v_accvgpr_write_b32 a4, s30
	v_cmp_ne_u32_e32 vcc, s41, v1
	v_accvgpr_write_b32 a5, s31
	s_and_saveexec_b64 s[38:39], vcc
	s_cbranch_execz .LBB247_116
; %bb.115:                              ;   in Loop: Header=BB247_10 Depth=1
	v_mov_b32_e32 v2, 7
	v_and_b32_sdwa v38, v0, v2 dst_sel:DWORD dst_unused:UNUSED_PAD src0_sel:BYTE_1 src1_sel:DWORD
	v_lshrrev_b32_e32 v4, 3, v1
	v_cmp_gt_u32_e32 vcc, 8, v1
	v_ffbh_u32_e32 v1, v38
	v_min_u32_e32 v1, 32, v1
	v_subrev_u32_e32 v2, 28, v1
	v_lshlrev_b64 v[2:3], v2, v[38:39]
	v_sub_u32_e32 v1, 29, v1
	v_and_b32_e32 v2, 7, v2
	v_cndmask_b32_e32 v1, v4, v1, vcc
	v_bfrev_b32_e32 v3, 60
	v_cndmask_b32_e32 v2, v38, v2, vcc
	v_lshlrev_b32_e32 v0, 16, v0
	v_lshl_add_u32 v1, v1, 23, v3
	v_and_or_b32 v0, v0, s25, v1
	v_lshlrev_b32_e32 v1, 20, v2
	v_or_b32_e32 v1, v0, v1
	v_mov_b32_e32 v0, v39
	v_accvgpr_write_b32 a5, v1
	v_accvgpr_read_b32 v41, a62
	v_accvgpr_write_b32 a4, v0
.LBB247_116:                            ;   in Loop: Header=BB247_10 Depth=1
	s_or_b64 exec, exec, s[38:39]
.LBB247_117:                            ;   in Loop: Header=BB247_10 Depth=1
	s_or_b64 exec, exec, s[36:37]
.LBB247_118:                            ;   in Loop: Header=BB247_10 Depth=1
	s_or_b64 exec, exec, s[34:35]
	flat_load_ushort v1, v[32:33] offset:1028
	v_pk_mov_b32 v[2:3], 0, 0
	v_accvgpr_write_b32 a27, v3
	v_accvgpr_write_b32 a29, v3
	;; [unrolled: 1-line block ×4, first 2 shown]
	s_waitcnt vmcnt(0) lgkmcnt(0)
	v_and_b32_e32 v0, 0xffff, v1
	v_cmp_ne_u16_sdwa vcc, v1, v39 src0_sel:BYTE_0 src1_sel:DWORD
	s_and_saveexec_b64 s[34:35], vcc
	s_cbranch_execz .LBB247_124
; %bb.119:                              ;   in Loop: Header=BB247_10 Depth=1
	v_bfrev_b32_e32 v2, 1
	v_mov_b32_e32 v3, 0
	v_accvgpr_write_b32 a29, v3
	v_cmp_ne_u16_sdwa vcc, v0, s19 src0_sel:BYTE_0 src1_sel:DWORD
	v_accvgpr_write_b32 a28, v2
	s_and_saveexec_b64 s[36:37], vcc
	s_cbranch_execz .LBB247_123
; %bb.120:                              ;   in Loop: Header=BB247_10 Depth=1
	v_mov_b32_e32 v2, 0x7f800001
	v_mov_b32_e32 v3, 0
	v_and_b32_e32 v1, 0x7f, v0
	v_accvgpr_write_b32 a29, v3
	v_cmp_ne_u32_e32 vcc, s41, v1
	v_accvgpr_write_b32 a28, v2
	s_and_saveexec_b64 s[38:39], vcc
	s_cbranch_execz .LBB247_122
; %bb.121:                              ;   in Loop: Header=BB247_10 Depth=1
	v_and_b32_e32 v4, 7, v0
	v_lshrrev_b32_e32 v5, 3, v1
	v_cmp_gt_u32_e32 vcc, 8, v1
	v_ffbh_u32_e32 v1, v4
	v_min_u32_e32 v1, 32, v1
	v_subrev_u32_e32 v2, 28, v1
	v_lshlrev_b64 v[2:3], v2, v[0:1]
	v_sub_u32_e32 v1, 29, v1
	v_and_b32_e32 v2, 7, v2
	v_cndmask_b32_e32 v1, v5, v1, vcc
	v_cndmask_b32_e32 v2, v4, v2, vcc
	v_bfrev_b32_e32 v4, 60
	v_lshlrev_b32_e32 v2, 20, v2
	v_and_b32_sdwa v3, sext(v0), s25 dst_sel:DWORD dst_unused:UNUSED_PAD src0_sel:BYTE_0 src1_sel:DWORD
	v_lshl_add_u32 v1, v1, 23, v4
	v_or3_b32 v38, v3, v1, v2
	v_accvgpr_write_b32 a28, v38
	v_accvgpr_write_b32 a29, v39
	v_accvgpr_read_b32 v41, a62
.LBB247_122:                            ;   in Loop: Header=BB247_10 Depth=1
	s_or_b64 exec, exec, s[38:39]
.LBB247_123:                            ;   in Loop: Header=BB247_10 Depth=1
	s_or_b64 exec, exec, s[36:37]
.LBB247_124:                            ;   in Loop: Header=BB247_10 Depth=1
	s_or_b64 exec, exec, s[34:35]
	v_cmp_ne_u16_sdwa vcc, v0, v39 src0_sel:BYTE_1 src1_sel:DWORD
	s_and_saveexec_b64 s[34:35], vcc
	s_cbranch_execz .LBB247_130
; %bb.125:                              ;   in Loop: Header=BB247_10 Depth=1
	v_accvgpr_write_b32 a27, s25
	v_cmp_ne_u16_sdwa vcc, v0, s19 src0_sel:BYTE_1 src1_sel:DWORD
	v_accvgpr_write_b32 a26, s24
	s_and_saveexec_b64 s[36:37], vcc
	s_cbranch_execz .LBB247_129
; %bb.126:                              ;   in Loop: Header=BB247_10 Depth=1
	s_mov_b32 s30, s24
	v_and_b32_sdwa v1, v0, s41 dst_sel:DWORD dst_unused:UNUSED_PAD src0_sel:BYTE_1 src1_sel:DWORD
	v_accvgpr_write_b32 a26, s30
	v_cmp_ne_u32_e32 vcc, s41, v1
	v_accvgpr_write_b32 a27, s31
	s_and_saveexec_b64 s[38:39], vcc
	s_cbranch_execz .LBB247_128
; %bb.127:                              ;   in Loop: Header=BB247_10 Depth=1
	v_mov_b32_e32 v2, 7
	v_and_b32_sdwa v38, v0, v2 dst_sel:DWORD dst_unused:UNUSED_PAD src0_sel:BYTE_1 src1_sel:DWORD
	v_lshrrev_b32_e32 v4, 3, v1
	v_cmp_gt_u32_e32 vcc, 8, v1
	v_ffbh_u32_e32 v1, v38
	v_min_u32_e32 v1, 32, v1
	v_subrev_u32_e32 v2, 28, v1
	v_lshlrev_b64 v[2:3], v2, v[38:39]
	v_sub_u32_e32 v1, 29, v1
	v_and_b32_e32 v2, 7, v2
	v_cndmask_b32_e32 v1, v4, v1, vcc
	v_bfrev_b32_e32 v3, 60
	v_cndmask_b32_e32 v2, v38, v2, vcc
	v_lshlrev_b32_e32 v0, 16, v0
	v_lshl_add_u32 v1, v1, 23, v3
	v_and_or_b32 v0, v0, s25, v1
	v_lshlrev_b32_e32 v1, 20, v2
	v_or_b32_e32 v1, v0, v1
	v_mov_b32_e32 v0, v39
	v_accvgpr_write_b32 a27, v1
	v_accvgpr_read_b32 v41, a62
	v_accvgpr_write_b32 a26, v0
.LBB247_128:                            ;   in Loop: Header=BB247_10 Depth=1
	s_or_b64 exec, exec, s[38:39]
.LBB247_129:                            ;   in Loop: Header=BB247_10 Depth=1
	s_or_b64 exec, exec, s[36:37]
.LBB247_130:                            ;   in Loop: Header=BB247_10 Depth=1
	s_or_b64 exec, exec, s[34:35]
	v_add_co_u32_e32 v0, vcc, 0x400, v32
	v_addc_co_u32_e32 v1, vcc, 0, v33, vcc
	flat_load_ushort v3, v[0:1] offset:8
	v_pk_mov_b32 v[4:5], 0, 0
	v_accvgpr_write_b32 a9, v5
	v_accvgpr_write_b32 a11, v5
	;; [unrolled: 1-line block ×4, first 2 shown]
	s_waitcnt vmcnt(0) lgkmcnt(0)
	v_and_b32_e32 v2, 0xffff, v3
	v_cmp_ne_u16_sdwa vcc, v3, v39 src0_sel:BYTE_0 src1_sel:DWORD
	s_and_saveexec_b64 s[34:35], vcc
	s_cbranch_execz .LBB247_136
; %bb.131:                              ;   in Loop: Header=BB247_10 Depth=1
	v_bfrev_b32_e32 v4, 1
	v_mov_b32_e32 v5, 0
	v_accvgpr_write_b32 a11, v5
	v_cmp_ne_u16_sdwa vcc, v2, s19 src0_sel:BYTE_0 src1_sel:DWORD
	v_accvgpr_write_b32 a10, v4
	s_and_saveexec_b64 s[36:37], vcc
	s_cbranch_execz .LBB247_135
; %bb.132:                              ;   in Loop: Header=BB247_10 Depth=1
	v_mov_b32_e32 v4, 0x7f800001
	v_mov_b32_e32 v5, 0
	v_and_b32_e32 v3, 0x7f, v2
	v_accvgpr_write_b32 a11, v5
	v_cmp_ne_u32_e32 vcc, s41, v3
	v_accvgpr_write_b32 a10, v4
	s_and_saveexec_b64 s[38:39], vcc
	s_cbranch_execz .LBB247_134
; %bb.133:                              ;   in Loop: Header=BB247_10 Depth=1
	v_and_b32_e32 v4, 7, v2
	v_lshrrev_b32_e32 v5, 3, v3
	v_cmp_gt_u32_e32 vcc, 8, v3
	v_ffbh_u32_e32 v3, v4
	v_min_u32_e32 v3, 32, v3
	v_subrev_u32_e32 v6, 28, v3
	v_lshlrev_b64 v[6:7], v6, v[2:3]
	v_sub_u32_e32 v3, 29, v3
	v_and_b32_e32 v6, 7, v6
	v_cndmask_b32_e32 v3, v5, v3, vcc
	v_cndmask_b32_e32 v4, v4, v6, vcc
	v_bfrev_b32_e32 v6, 60
	v_lshlrev_b32_e32 v4, 20, v4
	v_and_b32_sdwa v5, sext(v2), s25 dst_sel:DWORD dst_unused:UNUSED_PAD src0_sel:BYTE_0 src1_sel:DWORD
	v_lshl_add_u32 v3, v3, 23, v6
	v_or3_b32 v38, v5, v3, v4
	v_accvgpr_write_b32 a10, v38
	v_accvgpr_write_b32 a11, v39
	v_accvgpr_read_b32 v41, a62
.LBB247_134:                            ;   in Loop: Header=BB247_10 Depth=1
	s_or_b64 exec, exec, s[38:39]
.LBB247_135:                            ;   in Loop: Header=BB247_10 Depth=1
	s_or_b64 exec, exec, s[36:37]
.LBB247_136:                            ;   in Loop: Header=BB247_10 Depth=1
	s_or_b64 exec, exec, s[34:35]
	v_cmp_ne_u16_sdwa vcc, v2, v39 src0_sel:BYTE_1 src1_sel:DWORD
	s_and_saveexec_b64 s[34:35], vcc
	s_cbranch_execz .LBB247_142
; %bb.137:                              ;   in Loop: Header=BB247_10 Depth=1
	v_accvgpr_write_b32 a8, s24
	v_cmp_ne_u16_sdwa vcc, v2, s19 src0_sel:BYTE_1 src1_sel:DWORD
	v_accvgpr_write_b32 a9, s25
	s_and_saveexec_b64 s[36:37], vcc
	s_cbranch_execz .LBB247_141
; %bb.138:                              ;   in Loop: Header=BB247_10 Depth=1
	s_mov_b32 s30, s24
	v_and_b32_sdwa v3, v2, s41 dst_sel:DWORD dst_unused:UNUSED_PAD src0_sel:BYTE_1 src1_sel:DWORD
	v_accvgpr_write_b32 a8, s30
	v_cmp_ne_u32_e32 vcc, s41, v3
	v_accvgpr_write_b32 a9, s31
	s_and_saveexec_b64 s[38:39], vcc
	s_cbranch_execz .LBB247_140
; %bb.139:                              ;   in Loop: Header=BB247_10 Depth=1
	v_mov_b32_e32 v4, 7
	v_and_b32_sdwa v38, v2, v4 dst_sel:DWORD dst_unused:UNUSED_PAD src0_sel:BYTE_1 src1_sel:DWORD
	v_lshrrev_b32_e32 v4, 3, v3
	v_cmp_gt_u32_e32 vcc, 8, v3
	v_ffbh_u32_e32 v3, v38
	v_min_u32_e32 v3, 32, v3
	v_subrev_u32_e32 v5, 28, v3
	v_lshlrev_b64 v[6:7], v5, v[38:39]
	v_sub_u32_e32 v3, 29, v3
	v_and_b32_e32 v5, 7, v6
	v_cndmask_b32_e32 v3, v4, v3, vcc
	v_cndmask_b32_e32 v4, v38, v5, vcc
	v_bfrev_b32_e32 v5, 60
	v_lshlrev_b32_e32 v2, 16, v2
	v_lshl_add_u32 v3, v3, 23, v5
	v_and_or_b32 v2, v2, s25, v3
	v_lshlrev_b32_e32 v3, 20, v4
	v_or_b32_e32 v3, v2, v3
	v_mov_b32_e32 v2, v39
	v_accvgpr_write_b32 a9, v3
	v_accvgpr_read_b32 v41, a62
	v_accvgpr_write_b32 a8, v2
.LBB247_140:                            ;   in Loop: Header=BB247_10 Depth=1
	s_or_b64 exec, exec, s[38:39]
.LBB247_141:                            ;   in Loop: Header=BB247_10 Depth=1
	s_or_b64 exec, exec, s[36:37]
.LBB247_142:                            ;   in Loop: Header=BB247_10 Depth=1
	s_or_b64 exec, exec, s[34:35]
	flat_load_ushort v1, v[0:1] offset:12
	v_pk_mov_b32 v[2:3], 0, 0
	v_accvgpr_write_b32 a31, v3
	v_accvgpr_write_b32 a33, v3
	;; [unrolled: 1-line block ×4, first 2 shown]
	s_waitcnt vmcnt(0) lgkmcnt(0)
	v_and_b32_e32 v0, 0xffff, v1
	v_cmp_ne_u16_sdwa vcc, v1, v39 src0_sel:BYTE_0 src1_sel:DWORD
	s_and_saveexec_b64 s[34:35], vcc
	s_cbranch_execz .LBB247_148
; %bb.143:                              ;   in Loop: Header=BB247_10 Depth=1
	v_bfrev_b32_e32 v2, 1
	v_mov_b32_e32 v3, 0
	v_accvgpr_write_b32 a33, v3
	v_cmp_ne_u16_sdwa vcc, v0, s19 src0_sel:BYTE_0 src1_sel:DWORD
	v_accvgpr_write_b32 a32, v2
	s_and_saveexec_b64 s[36:37], vcc
	s_cbranch_execz .LBB247_147
; %bb.144:                              ;   in Loop: Header=BB247_10 Depth=1
	v_mov_b32_e32 v2, 0x7f800001
	v_mov_b32_e32 v3, 0
	v_and_b32_e32 v1, 0x7f, v0
	v_accvgpr_write_b32 a33, v3
	v_cmp_ne_u32_e32 vcc, s41, v1
	v_accvgpr_write_b32 a32, v2
	s_and_saveexec_b64 s[38:39], vcc
	s_cbranch_execz .LBB247_146
; %bb.145:                              ;   in Loop: Header=BB247_10 Depth=1
	v_and_b32_e32 v4, 7, v0
	v_lshrrev_b32_e32 v5, 3, v1
	v_cmp_gt_u32_e32 vcc, 8, v1
	v_ffbh_u32_e32 v1, v4
	v_min_u32_e32 v1, 32, v1
	v_subrev_u32_e32 v2, 28, v1
	v_lshlrev_b64 v[2:3], v2, v[0:1]
	v_sub_u32_e32 v1, 29, v1
	v_and_b32_e32 v2, 7, v2
	v_cndmask_b32_e32 v1, v5, v1, vcc
	v_cndmask_b32_e32 v2, v4, v2, vcc
	v_bfrev_b32_e32 v4, 60
	v_lshlrev_b32_e32 v2, 20, v2
	v_and_b32_sdwa v3, sext(v0), s25 dst_sel:DWORD dst_unused:UNUSED_PAD src0_sel:BYTE_0 src1_sel:DWORD
	v_lshl_add_u32 v1, v1, 23, v4
	v_or3_b32 v38, v3, v1, v2
	v_accvgpr_write_b32 a32, v38
	v_accvgpr_write_b32 a33, v39
	v_accvgpr_read_b32 v41, a62
.LBB247_146:                            ;   in Loop: Header=BB247_10 Depth=1
	s_or_b64 exec, exec, s[38:39]
.LBB247_147:                            ;   in Loop: Header=BB247_10 Depth=1
	s_or_b64 exec, exec, s[36:37]
.LBB247_148:                            ;   in Loop: Header=BB247_10 Depth=1
	s_or_b64 exec, exec, s[34:35]
	v_cmp_ne_u16_sdwa vcc, v0, v39 src0_sel:BYTE_1 src1_sel:DWORD
	s_and_saveexec_b64 s[34:35], vcc
	s_cbranch_execz .LBB247_154
; %bb.149:                              ;   in Loop: Header=BB247_10 Depth=1
	v_accvgpr_write_b32 a31, s25
	v_cmp_ne_u16_sdwa vcc, v0, s19 src0_sel:BYTE_1 src1_sel:DWORD
	v_accvgpr_write_b32 a30, s24
	s_and_saveexec_b64 s[36:37], vcc
	s_cbranch_execz .LBB247_153
; %bb.150:                              ;   in Loop: Header=BB247_10 Depth=1
	s_mov_b32 s30, s24
	v_and_b32_sdwa v1, v0, s41 dst_sel:DWORD dst_unused:UNUSED_PAD src0_sel:BYTE_1 src1_sel:DWORD
	v_accvgpr_write_b32 a30, s30
	v_cmp_ne_u32_e32 vcc, s41, v1
	v_accvgpr_write_b32 a31, s31
	s_and_saveexec_b64 s[38:39], vcc
	s_cbranch_execz .LBB247_152
; %bb.151:                              ;   in Loop: Header=BB247_10 Depth=1
	v_mov_b32_e32 v2, 7
	v_and_b32_sdwa v38, v0, v2 dst_sel:DWORD dst_unused:UNUSED_PAD src0_sel:BYTE_1 src1_sel:DWORD
	v_lshrrev_b32_e32 v4, 3, v1
	v_cmp_gt_u32_e32 vcc, 8, v1
	v_ffbh_u32_e32 v1, v38
	v_min_u32_e32 v1, 32, v1
	v_subrev_u32_e32 v2, 28, v1
	v_lshlrev_b64 v[2:3], v2, v[38:39]
	v_sub_u32_e32 v1, 29, v1
	v_and_b32_e32 v2, 7, v2
	v_cndmask_b32_e32 v1, v4, v1, vcc
	v_bfrev_b32_e32 v3, 60
	v_cndmask_b32_e32 v2, v38, v2, vcc
	v_lshlrev_b32_e32 v0, 16, v0
	v_lshl_add_u32 v1, v1, 23, v3
	v_and_or_b32 v0, v0, s25, v1
	v_lshlrev_b32_e32 v1, 20, v2
	v_or_b32_e32 v1, v0, v1
	v_mov_b32_e32 v0, v39
	v_accvgpr_write_b32 a31, v1
	v_accvgpr_read_b32 v41, a62
	v_accvgpr_write_b32 a30, v0
.LBB247_152:                            ;   in Loop: Header=BB247_10 Depth=1
	s_or_b64 exec, exec, s[38:39]
.LBB247_153:                            ;   in Loop: Header=BB247_10 Depth=1
	s_or_b64 exec, exec, s[36:37]
.LBB247_154:                            ;   in Loop: Header=BB247_10 Depth=1
	s_or_b64 exec, exec, s[34:35]
	flat_load_ushort v1, v[32:33] offset:1536
	v_pk_mov_b32 v[2:3], 0, 0
	v_accvgpr_write_b32 a35, v3
	v_accvgpr_write_b32 a37, v3
	;; [unrolled: 1-line block ×4, first 2 shown]
	s_waitcnt vmcnt(0) lgkmcnt(0)
	v_and_b32_e32 v0, 0xffff, v1
	v_cmp_ne_u16_sdwa vcc, v1, v39 src0_sel:BYTE_0 src1_sel:DWORD
	s_and_saveexec_b64 s[34:35], vcc
	s_cbranch_execz .LBB247_160
; %bb.155:                              ;   in Loop: Header=BB247_10 Depth=1
	v_bfrev_b32_e32 v2, 1
	v_mov_b32_e32 v3, 0
	v_accvgpr_write_b32 a37, v3
	v_cmp_ne_u16_sdwa vcc, v0, s19 src0_sel:BYTE_0 src1_sel:DWORD
	v_accvgpr_write_b32 a36, v2
	s_and_saveexec_b64 s[36:37], vcc
	s_cbranch_execz .LBB247_159
; %bb.156:                              ;   in Loop: Header=BB247_10 Depth=1
	v_mov_b32_e32 v2, 0x7f800001
	v_mov_b32_e32 v3, 0
	v_and_b32_e32 v1, 0x7f, v0
	v_accvgpr_write_b32 a37, v3
	v_cmp_ne_u32_e32 vcc, s41, v1
	v_accvgpr_write_b32 a36, v2
	s_and_saveexec_b64 s[38:39], vcc
	s_cbranch_execz .LBB247_158
; %bb.157:                              ;   in Loop: Header=BB247_10 Depth=1
	v_and_b32_e32 v4, 7, v0
	v_lshrrev_b32_e32 v5, 3, v1
	v_cmp_gt_u32_e32 vcc, 8, v1
	v_ffbh_u32_e32 v1, v4
	v_min_u32_e32 v1, 32, v1
	v_subrev_u32_e32 v2, 28, v1
	v_lshlrev_b64 v[2:3], v2, v[0:1]
	v_sub_u32_e32 v1, 29, v1
	v_and_b32_e32 v2, 7, v2
	v_cndmask_b32_e32 v1, v5, v1, vcc
	v_cndmask_b32_e32 v2, v4, v2, vcc
	v_bfrev_b32_e32 v4, 60
	v_lshlrev_b32_e32 v2, 20, v2
	v_and_b32_sdwa v3, sext(v0), s25 dst_sel:DWORD dst_unused:UNUSED_PAD src0_sel:BYTE_0 src1_sel:DWORD
	v_lshl_add_u32 v1, v1, 23, v4
	v_or3_b32 v38, v3, v1, v2
	v_accvgpr_write_b32 a36, v38
	v_accvgpr_write_b32 a37, v39
	v_accvgpr_read_b32 v41, a62
.LBB247_158:                            ;   in Loop: Header=BB247_10 Depth=1
	s_or_b64 exec, exec, s[38:39]
.LBB247_159:                            ;   in Loop: Header=BB247_10 Depth=1
	s_or_b64 exec, exec, s[36:37]
.LBB247_160:                            ;   in Loop: Header=BB247_10 Depth=1
	s_or_b64 exec, exec, s[34:35]
	v_cmp_ne_u16_sdwa vcc, v0, v39 src0_sel:BYTE_1 src1_sel:DWORD
	s_and_saveexec_b64 s[34:35], vcc
	s_cbranch_execz .LBB247_166
; %bb.161:                              ;   in Loop: Header=BB247_10 Depth=1
	v_accvgpr_write_b32 a35, s25
	v_cmp_ne_u16_sdwa vcc, v0, s19 src0_sel:BYTE_1 src1_sel:DWORD
	v_accvgpr_write_b32 a34, s24
	s_and_saveexec_b64 s[36:37], vcc
	s_cbranch_execz .LBB247_165
; %bb.162:                              ;   in Loop: Header=BB247_10 Depth=1
	v_and_b32_sdwa v1, v0, s41 dst_sel:DWORD dst_unused:UNUSED_PAD src0_sel:BYTE_1 src1_sel:DWORD
	s_mov_b32 s30, s24
	v_accvgpr_write_b32 a35, s31
	v_cmp_ne_u32_e32 vcc, s41, v1
	v_accvgpr_write_b32 a34, s30
	s_and_saveexec_b64 s[38:39], vcc
	s_cbranch_execz .LBB247_164
; %bb.163:                              ;   in Loop: Header=BB247_10 Depth=1
	v_mov_b32_e32 v2, 7
	v_and_b32_sdwa v38, v0, v2 dst_sel:DWORD dst_unused:UNUSED_PAD src0_sel:BYTE_1 src1_sel:DWORD
	v_lshrrev_b32_e32 v4, 3, v1
	v_cmp_gt_u32_e32 vcc, 8, v1
	v_ffbh_u32_e32 v1, v38
	v_min_u32_e32 v1, 32, v1
	v_subrev_u32_e32 v2, 28, v1
	v_lshlrev_b64 v[2:3], v2, v[38:39]
	v_sub_u32_e32 v1, 29, v1
	v_and_b32_e32 v2, 7, v2
	v_cndmask_b32_e32 v1, v4, v1, vcc
	v_bfrev_b32_e32 v3, 60
	v_cndmask_b32_e32 v2, v38, v2, vcc
	v_lshlrev_b32_e32 v0, 16, v0
	v_lshl_add_u32 v1, v1, 23, v3
	v_and_or_b32 v0, v0, s25, v1
	v_lshlrev_b32_e32 v1, 20, v2
	v_or_b32_e32 v1, v0, v1
	v_mov_b32_e32 v0, v39
	v_accvgpr_write_b32 a35, v1
	v_accvgpr_read_b32 v41, a62
	v_accvgpr_write_b32 a34, v0
.LBB247_164:                            ;   in Loop: Header=BB247_10 Depth=1
	s_or_b64 exec, exec, s[38:39]
.LBB247_165:                            ;   in Loop: Header=BB247_10 Depth=1
	s_or_b64 exec, exec, s[36:37]
.LBB247_166:                            ;   in Loop: Header=BB247_10 Depth=1
	s_or_b64 exec, exec, s[34:35]
	flat_load_ushort v1, v[32:33] offset:1540
	v_pk_mov_b32 v[2:3], 0, 0
	v_accvgpr_write_b32 a25, v3
	v_accvgpr_write_b32 a24, v2
	s_waitcnt vmcnt(0) lgkmcnt(0)
	v_and_b32_e32 v0, 0xffff, v1
	v_cmp_ne_u16_sdwa vcc, v1, v39 src0_sel:BYTE_0 src1_sel:DWORD
	s_and_saveexec_b64 s[34:35], vcc
	s_cbranch_execz .LBB247_172
; %bb.167:                              ;   in Loop: Header=BB247_10 Depth=1
	v_bfrev_b32_e32 v4, 1
	v_mov_b32_e32 v5, 0
	v_accvgpr_write_b32 a25, v5
	v_cmp_ne_u16_sdwa vcc, v0, s19 src0_sel:BYTE_0 src1_sel:DWORD
	v_accvgpr_write_b32 a24, v4
	s_and_saveexec_b64 s[36:37], vcc
	s_cbranch_execz .LBB247_171
; %bb.168:                              ;   in Loop: Header=BB247_10 Depth=1
	v_mov_b32_e32 v4, 0x7f800001
	v_mov_b32_e32 v5, 0
	v_and_b32_e32 v1, 0x7f, v0
	v_accvgpr_write_b32 a25, v5
	v_cmp_ne_u32_e32 vcc, s41, v1
	v_accvgpr_write_b32 a24, v4
	s_and_saveexec_b64 s[38:39], vcc
	s_cbranch_execz .LBB247_170
; %bb.169:                              ;   in Loop: Header=BB247_10 Depth=1
	v_and_b32_e32 v4, 7, v0
	v_lshrrev_b32_e32 v5, 3, v1
	v_cmp_gt_u32_e32 vcc, 8, v1
	v_ffbh_u32_e32 v1, v4
	v_min_u32_e32 v1, 32, v1
	v_subrev_u32_e32 v6, 28, v1
	v_lshlrev_b64 v[6:7], v6, v[0:1]
	v_sub_u32_e32 v1, 29, v1
	v_and_b32_e32 v6, 7, v6
	v_cndmask_b32_e32 v1, v5, v1, vcc
	v_cndmask_b32_e32 v4, v4, v6, vcc
	v_bfrev_b32_e32 v6, 60
	v_lshlrev_b32_e32 v4, 20, v4
	v_and_b32_sdwa v5, sext(v0), s25 dst_sel:DWORD dst_unused:UNUSED_PAD src0_sel:BYTE_0 src1_sel:DWORD
	v_lshl_add_u32 v1, v1, 23, v6
	v_or3_b32 v38, v5, v1, v4
	v_accvgpr_write_b32 a24, v38
	v_accvgpr_write_b32 a25, v39
	v_accvgpr_read_b32 v41, a62
.LBB247_170:                            ;   in Loop: Header=BB247_10 Depth=1
	s_or_b64 exec, exec, s[38:39]
.LBB247_171:                            ;   in Loop: Header=BB247_10 Depth=1
	s_or_b64 exec, exec, s[36:37]
.LBB247_172:                            ;   in Loop: Header=BB247_10 Depth=1
	s_or_b64 exec, exec, s[34:35]
	v_cmp_ne_u16_sdwa vcc, v0, v39 src0_sel:BYTE_1 src1_sel:DWORD
	s_and_saveexec_b64 s[34:35], vcc
	s_cbranch_execz .LBB247_178
; %bb.173:                              ;   in Loop: Header=BB247_10 Depth=1
	v_cmp_ne_u16_sdwa vcc, v0, s19 src0_sel:BYTE_1 src1_sel:DWORD
	v_pk_mov_b32 v[2:3], s[24:25], s[24:25] op_sel:[0,1]
	s_and_saveexec_b64 s[36:37], vcc
	s_cbranch_execz .LBB247_177
; %bb.174:                              ;   in Loop: Header=BB247_10 Depth=1
	v_and_b32_sdwa v1, v0, s41 dst_sel:DWORD dst_unused:UNUSED_PAD src0_sel:BYTE_1 src1_sel:DWORD
	s_mov_b32 s30, s24
	v_cmp_ne_u32_e32 vcc, s41, v1
	v_pk_mov_b32 v[2:3], s[30:31], s[30:31] op_sel:[0,1]
	s_and_saveexec_b64 s[38:39], vcc
	s_cbranch_execz .LBB247_176
; %bb.175:                              ;   in Loop: Header=BB247_10 Depth=1
	v_mov_b32_e32 v2, 7
	v_and_b32_sdwa v38, v0, v2 dst_sel:DWORD dst_unused:UNUSED_PAD src0_sel:BYTE_1 src1_sel:DWORD
	v_lshrrev_b32_e32 v4, 3, v1
	v_cmp_gt_u32_e32 vcc, 8, v1
	v_ffbh_u32_e32 v1, v38
	v_min_u32_e32 v1, 32, v1
	v_subrev_u32_e32 v2, 28, v1
	v_lshlrev_b64 v[2:3], v2, v[38:39]
	v_sub_u32_e32 v1, 29, v1
	v_and_b32_e32 v2, 7, v2
	v_cndmask_b32_e32 v1, v4, v1, vcc
	v_bfrev_b32_e32 v3, 60
	v_cndmask_b32_e32 v2, v38, v2, vcc
	v_lshlrev_b32_e32 v0, 16, v0
	v_lshl_add_u32 v1, v1, 23, v3
	v_and_or_b32 v0, v0, s25, v1
	v_lshlrev_b32_e32 v1, 20, v2
	v_accvgpr_read_b32 v41, a62
	v_or_b32_e32 v3, v0, v1
	v_mov_b32_e32 v2, v39
.LBB247_176:                            ;   in Loop: Header=BB247_10 Depth=1
	s_or_b64 exec, exec, s[38:39]
.LBB247_177:                            ;   in Loop: Header=BB247_10 Depth=1
	s_or_b64 exec, exec, s[36:37]
.LBB247_178:                            ;   in Loop: Header=BB247_10 Depth=1
	s_or_b64 exec, exec, s[34:35]
	v_add_co_u32_e32 v0, vcc, 0x600, v32
	v_addc_co_u32_e32 v1, vcc, 0, v33, vcc
	flat_load_ushort v4, v[0:1] offset:8
	v_pk_mov_b32 v[26:27], 0, 0
	v_accvgpr_write_b32 a59, v27
	v_accvgpr_write_b32 a58, v26
	s_waitcnt vmcnt(0) lgkmcnt(0)
	v_and_b32_e32 v6, 0xffff, v4
	v_cmp_ne_u16_sdwa vcc, v4, v39 src0_sel:BYTE_0 src1_sel:DWORD
	s_and_saveexec_b64 s[34:35], vcc
	s_cbranch_execz .LBB247_184
; %bb.179:                              ;   in Loop: Header=BB247_10 Depth=1
	v_bfrev_b32_e32 v4, 1
	v_mov_b32_e32 v5, 0
	v_accvgpr_write_b32 a59, v5
	v_cmp_ne_u16_sdwa vcc, v6, s19 src0_sel:BYTE_0 src1_sel:DWORD
	v_accvgpr_write_b32 a58, v4
	s_and_saveexec_b64 s[36:37], vcc
	s_cbranch_execz .LBB247_183
; %bb.180:                              ;   in Loop: Header=BB247_10 Depth=1
	v_mov_b32_e32 v4, 0x7f800001
	v_mov_b32_e32 v5, 0
	v_and_b32_e32 v7, 0x7f, v6
	v_accvgpr_write_b32 a59, v5
	v_cmp_ne_u32_e32 vcc, s41, v7
	v_accvgpr_write_b32 a58, v4
	s_and_saveexec_b64 s[38:39], vcc
	s_cbranch_execz .LBB247_182
; %bb.181:                              ;   in Loop: Header=BB247_10 Depth=1
	v_and_b32_e32 v4, 7, v6
	v_lshrrev_b32_e32 v5, 3, v7
	v_cmp_gt_u32_e32 vcc, 8, v7
	v_ffbh_u32_e32 v7, v4
	v_min_u32_e32 v7, 32, v7
	v_subrev_u32_e32 v8, 28, v7
	v_lshlrev_b64 v[8:9], v8, v[6:7]
	v_sub_u32_e32 v7, 29, v7
	v_and_b32_e32 v8, 7, v8
	v_cndmask_b32_e32 v5, v5, v7, vcc
	v_cndmask_b32_e32 v4, v4, v8, vcc
	v_bfrev_b32_e32 v8, 60
	v_lshlrev_b32_e32 v4, 20, v4
	v_and_b32_sdwa v7, sext(v6), s25 dst_sel:DWORD dst_unused:UNUSED_PAD src0_sel:BYTE_0 src1_sel:DWORD
	v_lshl_add_u32 v5, v5, 23, v8
	v_or3_b32 v38, v7, v5, v4
	v_accvgpr_write_b32 a59, v39
	v_accvgpr_write_b32 a58, v38
	v_accvgpr_read_b32 v41, a62
.LBB247_182:                            ;   in Loop: Header=BB247_10 Depth=1
	s_or_b64 exec, exec, s[38:39]
.LBB247_183:                            ;   in Loop: Header=BB247_10 Depth=1
	s_or_b64 exec, exec, s[36:37]
.LBB247_184:                            ;   in Loop: Header=BB247_10 Depth=1
	s_or_b64 exec, exec, s[34:35]
	v_cmp_ne_u16_sdwa vcc, v6, v39 src0_sel:BYTE_1 src1_sel:DWORD
	s_and_saveexec_b64 s[34:35], vcc
	s_cbranch_execz .LBB247_190
; %bb.185:                              ;   in Loop: Header=BB247_10 Depth=1
	v_cmp_ne_u16_sdwa vcc, v6, s19 src0_sel:BYTE_1 src1_sel:DWORD
	v_pk_mov_b32 v[26:27], s[24:25], s[24:25] op_sel:[0,1]
	s_and_saveexec_b64 s[36:37], vcc
	s_cbranch_execz .LBB247_189
; %bb.186:                              ;   in Loop: Header=BB247_10 Depth=1
	v_and_b32_sdwa v7, v6, s41 dst_sel:DWORD dst_unused:UNUSED_PAD src0_sel:BYTE_1 src1_sel:DWORD
	s_mov_b32 s30, s24
	v_cmp_ne_u32_e32 vcc, s41, v7
	v_pk_mov_b32 v[26:27], s[30:31], s[30:31] op_sel:[0,1]
	s_and_saveexec_b64 s[38:39], vcc
	s_cbranch_execz .LBB247_188
; %bb.187:                              ;   in Loop: Header=BB247_10 Depth=1
	v_mov_b32_e32 v4, 7
	v_and_b32_sdwa v38, v6, v4 dst_sel:DWORD dst_unused:UNUSED_PAD src0_sel:BYTE_1 src1_sel:DWORD
	v_ffbh_u32_e32 v5, v38
	v_min_u32_e32 v5, 32, v5
	v_lshrrev_b32_e32 v4, 3, v7
	v_cmp_gt_u32_e32 vcc, 8, v7
	v_subrev_u32_e32 v7, 28, v5
	v_lshlrev_b64 v[8:9], v7, v[38:39]
	v_sub_u32_e32 v5, 29, v5
	v_and_b32_e32 v7, 7, v8
	v_cndmask_b32_e32 v4, v4, v5, vcc
	v_cndmask_b32_e32 v5, v38, v7, vcc
	v_bfrev_b32_e32 v7, 60
	v_lshlrev_b32_e32 v6, 16, v6
	v_lshl_add_u32 v4, v4, 23, v7
	v_and_or_b32 v4, v6, s25, v4
	v_lshlrev_b32_e32 v5, 20, v5
	v_accvgpr_read_b32 v41, a62
	v_or_b32_e32 v27, v4, v5
	v_mov_b32_e32 v26, v39
.LBB247_188:                            ;   in Loop: Header=BB247_10 Depth=1
	s_or_b64 exec, exec, s[38:39]
.LBB247_189:                            ;   in Loop: Header=BB247_10 Depth=1
	s_or_b64 exec, exec, s[36:37]
.LBB247_190:                            ;   in Loop: Header=BB247_10 Depth=1
	s_or_b64 exec, exec, s[34:35]
	flat_load_ushort v1, v[0:1] offset:12
	v_pk_mov_b32 v[36:37], 0, 0
	v_accvgpr_write_b32 a12, v36
	v_accvgpr_write_b32 a13, v37
	s_waitcnt vmcnt(0) lgkmcnt(0)
	v_and_b32_e32 v0, 0xffff, v1
	v_cmp_ne_u16_sdwa vcc, v1, v39 src0_sel:BYTE_0 src1_sel:DWORD
	s_and_saveexec_b64 s[34:35], vcc
	s_cbranch_execz .LBB247_196
; %bb.191:                              ;   in Loop: Header=BB247_10 Depth=1
	v_bfrev_b32_e32 v4, 1
	v_mov_b32_e32 v5, 0
	v_accvgpr_write_b32 a13, v5
	v_cmp_ne_u16_sdwa vcc, v0, s19 src0_sel:BYTE_0 src1_sel:DWORD
	v_accvgpr_write_b32 a12, v4
	s_and_saveexec_b64 s[36:37], vcc
	s_cbranch_execz .LBB247_195
; %bb.192:                              ;   in Loop: Header=BB247_10 Depth=1
	v_mov_b32_e32 v4, 0x7f800001
	v_mov_b32_e32 v5, 0
	v_and_b32_e32 v1, 0x7f, v0
	v_accvgpr_write_b32 a13, v5
	v_cmp_ne_u32_e32 vcc, s41, v1
	v_accvgpr_write_b32 a12, v4
	s_and_saveexec_b64 s[38:39], vcc
	s_cbranch_execz .LBB247_194
; %bb.193:                              ;   in Loop: Header=BB247_10 Depth=1
	v_and_b32_e32 v4, 7, v0
	v_lshrrev_b32_e32 v5, 3, v1
	v_cmp_gt_u32_e32 vcc, 8, v1
	v_ffbh_u32_e32 v1, v4
	v_min_u32_e32 v1, 32, v1
	v_subrev_u32_e32 v6, 28, v1
	v_lshlrev_b64 v[6:7], v6, v[0:1]
	v_sub_u32_e32 v1, 29, v1
	v_and_b32_e32 v6, 7, v6
	v_cndmask_b32_e32 v1, v5, v1, vcc
	v_cndmask_b32_e32 v4, v4, v6, vcc
	v_bfrev_b32_e32 v6, 60
	v_lshlrev_b32_e32 v4, 20, v4
	v_and_b32_sdwa v5, sext(v0), s25 dst_sel:DWORD dst_unused:UNUSED_PAD src0_sel:BYTE_0 src1_sel:DWORD
	v_lshl_add_u32 v1, v1, 23, v6
	v_or3_b32 v38, v5, v1, v4
	v_accvgpr_write_b32 a12, v38
	v_accvgpr_write_b32 a13, v39
	v_accvgpr_read_b32 v41, a62
.LBB247_194:                            ;   in Loop: Header=BB247_10 Depth=1
	s_or_b64 exec, exec, s[38:39]
.LBB247_195:                            ;   in Loop: Header=BB247_10 Depth=1
	s_or_b64 exec, exec, s[36:37]
.LBB247_196:                            ;   in Loop: Header=BB247_10 Depth=1
	s_or_b64 exec, exec, s[34:35]
	v_cmp_ne_u16_sdwa vcc, v0, v39 src0_sel:BYTE_1 src1_sel:DWORD
	s_and_saveexec_b64 s[34:35], vcc
	s_cbranch_execz .LBB247_202
; %bb.197:                              ;   in Loop: Header=BB247_10 Depth=1
	v_cmp_ne_u16_sdwa vcc, v0, s19 src0_sel:BYTE_1 src1_sel:DWORD
	v_pk_mov_b32 v[36:37], s[24:25], s[24:25] op_sel:[0,1]
	s_and_saveexec_b64 s[36:37], vcc
	s_cbranch_execz .LBB247_201
; %bb.198:                              ;   in Loop: Header=BB247_10 Depth=1
	v_and_b32_sdwa v1, v0, s41 dst_sel:DWORD dst_unused:UNUSED_PAD src0_sel:BYTE_1 src1_sel:DWORD
	s_mov_b32 s30, s24
	v_cmp_ne_u32_e32 vcc, s41, v1
	v_pk_mov_b32 v[36:37], s[30:31], s[30:31] op_sel:[0,1]
	s_and_saveexec_b64 s[38:39], vcc
	s_cbranch_execz .LBB247_200
; %bb.199:                              ;   in Loop: Header=BB247_10 Depth=1
	v_mov_b32_e32 v4, 7
	v_and_b32_sdwa v38, v0, v4 dst_sel:DWORD dst_unused:UNUSED_PAD src0_sel:BYTE_1 src1_sel:DWORD
	v_lshrrev_b32_e32 v4, 3, v1
	v_cmp_gt_u32_e32 vcc, 8, v1
	v_ffbh_u32_e32 v1, v38
	v_min_u32_e32 v1, 32, v1
	v_subrev_u32_e32 v5, 28, v1
	v_lshlrev_b64 v[6:7], v5, v[38:39]
	v_sub_u32_e32 v1, 29, v1
	v_and_b32_e32 v5, 7, v6
	v_cndmask_b32_e32 v1, v4, v1, vcc
	v_cndmask_b32_e32 v4, v38, v5, vcc
	v_bfrev_b32_e32 v5, 60
	v_lshlrev_b32_e32 v0, 16, v0
	v_lshl_add_u32 v1, v1, 23, v5
	v_and_or_b32 v0, v0, s25, v1
	v_lshlrev_b32_e32 v1, 20, v4
	v_accvgpr_read_b32 v41, a62
	v_or_b32_e32 v37, v0, v1
	v_mov_b32_e32 v36, v39
.LBB247_200:                            ;   in Loop: Header=BB247_10 Depth=1
	s_or_b64 exec, exec, s[38:39]
.LBB247_201:                            ;   in Loop: Header=BB247_10 Depth=1
	s_or_b64 exec, exec, s[36:37]
.LBB247_202:                            ;   in Loop: Header=BB247_10 Depth=1
	s_or_b64 exec, exec, s[34:35]
	flat_load_ushort v1, v[32:33] offset:2048
	v_pk_mov_b32 v[52:53], 0, 0
	v_accvgpr_write_b32 a40, v52
	v_accvgpr_write_b32 a41, v53
	s_waitcnt vmcnt(0) lgkmcnt(0)
	v_and_b32_e32 v0, 0xffff, v1
	v_cmp_ne_u16_sdwa vcc, v1, v39 src0_sel:BYTE_0 src1_sel:DWORD
	s_and_saveexec_b64 s[34:35], vcc
	s_cbranch_execz .LBB247_208
; %bb.203:                              ;   in Loop: Header=BB247_10 Depth=1
	v_bfrev_b32_e32 v4, 1
	v_mov_b32_e32 v5, 0
	v_accvgpr_write_b32 a41, v5
	v_cmp_ne_u16_sdwa vcc, v0, s19 src0_sel:BYTE_0 src1_sel:DWORD
	v_accvgpr_write_b32 a40, v4
	s_and_saveexec_b64 s[36:37], vcc
	s_cbranch_execz .LBB247_207
; %bb.204:                              ;   in Loop: Header=BB247_10 Depth=1
	v_mov_b32_e32 v4, 0x7f800001
	v_mov_b32_e32 v5, 0
	v_and_b32_e32 v1, 0x7f, v0
	v_accvgpr_write_b32 a41, v5
	v_cmp_ne_u32_e32 vcc, s41, v1
	v_accvgpr_write_b32 a40, v4
	s_and_saveexec_b64 s[38:39], vcc
	s_cbranch_execz .LBB247_206
; %bb.205:                              ;   in Loop: Header=BB247_10 Depth=1
	v_and_b32_e32 v4, 7, v0
	v_lshrrev_b32_e32 v5, 3, v1
	v_cmp_gt_u32_e32 vcc, 8, v1
	v_ffbh_u32_e32 v1, v4
	v_min_u32_e32 v1, 32, v1
	v_subrev_u32_e32 v6, 28, v1
	v_lshlrev_b64 v[6:7], v6, v[0:1]
	v_sub_u32_e32 v1, 29, v1
	v_and_b32_e32 v6, 7, v6
	v_cndmask_b32_e32 v1, v5, v1, vcc
	v_cndmask_b32_e32 v4, v4, v6, vcc
	v_bfrev_b32_e32 v6, 60
	v_lshlrev_b32_e32 v4, 20, v4
	v_and_b32_sdwa v5, sext(v0), s25 dst_sel:DWORD dst_unused:UNUSED_PAD src0_sel:BYTE_0 src1_sel:DWORD
	v_lshl_add_u32 v1, v1, 23, v6
	v_or3_b32 v38, v5, v1, v4
	v_accvgpr_write_b32 a41, v39
	v_accvgpr_write_b32 a40, v38
	v_accvgpr_read_b32 v41, a62
.LBB247_206:                            ;   in Loop: Header=BB247_10 Depth=1
	s_or_b64 exec, exec, s[38:39]
.LBB247_207:                            ;   in Loop: Header=BB247_10 Depth=1
	s_or_b64 exec, exec, s[36:37]
.LBB247_208:                            ;   in Loop: Header=BB247_10 Depth=1
	s_or_b64 exec, exec, s[34:35]
	v_cmp_ne_u16_sdwa vcc, v0, v39 src0_sel:BYTE_1 src1_sel:DWORD
	s_and_saveexec_b64 s[34:35], vcc
	s_cbranch_execz .LBB247_214
; %bb.209:                              ;   in Loop: Header=BB247_10 Depth=1
	v_cmp_ne_u16_sdwa vcc, v0, s19 src0_sel:BYTE_1 src1_sel:DWORD
	v_pk_mov_b32 v[52:53], s[24:25], s[24:25] op_sel:[0,1]
	s_and_saveexec_b64 s[36:37], vcc
	s_cbranch_execz .LBB247_213
; %bb.210:                              ;   in Loop: Header=BB247_10 Depth=1
	v_and_b32_sdwa v1, v0, s41 dst_sel:DWORD dst_unused:UNUSED_PAD src0_sel:BYTE_1 src1_sel:DWORD
	s_mov_b32 s30, s24
	v_cmp_ne_u32_e32 vcc, s41, v1
	v_pk_mov_b32 v[52:53], s[30:31], s[30:31] op_sel:[0,1]
	s_and_saveexec_b64 s[38:39], vcc
	s_cbranch_execz .LBB247_212
; %bb.211:                              ;   in Loop: Header=BB247_10 Depth=1
	v_mov_b32_e32 v6, 7
	v_and_b32_sdwa v38, v0, v6 dst_sel:DWORD dst_unused:UNUSED_PAD src0_sel:BYTE_1 src1_sel:DWORD
	v_lshrrev_b32_e32 v8, 3, v1
	v_cmp_gt_u32_e32 vcc, 8, v1
	v_ffbh_u32_e32 v1, v38
	v_min_u32_e32 v1, 32, v1
	v_subrev_u32_e32 v6, 28, v1
	v_lshlrev_b64 v[6:7], v6, v[38:39]
	v_sub_u32_e32 v1, 29, v1
	v_and_b32_e32 v6, 7, v6
	v_cndmask_b32_e32 v1, v8, v1, vcc
	v_bfrev_b32_e32 v7, 60
	v_cndmask_b32_e32 v6, v38, v6, vcc
	v_lshlrev_b32_e32 v0, 16, v0
	v_lshl_add_u32 v1, v1, 23, v7
	v_and_or_b32 v0, v0, s25, v1
	v_lshlrev_b32_e32 v1, 20, v6
	v_accvgpr_read_b32 v41, a62
	v_or_b32_e32 v53, v0, v1
	v_mov_b32_e32 v52, v39
.LBB247_212:                            ;   in Loop: Header=BB247_10 Depth=1
	s_or_b64 exec, exec, s[38:39]
.LBB247_213:                            ;   in Loop: Header=BB247_10 Depth=1
	s_or_b64 exec, exec, s[36:37]
.LBB247_214:                            ;   in Loop: Header=BB247_10 Depth=1
	s_or_b64 exec, exec, s[34:35]
	flat_load_ushort v1, v[32:33] offset:2052
	v_pk_mov_b32 v[14:15], 0, 0
	v_pk_mov_b32 v[44:45], v[14:15], v[14:15] op_sel:[0,1]
	s_waitcnt vmcnt(0) lgkmcnt(0)
	v_and_b32_e32 v0, 0xffff, v1
	v_cmp_ne_u16_sdwa vcc, v1, v39 src0_sel:BYTE_0 src1_sel:DWORD
	s_and_saveexec_b64 s[34:35], vcc
	s_cbranch_execz .LBB247_220
; %bb.215:                              ;   in Loop: Header=BB247_10 Depth=1
	v_bfrev_b32_e32 v44, 1
	v_cmp_ne_u16_sdwa vcc, v0, s19 src0_sel:BYTE_0 src1_sel:DWORD
	v_mov_b32_e32 v45, 0
	s_and_saveexec_b64 s[36:37], vcc
	s_cbranch_execz .LBB247_219
; %bb.216:                              ;   in Loop: Header=BB247_10 Depth=1
	v_and_b32_e32 v1, 0x7f, v0
	v_mov_b32_e32 v44, 0x7f800001
	v_cmp_ne_u32_e32 vcc, s41, v1
	v_mov_b32_e32 v45, 0
	s_and_saveexec_b64 s[38:39], vcc
	s_cbranch_execz .LBB247_218
; %bb.217:                              ;   in Loop: Header=BB247_10 Depth=1
	v_and_b32_e32 v8, 7, v0
	v_lshrrev_b32_e32 v9, 3, v1
	v_cmp_gt_u32_e32 vcc, 8, v1
	v_ffbh_u32_e32 v1, v8
	v_min_u32_e32 v1, 32, v1
	v_subrev_u32_e32 v6, 28, v1
	v_lshlrev_b64 v[6:7], v6, v[0:1]
	v_sub_u32_e32 v1, 29, v1
	v_and_b32_e32 v6, 7, v6
	v_cndmask_b32_e32 v1, v9, v1, vcc
	v_cndmask_b32_e32 v6, v8, v6, vcc
	v_bfrev_b32_e32 v8, 60
	v_lshlrev_b32_e32 v6, 20, v6
	v_and_b32_sdwa v7, sext(v0), s25 dst_sel:DWORD dst_unused:UNUSED_PAD src0_sel:BYTE_0 src1_sel:DWORD
	v_lshl_add_u32 v1, v1, 23, v8
	v_or3_b32 v38, v7, v1, v6
	v_pk_mov_b32 v[44:45], v[38:39], v[38:39] op_sel:[0,1]
	v_accvgpr_read_b32 v41, a62
.LBB247_218:                            ;   in Loop: Header=BB247_10 Depth=1
	s_or_b64 exec, exec, s[38:39]
.LBB247_219:                            ;   in Loop: Header=BB247_10 Depth=1
	s_or_b64 exec, exec, s[36:37]
.LBB247_220:                            ;   in Loop: Header=BB247_10 Depth=1
	s_or_b64 exec, exec, s[34:35]
	v_cmp_ne_u16_sdwa vcc, v0, v39 src0_sel:BYTE_1 src1_sel:DWORD
	s_and_saveexec_b64 s[34:35], vcc
	s_cbranch_execz .LBB247_226
; %bb.221:                              ;   in Loop: Header=BB247_10 Depth=1
	v_cmp_ne_u16_sdwa vcc, v0, s19 src0_sel:BYTE_1 src1_sel:DWORD
	v_pk_mov_b32 v[14:15], s[24:25], s[24:25] op_sel:[0,1]
	s_and_saveexec_b64 s[36:37], vcc
	s_cbranch_execz .LBB247_225
; %bb.222:                              ;   in Loop: Header=BB247_10 Depth=1
	v_and_b32_sdwa v1, v0, s41 dst_sel:DWORD dst_unused:UNUSED_PAD src0_sel:BYTE_1 src1_sel:DWORD
	s_mov_b32 s30, s24
	v_cmp_ne_u32_e32 vcc, s41, v1
	v_pk_mov_b32 v[14:15], s[30:31], s[30:31] op_sel:[0,1]
	s_and_saveexec_b64 s[38:39], vcc
	s_cbranch_execz .LBB247_224
; %bb.223:                              ;   in Loop: Header=BB247_10 Depth=1
	v_mov_b32_e32 v6, 7
	v_and_b32_sdwa v38, v0, v6 dst_sel:DWORD dst_unused:UNUSED_PAD src0_sel:BYTE_1 src1_sel:DWORD
	v_lshrrev_b32_e32 v8, 3, v1
	v_cmp_gt_u32_e32 vcc, 8, v1
	v_ffbh_u32_e32 v1, v38
	v_min_u32_e32 v1, 32, v1
	v_subrev_u32_e32 v6, 28, v1
	v_lshlrev_b64 v[6:7], v6, v[38:39]
	v_sub_u32_e32 v1, 29, v1
	v_and_b32_e32 v6, 7, v6
	v_cndmask_b32_e32 v1, v8, v1, vcc
	v_bfrev_b32_e32 v7, 60
	v_cndmask_b32_e32 v6, v38, v6, vcc
	v_lshlrev_b32_e32 v0, 16, v0
	v_lshl_add_u32 v1, v1, 23, v7
	v_and_or_b32 v0, v0, s25, v1
	v_lshlrev_b32_e32 v1, 20, v6
	v_accvgpr_read_b32 v41, a62
	v_or_b32_e32 v15, v0, v1
	v_mov_b32_e32 v14, v39
.LBB247_224:                            ;   in Loop: Header=BB247_10 Depth=1
	s_or_b64 exec, exec, s[38:39]
.LBB247_225:                            ;   in Loop: Header=BB247_10 Depth=1
	s_or_b64 exec, exec, s[36:37]
.LBB247_226:                            ;   in Loop: Header=BB247_10 Depth=1
	s_or_b64 exec, exec, s[34:35]
	v_add_co_u32_e32 v0, vcc, 0x800, v32
	v_addc_co_u32_e32 v1, vcc, 0, v33, vcc
	flat_load_ushort v7, v[0:1] offset:8
	v_pk_mov_b32 v[24:25], 0, 0
	v_pk_mov_b32 v[56:57], v[24:25], v[24:25] op_sel:[0,1]
	s_waitcnt vmcnt(0) lgkmcnt(0)
	v_and_b32_e32 v6, 0xffff, v7
	v_cmp_ne_u16_sdwa vcc, v7, v39 src0_sel:BYTE_0 src1_sel:DWORD
	s_and_saveexec_b64 s[34:35], vcc
	s_cbranch_execz .LBB247_232
; %bb.227:                              ;   in Loop: Header=BB247_10 Depth=1
	v_bfrev_b32_e32 v56, 1
	v_cmp_ne_u16_sdwa vcc, v6, s19 src0_sel:BYTE_0 src1_sel:DWORD
	v_mov_b32_e32 v57, 0
	s_and_saveexec_b64 s[36:37], vcc
	s_cbranch_execz .LBB247_231
; %bb.228:                              ;   in Loop: Header=BB247_10 Depth=1
	v_and_b32_e32 v7, 0x7f, v6
	v_mov_b32_e32 v56, 0x7f800001
	v_cmp_ne_u32_e32 vcc, s41, v7
	v_mov_b32_e32 v57, 0
	s_and_saveexec_b64 s[38:39], vcc
	s_cbranch_execz .LBB247_230
; %bb.229:                              ;   in Loop: Header=BB247_10 Depth=1
	v_and_b32_e32 v10, 7, v6
	v_lshrrev_b32_e32 v11, 3, v7
	v_cmp_gt_u32_e32 vcc, 8, v7
	v_ffbh_u32_e32 v7, v10
	v_min_u32_e32 v7, 32, v7
	v_subrev_u32_e32 v8, 28, v7
	v_lshlrev_b64 v[8:9], v8, v[6:7]
	v_sub_u32_e32 v7, 29, v7
	v_and_b32_e32 v8, 7, v8
	v_cndmask_b32_e32 v7, v11, v7, vcc
	v_cndmask_b32_e32 v8, v10, v8, vcc
	v_bfrev_b32_e32 v10, 60
	v_lshlrev_b32_e32 v8, 20, v8
	v_and_b32_sdwa v9, sext(v6), s25 dst_sel:DWORD dst_unused:UNUSED_PAD src0_sel:BYTE_0 src1_sel:DWORD
	v_lshl_add_u32 v7, v7, 23, v10
	v_or3_b32 v38, v9, v7, v8
	v_pk_mov_b32 v[56:57], v[38:39], v[38:39] op_sel:[0,1]
	v_accvgpr_read_b32 v41, a62
.LBB247_230:                            ;   in Loop: Header=BB247_10 Depth=1
	s_or_b64 exec, exec, s[38:39]
.LBB247_231:                            ;   in Loop: Header=BB247_10 Depth=1
	s_or_b64 exec, exec, s[36:37]
.LBB247_232:                            ;   in Loop: Header=BB247_10 Depth=1
	s_or_b64 exec, exec, s[34:35]
	v_cmp_ne_u16_sdwa vcc, v6, v39 src0_sel:BYTE_1 src1_sel:DWORD
	s_and_saveexec_b64 s[34:35], vcc
	s_cbranch_execz .LBB247_238
; %bb.233:                              ;   in Loop: Header=BB247_10 Depth=1
	v_cmp_ne_u16_sdwa vcc, v6, s19 src0_sel:BYTE_1 src1_sel:DWORD
	v_pk_mov_b32 v[24:25], s[24:25], s[24:25] op_sel:[0,1]
	s_and_saveexec_b64 s[36:37], vcc
	s_cbranch_execz .LBB247_237
; %bb.234:                              ;   in Loop: Header=BB247_10 Depth=1
	v_and_b32_sdwa v7, v6, s41 dst_sel:DWORD dst_unused:UNUSED_PAD src0_sel:BYTE_1 src1_sel:DWORD
	s_mov_b32 s30, s24
	v_cmp_ne_u32_e32 vcc, s41, v7
	v_pk_mov_b32 v[24:25], s[30:31], s[30:31] op_sel:[0,1]
	s_and_saveexec_b64 s[38:39], vcc
	s_cbranch_execz .LBB247_236
; %bb.235:                              ;   in Loop: Header=BB247_10 Depth=1
	v_mov_b32_e32 v8, 7
	v_and_b32_sdwa v38, v6, v8 dst_sel:DWORD dst_unused:UNUSED_PAD src0_sel:BYTE_1 src1_sel:DWORD
	v_lshrrev_b32_e32 v10, 3, v7
	v_cmp_gt_u32_e32 vcc, 8, v7
	v_ffbh_u32_e32 v7, v38
	v_min_u32_e32 v7, 32, v7
	v_subrev_u32_e32 v8, 28, v7
	v_lshlrev_b64 v[8:9], v8, v[38:39]
	v_sub_u32_e32 v7, 29, v7
	v_and_b32_e32 v8, 7, v8
	v_cndmask_b32_e32 v7, v10, v7, vcc
	v_bfrev_b32_e32 v9, 60
	v_cndmask_b32_e32 v8, v38, v8, vcc
	v_lshlrev_b32_e32 v6, 16, v6
	v_lshl_add_u32 v7, v7, 23, v9
	v_and_or_b32 v6, v6, s25, v7
	v_lshlrev_b32_e32 v7, 20, v8
	v_accvgpr_read_b32 v41, a62
	v_or_b32_e32 v25, v6, v7
	v_mov_b32_e32 v24, v39
.LBB247_236:                            ;   in Loop: Header=BB247_10 Depth=1
	s_or_b64 exec, exec, s[38:39]
.LBB247_237:                            ;   in Loop: Header=BB247_10 Depth=1
	s_or_b64 exec, exec, s[36:37]
.LBB247_238:                            ;   in Loop: Header=BB247_10 Depth=1
	s_or_b64 exec, exec, s[34:35]
	flat_load_ushort v1, v[0:1] offset:12
	v_pk_mov_b32 v[28:29], 0, 0
	v_pk_mov_b32 v[6:7], v[28:29], v[28:29] op_sel:[0,1]
	s_waitcnt vmcnt(0) lgkmcnt(0)
	v_and_b32_e32 v0, 0xffff, v1
	v_cmp_ne_u16_sdwa vcc, v1, v39 src0_sel:BYTE_0 src1_sel:DWORD
	s_and_saveexec_b64 s[34:35], vcc
	s_cbranch_execz .LBB247_244
; %bb.239:                              ;   in Loop: Header=BB247_10 Depth=1
	v_bfrev_b32_e32 v6, 1
	v_cmp_ne_u16_sdwa vcc, v0, s19 src0_sel:BYTE_0 src1_sel:DWORD
	v_mov_b32_e32 v7, 0
	s_and_saveexec_b64 s[36:37], vcc
	s_cbranch_execz .LBB247_243
; %bb.240:                              ;   in Loop: Header=BB247_10 Depth=1
	v_and_b32_e32 v1, 0x7f, v0
	v_mov_b32_e32 v6, 0x7f800001
	v_cmp_ne_u32_e32 vcc, s41, v1
	v_mov_b32_e32 v7, 0
	s_and_saveexec_b64 s[38:39], vcc
	s_cbranch_execz .LBB247_242
; %bb.241:                              ;   in Loop: Header=BB247_10 Depth=1
	v_and_b32_e32 v8, 7, v0
	v_lshrrev_b32_e32 v9, 3, v1
	v_cmp_gt_u32_e32 vcc, 8, v1
	v_ffbh_u32_e32 v1, v8
	v_min_u32_e32 v1, 32, v1
	v_subrev_u32_e32 v6, 28, v1
	v_lshlrev_b64 v[6:7], v6, v[0:1]
	v_sub_u32_e32 v1, 29, v1
	v_and_b32_e32 v6, 7, v6
	v_cndmask_b32_e32 v1, v9, v1, vcc
	v_cndmask_b32_e32 v6, v8, v6, vcc
	v_bfrev_b32_e32 v8, 60
	v_lshlrev_b32_e32 v6, 20, v6
	v_and_b32_sdwa v7, sext(v0), s25 dst_sel:DWORD dst_unused:UNUSED_PAD src0_sel:BYTE_0 src1_sel:DWORD
	v_lshl_add_u32 v1, v1, 23, v8
	v_or3_b32 v38, v7, v1, v6
	v_pk_mov_b32 v[6:7], v[38:39], v[38:39] op_sel:[0,1]
	v_accvgpr_read_b32 v41, a62
.LBB247_242:                            ;   in Loop: Header=BB247_10 Depth=1
	s_or_b64 exec, exec, s[38:39]
.LBB247_243:                            ;   in Loop: Header=BB247_10 Depth=1
	s_or_b64 exec, exec, s[36:37]
.LBB247_244:                            ;   in Loop: Header=BB247_10 Depth=1
	s_or_b64 exec, exec, s[34:35]
	v_cmp_ne_u16_sdwa vcc, v0, v39 src0_sel:BYTE_1 src1_sel:DWORD
	s_and_saveexec_b64 s[34:35], vcc
	s_cbranch_execz .LBB247_250
; %bb.245:                              ;   in Loop: Header=BB247_10 Depth=1
	v_cmp_ne_u16_sdwa vcc, v0, s19 src0_sel:BYTE_1 src1_sel:DWORD
	v_pk_mov_b32 v[28:29], s[24:25], s[24:25] op_sel:[0,1]
	s_and_saveexec_b64 s[36:37], vcc
	s_cbranch_execz .LBB247_249
; %bb.246:                              ;   in Loop: Header=BB247_10 Depth=1
	v_and_b32_sdwa v1, v0, s41 dst_sel:DWORD dst_unused:UNUSED_PAD src0_sel:BYTE_1 src1_sel:DWORD
	s_mov_b32 s30, s24
	v_cmp_ne_u32_e32 vcc, s41, v1
	v_pk_mov_b32 v[28:29], s[30:31], s[30:31] op_sel:[0,1]
	s_and_saveexec_b64 s[38:39], vcc
	s_cbranch_execz .LBB247_248
; %bb.247:                              ;   in Loop: Header=BB247_10 Depth=1
	v_mov_b32_e32 v8, 7
	v_and_b32_sdwa v38, v0, v8 dst_sel:DWORD dst_unused:UNUSED_PAD src0_sel:BYTE_1 src1_sel:DWORD
	v_lshrrev_b32_e32 v10, 3, v1
	v_cmp_gt_u32_e32 vcc, 8, v1
	v_ffbh_u32_e32 v1, v38
	v_min_u32_e32 v1, 32, v1
	v_subrev_u32_e32 v8, 28, v1
	v_lshlrev_b64 v[8:9], v8, v[38:39]
	v_sub_u32_e32 v1, 29, v1
	v_and_b32_e32 v8, 7, v8
	v_cndmask_b32_e32 v1, v10, v1, vcc
	v_bfrev_b32_e32 v9, 60
	v_cndmask_b32_e32 v8, v38, v8, vcc
	v_lshlrev_b32_e32 v0, 16, v0
	v_lshl_add_u32 v1, v1, 23, v9
	v_and_or_b32 v0, v0, s25, v1
	v_lshlrev_b32_e32 v1, 20, v8
	v_accvgpr_read_b32 v41, a62
	v_or_b32_e32 v29, v0, v1
	v_mov_b32_e32 v28, v39
.LBB247_248:                            ;   in Loop: Header=BB247_10 Depth=1
	s_or_b64 exec, exec, s[38:39]
.LBB247_249:                            ;   in Loop: Header=BB247_10 Depth=1
	s_or_b64 exec, exec, s[36:37]
.LBB247_250:                            ;   in Loop: Header=BB247_10 Depth=1
	s_or_b64 exec, exec, s[34:35]
	flat_load_ushort v1, v[32:33] offset:2560
	v_pk_mov_b32 v[34:35], 0, 0
	v_pk_mov_b32 v[4:5], v[34:35], v[34:35] op_sel:[0,1]
	s_waitcnt vmcnt(0) lgkmcnt(0)
	v_and_b32_e32 v0, 0xffff, v1
	v_cmp_ne_u16_sdwa vcc, v1, v39 src0_sel:BYTE_0 src1_sel:DWORD
	s_and_saveexec_b64 s[34:35], vcc
	s_cbranch_execz .LBB247_256
; %bb.251:                              ;   in Loop: Header=BB247_10 Depth=1
	v_bfrev_b32_e32 v4, 1
	v_cmp_ne_u16_sdwa vcc, v0, s19 src0_sel:BYTE_0 src1_sel:DWORD
	v_mov_b32_e32 v5, 0
	s_and_saveexec_b64 s[36:37], vcc
	s_cbranch_execz .LBB247_255
; %bb.252:                              ;   in Loop: Header=BB247_10 Depth=1
	v_and_b32_e32 v1, 0x7f, v0
	v_mov_b32_e32 v4, 0x7f800001
	v_cmp_ne_u32_e32 vcc, s41, v1
	v_mov_b32_e32 v5, 0
	s_and_saveexec_b64 s[38:39], vcc
	s_cbranch_execz .LBB247_254
; %bb.253:                              ;   in Loop: Header=BB247_10 Depth=1
	v_and_b32_e32 v10, 7, v0
	v_lshrrev_b32_e32 v11, 3, v1
	v_cmp_gt_u32_e32 vcc, 8, v1
	v_ffbh_u32_e32 v1, v10
	v_min_u32_e32 v1, 32, v1
	v_subrev_u32_e32 v8, 28, v1
	v_lshlrev_b64 v[8:9], v8, v[0:1]
	v_sub_u32_e32 v1, 29, v1
	v_and_b32_e32 v8, 7, v8
	v_cndmask_b32_e32 v1, v11, v1, vcc
	v_cndmask_b32_e32 v8, v10, v8, vcc
	v_bfrev_b32_e32 v10, 60
	v_lshlrev_b32_e32 v8, 20, v8
	v_and_b32_sdwa v9, sext(v0), s25 dst_sel:DWORD dst_unused:UNUSED_PAD src0_sel:BYTE_0 src1_sel:DWORD
	v_lshl_add_u32 v1, v1, 23, v10
	v_or3_b32 v38, v9, v1, v8
	v_pk_mov_b32 v[4:5], v[38:39], v[38:39] op_sel:[0,1]
	v_accvgpr_read_b32 v41, a62
.LBB247_254:                            ;   in Loop: Header=BB247_10 Depth=1
	s_or_b64 exec, exec, s[38:39]
.LBB247_255:                            ;   in Loop: Header=BB247_10 Depth=1
	s_or_b64 exec, exec, s[36:37]
.LBB247_256:                            ;   in Loop: Header=BB247_10 Depth=1
	s_or_b64 exec, exec, s[34:35]
	v_cmp_ne_u16_sdwa vcc, v0, v39 src0_sel:BYTE_1 src1_sel:DWORD
	s_and_saveexec_b64 s[34:35], vcc
	s_cbranch_execz .LBB247_262
; %bb.257:                              ;   in Loop: Header=BB247_10 Depth=1
	v_cmp_ne_u16_sdwa vcc, v0, s19 src0_sel:BYTE_1 src1_sel:DWORD
	v_pk_mov_b32 v[34:35], s[24:25], s[24:25] op_sel:[0,1]
	s_and_saveexec_b64 s[36:37], vcc
	s_cbranch_execz .LBB247_261
; %bb.258:                              ;   in Loop: Header=BB247_10 Depth=1
	v_and_b32_sdwa v1, v0, s41 dst_sel:DWORD dst_unused:UNUSED_PAD src0_sel:BYTE_1 src1_sel:DWORD
	s_mov_b32 s30, s24
	v_cmp_ne_u32_e32 vcc, s41, v1
	v_pk_mov_b32 v[34:35], s[30:31], s[30:31] op_sel:[0,1]
	s_and_saveexec_b64 s[38:39], vcc
	s_cbranch_execz .LBB247_260
; %bb.259:                              ;   in Loop: Header=BB247_10 Depth=1
	v_mov_b32_e32 v8, 7
	v_and_b32_sdwa v38, v0, v8 dst_sel:DWORD dst_unused:UNUSED_PAD src0_sel:BYTE_1 src1_sel:DWORD
	v_lshrrev_b32_e32 v10, 3, v1
	v_cmp_gt_u32_e32 vcc, 8, v1
	v_ffbh_u32_e32 v1, v38
	v_min_u32_e32 v1, 32, v1
	v_subrev_u32_e32 v8, 28, v1
	v_lshlrev_b64 v[8:9], v8, v[38:39]
	v_sub_u32_e32 v1, 29, v1
	v_and_b32_e32 v8, 7, v8
	v_cndmask_b32_e32 v1, v10, v1, vcc
	v_bfrev_b32_e32 v9, 60
	v_cndmask_b32_e32 v8, v38, v8, vcc
	v_lshlrev_b32_e32 v0, 16, v0
	v_lshl_add_u32 v1, v1, 23, v9
	v_and_or_b32 v0, v0, s25, v1
	v_lshlrev_b32_e32 v1, 20, v8
	v_accvgpr_read_b32 v41, a62
	v_or_b32_e32 v35, v0, v1
	v_mov_b32_e32 v34, v39
.LBB247_260:                            ;   in Loop: Header=BB247_10 Depth=1
	s_or_b64 exec, exec, s[38:39]
.LBB247_261:                            ;   in Loop: Header=BB247_10 Depth=1
	s_or_b64 exec, exec, s[36:37]
.LBB247_262:                            ;   in Loop: Header=BB247_10 Depth=1
	s_or_b64 exec, exec, s[34:35]
	flat_load_ushort v1, v[32:33] offset:2564
	v_pk_mov_b32 v[20:21], 0, 0
	v_pk_mov_b32 v[50:51], v[20:21], v[20:21] op_sel:[0,1]
	s_waitcnt vmcnt(0) lgkmcnt(0)
	v_and_b32_e32 v0, 0xffff, v1
	v_cmp_ne_u16_sdwa vcc, v1, v39 src0_sel:BYTE_0 src1_sel:DWORD
	s_and_saveexec_b64 s[34:35], vcc
	s_cbranch_execz .LBB247_268
; %bb.263:                              ;   in Loop: Header=BB247_10 Depth=1
	v_bfrev_b32_e32 v50, 1
	v_cmp_ne_u16_sdwa vcc, v0, s19 src0_sel:BYTE_0 src1_sel:DWORD
	v_mov_b32_e32 v51, 0
	s_and_saveexec_b64 s[36:37], vcc
	s_cbranch_execz .LBB247_267
; %bb.264:                              ;   in Loop: Header=BB247_10 Depth=1
	v_and_b32_e32 v1, 0x7f, v0
	v_mov_b32_e32 v50, 0x7f800001
	v_cmp_ne_u32_e32 vcc, s41, v1
	v_mov_b32_e32 v51, 0
	s_and_saveexec_b64 s[38:39], vcc
	s_cbranch_execz .LBB247_266
; %bb.265:                              ;   in Loop: Header=BB247_10 Depth=1
	v_and_b32_e32 v10, 7, v0
	v_lshrrev_b32_e32 v11, 3, v1
	v_cmp_gt_u32_e32 vcc, 8, v1
	v_ffbh_u32_e32 v1, v10
	v_min_u32_e32 v1, 32, v1
	v_subrev_u32_e32 v8, 28, v1
	v_lshlrev_b64 v[8:9], v8, v[0:1]
	v_sub_u32_e32 v1, 29, v1
	v_and_b32_e32 v8, 7, v8
	v_cndmask_b32_e32 v1, v11, v1, vcc
	v_cndmask_b32_e32 v8, v10, v8, vcc
	v_bfrev_b32_e32 v10, 60
	v_lshlrev_b32_e32 v8, 20, v8
	v_and_b32_sdwa v9, sext(v0), s25 dst_sel:DWORD dst_unused:UNUSED_PAD src0_sel:BYTE_0 src1_sel:DWORD
	v_lshl_add_u32 v1, v1, 23, v10
	v_or3_b32 v38, v9, v1, v8
	v_pk_mov_b32 v[50:51], v[38:39], v[38:39] op_sel:[0,1]
	v_accvgpr_read_b32 v41, a62
.LBB247_266:                            ;   in Loop: Header=BB247_10 Depth=1
	s_or_b64 exec, exec, s[38:39]
.LBB247_267:                            ;   in Loop: Header=BB247_10 Depth=1
	s_or_b64 exec, exec, s[36:37]
.LBB247_268:                            ;   in Loop: Header=BB247_10 Depth=1
	s_or_b64 exec, exec, s[34:35]
	v_cmp_ne_u16_sdwa vcc, v0, v39 src0_sel:BYTE_1 src1_sel:DWORD
	s_and_saveexec_b64 s[34:35], vcc
	s_cbranch_execz .LBB247_274
; %bb.269:                              ;   in Loop: Header=BB247_10 Depth=1
	v_cmp_ne_u16_sdwa vcc, v0, s19 src0_sel:BYTE_1 src1_sel:DWORD
	v_pk_mov_b32 v[20:21], s[24:25], s[24:25] op_sel:[0,1]
	s_and_saveexec_b64 s[36:37], vcc
	s_cbranch_execz .LBB247_273
; %bb.270:                              ;   in Loop: Header=BB247_10 Depth=1
	v_and_b32_sdwa v1, v0, s41 dst_sel:DWORD dst_unused:UNUSED_PAD src0_sel:BYTE_1 src1_sel:DWORD
	s_mov_b32 s30, s24
	v_cmp_ne_u32_e32 vcc, s41, v1
	v_pk_mov_b32 v[20:21], s[30:31], s[30:31] op_sel:[0,1]
	s_and_saveexec_b64 s[38:39], vcc
	s_cbranch_execz .LBB247_272
; %bb.271:                              ;   in Loop: Header=BB247_10 Depth=1
	v_mov_b32_e32 v8, 7
	v_and_b32_sdwa v38, v0, v8 dst_sel:DWORD dst_unused:UNUSED_PAD src0_sel:BYTE_1 src1_sel:DWORD
	v_lshrrev_b32_e32 v10, 3, v1
	v_cmp_gt_u32_e32 vcc, 8, v1
	v_ffbh_u32_e32 v1, v38
	v_min_u32_e32 v1, 32, v1
	v_subrev_u32_e32 v8, 28, v1
	v_lshlrev_b64 v[8:9], v8, v[38:39]
	v_sub_u32_e32 v1, 29, v1
	v_and_b32_e32 v8, 7, v8
	v_cndmask_b32_e32 v1, v10, v1, vcc
	v_bfrev_b32_e32 v9, 60
	v_cndmask_b32_e32 v8, v38, v8, vcc
	v_lshlrev_b32_e32 v0, 16, v0
	v_lshl_add_u32 v1, v1, 23, v9
	v_and_or_b32 v0, v0, s25, v1
	v_lshlrev_b32_e32 v1, 20, v8
	v_accvgpr_read_b32 v41, a62
	v_or_b32_e32 v21, v0, v1
	v_mov_b32_e32 v20, v39
.LBB247_272:                            ;   in Loop: Header=BB247_10 Depth=1
	s_or_b64 exec, exec, s[38:39]
.LBB247_273:                            ;   in Loop: Header=BB247_10 Depth=1
	s_or_b64 exec, exec, s[36:37]
.LBB247_274:                            ;   in Loop: Header=BB247_10 Depth=1
	s_or_b64 exec, exec, s[34:35]
	v_add_co_u32_e32 v0, vcc, 0xa00, v32
	v_addc_co_u32_e32 v1, vcc, 0, v33, vcc
	flat_load_ushort v9, v[0:1] offset:8
	v_pk_mov_b32 v[16:17], 0, 0
	v_pk_mov_b32 v[54:55], v[16:17], v[16:17] op_sel:[0,1]
	s_waitcnt vmcnt(0) lgkmcnt(0)
	v_and_b32_e32 v8, 0xffff, v9
	v_cmp_ne_u16_sdwa vcc, v9, v39 src0_sel:BYTE_0 src1_sel:DWORD
	s_mov_b64 s[34:35], exec
	v_accvgpr_write_b32 a55, v13
	s_and_b64 vcc, s[34:35], vcc
	v_accvgpr_write_b32 a54, v12
	s_mov_b64 exec, vcc
	s_cbranch_execz .LBB247_280
; %bb.275:                              ;   in Loop: Header=BB247_10 Depth=1
	v_bfrev_b32_e32 v54, 1
	v_cmp_ne_u16_sdwa vcc, v8, s19 src0_sel:BYTE_0 src1_sel:DWORD
	v_mov_b32_e32 v55, 0
	s_and_saveexec_b64 s[36:37], vcc
	s_cbranch_execz .LBB247_279
; %bb.276:                              ;   in Loop: Header=BB247_10 Depth=1
	v_and_b32_e32 v9, 0x7f, v8
	v_mov_b32_e32 v54, 0x7f800001
	v_cmp_ne_u32_e32 vcc, s41, v9
	v_mov_b32_e32 v55, 0
	s_and_saveexec_b64 s[38:39], vcc
	s_cbranch_execz .LBB247_278
; %bb.277:                              ;   in Loop: Header=BB247_10 Depth=1
	v_and_b32_e32 v10, 7, v8
	v_lshrrev_b32_e32 v11, 3, v9
	v_cmp_gt_u32_e32 vcc, 8, v9
	v_ffbh_u32_e32 v9, v10
	v_min_u32_e32 v9, 32, v9
	v_subrev_u32_e32 v12, 28, v9
	v_lshlrev_b64 v[18:19], v12, v[8:9]
	v_sub_u32_e32 v9, 29, v9
	v_and_b32_e32 v12, 7, v18
	v_cndmask_b32_e32 v9, v11, v9, vcc
	v_cndmask_b32_e32 v10, v10, v12, vcc
	v_bfrev_b32_e32 v12, 60
	v_lshlrev_b32_e32 v10, 20, v10
	v_and_b32_sdwa v11, sext(v8), s25 dst_sel:DWORD dst_unused:UNUSED_PAD src0_sel:BYTE_0 src1_sel:DWORD
	v_lshl_add_u32 v9, v9, 23, v12
	v_accvgpr_read_b32 v12, a54
	v_or3_b32 v38, v11, v9, v10
	v_accvgpr_read_b32 v13, a55
	v_pk_mov_b32 v[54:55], v[38:39], v[38:39] op_sel:[0,1]
	v_accvgpr_read_b32 v41, a62
.LBB247_278:                            ;   in Loop: Header=BB247_10 Depth=1
	s_or_b64 exec, exec, s[38:39]
.LBB247_279:                            ;   in Loop: Header=BB247_10 Depth=1
	s_or_b64 exec, exec, s[36:37]
.LBB247_280:                            ;   in Loop: Header=BB247_10 Depth=1
	s_or_b64 exec, exec, s[34:35]
	v_cmp_ne_u16_sdwa vcc, v8, v39 src0_sel:BYTE_1 src1_sel:DWORD
	s_and_saveexec_b64 s[34:35], vcc
	s_cbranch_execz .LBB247_286
; %bb.281:                              ;   in Loop: Header=BB247_10 Depth=1
	v_cmp_ne_u16_sdwa vcc, v8, s19 src0_sel:BYTE_1 src1_sel:DWORD
	v_pk_mov_b32 v[16:17], s[24:25], s[24:25] op_sel:[0,1]
	s_and_saveexec_b64 s[36:37], vcc
	s_cbranch_execz .LBB247_285
; %bb.282:                              ;   in Loop: Header=BB247_10 Depth=1
	v_and_b32_sdwa v9, v8, s41 dst_sel:DWORD dst_unused:UNUSED_PAD src0_sel:BYTE_1 src1_sel:DWORD
	s_mov_b32 s30, s24
	v_cmp_ne_u32_e32 vcc, s41, v9
	v_pk_mov_b32 v[16:17], s[30:31], s[30:31] op_sel:[0,1]
	s_and_saveexec_b64 s[38:39], vcc
	s_cbranch_execz .LBB247_284
; %bb.283:                              ;   in Loop: Header=BB247_10 Depth=1
	v_mov_b32_e32 v10, 7
	v_and_b32_sdwa v38, v8, v10 dst_sel:DWORD dst_unused:UNUSED_PAD src0_sel:BYTE_1 src1_sel:DWORD
	v_lshrrev_b32_e32 v10, 3, v9
	v_cmp_gt_u32_e32 vcc, 8, v9
	v_ffbh_u32_e32 v9, v38
	v_min_u32_e32 v9, 32, v9
	v_subrev_u32_e32 v11, 28, v9
	v_lshlrev_b64 v[16:17], v11, v[38:39]
	v_sub_u32_e32 v9, 29, v9
	v_and_b32_e32 v11, 7, v16
	v_cndmask_b32_e32 v9, v10, v9, vcc
	v_cndmask_b32_e32 v10, v38, v11, vcc
	v_bfrev_b32_e32 v11, 60
	v_lshlrev_b32_e32 v8, 16, v8
	v_lshl_add_u32 v9, v9, 23, v11
	v_and_or_b32 v8, v8, s25, v9
	v_lshlrev_b32_e32 v9, 20, v10
	v_accvgpr_read_b32 v41, a62
	v_or_b32_e32 v17, v8, v9
	v_mov_b32_e32 v16, v39
.LBB247_284:                            ;   in Loop: Header=BB247_10 Depth=1
	s_or_b64 exec, exec, s[38:39]
.LBB247_285:                            ;   in Loop: Header=BB247_10 Depth=1
	s_or_b64 exec, exec, s[36:37]
.LBB247_286:                            ;   in Loop: Header=BB247_10 Depth=1
	s_or_b64 exec, exec, s[34:35]
	flat_load_ushort v9, v[0:1] offset:12
	v_pk_mov_b32 v[0:1], 0, 0
	v_pk_mov_b32 v[42:43], v[0:1], v[0:1] op_sel:[0,1]
	s_waitcnt vmcnt(0) lgkmcnt(0)
	v_and_b32_e32 v8, 0xffff, v9
	v_cmp_ne_u16_sdwa vcc, v9, v39 src0_sel:BYTE_0 src1_sel:DWORD
	s_and_saveexec_b64 s[34:35], vcc
	s_cbranch_execz .LBB247_292
; %bb.287:                              ;   in Loop: Header=BB247_10 Depth=1
	v_bfrev_b32_e32 v42, 1
	v_cmp_ne_u16_sdwa vcc, v8, s19 src0_sel:BYTE_0 src1_sel:DWORD
	v_mov_b32_e32 v43, 0
	s_and_saveexec_b64 s[36:37], vcc
	s_cbranch_execz .LBB247_291
; %bb.288:                              ;   in Loop: Header=BB247_10 Depth=1
	v_and_b32_e32 v9, 0x7f, v8
	v_mov_b32_e32 v42, 0x7f800001
	v_cmp_ne_u32_e32 vcc, s41, v9
	v_mov_b32_e32 v43, 0
	s_and_saveexec_b64 s[38:39], vcc
	s_cbranch_execz .LBB247_290
; %bb.289:                              ;   in Loop: Header=BB247_10 Depth=1
	v_and_b32_e32 v10, 7, v8
	v_lshrrev_b32_e32 v11, 3, v9
	v_cmp_gt_u32_e32 vcc, 8, v9
	v_ffbh_u32_e32 v9, v10
	v_min_u32_e32 v9, 32, v9
	v_subrev_u32_e32 v12, 28, v9
	v_lshlrev_b64 v[18:19], v12, v[8:9]
	v_sub_u32_e32 v9, 29, v9
	v_and_b32_e32 v12, 7, v18
	v_cndmask_b32_e32 v9, v11, v9, vcc
	v_cndmask_b32_e32 v10, v10, v12, vcc
	v_bfrev_b32_e32 v12, 60
	v_lshlrev_b32_e32 v10, 20, v10
	v_and_b32_sdwa v11, sext(v8), s25 dst_sel:DWORD dst_unused:UNUSED_PAD src0_sel:BYTE_0 src1_sel:DWORD
	v_lshl_add_u32 v9, v9, 23, v12
	v_accvgpr_read_b32 v12, a54
	v_or3_b32 v38, v11, v9, v10
	v_accvgpr_read_b32 v13, a55
	v_pk_mov_b32 v[42:43], v[38:39], v[38:39] op_sel:[0,1]
	v_accvgpr_read_b32 v41, a62
.LBB247_290:                            ;   in Loop: Header=BB247_10 Depth=1
	s_or_b64 exec, exec, s[38:39]
.LBB247_291:                            ;   in Loop: Header=BB247_10 Depth=1
	s_or_b64 exec, exec, s[36:37]
.LBB247_292:                            ;   in Loop: Header=BB247_10 Depth=1
	s_or_b64 exec, exec, s[34:35]
	v_cmp_ne_u16_sdwa vcc, v8, v39 src0_sel:BYTE_1 src1_sel:DWORD
	s_and_saveexec_b64 s[34:35], vcc
	s_cbranch_execz .LBB247_298
; %bb.293:                              ;   in Loop: Header=BB247_10 Depth=1
	v_cmp_ne_u16_sdwa vcc, v8, s19 src0_sel:BYTE_1 src1_sel:DWORD
	v_pk_mov_b32 v[0:1], s[24:25], s[24:25] op_sel:[0,1]
	s_and_saveexec_b64 s[36:37], vcc
	s_cbranch_execz .LBB247_297
; %bb.294:                              ;   in Loop: Header=BB247_10 Depth=1
	v_and_b32_sdwa v9, v8, s41 dst_sel:DWORD dst_unused:UNUSED_PAD src0_sel:BYTE_1 src1_sel:DWORD
	s_mov_b32 s30, s24
	v_cmp_ne_u32_e32 vcc, s41, v9
	v_pk_mov_b32 v[0:1], s[30:31], s[30:31] op_sel:[0,1]
	s_and_saveexec_b64 s[38:39], vcc
	s_cbranch_execz .LBB247_296
; %bb.295:                              ;   in Loop: Header=BB247_10 Depth=1
	v_mov_b32_e32 v0, 7
	v_and_b32_sdwa v38, v8, v0 dst_sel:DWORD dst_unused:UNUSED_PAD src0_sel:BYTE_1 src1_sel:DWORD
	v_ffbh_u32_e32 v0, v38
	v_lshrrev_b32_e32 v10, 3, v9
	v_cmp_gt_u32_e32 vcc, 8, v9
	v_min_u32_e32 v9, 32, v0
	v_subrev_u32_e32 v0, 28, v9
	v_lshlrev_b64 v[0:1], v0, v[38:39]
	v_sub_u32_e32 v1, 29, v9
	v_and_b32_e32 v0, 7, v0
	v_cndmask_b32_e32 v1, v10, v1, vcc
	v_bfrev_b32_e32 v9, 60
	v_cndmask_b32_e32 v0, v38, v0, vcc
	v_lshlrev_b32_e32 v8, 16, v8
	v_lshl_add_u32 v1, v1, 23, v9
	v_and_or_b32 v1, v8, s25, v1
	v_lshlrev_b32_e32 v0, 20, v0
	v_accvgpr_read_b32 v41, a62
	v_or_b32_e32 v1, v1, v0
	v_mov_b32_e32 v0, v39
.LBB247_296:                            ;   in Loop: Header=BB247_10 Depth=1
	s_or_b64 exec, exec, s[38:39]
.LBB247_297:                            ;   in Loop: Header=BB247_10 Depth=1
	s_or_b64 exec, exec, s[36:37]
.LBB247_298:                            ;   in Loop: Header=BB247_10 Depth=1
	s_or_b64 exec, exec, s[34:35]
	flat_load_ushort v9, v[32:33] offset:3072
	v_pk_mov_b32 v[46:47], 0, 0
	v_pk_mov_b32 v[60:61], v[46:47], v[46:47] op_sel:[0,1]
	s_waitcnt vmcnt(0) lgkmcnt(0)
	v_and_b32_e32 v8, 0xffff, v9
	v_cmp_ne_u16_sdwa vcc, v9, v39 src0_sel:BYTE_0 src1_sel:DWORD
	s_and_saveexec_b64 s[34:35], vcc
	s_cbranch_execz .LBB247_304
; %bb.299:                              ;   in Loop: Header=BB247_10 Depth=1
	v_bfrev_b32_e32 v60, 1
	v_cmp_ne_u16_sdwa vcc, v8, s19 src0_sel:BYTE_0 src1_sel:DWORD
	v_mov_b32_e32 v61, 0
	s_and_saveexec_b64 s[36:37], vcc
	s_cbranch_execz .LBB247_303
; %bb.300:                              ;   in Loop: Header=BB247_10 Depth=1
	v_and_b32_e32 v9, 0x7f, v8
	v_mov_b32_e32 v60, 0x7f800001
	v_cmp_ne_u32_e32 vcc, s41, v9
	v_mov_b32_e32 v61, 0
	s_and_saveexec_b64 s[38:39], vcc
	s_cbranch_execz .LBB247_302
; %bb.301:                              ;   in Loop: Header=BB247_10 Depth=1
	v_and_b32_e32 v10, 7, v8
	v_lshrrev_b32_e32 v11, 3, v9
	v_cmp_gt_u32_e32 vcc, 8, v9
	v_ffbh_u32_e32 v9, v10
	v_min_u32_e32 v9, 32, v9
	v_subrev_u32_e32 v12, 28, v9
	v_lshlrev_b64 v[18:19], v12, v[8:9]
	v_sub_u32_e32 v9, 29, v9
	v_and_b32_e32 v12, 7, v18
	v_cndmask_b32_e32 v9, v11, v9, vcc
	v_cndmask_b32_e32 v10, v10, v12, vcc
	v_bfrev_b32_e32 v12, 60
	v_lshlrev_b32_e32 v10, 20, v10
	v_and_b32_sdwa v11, sext(v8), s25 dst_sel:DWORD dst_unused:UNUSED_PAD src0_sel:BYTE_0 src1_sel:DWORD
	v_lshl_add_u32 v9, v9, 23, v12
	v_accvgpr_read_b32 v12, a54
	v_or3_b32 v38, v11, v9, v10
	v_accvgpr_read_b32 v13, a55
	v_pk_mov_b32 v[60:61], v[38:39], v[38:39] op_sel:[0,1]
	v_accvgpr_read_b32 v41, a62
.LBB247_302:                            ;   in Loop: Header=BB247_10 Depth=1
	s_or_b64 exec, exec, s[38:39]
.LBB247_303:                            ;   in Loop: Header=BB247_10 Depth=1
	s_or_b64 exec, exec, s[36:37]
.LBB247_304:                            ;   in Loop: Header=BB247_10 Depth=1
	s_or_b64 exec, exec, s[34:35]
	v_cmp_ne_u16_sdwa vcc, v8, v39 src0_sel:BYTE_1 src1_sel:DWORD
	s_and_saveexec_b64 s[34:35], vcc
	s_cbranch_execz .LBB247_310
; %bb.305:                              ;   in Loop: Header=BB247_10 Depth=1
	v_cmp_ne_u16_sdwa vcc, v8, s19 src0_sel:BYTE_1 src1_sel:DWORD
	v_pk_mov_b32 v[46:47], s[24:25], s[24:25] op_sel:[0,1]
	s_and_saveexec_b64 s[36:37], vcc
	s_cbranch_execz .LBB247_309
; %bb.306:                              ;   in Loop: Header=BB247_10 Depth=1
	v_and_b32_sdwa v9, v8, s41 dst_sel:DWORD dst_unused:UNUSED_PAD src0_sel:BYTE_1 src1_sel:DWORD
	s_mov_b32 s30, s24
	v_cmp_ne_u32_e32 vcc, s41, v9
	v_pk_mov_b32 v[46:47], s[30:31], s[30:31] op_sel:[0,1]
	s_and_saveexec_b64 s[38:39], vcc
	s_cbranch_execz .LBB247_308
; %bb.307:                              ;   in Loop: Header=BB247_10 Depth=1
	v_mov_b32_e32 v10, 7
	v_and_b32_sdwa v38, v8, v10 dst_sel:DWORD dst_unused:UNUSED_PAD src0_sel:BYTE_1 src1_sel:DWORD
	v_lshrrev_b32_e32 v10, 3, v9
	v_cmp_gt_u32_e32 vcc, 8, v9
	v_ffbh_u32_e32 v9, v38
	v_min_u32_e32 v9, 32, v9
	v_subrev_u32_e32 v11, 28, v9
	v_lshlrev_b64 v[18:19], v11, v[38:39]
	v_sub_u32_e32 v9, 29, v9
	v_and_b32_e32 v11, 7, v18
	v_cndmask_b32_e32 v9, v10, v9, vcc
	v_cndmask_b32_e32 v10, v38, v11, vcc
	v_bfrev_b32_e32 v11, 60
	v_lshlrev_b32_e32 v8, 16, v8
	v_lshl_add_u32 v9, v9, 23, v11
	v_and_or_b32 v8, v8, s25, v9
	v_lshlrev_b32_e32 v9, 20, v10
	v_accvgpr_read_b32 v41, a62
	v_or_b32_e32 v47, v8, v9
	v_mov_b32_e32 v46, v39
.LBB247_308:                            ;   in Loop: Header=BB247_10 Depth=1
	s_or_b64 exec, exec, s[38:39]
.LBB247_309:                            ;   in Loop: Header=BB247_10 Depth=1
	s_or_b64 exec, exec, s[36:37]
.LBB247_310:                            ;   in Loop: Header=BB247_10 Depth=1
	s_or_b64 exec, exec, s[34:35]
	flat_load_ushort v9, v[32:33] offset:3076
	v_pk_mov_b32 v[58:59], 0, 0
	v_pk_mov_b32 v[30:31], v[58:59], v[58:59] op_sel:[0,1]
	s_waitcnt vmcnt(0) lgkmcnt(0)
	v_and_b32_e32 v8, 0xffff, v9
	v_cmp_ne_u16_sdwa vcc, v9, v39 src0_sel:BYTE_0 src1_sel:DWORD
	s_and_saveexec_b64 s[34:35], vcc
	s_cbranch_execz .LBB247_316
; %bb.311:                              ;   in Loop: Header=BB247_10 Depth=1
	v_bfrev_b32_e32 v30, 1
	v_cmp_ne_u16_sdwa vcc, v8, s19 src0_sel:BYTE_0 src1_sel:DWORD
	v_mov_b32_e32 v31, 0
	s_and_saveexec_b64 s[36:37], vcc
	s_cbranch_execz .LBB247_315
; %bb.312:                              ;   in Loop: Header=BB247_10 Depth=1
	v_and_b32_e32 v9, 0x7f, v8
	v_mov_b32_e32 v30, 0x7f800001
	v_cmp_ne_u32_e32 vcc, s41, v9
	v_mov_b32_e32 v31, 0
	s_and_saveexec_b64 s[38:39], vcc
	s_cbranch_execz .LBB247_314
; %bb.313:                              ;   in Loop: Header=BB247_10 Depth=1
	v_and_b32_e32 v10, 7, v8
	v_lshrrev_b32_e32 v11, 3, v9
	v_cmp_gt_u32_e32 vcc, 8, v9
	v_ffbh_u32_e32 v9, v10
	v_min_u32_e32 v9, 32, v9
	v_subrev_u32_e32 v12, 28, v9
	v_lshlrev_b64 v[18:19], v12, v[8:9]
	v_sub_u32_e32 v9, 29, v9
	v_and_b32_e32 v12, 7, v18
	v_cndmask_b32_e32 v9, v11, v9, vcc
	v_cndmask_b32_e32 v10, v10, v12, vcc
	v_bfrev_b32_e32 v12, 60
	v_lshlrev_b32_e32 v10, 20, v10
	v_and_b32_sdwa v11, sext(v8), s25 dst_sel:DWORD dst_unused:UNUSED_PAD src0_sel:BYTE_0 src1_sel:DWORD
	v_lshl_add_u32 v9, v9, 23, v12
	v_accvgpr_read_b32 v12, a54
	v_or3_b32 v38, v11, v9, v10
	v_accvgpr_read_b32 v13, a55
	v_pk_mov_b32 v[30:31], v[38:39], v[38:39] op_sel:[0,1]
	v_accvgpr_read_b32 v41, a62
.LBB247_314:                            ;   in Loop: Header=BB247_10 Depth=1
	s_or_b64 exec, exec, s[38:39]
.LBB247_315:                            ;   in Loop: Header=BB247_10 Depth=1
	s_or_b64 exec, exec, s[36:37]
.LBB247_316:                            ;   in Loop: Header=BB247_10 Depth=1
	s_or_b64 exec, exec, s[34:35]
	v_cmp_ne_u16_sdwa vcc, v8, v39 src0_sel:BYTE_1 src1_sel:DWORD
	s_and_saveexec_b64 s[34:35], vcc
	s_cbranch_execz .LBB247_322
; %bb.317:                              ;   in Loop: Header=BB247_10 Depth=1
	v_cmp_ne_u16_sdwa vcc, v8, s19 src0_sel:BYTE_1 src1_sel:DWORD
	v_pk_mov_b32 v[58:59], s[24:25], s[24:25] op_sel:[0,1]
	s_and_saveexec_b64 s[36:37], vcc
	s_cbranch_execz .LBB247_321
; %bb.318:                              ;   in Loop: Header=BB247_10 Depth=1
	v_and_b32_sdwa v9, v8, s41 dst_sel:DWORD dst_unused:UNUSED_PAD src0_sel:BYTE_1 src1_sel:DWORD
	s_mov_b32 s30, s24
	v_cmp_ne_u32_e32 vcc, s41, v9
	v_pk_mov_b32 v[58:59], s[30:31], s[30:31] op_sel:[0,1]
	s_and_saveexec_b64 s[38:39], vcc
	s_cbranch_execz .LBB247_320
; %bb.319:                              ;   in Loop: Header=BB247_10 Depth=1
	v_mov_b32_e32 v10, 7
	v_and_b32_sdwa v38, v8, v10 dst_sel:DWORD dst_unused:UNUSED_PAD src0_sel:BYTE_1 src1_sel:DWORD
	v_lshrrev_b32_e32 v10, 3, v9
	v_cmp_gt_u32_e32 vcc, 8, v9
	v_ffbh_u32_e32 v9, v38
	v_min_u32_e32 v9, 32, v9
	v_subrev_u32_e32 v11, 28, v9
	v_lshlrev_b64 v[18:19], v11, v[38:39]
	v_sub_u32_e32 v9, 29, v9
	v_and_b32_e32 v11, 7, v18
	v_cndmask_b32_e32 v9, v10, v9, vcc
	v_cndmask_b32_e32 v10, v38, v11, vcc
	v_bfrev_b32_e32 v11, 60
	v_lshlrev_b32_e32 v8, 16, v8
	v_lshl_add_u32 v9, v9, 23, v11
	v_and_or_b32 v8, v8, s25, v9
	v_lshlrev_b32_e32 v9, 20, v10
	v_accvgpr_read_b32 v41, a62
	v_or_b32_e32 v59, v8, v9
	v_mov_b32_e32 v58, v39
.LBB247_320:                            ;   in Loop: Header=BB247_10 Depth=1
	s_or_b64 exec, exec, s[38:39]
.LBB247_321:                            ;   in Loop: Header=BB247_10 Depth=1
	s_or_b64 exec, exec, s[36:37]
.LBB247_322:                            ;   in Loop: Header=BB247_10 Depth=1
	s_or_b64 exec, exec, s[34:35]
	v_add_co_u32_e32 v8, vcc, 0xc00, v32
	v_addc_co_u32_e32 v9, vcc, 0, v33, vcc
	flat_load_ushort v10, v[8:9] offset:8
	v_pk_mov_b32 v[32:33], 0, 0
	v_pk_mov_b32 v[48:49], v[32:33], v[32:33] op_sel:[0,1]
	s_waitcnt vmcnt(0) lgkmcnt(0)
	v_and_b32_e32 v18, 0xffff, v10
	v_cmp_ne_u16_sdwa vcc, v10, v39 src0_sel:BYTE_0 src1_sel:DWORD
	s_and_saveexec_b64 s[34:35], vcc
	s_cbranch_execz .LBB247_328
; %bb.323:                              ;   in Loop: Header=BB247_10 Depth=1
	v_bfrev_b32_e32 v48, 1
	v_cmp_ne_u16_sdwa vcc, v18, s19 src0_sel:BYTE_0 src1_sel:DWORD
	v_mov_b32_e32 v49, 0
	s_and_saveexec_b64 s[36:37], vcc
	s_cbranch_execz .LBB247_327
; %bb.324:                              ;   in Loop: Header=BB247_10 Depth=1
	v_and_b32_e32 v10, 0x7f, v18
	v_mov_b32_e32 v48, 0x7f800001
	v_cmp_ne_u32_e32 vcc, s41, v10
	v_mov_b32_e32 v49, 0
	s_and_saveexec_b64 s[38:39], vcc
	s_cbranch_execz .LBB247_326
; %bb.325:                              ;   in Loop: Header=BB247_10 Depth=1
	v_and_b32_e32 v11, 7, v18
	v_lshrrev_b32_e32 v12, 3, v10
	v_cmp_gt_u32_e32 vcc, 8, v10
	v_ffbh_u32_e32 v10, v11
	v_min_u32_e32 v10, 32, v10
	v_subrev_u32_e32 v13, 28, v10
	v_lshlrev_b64 v[22:23], v13, v[18:19]
	v_sub_u32_e32 v10, 29, v10
	v_and_b32_e32 v13, 7, v22
	v_cndmask_b32_e32 v10, v12, v10, vcc
	v_cndmask_b32_e32 v11, v11, v13, vcc
	v_bfrev_b32_e32 v13, 60
	v_lshlrev_b32_e32 v11, 20, v11
	v_and_b32_sdwa v12, sext(v18), s25 dst_sel:DWORD dst_unused:UNUSED_PAD src0_sel:BYTE_0 src1_sel:DWORD
	v_lshl_add_u32 v10, v10, 23, v13
	v_or3_b32 v38, v12, v10, v11
	v_accvgpr_read_b32 v12, a54
	v_accvgpr_read_b32 v13, a55
	v_pk_mov_b32 v[48:49], v[38:39], v[38:39] op_sel:[0,1]
	v_accvgpr_read_b32 v41, a62
.LBB247_326:                            ;   in Loop: Header=BB247_10 Depth=1
	s_or_b64 exec, exec, s[38:39]
.LBB247_327:                            ;   in Loop: Header=BB247_10 Depth=1
	s_or_b64 exec, exec, s[36:37]
.LBB247_328:                            ;   in Loop: Header=BB247_10 Depth=1
	s_or_b64 exec, exec, s[34:35]
	v_cmp_ne_u16_sdwa vcc, v18, v39 src0_sel:BYTE_1 src1_sel:DWORD
	s_and_saveexec_b64 s[34:35], vcc
	s_cbranch_execz .LBB247_334
; %bb.329:                              ;   in Loop: Header=BB247_10 Depth=1
	v_cmp_ne_u16_sdwa vcc, v18, s19 src0_sel:BYTE_1 src1_sel:DWORD
	v_pk_mov_b32 v[32:33], s[24:25], s[24:25] op_sel:[0,1]
	s_and_saveexec_b64 s[36:37], vcc
	s_cbranch_execz .LBB247_333
; %bb.330:                              ;   in Loop: Header=BB247_10 Depth=1
	v_and_b32_sdwa v13, v18, s41 dst_sel:DWORD dst_unused:UNUSED_PAD src0_sel:BYTE_1 src1_sel:DWORD
	s_mov_b32 s30, s24
	v_cmp_ne_u32_e32 vcc, s41, v13
	v_pk_mov_b32 v[32:33], s[30:31], s[30:31] op_sel:[0,1]
	s_and_saveexec_b64 s[38:39], vcc
	s_cbranch_execz .LBB247_332
; %bb.331:                              ;   in Loop: Header=BB247_10 Depth=1
	v_mov_b32_e32 v10, 7
	v_and_b32_sdwa v38, v18, v10 dst_sel:DWORD dst_unused:UNUSED_PAD src0_sel:BYTE_1 src1_sel:DWORD
	v_ffbh_u32_e32 v11, v38
	v_min_u32_e32 v11, 32, v11
	v_subrev_u32_e32 v12, 28, v11
	v_lshrrev_b32_e32 v10, 3, v13
	v_cmp_gt_u32_e32 vcc, 8, v13
	v_lshlrev_b64 v[22:23], v12, v[38:39]
	v_sub_u32_e32 v11, 29, v11
	v_and_b32_e32 v12, 7, v22
	v_cndmask_b32_e32 v10, v10, v11, vcc
	v_bfrev_b32_e32 v13, 60
	v_cndmask_b32_e32 v11, v38, v12, vcc
	v_lshlrev_b32_e32 v12, 16, v18
	v_lshl_add_u32 v10, v10, 23, v13
	v_and_or_b32 v10, v12, s25, v10
	v_lshlrev_b32_e32 v11, 20, v11
	v_accvgpr_read_b32 v41, a62
	v_or_b32_e32 v33, v10, v11
	v_mov_b32_e32 v32, v39
.LBB247_332:                            ;   in Loop: Header=BB247_10 Depth=1
	s_or_b64 exec, exec, s[38:39]
	v_accvgpr_read_b32 v12, a54
	v_accvgpr_read_b32 v13, a55
.LBB247_333:                            ;   in Loop: Header=BB247_10 Depth=1
	s_or_b64 exec, exec, s[36:37]
.LBB247_334:                            ;   in Loop: Header=BB247_10 Depth=1
	s_or_b64 exec, exec, s[34:35]
	flat_load_ushort v10, v[8:9] offset:12
	v_pk_mov_b32 v[8:9], 0, 0
	v_pk_mov_b32 v[22:23], v[8:9], v[8:9] op_sel:[0,1]
	s_waitcnt vmcnt(0) lgkmcnt(0)
	v_and_b32_e32 v18, 0xffff, v10
	v_cmp_ne_u16_sdwa vcc, v10, v39 src0_sel:BYTE_0 src1_sel:DWORD
	s_and_saveexec_b64 s[34:35], vcc
	s_cbranch_execz .LBB247_340
; %bb.335:                              ;   in Loop: Header=BB247_10 Depth=1
	v_bfrev_b32_e32 v22, 1
	v_cmp_ne_u16_sdwa vcc, v18, s19 src0_sel:BYTE_0 src1_sel:DWORD
	v_mov_b32_e32 v23, 0
	s_and_saveexec_b64 s[36:37], vcc
	s_cbranch_execz .LBB247_339
; %bb.336:                              ;   in Loop: Header=BB247_10 Depth=1
	v_and_b32_e32 v10, 0x7f, v18
	v_mov_b32_e32 v22, 0x7f800001
	v_cmp_ne_u32_e32 vcc, s41, v10
	v_mov_b32_e32 v23, 0
	s_and_saveexec_b64 s[38:39], vcc
	s_cbranch_execz .LBB247_338
; %bb.337:                              ;   in Loop: Header=BB247_10 Depth=1
	v_and_b32_e32 v11, 7, v18
	v_lshrrev_b32_e32 v12, 3, v10
	v_cmp_gt_u32_e32 vcc, 8, v10
	v_ffbh_u32_e32 v10, v11
	v_min_u32_e32 v10, 32, v10
	v_subrev_u32_e32 v13, 28, v10
	v_lshlrev_b64 v[22:23], v13, v[18:19]
	v_sub_u32_e32 v10, 29, v10
	v_and_b32_e32 v13, 7, v22
	v_cndmask_b32_e32 v10, v12, v10, vcc
	v_cndmask_b32_e32 v11, v11, v13, vcc
	v_bfrev_b32_e32 v13, 60
	v_lshlrev_b32_e32 v11, 20, v11
	v_and_b32_sdwa v12, sext(v18), s25 dst_sel:DWORD dst_unused:UNUSED_PAD src0_sel:BYTE_0 src1_sel:DWORD
	v_lshl_add_u32 v10, v10, 23, v13
	v_or3_b32 v38, v12, v10, v11
	v_accvgpr_read_b32 v12, a54
	v_accvgpr_read_b32 v13, a55
	v_pk_mov_b32 v[22:23], v[38:39], v[38:39] op_sel:[0,1]
	v_accvgpr_read_b32 v41, a62
.LBB247_338:                            ;   in Loop: Header=BB247_10 Depth=1
	s_or_b64 exec, exec, s[38:39]
.LBB247_339:                            ;   in Loop: Header=BB247_10 Depth=1
	s_or_b64 exec, exec, s[36:37]
.LBB247_340:                            ;   in Loop: Header=BB247_10 Depth=1
	s_or_b64 exec, exec, s[34:35]
	v_cmp_ne_u16_sdwa vcc, v18, v39 src0_sel:BYTE_1 src1_sel:DWORD
	s_and_saveexec_b64 s[34:35], vcc
	s_cbranch_execz .LBB247_346
; %bb.341:                              ;   in Loop: Header=BB247_10 Depth=1
	v_cmp_ne_u16_sdwa vcc, v18, s19 src0_sel:BYTE_1 src1_sel:DWORD
	v_pk_mov_b32 v[8:9], s[24:25], s[24:25] op_sel:[0,1]
	s_and_saveexec_b64 s[36:37], vcc
	s_cbranch_execz .LBB247_345
; %bb.342:                              ;   in Loop: Header=BB247_10 Depth=1
	v_and_b32_sdwa v13, v18, s41 dst_sel:DWORD dst_unused:UNUSED_PAD src0_sel:BYTE_1 src1_sel:DWORD
	s_mov_b32 s30, s24
	v_cmp_ne_u32_e32 vcc, s41, v13
	v_pk_mov_b32 v[8:9], s[30:31], s[30:31] op_sel:[0,1]
	s_and_saveexec_b64 s[38:39], vcc
	s_cbranch_execz .LBB247_344
; %bb.343:                              ;   in Loop: Header=BB247_10 Depth=1
	v_mov_b32_e32 v8, 7
	v_and_b32_sdwa v38, v18, v8 dst_sel:DWORD dst_unused:UNUSED_PAD src0_sel:BYTE_1 src1_sel:DWORD
	v_ffbh_u32_e32 v8, v38
	v_min_u32_e32 v11, 32, v8
	v_subrev_u32_e32 v8, 28, v11
	v_lshlrev_b64 v[8:9], v8, v[38:39]
	v_lshrrev_b32_e32 v10, 3, v13
	v_cmp_gt_u32_e32 vcc, 8, v13
	v_sub_u32_e32 v9, 29, v11
	v_and_b32_e32 v8, 7, v8
	v_cndmask_b32_e32 v9, v10, v9, vcc
	v_bfrev_b32_e32 v11, 60
	v_cndmask_b32_e32 v8, v38, v8, vcc
	v_lshlrev_b32_e32 v10, 16, v18
	v_lshl_add_u32 v9, v9, 23, v11
	v_and_or_b32 v9, v10, s25, v9
	v_lshlrev_b32_e32 v8, 20, v8
	v_accvgpr_read_b32 v41, a62
	v_or_b32_e32 v9, v9, v8
	v_mov_b32_e32 v8, v39
.LBB247_344:                            ;   in Loop: Header=BB247_10 Depth=1
	s_or_b64 exec, exec, s[38:39]
	v_accvgpr_read_b32 v12, a54
	v_accvgpr_read_b32 v13, a55
.LBB247_345:                            ;   in Loop: Header=BB247_10 Depth=1
	s_or_b64 exec, exec, s[36:37]
.LBB247_346:                            ;   in Loop: Header=BB247_10 Depth=1
	s_or_b64 exec, exec, s[34:35]
	v_or_b32_e32 v43, v1, v43
	v_or_b32_e32 v42, v0, v42
	v_accvgpr_read_b32 v0, a40
	v_accvgpr_read_b32 v1, a41
	v_or_b32_e32 v11, v33, v49
	v_or_b32_e32 v10, v32, v48
	;; [unrolled: 1-line block ×8, first 2 shown]
	v_accvgpr_read_b32 v0, a12
	v_accvgpr_read_b32 v1, a13
	v_or_b32_e32 v37, v37, v1
	v_or_b32_e32 v36, v36, v0
	v_accvgpr_read_b32 v0, a58
	v_accvgpr_read_b32 v1, a59
	v_or_b32_e32 v27, v27, v1
	v_or_b32_e32 v26, v26, v0
	;; [unrolled: 4-line block ×3, first 2 shown]
	v_or_b32_e32 v51, v3, v1
	v_or_b32_e32 v50, v2, v0
	v_accvgpr_read_b32 v0, a34
	v_accvgpr_read_b32 v2, a36
	v_accvgpr_read_b32 v1, a35
	v_accvgpr_read_b32 v3, a37
	v_or_b32_e32 v53, v1, v3
	v_or_b32_e32 v52, v0, v2
	v_accvgpr_read_b32 v0, a30
	v_accvgpr_read_b32 v2, a32
	v_accvgpr_read_b32 v1, a31
	v_accvgpr_read_b32 v3, a33
	;; [unrolled: 6-line block ×3, first 2 shown]
	v_or_b32_e32 v35, v35, v5
	v_or_b32_e32 v34, v34, v4
	;; [unrolled: 1-line block ×4, first 2 shown]
	v_accvgpr_read_b32 v0, a26
	v_accvgpr_read_b32 v4, a28
	;; [unrolled: 1-line block ×4, first 2 shown]
	v_or_b32_e32 v19, v29, v7
	v_or_b32_e32 v18, v28, v6
	;; [unrolled: 1-line block ×6, first 2 shown]
	v_accvgpr_read_b32 v0, a4
	v_accvgpr_read_b32 v4, a6
	;; [unrolled: 1-line block ×4, first 2 shown]
	v_or_b32_e32 v49, v47, v61
	v_or_b32_e32 v48, v46, v60
	;; [unrolled: 1-line block ×4, first 2 shown]
	v_accvgpr_read_b32 v0, a14
	v_accvgpr_read_b32 v4, a16
	;; [unrolled: 1-line block ×4, first 2 shown]
	v_or_b32_e32 v25, v25, v57
	v_or_b32_e32 v24, v24, v56
	;; [unrolled: 1-line block ×4, first 2 shown]
	v_accvgpr_read_b32 v0, a0
	v_accvgpr_read_b32 v5, a3
	;; [unrolled: 1-line block ×4, first 2 shown]
	v_or_b32_e32 v59, v1, v5
	v_or_b32_e32 v58, v0, v4
	v_accvgpr_read_b32 v0, a18
	v_accvgpr_read_b32 v4, a20
	;; [unrolled: 1-line block ×4, first 2 shown]
	v_or_b32_e32 v61, v1, v5
	v_or_b32_e32 v60, v0, v4
	v_accvgpr_read_b32 v0, a56
	v_accvgpr_read_b32 v1, a57
	v_or_b32_e32 v5, v13, v1
	v_or_b32_e32 v4, v12, v0
	v_accvgpr_read_b32 v0, a50
	v_accvgpr_read_b32 v6, a52
	;; [unrolled: 1-line block ×4, first 2 shown]
	v_or_b32_e32 v13, v1, v7
	v_or_b32_e32 v12, v0, v6
	v_accvgpr_read_b32 v0, a46
	v_accvgpr_read_b32 v6, a48
	v_accvgpr_write_b32 a55, v11
	v_accvgpr_read_b32 v1, a47
	v_accvgpr_read_b32 v7, a49
	v_accvgpr_write_b32 a54, v10
	v_or_b32_e32 v1, v1, v7
	v_or_b32_e32 v0, v0, v6
	v_accvgpr_read_b32 v6, a42
	v_accvgpr_read_b32 v10, a44
	;; [unrolled: 1-line block ×4, first 2 shown]
	v_or_b32_e32 v7, v7, v11
	v_or_b32_e32 v6, v6, v10
	v_accvgpr_read_b32 v10, a38
	v_accvgpr_read_b32 v14, a22
	;; [unrolled: 1-line block ×4, first 2 shown]
	v_or_b32_e32 v15, v11, v15
	v_or_b32_e32 v14, v10, v14
	v_or_b32_e32 v11, v9, v23
	v_or_b32_e32 v10, v8, v22
	v_accvgpr_read_b32 v8, a54
	v_accvgpr_read_b32 v9, a55
	v_pk_mul_f32 v[8:9], v[40:41], v[8:9] op_sel_hi:[0,1]
	v_accvgpr_write_b32 a0, v8
	v_accvgpr_write_b32 a1, v9
	v_pk_mul_f32 v[8:9], v[40:41], v[32:33] op_sel_hi:[0,1]
	v_accvgpr_write_b32 a2, v8
	v_accvgpr_write_b32 a3, v9
	;; [unrolled: 3-line block ×3, first 2 shown]
	v_pk_mul_f32 v[48:49], v[40:41], v[42:43] op_sel_hi:[0,1]
	v_pk_mul_f32 v[42:43], v[40:41], v[30:31] op_sel_hi:[0,1]
	;; [unrolled: 1-line block ×9, first 2 shown]
	buffer_load_dword v56, off, s[0:3], s32 offset:240 ; 4-byte Folded Reload
	buffer_load_dword v57, off, s[0:3], s32 offset:244 ; 4-byte Folded Reload
	;; [unrolled: 1-line block ×4, first 2 shown]
	v_pk_mul_f32 v[6:7], v[40:41], v[6:7] op_sel_hi:[0,1]
	v_pk_mul_f32 v[14:15], v[40:41], v[14:15] op_sel_hi:[0,1]
	;; [unrolled: 1-line block ×16, first 2 shown]
	s_waitcnt vmcnt(1)
	v_mul_f32_e32 v6, v58, v6
	s_waitcnt vmcnt(0)
	v_mul_f32_e32 v7, v59, v7
	v_fmac_f32_e32 v6, v56, v14
	v_fmac_f32_e32 v7, v57, v15
	buffer_load_dword v56, off, s[0:3], s32 offset:264 ; 4-byte Folded Reload
	buffer_load_dword v57, off, s[0:3], s32 offset:268 ; 4-byte Folded Reload
	;; [unrolled: 1-line block ×4, first 2 shown]
	s_waitcnt vmcnt(3)
	v_fmac_f32_e32 v6, v56, v0
	s_waitcnt vmcnt(2)
	v_fmac_f32_e32 v7, v57, v1
	;; [unrolled: 2-line block ×4, first 2 shown]
	buffer_load_dword v56, off, s[0:3], s32 offset:280 ; 4-byte Folded Reload
	buffer_load_dword v57, off, s[0:3], s32 offset:284 ; 4-byte Folded Reload
	;; [unrolled: 1-line block ×4, first 2 shown]
	s_waitcnt vmcnt(3)
	v_fmac_f32_e32 v6, v56, v4
	s_waitcnt vmcnt(2)
	v_fmac_f32_e32 v7, v57, v5
	;; [unrolled: 2-line block ×4, first 2 shown]
	buffer_load_dword v44, off, s[0:3], s32 offset:296 ; 4-byte Folded Reload
	buffer_load_dword v45, off, s[0:3], s32 offset:300 ; 4-byte Folded Reload
	;; [unrolled: 1-line block ×4, first 2 shown]
	v_accvgpr_read_b32 v4, a4
	v_accvgpr_read_b32 v5, a5
	s_waitcnt vmcnt(3)
	v_fmac_f32_e32 v6, v44, v54
	s_waitcnt vmcnt(2)
	v_fmac_f32_e32 v7, v45, v55
	;; [unrolled: 2-line block ×4, first 2 shown]
	buffer_load_dword v52, off, s[0:3], s32 offset:312 ; 4-byte Folded Reload
	buffer_load_dword v53, off, s[0:3], s32 offset:316 ; 4-byte Folded Reload
	;; [unrolled: 1-line block ×4, first 2 shown]
	s_waitcnt vmcnt(3)
	v_fmac_f32_e32 v6, v52, v50
	s_waitcnt vmcnt(2)
	v_fmac_f32_e32 v7, v53, v51
	buffer_load_dword v50, off, s[0:3], s32 offset:328 ; 4-byte Folded Reload
	buffer_load_dword v51, off, s[0:3], s32 offset:332 ; 4-byte Folded Reload
	;; [unrolled: 1-line block ×4, first 2 shown]
	s_waitcnt vmcnt(5)
	v_fmac_f32_e32 v6, v54, v16
	s_waitcnt vmcnt(4)
	v_fmac_f32_e32 v7, v55, v17
	;; [unrolled: 2-line block ×4, first 2 shown]
	buffer_load_dword v0, off, s[0:3], s32 offset:344 ; 4-byte Folded Reload
	buffer_load_dword v1, off, s[0:3], s32 offset:348 ; 4-byte Folded Reload
	buffer_load_dword v2, off, s[0:3], s32 offset:352 ; 4-byte Folded Reload
	buffer_load_dword v3, off, s[0:3], s32 offset:356 ; 4-byte Folded Reload
	s_waitcnt vmcnt(5)
	v_fmac_f32_e32 v6, v52, v36
	s_waitcnt vmcnt(4)
	v_fmac_f32_e32 v7, v53, v37
	;; [unrolled: 2-line block ×6, first 2 shown]
	buffer_load_dword v0, off, s[0:3], s32 offset:360 ; 4-byte Folded Reload
	buffer_load_dword v1, off, s[0:3], s32 offset:364 ; 4-byte Folded Reload
	buffer_load_dword v2, off, s[0:3], s32 offset:368 ; 4-byte Folded Reload
	buffer_load_dword v3, off, s[0:3], s32 offset:372 ; 4-byte Folded Reload
	s_waitcnt vmcnt(3)
	v_fmac_f32_e32 v6, v0, v26
	s_waitcnt vmcnt(2)
	v_fmac_f32_e32 v7, v1, v27
	s_waitcnt vmcnt(1)
	v_fmac_f32_e32 v6, v2, v30
	s_waitcnt vmcnt(0)
	v_fmac_f32_e32 v7, v3, v31
	buffer_load_dword v0, off, s[0:3], s32 offset:376 ; 4-byte Folded Reload
	buffer_load_dword v1, off, s[0:3], s32 offset:380 ; 4-byte Folded Reload
	buffer_load_dword v2, off, s[0:3], s32 offset:384 ; 4-byte Folded Reload
	buffer_load_dword v3, off, s[0:3], s32 offset:388 ; 4-byte Folded Reload
	s_waitcnt vmcnt(3)
	v_fmac_f32_e32 v6, v0, v28
	s_waitcnt vmcnt(2)
	v_fmac_f32_e32 v7, v1, v29
	s_waitcnt vmcnt(1)
	v_fmac_f32_e32 v6, v2, v24
	s_waitcnt vmcnt(0)
	v_fmac_f32_e32 v7, v3, v25
	;; [unrolled: 12-line block ×5, first 2 shown]
	buffer_load_dword v0, off, s[0:3], s32 offset:440 ; 4-byte Folded Reload
	buffer_load_dword v1, off, s[0:3], s32 offset:444 ; 4-byte Folded Reload
	;; [unrolled: 1-line block ×4, first 2 shown]
	s_waitcnt vmcnt(3)
	v_fmac_f32_e32 v6, v0, v4
	s_waitcnt vmcnt(2)
	v_fmac_f32_e32 v7, v1, v5
	v_accvgpr_read_b32 v0, a2
	v_accvgpr_read_b32 v1, a3
	s_waitcnt vmcnt(1)
	v_fmac_f32_e32 v6, v2, v0
	s_waitcnt vmcnt(0)
	v_fmac_f32_e32 v7, v3, v1
	buffer_load_dword v0, off, s[0:3], s32 offset:456 ; 4-byte Folded Reload
	buffer_load_dword v1, off, s[0:3], s32 offset:460 ; 4-byte Folded Reload
	;; [unrolled: 1-line block ×4, first 2 shown]
	v_accvgpr_read_b32 v5, a1
	v_accvgpr_read_b32 v4, a0
	s_waitcnt vmcnt(2)
	v_fmac_f32_e32 v7, v1, v5
	buffer_load_dword v1, off, s[0:3], s32 offset:228 ; 4-byte Folded Reload
	v_fmac_f32_e32 v6, v0, v4
	s_waitcnt vmcnt(2)
	v_fmac_f32_e32 v6, v2, v12
	s_waitcnt vmcnt(1)
	v_fmac_f32_e32 v7, v3, v13
	v_add_f32_e32 v0, v6, v7
	s_waitcnt vmcnt(0)
	ds_bpermute_b32 v1, v1, v0
	s_and_saveexec_b64 s[34:35], s[6:7]
	s_cbranch_execz .LBB247_9
; %bb.347:                              ;   in Loop: Header=BB247_10 Depth=1
	s_waitcnt lgkmcnt(0)
	v_add_f32_e32 v0, v0, v1
	buffer_load_dword v1, off, s[0:3], s32 offset:472 ; 4-byte Folded Reload
	v_accvgpr_read_b32 v4, a60
	v_sub_u32_e32 v2, 1, v62
	v_add_u32_e32 v2, v2, v4
	v_cvt_f32_i32_e32 v2, v2
	s_load_dword vcc_lo, s[26:27], 0x0
	v_accvgpr_read_b32 v3, a63
	s_waitcnt vmcnt(0)
	v_mul_f32_e32 v1, v1, v2
	v_accvgpr_read_b32 v2, a61
	v_cndmask_b32_e64 v1, 0, v1, s[8:9]
	s_waitcnt lgkmcnt(0)
	v_add_u32_e32 v2, vcc_lo, v2
	v_fmac_f32_e32 v1, v0, v3
	v_cmp_lt_i32_e32 vcc, v4, v62
	v_cndmask_b32_e32 v0, 0, v1, vcc
	ds_write_b32 v2, v0
	buffer_load_dword v2, off, s[0:3], s32 offset:224 ; 4-byte Folded Reload
	s_waitcnt vmcnt(0)
	v_max_f32_e32 v0, v2, v2
	v_max_f32_e32 v0, v0, v1
	v_cndmask_b32_e32 v2, v2, v0, vcc
	buffer_store_dword v2, off, s[0:3], s32 offset:224 ; 4-byte Folded Spill
	s_branch .LBB247_9
.LBB247_348:
	s_or_b64 exec, exec, s[28:29]
	buffer_load_dword v11, off, s[0:3], s32 offset:552 ; 4-byte Folded Reload
	buffer_load_dword v10, off, s[0:3], s32 offset:548 ; 4-byte Folded Reload
	s_waitcnt lgkmcnt(0)
	buffer_load_dword v1, off, s[0:3], s32 offset:544 ; 4-byte Folded Reload
	buffer_load_dword v0, off, s[0:3], s32 offset:540 ; 4-byte Folded Reload
	;; [unrolled: 1-line block ×16, first 2 shown]
.LBB247_349:
	s_or_b64 exec, exec, s[10:11]
	s_waitcnt vmcnt(2)
	v_xor_b32_e32 v4, 32, v14
	s_waitcnt vmcnt(1)
	v_cmp_lt_i32_e32 vcc, v4, v13
	v_cndmask_b32_e32 v4, v14, v4, vcc
	v_lshlrev_b32_e32 v4, 2, v4
	s_waitcnt vmcnt(0)
	ds_bpermute_b32 v5, v4, v18
	v_xor_b32_e32 v7, 16, v14
	v_max_f32_e32 v6, v18, v18
	v_cmp_lt_i32_e32 vcc, v7, v13
	v_xor_b32_e32 v8, 8, v14
	s_waitcnt lgkmcnt(0)
	v_max_f32_e32 v5, v5, v5
	v_max_f32_e32 v6, v6, v5
	v_cndmask_b32_e32 v5, v14, v7, vcc
	v_lshlrev_b32_e32 v5, 2, v5
	ds_bpermute_b32 v7, v5, v6
	v_cmp_lt_i32_e32 vcc, v8, v13
	v_xor_b32_e32 v9, 4, v14
	s_lshr_b32 s28, s40, 16
	s_waitcnt lgkmcnt(0)
	v_max_f32_e32 v7, v7, v7
	v_max_f32_e32 v6, v6, v7
	v_cndmask_b32_e32 v7, v14, v8, vcc
	v_lshlrev_b32_e32 v8, 2, v7
	ds_bpermute_b32 v7, v8, v6
	v_cmp_lt_i32_e32 vcc, v9, v13
	s_waitcnt lgkmcnt(0)
	v_max_f32_e32 v7, v7, v7
	v_max_f32_e32 v6, v6, v7
	v_cndmask_b32_e32 v7, v14, v9, vcc
	v_lshlrev_b32_e32 v24, 2, v7
	ds_bpermute_b32 v7, v24, v6
	v_xor_b32_e32 v9, 2, v14
	v_cmp_lt_i32_e32 vcc, v9, v13
	s_waitcnt lgkmcnt(0)
	v_max_f32_e32 v7, v7, v7
	v_max_f32_e32 v6, v6, v7
	v_cndmask_b32_e32 v7, v14, v9, vcc
	buffer_load_dword v9, off, s[0:3], s32 offset:476 ; 4-byte Folded Reload
	v_lshlrev_b32_e32 v30, 2, v7
	ds_bpermute_b32 v7, v30, v6
	s_waitcnt vmcnt(0)
	v_and_b32_e32 v28, 63, v9
	v_cmp_eq_u32_e32 vcc, 0, v28
	v_lshlrev_b32_e32 v9, 2, v25
	s_and_saveexec_b64 s[6:7], vcc
	s_cbranch_execz .LBB247_351
; %bb.350:
	s_waitcnt lgkmcnt(0)
	v_max_f32_e32 v7, v7, v7
	v_max_f32_e32 v6, v6, v6
	;; [unrolled: 1-line block ×3, first 2 shown]
	ds_write_b32 v9, v6 offset:448
.LBB247_351:
	s_or_b64 exec, exec, s[6:7]
	v_cmp_gt_u32_e64 s[6:7], 2, v28
	v_mov_b32_e32 v6, 0xff7fffff
	v_lshlrev_b32_e32 v12, 2, v28
	s_waitcnt lgkmcnt(0)
	s_barrier
	s_and_saveexec_b64 s[8:9], s[6:7]
	s_cbranch_execz .LBB247_353
; %bb.352:
	ds_read_b32 v6, v12 offset:448
.LBB247_353:
	s_or_b64 exec, exec, s[8:9]
	v_xor_b32_e32 v7, 1, v14
	v_cmp_lt_i32_e64 s[8:9], v7, v13
	buffer_load_dword v13, off, s[0:3], s32 offset:204 ; 4-byte Folded Reload
	buffer_load_dword v16, off, s[0:3], s32 offset:476 ; 4-byte Folded Reload
	v_cndmask_b32_e64 v7, v14, v7, s[8:9]
	v_lshlrev_b32_e32 v31, 2, v7
	s_waitcnt lgkmcnt(0)
	ds_bpermute_b32 v7, v31, v6
	v_max_f32_e32 v6, v6, v6
	v_mov_b32_e32 v19, 0
	s_waitcnt lgkmcnt(0)
	v_max_f32_e32 v7, v7, v7
	v_max_f32_e32 v6, v6, v7
	v_lshlrev_b32_e32 v7, 2, v14
	v_and_b32_e32 v14, 0xffffff00, v7
	ds_bpermute_b32 v6, v14, v6
	s_waitcnt vmcnt(1)
	v_subrev_u32_e32 v13, s21, v13
	v_lshl_add_u32 v13, v13, 5, s23
	v_min_i32_e32 v13, v13, v62
	v_subrev_u32_e32 v7, s23, v13
	s_waitcnt vmcnt(0)
	v_cmp_lt_i32_e64 s[8:9], v16, v7
	s_and_saveexec_b64 s[24:25], s[8:9]
	s_cbranch_execz .LBB247_357
; %bb.354:
	buffer_load_dword v17, off, s[0:3], s32 offset:476 ; 4-byte Folded Reload
	s_ashr_i32 s19, s18, 31
	s_lshl_b64 s[10:11], s[18:19], 2
	s_getpc_b64 s[26:27]
	s_add_u32 s26, s26, llvm.amdgcn.dynlds.offset.table@rel32@lo+4
	s_addc_u32 s27, s27, llvm.amdgcn.dynlds.offset.table@rel32@hi+12
	s_add_u32 s10, s10, s26
	s_addc_u32 s11, s11, s27
	s_load_dword s10, s[10:11], 0x0
	s_mov_b64 s[26:27], 0
	v_mov_b32_e32 v19, 0
	s_waitcnt vmcnt(0) lgkmcnt(0)
	v_lshl_add_u32 v16, v17, 2, s10
.LBB247_355:                            ; =>This Inner Loop Header: Depth=1
	ds_read_b32 v18, v16
	v_add_u32_e32 v17, 0x80, v17
	v_cmp_ge_i32_e64 s[10:11], v17, v7
	s_or_b64 s[26:27], s[10:11], s[26:27]
	s_waitcnt lgkmcnt(0)
	v_sub_f32_e32 v18, v18, v6
	v_mul_f32_e32 v18, 0x3fb8aa3b, v18
	v_exp_f32_e32 v18, v18
	ds_write_b32 v16, v18
	v_add_f32_e32 v19, v19, v18
	v_add_u32_e32 v16, 0x200, v16
	s_andn2_b64 exec, exec, s[26:27]
	s_cbranch_execnz .LBB247_355
; %bb.356:
	s_or_b64 exec, exec, s[26:27]
.LBB247_357:
	s_or_b64 exec, exec, s[24:25]
	ds_bpermute_b32 v4, v4, v19
	s_waitcnt lgkmcnt(0)
	v_add_f32_e32 v4, v19, v4
	ds_bpermute_b32 v5, v5, v4
	s_waitcnt lgkmcnt(0)
	v_add_f32_e32 v4, v4, v5
	;; [unrolled: 3-line block ×6, first 2 shown]
	s_and_saveexec_b64 s[10:11], vcc
	s_cbranch_execz .LBB247_359
; %bb.358:
	ds_write_b32 v9, v4 offset:456
.LBB247_359:
	s_or_b64 exec, exec, s[10:11]
	s_waitcnt lgkmcnt(0)
	s_barrier
	s_and_saveexec_b64 s[10:11], s[6:7]
	s_cbranch_execz .LBB247_361
; %bb.360:
	ds_read_b32 v4, v12 offset:456
.LBB247_361:
	s_or_b64 exec, exec, s[10:11]
	s_waitcnt lgkmcnt(0)
	ds_bpermute_b32 v5, v31, v4
	s_waitcnt lgkmcnt(0)
	v_add_f32_e32 v4, v4, v5
	ds_bpermute_b32 v8, v14, v4
	s_and_saveexec_b64 s[6:7], s[8:9]
	s_cbranch_execz .LBB247_374
; %bb.362:
	s_waitcnt lgkmcnt(0)
	v_add_f32_e32 v4, 0x358637bd, v8
	v_div_scale_f32 v5, s[8:9], v4, v4, 1.0
	v_rcp_f32_e32 v9, v5
	v_div_scale_f32 v12, vcc, 1.0, v4, 1.0
	s_movk_i32 s8, 0x7f
	v_fma_f32 v14, -v5, v9, 1.0
	v_fmac_f32_e32 v9, v14, v9
	v_mul_f32_e32 v14, v12, v9
	v_fma_f32 v16, -v5, v14, v12
	v_fmac_f32_e32 v14, v16, v9
	v_fma_f32 v5, -v5, v14, v12
	buffer_load_dword v12, off, s[0:3], s32 offset:476 ; 4-byte Folded Reload
	v_div_fmas_f32 v5, v5, v9, v14
	v_div_fixup_f32 v4, v5, v4, 1.0
	s_mov_b64 s[10:11], -1
	s_waitcnt vmcnt(0)
	v_xad_u32 v5, v12, -1, v13
	v_subrev_u32_e32 v9, s23, v5
	v_cmp_lt_u32_e32 vcc, s8, v9
	v_mov_b32_e32 v5, v12
	s_and_saveexec_b64 s[8:9], vcc
	s_cbranch_execz .LBB247_371
; %bb.363:
	v_lshrrev_b32_e32 v9, 7, v9
	v_add_u32_e32 v13, -1, v9
	v_lshrrev_b32_e32 v12, 1, v13
	v_mov_b32_e32 v5, v4
	v_add_u32_e32 v12, 1, v12
	v_cmp_lt_u32_e32 vcc, 13, v13
	v_mov_b32_e32 v16, 0
	s_and_saveexec_b64 s[10:11], vcc
	s_cbranch_execz .LBB247_367
; %bb.364:
	buffer_load_dword v14, off, s[0:3], s32 offset:476 ; 4-byte Folded Reload
	s_ashr_i32 s19, s18, 31
	s_lshl_b64 s[24:25], s[18:19], 2
	s_getpc_b64 s[26:27]
	s_add_u32 s26, s26, llvm.amdgcn.dynlds.offset.table@rel32@lo+4
	s_addc_u32 s27, s27, llvm.amdgcn.dynlds.offset.table@rel32@hi+12
	s_add_u32 s24, s24, s26
	s_addc_u32 s25, s25, s27
	s_load_dword s21, s[24:25], 0x0
	v_and_b32_e32 v13, -8, v12
	s_mov_b32 s19, 0
	s_mov_b64 s[24:25], 0
	s_waitcnt vmcnt(0) lgkmcnt(0)
	v_lshl_add_u32 v14, v14, 2, s21
.LBB247_365:                            ; =>This Inner Loop Header: Depth=1
	ds_read2st64_b32 v[16:17], v14 offset1:2
	ds_read2st64_b32 v[18:19], v14 offset0:4 offset1:6
	ds_read2st64_b32 v[20:21], v14 offset0:8 offset1:10
	ds_read2st64_b32 v[22:23], v14 offset0:12 offset1:14
	v_add_u32_e32 v13, -8, v13
	s_waitcnt lgkmcnt(3)
	v_pk_mul_f32 v[16:17], v[4:5], v[16:17]
	s_waitcnt lgkmcnt(2)
	v_pk_mul_f32 v[18:19], v[4:5], v[18:19]
	ds_write2st64_b32 v14, v16, v17 offset1:2
	ds_write2st64_b32 v14, v18, v19 offset0:4 offset1:6
	ds_read2st64_b32 v[18:19], v14 offset0:16 offset1:18
	s_waitcnt lgkmcnt(4)
	v_pk_mul_f32 v[16:17], v[4:5], v[20:21]
	ds_write2st64_b32 v14, v16, v17 offset0:8 offset1:10
	s_waitcnt lgkmcnt(4)
	v_pk_mul_f32 v[16:17], v[4:5], v[22:23]
	ds_write2st64_b32 v14, v16, v17 offset0:12 offset1:14
	ds_read2st64_b32 v[16:17], v14 offset0:20 offset1:22
	s_waitcnt lgkmcnt(3)
	v_pk_mul_f32 v[18:19], v[4:5], v[18:19]
	ds_read2st64_b32 v[20:21], v14 offset0:24 offset1:26
	ds_write2st64_b32 v14, v18, v19 offset0:16 offset1:18
	ds_read2st64_b32 v[18:19], v14 offset0:28 offset1:30
	s_waitcnt lgkmcnt(3)
	v_pk_mul_f32 v[16:17], v[4:5], v[16:17]
	ds_write2st64_b32 v14, v16, v17 offset0:20 offset1:22
	s_waitcnt lgkmcnt(3)
	v_pk_mul_f32 v[16:17], v[4:5], v[20:21]
	ds_write2st64_b32 v14, v16, v17 offset0:24 offset1:26
	s_waitcnt lgkmcnt(2)
	v_pk_mul_f32 v[16:17], v[4:5], v[18:19]
	s_add_i32 s19, s19, 16
	v_cmp_eq_u32_e32 vcc, 0, v13
	ds_write2st64_b32 v14, v16, v17 offset0:28 offset1:30
	v_add_u32_e32 v14, 0x2000, v14
	s_or_b64 s[24:25], vcc, s[24:25]
	v_mov_b32_e32 v16, s19
	s_andn2_b64 exec, exec, s[24:25]
	s_cbranch_execnz .LBB247_365
; %bb.366:
	s_or_b64 exec, exec, s[24:25]
.LBB247_367:
	s_or_b64 exec, exec, s[10:11]
	v_and_b32_e32 v12, 7, v12
	v_cmp_ne_u32_e32 vcc, 0, v12
	s_and_saveexec_b64 s[10:11], vcc
	s_cbranch_execz .LBB247_370
; %bb.368:
	s_ashr_i32 s19, s18, 31
	s_lshl_b64 s[24:25], s[18:19], 2
	s_getpc_b64 s[26:27]
	s_add_u32 s26, s26, llvm.amdgcn.dynlds.offset.table@rel32@lo+4
	s_addc_u32 s27, s27, llvm.amdgcn.dynlds.offset.table@rel32@hi+12
	s_add_u32 s24, s24, s26
	s_addc_u32 s25, s25, s27
	s_load_dword s19, s[24:25], 0x0
	v_lshlrev_b32_e32 v13, 9, v16
	s_mov_b64 s[24:25], 0
	s_waitcnt lgkmcnt(0)
	v_add3_u32 v13, v13, v32, s19
.LBB247_369:                            ; =>This Inner Loop Header: Depth=1
	ds_read2st64_b32 v[16:17], v13 offset1:2
	v_add_u32_e32 v12, -1, v12
	v_cmp_eq_u32_e32 vcc, 0, v12
	s_or_b64 s[24:25], vcc, s[24:25]
	s_waitcnt lgkmcnt(0)
	v_pk_mul_f32 v[16:17], v[4:5], v[16:17]
	ds_write2st64_b32 v13, v16, v17 offset1:2
	v_add_u32_e32 v13, 0x400, v13
	s_andn2_b64 exec, exec, s[24:25]
	s_cbranch_execnz .LBB247_369
.LBB247_370:
	s_or_b64 exec, exec, s[10:11]
	buffer_load_dword v5, off, s[0:3], s32 offset:476 ; 4-byte Folded Reload
	v_add_u32_e32 v9, 1, v9
	v_and_b32_e32 v12, 0x3fffffe, v9
	v_cmp_ne_u32_e32 vcc, v9, v12
	s_orn2_b64 s[10:11], vcc, exec
	s_waitcnt vmcnt(0)
	v_lshl_add_u32 v5, v12, 7, v5
.LBB247_371:
	s_or_b64 exec, exec, s[8:9]
	s_and_b64 exec, exec, s[10:11]
	s_cbranch_execz .LBB247_374
; %bb.372:
	s_ashr_i32 s19, s18, 31
	s_lshl_b64 s[8:9], s[18:19], 2
	s_getpc_b64 s[10:11]
	s_add_u32 s10, s10, llvm.amdgcn.dynlds.offset.table@rel32@lo+4
	s_addc_u32 s11, s11, llvm.amdgcn.dynlds.offset.table@rel32@hi+12
	s_add_u32 s8, s8, s10
	s_addc_u32 s9, s9, s11
	s_load_dword s8, s[8:9], 0x0
	s_waitcnt lgkmcnt(0)
	v_lshl_add_u32 v9, v5, 2, s8
	s_mov_b64 s[8:9], 0
.LBB247_373:                            ; =>This Inner Loop Header: Depth=1
	ds_read_b32 v12, v9
	v_add_u32_e32 v5, 0x80, v5
	v_cmp_ge_i32_e32 vcc, v5, v7
	s_or_b64 s[8:9], vcc, s[8:9]
	s_waitcnt lgkmcnt(0)
	v_mul_f32_e32 v12, v4, v12
	ds_write_b32 v9, v12
	v_add_u32_e32 v9, 0x200, v9
	s_andn2_b64 exec, exec, s[8:9]
	s_cbranch_execnz .LBB247_373
.LBB247_374:
	s_or_b64 exec, exec, s[6:7]
	s_waitcnt lgkmcnt(0)
	s_barrier
	buffer_load_dword v4, off, s[0:3], s32 offset:476 ; 4-byte Folded Reload
	v_cmp_ne_u16_e64 s[6:7], s28, 0
	s_cmp_lg_u64 s[6:7], 0
	s_addc_u32 s21, s13, 0
	s_mul_i32 s6, s21, s22
	s_mul_i32 s6, s6, s15
	s_waitcnt vmcnt(0)
	v_cmp_eq_u32_e32 vcc, 0, v4
	s_and_saveexec_b64 s[8:9], vcc
	s_cbranch_execz .LBB247_376
; %bb.375:
	s_mul_i32 s12, s21, s12
	s_ashr_i32 s7, s6, 31
	s_ashr_i32 s13, s12, 31
	;; [unrolled: 1-line block ×3, first 2 shown]
	s_lshl_b64 s[10:11], s[6:7], 2
	s_lshl_b64 s[12:13], s[12:13], 2
	;; [unrolled: 1-line block ×3, first 2 shown]
	s_add_u32 s7, s24, s12
	s_addc_u32 s12, s25, s13
	s_add_u32 s7, s7, s10
	s_addc_u32 s10, s12, s11
	v_mov_b32_e32 v4, s10
	v_add_co_u32_e32 v2, vcc, s7, v2
	v_addc_co_u32_e32 v3, vcc, v4, v3, vcc
	flat_store_dword v[2:3], v6
	v_mov_b32_e32 v2, s10
	v_add_co_u32_e32 v0, vcc, s7, v0
	v_addc_co_u32_e32 v1, vcc, v2, v1, vcc
	flat_store_dword v[0:1], v8
.LBB247_376:
	s_or_b64 exec, exec, s[8:9]
	buffer_load_dword v0, off, s[0:3], s32 offset:476 ; 4-byte Folded Reload
	s_mov_b32 s10, 0
	v_mov_b32_e32 v22, 0
	v_mov_b32_e32 v23, 0
	;; [unrolled: 1-line block ×14, first 2 shown]
	s_waitcnt vmcnt(0)
	v_and_b32_e32 v36, 7, v0
	s_and_saveexec_b64 s[8:9], s[4:5]
	s_cbranch_execz .LBB247_744
; %bb.377:
	v_add_co_u32_e32 v3, vcc, v10, v34
	v_addc_co_u32_e32 v4, vcc, v11, v35, vcc
	v_and_b32_e32 v5, 0xfc, v32
	v_accvgpr_write_b32 a2, v24
	flat_load_dword v24, v[26:27]
	buffer_load_dword v0, off, s[0:3], s32 offset:188 ; 4-byte Folded Reload
	buffer_load_dword v1, off, s[0:3], s32 offset:192 ; 4-byte Folded Reload
	v_add_co_u32_e32 v26, vcc, v3, v5
	v_addc_co_u32_e32 v27, vcc, 0, v4, vcc
	buffer_load_dword v4, off, s[0:3], s32 offset:488 ; 4-byte Folded Reload
	buffer_load_dword v5, off, s[0:3], s32 offset:492 ; 4-byte Folded Reload
	s_ashr_i32 s19, s18, 31
	s_getpc_b64 s[4:5]
	s_add_u32 s4, s4, llvm.amdgcn.dynlds.offset.table@rel32@lo+4
	s_addc_u32 s5, s5, llvm.amdgcn.dynlds.offset.table@rel32@hi+12
	s_lshl_b64 s[24:25], s[18:19], 2
	s_add_u32 s4, s24, s4
	s_addc_u32 s5, s25, s5
	s_load_dword s4, s[4:5], 0x0
	v_and_b32_e32 v2, 28, v32
	v_lshl_add_u32 v10, v25, 5, s23
	v_lshlrev_b32_e32 v11, 4, v36
	v_accvgpr_write_b32 a14, v26
	v_add3_u32 v44, v10, v2, 3
	v_lshl_or_b32 v2, v25, 7, v11
	v_accvgpr_write_b32 a3, v31
	v_accvgpr_write_b32 a1, v30
	;; [unrolled: 1-line block ×3, first 2 shown]
	v_add_u32_e32 v47, -1, v33
	v_mov_b32_e32 v43, 0
	v_accvgpr_write_b32 a4, v36
	s_mov_b64 s[12:13], 0
	s_movk_i32 s7, 0x80
	s_movk_i32 s15, 0x7f
	s_brev_b32 s11, 1
	s_mov_b32 s23, 0x7f800001
	s_mov_b32 s30, 0xffffff
	v_bfrev_b32_e32 v46, 60
	v_mov_b32_e32 v45, 7
	v_mov_b32_e32 v7, 0
	;; [unrolled: 1-line block ×14, first 2 shown]
	v_accvgpr_write_b32 a15, v27
	v_mov_b32_e32 v22, 0
	s_waitcnt vmcnt(0) lgkmcnt(0)
	v_mov_b32_e32 v25, v24
	v_lshlrev_b64 v[0:1], 2, v[0:1]
	v_add_co_u32_e32 v0, vcc, v4, v0
	v_addc_co_u32_e32 v1, vcc, v5, v1, vcc
	v_add_co_u32_e32 v4, vcc, v29, v0
	v_addc_co_u32_e32 v5, vcc, v15, v1, vcc
	v_add_u32_e32 v1, s4, v2
	s_branch .LBB247_379
.LBB247_378:                            ;   in Loop: Header=BB247_379 Depth=1
	s_or_b64 exec, exec, s[4:5]
	v_mul_f32_e32 v15, v1, v15
	v_fmac_f32_e32 v15, v0, v14
	v_mul_f32_e32 v14, v1, v61
	v_fmac_f32_e32 v14, v0, v60
	;; [unrolled: 2-line block ×3, first 2 shown]
	v_fmac_f32_e32 v14, v2, v26
	v_fmac_f32_e32 v10, v0, v48
	;; [unrolled: 1-line block ×5, first 2 shown]
	v_add_f32_e32 v13, v13, v15
	v_add_f32_e32 v12, v12, v14
	v_accvgpr_read_b32 v14, a38
	v_fmac_f32_e32 v10, v3, v51
	v_accvgpr_read_b32 v15, a39
	v_add_f32_e32 v6, v6, v10
	v_mul_f32_e32 v10, v1, v15
	v_fmac_f32_e32 v10, v0, v14
	v_accvgpr_read_b32 v14, a40
	v_accvgpr_read_b32 v15, a41
	v_fmac_f32_e32 v10, v2, v14
	v_fmac_f32_e32 v10, v3, v15
	v_accvgpr_read_b32 v14, a34
	v_accvgpr_read_b32 v15, a35
	v_add_f32_e32 v16, v16, v10
	v_mul_f32_e32 v10, v1, v15
	v_fmac_f32_e32 v10, v0, v14
	v_accvgpr_read_b32 v14, a36
	v_accvgpr_read_b32 v15, a37
	v_fmac_f32_e32 v10, v2, v14
	v_fmac_f32_e32 v10, v3, v15
	v_accvgpr_read_b32 v14, a30
	;; [unrolled: 9-line block ×6, first 2 shown]
	v_add_f32_e32 v23, v23, v10
	v_accvgpr_read_b32 v14, a6
	v_mul_f32_e32 v10, v1, v15
	v_mul_f32_e32 v11, v1, v37
	;; [unrolled: 1-line block ×4, first 2 shown]
	v_fmac_f32_e32 v10, v0, v14
	v_accvgpr_read_b32 v15, a9
	v_mul_f32_e32 v1, v1, v31
	v_fmac_f32_e32 v11, v0, v36
	v_fmac_f32_e32 v33, v0, v32
	;; [unrolled: 1-line block ×3, first 2 shown]
	v_accvgpr_read_b32 v14, a8
	v_fmac_f32_e32 v1, v0, v30
	v_fmac_f32_e32 v11, v2, v38
	;; [unrolled: 1-line block ×11, first 2 shown]
	buffer_load_dword v2, off, s[0:3], s32 offset:188 ; 4-byte Folded Reload
	buffer_load_dword v3, off, s[0:3], s32 offset:192 ; 4-byte Folded Reload
	v_add_f32_e32 v7, v7, v1
	v_add_co_u32_e32 v4, vcc, 8, v4
	v_addc_co_u32_e32 v5, vcc, 0, v5, vcc
	v_add_f32_e32 v9, v9, v11
	v_add_f32_e32 v8, v8, v33
	;; [unrolled: 1-line block ×4, first 2 shown]
	v_add_u32_e32 v44, 64, v44
	s_waitcnt vmcnt(1)
	v_add_u32_e32 v2, 2, v2
	v_mov_b32_e32 v0, v2
	buffer_store_dword v0, off, s[0:3], s32 offset:188 ; 4-byte Folded Spill
	s_nop 0
	buffer_store_dword v1, off, s[0:3], s32 offset:192 ; 4-byte Folded Spill
	buffer_load_dword v0, off, s[0:3], s32 offset:204 ; 4-byte Folded Reload
	v_accvgpr_read_b32 v1, a11
	v_add_u32_e32 v1, 0x100, v1
	s_waitcnt vmcnt(0)
	v_cmp_ge_i32_e32 vcc, v2, v0
	s_or_b64 s[12:13], vcc, s[12:13]
	s_andn2_b64 exec, exec, s[12:13]
	s_cbranch_execz .LBB247_743
.LBB247_379:                            ; =>This Inner Loop Header: Depth=1
	flat_load_dword v0, v[4:5]
	buffer_load_dword v2, off, s[0:3], s32 offset:196 ; 4-byte Folded Reload
	buffer_load_dword v3, off, s[0:3], s32 offset:200 ; 4-byte Folded Reload
	v_accvgpr_read_b32 v10, a14
	v_accvgpr_read_b32 v11, a15
	v_accvgpr_write_b32 a11, v1
	v_pk_mov_b32 v[28:29], 0, 0
	v_pk_mov_b32 v[26:27], v[28:29], v[28:29] op_sel:[0,1]
	s_waitcnt vmcnt(0) lgkmcnt(0)
	v_mad_i64_i32 v[30:31], s[4:5], v0, v2, v[10:11]
	flat_load_dword v14, v[30:31]
	ds_read_b128 v[0:3], v1
	s_waitcnt vmcnt(0) lgkmcnt(0)
	v_cmp_ne_u16_sdwa s[24:25], v14, v43 src0_sel:BYTE_0 src1_sel:DWORD
	s_and_saveexec_b64 s[4:5], s[24:25]
	s_cbranch_execz .LBB247_385
; %bb.380:                              ;   in Loop: Header=BB247_379 Depth=1
	v_bfrev_b32_e32 v26, 1
	v_cmp_ne_u16_sdwa s[26:27], v14, s7 src0_sel:BYTE_0 src1_sel:DWORD
	v_mov_b32_e32 v27, 0
	s_and_saveexec_b64 s[24:25], s[26:27]
	s_cbranch_execz .LBB247_384
; %bb.381:                              ;   in Loop: Header=BB247_379 Depth=1
	v_and_b32_e32 v10, 0x7f, v14
	v_mov_b32_e32 v26, 0x7f800001
	v_cmp_ne_u32_e32 vcc, s15, v10
	v_mov_b32_e32 v27, 0
	s_and_saveexec_b64 s[26:27], vcc
	s_cbranch_execz .LBB247_383
; %bb.382:                              ;   in Loop: Header=BB247_379 Depth=1
	v_and_b32_e32 v11, 7, v14
	v_ffbh_u32_e32 v26, v11
	v_min_u32_e32 v32, 32, v26
	v_lshrrev_b32_e32 v15, 3, v10
	v_subrev_u32_e32 v26, 28, v32
	v_lshlrev_b64 v[26:27], v26, v[14:15]
	v_sub_u32_e32 v27, 29, v32
	v_and_b32_e32 v26, 7, v26
	v_cmp_gt_u32_e32 vcc, 8, v10
	v_cndmask_b32_e32 v10, v15, v27, vcc
	v_cndmask_b32_e32 v11, v11, v26, vcc
	v_lshlrev_b32_e32 v11, 20, v11
	v_and_b32_sdwa v15, sext(v14), s11 dst_sel:DWORD dst_unused:UNUSED_PAD src0_sel:BYTE_0 src1_sel:DWORD
	v_lshl_add_u32 v10, v10, 23, v46
	v_or3_b32 v42, v15, v10, v11
	v_pk_mov_b32 v[26:27], v[42:43], v[42:43] op_sel:[0,1]
.LBB247_383:                            ;   in Loop: Header=BB247_379 Depth=1
	s_or_b64 exec, exec, s[26:27]
.LBB247_384:                            ;   in Loop: Header=BB247_379 Depth=1
	s_or_b64 exec, exec, s[24:25]
.LBB247_385:                            ;   in Loop: Header=BB247_379 Depth=1
	s_or_b64 exec, exec, s[4:5]
	v_cmp_ne_u16_sdwa s[24:25], v14, v43 src0_sel:BYTE_1 src1_sel:DWORD
	s_and_saveexec_b64 s[4:5], s[24:25]
	s_cbranch_execz .LBB247_391
; %bb.386:                              ;   in Loop: Header=BB247_379 Depth=1
	v_cmp_ne_u16_sdwa s[26:27], v14, s7 src0_sel:BYTE_1 src1_sel:DWORD
	v_pk_mov_b32 v[28:29], s[10:11], s[10:11] op_sel:[0,1]
	s_and_saveexec_b64 s[24:25], s[26:27]
	s_cbranch_execz .LBB247_390
; %bb.387:                              ;   in Loop: Header=BB247_379 Depth=1
	v_and_b32_sdwa v10, v14, s15 dst_sel:DWORD dst_unused:UNUSED_PAD src0_sel:BYTE_1 src1_sel:DWORD
	s_mov_b32 s22, s10
	v_cmp_ne_u32_e32 vcc, s15, v10
	v_pk_mov_b32 v[28:29], s[22:23], s[22:23] op_sel:[0,1]
	s_and_saveexec_b64 s[26:27], vcc
	s_cbranch_execz .LBB247_389
; %bb.388:                              ;   in Loop: Header=BB247_379 Depth=1
	v_and_b32_sdwa v42, v14, v45 dst_sel:DWORD dst_unused:UNUSED_PAD src0_sel:BYTE_1 src1_sel:DWORD
	v_ffbh_u32_e32 v15, v42
	v_min_u32_e32 v15, 32, v15
	v_subrev_u32_e32 v28, 28, v15
	v_lshrrev_b32_e32 v11, 3, v10
	v_lshlrev_b64 v[28:29], v28, v[42:43]
	v_sub_u32_e32 v15, 29, v15
	v_cmp_gt_u32_e32 vcc, 8, v10
	v_and_b32_e32 v28, 7, v28
	v_cndmask_b32_e32 v10, v11, v15, vcc
	v_cndmask_b32_e32 v11, v42, v28, vcc
	v_lshlrev_b32_e32 v15, 16, v14
	v_lshl_add_u32 v10, v10, 23, v46
	v_and_or_b32 v10, v15, s11, v10
	v_lshlrev_b32_e32 v11, 20, v11
	v_or_b32_e32 v29, v10, v11
	v_mov_b32_e32 v28, v43
.LBB247_389:                            ;   in Loop: Header=BB247_379 Depth=1
	s_or_b64 exec, exec, s[26:27]
.LBB247_390:                            ;   in Loop: Header=BB247_379 Depth=1
	s_or_b64 exec, exec, s[24:25]
.LBB247_391:                            ;   in Loop: Header=BB247_379 Depth=1
	s_or_b64 exec, exec, s[4:5]
	v_lshrrev_b32_e32 v10, 16, v14
	v_pk_mov_b32 v[34:35], 0, 0
	v_cmp_ne_u16_sdwa s[24:25], v10, v43 src0_sel:BYTE_0 src1_sel:DWORD
	v_pk_mov_b32 v[32:33], v[34:35], v[34:35] op_sel:[0,1]
	s_and_saveexec_b64 s[4:5], s[24:25]
	s_cbranch_execz .LBB247_397
; %bb.392:                              ;   in Loop: Header=BB247_379 Depth=1
	v_bfrev_b32_e32 v32, 1
	v_cmp_ne_u16_sdwa s[26:27], v10, s7 src0_sel:BYTE_0 src1_sel:DWORD
	v_mov_b32_e32 v33, 0
	s_and_saveexec_b64 s[24:25], s[26:27]
	s_cbranch_execz .LBB247_396
; %bb.393:                              ;   in Loop: Header=BB247_379 Depth=1
	v_bfe_u32 v11, v14, 16, 7
	v_mov_b32_e32 v32, 0x7f800001
	v_cmp_ne_u32_e32 vcc, s15, v11
	v_mov_b32_e32 v33, 0
	s_and_saveexec_b64 s[26:27], vcc
	s_cbranch_execz .LBB247_395
; %bb.394:                              ;   in Loop: Header=BB247_379 Depth=1
	v_and_b32_e32 v15, 7, v10
	v_ffbh_u32_e32 v32, v15
	v_min_u32_e32 v37, 32, v32
	v_subrev_u32_e32 v32, 28, v37
	v_lshlrev_b64 v[32:33], v32, v[10:11]
	v_lshrrev_b32_e32 v36, 3, v11
	v_sub_u32_e32 v33, 29, v37
	v_and_b32_e32 v32, 7, v32
	v_cmp_gt_u32_e32 vcc, 8, v11
	v_cndmask_b32_e32 v11, v36, v33, vcc
	v_cndmask_b32_e32 v15, v15, v32, vcc
	v_lshlrev_b32_e32 v15, 20, v15
	v_and_b32_sdwa v10, sext(v10), s11 dst_sel:DWORD dst_unused:UNUSED_PAD src0_sel:BYTE_0 src1_sel:DWORD
	v_lshl_add_u32 v11, v11, 23, v46
	v_or3_b32 v42, v10, v11, v15
	v_pk_mov_b32 v[32:33], v[42:43], v[42:43] op_sel:[0,1]
.LBB247_395:                            ;   in Loop: Header=BB247_379 Depth=1
	s_or_b64 exec, exec, s[26:27]
.LBB247_396:                            ;   in Loop: Header=BB247_379 Depth=1
	s_or_b64 exec, exec, s[24:25]
.LBB247_397:                            ;   in Loop: Header=BB247_379 Depth=1
	s_or_b64 exec, exec, s[4:5]
	v_cmp_lt_u32_e32 vcc, s30, v14
	s_and_saveexec_b64 s[4:5], vcc
	s_cbranch_execz .LBB247_403
; %bb.398:                              ;   in Loop: Header=BB247_379 Depth=1
	v_cmp_ne_u32_sdwa s[26:27], v14, s7 src0_sel:BYTE_3 src1_sel:DWORD
	v_pk_mov_b32 v[34:35], s[10:11], s[10:11] op_sel:[0,1]
	s_and_saveexec_b64 s[24:25], s[26:27]
	s_cbranch_execz .LBB247_402
; %bb.399:                              ;   in Loop: Header=BB247_379 Depth=1
	v_bfe_u32 v10, v14, 24, 7
	s_mov_b32 s22, s10
	v_cmp_ne_u32_e32 vcc, s15, v10
	v_pk_mov_b32 v[34:35], s[22:23], s[22:23] op_sel:[0,1]
	s_and_saveexec_b64 s[26:27], vcc
	s_cbranch_execz .LBB247_401
; %bb.400:                              ;   in Loop: Header=BB247_379 Depth=1
	v_and_b32_sdwa v42, v14, v45 dst_sel:DWORD dst_unused:UNUSED_PAD src0_sel:BYTE_3 src1_sel:DWORD
	v_ffbh_u32_e32 v15, v42
	v_min_u32_e32 v15, 32, v15
	v_subrev_u32_e32 v34, 28, v15
	v_lshrrev_b32_e32 v11, 3, v10
	v_lshlrev_b64 v[34:35], v34, v[42:43]
	v_sub_u32_e32 v15, 29, v15
	v_cmp_gt_u32_e32 vcc, 8, v10
	v_and_b32_e32 v34, 7, v34
	v_cndmask_b32_e32 v10, v11, v15, vcc
	v_mov_b32_e32 v15, 24
	v_cndmask_b32_e32 v11, v42, v34, vcc
	v_lshlrev_b32_sdwa v14, v15, v14 dst_sel:DWORD dst_unused:UNUSED_PAD src0_sel:DWORD src1_sel:BYTE_3
	v_lshl_add_u32 v10, v10, 23, v46
	v_and_or_b32 v10, v14, s11, v10
	v_lshlrev_b32_e32 v11, 20, v11
	v_or_b32_e32 v35, v10, v11
	v_mov_b32_e32 v34, v43
.LBB247_401:                            ;   in Loop: Header=BB247_379 Depth=1
	s_or_b64 exec, exec, s[26:27]
.LBB247_402:                            ;   in Loop: Header=BB247_379 Depth=1
	s_or_b64 exec, exec, s[24:25]
.LBB247_403:                            ;   in Loop: Header=BB247_379 Depth=1
	s_or_b64 exec, exec, s[4:5]
	v_add_u32_e32 v10, -3, v44
	v_accvgpr_write_b32 a10, v10
	buffer_load_dword v10, off, s[0:3], s32 offset:188 ; 4-byte Folded Reload
	buffer_load_dword v11, off, s[0:3], s32 offset:192 ; 4-byte Folded Reload
	s_waitcnt vmcnt(0)
	v_or_b32_e32 v11, v29, v27
	v_cmp_eq_u32_e32 vcc, v47, v10
	v_or_b32_e32 v10, v28, v26
	v_pk_mul_f32 v[10:11], v[24:25], v[10:11]
	v_accvgpr_write_b32 a6, v10
	v_accvgpr_write_b32 a7, v11
	v_or_b32_e32 v11, v35, v33
	v_or_b32_e32 v10, v34, v32
	v_pk_mul_f32 v[10:11], v[24:25], v[10:11]
	v_accvgpr_write_b32 a8, v10
	v_accvgpr_write_b32 a9, v11
	v_add_u32_e32 v10, -2, v44
	v_accvgpr_write_b32 a16, v10
	v_add_u32_e32 v10, -1, v44
	v_accvgpr_write_b32 a13, v10
	s_and_saveexec_b64 s[24:25], vcc
	s_cbranch_execz .LBB247_405
; %bb.404:                              ;   in Loop: Header=BB247_379 Depth=1
	v_accvgpr_read_b32 v10, a10
	v_cmp_lt_i32_e64 s[4:5], v10, v62
	v_accvgpr_read_b32 v11, a7
	v_accvgpr_read_b32 v10, a6
	;; [unrolled: 1-line block ×3, first 2 shown]
	v_cndmask_b32_e64 v10, 0, v10, s[4:5]
	v_cmp_lt_i32_e64 s[4:5], v14, v62
	v_cndmask_b32_e64 v11, 0, v11, s[4:5]
	v_accvgpr_write_b32 a6, v10
	v_accvgpr_write_b32 a7, v11
	v_accvgpr_read_b32 v10, a13
	v_cmp_lt_i32_e64 s[4:5], v10, v62
	v_accvgpr_read_b32 v11, a9
	v_accvgpr_read_b32 v10, a8
	v_cndmask_b32_e64 v10, 0, v10, s[4:5]
	v_cmp_lt_i32_e64 s[4:5], v44, v62
	v_cndmask_b32_e64 v11, 0, v11, s[4:5]
	v_accvgpr_write_b32 a8, v10
	v_accvgpr_write_b32 a9, v11
.LBB247_405:                            ;   in Loop: Header=BB247_379 Depth=1
	s_or_b64 exec, exec, s[24:25]
	flat_load_dword v14, v[30:31] offset:256
	v_pk_mov_b32 v[28:29], 0, 0
	v_pk_mov_b32 v[26:27], v[28:29], v[28:29] op_sel:[0,1]
	s_waitcnt vmcnt(0) lgkmcnt(0)
	v_cmp_ne_u16_sdwa s[4:5], v14, v43 src0_sel:BYTE_0 src1_sel:DWORD
	s_and_saveexec_b64 s[24:25], s[4:5]
	s_cbranch_execz .LBB247_411
; %bb.406:                              ;   in Loop: Header=BB247_379 Depth=1
	v_bfrev_b32_e32 v26, 1
	v_cmp_ne_u16_sdwa s[4:5], v14, s7 src0_sel:BYTE_0 src1_sel:DWORD
	v_mov_b32_e32 v27, 0
	s_and_saveexec_b64 s[26:27], s[4:5]
	s_cbranch_execz .LBB247_410
; %bb.407:                              ;   in Loop: Header=BB247_379 Depth=1
	v_and_b32_e32 v10, 0x7f, v14
	v_mov_b32_e32 v26, 0x7f800001
	v_cmp_ne_u32_e64 s[4:5], s15, v10
	v_mov_b32_e32 v27, 0
	s_and_saveexec_b64 s[28:29], s[4:5]
	s_cbranch_execz .LBB247_409
; %bb.408:                              ;   in Loop: Header=BB247_379 Depth=1
	v_and_b32_e32 v11, 7, v14
	v_ffbh_u32_e32 v26, v11
	v_min_u32_e32 v32, 32, v26
	v_lshrrev_b32_e32 v15, 3, v10
	v_subrev_u32_e32 v26, 28, v32
	v_lshlrev_b64 v[26:27], v26, v[14:15]
	v_sub_u32_e32 v27, 29, v32
	v_and_b32_e32 v26, 7, v26
	v_cmp_gt_u32_e64 s[4:5], 8, v10
	v_cndmask_b32_e64 v10, v15, v27, s[4:5]
	v_cndmask_b32_e64 v11, v11, v26, s[4:5]
	v_lshlrev_b32_e32 v11, 20, v11
	v_and_b32_sdwa v15, sext(v14), s11 dst_sel:DWORD dst_unused:UNUSED_PAD src0_sel:BYTE_0 src1_sel:DWORD
	v_lshl_add_u32 v10, v10, 23, v46
	v_or3_b32 v42, v15, v10, v11
	v_pk_mov_b32 v[26:27], v[42:43], v[42:43] op_sel:[0,1]
.LBB247_409:                            ;   in Loop: Header=BB247_379 Depth=1
	s_or_b64 exec, exec, s[28:29]
.LBB247_410:                            ;   in Loop: Header=BB247_379 Depth=1
	s_or_b64 exec, exec, s[26:27]
.LBB247_411:                            ;   in Loop: Header=BB247_379 Depth=1
	s_or_b64 exec, exec, s[24:25]
	v_cmp_ne_u16_sdwa s[4:5], v14, v43 src0_sel:BYTE_1 src1_sel:DWORD
	s_and_saveexec_b64 s[24:25], s[4:5]
	s_cbranch_execz .LBB247_417
; %bb.412:                              ;   in Loop: Header=BB247_379 Depth=1
	v_cmp_ne_u16_sdwa s[4:5], v14, s7 src0_sel:BYTE_1 src1_sel:DWORD
	v_pk_mov_b32 v[28:29], s[10:11], s[10:11] op_sel:[0,1]
	s_and_saveexec_b64 s[26:27], s[4:5]
	s_cbranch_execz .LBB247_416
; %bb.413:                              ;   in Loop: Header=BB247_379 Depth=1
	v_and_b32_sdwa v10, v14, s15 dst_sel:DWORD dst_unused:UNUSED_PAD src0_sel:BYTE_1 src1_sel:DWORD
	s_mov_b32 s22, s10
	v_cmp_ne_u32_e64 s[4:5], s15, v10
	v_pk_mov_b32 v[28:29], s[22:23], s[22:23] op_sel:[0,1]
	s_and_saveexec_b64 s[28:29], s[4:5]
	s_cbranch_execz .LBB247_415
; %bb.414:                              ;   in Loop: Header=BB247_379 Depth=1
	v_and_b32_sdwa v42, v14, v45 dst_sel:DWORD dst_unused:UNUSED_PAD src0_sel:BYTE_1 src1_sel:DWORD
	v_ffbh_u32_e32 v15, v42
	v_min_u32_e32 v15, 32, v15
	v_subrev_u32_e32 v28, 28, v15
	v_lshrrev_b32_e32 v11, 3, v10
	v_lshlrev_b64 v[28:29], v28, v[42:43]
	v_sub_u32_e32 v15, 29, v15
	v_cmp_gt_u32_e64 s[4:5], 8, v10
	v_and_b32_e32 v28, 7, v28
	v_cndmask_b32_e64 v10, v11, v15, s[4:5]
	v_cndmask_b32_e64 v11, v42, v28, s[4:5]
	v_lshlrev_b32_e32 v15, 16, v14
	v_lshl_add_u32 v10, v10, 23, v46
	v_and_or_b32 v10, v15, s11, v10
	v_lshlrev_b32_e32 v11, 20, v11
	v_or_b32_e32 v29, v10, v11
	v_mov_b32_e32 v28, v43
.LBB247_415:                            ;   in Loop: Header=BB247_379 Depth=1
	s_or_b64 exec, exec, s[28:29]
.LBB247_416:                            ;   in Loop: Header=BB247_379 Depth=1
	s_or_b64 exec, exec, s[26:27]
.LBB247_417:                            ;   in Loop: Header=BB247_379 Depth=1
	s_or_b64 exec, exec, s[24:25]
	v_lshrrev_b32_e32 v34, 16, v14
	v_pk_mov_b32 v[10:11], 0, 0
	v_cmp_ne_u16_sdwa s[4:5], v34, v43 src0_sel:BYTE_0 src1_sel:DWORD
	v_pk_mov_b32 v[32:33], v[10:11], v[10:11] op_sel:[0,1]
	s_and_saveexec_b64 s[24:25], s[4:5]
	s_cbranch_execz .LBB247_423
; %bb.418:                              ;   in Loop: Header=BB247_379 Depth=1
	v_bfrev_b32_e32 v32, 1
	v_cmp_ne_u16_sdwa s[4:5], v34, s7 src0_sel:BYTE_0 src1_sel:DWORD
	v_mov_b32_e32 v33, 0
	s_and_saveexec_b64 s[26:27], s[4:5]
	s_cbranch_execz .LBB247_422
; %bb.419:                              ;   in Loop: Header=BB247_379 Depth=1
	v_bfe_u32 v15, v14, 16, 7
	v_mov_b32_e32 v32, 0x7f800001
	v_cmp_ne_u32_e64 s[4:5], s15, v15
	v_mov_b32_e32 v33, 0
	s_and_saveexec_b64 s[28:29], s[4:5]
	s_cbranch_execz .LBB247_421
; %bb.420:                              ;   in Loop: Header=BB247_379 Depth=1
	v_and_b32_e32 v35, 7, v34
	v_ffbh_u32_e32 v32, v35
	v_min_u32_e32 v37, 32, v32
	v_subrev_u32_e32 v32, 28, v37
	v_lshlrev_b64 v[32:33], v32, v[34:35]
	v_lshrrev_b32_e32 v36, 3, v15
	v_sub_u32_e32 v33, 29, v37
	v_and_b32_e32 v32, 7, v32
	v_cmp_gt_u32_e64 s[4:5], 8, v15
	v_cndmask_b32_e64 v15, v36, v33, s[4:5]
	v_cndmask_b32_e64 v32, v35, v32, s[4:5]
	v_lshlrev_b32_e32 v32, 20, v32
	v_and_b32_sdwa v33, sext(v34), s11 dst_sel:DWORD dst_unused:UNUSED_PAD src0_sel:BYTE_0 src1_sel:DWORD
	v_lshl_add_u32 v15, v15, 23, v46
	v_or3_b32 v42, v33, v15, v32
	v_pk_mov_b32 v[32:33], v[42:43], v[42:43] op_sel:[0,1]
.LBB247_421:                            ;   in Loop: Header=BB247_379 Depth=1
	s_or_b64 exec, exec, s[28:29]
.LBB247_422:                            ;   in Loop: Header=BB247_379 Depth=1
	s_or_b64 exec, exec, s[26:27]
.LBB247_423:                            ;   in Loop: Header=BB247_379 Depth=1
	s_or_b64 exec, exec, s[24:25]
	v_cmp_lt_u32_e64 s[4:5], s30, v14
	s_and_saveexec_b64 s[24:25], s[4:5]
	s_cbranch_execz .LBB247_429
; %bb.424:                              ;   in Loop: Header=BB247_379 Depth=1
	v_cmp_ne_u32_sdwa s[4:5], v14, s7 src0_sel:BYTE_3 src1_sel:DWORD
	v_pk_mov_b32 v[10:11], s[10:11], s[10:11] op_sel:[0,1]
	s_and_saveexec_b64 s[26:27], s[4:5]
	s_cbranch_execz .LBB247_428
; %bb.425:                              ;   in Loop: Header=BB247_379 Depth=1
	v_bfe_u32 v15, v14, 24, 7
	s_mov_b32 s22, s10
	v_cmp_ne_u32_e64 s[4:5], s15, v15
	v_pk_mov_b32 v[10:11], s[22:23], s[22:23] op_sel:[0,1]
	s_and_saveexec_b64 s[28:29], s[4:5]
	s_cbranch_execz .LBB247_427
; %bb.426:                              ;   in Loop: Header=BB247_379 Depth=1
	v_and_b32_sdwa v42, v14, v45 dst_sel:DWORD dst_unused:UNUSED_PAD src0_sel:BYTE_3 src1_sel:DWORD
	v_ffbh_u32_e32 v10, v42
	v_min_u32_e32 v35, 32, v10
	v_subrev_u32_e32 v10, 28, v35
	v_lshlrev_b64 v[10:11], v10, v[42:43]
	v_lshrrev_b32_e32 v34, 3, v15
	v_sub_u32_e32 v11, 29, v35
	v_cmp_gt_u32_e64 s[4:5], 8, v15
	v_and_b32_e32 v10, 7, v10
	v_cndmask_b32_e64 v11, v34, v11, s[4:5]
	v_mov_b32_e32 v15, 24
	v_cndmask_b32_e64 v10, v42, v10, s[4:5]
	v_lshlrev_b32_sdwa v14, v15, v14 dst_sel:DWORD dst_unused:UNUSED_PAD src0_sel:DWORD src1_sel:BYTE_3
	v_lshl_add_u32 v11, v11, 23, v46
	v_and_or_b32 v11, v14, s11, v11
	v_lshlrev_b32_e32 v10, 20, v10
	v_or_b32_e32 v11, v11, v10
	v_mov_b32_e32 v10, v43
.LBB247_427:                            ;   in Loop: Header=BB247_379 Depth=1
	s_or_b64 exec, exec, s[28:29]
.LBB247_428:                            ;   in Loop: Header=BB247_379 Depth=1
	s_or_b64 exec, exec, s[26:27]
.LBB247_429:                            ;   in Loop: Header=BB247_379 Depth=1
	s_or_b64 exec, exec, s[24:25]
	v_or_b32_e32 v15, v29, v27
	v_or_b32_e32 v14, v28, v26
	;; [unrolled: 1-line block ×4, first 2 shown]
	v_pk_mul_f32 v[14:15], v[24:25], v[14:15]
	v_pk_mul_f32 v[10:11], v[24:25], v[10:11]
	v_accvgpr_write_b32 a19, v15
	v_accvgpr_write_b32 a21, v11
	;; [unrolled: 1-line block ×4, first 2 shown]
	s_and_saveexec_b64 s[24:25], vcc
	s_cbranch_execz .LBB247_431
; %bb.430:                              ;   in Loop: Header=BB247_379 Depth=1
	v_accvgpr_read_b32 v10, a10
	v_cmp_lt_i32_e64 s[4:5], v10, v62
	v_accvgpr_read_b32 v14, a18
	v_accvgpr_read_b32 v10, a16
	;; [unrolled: 1-line block ×3, first 2 shown]
	v_cndmask_b32_e64 v14, 0, v14, s[4:5]
	v_cmp_lt_i32_e64 s[4:5], v10, v62
	v_accvgpr_read_b32 v10, a13
	v_cndmask_b32_e64 v15, 0, v15, s[4:5]
	v_cmp_lt_i32_e64 s[4:5], v10, v62
	v_accvgpr_read_b32 v10, a20
	v_accvgpr_read_b32 v11, a21
	v_cndmask_b32_e64 v10, 0, v10, s[4:5]
	v_cmp_lt_i32_e64 s[4:5], v44, v62
	v_cndmask_b32_e64 v11, 0, v11, s[4:5]
	v_accvgpr_write_b32 a19, v15
	v_accvgpr_write_b32 a21, v11
	;; [unrolled: 1-line block ×4, first 2 shown]
.LBB247_431:                            ;   in Loop: Header=BB247_379 Depth=1
	s_or_b64 exec, exec, s[24:25]
	flat_load_dword v14, v[30:31] offset:512
	v_pk_mov_b32 v[28:29], 0, 0
	v_pk_mov_b32 v[26:27], v[28:29], v[28:29] op_sel:[0,1]
	s_waitcnt vmcnt(0) lgkmcnt(0)
	v_cmp_ne_u16_sdwa s[4:5], v14, v43 src0_sel:BYTE_0 src1_sel:DWORD
	s_and_saveexec_b64 s[24:25], s[4:5]
	s_cbranch_execz .LBB247_437
; %bb.432:                              ;   in Loop: Header=BB247_379 Depth=1
	v_bfrev_b32_e32 v26, 1
	v_cmp_ne_u16_sdwa s[4:5], v14, s7 src0_sel:BYTE_0 src1_sel:DWORD
	v_mov_b32_e32 v27, 0
	s_and_saveexec_b64 s[26:27], s[4:5]
	s_cbranch_execz .LBB247_436
; %bb.433:                              ;   in Loop: Header=BB247_379 Depth=1
	v_and_b32_e32 v10, 0x7f, v14
	v_mov_b32_e32 v26, 0x7f800001
	v_cmp_ne_u32_e64 s[4:5], s15, v10
	v_mov_b32_e32 v27, 0
	s_and_saveexec_b64 s[28:29], s[4:5]
	s_cbranch_execz .LBB247_435
; %bb.434:                              ;   in Loop: Header=BB247_379 Depth=1
	v_and_b32_e32 v11, 7, v14
	v_ffbh_u32_e32 v26, v11
	v_min_u32_e32 v32, 32, v26
	v_lshrrev_b32_e32 v15, 3, v10
	v_subrev_u32_e32 v26, 28, v32
	v_lshlrev_b64 v[26:27], v26, v[14:15]
	v_sub_u32_e32 v27, 29, v32
	v_and_b32_e32 v26, 7, v26
	v_cmp_gt_u32_e64 s[4:5], 8, v10
	v_cndmask_b32_e64 v10, v15, v27, s[4:5]
	v_cndmask_b32_e64 v11, v11, v26, s[4:5]
	v_lshlrev_b32_e32 v11, 20, v11
	v_and_b32_sdwa v15, sext(v14), s11 dst_sel:DWORD dst_unused:UNUSED_PAD src0_sel:BYTE_0 src1_sel:DWORD
	v_lshl_add_u32 v10, v10, 23, v46
	v_or3_b32 v42, v15, v10, v11
	v_pk_mov_b32 v[26:27], v[42:43], v[42:43] op_sel:[0,1]
.LBB247_435:                            ;   in Loop: Header=BB247_379 Depth=1
	s_or_b64 exec, exec, s[28:29]
.LBB247_436:                            ;   in Loop: Header=BB247_379 Depth=1
	s_or_b64 exec, exec, s[26:27]
.LBB247_437:                            ;   in Loop: Header=BB247_379 Depth=1
	s_or_b64 exec, exec, s[24:25]
	v_cmp_ne_u16_sdwa s[4:5], v14, v43 src0_sel:BYTE_1 src1_sel:DWORD
	s_and_saveexec_b64 s[24:25], s[4:5]
	s_cbranch_execz .LBB247_443
; %bb.438:                              ;   in Loop: Header=BB247_379 Depth=1
	v_cmp_ne_u16_sdwa s[4:5], v14, s7 src0_sel:BYTE_1 src1_sel:DWORD
	v_pk_mov_b32 v[28:29], s[10:11], s[10:11] op_sel:[0,1]
	s_and_saveexec_b64 s[26:27], s[4:5]
	s_cbranch_execz .LBB247_442
; %bb.439:                              ;   in Loop: Header=BB247_379 Depth=1
	v_and_b32_sdwa v10, v14, s15 dst_sel:DWORD dst_unused:UNUSED_PAD src0_sel:BYTE_1 src1_sel:DWORD
	s_mov_b32 s22, s10
	v_cmp_ne_u32_e64 s[4:5], s15, v10
	v_pk_mov_b32 v[28:29], s[22:23], s[22:23] op_sel:[0,1]
	s_and_saveexec_b64 s[28:29], s[4:5]
	s_cbranch_execz .LBB247_441
; %bb.440:                              ;   in Loop: Header=BB247_379 Depth=1
	v_and_b32_sdwa v42, v14, v45 dst_sel:DWORD dst_unused:UNUSED_PAD src0_sel:BYTE_1 src1_sel:DWORD
	v_ffbh_u32_e32 v15, v42
	v_min_u32_e32 v15, 32, v15
	v_subrev_u32_e32 v28, 28, v15
	v_lshrrev_b32_e32 v11, 3, v10
	v_lshlrev_b64 v[28:29], v28, v[42:43]
	v_sub_u32_e32 v15, 29, v15
	v_cmp_gt_u32_e64 s[4:5], 8, v10
	v_and_b32_e32 v28, 7, v28
	v_cndmask_b32_e64 v10, v11, v15, s[4:5]
	v_cndmask_b32_e64 v11, v42, v28, s[4:5]
	v_lshlrev_b32_e32 v15, 16, v14
	v_lshl_add_u32 v10, v10, 23, v46
	v_and_or_b32 v10, v15, s11, v10
	v_lshlrev_b32_e32 v11, 20, v11
	v_or_b32_e32 v29, v10, v11
	v_mov_b32_e32 v28, v43
.LBB247_441:                            ;   in Loop: Header=BB247_379 Depth=1
	s_or_b64 exec, exec, s[28:29]
.LBB247_442:                            ;   in Loop: Header=BB247_379 Depth=1
	s_or_b64 exec, exec, s[26:27]
.LBB247_443:                            ;   in Loop: Header=BB247_379 Depth=1
	s_or_b64 exec, exec, s[24:25]
	v_lshrrev_b32_e32 v34, 16, v14
	v_pk_mov_b32 v[10:11], 0, 0
	v_cmp_ne_u16_sdwa s[4:5], v34, v43 src0_sel:BYTE_0 src1_sel:DWORD
	v_pk_mov_b32 v[32:33], v[10:11], v[10:11] op_sel:[0,1]
	s_and_saveexec_b64 s[24:25], s[4:5]
	s_cbranch_execz .LBB247_449
; %bb.444:                              ;   in Loop: Header=BB247_379 Depth=1
	v_bfrev_b32_e32 v32, 1
	v_cmp_ne_u16_sdwa s[4:5], v34, s7 src0_sel:BYTE_0 src1_sel:DWORD
	v_mov_b32_e32 v33, 0
	s_and_saveexec_b64 s[26:27], s[4:5]
	s_cbranch_execz .LBB247_448
; %bb.445:                              ;   in Loop: Header=BB247_379 Depth=1
	v_bfe_u32 v15, v14, 16, 7
	v_mov_b32_e32 v32, 0x7f800001
	v_cmp_ne_u32_e64 s[4:5], s15, v15
	v_mov_b32_e32 v33, 0
	s_and_saveexec_b64 s[28:29], s[4:5]
	s_cbranch_execz .LBB247_447
; %bb.446:                              ;   in Loop: Header=BB247_379 Depth=1
	v_and_b32_e32 v35, 7, v34
	v_ffbh_u32_e32 v32, v35
	v_min_u32_e32 v37, 32, v32
	v_subrev_u32_e32 v32, 28, v37
	v_lshlrev_b64 v[32:33], v32, v[34:35]
	v_lshrrev_b32_e32 v36, 3, v15
	v_sub_u32_e32 v33, 29, v37
	v_and_b32_e32 v32, 7, v32
	v_cmp_gt_u32_e64 s[4:5], 8, v15
	v_cndmask_b32_e64 v15, v36, v33, s[4:5]
	v_cndmask_b32_e64 v32, v35, v32, s[4:5]
	v_lshlrev_b32_e32 v32, 20, v32
	v_and_b32_sdwa v33, sext(v34), s11 dst_sel:DWORD dst_unused:UNUSED_PAD src0_sel:BYTE_0 src1_sel:DWORD
	v_lshl_add_u32 v15, v15, 23, v46
	v_or3_b32 v42, v33, v15, v32
	v_pk_mov_b32 v[32:33], v[42:43], v[42:43] op_sel:[0,1]
.LBB247_447:                            ;   in Loop: Header=BB247_379 Depth=1
	s_or_b64 exec, exec, s[28:29]
.LBB247_448:                            ;   in Loop: Header=BB247_379 Depth=1
	s_or_b64 exec, exec, s[26:27]
.LBB247_449:                            ;   in Loop: Header=BB247_379 Depth=1
	s_or_b64 exec, exec, s[24:25]
	v_cmp_lt_u32_e64 s[4:5], s30, v14
	s_and_saveexec_b64 s[24:25], s[4:5]
	s_cbranch_execz .LBB247_455
; %bb.450:                              ;   in Loop: Header=BB247_379 Depth=1
	v_cmp_ne_u32_sdwa s[4:5], v14, s7 src0_sel:BYTE_3 src1_sel:DWORD
	v_pk_mov_b32 v[10:11], s[10:11], s[10:11] op_sel:[0,1]
	s_and_saveexec_b64 s[26:27], s[4:5]
	s_cbranch_execz .LBB247_454
; %bb.451:                              ;   in Loop: Header=BB247_379 Depth=1
	v_bfe_u32 v15, v14, 24, 7
	s_mov_b32 s22, s10
	v_cmp_ne_u32_e64 s[4:5], s15, v15
	v_pk_mov_b32 v[10:11], s[22:23], s[22:23] op_sel:[0,1]
	s_and_saveexec_b64 s[28:29], s[4:5]
	s_cbranch_execz .LBB247_453
; %bb.452:                              ;   in Loop: Header=BB247_379 Depth=1
	v_and_b32_sdwa v42, v14, v45 dst_sel:DWORD dst_unused:UNUSED_PAD src0_sel:BYTE_3 src1_sel:DWORD
	v_ffbh_u32_e32 v10, v42
	v_min_u32_e32 v35, 32, v10
	v_subrev_u32_e32 v10, 28, v35
	v_lshlrev_b64 v[10:11], v10, v[42:43]
	v_lshrrev_b32_e32 v34, 3, v15
	v_sub_u32_e32 v11, 29, v35
	v_cmp_gt_u32_e64 s[4:5], 8, v15
	v_and_b32_e32 v10, 7, v10
	v_cndmask_b32_e64 v11, v34, v11, s[4:5]
	v_mov_b32_e32 v15, 24
	v_cndmask_b32_e64 v10, v42, v10, s[4:5]
	v_lshlrev_b32_sdwa v14, v15, v14 dst_sel:DWORD dst_unused:UNUSED_PAD src0_sel:DWORD src1_sel:BYTE_3
	v_lshl_add_u32 v11, v11, 23, v46
	v_and_or_b32 v11, v14, s11, v11
	v_lshlrev_b32_e32 v10, 20, v10
	v_or_b32_e32 v11, v11, v10
	v_mov_b32_e32 v10, v43
.LBB247_453:                            ;   in Loop: Header=BB247_379 Depth=1
	s_or_b64 exec, exec, s[28:29]
.LBB247_454:                            ;   in Loop: Header=BB247_379 Depth=1
	s_or_b64 exec, exec, s[26:27]
.LBB247_455:                            ;   in Loop: Header=BB247_379 Depth=1
	s_or_b64 exec, exec, s[24:25]
	v_or_b32_e32 v15, v29, v27
	v_or_b32_e32 v14, v28, v26
	;; [unrolled: 1-line block ×4, first 2 shown]
	v_pk_mul_f32 v[14:15], v[24:25], v[14:15]
	v_pk_mul_f32 v[10:11], v[24:25], v[10:11]
	v_accvgpr_write_b32 a23, v15
	v_accvgpr_write_b32 a25, v11
	;; [unrolled: 1-line block ×4, first 2 shown]
	s_and_saveexec_b64 s[24:25], vcc
	s_cbranch_execz .LBB247_457
; %bb.456:                              ;   in Loop: Header=BB247_379 Depth=1
	v_accvgpr_read_b32 v10, a10
	v_cmp_lt_i32_e64 s[4:5], v10, v62
	v_accvgpr_read_b32 v14, a22
	v_accvgpr_read_b32 v10, a16
	;; [unrolled: 1-line block ×3, first 2 shown]
	v_cndmask_b32_e64 v14, 0, v14, s[4:5]
	v_cmp_lt_i32_e64 s[4:5], v10, v62
	v_accvgpr_read_b32 v10, a13
	v_cndmask_b32_e64 v15, 0, v15, s[4:5]
	v_cmp_lt_i32_e64 s[4:5], v10, v62
	v_accvgpr_read_b32 v10, a24
	v_accvgpr_read_b32 v11, a25
	v_cndmask_b32_e64 v10, 0, v10, s[4:5]
	v_cmp_lt_i32_e64 s[4:5], v44, v62
	v_cndmask_b32_e64 v11, 0, v11, s[4:5]
	v_accvgpr_write_b32 a23, v15
	v_accvgpr_write_b32 a25, v11
	;; [unrolled: 1-line block ×4, first 2 shown]
.LBB247_457:                            ;   in Loop: Header=BB247_379 Depth=1
	s_or_b64 exec, exec, s[24:25]
	flat_load_dword v14, v[30:31] offset:768
	v_pk_mov_b32 v[28:29], 0, 0
	v_pk_mov_b32 v[26:27], v[28:29], v[28:29] op_sel:[0,1]
	s_waitcnt vmcnt(0) lgkmcnt(0)
	v_cmp_ne_u16_sdwa s[4:5], v14, v43 src0_sel:BYTE_0 src1_sel:DWORD
	s_and_saveexec_b64 s[24:25], s[4:5]
	s_cbranch_execz .LBB247_463
; %bb.458:                              ;   in Loop: Header=BB247_379 Depth=1
	v_bfrev_b32_e32 v26, 1
	v_cmp_ne_u16_sdwa s[4:5], v14, s7 src0_sel:BYTE_0 src1_sel:DWORD
	v_mov_b32_e32 v27, 0
	s_and_saveexec_b64 s[26:27], s[4:5]
	s_cbranch_execz .LBB247_462
; %bb.459:                              ;   in Loop: Header=BB247_379 Depth=1
	v_and_b32_e32 v10, 0x7f, v14
	v_mov_b32_e32 v26, 0x7f800001
	v_cmp_ne_u32_e64 s[4:5], s15, v10
	v_mov_b32_e32 v27, 0
	s_and_saveexec_b64 s[28:29], s[4:5]
	s_cbranch_execz .LBB247_461
; %bb.460:                              ;   in Loop: Header=BB247_379 Depth=1
	v_and_b32_e32 v11, 7, v14
	v_ffbh_u32_e32 v26, v11
	v_min_u32_e32 v32, 32, v26
	v_lshrrev_b32_e32 v15, 3, v10
	v_subrev_u32_e32 v26, 28, v32
	v_lshlrev_b64 v[26:27], v26, v[14:15]
	v_sub_u32_e32 v27, 29, v32
	v_and_b32_e32 v26, 7, v26
	v_cmp_gt_u32_e64 s[4:5], 8, v10
	v_cndmask_b32_e64 v10, v15, v27, s[4:5]
	v_cndmask_b32_e64 v11, v11, v26, s[4:5]
	v_lshlrev_b32_e32 v11, 20, v11
	v_and_b32_sdwa v15, sext(v14), s11 dst_sel:DWORD dst_unused:UNUSED_PAD src0_sel:BYTE_0 src1_sel:DWORD
	v_lshl_add_u32 v10, v10, 23, v46
	v_or3_b32 v42, v15, v10, v11
	v_pk_mov_b32 v[26:27], v[42:43], v[42:43] op_sel:[0,1]
.LBB247_461:                            ;   in Loop: Header=BB247_379 Depth=1
	s_or_b64 exec, exec, s[28:29]
.LBB247_462:                            ;   in Loop: Header=BB247_379 Depth=1
	s_or_b64 exec, exec, s[26:27]
.LBB247_463:                            ;   in Loop: Header=BB247_379 Depth=1
	s_or_b64 exec, exec, s[24:25]
	v_cmp_ne_u16_sdwa s[4:5], v14, v43 src0_sel:BYTE_1 src1_sel:DWORD
	s_and_saveexec_b64 s[24:25], s[4:5]
	s_cbranch_execz .LBB247_469
; %bb.464:                              ;   in Loop: Header=BB247_379 Depth=1
	v_cmp_ne_u16_sdwa s[4:5], v14, s7 src0_sel:BYTE_1 src1_sel:DWORD
	v_pk_mov_b32 v[28:29], s[10:11], s[10:11] op_sel:[0,1]
	s_and_saveexec_b64 s[26:27], s[4:5]
	s_cbranch_execz .LBB247_468
; %bb.465:                              ;   in Loop: Header=BB247_379 Depth=1
	v_and_b32_sdwa v10, v14, s15 dst_sel:DWORD dst_unused:UNUSED_PAD src0_sel:BYTE_1 src1_sel:DWORD
	s_mov_b32 s22, s10
	v_cmp_ne_u32_e64 s[4:5], s15, v10
	v_pk_mov_b32 v[28:29], s[22:23], s[22:23] op_sel:[0,1]
	s_and_saveexec_b64 s[28:29], s[4:5]
	s_cbranch_execz .LBB247_467
; %bb.466:                              ;   in Loop: Header=BB247_379 Depth=1
	v_and_b32_sdwa v42, v14, v45 dst_sel:DWORD dst_unused:UNUSED_PAD src0_sel:BYTE_1 src1_sel:DWORD
	v_ffbh_u32_e32 v15, v42
	v_min_u32_e32 v15, 32, v15
	v_subrev_u32_e32 v28, 28, v15
	v_lshrrev_b32_e32 v11, 3, v10
	v_lshlrev_b64 v[28:29], v28, v[42:43]
	v_sub_u32_e32 v15, 29, v15
	v_cmp_gt_u32_e64 s[4:5], 8, v10
	v_and_b32_e32 v28, 7, v28
	v_cndmask_b32_e64 v10, v11, v15, s[4:5]
	v_cndmask_b32_e64 v11, v42, v28, s[4:5]
	v_lshlrev_b32_e32 v15, 16, v14
	v_lshl_add_u32 v10, v10, 23, v46
	v_and_or_b32 v10, v15, s11, v10
	v_lshlrev_b32_e32 v11, 20, v11
	v_or_b32_e32 v29, v10, v11
	v_mov_b32_e32 v28, v43
.LBB247_467:                            ;   in Loop: Header=BB247_379 Depth=1
	s_or_b64 exec, exec, s[28:29]
.LBB247_468:                            ;   in Loop: Header=BB247_379 Depth=1
	s_or_b64 exec, exec, s[26:27]
.LBB247_469:                            ;   in Loop: Header=BB247_379 Depth=1
	s_or_b64 exec, exec, s[24:25]
	v_lshrrev_b32_e32 v34, 16, v14
	v_pk_mov_b32 v[10:11], 0, 0
	v_cmp_ne_u16_sdwa s[4:5], v34, v43 src0_sel:BYTE_0 src1_sel:DWORD
	v_pk_mov_b32 v[32:33], v[10:11], v[10:11] op_sel:[0,1]
	s_and_saveexec_b64 s[24:25], s[4:5]
	s_cbranch_execz .LBB247_475
; %bb.470:                              ;   in Loop: Header=BB247_379 Depth=1
	v_bfrev_b32_e32 v32, 1
	v_cmp_ne_u16_sdwa s[4:5], v34, s7 src0_sel:BYTE_0 src1_sel:DWORD
	v_mov_b32_e32 v33, 0
	s_and_saveexec_b64 s[26:27], s[4:5]
	s_cbranch_execz .LBB247_474
; %bb.471:                              ;   in Loop: Header=BB247_379 Depth=1
	v_bfe_u32 v15, v14, 16, 7
	v_mov_b32_e32 v32, 0x7f800001
	v_cmp_ne_u32_e64 s[4:5], s15, v15
	v_mov_b32_e32 v33, 0
	s_and_saveexec_b64 s[28:29], s[4:5]
	s_cbranch_execz .LBB247_473
; %bb.472:                              ;   in Loop: Header=BB247_379 Depth=1
	v_and_b32_e32 v35, 7, v34
	v_ffbh_u32_e32 v32, v35
	v_min_u32_e32 v37, 32, v32
	v_subrev_u32_e32 v32, 28, v37
	v_lshlrev_b64 v[32:33], v32, v[34:35]
	v_lshrrev_b32_e32 v36, 3, v15
	v_sub_u32_e32 v33, 29, v37
	v_and_b32_e32 v32, 7, v32
	v_cmp_gt_u32_e64 s[4:5], 8, v15
	v_cndmask_b32_e64 v15, v36, v33, s[4:5]
	v_cndmask_b32_e64 v32, v35, v32, s[4:5]
	v_lshlrev_b32_e32 v32, 20, v32
	v_and_b32_sdwa v33, sext(v34), s11 dst_sel:DWORD dst_unused:UNUSED_PAD src0_sel:BYTE_0 src1_sel:DWORD
	v_lshl_add_u32 v15, v15, 23, v46
	v_or3_b32 v42, v33, v15, v32
	v_pk_mov_b32 v[32:33], v[42:43], v[42:43] op_sel:[0,1]
.LBB247_473:                            ;   in Loop: Header=BB247_379 Depth=1
	s_or_b64 exec, exec, s[28:29]
.LBB247_474:                            ;   in Loop: Header=BB247_379 Depth=1
	s_or_b64 exec, exec, s[26:27]
.LBB247_475:                            ;   in Loop: Header=BB247_379 Depth=1
	s_or_b64 exec, exec, s[24:25]
	v_cmp_lt_u32_e64 s[4:5], s30, v14
	s_and_saveexec_b64 s[24:25], s[4:5]
	s_cbranch_execz .LBB247_481
; %bb.476:                              ;   in Loop: Header=BB247_379 Depth=1
	v_cmp_ne_u32_sdwa s[4:5], v14, s7 src0_sel:BYTE_3 src1_sel:DWORD
	v_pk_mov_b32 v[10:11], s[10:11], s[10:11] op_sel:[0,1]
	s_and_saveexec_b64 s[26:27], s[4:5]
	s_cbranch_execz .LBB247_480
; %bb.477:                              ;   in Loop: Header=BB247_379 Depth=1
	v_bfe_u32 v15, v14, 24, 7
	s_mov_b32 s22, s10
	v_cmp_ne_u32_e64 s[4:5], s15, v15
	v_pk_mov_b32 v[10:11], s[22:23], s[22:23] op_sel:[0,1]
	s_and_saveexec_b64 s[28:29], s[4:5]
	s_cbranch_execz .LBB247_479
; %bb.478:                              ;   in Loop: Header=BB247_379 Depth=1
	v_and_b32_sdwa v42, v14, v45 dst_sel:DWORD dst_unused:UNUSED_PAD src0_sel:BYTE_3 src1_sel:DWORD
	v_ffbh_u32_e32 v10, v42
	v_min_u32_e32 v35, 32, v10
	v_subrev_u32_e32 v10, 28, v35
	v_lshlrev_b64 v[10:11], v10, v[42:43]
	v_lshrrev_b32_e32 v34, 3, v15
	v_sub_u32_e32 v11, 29, v35
	v_cmp_gt_u32_e64 s[4:5], 8, v15
	v_and_b32_e32 v10, 7, v10
	v_cndmask_b32_e64 v11, v34, v11, s[4:5]
	v_mov_b32_e32 v15, 24
	v_cndmask_b32_e64 v10, v42, v10, s[4:5]
	v_lshlrev_b32_sdwa v14, v15, v14 dst_sel:DWORD dst_unused:UNUSED_PAD src0_sel:DWORD src1_sel:BYTE_3
	v_lshl_add_u32 v11, v11, 23, v46
	v_and_or_b32 v11, v14, s11, v11
	v_lshlrev_b32_e32 v10, 20, v10
	v_or_b32_e32 v11, v11, v10
	v_mov_b32_e32 v10, v43
.LBB247_479:                            ;   in Loop: Header=BB247_379 Depth=1
	s_or_b64 exec, exec, s[28:29]
.LBB247_480:                            ;   in Loop: Header=BB247_379 Depth=1
	s_or_b64 exec, exec, s[26:27]
.LBB247_481:                            ;   in Loop: Header=BB247_379 Depth=1
	s_or_b64 exec, exec, s[24:25]
	v_or_b32_e32 v15, v29, v27
	v_or_b32_e32 v14, v28, v26
	;; [unrolled: 1-line block ×4, first 2 shown]
	v_pk_mul_f32 v[14:15], v[24:25], v[14:15]
	v_pk_mul_f32 v[10:11], v[24:25], v[10:11]
	v_accvgpr_write_b32 a27, v15
	v_accvgpr_write_b32 a29, v11
	;; [unrolled: 1-line block ×4, first 2 shown]
	s_and_saveexec_b64 s[24:25], vcc
	s_cbranch_execz .LBB247_483
; %bb.482:                              ;   in Loop: Header=BB247_379 Depth=1
	v_accvgpr_read_b32 v10, a10
	v_cmp_lt_i32_e64 s[4:5], v10, v62
	v_accvgpr_read_b32 v14, a26
	v_accvgpr_read_b32 v10, a16
	;; [unrolled: 1-line block ×3, first 2 shown]
	v_cndmask_b32_e64 v14, 0, v14, s[4:5]
	v_cmp_lt_i32_e64 s[4:5], v10, v62
	v_accvgpr_read_b32 v10, a13
	v_cndmask_b32_e64 v15, 0, v15, s[4:5]
	v_cmp_lt_i32_e64 s[4:5], v10, v62
	v_accvgpr_read_b32 v10, a28
	v_accvgpr_read_b32 v11, a29
	v_cndmask_b32_e64 v10, 0, v10, s[4:5]
	v_cmp_lt_i32_e64 s[4:5], v44, v62
	v_cndmask_b32_e64 v11, 0, v11, s[4:5]
	v_accvgpr_write_b32 a27, v15
	v_accvgpr_write_b32 a29, v11
	;; [unrolled: 1-line block ×4, first 2 shown]
.LBB247_483:                            ;   in Loop: Header=BB247_379 Depth=1
	s_or_b64 exec, exec, s[24:25]
	flat_load_dword v14, v[30:31] offset:1024
	v_pk_mov_b32 v[28:29], 0, 0
	v_pk_mov_b32 v[26:27], v[28:29], v[28:29] op_sel:[0,1]
	s_waitcnt vmcnt(0) lgkmcnt(0)
	v_cmp_ne_u16_sdwa s[4:5], v14, v43 src0_sel:BYTE_0 src1_sel:DWORD
	s_and_saveexec_b64 s[24:25], s[4:5]
	s_cbranch_execz .LBB247_489
; %bb.484:                              ;   in Loop: Header=BB247_379 Depth=1
	v_bfrev_b32_e32 v26, 1
	v_cmp_ne_u16_sdwa s[4:5], v14, s7 src0_sel:BYTE_0 src1_sel:DWORD
	v_mov_b32_e32 v27, 0
	s_and_saveexec_b64 s[26:27], s[4:5]
	s_cbranch_execz .LBB247_488
; %bb.485:                              ;   in Loop: Header=BB247_379 Depth=1
	v_and_b32_e32 v10, 0x7f, v14
	v_mov_b32_e32 v26, 0x7f800001
	v_cmp_ne_u32_e64 s[4:5], s15, v10
	v_mov_b32_e32 v27, 0
	s_and_saveexec_b64 s[28:29], s[4:5]
	s_cbranch_execz .LBB247_487
; %bb.486:                              ;   in Loop: Header=BB247_379 Depth=1
	v_and_b32_e32 v11, 7, v14
	v_ffbh_u32_e32 v26, v11
	v_min_u32_e32 v32, 32, v26
	v_lshrrev_b32_e32 v15, 3, v10
	v_subrev_u32_e32 v26, 28, v32
	v_lshlrev_b64 v[26:27], v26, v[14:15]
	v_sub_u32_e32 v27, 29, v32
	v_and_b32_e32 v26, 7, v26
	v_cmp_gt_u32_e64 s[4:5], 8, v10
	v_cndmask_b32_e64 v10, v15, v27, s[4:5]
	v_cndmask_b32_e64 v11, v11, v26, s[4:5]
	v_lshlrev_b32_e32 v11, 20, v11
	v_and_b32_sdwa v15, sext(v14), s11 dst_sel:DWORD dst_unused:UNUSED_PAD src0_sel:BYTE_0 src1_sel:DWORD
	v_lshl_add_u32 v10, v10, 23, v46
	v_or3_b32 v42, v15, v10, v11
	v_pk_mov_b32 v[26:27], v[42:43], v[42:43] op_sel:[0,1]
.LBB247_487:                            ;   in Loop: Header=BB247_379 Depth=1
	s_or_b64 exec, exec, s[28:29]
.LBB247_488:                            ;   in Loop: Header=BB247_379 Depth=1
	s_or_b64 exec, exec, s[26:27]
.LBB247_489:                            ;   in Loop: Header=BB247_379 Depth=1
	s_or_b64 exec, exec, s[24:25]
	v_cmp_ne_u16_sdwa s[4:5], v14, v43 src0_sel:BYTE_1 src1_sel:DWORD
	s_and_saveexec_b64 s[24:25], s[4:5]
	s_cbranch_execz .LBB247_495
; %bb.490:                              ;   in Loop: Header=BB247_379 Depth=1
	v_cmp_ne_u16_sdwa s[4:5], v14, s7 src0_sel:BYTE_1 src1_sel:DWORD
	v_pk_mov_b32 v[28:29], s[10:11], s[10:11] op_sel:[0,1]
	s_and_saveexec_b64 s[26:27], s[4:5]
	s_cbranch_execz .LBB247_494
; %bb.491:                              ;   in Loop: Header=BB247_379 Depth=1
	v_and_b32_sdwa v10, v14, s15 dst_sel:DWORD dst_unused:UNUSED_PAD src0_sel:BYTE_1 src1_sel:DWORD
	s_mov_b32 s22, s10
	v_cmp_ne_u32_e64 s[4:5], s15, v10
	v_pk_mov_b32 v[28:29], s[22:23], s[22:23] op_sel:[0,1]
	s_and_saveexec_b64 s[28:29], s[4:5]
	s_cbranch_execz .LBB247_493
; %bb.492:                              ;   in Loop: Header=BB247_379 Depth=1
	v_and_b32_sdwa v42, v14, v45 dst_sel:DWORD dst_unused:UNUSED_PAD src0_sel:BYTE_1 src1_sel:DWORD
	v_ffbh_u32_e32 v15, v42
	v_min_u32_e32 v15, 32, v15
	v_subrev_u32_e32 v28, 28, v15
	v_lshrrev_b32_e32 v11, 3, v10
	v_lshlrev_b64 v[28:29], v28, v[42:43]
	v_sub_u32_e32 v15, 29, v15
	v_cmp_gt_u32_e64 s[4:5], 8, v10
	v_and_b32_e32 v28, 7, v28
	v_cndmask_b32_e64 v10, v11, v15, s[4:5]
	v_cndmask_b32_e64 v11, v42, v28, s[4:5]
	v_lshlrev_b32_e32 v15, 16, v14
	v_lshl_add_u32 v10, v10, 23, v46
	v_and_or_b32 v10, v15, s11, v10
	v_lshlrev_b32_e32 v11, 20, v11
	v_or_b32_e32 v29, v10, v11
	v_mov_b32_e32 v28, v43
.LBB247_493:                            ;   in Loop: Header=BB247_379 Depth=1
	s_or_b64 exec, exec, s[28:29]
.LBB247_494:                            ;   in Loop: Header=BB247_379 Depth=1
	s_or_b64 exec, exec, s[26:27]
.LBB247_495:                            ;   in Loop: Header=BB247_379 Depth=1
	s_or_b64 exec, exec, s[24:25]
	v_lshrrev_b32_e32 v34, 16, v14
	v_pk_mov_b32 v[10:11], 0, 0
	v_cmp_ne_u16_sdwa s[4:5], v34, v43 src0_sel:BYTE_0 src1_sel:DWORD
	v_pk_mov_b32 v[32:33], v[10:11], v[10:11] op_sel:[0,1]
	s_and_saveexec_b64 s[24:25], s[4:5]
	s_cbranch_execz .LBB247_501
; %bb.496:                              ;   in Loop: Header=BB247_379 Depth=1
	v_bfrev_b32_e32 v32, 1
	v_cmp_ne_u16_sdwa s[4:5], v34, s7 src0_sel:BYTE_0 src1_sel:DWORD
	v_mov_b32_e32 v33, 0
	s_and_saveexec_b64 s[26:27], s[4:5]
	s_cbranch_execz .LBB247_500
; %bb.497:                              ;   in Loop: Header=BB247_379 Depth=1
	v_bfe_u32 v15, v14, 16, 7
	v_mov_b32_e32 v32, 0x7f800001
	v_cmp_ne_u32_e64 s[4:5], s15, v15
	v_mov_b32_e32 v33, 0
	s_and_saveexec_b64 s[28:29], s[4:5]
	s_cbranch_execz .LBB247_499
; %bb.498:                              ;   in Loop: Header=BB247_379 Depth=1
	v_and_b32_e32 v35, 7, v34
	v_ffbh_u32_e32 v32, v35
	v_min_u32_e32 v37, 32, v32
	v_subrev_u32_e32 v32, 28, v37
	v_lshlrev_b64 v[32:33], v32, v[34:35]
	v_lshrrev_b32_e32 v36, 3, v15
	v_sub_u32_e32 v33, 29, v37
	v_and_b32_e32 v32, 7, v32
	v_cmp_gt_u32_e64 s[4:5], 8, v15
	v_cndmask_b32_e64 v15, v36, v33, s[4:5]
	v_cndmask_b32_e64 v32, v35, v32, s[4:5]
	v_lshlrev_b32_e32 v32, 20, v32
	v_and_b32_sdwa v33, sext(v34), s11 dst_sel:DWORD dst_unused:UNUSED_PAD src0_sel:BYTE_0 src1_sel:DWORD
	v_lshl_add_u32 v15, v15, 23, v46
	v_or3_b32 v42, v33, v15, v32
	v_pk_mov_b32 v[32:33], v[42:43], v[42:43] op_sel:[0,1]
.LBB247_499:                            ;   in Loop: Header=BB247_379 Depth=1
	s_or_b64 exec, exec, s[28:29]
.LBB247_500:                            ;   in Loop: Header=BB247_379 Depth=1
	s_or_b64 exec, exec, s[26:27]
.LBB247_501:                            ;   in Loop: Header=BB247_379 Depth=1
	s_or_b64 exec, exec, s[24:25]
	v_cmp_lt_u32_e64 s[4:5], s30, v14
	s_and_saveexec_b64 s[24:25], s[4:5]
	s_cbranch_execz .LBB247_507
; %bb.502:                              ;   in Loop: Header=BB247_379 Depth=1
	v_cmp_ne_u32_sdwa s[4:5], v14, s7 src0_sel:BYTE_3 src1_sel:DWORD
	v_pk_mov_b32 v[10:11], s[10:11], s[10:11] op_sel:[0,1]
	s_and_saveexec_b64 s[26:27], s[4:5]
	s_cbranch_execz .LBB247_506
; %bb.503:                              ;   in Loop: Header=BB247_379 Depth=1
	v_bfe_u32 v15, v14, 24, 7
	s_mov_b32 s22, s10
	v_cmp_ne_u32_e64 s[4:5], s15, v15
	v_pk_mov_b32 v[10:11], s[22:23], s[22:23] op_sel:[0,1]
	s_and_saveexec_b64 s[28:29], s[4:5]
	s_cbranch_execz .LBB247_505
; %bb.504:                              ;   in Loop: Header=BB247_379 Depth=1
	v_and_b32_sdwa v42, v14, v45 dst_sel:DWORD dst_unused:UNUSED_PAD src0_sel:BYTE_3 src1_sel:DWORD
	v_ffbh_u32_e32 v10, v42
	v_min_u32_e32 v35, 32, v10
	v_subrev_u32_e32 v10, 28, v35
	v_lshlrev_b64 v[10:11], v10, v[42:43]
	v_lshrrev_b32_e32 v34, 3, v15
	v_sub_u32_e32 v11, 29, v35
	v_cmp_gt_u32_e64 s[4:5], 8, v15
	v_and_b32_e32 v10, 7, v10
	v_cndmask_b32_e64 v11, v34, v11, s[4:5]
	v_mov_b32_e32 v15, 24
	v_cndmask_b32_e64 v10, v42, v10, s[4:5]
	v_lshlrev_b32_sdwa v14, v15, v14 dst_sel:DWORD dst_unused:UNUSED_PAD src0_sel:DWORD src1_sel:BYTE_3
	v_lshl_add_u32 v11, v11, 23, v46
	v_and_or_b32 v11, v14, s11, v11
	v_lshlrev_b32_e32 v10, 20, v10
	v_or_b32_e32 v11, v11, v10
	v_mov_b32_e32 v10, v43
.LBB247_505:                            ;   in Loop: Header=BB247_379 Depth=1
	s_or_b64 exec, exec, s[28:29]
.LBB247_506:                            ;   in Loop: Header=BB247_379 Depth=1
	s_or_b64 exec, exec, s[26:27]
.LBB247_507:                            ;   in Loop: Header=BB247_379 Depth=1
	s_or_b64 exec, exec, s[24:25]
	v_or_b32_e32 v15, v29, v27
	v_or_b32_e32 v14, v28, v26
	;; [unrolled: 1-line block ×4, first 2 shown]
	v_pk_mul_f32 v[14:15], v[24:25], v[14:15]
	v_pk_mul_f32 v[10:11], v[24:25], v[10:11]
	v_accvgpr_write_b32 a31, v15
	v_accvgpr_write_b32 a33, v11
	;; [unrolled: 1-line block ×4, first 2 shown]
	s_and_saveexec_b64 s[24:25], vcc
	s_cbranch_execz .LBB247_509
; %bb.508:                              ;   in Loop: Header=BB247_379 Depth=1
	v_accvgpr_read_b32 v10, a10
	v_cmp_lt_i32_e64 s[4:5], v10, v62
	v_accvgpr_read_b32 v14, a30
	v_accvgpr_read_b32 v10, a16
	;; [unrolled: 1-line block ×3, first 2 shown]
	v_cndmask_b32_e64 v14, 0, v14, s[4:5]
	v_cmp_lt_i32_e64 s[4:5], v10, v62
	v_accvgpr_read_b32 v10, a13
	v_cndmask_b32_e64 v15, 0, v15, s[4:5]
	v_cmp_lt_i32_e64 s[4:5], v10, v62
	v_accvgpr_read_b32 v10, a32
	v_accvgpr_read_b32 v11, a33
	v_cndmask_b32_e64 v10, 0, v10, s[4:5]
	v_cmp_lt_i32_e64 s[4:5], v44, v62
	v_cndmask_b32_e64 v11, 0, v11, s[4:5]
	v_accvgpr_write_b32 a31, v15
	v_accvgpr_write_b32 a33, v11
	;; [unrolled: 1-line block ×4, first 2 shown]
.LBB247_509:                            ;   in Loop: Header=BB247_379 Depth=1
	s_or_b64 exec, exec, s[24:25]
	flat_load_dword v14, v[30:31] offset:1280
	v_pk_mov_b32 v[28:29], 0, 0
	v_pk_mov_b32 v[26:27], v[28:29], v[28:29] op_sel:[0,1]
	s_waitcnt vmcnt(0) lgkmcnt(0)
	v_cmp_ne_u16_sdwa s[4:5], v14, v43 src0_sel:BYTE_0 src1_sel:DWORD
	s_and_saveexec_b64 s[24:25], s[4:5]
	s_cbranch_execz .LBB247_515
; %bb.510:                              ;   in Loop: Header=BB247_379 Depth=1
	v_bfrev_b32_e32 v26, 1
	v_cmp_ne_u16_sdwa s[4:5], v14, s7 src0_sel:BYTE_0 src1_sel:DWORD
	v_mov_b32_e32 v27, 0
	s_and_saveexec_b64 s[26:27], s[4:5]
	s_cbranch_execz .LBB247_514
; %bb.511:                              ;   in Loop: Header=BB247_379 Depth=1
	v_and_b32_e32 v10, 0x7f, v14
	v_mov_b32_e32 v26, 0x7f800001
	v_cmp_ne_u32_e64 s[4:5], s15, v10
	v_mov_b32_e32 v27, 0
	s_and_saveexec_b64 s[28:29], s[4:5]
	s_cbranch_execz .LBB247_513
; %bb.512:                              ;   in Loop: Header=BB247_379 Depth=1
	v_and_b32_e32 v11, 7, v14
	v_ffbh_u32_e32 v26, v11
	v_min_u32_e32 v32, 32, v26
	v_lshrrev_b32_e32 v15, 3, v10
	v_subrev_u32_e32 v26, 28, v32
	v_lshlrev_b64 v[26:27], v26, v[14:15]
	v_sub_u32_e32 v27, 29, v32
	v_and_b32_e32 v26, 7, v26
	v_cmp_gt_u32_e64 s[4:5], 8, v10
	v_cndmask_b32_e64 v10, v15, v27, s[4:5]
	v_cndmask_b32_e64 v11, v11, v26, s[4:5]
	v_lshlrev_b32_e32 v11, 20, v11
	v_and_b32_sdwa v15, sext(v14), s11 dst_sel:DWORD dst_unused:UNUSED_PAD src0_sel:BYTE_0 src1_sel:DWORD
	v_lshl_add_u32 v10, v10, 23, v46
	v_or3_b32 v42, v15, v10, v11
	v_pk_mov_b32 v[26:27], v[42:43], v[42:43] op_sel:[0,1]
.LBB247_513:                            ;   in Loop: Header=BB247_379 Depth=1
	s_or_b64 exec, exec, s[28:29]
.LBB247_514:                            ;   in Loop: Header=BB247_379 Depth=1
	s_or_b64 exec, exec, s[26:27]
.LBB247_515:                            ;   in Loop: Header=BB247_379 Depth=1
	s_or_b64 exec, exec, s[24:25]
	v_cmp_ne_u16_sdwa s[4:5], v14, v43 src0_sel:BYTE_1 src1_sel:DWORD
	s_and_saveexec_b64 s[24:25], s[4:5]
	s_cbranch_execz .LBB247_521
; %bb.516:                              ;   in Loop: Header=BB247_379 Depth=1
	v_cmp_ne_u16_sdwa s[4:5], v14, s7 src0_sel:BYTE_1 src1_sel:DWORD
	v_pk_mov_b32 v[28:29], s[10:11], s[10:11] op_sel:[0,1]
	s_and_saveexec_b64 s[26:27], s[4:5]
	s_cbranch_execz .LBB247_520
; %bb.517:                              ;   in Loop: Header=BB247_379 Depth=1
	v_and_b32_sdwa v10, v14, s15 dst_sel:DWORD dst_unused:UNUSED_PAD src0_sel:BYTE_1 src1_sel:DWORD
	s_mov_b32 s22, s10
	v_cmp_ne_u32_e64 s[4:5], s15, v10
	v_pk_mov_b32 v[28:29], s[22:23], s[22:23] op_sel:[0,1]
	s_and_saveexec_b64 s[28:29], s[4:5]
	s_cbranch_execz .LBB247_519
; %bb.518:                              ;   in Loop: Header=BB247_379 Depth=1
	v_and_b32_sdwa v42, v14, v45 dst_sel:DWORD dst_unused:UNUSED_PAD src0_sel:BYTE_1 src1_sel:DWORD
	v_ffbh_u32_e32 v15, v42
	v_min_u32_e32 v15, 32, v15
	v_subrev_u32_e32 v28, 28, v15
	v_lshrrev_b32_e32 v11, 3, v10
	v_lshlrev_b64 v[28:29], v28, v[42:43]
	v_sub_u32_e32 v15, 29, v15
	v_cmp_gt_u32_e64 s[4:5], 8, v10
	v_and_b32_e32 v28, 7, v28
	v_cndmask_b32_e64 v10, v11, v15, s[4:5]
	v_cndmask_b32_e64 v11, v42, v28, s[4:5]
	v_lshlrev_b32_e32 v15, 16, v14
	v_lshl_add_u32 v10, v10, 23, v46
	v_and_or_b32 v10, v15, s11, v10
	v_lshlrev_b32_e32 v11, 20, v11
	v_or_b32_e32 v29, v10, v11
	v_mov_b32_e32 v28, v43
.LBB247_519:                            ;   in Loop: Header=BB247_379 Depth=1
	s_or_b64 exec, exec, s[28:29]
.LBB247_520:                            ;   in Loop: Header=BB247_379 Depth=1
	s_or_b64 exec, exec, s[26:27]
.LBB247_521:                            ;   in Loop: Header=BB247_379 Depth=1
	s_or_b64 exec, exec, s[24:25]
	v_lshrrev_b32_e32 v34, 16, v14
	v_pk_mov_b32 v[10:11], 0, 0
	v_cmp_ne_u16_sdwa s[4:5], v34, v43 src0_sel:BYTE_0 src1_sel:DWORD
	v_pk_mov_b32 v[32:33], v[10:11], v[10:11] op_sel:[0,1]
	s_and_saveexec_b64 s[24:25], s[4:5]
	s_cbranch_execz .LBB247_527
; %bb.522:                              ;   in Loop: Header=BB247_379 Depth=1
	v_bfrev_b32_e32 v32, 1
	v_cmp_ne_u16_sdwa s[4:5], v34, s7 src0_sel:BYTE_0 src1_sel:DWORD
	v_mov_b32_e32 v33, 0
	s_and_saveexec_b64 s[26:27], s[4:5]
	s_cbranch_execz .LBB247_526
; %bb.523:                              ;   in Loop: Header=BB247_379 Depth=1
	v_bfe_u32 v15, v14, 16, 7
	v_mov_b32_e32 v32, 0x7f800001
	v_cmp_ne_u32_e64 s[4:5], s15, v15
	v_mov_b32_e32 v33, 0
	s_and_saveexec_b64 s[28:29], s[4:5]
	s_cbranch_execz .LBB247_525
; %bb.524:                              ;   in Loop: Header=BB247_379 Depth=1
	v_and_b32_e32 v35, 7, v34
	v_ffbh_u32_e32 v32, v35
	v_min_u32_e32 v37, 32, v32
	v_subrev_u32_e32 v32, 28, v37
	v_lshlrev_b64 v[32:33], v32, v[34:35]
	v_lshrrev_b32_e32 v36, 3, v15
	v_sub_u32_e32 v33, 29, v37
	v_and_b32_e32 v32, 7, v32
	v_cmp_gt_u32_e64 s[4:5], 8, v15
	v_cndmask_b32_e64 v15, v36, v33, s[4:5]
	v_cndmask_b32_e64 v32, v35, v32, s[4:5]
	v_lshlrev_b32_e32 v32, 20, v32
	v_and_b32_sdwa v33, sext(v34), s11 dst_sel:DWORD dst_unused:UNUSED_PAD src0_sel:BYTE_0 src1_sel:DWORD
	v_lshl_add_u32 v15, v15, 23, v46
	v_or3_b32 v42, v33, v15, v32
	v_pk_mov_b32 v[32:33], v[42:43], v[42:43] op_sel:[0,1]
.LBB247_525:                            ;   in Loop: Header=BB247_379 Depth=1
	s_or_b64 exec, exec, s[28:29]
.LBB247_526:                            ;   in Loop: Header=BB247_379 Depth=1
	s_or_b64 exec, exec, s[26:27]
.LBB247_527:                            ;   in Loop: Header=BB247_379 Depth=1
	s_or_b64 exec, exec, s[24:25]
	v_cmp_lt_u32_e64 s[4:5], s30, v14
	s_and_saveexec_b64 s[24:25], s[4:5]
	s_cbranch_execz .LBB247_533
; %bb.528:                              ;   in Loop: Header=BB247_379 Depth=1
	v_cmp_ne_u32_sdwa s[4:5], v14, s7 src0_sel:BYTE_3 src1_sel:DWORD
	v_pk_mov_b32 v[10:11], s[10:11], s[10:11] op_sel:[0,1]
	s_and_saveexec_b64 s[26:27], s[4:5]
	s_cbranch_execz .LBB247_532
; %bb.529:                              ;   in Loop: Header=BB247_379 Depth=1
	v_bfe_u32 v15, v14, 24, 7
	s_mov_b32 s22, s10
	v_cmp_ne_u32_e64 s[4:5], s15, v15
	v_pk_mov_b32 v[10:11], s[22:23], s[22:23] op_sel:[0,1]
	s_and_saveexec_b64 s[28:29], s[4:5]
	s_cbranch_execz .LBB247_531
; %bb.530:                              ;   in Loop: Header=BB247_379 Depth=1
	v_and_b32_sdwa v42, v14, v45 dst_sel:DWORD dst_unused:UNUSED_PAD src0_sel:BYTE_3 src1_sel:DWORD
	v_ffbh_u32_e32 v10, v42
	v_min_u32_e32 v35, 32, v10
	v_subrev_u32_e32 v10, 28, v35
	v_lshlrev_b64 v[10:11], v10, v[42:43]
	v_lshrrev_b32_e32 v34, 3, v15
	v_sub_u32_e32 v11, 29, v35
	v_cmp_gt_u32_e64 s[4:5], 8, v15
	v_and_b32_e32 v10, 7, v10
	v_cndmask_b32_e64 v11, v34, v11, s[4:5]
	v_mov_b32_e32 v15, 24
	v_cndmask_b32_e64 v10, v42, v10, s[4:5]
	v_lshlrev_b32_sdwa v14, v15, v14 dst_sel:DWORD dst_unused:UNUSED_PAD src0_sel:DWORD src1_sel:BYTE_3
	v_lshl_add_u32 v11, v11, 23, v46
	v_and_or_b32 v11, v14, s11, v11
	v_lshlrev_b32_e32 v10, 20, v10
	v_or_b32_e32 v11, v11, v10
	v_mov_b32_e32 v10, v43
.LBB247_531:                            ;   in Loop: Header=BB247_379 Depth=1
	s_or_b64 exec, exec, s[28:29]
.LBB247_532:                            ;   in Loop: Header=BB247_379 Depth=1
	s_or_b64 exec, exec, s[26:27]
.LBB247_533:                            ;   in Loop: Header=BB247_379 Depth=1
	s_or_b64 exec, exec, s[24:25]
	v_or_b32_e32 v15, v29, v27
	v_or_b32_e32 v14, v28, v26
	;; [unrolled: 1-line block ×4, first 2 shown]
	v_pk_mul_f32 v[14:15], v[24:25], v[14:15]
	v_pk_mul_f32 v[10:11], v[24:25], v[10:11]
	v_accvgpr_write_b32 a35, v15
	v_accvgpr_write_b32 a37, v11
	;; [unrolled: 1-line block ×4, first 2 shown]
	s_and_saveexec_b64 s[24:25], vcc
	s_cbranch_execz .LBB247_535
; %bb.534:                              ;   in Loop: Header=BB247_379 Depth=1
	v_accvgpr_read_b32 v10, a10
	v_cmp_lt_i32_e64 s[4:5], v10, v62
	v_accvgpr_read_b32 v14, a34
	v_accvgpr_read_b32 v10, a16
	;; [unrolled: 1-line block ×3, first 2 shown]
	v_cndmask_b32_e64 v14, 0, v14, s[4:5]
	v_cmp_lt_i32_e64 s[4:5], v10, v62
	v_accvgpr_read_b32 v10, a13
	v_cndmask_b32_e64 v15, 0, v15, s[4:5]
	v_cmp_lt_i32_e64 s[4:5], v10, v62
	v_accvgpr_read_b32 v10, a36
	v_accvgpr_read_b32 v11, a37
	v_cndmask_b32_e64 v10, 0, v10, s[4:5]
	v_cmp_lt_i32_e64 s[4:5], v44, v62
	v_cndmask_b32_e64 v11, 0, v11, s[4:5]
	v_accvgpr_write_b32 a35, v15
	v_accvgpr_write_b32 a37, v11
	;; [unrolled: 1-line block ×4, first 2 shown]
.LBB247_535:                            ;   in Loop: Header=BB247_379 Depth=1
	s_or_b64 exec, exec, s[24:25]
	flat_load_dword v14, v[30:31] offset:1536
	v_pk_mov_b32 v[28:29], 0, 0
	v_pk_mov_b32 v[26:27], v[28:29], v[28:29] op_sel:[0,1]
	s_waitcnt vmcnt(0) lgkmcnt(0)
	v_cmp_ne_u16_sdwa s[4:5], v14, v43 src0_sel:BYTE_0 src1_sel:DWORD
	s_and_saveexec_b64 s[24:25], s[4:5]
	s_cbranch_execz .LBB247_541
; %bb.536:                              ;   in Loop: Header=BB247_379 Depth=1
	v_bfrev_b32_e32 v26, 1
	v_cmp_ne_u16_sdwa s[4:5], v14, s7 src0_sel:BYTE_0 src1_sel:DWORD
	v_mov_b32_e32 v27, 0
	s_and_saveexec_b64 s[26:27], s[4:5]
	s_cbranch_execz .LBB247_540
; %bb.537:                              ;   in Loop: Header=BB247_379 Depth=1
	v_and_b32_e32 v10, 0x7f, v14
	v_mov_b32_e32 v26, 0x7f800001
	v_cmp_ne_u32_e64 s[4:5], s15, v10
	v_mov_b32_e32 v27, 0
	s_and_saveexec_b64 s[28:29], s[4:5]
	s_cbranch_execz .LBB247_539
; %bb.538:                              ;   in Loop: Header=BB247_379 Depth=1
	v_and_b32_e32 v11, 7, v14
	v_ffbh_u32_e32 v26, v11
	v_min_u32_e32 v32, 32, v26
	v_lshrrev_b32_e32 v15, 3, v10
	v_subrev_u32_e32 v26, 28, v32
	v_lshlrev_b64 v[26:27], v26, v[14:15]
	v_sub_u32_e32 v27, 29, v32
	v_and_b32_e32 v26, 7, v26
	v_cmp_gt_u32_e64 s[4:5], 8, v10
	v_cndmask_b32_e64 v10, v15, v27, s[4:5]
	v_cndmask_b32_e64 v11, v11, v26, s[4:5]
	v_lshlrev_b32_e32 v11, 20, v11
	v_and_b32_sdwa v15, sext(v14), s11 dst_sel:DWORD dst_unused:UNUSED_PAD src0_sel:BYTE_0 src1_sel:DWORD
	v_lshl_add_u32 v10, v10, 23, v46
	v_or3_b32 v42, v15, v10, v11
	v_pk_mov_b32 v[26:27], v[42:43], v[42:43] op_sel:[0,1]
.LBB247_539:                            ;   in Loop: Header=BB247_379 Depth=1
	s_or_b64 exec, exec, s[28:29]
.LBB247_540:                            ;   in Loop: Header=BB247_379 Depth=1
	s_or_b64 exec, exec, s[26:27]
.LBB247_541:                            ;   in Loop: Header=BB247_379 Depth=1
	s_or_b64 exec, exec, s[24:25]
	v_cmp_ne_u16_sdwa s[4:5], v14, v43 src0_sel:BYTE_1 src1_sel:DWORD
	s_and_saveexec_b64 s[24:25], s[4:5]
	s_cbranch_execz .LBB247_547
; %bb.542:                              ;   in Loop: Header=BB247_379 Depth=1
	v_cmp_ne_u16_sdwa s[4:5], v14, s7 src0_sel:BYTE_1 src1_sel:DWORD
	v_pk_mov_b32 v[28:29], s[10:11], s[10:11] op_sel:[0,1]
	s_and_saveexec_b64 s[26:27], s[4:5]
	s_cbranch_execz .LBB247_546
; %bb.543:                              ;   in Loop: Header=BB247_379 Depth=1
	v_and_b32_sdwa v10, v14, s15 dst_sel:DWORD dst_unused:UNUSED_PAD src0_sel:BYTE_1 src1_sel:DWORD
	s_mov_b32 s22, s10
	v_cmp_ne_u32_e64 s[4:5], s15, v10
	v_pk_mov_b32 v[28:29], s[22:23], s[22:23] op_sel:[0,1]
	s_and_saveexec_b64 s[28:29], s[4:5]
	s_cbranch_execz .LBB247_545
; %bb.544:                              ;   in Loop: Header=BB247_379 Depth=1
	v_and_b32_sdwa v42, v14, v45 dst_sel:DWORD dst_unused:UNUSED_PAD src0_sel:BYTE_1 src1_sel:DWORD
	v_ffbh_u32_e32 v15, v42
	v_min_u32_e32 v15, 32, v15
	v_subrev_u32_e32 v28, 28, v15
	v_lshrrev_b32_e32 v11, 3, v10
	v_lshlrev_b64 v[28:29], v28, v[42:43]
	v_sub_u32_e32 v15, 29, v15
	v_cmp_gt_u32_e64 s[4:5], 8, v10
	v_and_b32_e32 v28, 7, v28
	v_cndmask_b32_e64 v10, v11, v15, s[4:5]
	v_cndmask_b32_e64 v11, v42, v28, s[4:5]
	v_lshlrev_b32_e32 v15, 16, v14
	v_lshl_add_u32 v10, v10, 23, v46
	v_and_or_b32 v10, v15, s11, v10
	v_lshlrev_b32_e32 v11, 20, v11
	v_or_b32_e32 v29, v10, v11
	v_mov_b32_e32 v28, v43
.LBB247_545:                            ;   in Loop: Header=BB247_379 Depth=1
	s_or_b64 exec, exec, s[28:29]
.LBB247_546:                            ;   in Loop: Header=BB247_379 Depth=1
	s_or_b64 exec, exec, s[26:27]
.LBB247_547:                            ;   in Loop: Header=BB247_379 Depth=1
	s_or_b64 exec, exec, s[24:25]
	v_lshrrev_b32_e32 v34, 16, v14
	v_pk_mov_b32 v[10:11], 0, 0
	v_cmp_ne_u16_sdwa s[4:5], v34, v43 src0_sel:BYTE_0 src1_sel:DWORD
	v_pk_mov_b32 v[32:33], v[10:11], v[10:11] op_sel:[0,1]
	s_and_saveexec_b64 s[24:25], s[4:5]
	s_cbranch_execz .LBB247_553
; %bb.548:                              ;   in Loop: Header=BB247_379 Depth=1
	v_bfrev_b32_e32 v32, 1
	v_cmp_ne_u16_sdwa s[4:5], v34, s7 src0_sel:BYTE_0 src1_sel:DWORD
	v_mov_b32_e32 v33, 0
	s_and_saveexec_b64 s[26:27], s[4:5]
	s_cbranch_execz .LBB247_552
; %bb.549:                              ;   in Loop: Header=BB247_379 Depth=1
	v_bfe_u32 v15, v14, 16, 7
	v_mov_b32_e32 v32, 0x7f800001
	v_cmp_ne_u32_e64 s[4:5], s15, v15
	v_mov_b32_e32 v33, 0
	s_and_saveexec_b64 s[28:29], s[4:5]
	s_cbranch_execz .LBB247_551
; %bb.550:                              ;   in Loop: Header=BB247_379 Depth=1
	v_and_b32_e32 v35, 7, v34
	v_ffbh_u32_e32 v32, v35
	v_min_u32_e32 v37, 32, v32
	v_subrev_u32_e32 v32, 28, v37
	v_lshlrev_b64 v[32:33], v32, v[34:35]
	v_lshrrev_b32_e32 v36, 3, v15
	v_sub_u32_e32 v33, 29, v37
	v_and_b32_e32 v32, 7, v32
	v_cmp_gt_u32_e64 s[4:5], 8, v15
	v_cndmask_b32_e64 v15, v36, v33, s[4:5]
	v_cndmask_b32_e64 v32, v35, v32, s[4:5]
	v_lshlrev_b32_e32 v32, 20, v32
	v_and_b32_sdwa v33, sext(v34), s11 dst_sel:DWORD dst_unused:UNUSED_PAD src0_sel:BYTE_0 src1_sel:DWORD
	v_lshl_add_u32 v15, v15, 23, v46
	v_or3_b32 v42, v33, v15, v32
	v_pk_mov_b32 v[32:33], v[42:43], v[42:43] op_sel:[0,1]
.LBB247_551:                            ;   in Loop: Header=BB247_379 Depth=1
	s_or_b64 exec, exec, s[28:29]
.LBB247_552:                            ;   in Loop: Header=BB247_379 Depth=1
	s_or_b64 exec, exec, s[26:27]
.LBB247_553:                            ;   in Loop: Header=BB247_379 Depth=1
	s_or_b64 exec, exec, s[24:25]
	v_cmp_lt_u32_e64 s[4:5], s30, v14
	s_and_saveexec_b64 s[24:25], s[4:5]
	s_cbranch_execz .LBB247_559
; %bb.554:                              ;   in Loop: Header=BB247_379 Depth=1
	v_cmp_ne_u32_sdwa s[4:5], v14, s7 src0_sel:BYTE_3 src1_sel:DWORD
	v_pk_mov_b32 v[10:11], s[10:11], s[10:11] op_sel:[0,1]
	s_and_saveexec_b64 s[26:27], s[4:5]
	s_cbranch_execz .LBB247_558
; %bb.555:                              ;   in Loop: Header=BB247_379 Depth=1
	v_bfe_u32 v15, v14, 24, 7
	s_mov_b32 s22, s10
	v_cmp_ne_u32_e64 s[4:5], s15, v15
	v_pk_mov_b32 v[10:11], s[22:23], s[22:23] op_sel:[0,1]
	s_and_saveexec_b64 s[28:29], s[4:5]
	s_cbranch_execz .LBB247_557
; %bb.556:                              ;   in Loop: Header=BB247_379 Depth=1
	v_and_b32_sdwa v42, v14, v45 dst_sel:DWORD dst_unused:UNUSED_PAD src0_sel:BYTE_3 src1_sel:DWORD
	v_ffbh_u32_e32 v10, v42
	v_min_u32_e32 v35, 32, v10
	v_subrev_u32_e32 v10, 28, v35
	v_lshlrev_b64 v[10:11], v10, v[42:43]
	v_lshrrev_b32_e32 v34, 3, v15
	v_sub_u32_e32 v11, 29, v35
	v_cmp_gt_u32_e64 s[4:5], 8, v15
	v_and_b32_e32 v10, 7, v10
	v_cndmask_b32_e64 v11, v34, v11, s[4:5]
	v_mov_b32_e32 v15, 24
	v_cndmask_b32_e64 v10, v42, v10, s[4:5]
	v_lshlrev_b32_sdwa v14, v15, v14 dst_sel:DWORD dst_unused:UNUSED_PAD src0_sel:DWORD src1_sel:BYTE_3
	v_lshl_add_u32 v11, v11, 23, v46
	v_and_or_b32 v11, v14, s11, v11
	v_lshlrev_b32_e32 v10, 20, v10
	v_or_b32_e32 v11, v11, v10
	v_mov_b32_e32 v10, v43
.LBB247_557:                            ;   in Loop: Header=BB247_379 Depth=1
	s_or_b64 exec, exec, s[28:29]
.LBB247_558:                            ;   in Loop: Header=BB247_379 Depth=1
	s_or_b64 exec, exec, s[26:27]
.LBB247_559:                            ;   in Loop: Header=BB247_379 Depth=1
	s_or_b64 exec, exec, s[24:25]
	v_or_b32_e32 v15, v29, v27
	v_or_b32_e32 v14, v28, v26
	;; [unrolled: 1-line block ×4, first 2 shown]
	v_pk_mul_f32 v[14:15], v[24:25], v[14:15]
	v_pk_mul_f32 v[10:11], v[24:25], v[10:11]
	v_accvgpr_write_b32 a39, v15
	v_accvgpr_write_b32 a41, v11
	;; [unrolled: 1-line block ×4, first 2 shown]
	s_and_saveexec_b64 s[24:25], vcc
	s_cbranch_execz .LBB247_561
; %bb.560:                              ;   in Loop: Header=BB247_379 Depth=1
	v_accvgpr_read_b32 v10, a10
	v_cmp_lt_i32_e64 s[4:5], v10, v62
	v_accvgpr_read_b32 v14, a38
	v_accvgpr_read_b32 v10, a16
	;; [unrolled: 1-line block ×3, first 2 shown]
	v_cndmask_b32_e64 v14, 0, v14, s[4:5]
	v_cmp_lt_i32_e64 s[4:5], v10, v62
	v_accvgpr_read_b32 v10, a13
	v_cndmask_b32_e64 v15, 0, v15, s[4:5]
	v_cmp_lt_i32_e64 s[4:5], v10, v62
	v_accvgpr_read_b32 v10, a40
	v_accvgpr_read_b32 v11, a41
	v_cndmask_b32_e64 v10, 0, v10, s[4:5]
	v_cmp_lt_i32_e64 s[4:5], v44, v62
	v_cndmask_b32_e64 v11, 0, v11, s[4:5]
	v_accvgpr_write_b32 a39, v15
	v_accvgpr_write_b32 a41, v11
	;; [unrolled: 1-line block ×4, first 2 shown]
.LBB247_561:                            ;   in Loop: Header=BB247_379 Depth=1
	s_or_b64 exec, exec, s[24:25]
	flat_load_dword v14, v[30:31] offset:1792
	v_pk_mov_b32 v[28:29], 0, 0
	v_pk_mov_b32 v[26:27], v[28:29], v[28:29] op_sel:[0,1]
	s_waitcnt vmcnt(0) lgkmcnt(0)
	v_cmp_ne_u16_sdwa s[4:5], v14, v43 src0_sel:BYTE_0 src1_sel:DWORD
	s_and_saveexec_b64 s[24:25], s[4:5]
	s_cbranch_execz .LBB247_567
; %bb.562:                              ;   in Loop: Header=BB247_379 Depth=1
	v_bfrev_b32_e32 v26, 1
	v_cmp_ne_u16_sdwa s[4:5], v14, s7 src0_sel:BYTE_0 src1_sel:DWORD
	v_mov_b32_e32 v27, 0
	s_and_saveexec_b64 s[26:27], s[4:5]
	s_cbranch_execz .LBB247_566
; %bb.563:                              ;   in Loop: Header=BB247_379 Depth=1
	v_and_b32_e32 v10, 0x7f, v14
	v_mov_b32_e32 v26, 0x7f800001
	v_cmp_ne_u32_e64 s[4:5], s15, v10
	v_mov_b32_e32 v27, 0
	s_and_saveexec_b64 s[28:29], s[4:5]
	s_cbranch_execz .LBB247_565
; %bb.564:                              ;   in Loop: Header=BB247_379 Depth=1
	v_and_b32_e32 v11, 7, v14
	v_ffbh_u32_e32 v26, v11
	v_min_u32_e32 v32, 32, v26
	v_lshrrev_b32_e32 v15, 3, v10
	v_subrev_u32_e32 v26, 28, v32
	v_lshlrev_b64 v[26:27], v26, v[14:15]
	v_sub_u32_e32 v27, 29, v32
	v_and_b32_e32 v26, 7, v26
	v_cmp_gt_u32_e64 s[4:5], 8, v10
	v_cndmask_b32_e64 v10, v15, v27, s[4:5]
	v_cndmask_b32_e64 v11, v11, v26, s[4:5]
	v_lshlrev_b32_e32 v11, 20, v11
	v_and_b32_sdwa v15, sext(v14), s11 dst_sel:DWORD dst_unused:UNUSED_PAD src0_sel:BYTE_0 src1_sel:DWORD
	v_lshl_add_u32 v10, v10, 23, v46
	v_or3_b32 v42, v15, v10, v11
	v_pk_mov_b32 v[26:27], v[42:43], v[42:43] op_sel:[0,1]
.LBB247_565:                            ;   in Loop: Header=BB247_379 Depth=1
	s_or_b64 exec, exec, s[28:29]
.LBB247_566:                            ;   in Loop: Header=BB247_379 Depth=1
	s_or_b64 exec, exec, s[26:27]
.LBB247_567:                            ;   in Loop: Header=BB247_379 Depth=1
	s_or_b64 exec, exec, s[24:25]
	v_cmp_ne_u16_sdwa s[4:5], v14, v43 src0_sel:BYTE_1 src1_sel:DWORD
	s_and_saveexec_b64 s[24:25], s[4:5]
	s_cbranch_execz .LBB247_573
; %bb.568:                              ;   in Loop: Header=BB247_379 Depth=1
	v_cmp_ne_u16_sdwa s[4:5], v14, s7 src0_sel:BYTE_1 src1_sel:DWORD
	v_pk_mov_b32 v[28:29], s[10:11], s[10:11] op_sel:[0,1]
	s_and_saveexec_b64 s[26:27], s[4:5]
	s_cbranch_execz .LBB247_572
; %bb.569:                              ;   in Loop: Header=BB247_379 Depth=1
	v_and_b32_sdwa v10, v14, s15 dst_sel:DWORD dst_unused:UNUSED_PAD src0_sel:BYTE_1 src1_sel:DWORD
	s_mov_b32 s22, s10
	v_cmp_ne_u32_e64 s[4:5], s15, v10
	v_pk_mov_b32 v[28:29], s[22:23], s[22:23] op_sel:[0,1]
	s_and_saveexec_b64 s[28:29], s[4:5]
	s_cbranch_execz .LBB247_571
; %bb.570:                              ;   in Loop: Header=BB247_379 Depth=1
	v_and_b32_sdwa v42, v14, v45 dst_sel:DWORD dst_unused:UNUSED_PAD src0_sel:BYTE_1 src1_sel:DWORD
	v_ffbh_u32_e32 v15, v42
	v_min_u32_e32 v15, 32, v15
	v_subrev_u32_e32 v28, 28, v15
	v_lshrrev_b32_e32 v11, 3, v10
	v_lshlrev_b64 v[28:29], v28, v[42:43]
	v_sub_u32_e32 v15, 29, v15
	v_cmp_gt_u32_e64 s[4:5], 8, v10
	v_and_b32_e32 v28, 7, v28
	v_cndmask_b32_e64 v10, v11, v15, s[4:5]
	v_cndmask_b32_e64 v11, v42, v28, s[4:5]
	v_lshlrev_b32_e32 v15, 16, v14
	v_lshl_add_u32 v10, v10, 23, v46
	v_and_or_b32 v10, v15, s11, v10
	v_lshlrev_b32_e32 v11, 20, v11
	v_or_b32_e32 v29, v10, v11
	v_mov_b32_e32 v28, v43
.LBB247_571:                            ;   in Loop: Header=BB247_379 Depth=1
	s_or_b64 exec, exec, s[28:29]
.LBB247_572:                            ;   in Loop: Header=BB247_379 Depth=1
	s_or_b64 exec, exec, s[26:27]
.LBB247_573:                            ;   in Loop: Header=BB247_379 Depth=1
	s_or_b64 exec, exec, s[24:25]
	v_lshrrev_b32_e32 v34, 16, v14
	v_pk_mov_b32 v[10:11], 0, 0
	v_cmp_ne_u16_sdwa s[4:5], v34, v43 src0_sel:BYTE_0 src1_sel:DWORD
	v_pk_mov_b32 v[32:33], v[10:11], v[10:11] op_sel:[0,1]
	s_and_saveexec_b64 s[24:25], s[4:5]
	s_cbranch_execz .LBB247_579
; %bb.574:                              ;   in Loop: Header=BB247_379 Depth=1
	v_bfrev_b32_e32 v32, 1
	v_cmp_ne_u16_sdwa s[4:5], v34, s7 src0_sel:BYTE_0 src1_sel:DWORD
	v_mov_b32_e32 v33, 0
	s_and_saveexec_b64 s[26:27], s[4:5]
	s_cbranch_execz .LBB247_578
; %bb.575:                              ;   in Loop: Header=BB247_379 Depth=1
	v_bfe_u32 v15, v14, 16, 7
	v_mov_b32_e32 v32, 0x7f800001
	v_cmp_ne_u32_e64 s[4:5], s15, v15
	v_mov_b32_e32 v33, 0
	s_and_saveexec_b64 s[28:29], s[4:5]
	s_cbranch_execz .LBB247_577
; %bb.576:                              ;   in Loop: Header=BB247_379 Depth=1
	v_and_b32_e32 v35, 7, v34
	v_ffbh_u32_e32 v32, v35
	v_min_u32_e32 v37, 32, v32
	v_subrev_u32_e32 v32, 28, v37
	v_lshlrev_b64 v[32:33], v32, v[34:35]
	v_lshrrev_b32_e32 v36, 3, v15
	v_sub_u32_e32 v33, 29, v37
	v_and_b32_e32 v32, 7, v32
	v_cmp_gt_u32_e64 s[4:5], 8, v15
	v_cndmask_b32_e64 v15, v36, v33, s[4:5]
	v_cndmask_b32_e64 v32, v35, v32, s[4:5]
	v_lshlrev_b32_e32 v32, 20, v32
	v_and_b32_sdwa v33, sext(v34), s11 dst_sel:DWORD dst_unused:UNUSED_PAD src0_sel:BYTE_0 src1_sel:DWORD
	v_lshl_add_u32 v15, v15, 23, v46
	v_or3_b32 v42, v33, v15, v32
	v_pk_mov_b32 v[32:33], v[42:43], v[42:43] op_sel:[0,1]
.LBB247_577:                            ;   in Loop: Header=BB247_379 Depth=1
	s_or_b64 exec, exec, s[28:29]
.LBB247_578:                            ;   in Loop: Header=BB247_379 Depth=1
	s_or_b64 exec, exec, s[26:27]
.LBB247_579:                            ;   in Loop: Header=BB247_379 Depth=1
	s_or_b64 exec, exec, s[24:25]
	v_cmp_lt_u32_e64 s[4:5], s30, v14
	s_and_saveexec_b64 s[24:25], s[4:5]
	s_cbranch_execz .LBB247_585
; %bb.580:                              ;   in Loop: Header=BB247_379 Depth=1
	v_cmp_ne_u32_sdwa s[4:5], v14, s7 src0_sel:BYTE_3 src1_sel:DWORD
	v_pk_mov_b32 v[10:11], s[10:11], s[10:11] op_sel:[0,1]
	s_and_saveexec_b64 s[26:27], s[4:5]
	s_cbranch_execz .LBB247_584
; %bb.581:                              ;   in Loop: Header=BB247_379 Depth=1
	v_bfe_u32 v15, v14, 24, 7
	s_mov_b32 s22, s10
	v_cmp_ne_u32_e64 s[4:5], s15, v15
	v_pk_mov_b32 v[10:11], s[22:23], s[22:23] op_sel:[0,1]
	s_and_saveexec_b64 s[28:29], s[4:5]
	s_cbranch_execz .LBB247_583
; %bb.582:                              ;   in Loop: Header=BB247_379 Depth=1
	v_and_b32_sdwa v42, v14, v45 dst_sel:DWORD dst_unused:UNUSED_PAD src0_sel:BYTE_3 src1_sel:DWORD
	v_ffbh_u32_e32 v10, v42
	v_min_u32_e32 v35, 32, v10
	v_subrev_u32_e32 v10, 28, v35
	v_lshlrev_b64 v[10:11], v10, v[42:43]
	v_lshrrev_b32_e32 v34, 3, v15
	v_sub_u32_e32 v11, 29, v35
	v_cmp_gt_u32_e64 s[4:5], 8, v15
	v_and_b32_e32 v10, 7, v10
	v_cndmask_b32_e64 v11, v34, v11, s[4:5]
	v_mov_b32_e32 v15, 24
	v_cndmask_b32_e64 v10, v42, v10, s[4:5]
	v_lshlrev_b32_sdwa v14, v15, v14 dst_sel:DWORD dst_unused:UNUSED_PAD src0_sel:DWORD src1_sel:BYTE_3
	v_lshl_add_u32 v11, v11, 23, v46
	v_and_or_b32 v11, v14, s11, v11
	v_lshlrev_b32_e32 v10, 20, v10
	v_or_b32_e32 v11, v11, v10
	v_mov_b32_e32 v10, v43
.LBB247_583:                            ;   in Loop: Header=BB247_379 Depth=1
	s_or_b64 exec, exec, s[28:29]
.LBB247_584:                            ;   in Loop: Header=BB247_379 Depth=1
	s_or_b64 exec, exec, s[26:27]
.LBB247_585:                            ;   in Loop: Header=BB247_379 Depth=1
	s_or_b64 exec, exec, s[24:25]
	v_or_b32_e32 v15, v29, v27
	v_or_b32_e32 v14, v28, v26
	;; [unrolled: 1-line block ×4, first 2 shown]
	v_pk_mul_f32 v[58:59], v[24:25], v[14:15]
	v_pk_mul_f32 v[56:57], v[24:25], v[10:11]
	s_and_saveexec_b64 s[24:25], vcc
; %bb.586:                              ;   in Loop: Header=BB247_379 Depth=1
	v_accvgpr_read_b32 v10, a10
	v_cmp_lt_i32_e64 s[4:5], v10, v62
	v_accvgpr_read_b32 v10, a16
	v_cndmask_b32_e64 v58, 0, v58, s[4:5]
	v_cmp_lt_i32_e64 s[4:5], v10, v62
	v_accvgpr_read_b32 v10, a13
	v_cndmask_b32_e64 v59, 0, v59, s[4:5]
	v_cmp_lt_i32_e64 s[4:5], v10, v62
	v_cndmask_b32_e64 v56, 0, v56, s[4:5]
	v_cmp_lt_i32_e64 s[4:5], v44, v62
	v_cndmask_b32_e64 v57, 0, v57, s[4:5]
; %bb.587:                              ;   in Loop: Header=BB247_379 Depth=1
	s_or_b64 exec, exec, s[24:25]
	flat_load_dword v14, v[30:31] offset:2048
	v_pk_mov_b32 v[28:29], 0, 0
	v_pk_mov_b32 v[26:27], v[28:29], v[28:29] op_sel:[0,1]
	s_waitcnt vmcnt(0) lgkmcnt(0)
	v_cmp_ne_u16_sdwa s[4:5], v14, v43 src0_sel:BYTE_0 src1_sel:DWORD
	s_and_saveexec_b64 s[24:25], s[4:5]
	s_cbranch_execz .LBB247_593
; %bb.588:                              ;   in Loop: Header=BB247_379 Depth=1
	v_bfrev_b32_e32 v26, 1
	v_cmp_ne_u16_sdwa s[4:5], v14, s7 src0_sel:BYTE_0 src1_sel:DWORD
	v_mov_b32_e32 v27, 0
	s_and_saveexec_b64 s[26:27], s[4:5]
	s_cbranch_execz .LBB247_592
; %bb.589:                              ;   in Loop: Header=BB247_379 Depth=1
	v_and_b32_e32 v10, 0x7f, v14
	v_mov_b32_e32 v26, 0x7f800001
	v_cmp_ne_u32_e64 s[4:5], s15, v10
	v_mov_b32_e32 v27, 0
	s_and_saveexec_b64 s[28:29], s[4:5]
	s_cbranch_execz .LBB247_591
; %bb.590:                              ;   in Loop: Header=BB247_379 Depth=1
	v_and_b32_e32 v11, 7, v14
	v_ffbh_u32_e32 v26, v11
	v_min_u32_e32 v32, 32, v26
	v_lshrrev_b32_e32 v15, 3, v10
	v_subrev_u32_e32 v26, 28, v32
	v_lshlrev_b64 v[26:27], v26, v[14:15]
	v_sub_u32_e32 v27, 29, v32
	v_and_b32_e32 v26, 7, v26
	v_cmp_gt_u32_e64 s[4:5], 8, v10
	v_cndmask_b32_e64 v10, v15, v27, s[4:5]
	v_cndmask_b32_e64 v11, v11, v26, s[4:5]
	v_lshlrev_b32_e32 v11, 20, v11
	v_and_b32_sdwa v15, sext(v14), s11 dst_sel:DWORD dst_unused:UNUSED_PAD src0_sel:BYTE_0 src1_sel:DWORD
	v_lshl_add_u32 v10, v10, 23, v46
	v_or3_b32 v42, v15, v10, v11
	v_pk_mov_b32 v[26:27], v[42:43], v[42:43] op_sel:[0,1]
.LBB247_591:                            ;   in Loop: Header=BB247_379 Depth=1
	s_or_b64 exec, exec, s[28:29]
.LBB247_592:                            ;   in Loop: Header=BB247_379 Depth=1
	s_or_b64 exec, exec, s[26:27]
.LBB247_593:                            ;   in Loop: Header=BB247_379 Depth=1
	s_or_b64 exec, exec, s[24:25]
	v_cmp_ne_u16_sdwa s[4:5], v14, v43 src0_sel:BYTE_1 src1_sel:DWORD
	s_and_saveexec_b64 s[24:25], s[4:5]
	s_cbranch_execz .LBB247_599
; %bb.594:                              ;   in Loop: Header=BB247_379 Depth=1
	v_cmp_ne_u16_sdwa s[4:5], v14, s7 src0_sel:BYTE_1 src1_sel:DWORD
	v_pk_mov_b32 v[28:29], s[10:11], s[10:11] op_sel:[0,1]
	s_and_saveexec_b64 s[26:27], s[4:5]
	s_cbranch_execz .LBB247_598
; %bb.595:                              ;   in Loop: Header=BB247_379 Depth=1
	v_and_b32_sdwa v10, v14, s15 dst_sel:DWORD dst_unused:UNUSED_PAD src0_sel:BYTE_1 src1_sel:DWORD
	s_mov_b32 s22, s10
	v_cmp_ne_u32_e64 s[4:5], s15, v10
	v_pk_mov_b32 v[28:29], s[22:23], s[22:23] op_sel:[0,1]
	s_and_saveexec_b64 s[28:29], s[4:5]
	s_cbranch_execz .LBB247_597
; %bb.596:                              ;   in Loop: Header=BB247_379 Depth=1
	v_and_b32_sdwa v42, v14, v45 dst_sel:DWORD dst_unused:UNUSED_PAD src0_sel:BYTE_1 src1_sel:DWORD
	v_ffbh_u32_e32 v15, v42
	v_min_u32_e32 v15, 32, v15
	v_subrev_u32_e32 v28, 28, v15
	v_lshrrev_b32_e32 v11, 3, v10
	v_lshlrev_b64 v[28:29], v28, v[42:43]
	v_sub_u32_e32 v15, 29, v15
	v_cmp_gt_u32_e64 s[4:5], 8, v10
	v_and_b32_e32 v28, 7, v28
	v_cndmask_b32_e64 v10, v11, v15, s[4:5]
	v_cndmask_b32_e64 v11, v42, v28, s[4:5]
	v_lshlrev_b32_e32 v15, 16, v14
	v_lshl_add_u32 v10, v10, 23, v46
	v_and_or_b32 v10, v15, s11, v10
	v_lshlrev_b32_e32 v11, 20, v11
	v_or_b32_e32 v29, v10, v11
	v_mov_b32_e32 v28, v43
.LBB247_597:                            ;   in Loop: Header=BB247_379 Depth=1
	s_or_b64 exec, exec, s[28:29]
.LBB247_598:                            ;   in Loop: Header=BB247_379 Depth=1
	s_or_b64 exec, exec, s[26:27]
.LBB247_599:                            ;   in Loop: Header=BB247_379 Depth=1
	s_or_b64 exec, exec, s[24:25]
	v_lshrrev_b32_e32 v34, 16, v14
	v_pk_mov_b32 v[10:11], 0, 0
	v_cmp_ne_u16_sdwa s[4:5], v34, v43 src0_sel:BYTE_0 src1_sel:DWORD
	v_pk_mov_b32 v[32:33], v[10:11], v[10:11] op_sel:[0,1]
	s_and_saveexec_b64 s[24:25], s[4:5]
	s_cbranch_execz .LBB247_605
; %bb.600:                              ;   in Loop: Header=BB247_379 Depth=1
	v_bfrev_b32_e32 v32, 1
	v_cmp_ne_u16_sdwa s[4:5], v34, s7 src0_sel:BYTE_0 src1_sel:DWORD
	v_mov_b32_e32 v33, 0
	s_and_saveexec_b64 s[26:27], s[4:5]
	s_cbranch_execz .LBB247_604
; %bb.601:                              ;   in Loop: Header=BB247_379 Depth=1
	v_bfe_u32 v15, v14, 16, 7
	v_mov_b32_e32 v32, 0x7f800001
	v_cmp_ne_u32_e64 s[4:5], s15, v15
	v_mov_b32_e32 v33, 0
	s_and_saveexec_b64 s[28:29], s[4:5]
	s_cbranch_execz .LBB247_603
; %bb.602:                              ;   in Loop: Header=BB247_379 Depth=1
	v_and_b32_e32 v35, 7, v34
	v_ffbh_u32_e32 v32, v35
	v_min_u32_e32 v37, 32, v32
	v_subrev_u32_e32 v32, 28, v37
	v_lshlrev_b64 v[32:33], v32, v[34:35]
	v_lshrrev_b32_e32 v36, 3, v15
	v_sub_u32_e32 v33, 29, v37
	v_and_b32_e32 v32, 7, v32
	v_cmp_gt_u32_e64 s[4:5], 8, v15
	v_cndmask_b32_e64 v15, v36, v33, s[4:5]
	v_cndmask_b32_e64 v32, v35, v32, s[4:5]
	v_lshlrev_b32_e32 v32, 20, v32
	v_and_b32_sdwa v33, sext(v34), s11 dst_sel:DWORD dst_unused:UNUSED_PAD src0_sel:BYTE_0 src1_sel:DWORD
	v_lshl_add_u32 v15, v15, 23, v46
	v_or3_b32 v42, v33, v15, v32
	v_pk_mov_b32 v[32:33], v[42:43], v[42:43] op_sel:[0,1]
.LBB247_603:                            ;   in Loop: Header=BB247_379 Depth=1
	s_or_b64 exec, exec, s[28:29]
.LBB247_604:                            ;   in Loop: Header=BB247_379 Depth=1
	s_or_b64 exec, exec, s[26:27]
.LBB247_605:                            ;   in Loop: Header=BB247_379 Depth=1
	s_or_b64 exec, exec, s[24:25]
	v_cmp_lt_u32_e64 s[4:5], s30, v14
	s_and_saveexec_b64 s[24:25], s[4:5]
	s_cbranch_execz .LBB247_611
; %bb.606:                              ;   in Loop: Header=BB247_379 Depth=1
	v_cmp_ne_u32_sdwa s[4:5], v14, s7 src0_sel:BYTE_3 src1_sel:DWORD
	v_pk_mov_b32 v[10:11], s[10:11], s[10:11] op_sel:[0,1]
	s_and_saveexec_b64 s[26:27], s[4:5]
	s_cbranch_execz .LBB247_610
; %bb.607:                              ;   in Loop: Header=BB247_379 Depth=1
	v_bfe_u32 v15, v14, 24, 7
	s_mov_b32 s22, s10
	v_cmp_ne_u32_e64 s[4:5], s15, v15
	v_pk_mov_b32 v[10:11], s[22:23], s[22:23] op_sel:[0,1]
	s_and_saveexec_b64 s[28:29], s[4:5]
	s_cbranch_execz .LBB247_609
; %bb.608:                              ;   in Loop: Header=BB247_379 Depth=1
	v_and_b32_sdwa v42, v14, v45 dst_sel:DWORD dst_unused:UNUSED_PAD src0_sel:BYTE_3 src1_sel:DWORD
	v_ffbh_u32_e32 v10, v42
	v_min_u32_e32 v35, 32, v10
	v_subrev_u32_e32 v10, 28, v35
	v_lshlrev_b64 v[10:11], v10, v[42:43]
	v_lshrrev_b32_e32 v34, 3, v15
	v_sub_u32_e32 v11, 29, v35
	v_cmp_gt_u32_e64 s[4:5], 8, v15
	v_and_b32_e32 v10, 7, v10
	v_cndmask_b32_e64 v11, v34, v11, s[4:5]
	v_mov_b32_e32 v15, 24
	v_cndmask_b32_e64 v10, v42, v10, s[4:5]
	v_lshlrev_b32_sdwa v14, v15, v14 dst_sel:DWORD dst_unused:UNUSED_PAD src0_sel:DWORD src1_sel:BYTE_3
	v_lshl_add_u32 v11, v11, 23, v46
	v_and_or_b32 v11, v14, s11, v11
	v_lshlrev_b32_e32 v10, 20, v10
	v_or_b32_e32 v11, v11, v10
	v_mov_b32_e32 v10, v43
.LBB247_609:                            ;   in Loop: Header=BB247_379 Depth=1
	s_or_b64 exec, exec, s[28:29]
.LBB247_610:                            ;   in Loop: Header=BB247_379 Depth=1
	s_or_b64 exec, exec, s[26:27]
.LBB247_611:                            ;   in Loop: Header=BB247_379 Depth=1
	s_or_b64 exec, exec, s[24:25]
	v_or_b32_e32 v15, v29, v27
	v_or_b32_e32 v14, v28, v26
	;; [unrolled: 1-line block ×4, first 2 shown]
	v_pk_mul_f32 v[60:61], v[24:25], v[14:15]
	v_pk_mul_f32 v[26:27], v[24:25], v[10:11]
	s_and_saveexec_b64 s[24:25], vcc
; %bb.612:                              ;   in Loop: Header=BB247_379 Depth=1
	v_accvgpr_read_b32 v10, a10
	v_cmp_lt_i32_e64 s[4:5], v10, v62
	v_accvgpr_read_b32 v10, a16
	v_cndmask_b32_e64 v60, 0, v60, s[4:5]
	v_cmp_lt_i32_e64 s[4:5], v10, v62
	v_accvgpr_read_b32 v10, a13
	v_cndmask_b32_e64 v61, 0, v61, s[4:5]
	v_cmp_lt_i32_e64 s[4:5], v10, v62
	v_cndmask_b32_e64 v26, 0, v26, s[4:5]
	v_cmp_lt_i32_e64 s[4:5], v44, v62
	v_cndmask_b32_e64 v27, 0, v27, s[4:5]
; %bb.613:                              ;   in Loop: Header=BB247_379 Depth=1
	s_or_b64 exec, exec, s[24:25]
	flat_load_dword v14, v[30:31] offset:2304
	v_pk_mov_b32 v[32:33], 0, 0
	v_pk_mov_b32 v[28:29], v[32:33], v[32:33] op_sel:[0,1]
	s_waitcnt vmcnt(0) lgkmcnt(0)
	v_cmp_ne_u16_sdwa s[4:5], v14, v43 src0_sel:BYTE_0 src1_sel:DWORD
	s_and_saveexec_b64 s[24:25], s[4:5]
	s_cbranch_execz .LBB247_619
; %bb.614:                              ;   in Loop: Header=BB247_379 Depth=1
	v_bfrev_b32_e32 v28, 1
	v_cmp_ne_u16_sdwa s[4:5], v14, s7 src0_sel:BYTE_0 src1_sel:DWORD
	v_mov_b32_e32 v29, 0
	s_and_saveexec_b64 s[26:27], s[4:5]
	s_cbranch_execz .LBB247_618
; %bb.615:                              ;   in Loop: Header=BB247_379 Depth=1
	v_and_b32_e32 v10, 0x7f, v14
	v_mov_b32_e32 v28, 0x7f800001
	v_cmp_ne_u32_e64 s[4:5], s15, v10
	v_mov_b32_e32 v29, 0
	s_and_saveexec_b64 s[28:29], s[4:5]
	s_cbranch_execz .LBB247_617
; %bb.616:                              ;   in Loop: Header=BB247_379 Depth=1
	v_and_b32_e32 v11, 7, v14
	v_ffbh_u32_e32 v28, v11
	v_min_u32_e32 v34, 32, v28
	v_lshrrev_b32_e32 v15, 3, v10
	v_subrev_u32_e32 v28, 28, v34
	v_lshlrev_b64 v[28:29], v28, v[14:15]
	v_sub_u32_e32 v29, 29, v34
	v_and_b32_e32 v28, 7, v28
	v_cmp_gt_u32_e64 s[4:5], 8, v10
	v_cndmask_b32_e64 v10, v15, v29, s[4:5]
	v_cndmask_b32_e64 v11, v11, v28, s[4:5]
	v_lshlrev_b32_e32 v11, 20, v11
	v_and_b32_sdwa v15, sext(v14), s11 dst_sel:DWORD dst_unused:UNUSED_PAD src0_sel:BYTE_0 src1_sel:DWORD
	v_lshl_add_u32 v10, v10, 23, v46
	v_or3_b32 v42, v15, v10, v11
	v_pk_mov_b32 v[28:29], v[42:43], v[42:43] op_sel:[0,1]
.LBB247_617:                            ;   in Loop: Header=BB247_379 Depth=1
	s_or_b64 exec, exec, s[28:29]
.LBB247_618:                            ;   in Loop: Header=BB247_379 Depth=1
	s_or_b64 exec, exec, s[26:27]
.LBB247_619:                            ;   in Loop: Header=BB247_379 Depth=1
	s_or_b64 exec, exec, s[24:25]
	v_cmp_ne_u16_sdwa s[4:5], v14, v43 src0_sel:BYTE_1 src1_sel:DWORD
	s_and_saveexec_b64 s[24:25], s[4:5]
	s_cbranch_execz .LBB247_625
; %bb.620:                              ;   in Loop: Header=BB247_379 Depth=1
	v_cmp_ne_u16_sdwa s[4:5], v14, s7 src0_sel:BYTE_1 src1_sel:DWORD
	v_pk_mov_b32 v[32:33], s[10:11], s[10:11] op_sel:[0,1]
	s_and_saveexec_b64 s[26:27], s[4:5]
	s_cbranch_execz .LBB247_624
; %bb.621:                              ;   in Loop: Header=BB247_379 Depth=1
	v_and_b32_sdwa v10, v14, s15 dst_sel:DWORD dst_unused:UNUSED_PAD src0_sel:BYTE_1 src1_sel:DWORD
	s_mov_b32 s22, s10
	v_cmp_ne_u32_e64 s[4:5], s15, v10
	v_pk_mov_b32 v[32:33], s[22:23], s[22:23] op_sel:[0,1]
	s_and_saveexec_b64 s[28:29], s[4:5]
	s_cbranch_execz .LBB247_623
; %bb.622:                              ;   in Loop: Header=BB247_379 Depth=1
	v_and_b32_sdwa v42, v14, v45 dst_sel:DWORD dst_unused:UNUSED_PAD src0_sel:BYTE_1 src1_sel:DWORD
	v_ffbh_u32_e32 v15, v42
	v_min_u32_e32 v15, 32, v15
	v_subrev_u32_e32 v32, 28, v15
	v_lshrrev_b32_e32 v11, 3, v10
	v_lshlrev_b64 v[32:33], v32, v[42:43]
	v_sub_u32_e32 v15, 29, v15
	v_cmp_gt_u32_e64 s[4:5], 8, v10
	v_and_b32_e32 v32, 7, v32
	v_cndmask_b32_e64 v10, v11, v15, s[4:5]
	v_cndmask_b32_e64 v11, v42, v32, s[4:5]
	v_lshlrev_b32_e32 v15, 16, v14
	v_lshl_add_u32 v10, v10, 23, v46
	v_and_or_b32 v10, v15, s11, v10
	v_lshlrev_b32_e32 v11, 20, v11
	v_or_b32_e32 v33, v10, v11
	v_mov_b32_e32 v32, v43
.LBB247_623:                            ;   in Loop: Header=BB247_379 Depth=1
	s_or_b64 exec, exec, s[28:29]
.LBB247_624:                            ;   in Loop: Header=BB247_379 Depth=1
	s_or_b64 exec, exec, s[26:27]
.LBB247_625:                            ;   in Loop: Header=BB247_379 Depth=1
	s_or_b64 exec, exec, s[24:25]
	v_lshrrev_b32_e32 v36, 16, v14
	v_pk_mov_b32 v[10:11], 0, 0
	v_cmp_ne_u16_sdwa s[4:5], v36, v43 src0_sel:BYTE_0 src1_sel:DWORD
	v_pk_mov_b32 v[34:35], v[10:11], v[10:11] op_sel:[0,1]
	s_and_saveexec_b64 s[24:25], s[4:5]
	s_cbranch_execz .LBB247_631
; %bb.626:                              ;   in Loop: Header=BB247_379 Depth=1
	v_bfrev_b32_e32 v34, 1
	v_cmp_ne_u16_sdwa s[4:5], v36, s7 src0_sel:BYTE_0 src1_sel:DWORD
	v_mov_b32_e32 v35, 0
	s_and_saveexec_b64 s[26:27], s[4:5]
	s_cbranch_execz .LBB247_630
; %bb.627:                              ;   in Loop: Header=BB247_379 Depth=1
	v_bfe_u32 v15, v14, 16, 7
	v_mov_b32_e32 v34, 0x7f800001
	v_cmp_ne_u32_e64 s[4:5], s15, v15
	v_mov_b32_e32 v35, 0
	s_and_saveexec_b64 s[28:29], s[4:5]
	s_cbranch_execz .LBB247_629
; %bb.628:                              ;   in Loop: Header=BB247_379 Depth=1
	v_and_b32_e32 v37, 7, v36
	v_ffbh_u32_e32 v34, v37
	v_min_u32_e32 v39, 32, v34
	v_subrev_u32_e32 v34, 28, v39
	v_lshlrev_b64 v[34:35], v34, v[36:37]
	v_lshrrev_b32_e32 v38, 3, v15
	v_sub_u32_e32 v35, 29, v39
	v_and_b32_e32 v34, 7, v34
	v_cmp_gt_u32_e64 s[4:5], 8, v15
	v_cndmask_b32_e64 v15, v38, v35, s[4:5]
	v_cndmask_b32_e64 v34, v37, v34, s[4:5]
	v_lshlrev_b32_e32 v34, 20, v34
	v_and_b32_sdwa v35, sext(v36), s11 dst_sel:DWORD dst_unused:UNUSED_PAD src0_sel:BYTE_0 src1_sel:DWORD
	v_lshl_add_u32 v15, v15, 23, v46
	v_or3_b32 v42, v35, v15, v34
	v_pk_mov_b32 v[34:35], v[42:43], v[42:43] op_sel:[0,1]
.LBB247_629:                            ;   in Loop: Header=BB247_379 Depth=1
	s_or_b64 exec, exec, s[28:29]
.LBB247_630:                            ;   in Loop: Header=BB247_379 Depth=1
	s_or_b64 exec, exec, s[26:27]
.LBB247_631:                            ;   in Loop: Header=BB247_379 Depth=1
	s_or_b64 exec, exec, s[24:25]
	v_cmp_lt_u32_e64 s[4:5], s30, v14
	s_and_saveexec_b64 s[24:25], s[4:5]
	s_cbranch_execz .LBB247_637
; %bb.632:                              ;   in Loop: Header=BB247_379 Depth=1
	v_cmp_ne_u32_sdwa s[4:5], v14, s7 src0_sel:BYTE_3 src1_sel:DWORD
	v_pk_mov_b32 v[10:11], s[10:11], s[10:11] op_sel:[0,1]
	s_and_saveexec_b64 s[26:27], s[4:5]
	s_cbranch_execz .LBB247_636
; %bb.633:                              ;   in Loop: Header=BB247_379 Depth=1
	v_bfe_u32 v15, v14, 24, 7
	s_mov_b32 s22, s10
	v_cmp_ne_u32_e64 s[4:5], s15, v15
	v_pk_mov_b32 v[10:11], s[22:23], s[22:23] op_sel:[0,1]
	s_and_saveexec_b64 s[28:29], s[4:5]
	s_cbranch_execz .LBB247_635
; %bb.634:                              ;   in Loop: Header=BB247_379 Depth=1
	v_and_b32_sdwa v42, v14, v45 dst_sel:DWORD dst_unused:UNUSED_PAD src0_sel:BYTE_3 src1_sel:DWORD
	v_ffbh_u32_e32 v10, v42
	v_min_u32_e32 v37, 32, v10
	v_subrev_u32_e32 v10, 28, v37
	v_lshlrev_b64 v[10:11], v10, v[42:43]
	v_lshrrev_b32_e32 v36, 3, v15
	v_sub_u32_e32 v11, 29, v37
	v_cmp_gt_u32_e64 s[4:5], 8, v15
	v_and_b32_e32 v10, 7, v10
	v_cndmask_b32_e64 v11, v36, v11, s[4:5]
	v_mov_b32_e32 v15, 24
	v_cndmask_b32_e64 v10, v42, v10, s[4:5]
	v_lshlrev_b32_sdwa v14, v15, v14 dst_sel:DWORD dst_unused:UNUSED_PAD src0_sel:DWORD src1_sel:BYTE_3
	v_lshl_add_u32 v11, v11, 23, v46
	v_and_or_b32 v11, v14, s11, v11
	v_lshlrev_b32_e32 v10, 20, v10
	v_or_b32_e32 v11, v11, v10
	v_mov_b32_e32 v10, v43
.LBB247_635:                            ;   in Loop: Header=BB247_379 Depth=1
	s_or_b64 exec, exec, s[28:29]
.LBB247_636:                            ;   in Loop: Header=BB247_379 Depth=1
	s_or_b64 exec, exec, s[26:27]
.LBB247_637:                            ;   in Loop: Header=BB247_379 Depth=1
	s_or_b64 exec, exec, s[24:25]
	v_or_b32_e32 v15, v33, v29
	v_or_b32_e32 v14, v32, v28
	;; [unrolled: 1-line block ×4, first 2 shown]
	v_pk_mul_f32 v[14:15], v[24:25], v[14:15]
	v_pk_mul_f32 v[28:29], v[24:25], v[10:11]
	s_and_saveexec_b64 s[24:25], vcc
; %bb.638:                              ;   in Loop: Header=BB247_379 Depth=1
	v_accvgpr_read_b32 v10, a10
	v_cmp_lt_i32_e64 s[4:5], v10, v62
	v_accvgpr_read_b32 v10, a16
	v_cndmask_b32_e64 v14, 0, v14, s[4:5]
	v_cmp_lt_i32_e64 s[4:5], v10, v62
	v_accvgpr_read_b32 v10, a13
	v_cndmask_b32_e64 v15, 0, v15, s[4:5]
	v_cmp_lt_i32_e64 s[4:5], v10, v62
	v_cndmask_b32_e64 v28, 0, v28, s[4:5]
	v_cmp_lt_i32_e64 s[4:5], v44, v62
	v_cndmask_b32_e64 v29, 0, v29, s[4:5]
; %bb.639:                              ;   in Loop: Header=BB247_379 Depth=1
	s_or_b64 exec, exec, s[24:25]
	flat_load_dword v32, v[30:31] offset:2560
	v_pk_mov_b32 v[36:37], 0, 0
	v_pk_mov_b32 v[34:35], v[36:37], v[36:37] op_sel:[0,1]
	s_waitcnt vmcnt(0) lgkmcnt(0)
	v_cmp_ne_u16_sdwa s[4:5], v32, v43 src0_sel:BYTE_0 src1_sel:DWORD
	s_and_saveexec_b64 s[24:25], s[4:5]
	s_cbranch_execz .LBB247_645
; %bb.640:                              ;   in Loop: Header=BB247_379 Depth=1
	v_bfrev_b32_e32 v34, 1
	v_cmp_ne_u16_sdwa s[4:5], v32, s7 src0_sel:BYTE_0 src1_sel:DWORD
	v_mov_b32_e32 v35, 0
	s_and_saveexec_b64 s[26:27], s[4:5]
	s_cbranch_execz .LBB247_644
; %bb.641:                              ;   in Loop: Header=BB247_379 Depth=1
	v_and_b32_e32 v10, 0x7f, v32
	v_mov_b32_e32 v34, 0x7f800001
	v_cmp_ne_u32_e64 s[4:5], s15, v10
	v_mov_b32_e32 v35, 0
	s_and_saveexec_b64 s[28:29], s[4:5]
	s_cbranch_execz .LBB247_643
; %bb.642:                              ;   in Loop: Header=BB247_379 Depth=1
	v_and_b32_e32 v11, 7, v32
	v_ffbh_u32_e32 v34, v11
	v_min_u32_e32 v38, 32, v34
	v_lshrrev_b32_e32 v33, 3, v10
	v_subrev_u32_e32 v34, 28, v38
	v_lshlrev_b64 v[34:35], v34, v[32:33]
	v_sub_u32_e32 v35, 29, v38
	v_and_b32_e32 v34, 7, v34
	v_cmp_gt_u32_e64 s[4:5], 8, v10
	v_cndmask_b32_e64 v10, v33, v35, s[4:5]
	v_cndmask_b32_e64 v11, v11, v34, s[4:5]
	v_lshlrev_b32_e32 v11, 20, v11
	v_and_b32_sdwa v33, sext(v32), s11 dst_sel:DWORD dst_unused:UNUSED_PAD src0_sel:BYTE_0 src1_sel:DWORD
	v_lshl_add_u32 v10, v10, 23, v46
	v_or3_b32 v42, v33, v10, v11
	v_pk_mov_b32 v[34:35], v[42:43], v[42:43] op_sel:[0,1]
.LBB247_643:                            ;   in Loop: Header=BB247_379 Depth=1
	s_or_b64 exec, exec, s[28:29]
.LBB247_644:                            ;   in Loop: Header=BB247_379 Depth=1
	s_or_b64 exec, exec, s[26:27]
.LBB247_645:                            ;   in Loop: Header=BB247_379 Depth=1
	s_or_b64 exec, exec, s[24:25]
	v_cmp_ne_u16_sdwa s[4:5], v32, v43 src0_sel:BYTE_1 src1_sel:DWORD
	s_and_saveexec_b64 s[24:25], s[4:5]
	s_cbranch_execz .LBB247_651
; %bb.646:                              ;   in Loop: Header=BB247_379 Depth=1
	v_cmp_ne_u16_sdwa s[4:5], v32, s7 src0_sel:BYTE_1 src1_sel:DWORD
	v_pk_mov_b32 v[36:37], s[10:11], s[10:11] op_sel:[0,1]
	s_and_saveexec_b64 s[26:27], s[4:5]
	s_cbranch_execz .LBB247_650
; %bb.647:                              ;   in Loop: Header=BB247_379 Depth=1
	v_and_b32_sdwa v10, v32, s15 dst_sel:DWORD dst_unused:UNUSED_PAD src0_sel:BYTE_1 src1_sel:DWORD
	s_mov_b32 s22, s10
	v_cmp_ne_u32_e64 s[4:5], s15, v10
	v_pk_mov_b32 v[36:37], s[22:23], s[22:23] op_sel:[0,1]
	s_and_saveexec_b64 s[28:29], s[4:5]
	s_cbranch_execz .LBB247_649
; %bb.648:                              ;   in Loop: Header=BB247_379 Depth=1
	v_and_b32_sdwa v42, v32, v45 dst_sel:DWORD dst_unused:UNUSED_PAD src0_sel:BYTE_1 src1_sel:DWORD
	v_ffbh_u32_e32 v33, v42
	v_min_u32_e32 v33, 32, v33
	v_subrev_u32_e32 v36, 28, v33
	v_lshrrev_b32_e32 v11, 3, v10
	v_lshlrev_b64 v[36:37], v36, v[42:43]
	v_sub_u32_e32 v33, 29, v33
	v_cmp_gt_u32_e64 s[4:5], 8, v10
	v_and_b32_e32 v36, 7, v36
	v_cndmask_b32_e64 v10, v11, v33, s[4:5]
	v_cndmask_b32_e64 v11, v42, v36, s[4:5]
	v_lshlrev_b32_e32 v33, 16, v32
	v_lshl_add_u32 v10, v10, 23, v46
	v_and_or_b32 v10, v33, s11, v10
	v_lshlrev_b32_e32 v11, 20, v11
	v_or_b32_e32 v37, v10, v11
	v_mov_b32_e32 v36, v43
.LBB247_649:                            ;   in Loop: Header=BB247_379 Depth=1
	s_or_b64 exec, exec, s[28:29]
.LBB247_650:                            ;   in Loop: Header=BB247_379 Depth=1
	s_or_b64 exec, exec, s[26:27]
.LBB247_651:                            ;   in Loop: Header=BB247_379 Depth=1
	s_or_b64 exec, exec, s[24:25]
	v_lshrrev_b32_e32 v48, 16, v32
	v_pk_mov_b32 v[10:11], 0, 0
	v_cmp_ne_u16_sdwa s[4:5], v48, v43 src0_sel:BYTE_0 src1_sel:DWORD
	v_pk_mov_b32 v[38:39], v[10:11], v[10:11] op_sel:[0,1]
	s_and_saveexec_b64 s[24:25], s[4:5]
	s_cbranch_execz .LBB247_657
; %bb.652:                              ;   in Loop: Header=BB247_379 Depth=1
	v_bfrev_b32_e32 v38, 1
	v_cmp_ne_u16_sdwa s[4:5], v48, s7 src0_sel:BYTE_0 src1_sel:DWORD
	v_mov_b32_e32 v39, 0
	s_and_saveexec_b64 s[26:27], s[4:5]
	s_cbranch_execz .LBB247_656
; %bb.653:                              ;   in Loop: Header=BB247_379 Depth=1
	v_bfe_u32 v33, v32, 16, 7
	v_mov_b32_e32 v38, 0x7f800001
	v_cmp_ne_u32_e64 s[4:5], s15, v33
	v_mov_b32_e32 v39, 0
	s_and_saveexec_b64 s[28:29], s[4:5]
	s_cbranch_execz .LBB247_655
; %bb.654:                              ;   in Loop: Header=BB247_379 Depth=1
	v_and_b32_e32 v49, 7, v48
	v_ffbh_u32_e32 v38, v49
	v_min_u32_e32 v51, 32, v38
	v_subrev_u32_e32 v38, 28, v51
	v_lshlrev_b64 v[38:39], v38, v[48:49]
	v_lshrrev_b32_e32 v50, 3, v33
	v_sub_u32_e32 v39, 29, v51
	v_and_b32_e32 v38, 7, v38
	v_cmp_gt_u32_e64 s[4:5], 8, v33
	v_cndmask_b32_e64 v33, v50, v39, s[4:5]
	v_cndmask_b32_e64 v38, v49, v38, s[4:5]
	v_lshlrev_b32_e32 v38, 20, v38
	v_and_b32_sdwa v39, sext(v48), s11 dst_sel:DWORD dst_unused:UNUSED_PAD src0_sel:BYTE_0 src1_sel:DWORD
	v_lshl_add_u32 v33, v33, 23, v46
	v_or3_b32 v42, v39, v33, v38
	v_pk_mov_b32 v[38:39], v[42:43], v[42:43] op_sel:[0,1]
.LBB247_655:                            ;   in Loop: Header=BB247_379 Depth=1
	s_or_b64 exec, exec, s[28:29]
.LBB247_656:                            ;   in Loop: Header=BB247_379 Depth=1
	s_or_b64 exec, exec, s[26:27]
.LBB247_657:                            ;   in Loop: Header=BB247_379 Depth=1
	s_or_b64 exec, exec, s[24:25]
	v_cmp_lt_u32_e64 s[4:5], s30, v32
	s_and_saveexec_b64 s[24:25], s[4:5]
	s_cbranch_execz .LBB247_663
; %bb.658:                              ;   in Loop: Header=BB247_379 Depth=1
	v_cmp_ne_u32_sdwa s[4:5], v32, s7 src0_sel:BYTE_3 src1_sel:DWORD
	v_pk_mov_b32 v[10:11], s[10:11], s[10:11] op_sel:[0,1]
	s_and_saveexec_b64 s[26:27], s[4:5]
	s_cbranch_execz .LBB247_662
; %bb.659:                              ;   in Loop: Header=BB247_379 Depth=1
	v_bfe_u32 v33, v32, 24, 7
	s_mov_b32 s22, s10
	v_cmp_ne_u32_e64 s[4:5], s15, v33
	v_pk_mov_b32 v[10:11], s[22:23], s[22:23] op_sel:[0,1]
	s_and_saveexec_b64 s[28:29], s[4:5]
	s_cbranch_execz .LBB247_661
; %bb.660:                              ;   in Loop: Header=BB247_379 Depth=1
	v_and_b32_sdwa v42, v32, v45 dst_sel:DWORD dst_unused:UNUSED_PAD src0_sel:BYTE_3 src1_sel:DWORD
	v_ffbh_u32_e32 v10, v42
	v_min_u32_e32 v49, 32, v10
	v_subrev_u32_e32 v10, 28, v49
	v_lshlrev_b64 v[10:11], v10, v[42:43]
	v_lshrrev_b32_e32 v48, 3, v33
	v_sub_u32_e32 v11, 29, v49
	v_cmp_gt_u32_e64 s[4:5], 8, v33
	v_and_b32_e32 v10, 7, v10
	v_cndmask_b32_e64 v11, v48, v11, s[4:5]
	v_mov_b32_e32 v33, 24
	v_cndmask_b32_e64 v10, v42, v10, s[4:5]
	v_lshlrev_b32_sdwa v32, v33, v32 dst_sel:DWORD dst_unused:UNUSED_PAD src0_sel:DWORD src1_sel:BYTE_3
	v_lshl_add_u32 v11, v11, 23, v46
	v_and_or_b32 v11, v32, s11, v11
	v_lshlrev_b32_e32 v10, 20, v10
	v_or_b32_e32 v11, v11, v10
	v_mov_b32_e32 v10, v43
.LBB247_661:                            ;   in Loop: Header=BB247_379 Depth=1
	s_or_b64 exec, exec, s[28:29]
.LBB247_662:                            ;   in Loop: Header=BB247_379 Depth=1
	s_or_b64 exec, exec, s[26:27]
.LBB247_663:                            ;   in Loop: Header=BB247_379 Depth=1
	s_or_b64 exec, exec, s[24:25]
	v_or_b32_e32 v33, v37, v35
	v_or_b32_e32 v32, v36, v34
	v_or_b32_e32 v11, v11, v39
	v_or_b32_e32 v10, v10, v38
	v_pk_mul_f32 v[32:33], v[24:25], v[32:33]
	v_pk_mul_f32 v[34:35], v[24:25], v[10:11]
	s_and_saveexec_b64 s[24:25], vcc
; %bb.664:                              ;   in Loop: Header=BB247_379 Depth=1
	v_accvgpr_read_b32 v10, a10
	v_cmp_lt_i32_e64 s[4:5], v10, v62
	v_accvgpr_read_b32 v10, a16
	v_cndmask_b32_e64 v32, 0, v32, s[4:5]
	v_cmp_lt_i32_e64 s[4:5], v10, v62
	v_accvgpr_read_b32 v10, a13
	v_cndmask_b32_e64 v33, 0, v33, s[4:5]
	v_cmp_lt_i32_e64 s[4:5], v10, v62
	v_cndmask_b32_e64 v34, 0, v34, s[4:5]
	v_cmp_lt_i32_e64 s[4:5], v44, v62
	v_cndmask_b32_e64 v35, 0, v35, s[4:5]
; %bb.665:                              ;   in Loop: Header=BB247_379 Depth=1
	s_or_b64 exec, exec, s[24:25]
	flat_load_dword v36, v[30:31] offset:2816
	v_pk_mov_b32 v[48:49], 0, 0
	v_pk_mov_b32 v[38:39], v[48:49], v[48:49] op_sel:[0,1]
	s_waitcnt vmcnt(0) lgkmcnt(0)
	v_cmp_ne_u16_sdwa s[4:5], v36, v43 src0_sel:BYTE_0 src1_sel:DWORD
	s_and_saveexec_b64 s[24:25], s[4:5]
	s_cbranch_execz .LBB247_671
; %bb.666:                              ;   in Loop: Header=BB247_379 Depth=1
	v_bfrev_b32_e32 v38, 1
	v_cmp_ne_u16_sdwa s[4:5], v36, s7 src0_sel:BYTE_0 src1_sel:DWORD
	v_mov_b32_e32 v39, 0
	s_and_saveexec_b64 s[26:27], s[4:5]
	s_cbranch_execz .LBB247_670
; %bb.667:                              ;   in Loop: Header=BB247_379 Depth=1
	v_and_b32_e32 v10, 0x7f, v36
	v_mov_b32_e32 v38, 0x7f800001
	v_cmp_ne_u32_e64 s[4:5], s15, v10
	v_mov_b32_e32 v39, 0
	s_and_saveexec_b64 s[28:29], s[4:5]
	s_cbranch_execz .LBB247_669
; %bb.668:                              ;   in Loop: Header=BB247_379 Depth=1
	v_and_b32_e32 v11, 7, v36
	v_ffbh_u32_e32 v38, v11
	v_min_u32_e32 v50, 32, v38
	v_lshrrev_b32_e32 v37, 3, v10
	v_subrev_u32_e32 v38, 28, v50
	v_lshlrev_b64 v[38:39], v38, v[36:37]
	v_sub_u32_e32 v39, 29, v50
	v_and_b32_e32 v38, 7, v38
	v_cmp_gt_u32_e64 s[4:5], 8, v10
	v_cndmask_b32_e64 v10, v37, v39, s[4:5]
	v_cndmask_b32_e64 v11, v11, v38, s[4:5]
	v_lshlrev_b32_e32 v11, 20, v11
	v_and_b32_sdwa v37, sext(v36), s11 dst_sel:DWORD dst_unused:UNUSED_PAD src0_sel:BYTE_0 src1_sel:DWORD
	v_lshl_add_u32 v10, v10, 23, v46
	v_or3_b32 v42, v37, v10, v11
	v_pk_mov_b32 v[38:39], v[42:43], v[42:43] op_sel:[0,1]
.LBB247_669:                            ;   in Loop: Header=BB247_379 Depth=1
	s_or_b64 exec, exec, s[28:29]
.LBB247_670:                            ;   in Loop: Header=BB247_379 Depth=1
	s_or_b64 exec, exec, s[26:27]
.LBB247_671:                            ;   in Loop: Header=BB247_379 Depth=1
	s_or_b64 exec, exec, s[24:25]
	v_cmp_ne_u16_sdwa s[4:5], v36, v43 src0_sel:BYTE_1 src1_sel:DWORD
	s_and_saveexec_b64 s[24:25], s[4:5]
	s_cbranch_execz .LBB247_677
; %bb.672:                              ;   in Loop: Header=BB247_379 Depth=1
	v_cmp_ne_u16_sdwa s[4:5], v36, s7 src0_sel:BYTE_1 src1_sel:DWORD
	v_pk_mov_b32 v[48:49], s[10:11], s[10:11] op_sel:[0,1]
	s_and_saveexec_b64 s[26:27], s[4:5]
	s_cbranch_execz .LBB247_676
; %bb.673:                              ;   in Loop: Header=BB247_379 Depth=1
	v_and_b32_sdwa v10, v36, s15 dst_sel:DWORD dst_unused:UNUSED_PAD src0_sel:BYTE_1 src1_sel:DWORD
	s_mov_b32 s22, s10
	v_cmp_ne_u32_e64 s[4:5], s15, v10
	v_pk_mov_b32 v[48:49], s[22:23], s[22:23] op_sel:[0,1]
	s_and_saveexec_b64 s[28:29], s[4:5]
	s_cbranch_execz .LBB247_675
; %bb.674:                              ;   in Loop: Header=BB247_379 Depth=1
	v_and_b32_sdwa v42, v36, v45 dst_sel:DWORD dst_unused:UNUSED_PAD src0_sel:BYTE_1 src1_sel:DWORD
	v_ffbh_u32_e32 v37, v42
	v_min_u32_e32 v37, 32, v37
	v_subrev_u32_e32 v48, 28, v37
	v_lshrrev_b32_e32 v11, 3, v10
	v_lshlrev_b64 v[48:49], v48, v[42:43]
	v_sub_u32_e32 v37, 29, v37
	v_cmp_gt_u32_e64 s[4:5], 8, v10
	v_and_b32_e32 v48, 7, v48
	v_cndmask_b32_e64 v10, v11, v37, s[4:5]
	v_cndmask_b32_e64 v11, v42, v48, s[4:5]
	v_lshlrev_b32_e32 v37, 16, v36
	v_lshl_add_u32 v10, v10, 23, v46
	v_and_or_b32 v10, v37, s11, v10
	v_lshlrev_b32_e32 v11, 20, v11
	v_or_b32_e32 v49, v10, v11
	v_mov_b32_e32 v48, v43
.LBB247_675:                            ;   in Loop: Header=BB247_379 Depth=1
	s_or_b64 exec, exec, s[28:29]
.LBB247_676:                            ;   in Loop: Header=BB247_379 Depth=1
	s_or_b64 exec, exec, s[26:27]
.LBB247_677:                            ;   in Loop: Header=BB247_379 Depth=1
	s_or_b64 exec, exec, s[24:25]
	v_lshrrev_b32_e32 v52, 16, v36
	v_pk_mov_b32 v[10:11], 0, 0
	v_cmp_ne_u16_sdwa s[4:5], v52, v43 src0_sel:BYTE_0 src1_sel:DWORD
	v_pk_mov_b32 v[50:51], v[10:11], v[10:11] op_sel:[0,1]
	s_and_saveexec_b64 s[24:25], s[4:5]
	s_cbranch_execz .LBB247_683
; %bb.678:                              ;   in Loop: Header=BB247_379 Depth=1
	v_bfrev_b32_e32 v50, 1
	v_cmp_ne_u16_sdwa s[4:5], v52, s7 src0_sel:BYTE_0 src1_sel:DWORD
	v_mov_b32_e32 v51, 0
	s_and_saveexec_b64 s[26:27], s[4:5]
	s_cbranch_execz .LBB247_682
; %bb.679:                              ;   in Loop: Header=BB247_379 Depth=1
	v_bfe_u32 v37, v36, 16, 7
	v_mov_b32_e32 v50, 0x7f800001
	v_cmp_ne_u32_e64 s[4:5], s15, v37
	v_mov_b32_e32 v51, 0
	s_and_saveexec_b64 s[28:29], s[4:5]
	s_cbranch_execz .LBB247_681
; %bb.680:                              ;   in Loop: Header=BB247_379 Depth=1
	v_and_b32_e32 v53, 7, v52
	v_ffbh_u32_e32 v50, v53
	v_min_u32_e32 v55, 32, v50
	v_subrev_u32_e32 v50, 28, v55
	v_lshlrev_b64 v[50:51], v50, v[52:53]
	v_lshrrev_b32_e32 v54, 3, v37
	v_sub_u32_e32 v51, 29, v55
	v_and_b32_e32 v50, 7, v50
	v_cmp_gt_u32_e64 s[4:5], 8, v37
	v_cndmask_b32_e64 v37, v54, v51, s[4:5]
	v_cndmask_b32_e64 v50, v53, v50, s[4:5]
	v_lshlrev_b32_e32 v50, 20, v50
	v_and_b32_sdwa v51, sext(v52), s11 dst_sel:DWORD dst_unused:UNUSED_PAD src0_sel:BYTE_0 src1_sel:DWORD
	v_lshl_add_u32 v37, v37, 23, v46
	v_or3_b32 v42, v51, v37, v50
	v_pk_mov_b32 v[50:51], v[42:43], v[42:43] op_sel:[0,1]
.LBB247_681:                            ;   in Loop: Header=BB247_379 Depth=1
	s_or_b64 exec, exec, s[28:29]
.LBB247_682:                            ;   in Loop: Header=BB247_379 Depth=1
	s_or_b64 exec, exec, s[26:27]
.LBB247_683:                            ;   in Loop: Header=BB247_379 Depth=1
	s_or_b64 exec, exec, s[24:25]
	v_cmp_lt_u32_e64 s[4:5], s30, v36
	s_and_saveexec_b64 s[24:25], s[4:5]
	s_cbranch_execz .LBB247_689
; %bb.684:                              ;   in Loop: Header=BB247_379 Depth=1
	v_cmp_ne_u32_sdwa s[4:5], v36, s7 src0_sel:BYTE_3 src1_sel:DWORD
	v_pk_mov_b32 v[10:11], s[10:11], s[10:11] op_sel:[0,1]
	s_and_saveexec_b64 s[26:27], s[4:5]
	s_cbranch_execz .LBB247_688
; %bb.685:                              ;   in Loop: Header=BB247_379 Depth=1
	v_bfe_u32 v37, v36, 24, 7
	s_mov_b32 s22, s10
	v_cmp_ne_u32_e64 s[4:5], s15, v37
	v_pk_mov_b32 v[10:11], s[22:23], s[22:23] op_sel:[0,1]
	s_and_saveexec_b64 s[28:29], s[4:5]
	s_cbranch_execz .LBB247_687
; %bb.686:                              ;   in Loop: Header=BB247_379 Depth=1
	v_and_b32_sdwa v42, v36, v45 dst_sel:DWORD dst_unused:UNUSED_PAD src0_sel:BYTE_3 src1_sel:DWORD
	v_ffbh_u32_e32 v10, v42
	v_min_u32_e32 v53, 32, v10
	v_subrev_u32_e32 v10, 28, v53
	v_lshlrev_b64 v[10:11], v10, v[42:43]
	v_lshrrev_b32_e32 v52, 3, v37
	v_sub_u32_e32 v11, 29, v53
	v_cmp_gt_u32_e64 s[4:5], 8, v37
	v_and_b32_e32 v10, 7, v10
	v_cndmask_b32_e64 v11, v52, v11, s[4:5]
	v_mov_b32_e32 v37, 24
	v_cndmask_b32_e64 v10, v42, v10, s[4:5]
	v_lshlrev_b32_sdwa v36, v37, v36 dst_sel:DWORD dst_unused:UNUSED_PAD src0_sel:DWORD src1_sel:BYTE_3
	v_lshl_add_u32 v11, v11, 23, v46
	v_and_or_b32 v11, v36, s11, v11
	v_lshlrev_b32_e32 v10, 20, v10
	v_or_b32_e32 v11, v11, v10
	v_mov_b32_e32 v10, v43
.LBB247_687:                            ;   in Loop: Header=BB247_379 Depth=1
	s_or_b64 exec, exec, s[28:29]
.LBB247_688:                            ;   in Loop: Header=BB247_379 Depth=1
	s_or_b64 exec, exec, s[26:27]
.LBB247_689:                            ;   in Loop: Header=BB247_379 Depth=1
	s_or_b64 exec, exec, s[24:25]
	v_or_b32_e32 v37, v49, v39
	v_or_b32_e32 v36, v48, v38
	;; [unrolled: 1-line block ×4, first 2 shown]
	v_pk_mul_f32 v[36:37], v[24:25], v[36:37]
	v_pk_mul_f32 v[38:39], v[24:25], v[10:11]
	s_and_saveexec_b64 s[24:25], vcc
; %bb.690:                              ;   in Loop: Header=BB247_379 Depth=1
	v_accvgpr_read_b32 v10, a10
	v_cmp_lt_i32_e64 s[4:5], v10, v62
	v_accvgpr_read_b32 v10, a16
	v_cndmask_b32_e64 v36, 0, v36, s[4:5]
	v_cmp_lt_i32_e64 s[4:5], v10, v62
	v_accvgpr_read_b32 v10, a13
	v_cndmask_b32_e64 v37, 0, v37, s[4:5]
	v_cmp_lt_i32_e64 s[4:5], v10, v62
	v_cndmask_b32_e64 v38, 0, v38, s[4:5]
	v_cmp_lt_i32_e64 s[4:5], v44, v62
	v_cndmask_b32_e64 v39, 0, v39, s[4:5]
; %bb.691:                              ;   in Loop: Header=BB247_379 Depth=1
	s_or_b64 exec, exec, s[24:25]
	flat_load_dword v48, v[30:31] offset:3072
	v_pk_mov_b32 v[50:51], 0, 0
	v_pk_mov_b32 v[52:53], v[50:51], v[50:51] op_sel:[0,1]
	s_waitcnt vmcnt(0) lgkmcnt(0)
	v_cmp_ne_u16_sdwa s[4:5], v48, v43 src0_sel:BYTE_0 src1_sel:DWORD
	s_and_saveexec_b64 s[24:25], s[4:5]
	s_cbranch_execz .LBB247_697
; %bb.692:                              ;   in Loop: Header=BB247_379 Depth=1
	v_bfrev_b32_e32 v52, 1
	v_cmp_ne_u16_sdwa s[4:5], v48, s7 src0_sel:BYTE_0 src1_sel:DWORD
	v_mov_b32_e32 v53, 0
	s_and_saveexec_b64 s[26:27], s[4:5]
	s_cbranch_execz .LBB247_696
; %bb.693:                              ;   in Loop: Header=BB247_379 Depth=1
	v_and_b32_e32 v10, 0x7f, v48
	v_mov_b32_e32 v52, 0x7f800001
	v_cmp_ne_u32_e64 s[4:5], s15, v10
	v_mov_b32_e32 v53, 0
	s_and_saveexec_b64 s[28:29], s[4:5]
	s_cbranch_execz .LBB247_695
; %bb.694:                              ;   in Loop: Header=BB247_379 Depth=1
	v_and_b32_e32 v11, 7, v48
	v_ffbh_u32_e32 v52, v11
	v_min_u32_e32 v54, 32, v52
	v_lshrrev_b32_e32 v49, 3, v10
	v_subrev_u32_e32 v52, 28, v54
	v_lshlrev_b64 v[52:53], v52, v[48:49]
	v_sub_u32_e32 v53, 29, v54
	v_and_b32_e32 v52, 7, v52
	v_cmp_gt_u32_e64 s[4:5], 8, v10
	v_cndmask_b32_e64 v10, v49, v53, s[4:5]
	v_cndmask_b32_e64 v11, v11, v52, s[4:5]
	v_lshlrev_b32_e32 v11, 20, v11
	v_and_b32_sdwa v49, sext(v48), s11 dst_sel:DWORD dst_unused:UNUSED_PAD src0_sel:BYTE_0 src1_sel:DWORD
	v_lshl_add_u32 v10, v10, 23, v46
	v_or3_b32 v42, v49, v10, v11
	v_pk_mov_b32 v[52:53], v[42:43], v[42:43] op_sel:[0,1]
.LBB247_695:                            ;   in Loop: Header=BB247_379 Depth=1
	s_or_b64 exec, exec, s[28:29]
.LBB247_696:                            ;   in Loop: Header=BB247_379 Depth=1
	s_or_b64 exec, exec, s[26:27]
.LBB247_697:                            ;   in Loop: Header=BB247_379 Depth=1
	s_or_b64 exec, exec, s[24:25]
	v_cmp_ne_u16_sdwa s[4:5], v48, v43 src0_sel:BYTE_1 src1_sel:DWORD
	s_and_saveexec_b64 s[24:25], s[4:5]
	s_cbranch_execz .LBB247_703
; %bb.698:                              ;   in Loop: Header=BB247_379 Depth=1
	v_cmp_ne_u16_sdwa s[4:5], v48, s7 src0_sel:BYTE_1 src1_sel:DWORD
	v_pk_mov_b32 v[50:51], s[10:11], s[10:11] op_sel:[0,1]
	s_and_saveexec_b64 s[26:27], s[4:5]
	s_cbranch_execz .LBB247_702
; %bb.699:                              ;   in Loop: Header=BB247_379 Depth=1
	v_and_b32_sdwa v10, v48, s15 dst_sel:DWORD dst_unused:UNUSED_PAD src0_sel:BYTE_1 src1_sel:DWORD
	s_mov_b32 s22, s10
	v_cmp_ne_u32_e64 s[4:5], s15, v10
	v_pk_mov_b32 v[50:51], s[22:23], s[22:23] op_sel:[0,1]
	s_and_saveexec_b64 s[28:29], s[4:5]
	s_cbranch_execz .LBB247_701
; %bb.700:                              ;   in Loop: Header=BB247_379 Depth=1
	v_and_b32_sdwa v42, v48, v45 dst_sel:DWORD dst_unused:UNUSED_PAD src0_sel:BYTE_1 src1_sel:DWORD
	v_ffbh_u32_e32 v49, v42
	v_min_u32_e32 v49, 32, v49
	v_subrev_u32_e32 v50, 28, v49
	v_lshrrev_b32_e32 v11, 3, v10
	v_lshlrev_b64 v[50:51], v50, v[42:43]
	v_sub_u32_e32 v49, 29, v49
	v_cmp_gt_u32_e64 s[4:5], 8, v10
	v_and_b32_e32 v50, 7, v50
	v_cndmask_b32_e64 v10, v11, v49, s[4:5]
	v_cndmask_b32_e64 v11, v42, v50, s[4:5]
	v_lshlrev_b32_e32 v49, 16, v48
	v_lshl_add_u32 v10, v10, 23, v46
	v_and_or_b32 v10, v49, s11, v10
	v_lshlrev_b32_e32 v11, 20, v11
	v_or_b32_e32 v51, v10, v11
	v_mov_b32_e32 v50, v43
.LBB247_701:                            ;   in Loop: Header=BB247_379 Depth=1
	s_or_b64 exec, exec, s[28:29]
.LBB247_702:                            ;   in Loop: Header=BB247_379 Depth=1
	s_or_b64 exec, exec, s[26:27]
.LBB247_703:                            ;   in Loop: Header=BB247_379 Depth=1
	s_or_b64 exec, exec, s[24:25]
	v_lshrrev_b32_e32 v40, 16, v48
	v_pk_mov_b32 v[10:11], 0, 0
	v_cmp_ne_u16_sdwa s[4:5], v40, v43 src0_sel:BYTE_0 src1_sel:DWORD
	v_pk_mov_b32 v[54:55], v[10:11], v[10:11] op_sel:[0,1]
	s_and_saveexec_b64 s[24:25], s[4:5]
	s_cbranch_execz .LBB247_709
; %bb.704:                              ;   in Loop: Header=BB247_379 Depth=1
	v_bfrev_b32_e32 v54, 1
	v_cmp_ne_u16_sdwa s[4:5], v40, s7 src0_sel:BYTE_0 src1_sel:DWORD
	v_mov_b32_e32 v55, 0
	s_and_saveexec_b64 s[26:27], s[4:5]
	s_cbranch_execz .LBB247_708
; %bb.705:                              ;   in Loop: Header=BB247_379 Depth=1
	v_bfe_u32 v49, v48, 16, 7
	v_mov_b32_e32 v54, 0x7f800001
	v_cmp_ne_u32_e64 s[4:5], s15, v49
	v_mov_b32_e32 v55, 0
	s_and_saveexec_b64 s[28:29], s[4:5]
	s_cbranch_execz .LBB247_707
; %bb.706:                              ;   in Loop: Header=BB247_379 Depth=1
	v_and_b32_e32 v41, 7, v40
	v_ffbh_u32_e32 v54, v41
	v_min_u32_e32 v45, 32, v54
	v_subrev_u32_e32 v54, 28, v45
	v_lshlrev_b64 v[54:55], v54, v[40:41]
	v_lshrrev_b32_e32 v42, 3, v49
	v_sub_u32_e32 v55, 29, v45
	v_and_b32_e32 v54, 7, v54
	v_cmp_gt_u32_e64 s[4:5], 8, v49
	v_cndmask_b32_e64 v49, v42, v55, s[4:5]
	v_cndmask_b32_e64 v54, v41, v54, s[4:5]
	v_lshlrev_b32_e32 v54, 20, v54
	v_and_b32_sdwa v55, sext(v40), s11 dst_sel:DWORD dst_unused:UNUSED_PAD src0_sel:BYTE_0 src1_sel:DWORD
	v_lshl_add_u32 v49, v49, 23, v46
	v_or3_b32 v42, v55, v49, v54
	v_mov_b32_e32 v45, 7
	v_pk_mov_b32 v[54:55], v[42:43], v[42:43] op_sel:[0,1]
.LBB247_707:                            ;   in Loop: Header=BB247_379 Depth=1
	s_or_b64 exec, exec, s[28:29]
.LBB247_708:                            ;   in Loop: Header=BB247_379 Depth=1
	s_or_b64 exec, exec, s[26:27]
.LBB247_709:                            ;   in Loop: Header=BB247_379 Depth=1
	s_or_b64 exec, exec, s[24:25]
	v_cmp_lt_u32_e64 s[4:5], s30, v48
	s_and_saveexec_b64 s[24:25], s[4:5]
	s_cbranch_execz .LBB247_715
; %bb.710:                              ;   in Loop: Header=BB247_379 Depth=1
	v_cmp_ne_u32_sdwa s[4:5], v48, s7 src0_sel:BYTE_3 src1_sel:DWORD
	v_pk_mov_b32 v[10:11], s[10:11], s[10:11] op_sel:[0,1]
	s_and_saveexec_b64 s[26:27], s[4:5]
	s_cbranch_execz .LBB247_714
; %bb.711:                              ;   in Loop: Header=BB247_379 Depth=1
	v_bfe_u32 v49, v48, 24, 7
	s_mov_b32 s22, s10
	v_cmp_ne_u32_e64 s[4:5], s15, v49
	v_pk_mov_b32 v[10:11], s[22:23], s[22:23] op_sel:[0,1]
	s_and_saveexec_b64 s[28:29], s[4:5]
	s_cbranch_execz .LBB247_713
; %bb.712:                              ;   in Loop: Header=BB247_379 Depth=1
	v_and_b32_sdwa v42, v48, v45 dst_sel:DWORD dst_unused:UNUSED_PAD src0_sel:BYTE_3 src1_sel:DWORD
	v_ffbh_u32_e32 v10, v42
	v_min_u32_e32 v41, 32, v10
	v_subrev_u32_e32 v10, 28, v41
	v_lshlrev_b64 v[10:11], v10, v[42:43]
	v_lshrrev_b32_e32 v40, 3, v49
	v_sub_u32_e32 v11, 29, v41
	v_cmp_gt_u32_e64 s[4:5], 8, v49
	v_and_b32_e32 v10, 7, v10
	v_cndmask_b32_e64 v11, v40, v11, s[4:5]
	v_mov_b32_e32 v49, 24
	v_cndmask_b32_e64 v10, v42, v10, s[4:5]
	v_lshlrev_b32_sdwa v48, v49, v48 dst_sel:DWORD dst_unused:UNUSED_PAD src0_sel:DWORD src1_sel:BYTE_3
	v_lshl_add_u32 v11, v11, 23, v46
	v_and_or_b32 v11, v48, s11, v11
	v_lshlrev_b32_e32 v10, 20, v10
	v_or_b32_e32 v11, v11, v10
	v_mov_b32_e32 v10, v43
.LBB247_713:                            ;   in Loop: Header=BB247_379 Depth=1
	s_or_b64 exec, exec, s[28:29]
.LBB247_714:                            ;   in Loop: Header=BB247_379 Depth=1
	s_or_b64 exec, exec, s[26:27]
.LBB247_715:                            ;   in Loop: Header=BB247_379 Depth=1
	s_or_b64 exec, exec, s[24:25]
	v_or_b32_e32 v49, v51, v53
	v_or_b32_e32 v48, v50, v52
	;; [unrolled: 1-line block ×4, first 2 shown]
	v_pk_mul_f32 v[48:49], v[24:25], v[48:49]
	v_pk_mul_f32 v[50:51], v[24:25], v[10:11]
	s_and_saveexec_b64 s[24:25], vcc
; %bb.716:                              ;   in Loop: Header=BB247_379 Depth=1
	v_accvgpr_read_b32 v10, a10
	v_cmp_lt_i32_e64 s[4:5], v10, v62
	v_accvgpr_read_b32 v10, a16
	v_cndmask_b32_e64 v48, 0, v48, s[4:5]
	v_cmp_lt_i32_e64 s[4:5], v10, v62
	v_accvgpr_read_b32 v10, a13
	v_cndmask_b32_e64 v49, 0, v49, s[4:5]
	v_cmp_lt_i32_e64 s[4:5], v10, v62
	v_cndmask_b32_e64 v50, 0, v50, s[4:5]
	v_cmp_lt_i32_e64 s[4:5], v44, v62
	v_cndmask_b32_e64 v51, 0, v51, s[4:5]
; %bb.717:                              ;   in Loop: Header=BB247_379 Depth=1
	s_or_b64 exec, exec, s[24:25]
	flat_load_dword v30, v[30:31] offset:3328
	v_pk_mov_b32 v[52:53], 0, 0
	v_pk_mov_b32 v[54:55], v[52:53], v[52:53] op_sel:[0,1]
	s_waitcnt vmcnt(0) lgkmcnt(0)
	v_cmp_ne_u16_sdwa s[4:5], v30, v43 src0_sel:BYTE_0 src1_sel:DWORD
	s_and_saveexec_b64 s[24:25], s[4:5]
	s_cbranch_execz .LBB247_723
; %bb.718:                              ;   in Loop: Header=BB247_379 Depth=1
	v_bfrev_b32_e32 v54, 1
	v_cmp_ne_u16_sdwa s[4:5], v30, s7 src0_sel:BYTE_0 src1_sel:DWORD
	v_mov_b32_e32 v55, 0
	s_and_saveexec_b64 s[26:27], s[4:5]
	s_cbranch_execz .LBB247_722
; %bb.719:                              ;   in Loop: Header=BB247_379 Depth=1
	v_and_b32_e32 v10, 0x7f, v30
	v_mov_b32_e32 v54, 0x7f800001
	v_cmp_ne_u32_e64 s[4:5], s15, v10
	v_mov_b32_e32 v55, 0
	s_and_saveexec_b64 s[28:29], s[4:5]
	s_cbranch_execz .LBB247_721
; %bb.720:                              ;   in Loop: Header=BB247_379 Depth=1
	v_and_b32_e32 v11, 7, v30
	v_ffbh_u32_e32 v54, v11
	v_min_u32_e32 v40, 32, v54
	v_lshrrev_b32_e32 v31, 3, v10
	v_subrev_u32_e32 v54, 28, v40
	v_lshlrev_b64 v[54:55], v54, v[30:31]
	v_sub_u32_e32 v55, 29, v40
	v_and_b32_e32 v54, 7, v54
	v_cmp_gt_u32_e64 s[4:5], 8, v10
	v_cndmask_b32_e64 v10, v31, v55, s[4:5]
	v_cndmask_b32_e64 v11, v11, v54, s[4:5]
	v_lshlrev_b32_e32 v11, 20, v11
	v_and_b32_sdwa v31, sext(v30), s11 dst_sel:DWORD dst_unused:UNUSED_PAD src0_sel:BYTE_0 src1_sel:DWORD
	v_lshl_add_u32 v10, v10, 23, v46
	v_or3_b32 v42, v31, v10, v11
	v_pk_mov_b32 v[54:55], v[42:43], v[42:43] op_sel:[0,1]
.LBB247_721:                            ;   in Loop: Header=BB247_379 Depth=1
	s_or_b64 exec, exec, s[28:29]
.LBB247_722:                            ;   in Loop: Header=BB247_379 Depth=1
	s_or_b64 exec, exec, s[26:27]
.LBB247_723:                            ;   in Loop: Header=BB247_379 Depth=1
	s_or_b64 exec, exec, s[24:25]
	v_cmp_ne_u16_sdwa s[4:5], v30, v43 src0_sel:BYTE_1 src1_sel:DWORD
	s_and_saveexec_b64 s[24:25], s[4:5]
	s_cbranch_execz .LBB247_729
; %bb.724:                              ;   in Loop: Header=BB247_379 Depth=1
	v_cmp_ne_u16_sdwa s[4:5], v30, s7 src0_sel:BYTE_1 src1_sel:DWORD
	v_pk_mov_b32 v[52:53], s[10:11], s[10:11] op_sel:[0,1]
	s_and_saveexec_b64 s[26:27], s[4:5]
	s_cbranch_execz .LBB247_728
; %bb.725:                              ;   in Loop: Header=BB247_379 Depth=1
	v_and_b32_sdwa v10, v30, s15 dst_sel:DWORD dst_unused:UNUSED_PAD src0_sel:BYTE_1 src1_sel:DWORD
	s_mov_b32 s22, s10
	v_cmp_ne_u32_e64 s[4:5], s15, v10
	v_pk_mov_b32 v[52:53], s[22:23], s[22:23] op_sel:[0,1]
	s_and_saveexec_b64 s[28:29], s[4:5]
	s_cbranch_execz .LBB247_727
; %bb.726:                              ;   in Loop: Header=BB247_379 Depth=1
	v_and_b32_sdwa v42, v30, v45 dst_sel:DWORD dst_unused:UNUSED_PAD src0_sel:BYTE_1 src1_sel:DWORD
	v_ffbh_u32_e32 v31, v42
	v_min_u32_e32 v31, 32, v31
	v_subrev_u32_e32 v52, 28, v31
	v_lshrrev_b32_e32 v11, 3, v10
	v_lshlrev_b64 v[52:53], v52, v[42:43]
	v_sub_u32_e32 v31, 29, v31
	v_cmp_gt_u32_e64 s[4:5], 8, v10
	v_and_b32_e32 v52, 7, v52
	v_cndmask_b32_e64 v10, v11, v31, s[4:5]
	v_cndmask_b32_e64 v11, v42, v52, s[4:5]
	v_lshlrev_b32_e32 v31, 16, v30
	v_lshl_add_u32 v10, v10, 23, v46
	v_and_or_b32 v10, v31, s11, v10
	v_lshlrev_b32_e32 v11, 20, v11
	v_or_b32_e32 v53, v10, v11
	v_mov_b32_e32 v52, v43
.LBB247_727:                            ;   in Loop: Header=BB247_379 Depth=1
	s_or_b64 exec, exec, s[28:29]
.LBB247_728:                            ;   in Loop: Header=BB247_379 Depth=1
	s_or_b64 exec, exec, s[26:27]
.LBB247_729:                            ;   in Loop: Header=BB247_379 Depth=1
	s_or_b64 exec, exec, s[24:25]
	v_lshrrev_b32_e32 v42, 16, v30
	v_pk_mov_b32 v[10:11], 0, 0
	v_cmp_ne_u16_sdwa s[4:5], v42, v43 src0_sel:BYTE_0 src1_sel:DWORD
	v_pk_mov_b32 v[40:41], v[10:11], v[10:11] op_sel:[0,1]
	s_and_saveexec_b64 s[24:25], s[4:5]
	s_cbranch_execz .LBB247_735
; %bb.730:                              ;   in Loop: Header=BB247_379 Depth=1
	v_bfrev_b32_e32 v40, 1
	v_cmp_ne_u16_sdwa s[4:5], v42, s7 src0_sel:BYTE_0 src1_sel:DWORD
	v_mov_b32_e32 v41, 0
	s_and_saveexec_b64 s[26:27], s[4:5]
	s_cbranch_execz .LBB247_734
; %bb.731:                              ;   in Loop: Header=BB247_379 Depth=1
	v_bfe_u32 v31, v30, 16, 7
	v_mov_b32_e32 v40, 0x7f800001
	v_cmp_ne_u32_e64 s[4:5], s15, v31
	v_mov_b32_e32 v41, 0
	s_and_saveexec_b64 s[28:29], s[4:5]
	s_cbranch_execz .LBB247_733
; %bb.732:                              ;   in Loop: Header=BB247_379 Depth=1
	v_and_b32_e32 v45, 7, v42
	v_ffbh_u32_e32 v40, v45
	v_accvgpr_write_b32 a5, v47
	v_min_u32_e32 v47, 32, v40
	v_subrev_u32_e32 v40, 28, v47
	v_lshlrev_b64 v[40:41], v40, v[42:43]
	v_lshrrev_b32_e32 v46, 3, v31
	v_sub_u32_e32 v41, 29, v47
	v_and_b32_e32 v40, 7, v40
	v_cmp_gt_u32_e64 s[4:5], 8, v31
	v_cndmask_b32_e64 v31, v46, v41, s[4:5]
	v_bfrev_b32_e32 v46, 60
	v_cndmask_b32_e64 v40, v45, v40, s[4:5]
	v_lshlrev_b32_e32 v40, 20, v40
	v_and_b32_sdwa v41, sext(v42), s11 dst_sel:DWORD dst_unused:UNUSED_PAD src0_sel:BYTE_0 src1_sel:DWORD
	v_lshl_add_u32 v31, v31, 23, v46
	v_or3_b32 v42, v41, v31, v40
	v_accvgpr_read_b32 v47, a5
	v_mov_b32_e32 v45, 7
	v_pk_mov_b32 v[40:41], v[42:43], v[42:43] op_sel:[0,1]
.LBB247_733:                            ;   in Loop: Header=BB247_379 Depth=1
	s_or_b64 exec, exec, s[28:29]
.LBB247_734:                            ;   in Loop: Header=BB247_379 Depth=1
	s_or_b64 exec, exec, s[26:27]
.LBB247_735:                            ;   in Loop: Header=BB247_379 Depth=1
	s_or_b64 exec, exec, s[24:25]
	v_cmp_lt_u32_e64 s[4:5], s30, v30
	s_and_saveexec_b64 s[24:25], s[4:5]
	s_cbranch_execz .LBB247_741
; %bb.736:                              ;   in Loop: Header=BB247_379 Depth=1
	v_cmp_ne_u32_sdwa s[4:5], v30, s7 src0_sel:BYTE_3 src1_sel:DWORD
	v_pk_mov_b32 v[10:11], s[10:11], s[10:11] op_sel:[0,1]
	s_and_saveexec_b64 s[26:27], s[4:5]
	s_cbranch_execz .LBB247_740
; %bb.737:                              ;   in Loop: Header=BB247_379 Depth=1
	v_bfe_u32 v31, v30, 24, 7
	s_mov_b32 s22, s10
	v_cmp_ne_u32_e64 s[4:5], s15, v31
	v_pk_mov_b32 v[10:11], s[22:23], s[22:23] op_sel:[0,1]
	s_and_saveexec_b64 s[28:29], s[4:5]
	s_cbranch_execz .LBB247_739
; %bb.738:                              ;   in Loop: Header=BB247_379 Depth=1
	v_and_b32_sdwa v42, v30, v45 dst_sel:DWORD dst_unused:UNUSED_PAD src0_sel:BYTE_3 src1_sel:DWORD
	v_ffbh_u32_e32 v10, v42
	v_min_u32_e32 v46, 32, v10
	v_subrev_u32_e32 v10, 28, v46
	v_lshlrev_b64 v[10:11], v10, v[42:43]
	v_lshrrev_b32_e32 v45, 3, v31
	v_sub_u32_e32 v11, 29, v46
	v_cmp_gt_u32_e64 s[4:5], 8, v31
	v_bfrev_b32_e32 v46, 60
	v_and_b32_e32 v10, 7, v10
	v_cndmask_b32_e64 v11, v45, v11, s[4:5]
	v_mov_b32_e32 v31, 24
	v_cndmask_b32_e64 v10, v42, v10, s[4:5]
	v_lshlrev_b32_sdwa v30, v31, v30 dst_sel:DWORD dst_unused:UNUSED_PAD src0_sel:DWORD src1_sel:BYTE_3
	v_lshl_add_u32 v11, v11, 23, v46
	v_and_or_b32 v11, v30, s11, v11
	v_lshlrev_b32_e32 v10, 20, v10
	v_mov_b32_e32 v45, 7
	v_or_b32_e32 v11, v11, v10
	v_mov_b32_e32 v10, v43
.LBB247_739:                            ;   in Loop: Header=BB247_379 Depth=1
	s_or_b64 exec, exec, s[28:29]
.LBB247_740:                            ;   in Loop: Header=BB247_379 Depth=1
	s_or_b64 exec, exec, s[26:27]
.LBB247_741:                            ;   in Loop: Header=BB247_379 Depth=1
	s_or_b64 exec, exec, s[24:25]
	v_or_b32_e32 v31, v53, v55
	v_or_b32_e32 v30, v52, v54
	;; [unrolled: 1-line block ×4, first 2 shown]
	v_pk_mul_f32 v[30:31], v[24:25], v[30:31]
	v_pk_mul_f32 v[52:53], v[24:25], v[10:11]
	s_and_saveexec_b64 s[4:5], vcc
	s_cbranch_execz .LBB247_378
; %bb.742:                              ;   in Loop: Header=BB247_379 Depth=1
	v_accvgpr_read_b32 v10, a10
	v_cmp_lt_i32_e32 vcc, v10, v62
	v_accvgpr_read_b32 v10, a16
	v_cndmask_b32_e32 v30, 0, v30, vcc
	v_cmp_lt_i32_e32 vcc, v10, v62
	v_accvgpr_read_b32 v10, a13
	v_cndmask_b32_e32 v31, 0, v31, vcc
	v_cmp_lt_i32_e32 vcc, v10, v62
	v_cndmask_b32_e32 v52, 0, v52, vcc
	v_cmp_lt_i32_e32 vcc, v44, v62
	v_cndmask_b32_e32 v53, 0, v53, vcc
	s_branch .LBB247_378
.LBB247_743:
	s_or_b64 exec, exec, s[12:13]
	v_accvgpr_read_b32 v28, a0
	v_accvgpr_read_b32 v30, a1
	;; [unrolled: 1-line block ×5, first 2 shown]
.LBB247_744:
	s_or_b64 exec, exec, s[8:9]
	ds_bpermute_b32 v0, v24, v22
	ds_bpermute_b32 v1, v24, v23
	;; [unrolled: 1-line block ×6, first 2 shown]
	s_waitcnt lgkmcnt(0)
	v_pk_add_f32 v[0:1], v[22:23], v[0:1]
	ds_bpermute_b32 v4, v30, v0
	v_pk_add_f32 v[2:3], v[20:21], v[2:3]
	ds_bpermute_b32 v5, v30, v1
	ds_bpermute_b32 v14, v30, v2
	;; [unrolled: 1-line block ×3, first 2 shown]
	v_pk_add_f32 v[10:11], v[18:19], v[10:11]
	ds_bpermute_b32 v18, v30, v10
	s_waitcnt lgkmcnt(3)
	v_pk_add_f32 v[0:1], v[0:1], v[4:5]
	ds_bpermute_b32 v4, v31, v0
	s_waitcnt lgkmcnt(2)
	v_pk_add_f32 v[14:15], v[2:3], v[14:15]
	ds_bpermute_b32 v5, v31, v1
	ds_bpermute_b32 v20, v31, v14
	;; [unrolled: 1-line block ×4, first 2 shown]
	s_waitcnt lgkmcnt(0)
	v_pk_add_f32 v[2:3], v[0:1], v[4:5]
	s_barrier
	v_pk_add_f32 v[0:1], v[14:15], v[20:21]
	ds_bpermute_b32 v14, v24, v16
	ds_bpermute_b32 v15, v24, v17
	v_pk_add_f32 v[4:5], v[10:11], v[18:19]
	ds_bpermute_b32 v18, v24, v12
	ds_bpermute_b32 v19, v24, v13
	;; [unrolled: 1-line block ×3, first 2 shown]
	s_waitcnt lgkmcnt(3)
	v_pk_add_f32 v[14:15], v[16:17], v[14:15]
	ds_bpermute_b32 v16, v30, v14
	ds_bpermute_b32 v17, v30, v15
	s_waitcnt lgkmcnt(3)
	v_pk_add_f32 v[12:13], v[12:13], v[18:19]
	ds_bpermute_b32 v21, v24, v9
	ds_bpermute_b32 v18, v30, v12
	;; [unrolled: 1-line block ×3, first 2 shown]
	s_waitcnt lgkmcnt(3)
	v_pk_add_f32 v[14:15], v[14:15], v[16:17]
	ds_bpermute_b32 v16, v31, v14
	s_waitcnt lgkmcnt(3)
	v_pk_add_f32 v[8:9], v[8:9], v[20:21]
	ds_bpermute_b32 v17, v31, v15
	;; [unrolled: 3-line block ×3, first 2 shown]
	ds_bpermute_b32 v19, v30, v9
	s_waitcnt lgkmcnt(0)
	ds_bpermute_b32 v22, v24, v6
	ds_bpermute_b32 v23, v24, v7
	;; [unrolled: 1-line block ×3, first 2 shown]
	v_pk_add_f32 v[18:19], v[8:9], v[18:19]
	v_pk_add_f32 v[8:9], v[14:15], v[16:17]
	buffer_load_dword v17, off, s[0:3], s32 offset:476 ; 4-byte Folded Reload
	s_waitcnt lgkmcnt(1)
	v_pk_add_f32 v[22:23], v[6:7], v[22:23]
	ds_bpermute_b32 v21, v31, v13
	ds_bpermute_b32 v26, v30, v22
	;; [unrolled: 1-line block ×7, first 2 shown]
	s_waitcnt lgkmcnt(6)
	v_pk_add_f32 v[6:7], v[12:13], v[20:21]
	s_waitcnt lgkmcnt(4)
	v_pk_add_f32 v[12:13], v[22:23], v[26:27]
	ds_bpermute_b32 v14, v31, v12
	ds_bpermute_b32 v15, v31, v13
	s_waitcnt lgkmcnt(4)
	v_pk_add_f32 v[10:11], v[4:5], v[10:11]
	s_waitcnt lgkmcnt(2)
	v_pk_add_f32 v[4:5], v[18:19], v[24:25]
	s_waitcnt vmcnt(0)
	v_and_b32_e32 v16, 0x3c7, v17
	v_cmp_ne_u32_e32 vcc, 64, v16
	s_and_saveexec_b64 s[4:5], vcc
	s_xor_b64 s[4:5], exec, s[4:5]
; %bb.745:
                                        ; implicit-def: $vgpr28
; %bb.746:
	s_or_saveexec_b64 s[4:5], s[4:5]
	s_waitcnt lgkmcnt(0)
	v_pk_add_f32 v[12:13], v[12:13], v[14:15]
	s_xor_b64 exec, exec, s[4:5]
	s_cbranch_execz .LBB247_748
; %bb.747:
	s_ashr_i32 s19, s18, 31
	s_lshl_b64 s[8:9], s[18:19], 2
	s_getpc_b64 s[10:11]
	s_add_u32 s10, s10, llvm.amdgcn.dynlds.offset.table@rel32@lo+4
	s_addc_u32 s11, s11, llvm.amdgcn.dynlds.offset.table@rel32@hi+12
	s_add_u32 s8, s8, s10
	s_addc_u32 s9, s9, s11
	s_load_dword s7, s[8:9], 0x0
	v_lshrrev_b32_e32 v14, 1, v28
	s_waitcnt lgkmcnt(0)
	v_add_u32_e32 v14, s7, v14
	ds_write2_b32 v14, v2, v3 offset1:8
	ds_write2_b32 v14, v0, v1 offset0:16 offset1:24
	ds_write2_b32 v14, v10, v11 offset0:32 offset1:40
	;; [unrolled: 1-line block ×6, first 2 shown]
.LBB247_748:
	s_or_b64 exec, exec, s[4:5]
	v_cmp_gt_u32_e32 vcc, 64, v17
	s_waitcnt lgkmcnt(0)
	s_barrier
	s_and_saveexec_b64 s[4:5], vcc
	s_cbranch_execz .LBB247_765
; %bb.749:
	v_cmp_eq_u32_e32 vcc, 0, v36
	v_lshrrev_b32_e32 v14, 3, v17
	s_and_saveexec_b64 s[8:9], vcc
	s_cbranch_execnz .LBB247_768
; %bb.750:
	s_or_b64 exec, exec, s[8:9]
	s_and_saveexec_b64 s[8:9], vcc
	s_cbranch_execnz .LBB247_769
.LBB247_751:
	s_or_b64 exec, exec, s[8:9]
	s_and_saveexec_b64 s[8:9], vcc
	s_cbranch_execnz .LBB247_770
.LBB247_752:
	s_or_b64 exec, exec, s[8:9]
	s_and_saveexec_b64 s[8:9], vcc
	s_cbranch_execnz .LBB247_771
.LBB247_753:
	s_or_b64 exec, exec, s[8:9]
	s_and_saveexec_b64 s[8:9], vcc
	s_cbranch_execnz .LBB247_772
.LBB247_754:
	s_or_b64 exec, exec, s[8:9]
	s_and_saveexec_b64 s[8:9], vcc
	s_cbranch_execnz .LBB247_773
.LBB247_755:
	s_or_b64 exec, exec, s[8:9]
	s_and_saveexec_b64 s[8:9], vcc
	s_cbranch_execnz .LBB247_774
.LBB247_756:
	s_or_b64 exec, exec, s[8:9]
	s_and_saveexec_b64 s[8:9], vcc
	s_cbranch_execnz .LBB247_775
.LBB247_757:
	s_or_b64 exec, exec, s[8:9]
	s_and_saveexec_b64 s[8:9], vcc
	s_cbranch_execnz .LBB247_776
.LBB247_758:
	s_or_b64 exec, exec, s[8:9]
	s_and_saveexec_b64 s[8:9], vcc
	s_cbranch_execnz .LBB247_777
.LBB247_759:
	s_or_b64 exec, exec, s[8:9]
	s_and_saveexec_b64 s[8:9], vcc
	s_cbranch_execnz .LBB247_778
.LBB247_760:
	s_or_b64 exec, exec, s[8:9]
	s_and_saveexec_b64 s[8:9], vcc
	s_cbranch_execnz .LBB247_779
.LBB247_761:
	s_or_b64 exec, exec, s[8:9]
	s_and_saveexec_b64 s[8:9], vcc
	s_cbranch_execnz .LBB247_780
.LBB247_762:
	s_or_b64 exec, exec, s[8:9]
	s_and_saveexec_b64 s[8:9], vcc
	s_cbranch_execz .LBB247_764
.LBB247_763:
	s_ashr_i32 s19, s18, 31
	s_lshl_b64 s[10:11], s[18:19], 2
	s_getpc_b64 s[12:13]
	s_add_u32 s12, s12, llvm.amdgcn.dynlds.offset.table@rel32@lo+4
	s_addc_u32 s13, s13, llvm.amdgcn.dynlds.offset.table@rel32@hi+12
	s_add_u32 s10, s10, s12
	s_addc_u32 s11, s11, s13
	s_load_dword s7, s[10:11], 0x0
	s_waitcnt lgkmcnt(0)
	v_lshl_add_u32 v14, v14, 2, s7
	ds_read_b32 v14, v14 offset:416
	s_waitcnt lgkmcnt(0)
	v_add_f32_e32 v13, v14, v13
.LBB247_764:
	s_or_b64 exec, exec, s[8:9]
.LBB247_765:
	s_or_b64 exec, exec, s[4:5]
	v_cmp_eq_u32_e32 vcc, 0, v16
	s_barrier
	s_and_b64 exec, exec, vcc
	s_cbranch_execz .LBB247_767
; %bb.766:
	buffer_load_dword v15, off, s[0:3], s32 offset:480 ; 4-byte Folded Reload
	buffer_load_dword v16, off, s[0:3], s32 offset:484 ; 4-byte Folded Reload
	s_mul_i32 s4, s6, 0x70
	s_mul_i32 s6, s20, s21
	s_mul_i32 s8, s14, 0x70
	s_ashr_i32 s5, s4, 31
	s_ashr_i32 s7, s6, 31
	;; [unrolled: 1-line block ×3, first 2 shown]
	s_lshl_b64 s[4:5], s[4:5], 2
	s_lshl_b64 s[6:7], s[6:7], 2
	;; [unrolled: 1-line block ×3, first 2 shown]
	s_add_u32 s6, s8, s6
	s_addc_u32 s7, s9, s7
	s_add_u32 s4, s6, s4
	s_addc_u32 s5, s7, s5
	v_mov_b32_e32 v14, s5
	s_waitcnt vmcnt(1)
	v_add_co_u32_e32 v15, vcc, s4, v15
	s_waitcnt vmcnt(0)
	v_addc_co_u32_e32 v16, vcc, v14, v16, vcc
	v_lshrrev_b32_e32 v14, 1, v17
	v_add_co_u32_e32 v14, vcc, v15, v14
	v_addc_co_u32_e32 v15, vcc, 0, v16, vcc
	flat_store_dword v[14:15], v2
	flat_store_dword v[14:15], v3 offset:32
	flat_store_dword v[14:15], v0 offset:64
	;; [unrolled: 1-line block ×13, first 2 shown]
.LBB247_767:
	s_or_b64 exec, exec, s[16:17]
	buffer_load_dword a63, off, s[0:3], s32 ; 4-byte Folded Reload
	buffer_load_dword a62, off, s[0:3], s32 offset:4 ; 4-byte Folded Reload
	buffer_load_dword a61, off, s[0:3], s32 offset:8 ; 4-byte Folded Reload
	;; [unrolled: 1-line block ×46, first 2 shown]
	v_readlane_b32 s30, v63, 8
	v_readlane_b32 s31, v63, 9
	v_readlane_b32 s41, v63, 7
	v_readlane_b32 s40, v63, 6
	v_readlane_b32 s39, v63, 5
	v_readlane_b32 s38, v63, 4
	v_readlane_b32 s37, v63, 3
	v_readlane_b32 s36, v63, 2
	v_readlane_b32 s35, v63, 1
	v_readlane_b32 s34, v63, 0
	s_or_saveexec_b64 s[4:5], -1
	buffer_load_dword v63, off, s[0:3], s32 offset:564 ; 4-byte Folded Reload
	s_mov_b64 exec, s[4:5]
	s_waitcnt vmcnt(0) lgkmcnt(0)
	s_setpc_b64 s[30:31]
.LBB247_768:
	s_ashr_i32 s19, s18, 31
	s_lshl_b64 s[10:11], s[18:19], 2
	s_getpc_b64 s[12:13]
	s_add_u32 s12, s12, llvm.amdgcn.dynlds.offset.table@rel32@lo+4
	s_addc_u32 s13, s13, llvm.amdgcn.dynlds.offset.table@rel32@hi+12
	s_add_u32 s10, s10, s12
	s_addc_u32 s11, s11, s13
	s_load_dword s7, s[10:11], 0x0
	s_waitcnt lgkmcnt(0)
	v_lshl_add_u32 v15, v14, 2, s7
	ds_read_b32 v15, v15
	s_waitcnt lgkmcnt(0)
	v_add_f32_e32 v2, v15, v2
	s_or_b64 exec, exec, s[8:9]
	s_and_saveexec_b64 s[8:9], vcc
	s_cbranch_execz .LBB247_751
.LBB247_769:
	s_ashr_i32 s19, s18, 31
	s_lshl_b64 s[10:11], s[18:19], 2
	s_getpc_b64 s[12:13]
	s_add_u32 s12, s12, llvm.amdgcn.dynlds.offset.table@rel32@lo+4
	s_addc_u32 s13, s13, llvm.amdgcn.dynlds.offset.table@rel32@hi+12
	s_add_u32 s10, s10, s12
	s_addc_u32 s11, s11, s13
	s_load_dword s7, s[10:11], 0x0
	s_waitcnt lgkmcnt(0)
	v_lshl_add_u32 v15, v14, 2, s7
	ds_read_b32 v15, v15 offset:32
	s_waitcnt lgkmcnt(0)
	v_add_f32_e32 v3, v15, v3
	s_or_b64 exec, exec, s[8:9]
	s_and_saveexec_b64 s[8:9], vcc
	s_cbranch_execz .LBB247_752
.LBB247_770:
	s_ashr_i32 s19, s18, 31
	s_lshl_b64 s[10:11], s[18:19], 2
	s_getpc_b64 s[12:13]
	s_add_u32 s12, s12, llvm.amdgcn.dynlds.offset.table@rel32@lo+4
	s_addc_u32 s13, s13, llvm.amdgcn.dynlds.offset.table@rel32@hi+12
	s_add_u32 s10, s10, s12
	s_addc_u32 s11, s11, s13
	s_load_dword s7, s[10:11], 0x0
	s_waitcnt lgkmcnt(0)
	v_lshl_add_u32 v15, v14, 2, s7
	ds_read_b32 v15, v15 offset:64
	s_waitcnt lgkmcnt(0)
	v_add_f32_e32 v0, v15, v0
	s_or_b64 exec, exec, s[8:9]
	s_and_saveexec_b64 s[8:9], vcc
	s_cbranch_execz .LBB247_753
.LBB247_771:
	s_ashr_i32 s19, s18, 31
	s_lshl_b64 s[10:11], s[18:19], 2
	s_getpc_b64 s[12:13]
	s_add_u32 s12, s12, llvm.amdgcn.dynlds.offset.table@rel32@lo+4
	s_addc_u32 s13, s13, llvm.amdgcn.dynlds.offset.table@rel32@hi+12
	s_add_u32 s10, s10, s12
	s_addc_u32 s11, s11, s13
	s_load_dword s7, s[10:11], 0x0
	s_waitcnt lgkmcnt(0)
	v_lshl_add_u32 v15, v14, 2, s7
	ds_read_b32 v15, v15 offset:96
	s_waitcnt lgkmcnt(0)
	v_add_f32_e32 v1, v15, v1
	s_or_b64 exec, exec, s[8:9]
	s_and_saveexec_b64 s[8:9], vcc
	s_cbranch_execz .LBB247_754
.LBB247_772:
	s_ashr_i32 s19, s18, 31
	s_lshl_b64 s[10:11], s[18:19], 2
	s_getpc_b64 s[12:13]
	s_add_u32 s12, s12, llvm.amdgcn.dynlds.offset.table@rel32@lo+4
	s_addc_u32 s13, s13, llvm.amdgcn.dynlds.offset.table@rel32@hi+12
	s_add_u32 s10, s10, s12
	s_addc_u32 s11, s11, s13
	s_load_dword s7, s[10:11], 0x0
	s_waitcnt lgkmcnt(0)
	v_lshl_add_u32 v15, v14, 2, s7
	ds_read_b32 v15, v15 offset:128
	s_waitcnt lgkmcnt(0)
	v_add_f32_e32 v10, v15, v10
	s_or_b64 exec, exec, s[8:9]
	s_and_saveexec_b64 s[8:9], vcc
	s_cbranch_execz .LBB247_755
.LBB247_773:
	s_ashr_i32 s19, s18, 31
	s_lshl_b64 s[10:11], s[18:19], 2
	s_getpc_b64 s[12:13]
	s_add_u32 s12, s12, llvm.amdgcn.dynlds.offset.table@rel32@lo+4
	s_addc_u32 s13, s13, llvm.amdgcn.dynlds.offset.table@rel32@hi+12
	s_add_u32 s10, s10, s12
	s_addc_u32 s11, s11, s13
	s_load_dword s7, s[10:11], 0x0
	s_waitcnt lgkmcnt(0)
	v_lshl_add_u32 v15, v14, 2, s7
	ds_read_b32 v15, v15 offset:160
	s_waitcnt lgkmcnt(0)
	v_add_f32_e32 v11, v15, v11
	s_or_b64 exec, exec, s[8:9]
	s_and_saveexec_b64 s[8:9], vcc
	s_cbranch_execz .LBB247_756
.LBB247_774:
	s_ashr_i32 s19, s18, 31
	s_lshl_b64 s[10:11], s[18:19], 2
	s_getpc_b64 s[12:13]
	s_add_u32 s12, s12, llvm.amdgcn.dynlds.offset.table@rel32@lo+4
	s_addc_u32 s13, s13, llvm.amdgcn.dynlds.offset.table@rel32@hi+12
	s_add_u32 s10, s10, s12
	s_addc_u32 s11, s11, s13
	s_load_dword s7, s[10:11], 0x0
	s_waitcnt lgkmcnt(0)
	v_lshl_add_u32 v15, v14, 2, s7
	ds_read_b32 v15, v15 offset:192
	s_waitcnt lgkmcnt(0)
	v_add_f32_e32 v8, v15, v8
	s_or_b64 exec, exec, s[8:9]
	s_and_saveexec_b64 s[8:9], vcc
	s_cbranch_execz .LBB247_757
.LBB247_775:
	s_ashr_i32 s19, s18, 31
	s_lshl_b64 s[10:11], s[18:19], 2
	s_getpc_b64 s[12:13]
	s_add_u32 s12, s12, llvm.amdgcn.dynlds.offset.table@rel32@lo+4
	s_addc_u32 s13, s13, llvm.amdgcn.dynlds.offset.table@rel32@hi+12
	s_add_u32 s10, s10, s12
	s_addc_u32 s11, s11, s13
	s_load_dword s7, s[10:11], 0x0
	s_waitcnt lgkmcnt(0)
	v_lshl_add_u32 v15, v14, 2, s7
	ds_read_b32 v15, v15 offset:224
	s_waitcnt lgkmcnt(0)
	v_add_f32_e32 v9, v15, v9
	s_or_b64 exec, exec, s[8:9]
	s_and_saveexec_b64 s[8:9], vcc
	s_cbranch_execz .LBB247_758
.LBB247_776:
	s_ashr_i32 s19, s18, 31
	s_lshl_b64 s[10:11], s[18:19], 2
	s_getpc_b64 s[12:13]
	s_add_u32 s12, s12, llvm.amdgcn.dynlds.offset.table@rel32@lo+4
	s_addc_u32 s13, s13, llvm.amdgcn.dynlds.offset.table@rel32@hi+12
	s_add_u32 s10, s10, s12
	s_addc_u32 s11, s11, s13
	s_load_dword s7, s[10:11], 0x0
	s_waitcnt lgkmcnt(0)
	v_lshl_add_u32 v15, v14, 2, s7
	ds_read_b32 v15, v15 offset:256
	s_waitcnt lgkmcnt(0)
	v_add_f32_e32 v6, v15, v6
	s_or_b64 exec, exec, s[8:9]
	s_and_saveexec_b64 s[8:9], vcc
	s_cbranch_execz .LBB247_759
.LBB247_777:
	s_ashr_i32 s19, s18, 31
	s_lshl_b64 s[10:11], s[18:19], 2
	s_getpc_b64 s[12:13]
	s_add_u32 s12, s12, llvm.amdgcn.dynlds.offset.table@rel32@lo+4
	s_addc_u32 s13, s13, llvm.amdgcn.dynlds.offset.table@rel32@hi+12
	s_add_u32 s10, s10, s12
	s_addc_u32 s11, s11, s13
	s_load_dword s7, s[10:11], 0x0
	s_waitcnt lgkmcnt(0)
	v_lshl_add_u32 v15, v14, 2, s7
	ds_read_b32 v15, v15 offset:288
	s_waitcnt lgkmcnt(0)
	v_add_f32_e32 v7, v15, v7
	s_or_b64 exec, exec, s[8:9]
	s_and_saveexec_b64 s[8:9], vcc
	s_cbranch_execz .LBB247_760
.LBB247_778:
	s_ashr_i32 s19, s18, 31
	s_lshl_b64 s[10:11], s[18:19], 2
	s_getpc_b64 s[12:13]
	s_add_u32 s12, s12, llvm.amdgcn.dynlds.offset.table@rel32@lo+4
	s_addc_u32 s13, s13, llvm.amdgcn.dynlds.offset.table@rel32@hi+12
	s_add_u32 s10, s10, s12
	s_addc_u32 s11, s11, s13
	s_load_dword s7, s[10:11], 0x0
	s_waitcnt lgkmcnt(0)
	v_lshl_add_u32 v15, v14, 2, s7
	ds_read_b32 v15, v15 offset:320
	s_waitcnt lgkmcnt(0)
	v_add_f32_e32 v4, v15, v4
	s_or_b64 exec, exec, s[8:9]
	s_and_saveexec_b64 s[8:9], vcc
	s_cbranch_execz .LBB247_761
.LBB247_779:
	s_ashr_i32 s19, s18, 31
	s_lshl_b64 s[10:11], s[18:19], 2
	s_getpc_b64 s[12:13]
	s_add_u32 s12, s12, llvm.amdgcn.dynlds.offset.table@rel32@lo+4
	s_addc_u32 s13, s13, llvm.amdgcn.dynlds.offset.table@rel32@hi+12
	s_add_u32 s10, s10, s12
	s_addc_u32 s11, s11, s13
	s_load_dword s7, s[10:11], 0x0
	s_waitcnt lgkmcnt(0)
	v_lshl_add_u32 v15, v14, 2, s7
	ds_read_b32 v15, v15 offset:352
	s_waitcnt lgkmcnt(0)
	v_add_f32_e32 v5, v15, v5
	s_or_b64 exec, exec, s[8:9]
	s_and_saveexec_b64 s[8:9], vcc
	s_cbranch_execz .LBB247_762
.LBB247_780:
	s_ashr_i32 s19, s18, 31
	s_lshl_b64 s[10:11], s[18:19], 2
	s_getpc_b64 s[12:13]
	s_add_u32 s12, s12, llvm.amdgcn.dynlds.offset.table@rel32@lo+4
	s_addc_u32 s13, s13, llvm.amdgcn.dynlds.offset.table@rel32@hi+12
	s_add_u32 s10, s10, s12
	s_addc_u32 s11, s11, s13
	s_load_dword s7, s[10:11], 0x0
	s_waitcnt lgkmcnt(0)
	v_lshl_add_u32 v15, v14, 2, s7
	ds_read_b32 v15, v15 offset:384
	s_waitcnt lgkmcnt(0)
	v_add_f32_e32 v12, v15, v12
	s_or_b64 exec, exec, s[8:9]
	s_and_saveexec_b64 s[8:9], vcc
	s_cbranch_execnz .LBB247_763
	s_branch .LBB247_764
.Lfunc_end247:
	.size	_ZN4vllm22paged_attention_kernelIfhLi112ELi32ELi128ELNS_18Fp8KVCacheDataTypeE1ELb0ELi512EEEvPfS2_PT_PKS3_PKT0_S9_ifPKiSB_iPKfiiiSD_SD_iiiii, .Lfunc_end247-_ZN4vllm22paged_attention_kernelIfhLi112ELi32ELi128ELNS_18Fp8KVCacheDataTypeE1ELb0ELi512EEEvPfS2_PT_PKS3_PKT0_S9_ifPKiSB_iPKfiiiSD_SD_iiiii
                                        ; -- End function
	.section	.AMDGPU.csdata,"",@progbits
; Function info:
; codeLenInByte = 37144
; NumSgprs: 46
; NumVgprs: 64
; NumAgprs: 64
; TotalNumVgprs: 128
; ScratchSize: 572
; MemoryBound: 0
	.section	.text._ZN4vllm25paged_attention_v2_kernelIfhLi112ELi32ELi128ELNS_18Fp8KVCacheDataTypeE1ELb0ELi512EEEvPfS2_PT_PKS3_PKT0_S9_ifPKiSB_iPKfiiiSD_SD_iiiii,"axG",@progbits,_ZN4vllm25paged_attention_v2_kernelIfhLi112ELi32ELi128ELNS_18Fp8KVCacheDataTypeE1ELb0ELi512EEEvPfS2_PT_PKS3_PKT0_S9_ifPKiSB_iPKfiiiSD_SD_iiiii,comdat
	.protected	_ZN4vllm25paged_attention_v2_kernelIfhLi112ELi32ELi128ELNS_18Fp8KVCacheDataTypeE1ELb0ELi512EEEvPfS2_PT_PKS3_PKT0_S9_ifPKiSB_iPKfiiiSD_SD_iiiii ; -- Begin function _ZN4vllm25paged_attention_v2_kernelIfhLi112ELi32ELi128ELNS_18Fp8KVCacheDataTypeE1ELb0ELi512EEEvPfS2_PT_PKS3_PKT0_S9_ifPKiSB_iPKfiiiSD_SD_iiiii
	.globl	_ZN4vllm25paged_attention_v2_kernelIfhLi112ELi32ELi128ELNS_18Fp8KVCacheDataTypeE1ELb0ELi512EEEvPfS2_PT_PKS3_PKT0_S9_ifPKiSB_iPKfiiiSD_SD_iiiii
	.p2align	8
	.type	_ZN4vllm25paged_attention_v2_kernelIfhLi112ELi32ELi128ELNS_18Fp8KVCacheDataTypeE1ELb0ELi512EEEvPfS2_PT_PKS3_PKT0_S9_ifPKiSB_iPKfiiiSD_SD_iiiii,@function
_ZN4vllm25paged_attention_v2_kernelIfhLi112ELi32ELi128ELNS_18Fp8KVCacheDataTypeE1ELb0ELi512EEEvPfS2_PT_PKS3_PKT0_S9_ifPKiSB_iPKfiiiSD_SD_iiiii: ; @_ZN4vllm25paged_attention_v2_kernelIfhLi112ELi32ELi128ELNS_18Fp8KVCacheDataTypeE1ELb0ELi512EEEvPfS2_PT_PKS3_PKT0_S9_ifPKiSB_iPKfiiiSD_SD_iiiii
; %bb.0:
	s_add_u32 flat_scratch_lo, s6, s11
	s_addc_u32 flat_scratch_hi, s7, 0
	s_add_u32 s0, s0, s11
	s_load_dwordx8 s[24:31], s[4:5], 0x0
	s_load_dwordx8 s[16:23], s[4:5], 0x20
	s_load_dwordx2 s[6:7], s[4:5], 0x40
	s_load_dwordx2 s[34:35], s[4:5], 0x50
	s_load_dword s11, s[4:5], 0x48
	s_load_dwordx8 s[36:43], s[4:5], 0x58
	s_addc_u32 s1, s1, 0
	s_mov_b32 s12, s8
	s_add_u32 s8, s4, 0x90
	s_mov_b32 s13, s9
	s_addc_u32 s9, s5, 0
	s_mov_b32 s14, s10
	s_mov_b32 s15, 28
	v_mov_b32_e32 v31, v0
	s_waitcnt lgkmcnt(0)
	v_mov_b32_e32 v0, s24
	v_mov_b32_e32 v1, s25
	;; [unrolled: 1-line block ×28, first 2 shown]
	s_mov_b32 s32, 0
	s_getpc_b64 s[4:5]
	s_add_u32 s4, s4, _ZN4vllm22paged_attention_kernelIfhLi112ELi32ELi128ELNS_18Fp8KVCacheDataTypeE1ELb0ELi512EEEvPfS2_PT_PKS3_PKT0_S9_ifPKiSB_iPKfiiiSD_SD_iiiii@rel32@lo+4
	s_addc_u32 s5, s5, _ZN4vllm22paged_attention_kernelIfhLi112ELi32ELi128ELNS_18Fp8KVCacheDataTypeE1ELb0ELi512EEEvPfS2_PT_PKS3_PKT0_S9_ifPKiSB_iPKfiiiSD_SD_iiiii@rel32@hi+12
	s_swappc_b64 s[30:31], s[4:5]
	s_endpgm
	.section	.rodata,"a",@progbits
	.p2align	6, 0x0
	.amdhsa_kernel _ZN4vllm25paged_attention_v2_kernelIfhLi112ELi32ELi128ELNS_18Fp8KVCacheDataTypeE1ELb0ELi512EEEvPfS2_PT_PKS3_PKT0_S9_ifPKiSB_iPKfiiiSD_SD_iiiii
		.amdhsa_group_segment_fixed_size 464
		.amdhsa_private_segment_fixed_size 572
		.amdhsa_kernarg_size 400
		.amdhsa_user_sgpr_count 8
		.amdhsa_user_sgpr_private_segment_buffer 1
		.amdhsa_user_sgpr_dispatch_ptr 0
		.amdhsa_user_sgpr_queue_ptr 0
		.amdhsa_user_sgpr_kernarg_segment_ptr 1
		.amdhsa_user_sgpr_dispatch_id 0
		.amdhsa_user_sgpr_flat_scratch_init 1
		.amdhsa_user_sgpr_kernarg_preload_length 0
		.amdhsa_user_sgpr_kernarg_preload_offset 0
		.amdhsa_user_sgpr_private_segment_size 0
		.amdhsa_uses_dynamic_stack 0
		.amdhsa_system_sgpr_private_segment_wavefront_offset 1
		.amdhsa_system_sgpr_workgroup_id_x 1
		.amdhsa_system_sgpr_workgroup_id_y 1
		.amdhsa_system_sgpr_workgroup_id_z 1
		.amdhsa_system_sgpr_workgroup_info 0
		.amdhsa_system_vgpr_workitem_id 0
		.amdhsa_next_free_vgpr 128
		.amdhsa_next_free_sgpr 44
		.amdhsa_accum_offset 64
		.amdhsa_reserve_vcc 1
		.amdhsa_reserve_flat_scratch 1
		.amdhsa_float_round_mode_32 0
		.amdhsa_float_round_mode_16_64 0
		.amdhsa_float_denorm_mode_32 3
		.amdhsa_float_denorm_mode_16_64 3
		.amdhsa_dx10_clamp 1
		.amdhsa_ieee_mode 1
		.amdhsa_fp16_overflow 0
		.amdhsa_tg_split 0
		.amdhsa_exception_fp_ieee_invalid_op 0
		.amdhsa_exception_fp_denorm_src 0
		.amdhsa_exception_fp_ieee_div_zero 0
		.amdhsa_exception_fp_ieee_overflow 0
		.amdhsa_exception_fp_ieee_underflow 0
		.amdhsa_exception_fp_ieee_inexact 0
		.amdhsa_exception_int_div_zero 0
	.end_amdhsa_kernel
	.section	.text._ZN4vllm25paged_attention_v2_kernelIfhLi112ELi32ELi128ELNS_18Fp8KVCacheDataTypeE1ELb0ELi512EEEvPfS2_PT_PKS3_PKT0_S9_ifPKiSB_iPKfiiiSD_SD_iiiii,"axG",@progbits,_ZN4vllm25paged_attention_v2_kernelIfhLi112ELi32ELi128ELNS_18Fp8KVCacheDataTypeE1ELb0ELi512EEEvPfS2_PT_PKS3_PKT0_S9_ifPKiSB_iPKfiiiSD_SD_iiiii,comdat
.Lfunc_end248:
	.size	_ZN4vllm25paged_attention_v2_kernelIfhLi112ELi32ELi128ELNS_18Fp8KVCacheDataTypeE1ELb0ELi512EEEvPfS2_PT_PKS3_PKT0_S9_ifPKiSB_iPKfiiiSD_SD_iiiii, .Lfunc_end248-_ZN4vllm25paged_attention_v2_kernelIfhLi112ELi32ELi128ELNS_18Fp8KVCacheDataTypeE1ELb0ELi512EEEvPfS2_PT_PKS3_PKT0_S9_ifPKiSB_iPKfiiiSD_SD_iiiii
                                        ; -- End function
	.section	.AMDGPU.csdata,"",@progbits
; Kernel info:
; codeLenInByte = 244
; NumSgprs: 50
; NumVgprs: 64
; NumAgprs: 64
; TotalNumVgprs: 128
; ScratchSize: 572
; MemoryBound: 0
; FloatMode: 240
; IeeeMode: 1
; LDSByteSize: 464 bytes/workgroup (compile time only)
; SGPRBlocks: 6
; VGPRBlocks: 15
; NumSGPRsForWavesPerEU: 50
; NumVGPRsForWavesPerEU: 128
; AccumOffset: 64
; Occupancy: 4
; WaveLimiterHint : 1
; COMPUTE_PGM_RSRC2:SCRATCH_EN: 1
; COMPUTE_PGM_RSRC2:USER_SGPR: 8
; COMPUTE_PGM_RSRC2:TRAP_HANDLER: 0
; COMPUTE_PGM_RSRC2:TGID_X_EN: 1
; COMPUTE_PGM_RSRC2:TGID_Y_EN: 1
; COMPUTE_PGM_RSRC2:TGID_Z_EN: 1
; COMPUTE_PGM_RSRC2:TIDIG_COMP_CNT: 0
; COMPUTE_PGM_RSRC3_GFX90A:ACCUM_OFFSET: 15
; COMPUTE_PGM_RSRC3_GFX90A:TG_SPLIT: 0
	.text
	.p2align	2                               ; -- Begin function _ZN4vllm22paged_attention_kernelIfhLi120ELi32ELi128ELNS_18Fp8KVCacheDataTypeE1ELb0ELi512EEEvPfS2_PT_PKS3_PKT0_S9_ifPKiSB_iPKfiiiSD_SD_iiiii
	.type	_ZN4vllm22paged_attention_kernelIfhLi120ELi32ELi128ELNS_18Fp8KVCacheDataTypeE1ELb0ELi512EEEvPfS2_PT_PKS3_PKT0_S9_ifPKiSB_iPKfiiiSD_SD_iiiii,@function
_ZN4vllm22paged_attention_kernelIfhLi120ELi32ELi128ELNS_18Fp8KVCacheDataTypeE1ELb0ELi512EEEvPfS2_PT_PKS3_PKT0_S9_ifPKiSB_iPKfiiiSD_SD_iiiii: ; @_ZN4vllm22paged_attention_kernelIfhLi120ELi32ELi128ELNS_18Fp8KVCacheDataTypeE1ELb0ELi512EEEvPfS2_PT_PKS3_PKT0_S9_ifPKiSB_iPKfiiiSD_SD_iiiii
; %bb.0:
	s_waitcnt vmcnt(0) expcnt(0) lgkmcnt(0)
	s_or_saveexec_b64 s[4:5], -1
	buffer_store_dword v63, off, s[0:3], s32 offset:640 ; 4-byte Folded Spill
	s_mov_b64 exec, s[4:5]
	buffer_store_dword v40, off, s[0:3], s32 offset:184 ; 4-byte Folded Spill
	buffer_store_dword v41, off, s[0:3], s32 offset:180 ; 4-byte Folded Spill
	;; [unrolled: 1-line block ×46, first 2 shown]
	buffer_store_dword a63, off, s[0:3], s32 ; 4-byte Folded Spill
	v_writelane_b32 v63, s34, 0
	v_writelane_b32 v63, s35, 1
	;; [unrolled: 1-line block ×10, first 2 shown]
	s_mov_b32 s22, s13
	s_ashr_i32 s23, s13, 31
	s_lshl_b64 s[4:5], s[22:23], 2
	buffer_store_dword v24, off, s[0:3], s32 offset:272 ; 4-byte Folded Spill
	s_nop 0
	buffer_store_dword v25, off, s[0:3], s32 offset:276 ; 4-byte Folded Spill
	buffer_store_dword v22, off, s[0:3], s32 offset:244 ; 4-byte Folded Spill
	s_nop 0
	buffer_store_dword v23, off, s[0:3], s32 offset:248 ; 4-byte Folded Spill
	buffer_store_dword v13, off, s[0:3], s32 offset:548 ; 4-byte Folded Spill
	;; [unrolled: 1-line block ×4, first 2 shown]
	v_mov_b32_e32 v5, s5
	v_add_co_u32_e32 v4, vcc, s4, v16
	v_addc_co_u32_e32 v5, vcc, v17, v5, vcc
	flat_load_dword v62, v[4:5]
	s_lshl_b32 s23, s14, 9
	v_mov_b32_e32 v25, v20
	v_mov_b32_e32 v24, v19
	;; [unrolled: 1-line block ×3, first 2 shown]
	s_waitcnt vmcnt(0) lgkmcnt(0)
	v_cmp_lt_i32_e32 vcc, s23, v62
	s_and_saveexec_b64 s[16:17], vcc
	s_cbranch_execz .LBB249_818
; %bb.1:
	v_sub_u32_e32 v4, 0, v12
	v_max_i32_e32 v4, v12, v4
	v_cvt_f32_u32_e32 v5, v4
	s_load_dword s4, s[8:9], 0x10
	s_load_dword s6, s[8:9], 0x0
	v_sub_u32_e32 v13, 0, v4
	s_mov_b32 s18, s15
	v_rcp_iflag_f32_e32 v5, v5
	s_waitcnt lgkmcnt(0)
	s_lshr_b32 s4, s4, 16
	s_cmp_lg_u32 s4, 0
	s_cselect_b64 s[4:5], -1, 0
	v_mul_f32_e32 v5, 0x4f7ffffe, v5
	v_cvt_u32_f32_e32 v5, v5
	s_cmp_lg_u64 s[4:5], 0
	s_addc_u32 s15, s6, 0
	s_abs_i32 s4, s15
	v_mul_lo_u32 v13, v13, v5
	v_mul_hi_u32 v13, v5, v13
	v_add_u32_e32 v5, v5, v13
	v_mul_hi_u32 v5, s4, v5
	v_mul_lo_u32 v13, v5, v4
	v_sub_u32_e32 v13, s4, v13
	v_add_u32_e32 v14, 1, v5
	v_cmp_ge_u32_e32 vcc, v13, v4
	v_cndmask_b32_e32 v5, v5, v14, vcc
	v_sub_u32_e32 v14, v13, v4
	v_cndmask_b32_e32 v13, v13, v14, vcc
	v_xor_b32_e32 v12, s15, v12
	v_add_u32_e32 v14, 1, v5
	v_cmp_ge_u32_e32 vcc, v13, v4
	v_ashrrev_i32_e32 v12, 31, v12
	v_cndmask_b32_e32 v4, v5, v14, vcc
	v_xor_b32_e32 v4, v4, v12
	v_sub_u32_e32 v12, v4, v12
	v_sub_u32_e32 v4, 0, v12
	v_max_i32_e32 v13, v12, v4
	v_cvt_f32_u32_e32 v4, v13
	v_sub_u32_e32 v5, 0, v13
	s_abs_i32 s6, s12
	v_cmp_ne_u64_e32 vcc, 0, v[24:25]
	v_rcp_iflag_f32_e32 v4, v4
	v_mul_f32_e32 v4, 0x4f7ffffe, v4
	v_cvt_u32_f32_e32 v4, v4
	v_mul_lo_u32 v5, v5, v4
	v_mul_hi_u32 v5, v4, v5
	v_add_u32_e32 v4, v4, v5
	v_mad_u64_u32 v[4:5], s[4:5], s6, v4, 0
	v_mov_b32_e32 v4, 0
	buffer_store_dword v4, off, s[0:3], s32 offset:544 ; 4-byte Folded Spill
	s_and_saveexec_b64 s[4:5], vcc
	s_cbranch_execz .LBB249_3
; %bb.2:
	s_ashr_i32 s13, s12, 31
	s_lshl_b64 s[10:11], s[12:13], 2
	v_mov_b32_e32 v4, s11
	v_add_co_u32_e32 v16, vcc, s10, v24
	v_addc_co_u32_e32 v17, vcc, v25, v4, vcc
	flat_load_dword v4, v[16:17]
	s_waitcnt vmcnt(0) lgkmcnt(0)
	buffer_store_dword v4, off, s[0:3], s32 offset:544 ; 4-byte Folded Spill
.LBB249_3:
	s_or_b64 exec, exec, s[4:5]
	v_and_b32_e32 v16, 0x3ff, v31
	s_ashr_i32 s7, s12, 31
	v_ashrrev_i32_e32 v4, 31, v12
	v_and_b32_e32 v12, 1, v16
	s_mul_i32 s20, s12, 0x78
	v_cmp_gt_u32_e32 vcc, 60, v16
	v_lshlrev_b32_e32 v32, 2, v16
	s_and_saveexec_b64 s[4:5], vcc
	s_cbranch_execz .LBB249_5
; %bb.4:
	v_mul_lo_u32 v20, s22, v21
	v_ashrrev_i32_e32 v21, 31, v20
	v_lshlrev_b64 v[20:21], 2, v[20:21]
	v_add_co_u32_e32 v6, vcc, v6, v20
	s_ashr_i32 s21, s20, 31
	v_addc_co_u32_e32 v7, vcc, v7, v21, vcc
	s_lshl_b64 s[10:11], s[20:21], 2
	v_mov_b32_e32 v14, s11
	v_add_co_u32_e32 v6, vcc, s10, v6
	v_addc_co_u32_e32 v7, vcc, v7, v14, vcc
	v_lshlrev_b32_e32 v14, 3, v16
	v_add_co_u32_e32 v6, vcc, v6, v14
	v_addc_co_u32_e32 v7, vcc, 0, v7, vcc
	flat_load_dwordx2 v[6:7], v[6:7]
	v_and_b32_e32 v14, 0xff8, v32
	s_movk_i32 s10, 0xf0
	v_mad_u32_u24 v14, v12, s10, v14
	s_waitcnt vmcnt(0) lgkmcnt(0)
	ds_write_b64 v14, v[6:7]
.LBB249_5:
	s_or_b64 exec, exec, s[4:5]
	v_add_u32_e32 v6, 31, v62
	v_ashrrev_i32_e32 v7, 31, v6
	v_lshrrev_b32_e32 v7, 27, v7
	v_add_u32_e32 v6, v6, v7
	v_ashrrev_i32_e32 v33, 5, v6
	v_mul_lo_u32 v6, v5, v13
	v_sub_u32_e32 v6, s6, v6
	v_add_u32_e32 v7, 1, v5
	v_cmp_ge_u32_e32 vcc, v6, v13
	v_cndmask_b32_e32 v5, v5, v7, vcc
	v_sub_u32_e32 v7, v6, v13
	v_cndmask_b32_e32 v6, v6, v7, vcc
	v_add_u32_e32 v7, 1, v5
	v_cmp_ge_u32_e32 vcc, v6, v13
	s_lshl_b32 s21, s14, 4
	v_xor_b32_e32 v4, s7, v4
	v_cndmask_b32_e32 v5, v5, v7, vcc
	s_add_i32 s4, s21, 16
	v_lshrrev_b32_e32 v31, 6, v16
	v_xor_b32_e32 v5, v5, v4
	v_min_i32_e32 v14, s4, v33
	v_sub_u32_e32 v7, v5, v4
	v_mul_lo_u32 v4, s22, v18
	v_or_b32_e32 v6, s21, v31
	buffer_store_dword v16, off, s[0:3], s32 offset:552 ; 4-byte Folded Spill
	v_ashrrev_i32_e32 v5, 31, v4
	v_cmp_lt_i32_e64 s[4:5], v6, v14
	v_mov_b32_e32 v16, v6
	v_cmp_ge_i32_e32 vcc, v6, v14
	v_mbcnt_lo_u32_b32 v6, -1, 0
	s_waitcnt lgkmcnt(0)
	s_barrier
	buffer_store_dword v14, off, s[0:3], s32 offset:252 ; 4-byte Folded Spill
                                        ; implicit-def: $sgpr19
                                        ; implicit-def: $vgpr14
                                        ; implicit-def: $vgpr13
	s_and_saveexec_b64 s[6:7], vcc
	s_xor_b64 s[6:7], exec, s[6:7]
	s_cbranch_execz .LBB249_7
; %bb.6:
	v_mbcnt_hi_u32_b32 v14, -1, v6
	v_and_b32_e32 v6, 64, v14
	v_add_u32_e32 v13, 64, v6
                                        ; implicit-def: $vgpr6
                                        ; kill: killed $vgpr6
                                        ; implicit-def: $vgpr6
                                        ; kill: killed $vgpr6
                                        ; implicit-def: $vgpr6
	s_mov_b32 s19, 0xff7fffff
	buffer_store_dword v6, off, s[0:3], s32 offset:272 ; 4-byte Folded Spill
	s_nop 0
	buffer_store_dword v7, off, s[0:3], s32 offset:276 ; 4-byte Folded Spill
                                        ; implicit-def: $vgpr8
                                        ; implicit-def: $vgpr9
                                        ; implicit-def: $vgpr12
                                        ; implicit-def: $vgpr6
.LBB249_7:
	s_or_saveexec_b64 s[10:11], s[6:7]
	s_load_dword s40, s[8:9], 0x14
	s_load_dword s13, s[8:9], 0x8
	v_mul_lo_u32 v34, v7, v23
	v_mov_b32_e32 v18, s19
	v_ashrrev_i32_e32 v17, 31, v16
	v_ashrrev_i32_e32 v35, 31, v34
	v_lshlrev_b64 v[4:5], 2, v[4:5]
	buffer_store_dword v16, off, s[0:3], s32 offset:188 ; 4-byte Folded Spill
	s_nop 0
	buffer_store_dword v17, off, s[0:3], s32 offset:192 ; 4-byte Folded Spill
	buffer_store_dword v4, off, s[0:3], s32 offset:564 ; 4-byte Folded Spill
	s_nop 0
	buffer_store_dword v5, off, s[0:3], s32 offset:568 ; 4-byte Folded Spill
	s_xor_b64 exec, exec, s[10:11]
	s_cbranch_execz .LBB249_373
; %bb.8:
	buffer_store_dword v33, off, s[0:3], s32 offset:584 ; 4-byte Folded Spill
	buffer_store_dword v32, off, s[0:3], s32 offset:572 ; 4-byte Folded Spill
	buffer_store_dword v26, off, s[0:3], s32 offset:608 ; 4-byte Folded Spill
	s_nop 0
	buffer_store_dword v27, off, s[0:3], s32 offset:612 ; 4-byte Folded Spill
	buffer_store_dword v2, off, s[0:3], s32 offset:600 ; 4-byte Folded Spill
	;; [unrolled: 1-line block ×7, first 2 shown]
	buffer_load_dword v0, off, s[0:3], s32 offset:552 ; 4-byte Folded Reload
	v_mbcnt_hi_u32_b32 v4, -1, v6
	buffer_store_dword v34, off, s[0:3], s32 offset:576 ; 4-byte Folded Spill
	buffer_store_dword v35, off, s[0:3], s32 offset:580 ; 4-byte Folded Spill
	s_ashr_i32 s19, s18, 31
	s_lshl_b64 s[26:27], s[18:19], 2
	s_getpc_b64 s[28:29]
	s_add_u32 s28, s28, llvm.amdgcn.dynlds.offset.table@rel32@lo+4
	s_addc_u32 s29, s29, llvm.amdgcn.dynlds.offset.table@rel32@hi+12
	s_mov_b32 s24, 0
	s_add_u32 s26, s26, s28
	s_brev_b32 s25, 1
	v_mov_b32_e32 v29, 0
	v_cmp_eq_u32_e64 s[6:7], 0, v12
	s_addc_u32 s27, s27, s29
	s_mov_b64 s[28:29], 0
	s_movk_i32 s19, 0x80
	s_movk_i32 s41, 0x7f
	s_mov_b32 s31, 0x7f800001
	s_waitcnt vmcnt(2)
	v_bfe_u32 v2, v0, 1, 5
	v_add_co_u32_e32 v0, vcc, v8, v34
	v_addc_co_u32_e32 v1, vcc, v9, v35, vcc
	v_lshlrev_b32_e32 v3, 4, v2
	v_add_co_u32_e32 v0, vcc, v0, v3
	v_addc_co_u32_e32 v1, vcc, 0, v1, vcc
	buffer_store_dword v0, off, s[0:3], s32 offset:328 ; 4-byte Folded Spill
	s_nop 0
	buffer_store_dword v1, off, s[0:3], s32 offset:332 ; 4-byte Folded Spill
	v_lshlrev_b32_e32 v0, 1, v12
	v_mul_u32_u24_e32 v3, 0xf0, v12
	buffer_store_dword v0, off, s[0:3], s32 offset:288 ; 4-byte Folded Spill
	s_nop 0
	buffer_store_dword v1, off, s[0:3], s32 offset:292 ; 4-byte Folded Spill
	ds_read_b128 v[8:11], v3
	s_waitcnt lgkmcnt(0)
	buffer_store_dword v8, off, s[0:3], s32 offset:296 ; 4-byte Folded Spill
	s_nop 0
	buffer_store_dword v9, off, s[0:3], s32 offset:300 ; 4-byte Folded Spill
	buffer_store_dword v10, off, s[0:3], s32 offset:304 ; 4-byte Folded Spill
	buffer_store_dword v11, off, s[0:3], s32 offset:308 ; 4-byte Folded Spill
	ds_read_b128 v[8:11], v3 offset:16
	s_waitcnt lgkmcnt(0)
	buffer_store_dword v8, off, s[0:3], s32 offset:312 ; 4-byte Folded Spill
	s_nop 0
	buffer_store_dword v9, off, s[0:3], s32 offset:316 ; 4-byte Folded Spill
	buffer_store_dword v10, off, s[0:3], s32 offset:320 ; 4-byte Folded Spill
	buffer_store_dword v11, off, s[0:3], s32 offset:324 ; 4-byte Folded Spill
	ds_read_b128 v[8:11], v3 offset:32
	;; [unrolled: 7-line block ×5, first 2 shown]
	v_and_b32_e32 v1, 64, v4
	v_xor_b32_e32 v0, 1, v4
	v_add_u32_e32 v1, 64, v1
	v_cmp_lt_i32_e32 vcc, v0, v1
	v_cndmask_b32_e32 v0, v4, v0, vcc
	v_lshlrev_b32_e32 v0, 2, v0
	s_waitcnt lgkmcnt(0)
	buffer_store_dword v8, off, s[0:3], s32 offset:384 ; 4-byte Folded Spill
	s_nop 0
	buffer_store_dword v9, off, s[0:3], s32 offset:388 ; 4-byte Folded Spill
	buffer_store_dword v10, off, s[0:3], s32 offset:392 ; 4-byte Folded Spill
	;; [unrolled: 1-line block ×6, first 2 shown]
	buffer_load_dword v0, off, s[0:3], s32 offset:544 ; 4-byte Folded Reload
	s_nop 0
	buffer_load_dword v4, off, s[0:3], s32 offset:188 ; 4-byte Folded Reload
	buffer_load_dword v5, off, s[0:3], s32 offset:192 ; 4-byte Folded Reload
	;; [unrolled: 1-line block ×4, first 2 shown]
	ds_read_b128 v[8:11], v3 offset:96
	buffer_store_dword v28, off, s[0:3], s32 offset:632 ; 4-byte Folded Spill
	buffer_store_dword v15, off, s[0:3], s32 offset:636 ; 4-byte Folded Spill
	;; [unrolled: 1-line block ×3, first 2 shown]
	s_waitcnt vmcnt(7)
	v_cmp_neq_f32_e64 s[8:9], 0, v0
	s_waitcnt vmcnt(5)
	v_lshlrev_b64 v[0:1], 2, v[4:5]
	s_waitcnt vmcnt(4)
	v_add_co_u32_e32 v0, vcc, v6, v0
	s_waitcnt vmcnt(3)
	v_addc_co_u32_e32 v1, vcc, v7, v1, vcc
	v_add_co_u32_e32 v6, vcc, v28, v0
	v_lshlrev_b32_e32 v0, 5, v31
	v_add3_u32 v0, s23, v0, v2
	v_accvgpr_write_b32 a60, v0
	v_lshlrev_b32_e32 v0, 2, v2
	v_lshl_or_b32 v0, v31, 7, v0
	v_accvgpr_write_b32 a61, v0
	v_mov_b32_e32 v0, 0xff7fffff
	buffer_store_dword v0, off, s[0:3], s32 offset:280 ; 4-byte Folded Spill
	s_waitcnt lgkmcnt(0)
	buffer_store_dword v8, off, s[0:3], s32 offset:400 ; 4-byte Folded Spill
	s_nop 0
	buffer_store_dword v9, off, s[0:3], s32 offset:404 ; 4-byte Folded Spill
	buffer_store_dword v10, off, s[0:3], s32 offset:408 ; 4-byte Folded Spill
	buffer_store_dword v11, off, s[0:3], s32 offset:412 ; 4-byte Folded Spill
	ds_read_b128 v[8:11], v3 offset:112
	s_waitcnt lgkmcnt(0)
	buffer_store_dword v8, off, s[0:3], s32 offset:416 ; 4-byte Folded Spill
	s_nop 0
	buffer_store_dword v9, off, s[0:3], s32 offset:420 ; 4-byte Folded Spill
	buffer_store_dword v10, off, s[0:3], s32 offset:424 ; 4-byte Folded Spill
	buffer_store_dword v11, off, s[0:3], s32 offset:428 ; 4-byte Folded Spill
	ds_read_b128 v[8:11], v3 offset:128
	;; [unrolled: 7-line block ×7, first 2 shown]
	s_waitcnt lgkmcnt(0)
	buffer_store_dword v8, off, s[0:3], s32 offset:512 ; 4-byte Folded Spill
	s_nop 0
	buffer_store_dword v9, off, s[0:3], s32 offset:516 ; 4-byte Folded Spill
	buffer_store_dword v10, off, s[0:3], s32 offset:520 ; 4-byte Folded Spill
	;; [unrolled: 1-line block ×3, first 2 shown]
	v_addc_co_u32_e32 v7, vcc, v15, v1, vcc
	ds_read_b128 v[0:3], v3 offset:224
	v_mov_b32_e32 v28, v4
	s_waitcnt lgkmcnt(0)
	buffer_store_dword v0, off, s[0:3], s32 offset:528 ; 4-byte Folded Spill
	s_nop 0
	buffer_store_dword v1, off, s[0:3], s32 offset:532 ; 4-byte Folded Spill
	buffer_store_dword v2, off, s[0:3], s32 offset:536 ; 4-byte Folded Spill
	;; [unrolled: 1-line block ×3, first 2 shown]
	s_branch .LBB249_10
.LBB249_9:                              ;   in Loop: Header=BB249_10 Depth=1
	s_or_b64 exec, exec, s[34:35]
	buffer_load_dword v6, off, s[0:3], s32 offset:256 ; 4-byte Folded Reload
	buffer_load_dword v7, off, s[0:3], s32 offset:260 ; 4-byte Folded Reload
	v_accvgpr_read_b32 v0, a60
	v_add_u32_e32 v0, 64, v0
	v_accvgpr_write_b32 a60, v0
	buffer_load_dword v0, off, s[0:3], s32 offset:252 ; 4-byte Folded Reload
	v_add_u32_e32 v28, 2, v28
	s_waitcnt vmcnt(2)
	v_add_co_u32_e32 v6, vcc, 8, v6
	s_waitcnt vmcnt(1)
	v_addc_co_u32_e32 v7, vcc, 0, v7, vcc
	s_waitcnt vmcnt(0)
	v_cmp_ge_i32_e32 vcc, v28, v0
	v_accvgpr_read_b32 v0, a61
	v_add_u32_e32 v0, 0x100, v0
	s_or_b64 s[28:29], vcc, s[28:29]
	v_accvgpr_write_b32 a61, v0
	s_andn2_b64 exec, exec, s[28:29]
	s_cbranch_execz .LBB249_372
.LBB249_10:                             ; =>This Inner Loop Header: Depth=1
	buffer_store_dword v6, off, s[0:3], s32 offset:256 ; 4-byte Folded Spill
	s_nop 0
	buffer_store_dword v7, off, s[0:3], s32 offset:260 ; 4-byte Folded Spill
	v_pk_mov_b32 v[14:15], 0, 0
	flat_load_dword v0, v[6:7]
	buffer_load_dword v2, off, s[0:3], s32 offset:244 ; 4-byte Folded Reload
	buffer_load_dword v3, off, s[0:3], s32 offset:248 ; 4-byte Folded Reload
	;; [unrolled: 1-line block ×4, first 2 shown]
	s_waitcnt vmcnt(0) lgkmcnt(0)
	v_mad_i64_i32 v[0:1], vcc, v0, v2, v[4:5]
	buffer_load_dword v2, off, s[0:3], s32 offset:288 ; 4-byte Folded Reload
	buffer_load_dword v3, off, s[0:3], s32 offset:292 ; 4-byte Folded Reload
	s_waitcnt vmcnt(1)
	v_add_co_u32_e32 v32, vcc, v0, v2
	v_addc_co_u32_e32 v33, vcc, 0, v1, vcc
	flat_load_ushort v1, v[32:33]
	buffer_load_dword v2, off, s[0:3], s32 offset:272 ; 4-byte Folded Reload
	buffer_load_dword v3, off, s[0:3], s32 offset:276 ; 4-byte Folded Reload
	s_waitcnt vmcnt(0)
	flat_load_dword v0, v[2:3]
	s_waitcnt vmcnt(0) lgkmcnt(0)
	buffer_store_dword v0, off, s[0:3], s32 offset:264 ; 4-byte Folded Spill
	s_nop 0
	buffer_store_dword v1, off, s[0:3], s32 offset:268 ; 4-byte Folded Spill
	buffer_store_dword v14, off, s[0:3], s32 offset:196 ; 4-byte Folded Spill
	s_nop 0
	buffer_store_dword v15, off, s[0:3], s32 offset:200 ; 4-byte Folded Spill
	v_and_b32_e32 v0, 0xffff, v1
	v_cmp_ne_u16_sdwa vcc, v1, v29 src0_sel:BYTE_0 src1_sel:DWORD
	s_mov_b64 s[34:35], exec
	s_and_b64 vcc, s[34:35], vcc
	v_accvgpr_write_b32 a62, v28
	s_mov_b64 exec, vcc
	s_cbranch_execz .LBB249_16
; %bb.11:                               ;   in Loop: Header=BB249_10 Depth=1
	v_bfrev_b32_e32 v2, 1
	v_cmp_ne_u16_sdwa vcc, v0, s19 src0_sel:BYTE_0 src1_sel:DWORD
	v_mov_b32_e32 v3, 0
	buffer_store_dword v2, off, s[0:3], s32 offset:196 ; 4-byte Folded Spill
	s_nop 0
	buffer_store_dword v3, off, s[0:3], s32 offset:200 ; 4-byte Folded Spill
	s_and_saveexec_b64 s[36:37], vcc
	s_cbranch_execz .LBB249_15
; %bb.12:                               ;   in Loop: Header=BB249_10 Depth=1
	v_and_b32_e32 v1, 0x7f, v0
	v_mov_b32_e32 v2, 0x7f800001
	v_cmp_ne_u32_e32 vcc, s41, v1
	v_mov_b32_e32 v3, 0
	buffer_store_dword v2, off, s[0:3], s32 offset:196 ; 4-byte Folded Spill
	s_nop 0
	buffer_store_dword v3, off, s[0:3], s32 offset:200 ; 4-byte Folded Spill
	s_and_saveexec_b64 s[38:39], vcc
	s_cbranch_execz .LBB249_14
; %bb.13:                               ;   in Loop: Header=BB249_10 Depth=1
	v_and_b32_e32 v4, 7, v0
	v_ffbh_u32_e32 v2, v4
	v_min_u32_e32 v6, 32, v2
	v_subrev_u32_e32 v2, 28, v6
	v_lshlrev_b64 v[2:3], v2, v[0:1]
	v_lshrrev_b32_e32 v5, 3, v1
	v_sub_u32_e32 v3, 29, v6
	v_and_b32_e32 v2, 7, v2
	v_cmp_gt_u32_e32 vcc, 8, v1
	v_cndmask_b32_e32 v1, v5, v3, vcc
	v_cndmask_b32_e32 v2, v4, v2, vcc
	v_bfrev_b32_e32 v4, 60
	v_lshlrev_b32_e32 v2, 20, v2
	v_and_b32_sdwa v3, sext(v0), s25 dst_sel:DWORD dst_unused:UNUSED_PAD src0_sel:BYTE_0 src1_sel:DWORD
	v_lshl_add_u32 v1, v1, 23, v4
	v_or3_b32 v28, v3, v1, v2
	buffer_store_dword v28, off, s[0:3], s32 offset:196 ; 4-byte Folded Spill
	s_nop 0
	buffer_store_dword v29, off, s[0:3], s32 offset:200 ; 4-byte Folded Spill
	v_accvgpr_read_b32 v28, a62
.LBB249_14:                             ;   in Loop: Header=BB249_10 Depth=1
	s_or_b64 exec, exec, s[38:39]
.LBB249_15:                             ;   in Loop: Header=BB249_10 Depth=1
	s_or_b64 exec, exec, s[36:37]
.LBB249_16:                             ;   in Loop: Header=BB249_10 Depth=1
	s_or_b64 exec, exec, s[34:35]
	v_cmp_ne_u16_sdwa vcc, v0, v29 src0_sel:BYTE_1 src1_sel:DWORD
	s_and_saveexec_b64 s[34:35], vcc
	s_cbranch_execz .LBB249_22
; %bb.17:                               ;   in Loop: Header=BB249_10 Depth=1
	v_cmp_ne_u16_sdwa vcc, v0, s19 src0_sel:BYTE_1 src1_sel:DWORD
	v_pk_mov_b32 v[14:15], s[24:25], s[24:25] op_sel:[0,1]
	s_and_saveexec_b64 s[36:37], vcc
	s_cbranch_execz .LBB249_21
; %bb.18:                               ;   in Loop: Header=BB249_10 Depth=1
	v_and_b32_sdwa v1, v0, s41 dst_sel:DWORD dst_unused:UNUSED_PAD src0_sel:BYTE_1 src1_sel:DWORD
	s_mov_b32 s30, s24
	v_cmp_ne_u32_e32 vcc, s41, v1
	v_pk_mov_b32 v[14:15], s[30:31], s[30:31] op_sel:[0,1]
	s_and_saveexec_b64 s[38:39], vcc
	s_cbranch_execz .LBB249_20
; %bb.19:                               ;   in Loop: Header=BB249_10 Depth=1
	v_mov_b32_e32 v2, 7
	v_and_b32_sdwa v28, v0, v2 dst_sel:DWORD dst_unused:UNUSED_PAD src0_sel:BYTE_1 src1_sel:DWORD
	v_ffbh_u32_e32 v2, v28
	v_min_u32_e32 v5, 32, v2
	v_subrev_u32_e32 v2, 28, v5
	v_lshlrev_b64 v[2:3], v2, v[28:29]
	v_lshrrev_b32_e32 v4, 3, v1
	v_sub_u32_e32 v3, 29, v5
	v_cmp_gt_u32_e32 vcc, 8, v1
	v_and_b32_e32 v2, 7, v2
	v_cndmask_b32_e32 v1, v4, v3, vcc
	v_bfrev_b32_e32 v3, 60
	v_cndmask_b32_e32 v2, v28, v2, vcc
	v_lshlrev_b32_e32 v0, 16, v0
	v_lshl_add_u32 v1, v1, 23, v3
	v_and_or_b32 v0, v0, s25, v1
	v_lshlrev_b32_e32 v1, 20, v2
	v_accvgpr_read_b32 v28, a62
	v_or_b32_e32 v15, v0, v1
	v_mov_b32_e32 v14, v29
.LBB249_20:                             ;   in Loop: Header=BB249_10 Depth=1
	s_or_b64 exec, exec, s[38:39]
.LBB249_21:                             ;   in Loop: Header=BB249_10 Depth=1
	s_or_b64 exec, exec, s[36:37]
.LBB249_22:                             ;   in Loop: Header=BB249_10 Depth=1
	s_or_b64 exec, exec, s[34:35]
	flat_load_ushort v1, v[32:33] offset:4
	v_pk_mov_b32 v[42:43], 0, 0
	buffer_store_dword v42, off, s[0:3], s32 offset:204 ; 4-byte Folded Spill
	s_nop 0
	buffer_store_dword v43, off, s[0:3], s32 offset:208 ; 4-byte Folded Spill
	s_waitcnt vmcnt(0) lgkmcnt(0)
	v_and_b32_e32 v0, 0xffff, v1
	v_cmp_ne_u16_sdwa vcc, v1, v29 src0_sel:BYTE_0 src1_sel:DWORD
	s_and_saveexec_b64 s[34:35], vcc
	s_cbranch_execz .LBB249_28
; %bb.23:                               ;   in Loop: Header=BB249_10 Depth=1
	v_bfrev_b32_e32 v2, 1
	v_cmp_ne_u16_sdwa vcc, v0, s19 src0_sel:BYTE_0 src1_sel:DWORD
	v_mov_b32_e32 v3, 0
	buffer_store_dword v2, off, s[0:3], s32 offset:204 ; 4-byte Folded Spill
	s_nop 0
	buffer_store_dword v3, off, s[0:3], s32 offset:208 ; 4-byte Folded Spill
	s_and_saveexec_b64 s[36:37], vcc
	s_cbranch_execz .LBB249_27
; %bb.24:                               ;   in Loop: Header=BB249_10 Depth=1
	v_and_b32_e32 v1, 0x7f, v0
	v_mov_b32_e32 v2, 0x7f800001
	v_cmp_ne_u32_e32 vcc, s41, v1
	v_mov_b32_e32 v3, 0
	buffer_store_dword v2, off, s[0:3], s32 offset:204 ; 4-byte Folded Spill
	s_nop 0
	buffer_store_dword v3, off, s[0:3], s32 offset:208 ; 4-byte Folded Spill
	s_and_saveexec_b64 s[38:39], vcc
	s_cbranch_execz .LBB249_26
; %bb.25:                               ;   in Loop: Header=BB249_10 Depth=1
	v_and_b32_e32 v4, 7, v0
	v_ffbh_u32_e32 v2, v4
	v_min_u32_e32 v6, 32, v2
	v_subrev_u32_e32 v2, 28, v6
	v_lshlrev_b64 v[2:3], v2, v[0:1]
	v_lshrrev_b32_e32 v5, 3, v1
	v_sub_u32_e32 v3, 29, v6
	v_and_b32_e32 v2, 7, v2
	v_cmp_gt_u32_e32 vcc, 8, v1
	v_cndmask_b32_e32 v1, v5, v3, vcc
	v_cndmask_b32_e32 v2, v4, v2, vcc
	v_bfrev_b32_e32 v4, 60
	v_lshlrev_b32_e32 v2, 20, v2
	v_and_b32_sdwa v3, sext(v0), s25 dst_sel:DWORD dst_unused:UNUSED_PAD src0_sel:BYTE_0 src1_sel:DWORD
	v_lshl_add_u32 v1, v1, 23, v4
	v_or3_b32 v28, v3, v1, v2
	buffer_store_dword v28, off, s[0:3], s32 offset:204 ; 4-byte Folded Spill
	s_nop 0
	buffer_store_dword v29, off, s[0:3], s32 offset:208 ; 4-byte Folded Spill
	v_accvgpr_read_b32 v28, a62
.LBB249_26:                             ;   in Loop: Header=BB249_10 Depth=1
	s_or_b64 exec, exec, s[38:39]
.LBB249_27:                             ;   in Loop: Header=BB249_10 Depth=1
	s_or_b64 exec, exec, s[36:37]
.LBB249_28:                             ;   in Loop: Header=BB249_10 Depth=1
	s_or_b64 exec, exec, s[34:35]
	v_cmp_ne_u16_sdwa vcc, v0, v29 src0_sel:BYTE_1 src1_sel:DWORD
	s_and_saveexec_b64 s[34:35], vcc
	s_cbranch_execz .LBB249_34
; %bb.29:                               ;   in Loop: Header=BB249_10 Depth=1
	v_cmp_ne_u16_sdwa vcc, v0, s19 src0_sel:BYTE_1 src1_sel:DWORD
	v_pk_mov_b32 v[42:43], s[24:25], s[24:25] op_sel:[0,1]
	s_and_saveexec_b64 s[36:37], vcc
	s_cbranch_execz .LBB249_33
; %bb.30:                               ;   in Loop: Header=BB249_10 Depth=1
	v_and_b32_sdwa v1, v0, s41 dst_sel:DWORD dst_unused:UNUSED_PAD src0_sel:BYTE_1 src1_sel:DWORD
	s_mov_b32 s30, s24
	v_cmp_ne_u32_e32 vcc, s41, v1
	v_pk_mov_b32 v[42:43], s[30:31], s[30:31] op_sel:[0,1]
	s_and_saveexec_b64 s[38:39], vcc
	s_cbranch_execz .LBB249_32
; %bb.31:                               ;   in Loop: Header=BB249_10 Depth=1
	v_mov_b32_e32 v2, 7
	v_and_b32_sdwa v28, v0, v2 dst_sel:DWORD dst_unused:UNUSED_PAD src0_sel:BYTE_1 src1_sel:DWORD
	v_ffbh_u32_e32 v2, v28
	v_min_u32_e32 v5, 32, v2
	v_subrev_u32_e32 v2, 28, v5
	v_lshlrev_b64 v[2:3], v2, v[28:29]
	v_lshrrev_b32_e32 v4, 3, v1
	v_sub_u32_e32 v3, 29, v5
	v_cmp_gt_u32_e32 vcc, 8, v1
	v_and_b32_e32 v2, 7, v2
	v_cndmask_b32_e32 v1, v4, v3, vcc
	v_bfrev_b32_e32 v3, 60
	v_cndmask_b32_e32 v2, v28, v2, vcc
	v_lshlrev_b32_e32 v0, 16, v0
	v_lshl_add_u32 v1, v1, 23, v3
	v_and_or_b32 v0, v0, s25, v1
	v_lshlrev_b32_e32 v1, 20, v2
	v_accvgpr_read_b32 v28, a62
	v_or_b32_e32 v43, v0, v1
	v_mov_b32_e32 v42, v29
.LBB249_32:                             ;   in Loop: Header=BB249_10 Depth=1
	s_or_b64 exec, exec, s[38:39]
.LBB249_33:                             ;   in Loop: Header=BB249_10 Depth=1
	s_or_b64 exec, exec, s[36:37]
.LBB249_34:                             ;   in Loop: Header=BB249_10 Depth=1
	s_or_b64 exec, exec, s[34:35]
	flat_load_ushort v1, v[32:33] offset:8
	v_pk_mov_b32 v[2:3], 0, 0
	buffer_store_dword v2, off, s[0:3], s32 offset:220 ; 4-byte Folded Spill
	s_nop 0
	buffer_store_dword v3, off, s[0:3], s32 offset:224 ; 4-byte Folded Spill
	buffer_store_dword v2, off, s[0:3], s32 offset:212 ; 4-byte Folded Spill
	s_nop 0
	buffer_store_dword v3, off, s[0:3], s32 offset:216 ; 4-byte Folded Spill
	s_waitcnt vmcnt(0) lgkmcnt(0)
	v_and_b32_e32 v0, 0xffff, v1
	v_cmp_ne_u16_sdwa vcc, v1, v29 src0_sel:BYTE_0 src1_sel:DWORD
	s_and_saveexec_b64 s[34:35], vcc
	s_cbranch_execz .LBB249_40
; %bb.35:                               ;   in Loop: Header=BB249_10 Depth=1
	v_bfrev_b32_e32 v2, 1
	v_cmp_ne_u16_sdwa vcc, v0, s19 src0_sel:BYTE_0 src1_sel:DWORD
	v_mov_b32_e32 v3, 0
	buffer_store_dword v2, off, s[0:3], s32 offset:212 ; 4-byte Folded Spill
	s_nop 0
	buffer_store_dword v3, off, s[0:3], s32 offset:216 ; 4-byte Folded Spill
	s_and_saveexec_b64 s[36:37], vcc
	s_cbranch_execz .LBB249_39
; %bb.36:                               ;   in Loop: Header=BB249_10 Depth=1
	v_and_b32_e32 v1, 0x7f, v0
	v_mov_b32_e32 v2, 0x7f800001
	v_cmp_ne_u32_e32 vcc, s41, v1
	v_mov_b32_e32 v3, 0
	buffer_store_dword v2, off, s[0:3], s32 offset:212 ; 4-byte Folded Spill
	s_nop 0
	buffer_store_dword v3, off, s[0:3], s32 offset:216 ; 4-byte Folded Spill
	s_and_saveexec_b64 s[38:39], vcc
	s_cbranch_execz .LBB249_38
; %bb.37:                               ;   in Loop: Header=BB249_10 Depth=1
	v_and_b32_e32 v4, 7, v0
	v_ffbh_u32_e32 v2, v4
	v_min_u32_e32 v6, 32, v2
	v_subrev_u32_e32 v2, 28, v6
	v_lshlrev_b64 v[2:3], v2, v[0:1]
	v_lshrrev_b32_e32 v5, 3, v1
	v_sub_u32_e32 v3, 29, v6
	v_and_b32_e32 v2, 7, v2
	v_cmp_gt_u32_e32 vcc, 8, v1
	v_cndmask_b32_e32 v1, v5, v3, vcc
	v_cndmask_b32_e32 v2, v4, v2, vcc
	v_bfrev_b32_e32 v4, 60
	v_lshlrev_b32_e32 v2, 20, v2
	v_and_b32_sdwa v3, sext(v0), s25 dst_sel:DWORD dst_unused:UNUSED_PAD src0_sel:BYTE_0 src1_sel:DWORD
	v_lshl_add_u32 v1, v1, 23, v4
	v_or3_b32 v28, v3, v1, v2
	buffer_store_dword v28, off, s[0:3], s32 offset:212 ; 4-byte Folded Spill
	s_nop 0
	buffer_store_dword v29, off, s[0:3], s32 offset:216 ; 4-byte Folded Spill
	v_accvgpr_read_b32 v28, a62
.LBB249_38:                             ;   in Loop: Header=BB249_10 Depth=1
	s_or_b64 exec, exec, s[38:39]
.LBB249_39:                             ;   in Loop: Header=BB249_10 Depth=1
	s_or_b64 exec, exec, s[36:37]
.LBB249_40:                             ;   in Loop: Header=BB249_10 Depth=1
	s_or_b64 exec, exec, s[34:35]
	v_cmp_ne_u16_sdwa vcc, v0, v29 src0_sel:BYTE_1 src1_sel:DWORD
	s_and_saveexec_b64 s[34:35], vcc
	s_cbranch_execz .LBB249_46
; %bb.41:                               ;   in Loop: Header=BB249_10 Depth=1
	v_cmp_ne_u16_sdwa vcc, v0, s19 src0_sel:BYTE_1 src1_sel:DWORD
	v_pk_mov_b32 v[2:3], s[24:25], s[24:25] op_sel:[0,1]
	buffer_store_dword v2, off, s[0:3], s32 offset:220 ; 4-byte Folded Spill
	s_nop 0
	buffer_store_dword v3, off, s[0:3], s32 offset:224 ; 4-byte Folded Spill
	s_and_saveexec_b64 s[36:37], vcc
	s_cbranch_execz .LBB249_45
; %bb.42:                               ;   in Loop: Header=BB249_10 Depth=1
	v_and_b32_sdwa v1, v0, s41 dst_sel:DWORD dst_unused:UNUSED_PAD src0_sel:BYTE_1 src1_sel:DWORD
	s_mov_b32 s30, s24
	v_cmp_ne_u32_e32 vcc, s41, v1
	v_pk_mov_b32 v[2:3], s[30:31], s[30:31] op_sel:[0,1]
	buffer_store_dword v2, off, s[0:3], s32 offset:220 ; 4-byte Folded Spill
	s_nop 0
	buffer_store_dword v3, off, s[0:3], s32 offset:224 ; 4-byte Folded Spill
	s_and_saveexec_b64 s[38:39], vcc
	s_cbranch_execz .LBB249_44
; %bb.43:                               ;   in Loop: Header=BB249_10 Depth=1
	v_mov_b32_e32 v2, 7
	v_and_b32_sdwa v28, v0, v2 dst_sel:DWORD dst_unused:UNUSED_PAD src0_sel:BYTE_1 src1_sel:DWORD
	v_ffbh_u32_e32 v2, v28
	v_min_u32_e32 v5, 32, v2
	v_subrev_u32_e32 v2, 28, v5
	v_lshlrev_b64 v[2:3], v2, v[28:29]
	v_lshrrev_b32_e32 v4, 3, v1
	v_sub_u32_e32 v3, 29, v5
	v_cmp_gt_u32_e32 vcc, 8, v1
	v_and_b32_e32 v2, 7, v2
	v_cndmask_b32_e32 v1, v4, v3, vcc
	v_bfrev_b32_e32 v3, 60
	v_cndmask_b32_e32 v2, v28, v2, vcc
	v_lshlrev_b32_e32 v0, 16, v0
	v_lshl_add_u32 v1, v1, 23, v3
	v_and_or_b32 v0, v0, s25, v1
	v_lshlrev_b32_e32 v1, 20, v2
	v_accvgpr_read_b32 v28, a62
	v_or_b32_e32 v1, v0, v1
	v_mov_b32_e32 v0, v29
	buffer_store_dword v0, off, s[0:3], s32 offset:220 ; 4-byte Folded Spill
	s_nop 0
	buffer_store_dword v1, off, s[0:3], s32 offset:224 ; 4-byte Folded Spill
.LBB249_44:                             ;   in Loop: Header=BB249_10 Depth=1
	s_or_b64 exec, exec, s[38:39]
.LBB249_45:                             ;   in Loop: Header=BB249_10 Depth=1
	s_or_b64 exec, exec, s[36:37]
.LBB249_46:                             ;   in Loop: Header=BB249_10 Depth=1
	s_or_b64 exec, exec, s[34:35]
	flat_load_ushort v1, v[32:33] offset:12
	v_pk_mov_b32 v[2:3], 0, 0
	buffer_store_dword v2, off, s[0:3], s32 offset:236 ; 4-byte Folded Spill
	s_nop 0
	buffer_store_dword v3, off, s[0:3], s32 offset:240 ; 4-byte Folded Spill
	buffer_store_dword v2, off, s[0:3], s32 offset:228 ; 4-byte Folded Spill
	s_nop 0
	buffer_store_dword v3, off, s[0:3], s32 offset:232 ; 4-byte Folded Spill
	s_waitcnt vmcnt(0) lgkmcnt(0)
	v_and_b32_e32 v0, 0xffff, v1
	v_cmp_ne_u16_sdwa vcc, v1, v29 src0_sel:BYTE_0 src1_sel:DWORD
	s_and_saveexec_b64 s[34:35], vcc
	s_cbranch_execz .LBB249_52
; %bb.47:                               ;   in Loop: Header=BB249_10 Depth=1
	v_bfrev_b32_e32 v2, 1
	v_cmp_ne_u16_sdwa vcc, v0, s19 src0_sel:BYTE_0 src1_sel:DWORD
	v_mov_b32_e32 v3, 0
	buffer_store_dword v2, off, s[0:3], s32 offset:228 ; 4-byte Folded Spill
	s_nop 0
	buffer_store_dword v3, off, s[0:3], s32 offset:232 ; 4-byte Folded Spill
	s_and_saveexec_b64 s[36:37], vcc
	s_cbranch_execz .LBB249_51
; %bb.48:                               ;   in Loop: Header=BB249_10 Depth=1
	v_and_b32_e32 v1, 0x7f, v0
	v_mov_b32_e32 v2, 0x7f800001
	v_cmp_ne_u32_e32 vcc, s41, v1
	v_mov_b32_e32 v3, 0
	buffer_store_dword v2, off, s[0:3], s32 offset:228 ; 4-byte Folded Spill
	s_nop 0
	buffer_store_dword v3, off, s[0:3], s32 offset:232 ; 4-byte Folded Spill
	s_and_saveexec_b64 s[38:39], vcc
	s_cbranch_execz .LBB249_50
; %bb.49:                               ;   in Loop: Header=BB249_10 Depth=1
	v_and_b32_e32 v4, 7, v0
	v_lshrrev_b32_e32 v5, 3, v1
	v_cmp_gt_u32_e32 vcc, 8, v1
	v_ffbh_u32_e32 v1, v4
	v_min_u32_e32 v1, 32, v1
	v_subrev_u32_e32 v2, 28, v1
	v_lshlrev_b64 v[2:3], v2, v[0:1]
	v_sub_u32_e32 v1, 29, v1
	v_and_b32_e32 v2, 7, v2
	v_cndmask_b32_e32 v1, v5, v1, vcc
	v_cndmask_b32_e32 v2, v4, v2, vcc
	v_bfrev_b32_e32 v4, 60
	v_lshlrev_b32_e32 v2, 20, v2
	v_and_b32_sdwa v3, sext(v0), s25 dst_sel:DWORD dst_unused:UNUSED_PAD src0_sel:BYTE_0 src1_sel:DWORD
	v_lshl_add_u32 v1, v1, 23, v4
	v_or3_b32 v28, v3, v1, v2
	buffer_store_dword v28, off, s[0:3], s32 offset:228 ; 4-byte Folded Spill
	s_nop 0
	buffer_store_dword v29, off, s[0:3], s32 offset:232 ; 4-byte Folded Spill
	v_accvgpr_read_b32 v28, a62
.LBB249_50:                             ;   in Loop: Header=BB249_10 Depth=1
	s_or_b64 exec, exec, s[38:39]
.LBB249_51:                             ;   in Loop: Header=BB249_10 Depth=1
	s_or_b64 exec, exec, s[36:37]
.LBB249_52:                             ;   in Loop: Header=BB249_10 Depth=1
	s_or_b64 exec, exec, s[34:35]
	v_cmp_ne_u16_sdwa vcc, v0, v29 src0_sel:BYTE_1 src1_sel:DWORD
	s_and_saveexec_b64 s[34:35], vcc
	s_cbranch_execz .LBB249_58
; %bb.53:                               ;   in Loop: Header=BB249_10 Depth=1
	v_cmp_ne_u16_sdwa vcc, v0, s19 src0_sel:BYTE_1 src1_sel:DWORD
	v_pk_mov_b32 v[2:3], s[24:25], s[24:25] op_sel:[0,1]
	buffer_store_dword v2, off, s[0:3], s32 offset:236 ; 4-byte Folded Spill
	s_nop 0
	buffer_store_dword v3, off, s[0:3], s32 offset:240 ; 4-byte Folded Spill
	s_and_saveexec_b64 s[36:37], vcc
	s_cbranch_execz .LBB249_57
; %bb.54:                               ;   in Loop: Header=BB249_10 Depth=1
	v_and_b32_sdwa v1, v0, s41 dst_sel:DWORD dst_unused:UNUSED_PAD src0_sel:BYTE_1 src1_sel:DWORD
	s_mov_b32 s30, s24
	v_cmp_ne_u32_e32 vcc, s41, v1
	v_pk_mov_b32 v[2:3], s[30:31], s[30:31] op_sel:[0,1]
	buffer_store_dword v2, off, s[0:3], s32 offset:236 ; 4-byte Folded Spill
	s_nop 0
	buffer_store_dword v3, off, s[0:3], s32 offset:240 ; 4-byte Folded Spill
	s_and_saveexec_b64 s[38:39], vcc
	s_cbranch_execz .LBB249_56
; %bb.55:                               ;   in Loop: Header=BB249_10 Depth=1
	v_mov_b32_e32 v2, 7
	v_and_b32_sdwa v28, v0, v2 dst_sel:DWORD dst_unused:UNUSED_PAD src0_sel:BYTE_1 src1_sel:DWORD
	v_lshrrev_b32_e32 v4, 3, v1
	v_cmp_gt_u32_e32 vcc, 8, v1
	v_ffbh_u32_e32 v1, v28
	v_min_u32_e32 v1, 32, v1
	v_subrev_u32_e32 v2, 28, v1
	v_lshlrev_b64 v[2:3], v2, v[28:29]
	v_sub_u32_e32 v1, 29, v1
	v_and_b32_e32 v2, 7, v2
	v_cndmask_b32_e32 v1, v4, v1, vcc
	v_bfrev_b32_e32 v3, 60
	v_cndmask_b32_e32 v2, v28, v2, vcc
	v_lshlrev_b32_e32 v0, 16, v0
	v_lshl_add_u32 v1, v1, 23, v3
	v_and_or_b32 v0, v0, s25, v1
	v_lshlrev_b32_e32 v1, 20, v2
	v_accvgpr_read_b32 v28, a62
	v_or_b32_e32 v1, v0, v1
	v_mov_b32_e32 v0, v29
	buffer_store_dword v0, off, s[0:3], s32 offset:236 ; 4-byte Folded Spill
	s_nop 0
	buffer_store_dword v1, off, s[0:3], s32 offset:240 ; 4-byte Folded Spill
.LBB249_56:                             ;   in Loop: Header=BB249_10 Depth=1
	s_or_b64 exec, exec, s[38:39]
.LBB249_57:                             ;   in Loop: Header=BB249_10 Depth=1
	s_or_b64 exec, exec, s[36:37]
.LBB249_58:                             ;   in Loop: Header=BB249_10 Depth=1
	s_or_b64 exec, exec, s[34:35]
	flat_load_ushort v1, v[32:33] offset:512
	v_pk_mov_b32 v[2:3], 0, 0
	v_accvgpr_write_b32 a57, v3
	v_accvgpr_write_b32 a19, v3
	;; [unrolled: 1-line block ×4, first 2 shown]
	s_waitcnt vmcnt(0) lgkmcnt(0)
	v_and_b32_e32 v0, 0xffff, v1
	v_cmp_ne_u16_sdwa vcc, v1, v29 src0_sel:BYTE_0 src1_sel:DWORD
	s_and_saveexec_b64 s[34:35], vcc
	s_cbranch_execz .LBB249_64
; %bb.59:                               ;   in Loop: Header=BB249_10 Depth=1
	v_bfrev_b32_e32 v2, 1
	v_mov_b32_e32 v3, 0
	v_accvgpr_write_b32 a19, v3
	v_cmp_ne_u16_sdwa vcc, v0, s19 src0_sel:BYTE_0 src1_sel:DWORD
	v_accvgpr_write_b32 a18, v2
	s_and_saveexec_b64 s[36:37], vcc
	s_cbranch_execz .LBB249_63
; %bb.60:                               ;   in Loop: Header=BB249_10 Depth=1
	v_mov_b32_e32 v2, 0x7f800001
	v_mov_b32_e32 v3, 0
	v_and_b32_e32 v1, 0x7f, v0
	v_accvgpr_write_b32 a19, v3
	v_cmp_ne_u32_e32 vcc, s41, v1
	v_accvgpr_write_b32 a18, v2
	s_and_saveexec_b64 s[38:39], vcc
	s_cbranch_execz .LBB249_62
; %bb.61:                               ;   in Loop: Header=BB249_10 Depth=1
	v_and_b32_e32 v4, 7, v0
	v_lshrrev_b32_e32 v5, 3, v1
	v_cmp_gt_u32_e32 vcc, 8, v1
	v_ffbh_u32_e32 v1, v4
	v_min_u32_e32 v1, 32, v1
	v_subrev_u32_e32 v2, 28, v1
	v_lshlrev_b64 v[2:3], v2, v[0:1]
	v_sub_u32_e32 v1, 29, v1
	v_and_b32_e32 v2, 7, v2
	v_cndmask_b32_e32 v1, v5, v1, vcc
	v_cndmask_b32_e32 v2, v4, v2, vcc
	v_bfrev_b32_e32 v4, 60
	v_lshlrev_b32_e32 v2, 20, v2
	v_and_b32_sdwa v3, sext(v0), s25 dst_sel:DWORD dst_unused:UNUSED_PAD src0_sel:BYTE_0 src1_sel:DWORD
	v_lshl_add_u32 v1, v1, 23, v4
	v_or3_b32 v28, v3, v1, v2
	v_accvgpr_write_b32 a18, v28
	v_accvgpr_write_b32 a19, v29
	v_accvgpr_read_b32 v28, a62
.LBB249_62:                             ;   in Loop: Header=BB249_10 Depth=1
	s_or_b64 exec, exec, s[38:39]
.LBB249_63:                             ;   in Loop: Header=BB249_10 Depth=1
	s_or_b64 exec, exec, s[36:37]
.LBB249_64:                             ;   in Loop: Header=BB249_10 Depth=1
	s_or_b64 exec, exec, s[34:35]
	v_cmp_ne_u16_sdwa vcc, v0, v29 src0_sel:BYTE_1 src1_sel:DWORD
	s_and_saveexec_b64 s[34:35], vcc
	s_cbranch_execz .LBB249_70
; %bb.65:                               ;   in Loop: Header=BB249_10 Depth=1
	v_accvgpr_write_b32 a57, s25
	v_cmp_ne_u16_sdwa vcc, v0, s19 src0_sel:BYTE_1 src1_sel:DWORD
	v_accvgpr_write_b32 a56, s24
	s_and_saveexec_b64 s[36:37], vcc
	s_cbranch_execz .LBB249_69
; %bb.66:                               ;   in Loop: Header=BB249_10 Depth=1
	v_and_b32_sdwa v1, v0, s41 dst_sel:DWORD dst_unused:UNUSED_PAD src0_sel:BYTE_1 src1_sel:DWORD
	s_mov_b32 s30, s24
	v_accvgpr_write_b32 a57, s31
	v_cmp_ne_u32_e32 vcc, s41, v1
	v_accvgpr_write_b32 a56, s30
	s_and_saveexec_b64 s[38:39], vcc
	s_cbranch_execz .LBB249_68
; %bb.67:                               ;   in Loop: Header=BB249_10 Depth=1
	v_mov_b32_e32 v2, 7
	v_and_b32_sdwa v28, v0, v2 dst_sel:DWORD dst_unused:UNUSED_PAD src0_sel:BYTE_1 src1_sel:DWORD
	v_lshrrev_b32_e32 v4, 3, v1
	v_cmp_gt_u32_e32 vcc, 8, v1
	v_ffbh_u32_e32 v1, v28
	v_min_u32_e32 v1, 32, v1
	v_subrev_u32_e32 v2, 28, v1
	v_lshlrev_b64 v[2:3], v2, v[28:29]
	v_sub_u32_e32 v1, 29, v1
	v_and_b32_e32 v2, 7, v2
	v_cndmask_b32_e32 v1, v4, v1, vcc
	v_bfrev_b32_e32 v3, 60
	v_cndmask_b32_e32 v2, v28, v2, vcc
	v_lshlrev_b32_e32 v0, 16, v0
	v_lshl_add_u32 v1, v1, 23, v3
	v_and_or_b32 v0, v0, s25, v1
	v_lshlrev_b32_e32 v1, 20, v2
	v_or_b32_e32 v1, v0, v1
	v_mov_b32_e32 v0, v29
	v_accvgpr_write_b32 a57, v1
	v_accvgpr_read_b32 v28, a62
	v_accvgpr_write_b32 a56, v0
.LBB249_68:                             ;   in Loop: Header=BB249_10 Depth=1
	s_or_b64 exec, exec, s[38:39]
.LBB249_69:                             ;   in Loop: Header=BB249_10 Depth=1
	s_or_b64 exec, exec, s[36:37]
.LBB249_70:                             ;   in Loop: Header=BB249_10 Depth=1
	s_or_b64 exec, exec, s[34:35]
	flat_load_ushort v1, v[32:33] offset:516
	v_pk_mov_b32 v[2:3], 0, 0
	v_accvgpr_write_b32 a21, v3
	v_accvgpr_write_b32 a0, v2
	v_accvgpr_write_b32 a20, v2
	v_accvgpr_write_b32 a1, v3
	s_waitcnt vmcnt(0) lgkmcnt(0)
	v_and_b32_e32 v0, 0xffff, v1
	v_cmp_ne_u16_sdwa vcc, v1, v29 src0_sel:BYTE_0 src1_sel:DWORD
	s_and_saveexec_b64 s[34:35], vcc
	s_cbranch_execz .LBB249_76
; %bb.71:                               ;   in Loop: Header=BB249_10 Depth=1
	v_bfrev_b32_e32 v2, 1
	v_mov_b32_e32 v3, 0
	v_accvgpr_write_b32 a0, v2
	v_cmp_ne_u16_sdwa vcc, v0, s19 src0_sel:BYTE_0 src1_sel:DWORD
	v_accvgpr_write_b32 a1, v3
	s_and_saveexec_b64 s[36:37], vcc
	s_cbranch_execz .LBB249_75
; %bb.72:                               ;   in Loop: Header=BB249_10 Depth=1
	v_mov_b32_e32 v2, 0x7f800001
	v_and_b32_e32 v1, 0x7f, v0
	v_mov_b32_e32 v3, 0
	v_accvgpr_write_b32 a0, v2
	v_cmp_ne_u32_e32 vcc, s41, v1
	v_accvgpr_write_b32 a1, v3
	s_and_saveexec_b64 s[38:39], vcc
	s_cbranch_execz .LBB249_74
; %bb.73:                               ;   in Loop: Header=BB249_10 Depth=1
	v_and_b32_e32 v4, 7, v0
	v_lshrrev_b32_e32 v5, 3, v1
	v_cmp_gt_u32_e32 vcc, 8, v1
	v_ffbh_u32_e32 v1, v4
	v_min_u32_e32 v1, 32, v1
	v_subrev_u32_e32 v2, 28, v1
	v_lshlrev_b64 v[2:3], v2, v[0:1]
	v_sub_u32_e32 v1, 29, v1
	v_and_b32_e32 v2, 7, v2
	v_cndmask_b32_e32 v1, v5, v1, vcc
	v_cndmask_b32_e32 v2, v4, v2, vcc
	v_bfrev_b32_e32 v4, 60
	v_lshlrev_b32_e32 v2, 20, v2
	v_and_b32_sdwa v3, sext(v0), s25 dst_sel:DWORD dst_unused:UNUSED_PAD src0_sel:BYTE_0 src1_sel:DWORD
	v_lshl_add_u32 v1, v1, 23, v4
	v_or3_b32 v28, v3, v1, v2
	v_accvgpr_write_b32 a0, v28
	v_accvgpr_write_b32 a1, v29
	v_accvgpr_read_b32 v28, a62
.LBB249_74:                             ;   in Loop: Header=BB249_10 Depth=1
	s_or_b64 exec, exec, s[38:39]
.LBB249_75:                             ;   in Loop: Header=BB249_10 Depth=1
	s_or_b64 exec, exec, s[36:37]
.LBB249_76:                             ;   in Loop: Header=BB249_10 Depth=1
	s_or_b64 exec, exec, s[34:35]
	v_cmp_ne_u16_sdwa vcc, v0, v29 src0_sel:BYTE_1 src1_sel:DWORD
	s_and_saveexec_b64 s[34:35], vcc
	s_cbranch_execz .LBB249_82
; %bb.77:                               ;   in Loop: Header=BB249_10 Depth=1
	v_accvgpr_write_b32 a20, s24
	v_cmp_ne_u16_sdwa vcc, v0, s19 src0_sel:BYTE_1 src1_sel:DWORD
	v_accvgpr_write_b32 a21, s25
	s_and_saveexec_b64 s[36:37], vcc
	s_cbranch_execz .LBB249_81
; %bb.78:                               ;   in Loop: Header=BB249_10 Depth=1
	s_mov_b32 s30, s24
	v_and_b32_sdwa v1, v0, s41 dst_sel:DWORD dst_unused:UNUSED_PAD src0_sel:BYTE_1 src1_sel:DWORD
	v_accvgpr_write_b32 a20, s30
	v_cmp_ne_u32_e32 vcc, s41, v1
	v_accvgpr_write_b32 a21, s31
	s_and_saveexec_b64 s[38:39], vcc
	s_cbranch_execz .LBB249_80
; %bb.79:                               ;   in Loop: Header=BB249_10 Depth=1
	v_mov_b32_e32 v2, 7
	v_and_b32_sdwa v28, v0, v2 dst_sel:DWORD dst_unused:UNUSED_PAD src0_sel:BYTE_1 src1_sel:DWORD
	v_lshrrev_b32_e32 v4, 3, v1
	v_cmp_gt_u32_e32 vcc, 8, v1
	v_ffbh_u32_e32 v1, v28
	v_min_u32_e32 v1, 32, v1
	v_subrev_u32_e32 v2, 28, v1
	v_lshlrev_b64 v[2:3], v2, v[28:29]
	v_sub_u32_e32 v1, 29, v1
	v_and_b32_e32 v2, 7, v2
	v_cndmask_b32_e32 v1, v4, v1, vcc
	v_bfrev_b32_e32 v3, 60
	v_cndmask_b32_e32 v2, v28, v2, vcc
	v_lshlrev_b32_e32 v0, 16, v0
	v_lshl_add_u32 v1, v1, 23, v3
	v_and_or_b32 v0, v0, s25, v1
	v_lshlrev_b32_e32 v1, 20, v2
	v_or_b32_e32 v1, v0, v1
	v_mov_b32_e32 v0, v29
	v_accvgpr_write_b32 a21, v1
	v_accvgpr_read_b32 v28, a62
	v_accvgpr_write_b32 a20, v0
.LBB249_80:                             ;   in Loop: Header=BB249_10 Depth=1
	s_or_b64 exec, exec, s[38:39]
.LBB249_81:                             ;   in Loop: Header=BB249_10 Depth=1
	s_or_b64 exec, exec, s[36:37]
.LBB249_82:                             ;   in Loop: Header=BB249_10 Depth=1
	s_or_b64 exec, exec, s[34:35]
	v_add_co_u32_e32 v0, vcc, 0x200, v32
	v_addc_co_u32_e32 v1, vcc, 0, v33, vcc
	flat_load_ushort v3, v[0:1] offset:8
	v_pk_mov_b32 v[4:5], 0, 0
	v_accvgpr_write_b32 a2, v4
	v_accvgpr_write_b32 a15, v5
	;; [unrolled: 1-line block ×4, first 2 shown]
	s_waitcnt vmcnt(0) lgkmcnt(0)
	v_and_b32_e32 v2, 0xffff, v3
	v_cmp_ne_u16_sdwa vcc, v3, v29 src0_sel:BYTE_0 src1_sel:DWORD
	s_and_saveexec_b64 s[34:35], vcc
	s_cbranch_execz .LBB249_88
; %bb.83:                               ;   in Loop: Header=BB249_10 Depth=1
	v_bfrev_b32_e32 v4, 1
	v_mov_b32_e32 v5, 0
	v_accvgpr_write_b32 a15, v5
	v_cmp_ne_u16_sdwa vcc, v2, s19 src0_sel:BYTE_0 src1_sel:DWORD
	v_accvgpr_write_b32 a14, v4
	s_and_saveexec_b64 s[36:37], vcc
	s_cbranch_execz .LBB249_87
; %bb.84:                               ;   in Loop: Header=BB249_10 Depth=1
	v_mov_b32_e32 v4, 0x7f800001
	v_mov_b32_e32 v5, 0
	v_and_b32_e32 v3, 0x7f, v2
	v_accvgpr_write_b32 a15, v5
	v_cmp_ne_u32_e32 vcc, s41, v3
	v_accvgpr_write_b32 a14, v4
	s_and_saveexec_b64 s[38:39], vcc
	s_cbranch_execz .LBB249_86
; %bb.85:                               ;   in Loop: Header=BB249_10 Depth=1
	v_and_b32_e32 v4, 7, v2
	v_lshrrev_b32_e32 v5, 3, v3
	v_cmp_gt_u32_e32 vcc, 8, v3
	v_ffbh_u32_e32 v3, v4
	v_min_u32_e32 v3, 32, v3
	v_subrev_u32_e32 v6, 28, v3
	v_lshlrev_b64 v[6:7], v6, v[2:3]
	v_sub_u32_e32 v3, 29, v3
	v_and_b32_e32 v6, 7, v6
	v_cndmask_b32_e32 v3, v5, v3, vcc
	v_cndmask_b32_e32 v4, v4, v6, vcc
	v_bfrev_b32_e32 v6, 60
	v_lshlrev_b32_e32 v4, 20, v4
	v_and_b32_sdwa v5, sext(v2), s25 dst_sel:DWORD dst_unused:UNUSED_PAD src0_sel:BYTE_0 src1_sel:DWORD
	v_lshl_add_u32 v3, v3, 23, v6
	v_or3_b32 v28, v5, v3, v4
	v_accvgpr_write_b32 a14, v28
	v_accvgpr_write_b32 a15, v29
	v_accvgpr_read_b32 v28, a62
.LBB249_86:                             ;   in Loop: Header=BB249_10 Depth=1
	s_or_b64 exec, exec, s[38:39]
.LBB249_87:                             ;   in Loop: Header=BB249_10 Depth=1
	s_or_b64 exec, exec, s[36:37]
.LBB249_88:                             ;   in Loop: Header=BB249_10 Depth=1
	s_or_b64 exec, exec, s[34:35]
	v_cmp_ne_u16_sdwa vcc, v2, v29 src0_sel:BYTE_1 src1_sel:DWORD
	s_and_saveexec_b64 s[34:35], vcc
	s_cbranch_execz .LBB249_94
; %bb.89:                               ;   in Loop: Header=BB249_10 Depth=1
	v_accvgpr_write_b32 a2, s24
	v_cmp_ne_u16_sdwa vcc, v2, s19 src0_sel:BYTE_1 src1_sel:DWORD
	v_accvgpr_write_b32 a3, s25
	s_and_saveexec_b64 s[36:37], vcc
	s_cbranch_execz .LBB249_93
; %bb.90:                               ;   in Loop: Header=BB249_10 Depth=1
	s_mov_b32 s30, s24
	v_and_b32_sdwa v3, v2, s41 dst_sel:DWORD dst_unused:UNUSED_PAD src0_sel:BYTE_1 src1_sel:DWORD
	v_accvgpr_write_b32 a2, s30
	v_cmp_ne_u32_e32 vcc, s41, v3
	v_accvgpr_write_b32 a3, s31
	s_and_saveexec_b64 s[38:39], vcc
	s_cbranch_execz .LBB249_92
; %bb.91:                               ;   in Loop: Header=BB249_10 Depth=1
	v_mov_b32_e32 v4, 7
	v_and_b32_sdwa v28, v2, v4 dst_sel:DWORD dst_unused:UNUSED_PAD src0_sel:BYTE_1 src1_sel:DWORD
	v_lshrrev_b32_e32 v4, 3, v3
	v_cmp_gt_u32_e32 vcc, 8, v3
	v_ffbh_u32_e32 v3, v28
	v_min_u32_e32 v3, 32, v3
	v_subrev_u32_e32 v5, 28, v3
	v_lshlrev_b64 v[6:7], v5, v[28:29]
	v_sub_u32_e32 v3, 29, v3
	v_and_b32_e32 v5, 7, v6
	v_cndmask_b32_e32 v3, v4, v3, vcc
	v_cndmask_b32_e32 v4, v28, v5, vcc
	v_bfrev_b32_e32 v5, 60
	v_lshlrev_b32_e32 v2, 16, v2
	v_lshl_add_u32 v3, v3, 23, v5
	v_and_or_b32 v2, v2, s25, v3
	v_lshlrev_b32_e32 v3, 20, v4
	v_or_b32_e32 v3, v2, v3
	v_mov_b32_e32 v2, v29
	v_accvgpr_write_b32 a2, v2
	v_accvgpr_read_b32 v28, a62
	v_accvgpr_write_b32 a3, v3
.LBB249_92:                             ;   in Loop: Header=BB249_10 Depth=1
	s_or_b64 exec, exec, s[38:39]
.LBB249_93:                             ;   in Loop: Header=BB249_10 Depth=1
	s_or_b64 exec, exec, s[36:37]
.LBB249_94:                             ;   in Loop: Header=BB249_10 Depth=1
	s_or_b64 exec, exec, s[34:35]
	flat_load_ushort v1, v[0:1] offset:12
	v_pk_mov_b32 v[2:3], 0, 0
	v_accvgpr_write_b32 a17, v3
	v_accvgpr_write_b32 a5, v3
	;; [unrolled: 1-line block ×4, first 2 shown]
	s_waitcnt vmcnt(0) lgkmcnt(0)
	v_and_b32_e32 v0, 0xffff, v1
	v_cmp_ne_u16_sdwa vcc, v1, v29 src0_sel:BYTE_0 src1_sel:DWORD
	s_and_saveexec_b64 s[34:35], vcc
	s_cbranch_execz .LBB249_100
; %bb.95:                               ;   in Loop: Header=BB249_10 Depth=1
	v_bfrev_b32_e32 v2, 1
	v_mov_b32_e32 v3, 0
	v_accvgpr_write_b32 a5, v3
	v_cmp_ne_u16_sdwa vcc, v0, s19 src0_sel:BYTE_0 src1_sel:DWORD
	v_accvgpr_write_b32 a4, v2
	s_and_saveexec_b64 s[36:37], vcc
	s_cbranch_execz .LBB249_99
; %bb.96:                               ;   in Loop: Header=BB249_10 Depth=1
	v_mov_b32_e32 v2, 0x7f800001
	v_mov_b32_e32 v3, 0
	v_and_b32_e32 v1, 0x7f, v0
	v_accvgpr_write_b32 a5, v3
	v_cmp_ne_u32_e32 vcc, s41, v1
	v_accvgpr_write_b32 a4, v2
	s_and_saveexec_b64 s[38:39], vcc
	s_cbranch_execz .LBB249_98
; %bb.97:                               ;   in Loop: Header=BB249_10 Depth=1
	v_and_b32_e32 v4, 7, v0
	v_lshrrev_b32_e32 v5, 3, v1
	v_cmp_gt_u32_e32 vcc, 8, v1
	v_ffbh_u32_e32 v1, v4
	v_min_u32_e32 v1, 32, v1
	v_subrev_u32_e32 v2, 28, v1
	v_lshlrev_b64 v[2:3], v2, v[0:1]
	v_sub_u32_e32 v1, 29, v1
	v_and_b32_e32 v2, 7, v2
	v_cndmask_b32_e32 v1, v5, v1, vcc
	v_cndmask_b32_e32 v2, v4, v2, vcc
	v_bfrev_b32_e32 v4, 60
	v_lshlrev_b32_e32 v2, 20, v2
	v_and_b32_sdwa v3, sext(v0), s25 dst_sel:DWORD dst_unused:UNUSED_PAD src0_sel:BYTE_0 src1_sel:DWORD
	v_lshl_add_u32 v1, v1, 23, v4
	v_or3_b32 v28, v3, v1, v2
	v_accvgpr_write_b32 a4, v28
	v_accvgpr_write_b32 a5, v29
	v_accvgpr_read_b32 v28, a62
.LBB249_98:                             ;   in Loop: Header=BB249_10 Depth=1
	s_or_b64 exec, exec, s[38:39]
.LBB249_99:                             ;   in Loop: Header=BB249_10 Depth=1
	s_or_b64 exec, exec, s[36:37]
.LBB249_100:                            ;   in Loop: Header=BB249_10 Depth=1
	s_or_b64 exec, exec, s[34:35]
	v_cmp_ne_u16_sdwa vcc, v0, v29 src0_sel:BYTE_1 src1_sel:DWORD
	s_and_saveexec_b64 s[34:35], vcc
	s_cbranch_execz .LBB249_106
; %bb.101:                              ;   in Loop: Header=BB249_10 Depth=1
	v_accvgpr_write_b32 a16, s24
	v_cmp_ne_u16_sdwa vcc, v0, s19 src0_sel:BYTE_1 src1_sel:DWORD
	v_accvgpr_write_b32 a17, s25
	s_and_saveexec_b64 s[36:37], vcc
	s_cbranch_execz .LBB249_105
; %bb.102:                              ;   in Loop: Header=BB249_10 Depth=1
	s_mov_b32 s30, s24
	v_and_b32_sdwa v1, v0, s41 dst_sel:DWORD dst_unused:UNUSED_PAD src0_sel:BYTE_1 src1_sel:DWORD
	v_accvgpr_write_b32 a16, s30
	v_cmp_ne_u32_e32 vcc, s41, v1
	v_accvgpr_write_b32 a17, s31
	s_and_saveexec_b64 s[38:39], vcc
	s_cbranch_execz .LBB249_104
; %bb.103:                              ;   in Loop: Header=BB249_10 Depth=1
	v_mov_b32_e32 v2, 7
	v_and_b32_sdwa v28, v0, v2 dst_sel:DWORD dst_unused:UNUSED_PAD src0_sel:BYTE_1 src1_sel:DWORD
	v_lshrrev_b32_e32 v4, 3, v1
	v_cmp_gt_u32_e32 vcc, 8, v1
	v_ffbh_u32_e32 v1, v28
	v_min_u32_e32 v1, 32, v1
	v_subrev_u32_e32 v2, 28, v1
	v_lshlrev_b64 v[2:3], v2, v[28:29]
	v_sub_u32_e32 v1, 29, v1
	v_and_b32_e32 v2, 7, v2
	v_cndmask_b32_e32 v1, v4, v1, vcc
	v_bfrev_b32_e32 v3, 60
	v_cndmask_b32_e32 v2, v28, v2, vcc
	v_lshlrev_b32_e32 v0, 16, v0
	v_lshl_add_u32 v1, v1, 23, v3
	v_and_or_b32 v0, v0, s25, v1
	v_lshlrev_b32_e32 v1, 20, v2
	v_or_b32_e32 v1, v0, v1
	v_mov_b32_e32 v0, v29
	v_accvgpr_write_b32 a17, v1
	v_accvgpr_read_b32 v28, a62
	v_accvgpr_write_b32 a16, v0
.LBB249_104:                            ;   in Loop: Header=BB249_10 Depth=1
	s_or_b64 exec, exec, s[38:39]
.LBB249_105:                            ;   in Loop: Header=BB249_10 Depth=1
	s_or_b64 exec, exec, s[36:37]
.LBB249_106:                            ;   in Loop: Header=BB249_10 Depth=1
	s_or_b64 exec, exec, s[34:35]
	flat_load_ushort v1, v[32:33] offset:1024
	v_pk_mov_b32 v[2:3], 0, 0
	v_accvgpr_write_b32 a7, v3
	v_accvgpr_write_b32 a27, v3
	v_accvgpr_write_b32 a6, v2
	v_accvgpr_write_b32 a26, v2
	s_waitcnt vmcnt(0) lgkmcnt(0)
	v_and_b32_e32 v0, 0xffff, v1
	v_cmp_ne_u16_sdwa vcc, v1, v29 src0_sel:BYTE_0 src1_sel:DWORD
	s_and_saveexec_b64 s[34:35], vcc
	s_cbranch_execz .LBB249_112
; %bb.107:                              ;   in Loop: Header=BB249_10 Depth=1
	v_bfrev_b32_e32 v2, 1
	v_mov_b32_e32 v3, 0
	v_accvgpr_write_b32 a27, v3
	v_cmp_ne_u16_sdwa vcc, v0, s19 src0_sel:BYTE_0 src1_sel:DWORD
	v_accvgpr_write_b32 a26, v2
	s_and_saveexec_b64 s[36:37], vcc
	s_cbranch_execz .LBB249_111
; %bb.108:                              ;   in Loop: Header=BB249_10 Depth=1
	v_mov_b32_e32 v2, 0x7f800001
	v_mov_b32_e32 v3, 0
	v_and_b32_e32 v1, 0x7f, v0
	v_accvgpr_write_b32 a27, v3
	v_cmp_ne_u32_e32 vcc, s41, v1
	v_accvgpr_write_b32 a26, v2
	s_and_saveexec_b64 s[38:39], vcc
	s_cbranch_execz .LBB249_110
; %bb.109:                              ;   in Loop: Header=BB249_10 Depth=1
	v_and_b32_e32 v4, 7, v0
	v_lshrrev_b32_e32 v5, 3, v1
	v_cmp_gt_u32_e32 vcc, 8, v1
	v_ffbh_u32_e32 v1, v4
	v_min_u32_e32 v1, 32, v1
	v_subrev_u32_e32 v2, 28, v1
	v_lshlrev_b64 v[2:3], v2, v[0:1]
	v_sub_u32_e32 v1, 29, v1
	v_and_b32_e32 v2, 7, v2
	v_cndmask_b32_e32 v1, v5, v1, vcc
	v_cndmask_b32_e32 v2, v4, v2, vcc
	v_bfrev_b32_e32 v4, 60
	v_lshlrev_b32_e32 v2, 20, v2
	v_and_b32_sdwa v3, sext(v0), s25 dst_sel:DWORD dst_unused:UNUSED_PAD src0_sel:BYTE_0 src1_sel:DWORD
	v_lshl_add_u32 v1, v1, 23, v4
	v_or3_b32 v28, v3, v1, v2
	v_accvgpr_write_b32 a26, v28
	v_accvgpr_write_b32 a27, v29
	v_accvgpr_read_b32 v28, a62
.LBB249_110:                            ;   in Loop: Header=BB249_10 Depth=1
	s_or_b64 exec, exec, s[38:39]
.LBB249_111:                            ;   in Loop: Header=BB249_10 Depth=1
	s_or_b64 exec, exec, s[36:37]
.LBB249_112:                            ;   in Loop: Header=BB249_10 Depth=1
	s_or_b64 exec, exec, s[34:35]
	v_cmp_ne_u16_sdwa vcc, v0, v29 src0_sel:BYTE_1 src1_sel:DWORD
	s_and_saveexec_b64 s[34:35], vcc
	s_cbranch_execz .LBB249_118
; %bb.113:                              ;   in Loop: Header=BB249_10 Depth=1
	v_accvgpr_write_b32 a6, s24
	v_cmp_ne_u16_sdwa vcc, v0, s19 src0_sel:BYTE_1 src1_sel:DWORD
	v_accvgpr_write_b32 a7, s25
	s_and_saveexec_b64 s[36:37], vcc
	s_cbranch_execz .LBB249_117
; %bb.114:                              ;   in Loop: Header=BB249_10 Depth=1
	s_mov_b32 s30, s24
	v_and_b32_sdwa v1, v0, s41 dst_sel:DWORD dst_unused:UNUSED_PAD src0_sel:BYTE_1 src1_sel:DWORD
	v_accvgpr_write_b32 a6, s30
	v_cmp_ne_u32_e32 vcc, s41, v1
	v_accvgpr_write_b32 a7, s31
	s_and_saveexec_b64 s[38:39], vcc
	s_cbranch_execz .LBB249_116
; %bb.115:                              ;   in Loop: Header=BB249_10 Depth=1
	v_mov_b32_e32 v2, 7
	v_and_b32_sdwa v28, v0, v2 dst_sel:DWORD dst_unused:UNUSED_PAD src0_sel:BYTE_1 src1_sel:DWORD
	v_lshrrev_b32_e32 v4, 3, v1
	v_cmp_gt_u32_e32 vcc, 8, v1
	v_ffbh_u32_e32 v1, v28
	v_min_u32_e32 v1, 32, v1
	v_subrev_u32_e32 v2, 28, v1
	v_lshlrev_b64 v[2:3], v2, v[28:29]
	v_sub_u32_e32 v1, 29, v1
	v_and_b32_e32 v2, 7, v2
	v_cndmask_b32_e32 v1, v4, v1, vcc
	v_bfrev_b32_e32 v3, 60
	v_cndmask_b32_e32 v2, v28, v2, vcc
	v_lshlrev_b32_e32 v0, 16, v0
	v_lshl_add_u32 v1, v1, 23, v3
	v_and_or_b32 v0, v0, s25, v1
	v_lshlrev_b32_e32 v1, 20, v2
	v_or_b32_e32 v1, v0, v1
	v_mov_b32_e32 v0, v29
	v_accvgpr_write_b32 a7, v1
	v_accvgpr_read_b32 v28, a62
	v_accvgpr_write_b32 a6, v0
.LBB249_116:                            ;   in Loop: Header=BB249_10 Depth=1
	s_or_b64 exec, exec, s[38:39]
.LBB249_117:                            ;   in Loop: Header=BB249_10 Depth=1
	s_or_b64 exec, exec, s[36:37]
.LBB249_118:                            ;   in Loop: Header=BB249_10 Depth=1
	s_or_b64 exec, exec, s[34:35]
	flat_load_ushort v1, v[32:33] offset:1028
	v_pk_mov_b32 v[2:3], 0, 0
	v_accvgpr_write_b32 a29, v3
	v_accvgpr_write_b32 a9, v3
	v_accvgpr_write_b32 a28, v2
	v_accvgpr_write_b32 a8, v2
	s_waitcnt vmcnt(0) lgkmcnt(0)
	v_and_b32_e32 v0, 0xffff, v1
	v_cmp_ne_u16_sdwa vcc, v1, v29 src0_sel:BYTE_0 src1_sel:DWORD
	s_and_saveexec_b64 s[34:35], vcc
	s_cbranch_execz .LBB249_124
; %bb.119:                              ;   in Loop: Header=BB249_10 Depth=1
	v_bfrev_b32_e32 v2, 1
	v_mov_b32_e32 v3, 0
	v_accvgpr_write_b32 a9, v3
	v_cmp_ne_u16_sdwa vcc, v0, s19 src0_sel:BYTE_0 src1_sel:DWORD
	v_accvgpr_write_b32 a8, v2
	s_and_saveexec_b64 s[36:37], vcc
	s_cbranch_execz .LBB249_123
; %bb.120:                              ;   in Loop: Header=BB249_10 Depth=1
	v_mov_b32_e32 v2, 0x7f800001
	v_mov_b32_e32 v3, 0
	v_and_b32_e32 v1, 0x7f, v0
	v_accvgpr_write_b32 a9, v3
	v_cmp_ne_u32_e32 vcc, s41, v1
	v_accvgpr_write_b32 a8, v2
	s_and_saveexec_b64 s[38:39], vcc
	s_cbranch_execz .LBB249_122
; %bb.121:                              ;   in Loop: Header=BB249_10 Depth=1
	v_and_b32_e32 v4, 7, v0
	v_lshrrev_b32_e32 v5, 3, v1
	v_cmp_gt_u32_e32 vcc, 8, v1
	v_ffbh_u32_e32 v1, v4
	v_min_u32_e32 v1, 32, v1
	v_subrev_u32_e32 v2, 28, v1
	v_lshlrev_b64 v[2:3], v2, v[0:1]
	v_sub_u32_e32 v1, 29, v1
	v_and_b32_e32 v2, 7, v2
	v_cndmask_b32_e32 v1, v5, v1, vcc
	v_cndmask_b32_e32 v2, v4, v2, vcc
	v_bfrev_b32_e32 v4, 60
	v_lshlrev_b32_e32 v2, 20, v2
	v_and_b32_sdwa v3, sext(v0), s25 dst_sel:DWORD dst_unused:UNUSED_PAD src0_sel:BYTE_0 src1_sel:DWORD
	v_lshl_add_u32 v1, v1, 23, v4
	v_or3_b32 v28, v3, v1, v2
	v_accvgpr_write_b32 a8, v28
	v_accvgpr_write_b32 a9, v29
	v_accvgpr_read_b32 v28, a62
.LBB249_122:                            ;   in Loop: Header=BB249_10 Depth=1
	s_or_b64 exec, exec, s[38:39]
.LBB249_123:                            ;   in Loop: Header=BB249_10 Depth=1
	s_or_b64 exec, exec, s[36:37]
.LBB249_124:                            ;   in Loop: Header=BB249_10 Depth=1
	s_or_b64 exec, exec, s[34:35]
	v_cmp_ne_u16_sdwa vcc, v0, v29 src0_sel:BYTE_1 src1_sel:DWORD
	s_and_saveexec_b64 s[34:35], vcc
	s_cbranch_execz .LBB249_130
; %bb.125:                              ;   in Loop: Header=BB249_10 Depth=1
	v_accvgpr_write_b32 a29, s25
	v_cmp_ne_u16_sdwa vcc, v0, s19 src0_sel:BYTE_1 src1_sel:DWORD
	v_accvgpr_write_b32 a28, s24
	s_and_saveexec_b64 s[36:37], vcc
	s_cbranch_execz .LBB249_129
; %bb.126:                              ;   in Loop: Header=BB249_10 Depth=1
	s_mov_b32 s30, s24
	v_and_b32_sdwa v1, v0, s41 dst_sel:DWORD dst_unused:UNUSED_PAD src0_sel:BYTE_1 src1_sel:DWORD
	v_accvgpr_write_b32 a28, s30
	v_cmp_ne_u32_e32 vcc, s41, v1
	v_accvgpr_write_b32 a29, s31
	s_and_saveexec_b64 s[38:39], vcc
	s_cbranch_execz .LBB249_128
; %bb.127:                              ;   in Loop: Header=BB249_10 Depth=1
	v_mov_b32_e32 v2, 7
	v_and_b32_sdwa v28, v0, v2 dst_sel:DWORD dst_unused:UNUSED_PAD src0_sel:BYTE_1 src1_sel:DWORD
	v_lshrrev_b32_e32 v4, 3, v1
	v_cmp_gt_u32_e32 vcc, 8, v1
	v_ffbh_u32_e32 v1, v28
	v_min_u32_e32 v1, 32, v1
	v_subrev_u32_e32 v2, 28, v1
	v_lshlrev_b64 v[2:3], v2, v[28:29]
	v_sub_u32_e32 v1, 29, v1
	v_and_b32_e32 v2, 7, v2
	v_cndmask_b32_e32 v1, v4, v1, vcc
	v_bfrev_b32_e32 v3, 60
	v_cndmask_b32_e32 v2, v28, v2, vcc
	v_lshlrev_b32_e32 v0, 16, v0
	v_lshl_add_u32 v1, v1, 23, v3
	v_and_or_b32 v0, v0, s25, v1
	v_lshlrev_b32_e32 v1, 20, v2
	v_or_b32_e32 v1, v0, v1
	v_mov_b32_e32 v0, v29
	v_accvgpr_write_b32 a29, v1
	v_accvgpr_read_b32 v28, a62
	v_accvgpr_write_b32 a28, v0
.LBB249_128:                            ;   in Loop: Header=BB249_10 Depth=1
	s_or_b64 exec, exec, s[38:39]
.LBB249_129:                            ;   in Loop: Header=BB249_10 Depth=1
	s_or_b64 exec, exec, s[36:37]
.LBB249_130:                            ;   in Loop: Header=BB249_10 Depth=1
	s_or_b64 exec, exec, s[34:35]
	v_add_co_u32_e32 v0, vcc, 0x400, v32
	v_addc_co_u32_e32 v1, vcc, 0, v33, vcc
	flat_load_ushort v3, v[0:1] offset:8
	v_pk_mov_b32 v[4:5], 0, 0
	v_accvgpr_write_b32 a11, v5
	v_accvgpr_write_b32 a31, v5
	;; [unrolled: 1-line block ×4, first 2 shown]
	s_waitcnt vmcnt(0) lgkmcnt(0)
	v_and_b32_e32 v2, 0xffff, v3
	v_cmp_ne_u16_sdwa vcc, v3, v29 src0_sel:BYTE_0 src1_sel:DWORD
	s_and_saveexec_b64 s[34:35], vcc
	s_cbranch_execz .LBB249_136
; %bb.131:                              ;   in Loop: Header=BB249_10 Depth=1
	v_bfrev_b32_e32 v4, 1
	v_mov_b32_e32 v5, 0
	v_accvgpr_write_b32 a31, v5
	v_cmp_ne_u16_sdwa vcc, v2, s19 src0_sel:BYTE_0 src1_sel:DWORD
	v_accvgpr_write_b32 a30, v4
	s_and_saveexec_b64 s[36:37], vcc
	s_cbranch_execz .LBB249_135
; %bb.132:                              ;   in Loop: Header=BB249_10 Depth=1
	v_mov_b32_e32 v4, 0x7f800001
	v_mov_b32_e32 v5, 0
	v_and_b32_e32 v3, 0x7f, v2
	v_accvgpr_write_b32 a31, v5
	v_cmp_ne_u32_e32 vcc, s41, v3
	v_accvgpr_write_b32 a30, v4
	s_and_saveexec_b64 s[38:39], vcc
	s_cbranch_execz .LBB249_134
; %bb.133:                              ;   in Loop: Header=BB249_10 Depth=1
	v_and_b32_e32 v4, 7, v2
	v_lshrrev_b32_e32 v5, 3, v3
	v_cmp_gt_u32_e32 vcc, 8, v3
	v_ffbh_u32_e32 v3, v4
	v_min_u32_e32 v3, 32, v3
	v_subrev_u32_e32 v6, 28, v3
	v_lshlrev_b64 v[6:7], v6, v[2:3]
	v_sub_u32_e32 v3, 29, v3
	v_and_b32_e32 v6, 7, v6
	v_cndmask_b32_e32 v3, v5, v3, vcc
	v_cndmask_b32_e32 v4, v4, v6, vcc
	v_bfrev_b32_e32 v6, 60
	v_lshlrev_b32_e32 v4, 20, v4
	v_and_b32_sdwa v5, sext(v2), s25 dst_sel:DWORD dst_unused:UNUSED_PAD src0_sel:BYTE_0 src1_sel:DWORD
	v_lshl_add_u32 v3, v3, 23, v6
	v_or3_b32 v28, v5, v3, v4
	v_accvgpr_write_b32 a31, v29
	v_accvgpr_write_b32 a30, v28
	v_accvgpr_read_b32 v28, a62
.LBB249_134:                            ;   in Loop: Header=BB249_10 Depth=1
	s_or_b64 exec, exec, s[38:39]
.LBB249_135:                            ;   in Loop: Header=BB249_10 Depth=1
	s_or_b64 exec, exec, s[36:37]
.LBB249_136:                            ;   in Loop: Header=BB249_10 Depth=1
	s_or_b64 exec, exec, s[34:35]
	v_cmp_ne_u16_sdwa vcc, v2, v29 src0_sel:BYTE_1 src1_sel:DWORD
	s_and_saveexec_b64 s[34:35], vcc
	s_cbranch_execz .LBB249_142
; %bb.137:                              ;   in Loop: Header=BB249_10 Depth=1
	v_accvgpr_write_b32 a10, s24
	v_cmp_ne_u16_sdwa vcc, v2, s19 src0_sel:BYTE_1 src1_sel:DWORD
	v_accvgpr_write_b32 a11, s25
	s_and_saveexec_b64 s[36:37], vcc
	s_cbranch_execz .LBB249_141
; %bb.138:                              ;   in Loop: Header=BB249_10 Depth=1
	s_mov_b32 s30, s24
	v_and_b32_sdwa v3, v2, s41 dst_sel:DWORD dst_unused:UNUSED_PAD src0_sel:BYTE_1 src1_sel:DWORD
	v_accvgpr_write_b32 a10, s30
	v_cmp_ne_u32_e32 vcc, s41, v3
	v_accvgpr_write_b32 a11, s31
	s_and_saveexec_b64 s[38:39], vcc
	s_cbranch_execz .LBB249_140
; %bb.139:                              ;   in Loop: Header=BB249_10 Depth=1
	v_mov_b32_e32 v4, 7
	v_and_b32_sdwa v28, v2, v4 dst_sel:DWORD dst_unused:UNUSED_PAD src0_sel:BYTE_1 src1_sel:DWORD
	v_lshrrev_b32_e32 v4, 3, v3
	v_cmp_gt_u32_e32 vcc, 8, v3
	v_ffbh_u32_e32 v3, v28
	v_min_u32_e32 v3, 32, v3
	v_subrev_u32_e32 v5, 28, v3
	v_lshlrev_b64 v[6:7], v5, v[28:29]
	v_sub_u32_e32 v3, 29, v3
	v_and_b32_e32 v5, 7, v6
	v_cndmask_b32_e32 v3, v4, v3, vcc
	v_cndmask_b32_e32 v4, v28, v5, vcc
	v_bfrev_b32_e32 v5, 60
	v_lshlrev_b32_e32 v2, 16, v2
	v_lshl_add_u32 v3, v3, 23, v5
	v_and_or_b32 v2, v2, s25, v3
	v_lshlrev_b32_e32 v3, 20, v4
	v_or_b32_e32 v3, v2, v3
	v_mov_b32_e32 v2, v29
	v_accvgpr_write_b32 a11, v3
	v_accvgpr_read_b32 v28, a62
	v_accvgpr_write_b32 a10, v2
.LBB249_140:                            ;   in Loop: Header=BB249_10 Depth=1
	s_or_b64 exec, exec, s[38:39]
.LBB249_141:                            ;   in Loop: Header=BB249_10 Depth=1
	s_or_b64 exec, exec, s[36:37]
.LBB249_142:                            ;   in Loop: Header=BB249_10 Depth=1
	s_or_b64 exec, exec, s[34:35]
	flat_load_ushort v1, v[0:1] offset:12
	v_pk_mov_b32 v[2:3], 0, 0
	v_accvgpr_write_b32 a33, v3
	v_accvgpr_write_b32 a35, v3
	;; [unrolled: 1-line block ×4, first 2 shown]
	s_waitcnt vmcnt(0) lgkmcnt(0)
	v_and_b32_e32 v0, 0xffff, v1
	v_cmp_ne_u16_sdwa vcc, v1, v29 src0_sel:BYTE_0 src1_sel:DWORD
	s_and_saveexec_b64 s[34:35], vcc
	s_cbranch_execz .LBB249_148
; %bb.143:                              ;   in Loop: Header=BB249_10 Depth=1
	v_bfrev_b32_e32 v2, 1
	v_mov_b32_e32 v3, 0
	v_accvgpr_write_b32 a35, v3
	v_cmp_ne_u16_sdwa vcc, v0, s19 src0_sel:BYTE_0 src1_sel:DWORD
	v_accvgpr_write_b32 a34, v2
	s_and_saveexec_b64 s[36:37], vcc
	s_cbranch_execz .LBB249_147
; %bb.144:                              ;   in Loop: Header=BB249_10 Depth=1
	v_mov_b32_e32 v2, 0x7f800001
	v_mov_b32_e32 v3, 0
	v_and_b32_e32 v1, 0x7f, v0
	v_accvgpr_write_b32 a35, v3
	v_cmp_ne_u32_e32 vcc, s41, v1
	v_accvgpr_write_b32 a34, v2
	s_and_saveexec_b64 s[38:39], vcc
	s_cbranch_execz .LBB249_146
; %bb.145:                              ;   in Loop: Header=BB249_10 Depth=1
	v_and_b32_e32 v4, 7, v0
	v_lshrrev_b32_e32 v5, 3, v1
	v_cmp_gt_u32_e32 vcc, 8, v1
	v_ffbh_u32_e32 v1, v4
	v_min_u32_e32 v1, 32, v1
	v_subrev_u32_e32 v2, 28, v1
	v_lshlrev_b64 v[2:3], v2, v[0:1]
	v_sub_u32_e32 v1, 29, v1
	v_and_b32_e32 v2, 7, v2
	v_cndmask_b32_e32 v1, v5, v1, vcc
	v_cndmask_b32_e32 v2, v4, v2, vcc
	v_bfrev_b32_e32 v4, 60
	v_lshlrev_b32_e32 v2, 20, v2
	v_and_b32_sdwa v3, sext(v0), s25 dst_sel:DWORD dst_unused:UNUSED_PAD src0_sel:BYTE_0 src1_sel:DWORD
	v_lshl_add_u32 v1, v1, 23, v4
	v_or3_b32 v28, v3, v1, v2
	v_accvgpr_write_b32 a35, v29
	v_accvgpr_write_b32 a34, v28
	v_accvgpr_read_b32 v28, a62
.LBB249_146:                            ;   in Loop: Header=BB249_10 Depth=1
	s_or_b64 exec, exec, s[38:39]
.LBB249_147:                            ;   in Loop: Header=BB249_10 Depth=1
	s_or_b64 exec, exec, s[36:37]
.LBB249_148:                            ;   in Loop: Header=BB249_10 Depth=1
	s_or_b64 exec, exec, s[34:35]
	v_cmp_ne_u16_sdwa vcc, v0, v29 src0_sel:BYTE_1 src1_sel:DWORD
	s_and_saveexec_b64 s[34:35], vcc
	s_cbranch_execz .LBB249_154
; %bb.149:                              ;   in Loop: Header=BB249_10 Depth=1
	v_accvgpr_write_b32 a33, s25
	v_cmp_ne_u16_sdwa vcc, v0, s19 src0_sel:BYTE_1 src1_sel:DWORD
	v_accvgpr_write_b32 a32, s24
	s_and_saveexec_b64 s[36:37], vcc
	s_cbranch_execz .LBB249_153
; %bb.150:                              ;   in Loop: Header=BB249_10 Depth=1
	v_and_b32_sdwa v1, v0, s41 dst_sel:DWORD dst_unused:UNUSED_PAD src0_sel:BYTE_1 src1_sel:DWORD
	s_mov_b32 s30, s24
	v_accvgpr_write_b32 a33, s31
	v_cmp_ne_u32_e32 vcc, s41, v1
	v_accvgpr_write_b32 a32, s30
	s_and_saveexec_b64 s[38:39], vcc
	s_cbranch_execz .LBB249_152
; %bb.151:                              ;   in Loop: Header=BB249_10 Depth=1
	v_mov_b32_e32 v2, 7
	v_and_b32_sdwa v28, v0, v2 dst_sel:DWORD dst_unused:UNUSED_PAD src0_sel:BYTE_1 src1_sel:DWORD
	v_lshrrev_b32_e32 v4, 3, v1
	v_cmp_gt_u32_e32 vcc, 8, v1
	v_ffbh_u32_e32 v1, v28
	v_min_u32_e32 v1, 32, v1
	v_subrev_u32_e32 v2, 28, v1
	v_lshlrev_b64 v[2:3], v2, v[28:29]
	v_sub_u32_e32 v1, 29, v1
	v_and_b32_e32 v2, 7, v2
	v_cndmask_b32_e32 v1, v4, v1, vcc
	v_bfrev_b32_e32 v3, 60
	v_cndmask_b32_e32 v2, v28, v2, vcc
	v_lshlrev_b32_e32 v0, 16, v0
	v_lshl_add_u32 v1, v1, 23, v3
	v_and_or_b32 v0, v0, s25, v1
	v_lshlrev_b32_e32 v1, 20, v2
	v_or_b32_e32 v1, v0, v1
	v_mov_b32_e32 v0, v29
	v_accvgpr_write_b32 a33, v1
	v_accvgpr_read_b32 v28, a62
	v_accvgpr_write_b32 a32, v0
.LBB249_152:                            ;   in Loop: Header=BB249_10 Depth=1
	s_or_b64 exec, exec, s[38:39]
.LBB249_153:                            ;   in Loop: Header=BB249_10 Depth=1
	s_or_b64 exec, exec, s[36:37]
.LBB249_154:                            ;   in Loop: Header=BB249_10 Depth=1
	s_or_b64 exec, exec, s[34:35]
	flat_load_ushort v1, v[32:33] offset:1536
	v_pk_mov_b32 v[2:3], 0, 0
	v_accvgpr_write_b32 a37, v3
	v_accvgpr_write_b32 a39, v3
	;; [unrolled: 1-line block ×4, first 2 shown]
	s_waitcnt vmcnt(0) lgkmcnt(0)
	v_and_b32_e32 v0, 0xffff, v1
	v_cmp_ne_u16_sdwa vcc, v1, v29 src0_sel:BYTE_0 src1_sel:DWORD
	s_and_saveexec_b64 s[34:35], vcc
	s_cbranch_execz .LBB249_160
; %bb.155:                              ;   in Loop: Header=BB249_10 Depth=1
	v_bfrev_b32_e32 v2, 1
	v_mov_b32_e32 v3, 0
	v_accvgpr_write_b32 a39, v3
	v_cmp_ne_u16_sdwa vcc, v0, s19 src0_sel:BYTE_0 src1_sel:DWORD
	v_accvgpr_write_b32 a38, v2
	s_and_saveexec_b64 s[36:37], vcc
	s_cbranch_execz .LBB249_159
; %bb.156:                              ;   in Loop: Header=BB249_10 Depth=1
	v_mov_b32_e32 v2, 0x7f800001
	v_mov_b32_e32 v3, 0
	v_and_b32_e32 v1, 0x7f, v0
	v_accvgpr_write_b32 a39, v3
	v_cmp_ne_u32_e32 vcc, s41, v1
	v_accvgpr_write_b32 a38, v2
	s_and_saveexec_b64 s[38:39], vcc
	s_cbranch_execz .LBB249_158
; %bb.157:                              ;   in Loop: Header=BB249_10 Depth=1
	v_and_b32_e32 v4, 7, v0
	v_lshrrev_b32_e32 v5, 3, v1
	v_cmp_gt_u32_e32 vcc, 8, v1
	v_ffbh_u32_e32 v1, v4
	v_min_u32_e32 v1, 32, v1
	v_subrev_u32_e32 v2, 28, v1
	v_lshlrev_b64 v[2:3], v2, v[0:1]
	v_sub_u32_e32 v1, 29, v1
	v_and_b32_e32 v2, 7, v2
	v_cndmask_b32_e32 v1, v5, v1, vcc
	v_cndmask_b32_e32 v2, v4, v2, vcc
	v_bfrev_b32_e32 v4, 60
	v_lshlrev_b32_e32 v2, 20, v2
	v_and_b32_sdwa v3, sext(v0), s25 dst_sel:DWORD dst_unused:UNUSED_PAD src0_sel:BYTE_0 src1_sel:DWORD
	v_lshl_add_u32 v1, v1, 23, v4
	v_or3_b32 v28, v3, v1, v2
	v_accvgpr_write_b32 a39, v29
	v_accvgpr_write_b32 a38, v28
	v_accvgpr_read_b32 v28, a62
.LBB249_158:                            ;   in Loop: Header=BB249_10 Depth=1
	s_or_b64 exec, exec, s[38:39]
.LBB249_159:                            ;   in Loop: Header=BB249_10 Depth=1
	s_or_b64 exec, exec, s[36:37]
.LBB249_160:                            ;   in Loop: Header=BB249_10 Depth=1
	s_or_b64 exec, exec, s[34:35]
	v_cmp_ne_u16_sdwa vcc, v0, v29 src0_sel:BYTE_1 src1_sel:DWORD
	s_and_saveexec_b64 s[34:35], vcc
	s_cbranch_execz .LBB249_166
; %bb.161:                              ;   in Loop: Header=BB249_10 Depth=1
	v_accvgpr_write_b32 a37, s25
	v_cmp_ne_u16_sdwa vcc, v0, s19 src0_sel:BYTE_1 src1_sel:DWORD
	v_accvgpr_write_b32 a36, s24
	s_and_saveexec_b64 s[36:37], vcc
	s_cbranch_execz .LBB249_165
; %bb.162:                              ;   in Loop: Header=BB249_10 Depth=1
	v_and_b32_sdwa v1, v0, s41 dst_sel:DWORD dst_unused:UNUSED_PAD src0_sel:BYTE_1 src1_sel:DWORD
	s_mov_b32 s30, s24
	v_accvgpr_write_b32 a37, s31
	v_cmp_ne_u32_e32 vcc, s41, v1
	v_accvgpr_write_b32 a36, s30
	s_and_saveexec_b64 s[38:39], vcc
	s_cbranch_execz .LBB249_164
; %bb.163:                              ;   in Loop: Header=BB249_10 Depth=1
	v_mov_b32_e32 v2, 7
	v_and_b32_sdwa v28, v0, v2 dst_sel:DWORD dst_unused:UNUSED_PAD src0_sel:BYTE_1 src1_sel:DWORD
	v_lshrrev_b32_e32 v4, 3, v1
	v_cmp_gt_u32_e32 vcc, 8, v1
	v_ffbh_u32_e32 v1, v28
	v_min_u32_e32 v1, 32, v1
	v_subrev_u32_e32 v2, 28, v1
	v_lshlrev_b64 v[2:3], v2, v[28:29]
	v_sub_u32_e32 v1, 29, v1
	v_and_b32_e32 v2, 7, v2
	v_cndmask_b32_e32 v1, v4, v1, vcc
	v_bfrev_b32_e32 v3, 60
	v_cndmask_b32_e32 v2, v28, v2, vcc
	v_lshlrev_b32_e32 v0, 16, v0
	v_lshl_add_u32 v1, v1, 23, v3
	v_and_or_b32 v0, v0, s25, v1
	v_lshlrev_b32_e32 v1, 20, v2
	v_or_b32_e32 v1, v0, v1
	v_mov_b32_e32 v0, v29
	v_accvgpr_write_b32 a37, v1
	v_accvgpr_read_b32 v28, a62
	v_accvgpr_write_b32 a36, v0
.LBB249_164:                            ;   in Loop: Header=BB249_10 Depth=1
	s_or_b64 exec, exec, s[38:39]
.LBB249_165:                            ;   in Loop: Header=BB249_10 Depth=1
	s_or_b64 exec, exec, s[36:37]
.LBB249_166:                            ;   in Loop: Header=BB249_10 Depth=1
	s_or_b64 exec, exec, s[34:35]
	flat_load_ushort v1, v[32:33] offset:1540
	v_pk_mov_b32 v[2:3], 0, 0
	v_accvgpr_write_b32 a41, v3
	v_accvgpr_write_b32 a25, v3
	;; [unrolled: 1-line block ×4, first 2 shown]
	s_waitcnt vmcnt(0) lgkmcnt(0)
	v_and_b32_e32 v0, 0xffff, v1
	v_cmp_ne_u16_sdwa vcc, v1, v29 src0_sel:BYTE_0 src1_sel:DWORD
	s_and_saveexec_b64 s[34:35], vcc
	s_cbranch_execz .LBB249_172
; %bb.167:                              ;   in Loop: Header=BB249_10 Depth=1
	v_bfrev_b32_e32 v2, 1
	v_mov_b32_e32 v3, 0
	v_accvgpr_write_b32 a25, v3
	v_cmp_ne_u16_sdwa vcc, v0, s19 src0_sel:BYTE_0 src1_sel:DWORD
	v_accvgpr_write_b32 a24, v2
	s_and_saveexec_b64 s[36:37], vcc
	s_cbranch_execz .LBB249_171
; %bb.168:                              ;   in Loop: Header=BB249_10 Depth=1
	v_mov_b32_e32 v2, 0x7f800001
	v_mov_b32_e32 v3, 0
	v_and_b32_e32 v1, 0x7f, v0
	v_accvgpr_write_b32 a25, v3
	v_cmp_ne_u32_e32 vcc, s41, v1
	v_accvgpr_write_b32 a24, v2
	s_and_saveexec_b64 s[38:39], vcc
	s_cbranch_execz .LBB249_170
; %bb.169:                              ;   in Loop: Header=BB249_10 Depth=1
	v_and_b32_e32 v4, 7, v0
	v_lshrrev_b32_e32 v5, 3, v1
	v_cmp_gt_u32_e32 vcc, 8, v1
	v_ffbh_u32_e32 v1, v4
	v_min_u32_e32 v1, 32, v1
	v_subrev_u32_e32 v2, 28, v1
	v_lshlrev_b64 v[2:3], v2, v[0:1]
	v_sub_u32_e32 v1, 29, v1
	v_and_b32_e32 v2, 7, v2
	v_cndmask_b32_e32 v1, v5, v1, vcc
	v_cndmask_b32_e32 v2, v4, v2, vcc
	v_bfrev_b32_e32 v4, 60
	v_lshlrev_b32_e32 v2, 20, v2
	v_and_b32_sdwa v3, sext(v0), s25 dst_sel:DWORD dst_unused:UNUSED_PAD src0_sel:BYTE_0 src1_sel:DWORD
	v_lshl_add_u32 v1, v1, 23, v4
	v_or3_b32 v28, v3, v1, v2
	v_accvgpr_write_b32 a24, v28
	v_accvgpr_write_b32 a25, v29
	v_accvgpr_read_b32 v28, a62
.LBB249_170:                            ;   in Loop: Header=BB249_10 Depth=1
	s_or_b64 exec, exec, s[38:39]
.LBB249_171:                            ;   in Loop: Header=BB249_10 Depth=1
	s_or_b64 exec, exec, s[36:37]
.LBB249_172:                            ;   in Loop: Header=BB249_10 Depth=1
	s_or_b64 exec, exec, s[34:35]
	v_cmp_ne_u16_sdwa vcc, v0, v29 src0_sel:BYTE_1 src1_sel:DWORD
	s_and_saveexec_b64 s[34:35], vcc
	s_cbranch_execz .LBB249_178
; %bb.173:                              ;   in Loop: Header=BB249_10 Depth=1
	v_accvgpr_write_b32 a41, s25
	v_cmp_ne_u16_sdwa vcc, v0, s19 src0_sel:BYTE_1 src1_sel:DWORD
	v_accvgpr_write_b32 a40, s24
	s_and_saveexec_b64 s[36:37], vcc
	s_cbranch_execz .LBB249_177
; %bb.174:                              ;   in Loop: Header=BB249_10 Depth=1
	v_and_b32_sdwa v1, v0, s41 dst_sel:DWORD dst_unused:UNUSED_PAD src0_sel:BYTE_1 src1_sel:DWORD
	s_mov_b32 s30, s24
	v_accvgpr_write_b32 a41, s31
	v_cmp_ne_u32_e32 vcc, s41, v1
	v_accvgpr_write_b32 a40, s30
	s_and_saveexec_b64 s[38:39], vcc
	s_cbranch_execz .LBB249_176
; %bb.175:                              ;   in Loop: Header=BB249_10 Depth=1
	v_mov_b32_e32 v2, 7
	v_and_b32_sdwa v28, v0, v2 dst_sel:DWORD dst_unused:UNUSED_PAD src0_sel:BYTE_1 src1_sel:DWORD
	v_lshrrev_b32_e32 v4, 3, v1
	v_cmp_gt_u32_e32 vcc, 8, v1
	v_ffbh_u32_e32 v1, v28
	v_min_u32_e32 v1, 32, v1
	v_subrev_u32_e32 v2, 28, v1
	v_lshlrev_b64 v[2:3], v2, v[28:29]
	v_sub_u32_e32 v1, 29, v1
	v_and_b32_e32 v2, 7, v2
	v_cndmask_b32_e32 v1, v4, v1, vcc
	v_bfrev_b32_e32 v3, 60
	v_cndmask_b32_e32 v2, v28, v2, vcc
	v_lshlrev_b32_e32 v0, 16, v0
	v_lshl_add_u32 v1, v1, 23, v3
	v_and_or_b32 v0, v0, s25, v1
	v_lshlrev_b32_e32 v1, 20, v2
	v_or_b32_e32 v1, v0, v1
	v_mov_b32_e32 v0, v29
	v_accvgpr_write_b32 a41, v1
	v_accvgpr_read_b32 v28, a62
	v_accvgpr_write_b32 a40, v0
.LBB249_176:                            ;   in Loop: Header=BB249_10 Depth=1
	s_or_b64 exec, exec, s[38:39]
.LBB249_177:                            ;   in Loop: Header=BB249_10 Depth=1
	s_or_b64 exec, exec, s[36:37]
.LBB249_178:                            ;   in Loop: Header=BB249_10 Depth=1
	s_or_b64 exec, exec, s[34:35]
	v_add_co_u32_e32 v0, vcc, 0x600, v32
	v_addc_co_u32_e32 v1, vcc, 0, v33, vcc
	flat_load_ushort v3, v[0:1] offset:8
	v_pk_mov_b32 v[4:5], 0, 0
	v_accvgpr_write_b32 a59, v5
	v_accvgpr_write_b32 a13, v5
	;; [unrolled: 1-line block ×4, first 2 shown]
	s_waitcnt vmcnt(0) lgkmcnt(0)
	v_and_b32_e32 v2, 0xffff, v3
	v_cmp_ne_u16_sdwa vcc, v3, v29 src0_sel:BYTE_0 src1_sel:DWORD
	s_and_saveexec_b64 s[34:35], vcc
	s_cbranch_execz .LBB249_184
; %bb.179:                              ;   in Loop: Header=BB249_10 Depth=1
	v_bfrev_b32_e32 v4, 1
	v_mov_b32_e32 v5, 0
	v_accvgpr_write_b32 a13, v5
	v_cmp_ne_u16_sdwa vcc, v2, s19 src0_sel:BYTE_0 src1_sel:DWORD
	v_accvgpr_write_b32 a12, v4
	s_and_saveexec_b64 s[36:37], vcc
	s_cbranch_execz .LBB249_183
; %bb.180:                              ;   in Loop: Header=BB249_10 Depth=1
	v_mov_b32_e32 v4, 0x7f800001
	v_mov_b32_e32 v5, 0
	v_and_b32_e32 v3, 0x7f, v2
	v_accvgpr_write_b32 a13, v5
	v_cmp_ne_u32_e32 vcc, s41, v3
	v_accvgpr_write_b32 a12, v4
	s_and_saveexec_b64 s[38:39], vcc
	s_cbranch_execz .LBB249_182
; %bb.181:                              ;   in Loop: Header=BB249_10 Depth=1
	v_and_b32_e32 v4, 7, v2
	v_lshrrev_b32_e32 v5, 3, v3
	v_cmp_gt_u32_e32 vcc, 8, v3
	v_ffbh_u32_e32 v3, v4
	v_min_u32_e32 v3, 32, v3
	v_subrev_u32_e32 v6, 28, v3
	v_lshlrev_b64 v[6:7], v6, v[2:3]
	v_sub_u32_e32 v3, 29, v3
	v_and_b32_e32 v6, 7, v6
	v_cndmask_b32_e32 v3, v5, v3, vcc
	v_cndmask_b32_e32 v4, v4, v6, vcc
	v_bfrev_b32_e32 v6, 60
	v_lshlrev_b32_e32 v4, 20, v4
	v_and_b32_sdwa v5, sext(v2), s25 dst_sel:DWORD dst_unused:UNUSED_PAD src0_sel:BYTE_0 src1_sel:DWORD
	v_lshl_add_u32 v3, v3, 23, v6
	v_or3_b32 v28, v5, v3, v4
	v_accvgpr_write_b32 a12, v28
	v_accvgpr_write_b32 a13, v29
	v_accvgpr_read_b32 v28, a62
.LBB249_182:                            ;   in Loop: Header=BB249_10 Depth=1
	s_or_b64 exec, exec, s[38:39]
.LBB249_183:                            ;   in Loop: Header=BB249_10 Depth=1
	s_or_b64 exec, exec, s[36:37]
.LBB249_184:                            ;   in Loop: Header=BB249_10 Depth=1
	s_or_b64 exec, exec, s[34:35]
	v_cmp_ne_u16_sdwa vcc, v2, v29 src0_sel:BYTE_1 src1_sel:DWORD
	s_and_saveexec_b64 s[34:35], vcc
	s_cbranch_execz .LBB249_190
; %bb.185:                              ;   in Loop: Header=BB249_10 Depth=1
	v_accvgpr_write_b32 a59, s25
	v_cmp_ne_u16_sdwa vcc, v2, s19 src0_sel:BYTE_1 src1_sel:DWORD
	v_accvgpr_write_b32 a58, s24
	s_and_saveexec_b64 s[36:37], vcc
	s_cbranch_execz .LBB249_189
; %bb.186:                              ;   in Loop: Header=BB249_10 Depth=1
	v_and_b32_sdwa v3, v2, s41 dst_sel:DWORD dst_unused:UNUSED_PAD src0_sel:BYTE_1 src1_sel:DWORD
	s_mov_b32 s30, s24
	v_accvgpr_write_b32 a59, s31
	v_cmp_ne_u32_e32 vcc, s41, v3
	v_accvgpr_write_b32 a58, s30
	s_and_saveexec_b64 s[38:39], vcc
	s_cbranch_execz .LBB249_188
; %bb.187:                              ;   in Loop: Header=BB249_10 Depth=1
	v_mov_b32_e32 v4, 7
	v_and_b32_sdwa v28, v2, v4 dst_sel:DWORD dst_unused:UNUSED_PAD src0_sel:BYTE_1 src1_sel:DWORD
	v_lshrrev_b32_e32 v4, 3, v3
	v_cmp_gt_u32_e32 vcc, 8, v3
	v_ffbh_u32_e32 v3, v28
	v_min_u32_e32 v3, 32, v3
	v_subrev_u32_e32 v5, 28, v3
	v_lshlrev_b64 v[6:7], v5, v[28:29]
	v_sub_u32_e32 v3, 29, v3
	v_and_b32_e32 v5, 7, v6
	v_cndmask_b32_e32 v3, v4, v3, vcc
	v_cndmask_b32_e32 v4, v28, v5, vcc
	v_bfrev_b32_e32 v5, 60
	v_lshlrev_b32_e32 v2, 16, v2
	v_lshl_add_u32 v3, v3, 23, v5
	v_and_or_b32 v2, v2, s25, v3
	v_lshlrev_b32_e32 v3, 20, v4
	v_or_b32_e32 v3, v2, v3
	v_mov_b32_e32 v2, v29
	v_accvgpr_write_b32 a59, v3
	v_accvgpr_read_b32 v28, a62
	v_accvgpr_write_b32 a58, v2
.LBB249_188:                            ;   in Loop: Header=BB249_10 Depth=1
	s_or_b64 exec, exec, s[38:39]
.LBB249_189:                            ;   in Loop: Header=BB249_10 Depth=1
	s_or_b64 exec, exec, s[36:37]
.LBB249_190:                            ;   in Loop: Header=BB249_10 Depth=1
	s_or_b64 exec, exec, s[34:35]
	flat_load_ushort v1, v[0:1] offset:12
	v_pk_mov_b32 v[2:3], 0, 0
	v_accvgpr_write_b32 a45, v3
	v_accvgpr_write_b32 a23, v3
	;; [unrolled: 1-line block ×4, first 2 shown]
	s_waitcnt vmcnt(0) lgkmcnt(0)
	v_and_b32_e32 v0, 0xffff, v1
	v_cmp_ne_u16_sdwa vcc, v1, v29 src0_sel:BYTE_0 src1_sel:DWORD
	s_and_saveexec_b64 s[34:35], vcc
	s_cbranch_execz .LBB249_196
; %bb.191:                              ;   in Loop: Header=BB249_10 Depth=1
	v_bfrev_b32_e32 v2, 1
	v_mov_b32_e32 v3, 0
	v_accvgpr_write_b32 a23, v3
	v_cmp_ne_u16_sdwa vcc, v0, s19 src0_sel:BYTE_0 src1_sel:DWORD
	v_accvgpr_write_b32 a22, v2
	s_and_saveexec_b64 s[36:37], vcc
	s_cbranch_execz .LBB249_195
; %bb.192:                              ;   in Loop: Header=BB249_10 Depth=1
	v_mov_b32_e32 v2, 0x7f800001
	v_mov_b32_e32 v3, 0
	v_and_b32_e32 v1, 0x7f, v0
	v_accvgpr_write_b32 a23, v3
	v_cmp_ne_u32_e32 vcc, s41, v1
	v_accvgpr_write_b32 a22, v2
	s_and_saveexec_b64 s[38:39], vcc
	s_cbranch_execz .LBB249_194
; %bb.193:                              ;   in Loop: Header=BB249_10 Depth=1
	v_and_b32_e32 v4, 7, v0
	v_lshrrev_b32_e32 v5, 3, v1
	v_cmp_gt_u32_e32 vcc, 8, v1
	v_ffbh_u32_e32 v1, v4
	v_min_u32_e32 v1, 32, v1
	v_subrev_u32_e32 v2, 28, v1
	v_lshlrev_b64 v[2:3], v2, v[0:1]
	v_sub_u32_e32 v1, 29, v1
	v_and_b32_e32 v2, 7, v2
	v_cndmask_b32_e32 v1, v5, v1, vcc
	v_cndmask_b32_e32 v2, v4, v2, vcc
	v_bfrev_b32_e32 v4, 60
	v_lshlrev_b32_e32 v2, 20, v2
	v_and_b32_sdwa v3, sext(v0), s25 dst_sel:DWORD dst_unused:UNUSED_PAD src0_sel:BYTE_0 src1_sel:DWORD
	v_lshl_add_u32 v1, v1, 23, v4
	v_or3_b32 v28, v3, v1, v2
	v_accvgpr_write_b32 a22, v28
	v_accvgpr_write_b32 a23, v29
	v_accvgpr_read_b32 v28, a62
.LBB249_194:                            ;   in Loop: Header=BB249_10 Depth=1
	s_or_b64 exec, exec, s[38:39]
.LBB249_195:                            ;   in Loop: Header=BB249_10 Depth=1
	s_or_b64 exec, exec, s[36:37]
.LBB249_196:                            ;   in Loop: Header=BB249_10 Depth=1
	s_or_b64 exec, exec, s[34:35]
	v_cmp_ne_u16_sdwa vcc, v0, v29 src0_sel:BYTE_1 src1_sel:DWORD
	s_and_saveexec_b64 s[34:35], vcc
	s_cbranch_execz .LBB249_202
; %bb.197:                              ;   in Loop: Header=BB249_10 Depth=1
	v_accvgpr_write_b32 a45, s25
	v_cmp_ne_u16_sdwa vcc, v0, s19 src0_sel:BYTE_1 src1_sel:DWORD
	v_accvgpr_write_b32 a44, s24
	s_and_saveexec_b64 s[36:37], vcc
	s_cbranch_execz .LBB249_201
; %bb.198:                              ;   in Loop: Header=BB249_10 Depth=1
	v_and_b32_sdwa v1, v0, s41 dst_sel:DWORD dst_unused:UNUSED_PAD src0_sel:BYTE_1 src1_sel:DWORD
	s_mov_b32 s30, s24
	v_accvgpr_write_b32 a45, s31
	v_cmp_ne_u32_e32 vcc, s41, v1
	v_accvgpr_write_b32 a44, s30
	s_and_saveexec_b64 s[38:39], vcc
	s_cbranch_execz .LBB249_200
; %bb.199:                              ;   in Loop: Header=BB249_10 Depth=1
	v_mov_b32_e32 v2, 7
	v_and_b32_sdwa v28, v0, v2 dst_sel:DWORD dst_unused:UNUSED_PAD src0_sel:BYTE_1 src1_sel:DWORD
	v_lshrrev_b32_e32 v4, 3, v1
	v_cmp_gt_u32_e32 vcc, 8, v1
	v_ffbh_u32_e32 v1, v28
	v_min_u32_e32 v1, 32, v1
	v_subrev_u32_e32 v2, 28, v1
	v_lshlrev_b64 v[2:3], v2, v[28:29]
	v_sub_u32_e32 v1, 29, v1
	v_and_b32_e32 v2, 7, v2
	v_cndmask_b32_e32 v1, v4, v1, vcc
	v_bfrev_b32_e32 v3, 60
	v_cndmask_b32_e32 v2, v28, v2, vcc
	v_lshlrev_b32_e32 v0, 16, v0
	v_lshl_add_u32 v1, v1, 23, v3
	v_and_or_b32 v0, v0, s25, v1
	v_lshlrev_b32_e32 v1, 20, v2
	v_or_b32_e32 v1, v0, v1
	v_mov_b32_e32 v0, v29
	v_accvgpr_write_b32 a45, v1
	v_accvgpr_read_b32 v28, a62
	v_accvgpr_write_b32 a44, v0
.LBB249_200:                            ;   in Loop: Header=BB249_10 Depth=1
	s_or_b64 exec, exec, s[38:39]
.LBB249_201:                            ;   in Loop: Header=BB249_10 Depth=1
	s_or_b64 exec, exec, s[36:37]
.LBB249_202:                            ;   in Loop: Header=BB249_10 Depth=1
	s_or_b64 exec, exec, s[34:35]
	flat_load_ushort v1, v[32:33] offset:2048
	v_pk_mov_b32 v[40:41], 0, 0
	v_accvgpr_write_b32 a47, v41
	v_accvgpr_write_b32 a46, v40
	s_waitcnt vmcnt(0) lgkmcnt(0)
	v_and_b32_e32 v0, 0xffff, v1
	v_cmp_ne_u16_sdwa vcc, v1, v29 src0_sel:BYTE_0 src1_sel:DWORD
	s_and_saveexec_b64 s[34:35], vcc
	s_cbranch_execz .LBB249_208
; %bb.203:                              ;   in Loop: Header=BB249_10 Depth=1
	v_bfrev_b32_e32 v2, 1
	v_mov_b32_e32 v3, 0
	v_accvgpr_write_b32 a47, v3
	v_cmp_ne_u16_sdwa vcc, v0, s19 src0_sel:BYTE_0 src1_sel:DWORD
	v_accvgpr_write_b32 a46, v2
	s_and_saveexec_b64 s[36:37], vcc
	s_cbranch_execz .LBB249_207
; %bb.204:                              ;   in Loop: Header=BB249_10 Depth=1
	v_mov_b32_e32 v2, 0x7f800001
	v_mov_b32_e32 v3, 0
	v_and_b32_e32 v1, 0x7f, v0
	v_accvgpr_write_b32 a47, v3
	v_cmp_ne_u32_e32 vcc, s41, v1
	v_accvgpr_write_b32 a46, v2
	s_and_saveexec_b64 s[38:39], vcc
	s_cbranch_execz .LBB249_206
; %bb.205:                              ;   in Loop: Header=BB249_10 Depth=1
	v_and_b32_e32 v4, 7, v0
	v_lshrrev_b32_e32 v5, 3, v1
	v_cmp_gt_u32_e32 vcc, 8, v1
	v_ffbh_u32_e32 v1, v4
	v_min_u32_e32 v1, 32, v1
	v_subrev_u32_e32 v2, 28, v1
	v_lshlrev_b64 v[2:3], v2, v[0:1]
	v_sub_u32_e32 v1, 29, v1
	v_and_b32_e32 v2, 7, v2
	v_cndmask_b32_e32 v1, v5, v1, vcc
	v_cndmask_b32_e32 v2, v4, v2, vcc
	v_bfrev_b32_e32 v4, 60
	v_lshlrev_b32_e32 v2, 20, v2
	v_and_b32_sdwa v3, sext(v0), s25 dst_sel:DWORD dst_unused:UNUSED_PAD src0_sel:BYTE_0 src1_sel:DWORD
	v_lshl_add_u32 v1, v1, 23, v4
	v_or3_b32 v28, v3, v1, v2
	v_accvgpr_write_b32 a47, v29
	v_accvgpr_write_b32 a46, v28
	v_accvgpr_read_b32 v28, a62
.LBB249_206:                            ;   in Loop: Header=BB249_10 Depth=1
	s_or_b64 exec, exec, s[38:39]
.LBB249_207:                            ;   in Loop: Header=BB249_10 Depth=1
	s_or_b64 exec, exec, s[36:37]
.LBB249_208:                            ;   in Loop: Header=BB249_10 Depth=1
	s_or_b64 exec, exec, s[34:35]
	v_cmp_ne_u16_sdwa vcc, v0, v29 src0_sel:BYTE_1 src1_sel:DWORD
	s_and_saveexec_b64 s[34:35], vcc
	s_cbranch_execz .LBB249_214
; %bb.209:                              ;   in Loop: Header=BB249_10 Depth=1
	v_cmp_ne_u16_sdwa vcc, v0, s19 src0_sel:BYTE_1 src1_sel:DWORD
	v_pk_mov_b32 v[40:41], s[24:25], s[24:25] op_sel:[0,1]
	s_and_saveexec_b64 s[36:37], vcc
	s_cbranch_execz .LBB249_213
; %bb.210:                              ;   in Loop: Header=BB249_10 Depth=1
	v_and_b32_sdwa v1, v0, s41 dst_sel:DWORD dst_unused:UNUSED_PAD src0_sel:BYTE_1 src1_sel:DWORD
	s_mov_b32 s30, s24
	v_cmp_ne_u32_e32 vcc, s41, v1
	v_pk_mov_b32 v[40:41], s[30:31], s[30:31] op_sel:[0,1]
	s_and_saveexec_b64 s[38:39], vcc
	s_cbranch_execz .LBB249_212
; %bb.211:                              ;   in Loop: Header=BB249_10 Depth=1
	v_mov_b32_e32 v2, 7
	v_and_b32_sdwa v28, v0, v2 dst_sel:DWORD dst_unused:UNUSED_PAD src0_sel:BYTE_1 src1_sel:DWORD
	v_lshrrev_b32_e32 v4, 3, v1
	v_cmp_gt_u32_e32 vcc, 8, v1
	v_ffbh_u32_e32 v1, v28
	v_min_u32_e32 v1, 32, v1
	v_subrev_u32_e32 v2, 28, v1
	v_lshlrev_b64 v[2:3], v2, v[28:29]
	v_sub_u32_e32 v1, 29, v1
	v_and_b32_e32 v2, 7, v2
	v_cndmask_b32_e32 v1, v4, v1, vcc
	v_bfrev_b32_e32 v3, 60
	v_cndmask_b32_e32 v2, v28, v2, vcc
	v_lshlrev_b32_e32 v0, 16, v0
	v_lshl_add_u32 v1, v1, 23, v3
	v_and_or_b32 v0, v0, s25, v1
	v_lshlrev_b32_e32 v1, 20, v2
	v_accvgpr_read_b32 v28, a62
	v_or_b32_e32 v41, v0, v1
	v_mov_b32_e32 v40, v29
.LBB249_212:                            ;   in Loop: Header=BB249_10 Depth=1
	s_or_b64 exec, exec, s[38:39]
.LBB249_213:                            ;   in Loop: Header=BB249_10 Depth=1
	s_or_b64 exec, exec, s[36:37]
.LBB249_214:                            ;   in Loop: Header=BB249_10 Depth=1
	s_or_b64 exec, exec, s[34:35]
	flat_load_ushort v1, v[32:33] offset:2052
	v_pk_mov_b32 v[56:57], 0, 0
	v_accvgpr_write_b32 a50, v56
	v_accvgpr_write_b32 a51, v57
	s_waitcnt vmcnt(0) lgkmcnt(0)
	v_and_b32_e32 v0, 0xffff, v1
	v_cmp_ne_u16_sdwa vcc, v1, v29 src0_sel:BYTE_0 src1_sel:DWORD
	s_and_saveexec_b64 s[34:35], vcc
	s_cbranch_execz .LBB249_220
; %bb.215:                              ;   in Loop: Header=BB249_10 Depth=1
	v_bfrev_b32_e32 v2, 1
	v_mov_b32_e32 v3, 0
	v_accvgpr_write_b32 a51, v3
	v_cmp_ne_u16_sdwa vcc, v0, s19 src0_sel:BYTE_0 src1_sel:DWORD
	v_accvgpr_write_b32 a50, v2
	s_and_saveexec_b64 s[36:37], vcc
	s_cbranch_execz .LBB249_219
; %bb.216:                              ;   in Loop: Header=BB249_10 Depth=1
	v_mov_b32_e32 v2, 0x7f800001
	v_mov_b32_e32 v3, 0
	v_and_b32_e32 v1, 0x7f, v0
	v_accvgpr_write_b32 a51, v3
	v_cmp_ne_u32_e32 vcc, s41, v1
	v_accvgpr_write_b32 a50, v2
	s_and_saveexec_b64 s[38:39], vcc
	s_cbranch_execz .LBB249_218
; %bb.217:                              ;   in Loop: Header=BB249_10 Depth=1
	v_and_b32_e32 v4, 7, v0
	v_lshrrev_b32_e32 v5, 3, v1
	v_cmp_gt_u32_e32 vcc, 8, v1
	v_ffbh_u32_e32 v1, v4
	v_min_u32_e32 v1, 32, v1
	v_subrev_u32_e32 v2, 28, v1
	v_lshlrev_b64 v[2:3], v2, v[0:1]
	v_sub_u32_e32 v1, 29, v1
	v_and_b32_e32 v2, 7, v2
	v_cndmask_b32_e32 v1, v5, v1, vcc
	v_cndmask_b32_e32 v2, v4, v2, vcc
	v_bfrev_b32_e32 v4, 60
	v_lshlrev_b32_e32 v2, 20, v2
	v_and_b32_sdwa v3, sext(v0), s25 dst_sel:DWORD dst_unused:UNUSED_PAD src0_sel:BYTE_0 src1_sel:DWORD
	v_lshl_add_u32 v1, v1, 23, v4
	v_or3_b32 v28, v3, v1, v2
	v_accvgpr_write_b32 a51, v29
	v_accvgpr_write_b32 a50, v28
	v_accvgpr_read_b32 v28, a62
.LBB249_218:                            ;   in Loop: Header=BB249_10 Depth=1
	s_or_b64 exec, exec, s[38:39]
.LBB249_219:                            ;   in Loop: Header=BB249_10 Depth=1
	s_or_b64 exec, exec, s[36:37]
.LBB249_220:                            ;   in Loop: Header=BB249_10 Depth=1
	s_or_b64 exec, exec, s[34:35]
	v_cmp_ne_u16_sdwa vcc, v0, v29 src0_sel:BYTE_1 src1_sel:DWORD
	s_and_saveexec_b64 s[34:35], vcc
	s_cbranch_execz .LBB249_226
; %bb.221:                              ;   in Loop: Header=BB249_10 Depth=1
	v_cmp_ne_u16_sdwa vcc, v0, s19 src0_sel:BYTE_1 src1_sel:DWORD
	v_pk_mov_b32 v[56:57], s[24:25], s[24:25] op_sel:[0,1]
	s_and_saveexec_b64 s[36:37], vcc
	s_cbranch_execz .LBB249_225
; %bb.222:                              ;   in Loop: Header=BB249_10 Depth=1
	v_and_b32_sdwa v1, v0, s41 dst_sel:DWORD dst_unused:UNUSED_PAD src0_sel:BYTE_1 src1_sel:DWORD
	s_mov_b32 s30, s24
	v_cmp_ne_u32_e32 vcc, s41, v1
	v_pk_mov_b32 v[56:57], s[30:31], s[30:31] op_sel:[0,1]
	s_and_saveexec_b64 s[38:39], vcc
	s_cbranch_execz .LBB249_224
; %bb.223:                              ;   in Loop: Header=BB249_10 Depth=1
	v_mov_b32_e32 v2, 7
	v_and_b32_sdwa v28, v0, v2 dst_sel:DWORD dst_unused:UNUSED_PAD src0_sel:BYTE_1 src1_sel:DWORD
	v_lshrrev_b32_e32 v4, 3, v1
	v_cmp_gt_u32_e32 vcc, 8, v1
	v_ffbh_u32_e32 v1, v28
	v_min_u32_e32 v1, 32, v1
	v_subrev_u32_e32 v2, 28, v1
	v_lshlrev_b64 v[2:3], v2, v[28:29]
	v_sub_u32_e32 v1, 29, v1
	v_and_b32_e32 v2, 7, v2
	v_cndmask_b32_e32 v1, v4, v1, vcc
	v_bfrev_b32_e32 v3, 60
	v_cndmask_b32_e32 v2, v28, v2, vcc
	v_lshlrev_b32_e32 v0, 16, v0
	v_lshl_add_u32 v1, v1, 23, v3
	v_and_or_b32 v0, v0, s25, v1
	v_lshlrev_b32_e32 v1, 20, v2
	v_accvgpr_read_b32 v28, a62
	v_or_b32_e32 v57, v0, v1
	v_mov_b32_e32 v56, v29
.LBB249_224:                            ;   in Loop: Header=BB249_10 Depth=1
	s_or_b64 exec, exec, s[38:39]
.LBB249_225:                            ;   in Loop: Header=BB249_10 Depth=1
	s_or_b64 exec, exec, s[36:37]
.LBB249_226:                            ;   in Loop: Header=BB249_10 Depth=1
	s_or_b64 exec, exec, s[34:35]
	v_add_co_u32_e32 v0, vcc, 0x800, v32
	v_addc_co_u32_e32 v1, vcc, 0, v33, vcc
	flat_load_ushort v3, v[0:1] offset:8
	v_pk_mov_b32 v[48:49], 0, 0
	v_accvgpr_write_b32 a48, v48
	v_accvgpr_write_b32 a49, v49
	s_waitcnt vmcnt(0) lgkmcnt(0)
	v_and_b32_e32 v2, 0xffff, v3
	v_cmp_ne_u16_sdwa vcc, v3, v29 src0_sel:BYTE_0 src1_sel:DWORD
	s_and_saveexec_b64 s[34:35], vcc
	s_cbranch_execz .LBB249_232
; %bb.227:                              ;   in Loop: Header=BB249_10 Depth=1
	v_bfrev_b32_e32 v4, 1
	v_mov_b32_e32 v5, 0
	v_accvgpr_write_b32 a49, v5
	v_cmp_ne_u16_sdwa vcc, v2, s19 src0_sel:BYTE_0 src1_sel:DWORD
	v_accvgpr_write_b32 a48, v4
	s_and_saveexec_b64 s[36:37], vcc
	s_cbranch_execz .LBB249_231
; %bb.228:                              ;   in Loop: Header=BB249_10 Depth=1
	v_mov_b32_e32 v4, 0x7f800001
	v_mov_b32_e32 v5, 0
	v_and_b32_e32 v3, 0x7f, v2
	v_accvgpr_write_b32 a49, v5
	v_cmp_ne_u32_e32 vcc, s41, v3
	v_accvgpr_write_b32 a48, v4
	s_and_saveexec_b64 s[38:39], vcc
	s_cbranch_execz .LBB249_230
; %bb.229:                              ;   in Loop: Header=BB249_10 Depth=1
	v_and_b32_e32 v4, 7, v2
	v_lshrrev_b32_e32 v5, 3, v3
	v_cmp_gt_u32_e32 vcc, 8, v3
	v_ffbh_u32_e32 v3, v4
	v_min_u32_e32 v3, 32, v3
	v_subrev_u32_e32 v6, 28, v3
	v_lshlrev_b64 v[8:9], v6, v[2:3]
	v_sub_u32_e32 v3, 29, v3
	v_and_b32_e32 v6, 7, v8
	v_cndmask_b32_e32 v3, v5, v3, vcc
	v_cndmask_b32_e32 v4, v4, v6, vcc
	v_bfrev_b32_e32 v6, 60
	v_lshlrev_b32_e32 v4, 20, v4
	v_and_b32_sdwa v5, sext(v2), s25 dst_sel:DWORD dst_unused:UNUSED_PAD src0_sel:BYTE_0 src1_sel:DWORD
	v_lshl_add_u32 v3, v3, 23, v6
	v_or3_b32 v28, v5, v3, v4
	v_accvgpr_write_b32 a49, v29
	v_accvgpr_write_b32 a48, v28
	v_accvgpr_read_b32 v28, a62
.LBB249_230:                            ;   in Loop: Header=BB249_10 Depth=1
	s_or_b64 exec, exec, s[38:39]
.LBB249_231:                            ;   in Loop: Header=BB249_10 Depth=1
	s_or_b64 exec, exec, s[36:37]
.LBB249_232:                            ;   in Loop: Header=BB249_10 Depth=1
	s_or_b64 exec, exec, s[34:35]
	v_cmp_ne_u16_sdwa vcc, v2, v29 src0_sel:BYTE_1 src1_sel:DWORD
	s_and_saveexec_b64 s[34:35], vcc
	s_cbranch_execz .LBB249_238
; %bb.233:                              ;   in Loop: Header=BB249_10 Depth=1
	v_cmp_ne_u16_sdwa vcc, v2, s19 src0_sel:BYTE_1 src1_sel:DWORD
	v_pk_mov_b32 v[48:49], s[24:25], s[24:25] op_sel:[0,1]
	s_and_saveexec_b64 s[36:37], vcc
	s_cbranch_execz .LBB249_237
; %bb.234:                              ;   in Loop: Header=BB249_10 Depth=1
	v_and_b32_sdwa v3, v2, s41 dst_sel:DWORD dst_unused:UNUSED_PAD src0_sel:BYTE_1 src1_sel:DWORD
	s_mov_b32 s30, s24
	v_cmp_ne_u32_e32 vcc, s41, v3
	v_pk_mov_b32 v[48:49], s[30:31], s[30:31] op_sel:[0,1]
	s_and_saveexec_b64 s[38:39], vcc
	s_cbranch_execz .LBB249_236
; %bb.235:                              ;   in Loop: Header=BB249_10 Depth=1
	v_mov_b32_e32 v4, 7
	v_and_b32_sdwa v28, v2, v4 dst_sel:DWORD dst_unused:UNUSED_PAD src0_sel:BYTE_1 src1_sel:DWORD
	v_lshrrev_b32_e32 v4, 3, v3
	v_cmp_gt_u32_e32 vcc, 8, v3
	v_ffbh_u32_e32 v3, v28
	v_min_u32_e32 v3, 32, v3
	v_subrev_u32_e32 v5, 28, v3
	v_lshlrev_b64 v[6:7], v5, v[28:29]
	v_sub_u32_e32 v3, 29, v3
	v_and_b32_e32 v5, 7, v6
	v_cndmask_b32_e32 v3, v4, v3, vcc
	v_cndmask_b32_e32 v4, v28, v5, vcc
	v_bfrev_b32_e32 v5, 60
	v_lshlrev_b32_e32 v2, 16, v2
	v_lshl_add_u32 v3, v3, 23, v5
	v_and_or_b32 v2, v2, s25, v3
	v_lshlrev_b32_e32 v3, 20, v4
	v_accvgpr_read_b32 v28, a62
	v_or_b32_e32 v49, v2, v3
	v_mov_b32_e32 v48, v29
.LBB249_236:                            ;   in Loop: Header=BB249_10 Depth=1
	s_or_b64 exec, exec, s[38:39]
.LBB249_237:                            ;   in Loop: Header=BB249_10 Depth=1
	s_or_b64 exec, exec, s[36:37]
.LBB249_238:                            ;   in Loop: Header=BB249_10 Depth=1
	s_or_b64 exec, exec, s[34:35]
	flat_load_ushort v1, v[0:1] offset:12
	v_pk_mov_b32 v[34:35], 0, 0
	v_accvgpr_write_b32 a55, v35
	v_accvgpr_write_b32 a54, v34
	s_waitcnt vmcnt(0) lgkmcnt(0)
	v_and_b32_e32 v0, 0xffff, v1
	v_cmp_ne_u16_sdwa vcc, v1, v29 src0_sel:BYTE_0 src1_sel:DWORD
	s_and_saveexec_b64 s[34:35], vcc
	s_cbranch_execz .LBB249_244
; %bb.239:                              ;   in Loop: Header=BB249_10 Depth=1
	v_bfrev_b32_e32 v2, 1
	v_mov_b32_e32 v3, 0
	v_accvgpr_write_b32 a55, v3
	v_cmp_ne_u16_sdwa vcc, v0, s19 src0_sel:BYTE_0 src1_sel:DWORD
	v_accvgpr_write_b32 a54, v2
	s_and_saveexec_b64 s[36:37], vcc
	s_cbranch_execz .LBB249_243
; %bb.240:                              ;   in Loop: Header=BB249_10 Depth=1
	v_mov_b32_e32 v2, 0x7f800001
	v_mov_b32_e32 v3, 0
	v_and_b32_e32 v1, 0x7f, v0
	v_accvgpr_write_b32 a55, v3
	v_cmp_ne_u32_e32 vcc, s41, v1
	v_accvgpr_write_b32 a54, v2
	s_and_saveexec_b64 s[38:39], vcc
	s_cbranch_execz .LBB249_242
; %bb.241:                              ;   in Loop: Header=BB249_10 Depth=1
	v_and_b32_e32 v4, 7, v0
	v_lshrrev_b32_e32 v5, 3, v1
	v_cmp_gt_u32_e32 vcc, 8, v1
	v_ffbh_u32_e32 v1, v4
	v_min_u32_e32 v1, 32, v1
	v_subrev_u32_e32 v2, 28, v1
	v_lshlrev_b64 v[2:3], v2, v[0:1]
	v_sub_u32_e32 v1, 29, v1
	v_and_b32_e32 v2, 7, v2
	v_cndmask_b32_e32 v1, v5, v1, vcc
	v_cndmask_b32_e32 v2, v4, v2, vcc
	v_bfrev_b32_e32 v4, 60
	v_lshlrev_b32_e32 v2, 20, v2
	v_and_b32_sdwa v3, sext(v0), s25 dst_sel:DWORD dst_unused:UNUSED_PAD src0_sel:BYTE_0 src1_sel:DWORD
	v_lshl_add_u32 v1, v1, 23, v4
	v_or3_b32 v28, v3, v1, v2
	v_accvgpr_write_b32 a55, v29
	v_accvgpr_write_b32 a54, v28
	v_accvgpr_read_b32 v28, a62
.LBB249_242:                            ;   in Loop: Header=BB249_10 Depth=1
	s_or_b64 exec, exec, s[38:39]
.LBB249_243:                            ;   in Loop: Header=BB249_10 Depth=1
	s_or_b64 exec, exec, s[36:37]
.LBB249_244:                            ;   in Loop: Header=BB249_10 Depth=1
	s_or_b64 exec, exec, s[34:35]
	v_cmp_ne_u16_sdwa vcc, v0, v29 src0_sel:BYTE_1 src1_sel:DWORD
	s_and_saveexec_b64 s[34:35], vcc
	s_cbranch_execz .LBB249_250
; %bb.245:                              ;   in Loop: Header=BB249_10 Depth=1
	v_cmp_ne_u16_sdwa vcc, v0, s19 src0_sel:BYTE_1 src1_sel:DWORD
	v_pk_mov_b32 v[34:35], s[24:25], s[24:25] op_sel:[0,1]
	s_and_saveexec_b64 s[36:37], vcc
	s_cbranch_execz .LBB249_249
; %bb.246:                              ;   in Loop: Header=BB249_10 Depth=1
	v_and_b32_sdwa v1, v0, s41 dst_sel:DWORD dst_unused:UNUSED_PAD src0_sel:BYTE_1 src1_sel:DWORD
	s_mov_b32 s30, s24
	v_cmp_ne_u32_e32 vcc, s41, v1
	v_pk_mov_b32 v[34:35], s[30:31], s[30:31] op_sel:[0,1]
	s_and_saveexec_b64 s[38:39], vcc
	s_cbranch_execz .LBB249_248
; %bb.247:                              ;   in Loop: Header=BB249_10 Depth=1
	v_mov_b32_e32 v2, 7
	v_and_b32_sdwa v28, v0, v2 dst_sel:DWORD dst_unused:UNUSED_PAD src0_sel:BYTE_1 src1_sel:DWORD
	v_lshrrev_b32_e32 v4, 3, v1
	v_cmp_gt_u32_e32 vcc, 8, v1
	v_ffbh_u32_e32 v1, v28
	v_min_u32_e32 v1, 32, v1
	v_subrev_u32_e32 v2, 28, v1
	v_lshlrev_b64 v[2:3], v2, v[28:29]
	v_sub_u32_e32 v1, 29, v1
	v_and_b32_e32 v2, 7, v2
	v_cndmask_b32_e32 v1, v4, v1, vcc
	v_bfrev_b32_e32 v3, 60
	v_cndmask_b32_e32 v2, v28, v2, vcc
	v_lshlrev_b32_e32 v0, 16, v0
	v_lshl_add_u32 v1, v1, 23, v3
	v_and_or_b32 v0, v0, s25, v1
	v_lshlrev_b32_e32 v1, 20, v2
	v_accvgpr_read_b32 v28, a62
	v_or_b32_e32 v35, v0, v1
	v_mov_b32_e32 v34, v29
.LBB249_248:                            ;   in Loop: Header=BB249_10 Depth=1
	s_or_b64 exec, exec, s[38:39]
.LBB249_249:                            ;   in Loop: Header=BB249_10 Depth=1
	s_or_b64 exec, exec, s[36:37]
.LBB249_250:                            ;   in Loop: Header=BB249_10 Depth=1
	s_or_b64 exec, exec, s[34:35]
	flat_load_ushort v1, v[32:33] offset:2560
	v_pk_mov_b32 v[38:39], 0, 0
	v_pk_mov_b32 v[60:61], v[38:39], v[38:39] op_sel:[0,1]
	s_waitcnt vmcnt(0) lgkmcnt(0)
	v_and_b32_e32 v0, 0xffff, v1
	v_cmp_ne_u16_sdwa vcc, v1, v29 src0_sel:BYTE_0 src1_sel:DWORD
	s_and_saveexec_b64 s[34:35], vcc
	s_cbranch_execz .LBB249_256
; %bb.251:                              ;   in Loop: Header=BB249_10 Depth=1
	v_bfrev_b32_e32 v60, 1
	v_cmp_ne_u16_sdwa vcc, v0, s19 src0_sel:BYTE_0 src1_sel:DWORD
	v_mov_b32_e32 v61, 0
	s_and_saveexec_b64 s[36:37], vcc
	s_cbranch_execz .LBB249_255
; %bb.252:                              ;   in Loop: Header=BB249_10 Depth=1
	v_and_b32_e32 v1, 0x7f, v0
	v_mov_b32_e32 v60, 0x7f800001
	v_cmp_ne_u32_e32 vcc, s41, v1
	v_mov_b32_e32 v61, 0
	s_and_saveexec_b64 s[38:39], vcc
	s_cbranch_execz .LBB249_254
; %bb.253:                              ;   in Loop: Header=BB249_10 Depth=1
	v_and_b32_e32 v4, 7, v0
	v_lshrrev_b32_e32 v5, 3, v1
	v_cmp_gt_u32_e32 vcc, 8, v1
	v_ffbh_u32_e32 v1, v4
	v_min_u32_e32 v1, 32, v1
	v_subrev_u32_e32 v2, 28, v1
	v_lshlrev_b64 v[2:3], v2, v[0:1]
	v_sub_u32_e32 v1, 29, v1
	v_and_b32_e32 v2, 7, v2
	v_cndmask_b32_e32 v1, v5, v1, vcc
	v_cndmask_b32_e32 v2, v4, v2, vcc
	v_bfrev_b32_e32 v4, 60
	v_lshlrev_b32_e32 v2, 20, v2
	v_and_b32_sdwa v3, sext(v0), s25 dst_sel:DWORD dst_unused:UNUSED_PAD src0_sel:BYTE_0 src1_sel:DWORD
	v_lshl_add_u32 v1, v1, 23, v4
	v_or3_b32 v28, v3, v1, v2
	v_pk_mov_b32 v[60:61], v[28:29], v[28:29] op_sel:[0,1]
	v_accvgpr_read_b32 v28, a62
.LBB249_254:                            ;   in Loop: Header=BB249_10 Depth=1
	s_or_b64 exec, exec, s[38:39]
.LBB249_255:                            ;   in Loop: Header=BB249_10 Depth=1
	s_or_b64 exec, exec, s[36:37]
.LBB249_256:                            ;   in Loop: Header=BB249_10 Depth=1
	s_or_b64 exec, exec, s[34:35]
	v_cmp_ne_u16_sdwa vcc, v0, v29 src0_sel:BYTE_1 src1_sel:DWORD
	s_and_saveexec_b64 s[34:35], vcc
	s_cbranch_execz .LBB249_262
; %bb.257:                              ;   in Loop: Header=BB249_10 Depth=1
	v_cmp_ne_u16_sdwa vcc, v0, s19 src0_sel:BYTE_1 src1_sel:DWORD
	v_pk_mov_b32 v[38:39], s[24:25], s[24:25] op_sel:[0,1]
	s_and_saveexec_b64 s[36:37], vcc
	s_cbranch_execz .LBB249_261
; %bb.258:                              ;   in Loop: Header=BB249_10 Depth=1
	v_and_b32_sdwa v1, v0, s41 dst_sel:DWORD dst_unused:UNUSED_PAD src0_sel:BYTE_1 src1_sel:DWORD
	s_mov_b32 s30, s24
	v_cmp_ne_u32_e32 vcc, s41, v1
	v_pk_mov_b32 v[38:39], s[30:31], s[30:31] op_sel:[0,1]
	s_and_saveexec_b64 s[38:39], vcc
	s_cbranch_execz .LBB249_260
; %bb.259:                              ;   in Loop: Header=BB249_10 Depth=1
	v_mov_b32_e32 v2, 7
	v_and_b32_sdwa v28, v0, v2 dst_sel:DWORD dst_unused:UNUSED_PAD src0_sel:BYTE_1 src1_sel:DWORD
	v_lshrrev_b32_e32 v4, 3, v1
	v_cmp_gt_u32_e32 vcc, 8, v1
	v_ffbh_u32_e32 v1, v28
	v_min_u32_e32 v1, 32, v1
	v_subrev_u32_e32 v2, 28, v1
	v_lshlrev_b64 v[2:3], v2, v[28:29]
	v_sub_u32_e32 v1, 29, v1
	v_and_b32_e32 v2, 7, v2
	v_cndmask_b32_e32 v1, v4, v1, vcc
	v_bfrev_b32_e32 v3, 60
	v_cndmask_b32_e32 v2, v28, v2, vcc
	v_lshlrev_b32_e32 v0, 16, v0
	v_lshl_add_u32 v1, v1, 23, v3
	v_and_or_b32 v0, v0, s25, v1
	v_lshlrev_b32_e32 v1, 20, v2
	v_accvgpr_read_b32 v28, a62
	v_or_b32_e32 v39, v0, v1
	v_mov_b32_e32 v38, v29
.LBB249_260:                            ;   in Loop: Header=BB249_10 Depth=1
	s_or_b64 exec, exec, s[38:39]
.LBB249_261:                            ;   in Loop: Header=BB249_10 Depth=1
	s_or_b64 exec, exec, s[36:37]
.LBB249_262:                            ;   in Loop: Header=BB249_10 Depth=1
	s_or_b64 exec, exec, s[34:35]
	flat_load_ushort v0, v[32:33] offset:2564
	v_pk_mov_b32 v[50:51], 0, 0
	s_waitcnt vmcnt(0) lgkmcnt(0)
	v_and_b32_e32 v2, 0xffff, v0
	v_cmp_ne_u16_sdwa vcc, v0, v29 src0_sel:BYTE_0 src1_sel:DWORD
	v_pk_mov_b32 v[0:1], v[50:51], v[50:51] op_sel:[0,1]
	s_and_saveexec_b64 s[34:35], vcc
	s_cbranch_execz .LBB249_268
; %bb.263:                              ;   in Loop: Header=BB249_10 Depth=1
	v_bfrev_b32_e32 v0, 1
	v_cmp_ne_u16_sdwa vcc, v2, s19 src0_sel:BYTE_0 src1_sel:DWORD
	v_mov_b32_e32 v1, 0
	s_and_saveexec_b64 s[36:37], vcc
	s_cbranch_execz .LBB249_267
; %bb.264:                              ;   in Loop: Header=BB249_10 Depth=1
	v_and_b32_e32 v3, 0x7f, v2
	v_mov_b32_e32 v0, 0x7f800001
	v_cmp_ne_u32_e32 vcc, s41, v3
	v_mov_b32_e32 v1, 0
	s_and_saveexec_b64 s[38:39], vcc
	s_cbranch_execz .LBB249_266
; %bb.265:                              ;   in Loop: Header=BB249_10 Depth=1
	v_and_b32_e32 v4, 7, v2
	v_ffbh_u32_e32 v0, v4
	v_lshrrev_b32_e32 v5, 3, v3
	v_cmp_gt_u32_e32 vcc, 8, v3
	v_min_u32_e32 v3, 32, v0
	v_subrev_u32_e32 v0, 28, v3
	v_lshlrev_b64 v[0:1], v0, v[2:3]
	v_sub_u32_e32 v1, 29, v3
	v_and_b32_e32 v0, 7, v0
	v_cndmask_b32_e32 v1, v5, v1, vcc
	v_cndmask_b32_e32 v0, v4, v0, vcc
	v_bfrev_b32_e32 v4, 60
	v_lshlrev_b32_e32 v0, 20, v0
	v_and_b32_sdwa v3, sext(v2), s25 dst_sel:DWORD dst_unused:UNUSED_PAD src0_sel:BYTE_0 src1_sel:DWORD
	v_lshl_add_u32 v1, v1, 23, v4
	v_or3_b32 v28, v3, v1, v0
	v_pk_mov_b32 v[0:1], v[28:29], v[28:29] op_sel:[0,1]
	v_accvgpr_read_b32 v28, a62
.LBB249_266:                            ;   in Loop: Header=BB249_10 Depth=1
	s_or_b64 exec, exec, s[38:39]
.LBB249_267:                            ;   in Loop: Header=BB249_10 Depth=1
	s_or_b64 exec, exec, s[36:37]
.LBB249_268:                            ;   in Loop: Header=BB249_10 Depth=1
	s_or_b64 exec, exec, s[34:35]
	v_cmp_ne_u16_sdwa vcc, v2, v29 src0_sel:BYTE_1 src1_sel:DWORD
	s_and_saveexec_b64 s[34:35], vcc
	s_cbranch_execz .LBB249_274
; %bb.269:                              ;   in Loop: Header=BB249_10 Depth=1
	v_cmp_ne_u16_sdwa vcc, v2, s19 src0_sel:BYTE_1 src1_sel:DWORD
	v_pk_mov_b32 v[50:51], s[24:25], s[24:25] op_sel:[0,1]
	s_and_saveexec_b64 s[36:37], vcc
	s_cbranch_execz .LBB249_273
; %bb.270:                              ;   in Loop: Header=BB249_10 Depth=1
	v_and_b32_sdwa v3, v2, s41 dst_sel:DWORD dst_unused:UNUSED_PAD src0_sel:BYTE_1 src1_sel:DWORD
	s_mov_b32 s30, s24
	v_cmp_ne_u32_e32 vcc, s41, v3
	v_pk_mov_b32 v[50:51], s[30:31], s[30:31] op_sel:[0,1]
	s_and_saveexec_b64 s[38:39], vcc
	s_cbranch_execz .LBB249_272
; %bb.271:                              ;   in Loop: Header=BB249_10 Depth=1
	v_mov_b32_e32 v4, 7
	v_and_b32_sdwa v28, v2, v4 dst_sel:DWORD dst_unused:UNUSED_PAD src0_sel:BYTE_1 src1_sel:DWORD
	v_lshrrev_b32_e32 v4, 3, v3
	v_cmp_gt_u32_e32 vcc, 8, v3
	v_ffbh_u32_e32 v3, v28
	v_min_u32_e32 v3, 32, v3
	v_subrev_u32_e32 v5, 28, v3
	v_lshlrev_b64 v[8:9], v5, v[28:29]
	v_sub_u32_e32 v3, 29, v3
	v_and_b32_e32 v5, 7, v8
	v_cndmask_b32_e32 v3, v4, v3, vcc
	v_cndmask_b32_e32 v4, v28, v5, vcc
	v_bfrev_b32_e32 v5, 60
	v_lshlrev_b32_e32 v2, 16, v2
	v_lshl_add_u32 v3, v3, 23, v5
	v_and_or_b32 v2, v2, s25, v3
	v_lshlrev_b32_e32 v3, 20, v4
	v_accvgpr_read_b32 v28, a62
	v_or_b32_e32 v51, v2, v3
	v_mov_b32_e32 v50, v29
.LBB249_272:                            ;   in Loop: Header=BB249_10 Depth=1
	s_or_b64 exec, exec, s[38:39]
.LBB249_273:                            ;   in Loop: Header=BB249_10 Depth=1
	s_or_b64 exec, exec, s[36:37]
.LBB249_274:                            ;   in Loop: Header=BB249_10 Depth=1
	s_or_b64 exec, exec, s[34:35]
	v_add_co_u32_e32 v2, vcc, 0xa00, v32
	v_addc_co_u32_e32 v3, vcc, 0, v33, vcc
	flat_load_ushort v4, v[2:3] offset:8
	v_pk_mov_b32 v[54:55], 0, 0
	v_pk_mov_b32 v[6:7], v[54:55], v[54:55] op_sel:[0,1]
	s_waitcnt vmcnt(0) lgkmcnt(0)
	v_and_b32_e32 v8, 0xffff, v4
	v_cmp_ne_u16_sdwa vcc, v4, v29 src0_sel:BYTE_0 src1_sel:DWORD
	s_and_saveexec_b64 s[34:35], vcc
	s_cbranch_execz .LBB249_280
; %bb.275:                              ;   in Loop: Header=BB249_10 Depth=1
	v_bfrev_b32_e32 v6, 1
	v_cmp_ne_u16_sdwa vcc, v8, s19 src0_sel:BYTE_0 src1_sel:DWORD
	v_mov_b32_e32 v7, 0
	s_and_saveexec_b64 s[36:37], vcc
	s_cbranch_execz .LBB249_279
; %bb.276:                              ;   in Loop: Header=BB249_10 Depth=1
	v_and_b32_e32 v4, 0x7f, v8
	v_mov_b32_e32 v6, 0x7f800001
	v_cmp_ne_u32_e32 vcc, s41, v4
	v_mov_b32_e32 v7, 0
	s_and_saveexec_b64 s[38:39], vcc
	s_cbranch_execz .LBB249_278
; %bb.277:                              ;   in Loop: Header=BB249_10 Depth=1
	v_and_b32_e32 v5, 7, v8
	v_lshrrev_b32_e32 v6, 3, v4
	v_cmp_gt_u32_e32 vcc, 8, v4
	v_ffbh_u32_e32 v4, v5
	v_min_u32_e32 v4, 32, v4
	v_subrev_u32_e32 v7, 28, v4
	v_lshlrev_b64 v[10:11], v7, v[8:9]
	v_sub_u32_e32 v4, 29, v4
	v_and_b32_e32 v7, 7, v10
	v_cndmask_b32_e32 v4, v6, v4, vcc
	v_cndmask_b32_e32 v5, v5, v7, vcc
	v_bfrev_b32_e32 v7, 60
	v_lshlrev_b32_e32 v5, 20, v5
	v_and_b32_sdwa v6, sext(v8), s25 dst_sel:DWORD dst_unused:UNUSED_PAD src0_sel:BYTE_0 src1_sel:DWORD
	v_lshl_add_u32 v4, v4, 23, v7
	v_or3_b32 v28, v6, v4, v5
	v_pk_mov_b32 v[6:7], v[28:29], v[28:29] op_sel:[0,1]
	v_accvgpr_read_b32 v28, a62
.LBB249_278:                            ;   in Loop: Header=BB249_10 Depth=1
	s_or_b64 exec, exec, s[38:39]
.LBB249_279:                            ;   in Loop: Header=BB249_10 Depth=1
	s_or_b64 exec, exec, s[36:37]
.LBB249_280:                            ;   in Loop: Header=BB249_10 Depth=1
	s_or_b64 exec, exec, s[34:35]
	v_cmp_ne_u16_sdwa vcc, v8, v29 src0_sel:BYTE_1 src1_sel:DWORD
	s_and_saveexec_b64 s[34:35], vcc
	s_cbranch_execz .LBB249_286
; %bb.281:                              ;   in Loop: Header=BB249_10 Depth=1
	v_cmp_ne_u16_sdwa vcc, v8, s19 src0_sel:BYTE_1 src1_sel:DWORD
	v_pk_mov_b32 v[54:55], s[24:25], s[24:25] op_sel:[0,1]
	s_and_saveexec_b64 s[36:37], vcc
	s_cbranch_execz .LBB249_285
; %bb.282:                              ;   in Loop: Header=BB249_10 Depth=1
	v_and_b32_sdwa v9, v8, s41 dst_sel:DWORD dst_unused:UNUSED_PAD src0_sel:BYTE_1 src1_sel:DWORD
	s_mov_b32 s30, s24
	v_cmp_ne_u32_e32 vcc, s41, v9
	v_pk_mov_b32 v[54:55], s[30:31], s[30:31] op_sel:[0,1]
	s_and_saveexec_b64 s[38:39], vcc
	s_cbranch_execz .LBB249_284
; %bb.283:                              ;   in Loop: Header=BB249_10 Depth=1
	v_mov_b32_e32 v4, 7
	v_and_b32_sdwa v28, v8, v4 dst_sel:DWORD dst_unused:UNUSED_PAD src0_sel:BYTE_1 src1_sel:DWORD
	v_ffbh_u32_e32 v5, v28
	v_min_u32_e32 v5, 32, v5
	v_lshrrev_b32_e32 v4, 3, v9
	v_cmp_gt_u32_e32 vcc, 8, v9
	v_subrev_u32_e32 v9, 28, v5
	v_lshlrev_b64 v[10:11], v9, v[28:29]
	v_sub_u32_e32 v5, 29, v5
	v_and_b32_e32 v9, 7, v10
	v_cndmask_b32_e32 v4, v4, v5, vcc
	v_cndmask_b32_e32 v5, v28, v9, vcc
	v_bfrev_b32_e32 v9, 60
	v_lshlrev_b32_e32 v8, 16, v8
	v_lshl_add_u32 v4, v4, 23, v9
	v_and_or_b32 v4, v8, s25, v4
	v_lshlrev_b32_e32 v5, 20, v5
	v_accvgpr_read_b32 v28, a62
	v_or_b32_e32 v55, v4, v5
	v_mov_b32_e32 v54, v29
.LBB249_284:                            ;   in Loop: Header=BB249_10 Depth=1
	s_or_b64 exec, exec, s[38:39]
.LBB249_285:                            ;   in Loop: Header=BB249_10 Depth=1
	s_or_b64 exec, exec, s[36:37]
.LBB249_286:                            ;   in Loop: Header=BB249_10 Depth=1
	s_or_b64 exec, exec, s[34:35]
	flat_load_ushort v3, v[2:3] offset:12
	v_pk_mov_b32 v[24:25], 0, 0
	v_pk_mov_b32 v[46:47], v[24:25], v[24:25] op_sel:[0,1]
	s_waitcnt vmcnt(0) lgkmcnt(0)
	v_and_b32_e32 v2, 0xffff, v3
	v_cmp_ne_u16_sdwa vcc, v3, v29 src0_sel:BYTE_0 src1_sel:DWORD
	s_and_saveexec_b64 s[34:35], vcc
	s_cbranch_execz .LBB249_292
; %bb.287:                              ;   in Loop: Header=BB249_10 Depth=1
	v_bfrev_b32_e32 v46, 1
	v_cmp_ne_u16_sdwa vcc, v2, s19 src0_sel:BYTE_0 src1_sel:DWORD
	v_mov_b32_e32 v47, 0
	s_and_saveexec_b64 s[36:37], vcc
	s_cbranch_execz .LBB249_291
; %bb.288:                              ;   in Loop: Header=BB249_10 Depth=1
	v_and_b32_e32 v3, 0x7f, v2
	v_mov_b32_e32 v46, 0x7f800001
	v_cmp_ne_u32_e32 vcc, s41, v3
	v_mov_b32_e32 v47, 0
	s_and_saveexec_b64 s[38:39], vcc
	s_cbranch_execz .LBB249_290
; %bb.289:                              ;   in Loop: Header=BB249_10 Depth=1
	v_and_b32_e32 v4, 7, v2
	v_lshrrev_b32_e32 v5, 3, v3
	v_cmp_gt_u32_e32 vcc, 8, v3
	v_ffbh_u32_e32 v3, v4
	v_min_u32_e32 v3, 32, v3
	v_subrev_u32_e32 v8, 28, v3
	v_lshlrev_b64 v[8:9], v8, v[2:3]
	v_sub_u32_e32 v3, 29, v3
	v_and_b32_e32 v8, 7, v8
	v_cndmask_b32_e32 v3, v5, v3, vcc
	v_cndmask_b32_e32 v4, v4, v8, vcc
	v_bfrev_b32_e32 v8, 60
	v_lshlrev_b32_e32 v4, 20, v4
	v_and_b32_sdwa v5, sext(v2), s25 dst_sel:DWORD dst_unused:UNUSED_PAD src0_sel:BYTE_0 src1_sel:DWORD
	v_lshl_add_u32 v3, v3, 23, v8
	v_or3_b32 v28, v5, v3, v4
	v_pk_mov_b32 v[46:47], v[28:29], v[28:29] op_sel:[0,1]
	v_accvgpr_read_b32 v28, a62
.LBB249_290:                            ;   in Loop: Header=BB249_10 Depth=1
	s_or_b64 exec, exec, s[38:39]
.LBB249_291:                            ;   in Loop: Header=BB249_10 Depth=1
	s_or_b64 exec, exec, s[36:37]
.LBB249_292:                            ;   in Loop: Header=BB249_10 Depth=1
	s_or_b64 exec, exec, s[34:35]
	v_cmp_ne_u16_sdwa vcc, v2, v29 src0_sel:BYTE_1 src1_sel:DWORD
	s_and_saveexec_b64 s[34:35], vcc
	s_cbranch_execz .LBB249_298
; %bb.293:                              ;   in Loop: Header=BB249_10 Depth=1
	v_cmp_ne_u16_sdwa vcc, v2, s19 src0_sel:BYTE_1 src1_sel:DWORD
	v_pk_mov_b32 v[24:25], s[24:25], s[24:25] op_sel:[0,1]
	s_and_saveexec_b64 s[36:37], vcc
	s_cbranch_execz .LBB249_297
; %bb.294:                              ;   in Loop: Header=BB249_10 Depth=1
	v_and_b32_sdwa v3, v2, s41 dst_sel:DWORD dst_unused:UNUSED_PAD src0_sel:BYTE_1 src1_sel:DWORD
	s_mov_b32 s30, s24
	v_cmp_ne_u32_e32 vcc, s41, v3
	v_pk_mov_b32 v[24:25], s[30:31], s[30:31] op_sel:[0,1]
	s_and_saveexec_b64 s[38:39], vcc
	s_cbranch_execz .LBB249_296
; %bb.295:                              ;   in Loop: Header=BB249_10 Depth=1
	v_mov_b32_e32 v4, 7
	v_and_b32_sdwa v28, v2, v4 dst_sel:DWORD dst_unused:UNUSED_PAD src0_sel:BYTE_1 src1_sel:DWORD
	v_lshrrev_b32_e32 v4, 3, v3
	v_cmp_gt_u32_e32 vcc, 8, v3
	v_ffbh_u32_e32 v3, v28
	v_min_u32_e32 v3, 32, v3
	v_subrev_u32_e32 v5, 28, v3
	v_lshlrev_b64 v[8:9], v5, v[28:29]
	v_sub_u32_e32 v3, 29, v3
	v_and_b32_e32 v5, 7, v8
	v_cndmask_b32_e32 v3, v4, v3, vcc
	v_cndmask_b32_e32 v4, v28, v5, vcc
	v_bfrev_b32_e32 v5, 60
	v_lshlrev_b32_e32 v2, 16, v2
	v_lshl_add_u32 v3, v3, 23, v5
	v_and_or_b32 v2, v2, s25, v3
	v_lshlrev_b32_e32 v3, 20, v4
	v_accvgpr_read_b32 v28, a62
	v_or_b32_e32 v25, v2, v3
	v_mov_b32_e32 v24, v29
.LBB249_296:                            ;   in Loop: Header=BB249_10 Depth=1
	s_or_b64 exec, exec, s[38:39]
.LBB249_297:                            ;   in Loop: Header=BB249_10 Depth=1
	s_or_b64 exec, exec, s[36:37]
.LBB249_298:                            ;   in Loop: Header=BB249_10 Depth=1
	s_or_b64 exec, exec, s[34:35]
	flat_load_ushort v3, v[32:33] offset:3072
	v_pk_mov_b32 v[58:59], 0, 0
	v_pk_mov_b32 v[12:13], v[58:59], v[58:59] op_sel:[0,1]
	s_waitcnt vmcnt(0) lgkmcnt(0)
	v_and_b32_e32 v2, 0xffff, v3
	v_cmp_ne_u16_sdwa vcc, v3, v29 src0_sel:BYTE_0 src1_sel:DWORD
	s_and_saveexec_b64 s[34:35], vcc
	s_cbranch_execz .LBB249_304
; %bb.299:                              ;   in Loop: Header=BB249_10 Depth=1
	v_bfrev_b32_e32 v12, 1
	v_cmp_ne_u16_sdwa vcc, v2, s19 src0_sel:BYTE_0 src1_sel:DWORD
	v_mov_b32_e32 v13, 0
	s_and_saveexec_b64 s[36:37], vcc
	s_cbranch_execz .LBB249_303
; %bb.300:                              ;   in Loop: Header=BB249_10 Depth=1
	v_and_b32_e32 v3, 0x7f, v2
	v_mov_b32_e32 v12, 0x7f800001
	v_cmp_ne_u32_e32 vcc, s41, v3
	v_mov_b32_e32 v13, 0
	s_and_saveexec_b64 s[38:39], vcc
	s_cbranch_execz .LBB249_302
; %bb.301:                              ;   in Loop: Header=BB249_10 Depth=1
	v_and_b32_e32 v4, 7, v2
	v_lshrrev_b32_e32 v5, 3, v3
	v_cmp_gt_u32_e32 vcc, 8, v3
	v_ffbh_u32_e32 v3, v4
	v_min_u32_e32 v3, 32, v3
	v_subrev_u32_e32 v8, 28, v3
	v_lshlrev_b64 v[8:9], v8, v[2:3]
	v_sub_u32_e32 v3, 29, v3
	v_and_b32_e32 v8, 7, v8
	v_cndmask_b32_e32 v3, v5, v3, vcc
	v_cndmask_b32_e32 v4, v4, v8, vcc
	v_bfrev_b32_e32 v8, 60
	v_lshlrev_b32_e32 v4, 20, v4
	v_and_b32_sdwa v5, sext(v2), s25 dst_sel:DWORD dst_unused:UNUSED_PAD src0_sel:BYTE_0 src1_sel:DWORD
	v_lshl_add_u32 v3, v3, 23, v8
	v_or3_b32 v28, v5, v3, v4
	v_pk_mov_b32 v[12:13], v[28:29], v[28:29] op_sel:[0,1]
	v_accvgpr_read_b32 v28, a62
.LBB249_302:                            ;   in Loop: Header=BB249_10 Depth=1
	s_or_b64 exec, exec, s[38:39]
.LBB249_303:                            ;   in Loop: Header=BB249_10 Depth=1
	s_or_b64 exec, exec, s[36:37]
.LBB249_304:                            ;   in Loop: Header=BB249_10 Depth=1
	s_or_b64 exec, exec, s[34:35]
	v_cmp_ne_u16_sdwa vcc, v2, v29 src0_sel:BYTE_1 src1_sel:DWORD
	s_and_saveexec_b64 s[34:35], vcc
	s_cbranch_execz .LBB249_310
; %bb.305:                              ;   in Loop: Header=BB249_10 Depth=1
	v_cmp_ne_u16_sdwa vcc, v2, s19 src0_sel:BYTE_1 src1_sel:DWORD
	v_pk_mov_b32 v[58:59], s[24:25], s[24:25] op_sel:[0,1]
	s_and_saveexec_b64 s[36:37], vcc
	s_cbranch_execz .LBB249_309
; %bb.306:                              ;   in Loop: Header=BB249_10 Depth=1
	v_and_b32_sdwa v3, v2, s41 dst_sel:DWORD dst_unused:UNUSED_PAD src0_sel:BYTE_1 src1_sel:DWORD
	s_mov_b32 s30, s24
	v_cmp_ne_u32_e32 vcc, s41, v3
	v_pk_mov_b32 v[58:59], s[30:31], s[30:31] op_sel:[0,1]
	s_and_saveexec_b64 s[38:39], vcc
	s_cbranch_execz .LBB249_308
; %bb.307:                              ;   in Loop: Header=BB249_10 Depth=1
	v_mov_b32_e32 v4, 7
	v_and_b32_sdwa v28, v2, v4 dst_sel:DWORD dst_unused:UNUSED_PAD src0_sel:BYTE_1 src1_sel:DWORD
	v_lshrrev_b32_e32 v4, 3, v3
	v_cmp_gt_u32_e32 vcc, 8, v3
	v_ffbh_u32_e32 v3, v28
	v_min_u32_e32 v3, 32, v3
	v_subrev_u32_e32 v5, 28, v3
	v_lshlrev_b64 v[8:9], v5, v[28:29]
	v_sub_u32_e32 v3, 29, v3
	v_and_b32_e32 v5, 7, v8
	v_cndmask_b32_e32 v3, v4, v3, vcc
	v_cndmask_b32_e32 v4, v28, v5, vcc
	v_bfrev_b32_e32 v5, 60
	v_lshlrev_b32_e32 v2, 16, v2
	v_lshl_add_u32 v3, v3, 23, v5
	v_and_or_b32 v2, v2, s25, v3
	v_lshlrev_b32_e32 v3, 20, v4
	v_accvgpr_read_b32 v28, a62
	v_or_b32_e32 v59, v2, v3
	v_mov_b32_e32 v58, v29
.LBB249_308:                            ;   in Loop: Header=BB249_10 Depth=1
	s_or_b64 exec, exec, s[38:39]
.LBB249_309:                            ;   in Loop: Header=BB249_10 Depth=1
	s_or_b64 exec, exec, s[36:37]
.LBB249_310:                            ;   in Loop: Header=BB249_10 Depth=1
	s_or_b64 exec, exec, s[34:35]
	flat_load_ushort v3, v[32:33] offset:3076
	v_pk_mov_b32 v[36:37], 0, 0
	v_pk_mov_b32 v[8:9], v[36:37], v[36:37] op_sel:[0,1]
	s_waitcnt vmcnt(0) lgkmcnt(0)
	v_and_b32_e32 v2, 0xffff, v3
	v_cmp_ne_u16_sdwa vcc, v3, v29 src0_sel:BYTE_0 src1_sel:DWORD
	s_and_saveexec_b64 s[34:35], vcc
	s_cbranch_execz .LBB249_316
; %bb.311:                              ;   in Loop: Header=BB249_10 Depth=1
	v_bfrev_b32_e32 v8, 1
	v_cmp_ne_u16_sdwa vcc, v2, s19 src0_sel:BYTE_0 src1_sel:DWORD
	v_mov_b32_e32 v9, 0
	s_and_saveexec_b64 s[36:37], vcc
	s_cbranch_execz .LBB249_315
; %bb.312:                              ;   in Loop: Header=BB249_10 Depth=1
	v_and_b32_e32 v3, 0x7f, v2
	v_mov_b32_e32 v8, 0x7f800001
	v_cmp_ne_u32_e32 vcc, s41, v3
	v_mov_b32_e32 v9, 0
	s_and_saveexec_b64 s[38:39], vcc
	s_cbranch_execz .LBB249_314
; %bb.313:                              ;   in Loop: Header=BB249_10 Depth=1
	v_and_b32_e32 v4, 7, v2
	v_lshrrev_b32_e32 v5, 3, v3
	v_cmp_gt_u32_e32 vcc, 8, v3
	v_ffbh_u32_e32 v3, v4
	v_min_u32_e32 v3, 32, v3
	v_subrev_u32_e32 v8, 28, v3
	v_lshlrev_b64 v[8:9], v8, v[2:3]
	v_sub_u32_e32 v3, 29, v3
	v_and_b32_e32 v8, 7, v8
	v_cndmask_b32_e32 v3, v5, v3, vcc
	v_cndmask_b32_e32 v4, v4, v8, vcc
	v_bfrev_b32_e32 v8, 60
	v_lshlrev_b32_e32 v4, 20, v4
	v_and_b32_sdwa v5, sext(v2), s25 dst_sel:DWORD dst_unused:UNUSED_PAD src0_sel:BYTE_0 src1_sel:DWORD
	v_lshl_add_u32 v3, v3, 23, v8
	v_or3_b32 v28, v5, v3, v4
	v_pk_mov_b32 v[8:9], v[28:29], v[28:29] op_sel:[0,1]
	v_accvgpr_read_b32 v28, a62
.LBB249_314:                            ;   in Loop: Header=BB249_10 Depth=1
	s_or_b64 exec, exec, s[38:39]
.LBB249_315:                            ;   in Loop: Header=BB249_10 Depth=1
	s_or_b64 exec, exec, s[36:37]
.LBB249_316:                            ;   in Loop: Header=BB249_10 Depth=1
	s_or_b64 exec, exec, s[34:35]
	v_cmp_ne_u16_sdwa vcc, v2, v29 src0_sel:BYTE_1 src1_sel:DWORD
	s_and_saveexec_b64 s[34:35], vcc
	s_cbranch_execz .LBB249_322
; %bb.317:                              ;   in Loop: Header=BB249_10 Depth=1
	v_cmp_ne_u16_sdwa vcc, v2, s19 src0_sel:BYTE_1 src1_sel:DWORD
	v_pk_mov_b32 v[36:37], s[24:25], s[24:25] op_sel:[0,1]
	s_and_saveexec_b64 s[36:37], vcc
	s_cbranch_execz .LBB249_321
; %bb.318:                              ;   in Loop: Header=BB249_10 Depth=1
	v_and_b32_sdwa v3, v2, s41 dst_sel:DWORD dst_unused:UNUSED_PAD src0_sel:BYTE_1 src1_sel:DWORD
	s_mov_b32 s30, s24
	v_cmp_ne_u32_e32 vcc, s41, v3
	v_pk_mov_b32 v[36:37], s[30:31], s[30:31] op_sel:[0,1]
	s_and_saveexec_b64 s[38:39], vcc
	s_cbranch_execz .LBB249_320
; %bb.319:                              ;   in Loop: Header=BB249_10 Depth=1
	v_mov_b32_e32 v4, 7
	v_and_b32_sdwa v28, v2, v4 dst_sel:DWORD dst_unused:UNUSED_PAD src0_sel:BYTE_1 src1_sel:DWORD
	v_lshrrev_b32_e32 v4, 3, v3
	v_cmp_gt_u32_e32 vcc, 8, v3
	v_ffbh_u32_e32 v3, v28
	v_min_u32_e32 v3, 32, v3
	v_subrev_u32_e32 v5, 28, v3
	v_lshlrev_b64 v[10:11], v5, v[28:29]
	v_sub_u32_e32 v3, 29, v3
	v_and_b32_e32 v5, 7, v10
	v_cndmask_b32_e32 v3, v4, v3, vcc
	v_cndmask_b32_e32 v4, v28, v5, vcc
	v_bfrev_b32_e32 v5, 60
	v_lshlrev_b32_e32 v2, 16, v2
	v_lshl_add_u32 v3, v3, 23, v5
	v_and_or_b32 v2, v2, s25, v3
	v_lshlrev_b32_e32 v3, 20, v4
	v_accvgpr_read_b32 v28, a62
	v_or_b32_e32 v37, v2, v3
	v_mov_b32_e32 v36, v29
.LBB249_320:                            ;   in Loop: Header=BB249_10 Depth=1
	s_or_b64 exec, exec, s[38:39]
.LBB249_321:                            ;   in Loop: Header=BB249_10 Depth=1
	s_or_b64 exec, exec, s[36:37]
.LBB249_322:                            ;   in Loop: Header=BB249_10 Depth=1
	s_or_b64 exec, exec, s[34:35]
	v_add_co_u32_e32 v2, vcc, 0xc00, v32
	v_addc_co_u32_e32 v3, vcc, 0, v33, vcc
	flat_load_ushort v4, v[2:3] offset:8
	v_pk_mov_b32 v[16:17], 0, 0
	v_pk_mov_b32 v[52:53], v[16:17], v[16:17] op_sel:[0,1]
	s_waitcnt vmcnt(0) lgkmcnt(0)
	v_and_b32_e32 v10, 0xffff, v4
	v_cmp_ne_u16_sdwa vcc, v4, v29 src0_sel:BYTE_0 src1_sel:DWORD
	s_mov_b64 s[34:35], exec
	v_accvgpr_write_b32 a43, v15
	s_and_b64 vcc, s[34:35], vcc
	v_accvgpr_write_b32 a42, v14
	s_mov_b64 exec, vcc
	s_cbranch_execz .LBB249_328
; %bb.323:                              ;   in Loop: Header=BB249_10 Depth=1
	v_bfrev_b32_e32 v52, 1
	v_cmp_ne_u16_sdwa vcc, v10, s19 src0_sel:BYTE_0 src1_sel:DWORD
	v_mov_b32_e32 v53, 0
	s_and_saveexec_b64 s[36:37], vcc
	s_cbranch_execz .LBB249_327
; %bb.324:                              ;   in Loop: Header=BB249_10 Depth=1
	v_and_b32_e32 v4, 0x7f, v10
	v_mov_b32_e32 v52, 0x7f800001
	v_cmp_ne_u32_e32 vcc, s41, v4
	v_mov_b32_e32 v53, 0
	s_and_saveexec_b64 s[38:39], vcc
	s_cbranch_execz .LBB249_326
; %bb.325:                              ;   in Loop: Header=BB249_10 Depth=1
	v_and_b32_e32 v5, 7, v10
	v_lshrrev_b32_e32 v11, 3, v4
	v_cmp_gt_u32_e32 vcc, 8, v4
	v_ffbh_u32_e32 v4, v5
	v_min_u32_e32 v4, 32, v4
	v_subrev_u32_e32 v14, 28, v4
	v_lshlrev_b64 v[18:19], v14, v[10:11]
	v_sub_u32_e32 v4, 29, v4
	v_and_b32_e32 v14, 7, v18
	v_cndmask_b32_e32 v4, v11, v4, vcc
	v_cndmask_b32_e32 v5, v5, v14, vcc
	v_bfrev_b32_e32 v14, 60
	v_lshlrev_b32_e32 v5, 20, v5
	v_and_b32_sdwa v11, sext(v10), s25 dst_sel:DWORD dst_unused:UNUSED_PAD src0_sel:BYTE_0 src1_sel:DWORD
	v_lshl_add_u32 v4, v4, 23, v14
	v_or3_b32 v28, v11, v4, v5
	v_pk_mov_b32 v[52:53], v[28:29], v[28:29] op_sel:[0,1]
	v_accvgpr_read_b32 v28, a62
.LBB249_326:                            ;   in Loop: Header=BB249_10 Depth=1
	s_or_b64 exec, exec, s[38:39]
.LBB249_327:                            ;   in Loop: Header=BB249_10 Depth=1
	s_or_b64 exec, exec, s[36:37]
.LBB249_328:                            ;   in Loop: Header=BB249_10 Depth=1
	s_or_b64 exec, exec, s[34:35]
	v_cmp_ne_u16_sdwa vcc, v10, v29 src0_sel:BYTE_1 src1_sel:DWORD
	s_and_saveexec_b64 s[34:35], vcc
	s_cbranch_execz .LBB249_334
; %bb.329:                              ;   in Loop: Header=BB249_10 Depth=1
	v_cmp_ne_u16_sdwa vcc, v10, s19 src0_sel:BYTE_1 src1_sel:DWORD
	v_pk_mov_b32 v[16:17], s[24:25], s[24:25] op_sel:[0,1]
	s_and_saveexec_b64 s[36:37], vcc
	s_cbranch_execz .LBB249_333
; %bb.330:                              ;   in Loop: Header=BB249_10 Depth=1
	v_and_b32_sdwa v11, v10, s41 dst_sel:DWORD dst_unused:UNUSED_PAD src0_sel:BYTE_1 src1_sel:DWORD
	s_mov_b32 s30, s24
	v_cmp_ne_u32_e32 vcc, s41, v11
	v_pk_mov_b32 v[16:17], s[30:31], s[30:31] op_sel:[0,1]
	s_and_saveexec_b64 s[38:39], vcc
	s_cbranch_execz .LBB249_332
; %bb.331:                              ;   in Loop: Header=BB249_10 Depth=1
	v_mov_b32_e32 v4, 7
	v_and_b32_sdwa v28, v10, v4 dst_sel:DWORD dst_unused:UNUSED_PAD src0_sel:BYTE_1 src1_sel:DWORD
	v_ffbh_u32_e32 v5, v28
	v_min_u32_e32 v5, 32, v5
	v_lshrrev_b32_e32 v4, 3, v11
	v_cmp_gt_u32_e32 vcc, 8, v11
	v_subrev_u32_e32 v11, 28, v5
	v_lshlrev_b64 v[18:19], v11, v[28:29]
	v_sub_u32_e32 v5, 29, v5
	v_and_b32_e32 v11, 7, v18
	v_cndmask_b32_e32 v4, v4, v5, vcc
	v_cndmask_b32_e32 v5, v28, v11, vcc
	v_bfrev_b32_e32 v11, 60
	v_lshlrev_b32_e32 v10, 16, v10
	v_lshl_add_u32 v4, v4, 23, v11
	v_and_or_b32 v4, v10, s25, v4
	v_lshlrev_b32_e32 v5, 20, v5
	v_accvgpr_read_b32 v28, a62
	v_or_b32_e32 v17, v4, v5
	v_mov_b32_e32 v16, v29
.LBB249_332:                            ;   in Loop: Header=BB249_10 Depth=1
	s_or_b64 exec, exec, s[38:39]
.LBB249_333:                            ;   in Loop: Header=BB249_10 Depth=1
	s_or_b64 exec, exec, s[36:37]
.LBB249_334:                            ;   in Loop: Header=BB249_10 Depth=1
	s_or_b64 exec, exec, s[34:35]
	flat_load_ushort v3, v[2:3] offset:12
	v_pk_mov_b32 v[18:19], 0, 0
	v_pk_mov_b32 v[44:45], v[18:19], v[18:19] op_sel:[0,1]
	s_waitcnt vmcnt(0) lgkmcnt(0)
	v_and_b32_e32 v2, 0xffff, v3
	v_cmp_ne_u16_sdwa vcc, v3, v29 src0_sel:BYTE_0 src1_sel:DWORD
	s_and_saveexec_b64 s[34:35], vcc
	s_cbranch_execz .LBB249_340
; %bb.335:                              ;   in Loop: Header=BB249_10 Depth=1
	v_bfrev_b32_e32 v44, 1
	v_cmp_ne_u16_sdwa vcc, v2, s19 src0_sel:BYTE_0 src1_sel:DWORD
	v_mov_b32_e32 v45, 0
	s_and_saveexec_b64 s[36:37], vcc
	s_cbranch_execz .LBB249_339
; %bb.336:                              ;   in Loop: Header=BB249_10 Depth=1
	v_and_b32_e32 v3, 0x7f, v2
	v_mov_b32_e32 v44, 0x7f800001
	v_cmp_ne_u32_e32 vcc, s41, v3
	v_mov_b32_e32 v45, 0
	s_and_saveexec_b64 s[38:39], vcc
	s_cbranch_execz .LBB249_338
; %bb.337:                              ;   in Loop: Header=BB249_10 Depth=1
	v_and_b32_e32 v4, 7, v2
	v_lshrrev_b32_e32 v5, 3, v3
	v_cmp_gt_u32_e32 vcc, 8, v3
	v_ffbh_u32_e32 v3, v4
	v_min_u32_e32 v3, 32, v3
	v_subrev_u32_e32 v10, 28, v3
	v_lshlrev_b64 v[10:11], v10, v[2:3]
	v_sub_u32_e32 v3, 29, v3
	v_and_b32_e32 v10, 7, v10
	v_cndmask_b32_e32 v3, v5, v3, vcc
	v_cndmask_b32_e32 v4, v4, v10, vcc
	v_bfrev_b32_e32 v10, 60
	v_lshlrev_b32_e32 v4, 20, v4
	v_and_b32_sdwa v5, sext(v2), s25 dst_sel:DWORD dst_unused:UNUSED_PAD src0_sel:BYTE_0 src1_sel:DWORD
	v_lshl_add_u32 v3, v3, 23, v10
	v_or3_b32 v28, v5, v3, v4
	v_pk_mov_b32 v[44:45], v[28:29], v[28:29] op_sel:[0,1]
	v_accvgpr_read_b32 v28, a62
.LBB249_338:                            ;   in Loop: Header=BB249_10 Depth=1
	s_or_b64 exec, exec, s[38:39]
.LBB249_339:                            ;   in Loop: Header=BB249_10 Depth=1
	s_or_b64 exec, exec, s[36:37]
.LBB249_340:                            ;   in Loop: Header=BB249_10 Depth=1
	s_or_b64 exec, exec, s[34:35]
	v_cmp_ne_u16_sdwa vcc, v2, v29 src0_sel:BYTE_1 src1_sel:DWORD
	s_and_saveexec_b64 s[34:35], vcc
	s_cbranch_execz .LBB249_346
; %bb.341:                              ;   in Loop: Header=BB249_10 Depth=1
	v_cmp_ne_u16_sdwa vcc, v2, s19 src0_sel:BYTE_1 src1_sel:DWORD
	v_pk_mov_b32 v[18:19], s[24:25], s[24:25] op_sel:[0,1]
	s_and_saveexec_b64 s[36:37], vcc
	s_cbranch_execz .LBB249_345
; %bb.342:                              ;   in Loop: Header=BB249_10 Depth=1
	v_and_b32_sdwa v3, v2, s41 dst_sel:DWORD dst_unused:UNUSED_PAD src0_sel:BYTE_1 src1_sel:DWORD
	s_mov_b32 s30, s24
	v_cmp_ne_u32_e32 vcc, s41, v3
	v_pk_mov_b32 v[18:19], s[30:31], s[30:31] op_sel:[0,1]
	s_and_saveexec_b64 s[38:39], vcc
	s_cbranch_execz .LBB249_344
; %bb.343:                              ;   in Loop: Header=BB249_10 Depth=1
	v_mov_b32_e32 v4, 7
	v_and_b32_sdwa v28, v2, v4 dst_sel:DWORD dst_unused:UNUSED_PAD src0_sel:BYTE_1 src1_sel:DWORD
	v_lshrrev_b32_e32 v4, 3, v3
	v_cmp_gt_u32_e32 vcc, 8, v3
	v_ffbh_u32_e32 v3, v28
	v_min_u32_e32 v3, 32, v3
	v_subrev_u32_e32 v5, 28, v3
	v_lshlrev_b64 v[10:11], v5, v[28:29]
	v_sub_u32_e32 v3, 29, v3
	v_and_b32_e32 v5, 7, v10
	v_cndmask_b32_e32 v3, v4, v3, vcc
	v_cndmask_b32_e32 v4, v28, v5, vcc
	v_bfrev_b32_e32 v5, 60
	v_lshlrev_b32_e32 v2, 16, v2
	v_lshl_add_u32 v3, v3, 23, v5
	v_and_or_b32 v2, v2, s25, v3
	v_lshlrev_b32_e32 v3, 20, v4
	v_accvgpr_read_b32 v28, a62
	v_or_b32_e32 v19, v2, v3
	v_mov_b32_e32 v18, v29
.LBB249_344:                            ;   in Loop: Header=BB249_10 Depth=1
	s_or_b64 exec, exec, s[38:39]
.LBB249_345:                            ;   in Loop: Header=BB249_10 Depth=1
	s_or_b64 exec, exec, s[36:37]
.LBB249_346:                            ;   in Loop: Header=BB249_10 Depth=1
	s_or_b64 exec, exec, s[34:35]
	flat_load_ushort v3, v[32:33] offset:3584
	v_pk_mov_b32 v[10:11], 0, 0
	v_pk_mov_b32 v[26:27], v[10:11], v[10:11] op_sel:[0,1]
	s_waitcnt vmcnt(0) lgkmcnt(0)
	v_and_b32_e32 v2, 0xffff, v3
	v_cmp_ne_u16_sdwa vcc, v3, v29 src0_sel:BYTE_0 src1_sel:DWORD
	s_and_saveexec_b64 s[34:35], vcc
	s_cbranch_execz .LBB249_352
; %bb.347:                              ;   in Loop: Header=BB249_10 Depth=1
	v_bfrev_b32_e32 v26, 1
	v_cmp_ne_u16_sdwa vcc, v2, s19 src0_sel:BYTE_0 src1_sel:DWORD
	v_mov_b32_e32 v27, 0
	s_and_saveexec_b64 s[36:37], vcc
	s_cbranch_execz .LBB249_351
; %bb.348:                              ;   in Loop: Header=BB249_10 Depth=1
	v_and_b32_e32 v3, 0x7f, v2
	v_mov_b32_e32 v26, 0x7f800001
	v_cmp_ne_u32_e32 vcc, s41, v3
	v_mov_b32_e32 v27, 0
	s_and_saveexec_b64 s[38:39], vcc
	s_cbranch_execz .LBB249_350
; %bb.349:                              ;   in Loop: Header=BB249_10 Depth=1
	v_and_b32_e32 v4, 7, v2
	v_lshrrev_b32_e32 v5, 3, v3
	v_cmp_gt_u32_e32 vcc, 8, v3
	v_ffbh_u32_e32 v3, v4
	v_min_u32_e32 v3, 32, v3
	v_subrev_u32_e32 v14, 28, v3
	v_lshlrev_b64 v[26:27], v14, v[2:3]
	v_sub_u32_e32 v3, 29, v3
	v_and_b32_e32 v14, 7, v26
	v_cndmask_b32_e32 v3, v5, v3, vcc
	v_cndmask_b32_e32 v4, v4, v14, vcc
	v_bfrev_b32_e32 v14, 60
	v_lshlrev_b32_e32 v4, 20, v4
	v_and_b32_sdwa v5, sext(v2), s25 dst_sel:DWORD dst_unused:UNUSED_PAD src0_sel:BYTE_0 src1_sel:DWORD
	v_lshl_add_u32 v3, v3, 23, v14
	v_or3_b32 v28, v5, v3, v4
	v_pk_mov_b32 v[26:27], v[28:29], v[28:29] op_sel:[0,1]
	v_accvgpr_read_b32 v28, a62
.LBB249_350:                            ;   in Loop: Header=BB249_10 Depth=1
	s_or_b64 exec, exec, s[38:39]
.LBB249_351:                            ;   in Loop: Header=BB249_10 Depth=1
	s_or_b64 exec, exec, s[36:37]
.LBB249_352:                            ;   in Loop: Header=BB249_10 Depth=1
	s_or_b64 exec, exec, s[34:35]
	v_cmp_ne_u16_sdwa vcc, v2, v29 src0_sel:BYTE_1 src1_sel:DWORD
	s_and_saveexec_b64 s[34:35], vcc
	s_cbranch_execz .LBB249_358
; %bb.353:                              ;   in Loop: Header=BB249_10 Depth=1
	v_cmp_ne_u16_sdwa vcc, v2, s19 src0_sel:BYTE_1 src1_sel:DWORD
	v_pk_mov_b32 v[10:11], s[24:25], s[24:25] op_sel:[0,1]
	s_and_saveexec_b64 s[36:37], vcc
	s_cbranch_execz .LBB249_357
; %bb.354:                              ;   in Loop: Header=BB249_10 Depth=1
	v_and_b32_sdwa v3, v2, s41 dst_sel:DWORD dst_unused:UNUSED_PAD src0_sel:BYTE_1 src1_sel:DWORD
	s_mov_b32 s30, s24
	v_cmp_ne_u32_e32 vcc, s41, v3
	v_pk_mov_b32 v[10:11], s[30:31], s[30:31] op_sel:[0,1]
	s_and_saveexec_b64 s[38:39], vcc
	s_cbranch_execz .LBB249_356
; %bb.355:                              ;   in Loop: Header=BB249_10 Depth=1
	v_mov_b32_e32 v4, 7
	v_and_b32_sdwa v28, v2, v4 dst_sel:DWORD dst_unused:UNUSED_PAD src0_sel:BYTE_1 src1_sel:DWORD
	v_lshrrev_b32_e32 v4, 3, v3
	v_cmp_gt_u32_e32 vcc, 8, v3
	v_ffbh_u32_e32 v3, v28
	v_min_u32_e32 v3, 32, v3
	v_subrev_u32_e32 v5, 28, v3
	v_lshlrev_b64 v[10:11], v5, v[28:29]
	v_sub_u32_e32 v3, 29, v3
	v_and_b32_e32 v5, 7, v10
	v_cndmask_b32_e32 v3, v4, v3, vcc
	v_cndmask_b32_e32 v4, v28, v5, vcc
	v_bfrev_b32_e32 v5, 60
	v_lshlrev_b32_e32 v2, 16, v2
	v_lshl_add_u32 v3, v3, 23, v5
	v_and_or_b32 v2, v2, s25, v3
	v_lshlrev_b32_e32 v3, 20, v4
	v_accvgpr_read_b32 v28, a62
	v_or_b32_e32 v11, v2, v3
	v_mov_b32_e32 v10, v29
.LBB249_356:                            ;   in Loop: Header=BB249_10 Depth=1
	s_or_b64 exec, exec, s[38:39]
.LBB249_357:                            ;   in Loop: Header=BB249_10 Depth=1
	s_or_b64 exec, exec, s[36:37]
.LBB249_358:                            ;   in Loop: Header=BB249_10 Depth=1
	s_or_b64 exec, exec, s[34:35]
	flat_load_ushort v2, v[32:33] offset:3588
	v_pk_mov_b32 v[20:21], 0, 0
	v_pk_mov_b32 v[22:23], v[20:21], v[20:21] op_sel:[0,1]
	s_waitcnt vmcnt(0) lgkmcnt(0)
	v_and_b32_e32 v30, 0xffff, v2
	v_cmp_ne_u16_sdwa vcc, v2, v29 src0_sel:BYTE_0 src1_sel:DWORD
	s_and_saveexec_b64 s[34:35], vcc
	s_cbranch_execz .LBB249_364
; %bb.359:                              ;   in Loop: Header=BB249_10 Depth=1
	v_bfrev_b32_e32 v22, 1
	v_cmp_ne_u16_sdwa vcc, v30, s19 src0_sel:BYTE_0 src1_sel:DWORD
	v_mov_b32_e32 v23, 0
	s_and_saveexec_b64 s[36:37], vcc
	s_cbranch_execz .LBB249_363
; %bb.360:                              ;   in Loop: Header=BB249_10 Depth=1
	v_and_b32_e32 v4, 0x7f, v30
	v_mov_b32_e32 v22, 0x7f800001
	v_cmp_ne_u32_e32 vcc, s41, v4
	v_mov_b32_e32 v23, 0
	s_and_saveexec_b64 s[38:39], vcc
	s_cbranch_execz .LBB249_362
; %bb.361:                              ;   in Loop: Header=BB249_10 Depth=1
	v_and_b32_e32 v2, 7, v30
	v_lshrrev_b32_e32 v3, 3, v4
	v_cmp_gt_u32_e32 vcc, 8, v4
	v_ffbh_u32_e32 v4, v2
	v_min_u32_e32 v4, 32, v4
	v_subrev_u32_e32 v5, 28, v4
	v_lshlrev_b64 v[14:15], v5, v[30:31]
	v_sub_u32_e32 v4, 29, v4
	v_and_b32_e32 v5, 7, v14
	v_cndmask_b32_e32 v3, v3, v4, vcc
	v_cndmask_b32_e32 v2, v2, v5, vcc
	v_bfrev_b32_e32 v5, 60
	v_lshlrev_b32_e32 v2, 20, v2
	v_and_b32_sdwa v4, sext(v30), s25 dst_sel:DWORD dst_unused:UNUSED_PAD src0_sel:BYTE_0 src1_sel:DWORD
	v_lshl_add_u32 v3, v3, 23, v5
	v_or3_b32 v28, v4, v3, v2
	v_pk_mov_b32 v[22:23], v[28:29], v[28:29] op_sel:[0,1]
	v_accvgpr_read_b32 v28, a62
.LBB249_362:                            ;   in Loop: Header=BB249_10 Depth=1
	s_or_b64 exec, exec, s[38:39]
.LBB249_363:                            ;   in Loop: Header=BB249_10 Depth=1
	s_or_b64 exec, exec, s[36:37]
.LBB249_364:                            ;   in Loop: Header=BB249_10 Depth=1
	s_or_b64 exec, exec, s[34:35]
	v_cmp_ne_u16_sdwa vcc, v30, v29 src0_sel:BYTE_1 src1_sel:DWORD
	s_and_saveexec_b64 s[34:35], vcc
	s_cbranch_execz .LBB249_370
; %bb.365:                              ;   in Loop: Header=BB249_10 Depth=1
	v_cmp_ne_u16_sdwa vcc, v30, s19 src0_sel:BYTE_1 src1_sel:DWORD
	v_pk_mov_b32 v[20:21], s[24:25], s[24:25] op_sel:[0,1]
	s_and_saveexec_b64 s[36:37], vcc
	s_cbranch_execz .LBB249_369
; %bb.366:                              ;   in Loop: Header=BB249_10 Depth=1
	v_and_b32_sdwa v31, v30, s41 dst_sel:DWORD dst_unused:UNUSED_PAD src0_sel:BYTE_1 src1_sel:DWORD
	s_mov_b32 s30, s24
	v_cmp_ne_u32_e32 vcc, s41, v31
	v_pk_mov_b32 v[20:21], s[30:31], s[30:31] op_sel:[0,1]
	s_and_saveexec_b64 s[38:39], vcc
	s_cbranch_execz .LBB249_368
; %bb.367:                              ;   in Loop: Header=BB249_10 Depth=1
	v_mov_b32_e32 v2, 7
	v_and_b32_sdwa v28, v30, v2 dst_sel:DWORD dst_unused:UNUSED_PAD src0_sel:BYTE_1 src1_sel:DWORD
	v_ffbh_u32_e32 v3, v28
	v_min_u32_e32 v3, 32, v3
	v_subrev_u32_e32 v4, 28, v3
	v_lshrrev_b32_e32 v2, 3, v31
	v_cmp_gt_u32_e32 vcc, 8, v31
	v_lshlrev_b64 v[32:33], v4, v[28:29]
	v_sub_u32_e32 v3, 29, v3
	v_and_b32_e32 v4, 7, v32
	v_cndmask_b32_e32 v2, v2, v3, vcc
	v_bfrev_b32_e32 v5, 60
	v_cndmask_b32_e32 v3, v28, v4, vcc
	v_lshlrev_b32_e32 v4, 16, v30
	v_lshl_add_u32 v2, v2, 23, v5
	v_and_or_b32 v2, v4, s25, v2
	v_lshlrev_b32_e32 v3, 20, v3
	v_accvgpr_read_b32 v28, a62
	v_or_b32_e32 v21, v2, v3
	v_mov_b32_e32 v20, v29
.LBB249_368:                            ;   in Loop: Header=BB249_10 Depth=1
	s_or_b64 exec, exec, s[38:39]
.LBB249_369:                            ;   in Loop: Header=BB249_10 Depth=1
	s_or_b64 exec, exec, s[36:37]
.LBB249_370:                            ;   in Loop: Header=BB249_10 Depth=1
	s_or_b64 exec, exec, s[34:35]
	v_or_b32_e32 v3, v11, v27
	v_or_b32_e32 v2, v10, v26
	;; [unrolled: 1-line block ×6, first 2 shown]
	v_accvgpr_read_b32 v0, a54
	v_accvgpr_read_b32 v1, a55
	v_or_b32_e32 v35, v35, v1
	v_or_b32_e32 v34, v34, v0
	v_accvgpr_read_b32 v0, a48
	v_accvgpr_read_b32 v1, a49
	v_or_b32_e32 v27, v55, v7
	v_or_b32_e32 v26, v54, v6
	;; [unrolled: 1-line block ×4, first 2 shown]
	v_accvgpr_read_b32 v0, a50
	v_accvgpr_write_b32 a63, v3
	v_accvgpr_read_b32 v1, a51
	v_accvgpr_write_b32 a62, v2
	v_or_b32_e32 v3, v19, v45
	v_or_b32_e32 v31, v57, v1
	;; [unrolled: 1-line block ×3, first 2 shown]
	v_accvgpr_read_b32 v0, a46
	v_or_b32_e32 v2, v18, v44
	v_accvgpr_write_b32 a53, v3
	v_accvgpr_read_b32 v1, a47
	v_accvgpr_write_b32 a52, v2
	v_or_b32_e32 v9, v39, v61
	v_or_b32_e32 v8, v38, v60
	;; [unrolled: 1-line block ×4, first 2 shown]
	v_accvgpr_read_b32 v0, a44
	v_accvgpr_read_b32 v2, a22
	v_accvgpr_read_b32 v1, a45
	v_accvgpr_read_b32 v3, a23
	v_or_b32_e32 v49, v1, v3
	v_or_b32_e32 v48, v0, v2
	v_accvgpr_read_b32 v0, a58
	v_accvgpr_read_b32 v2, a12
	v_accvgpr_read_b32 v1, a59
	v_accvgpr_read_b32 v3, a13
	v_or_b32_e32 v51, v1, v3
	v_or_b32_e32 v50, v0, v2
	;; [unrolled: 6-line block ×3, first 2 shown]
	v_or_b32_e32 v53, v1, v3
	v_or_b32_e32 v52, v0, v2
	v_accvgpr_read_b32 v0, a36
	v_accvgpr_read_b32 v2, a38
	v_accvgpr_read_b32 v1, a37
	v_accvgpr_read_b32 v3, a39
	v_or_b32_e32 v55, v1, v3
	v_or_b32_e32 v54, v0, v2
	v_accvgpr_read_b32 v0, a32
	v_accvgpr_read_b32 v2, a34
	v_accvgpr_read_b32 v1, a33
	v_accvgpr_read_b32 v3, a35
	;; [unrolled: 6-line block ×5, first 2 shown]
	v_or_b32_e32 v25, v25, v47
	v_or_b32_e32 v24, v24, v46
	;; [unrolled: 1-line block ×4, first 2 shown]
	v_accvgpr_read_b32 v0, a16
	v_accvgpr_read_b32 v4, a4
	;; [unrolled: 1-line block ×4, first 2 shown]
	v_or_b32_e32 v57, v1, v5
	v_or_b32_e32 v56, v0, v4
	v_accvgpr_read_b32 v0, a2
	v_accvgpr_read_b32 v4, a14
	v_accvgpr_read_b32 v1, a3
	v_accvgpr_read_b32 v5, a15
	v_or_b32_e32 v59, v59, v13
	v_or_b32_e32 v58, v58, v12
	v_or_b32_e32 v13, v1, v5
	v_or_b32_e32 v12, v0, v4
	v_accvgpr_read_b32 v0, a20
	v_accvgpr_read_b32 v5, a1
	;; [unrolled: 1-line block ×4, first 2 shown]
	v_or_b32_e32 v15, v1, v5
	v_or_b32_e32 v14, v0, v4
	v_accvgpr_read_b32 v0, a56
	v_accvgpr_read_b32 v4, a18
	;; [unrolled: 1-line block ×4, first 2 shown]
	v_or_b32_e32 v61, v1, v5
	v_or_b32_e32 v60, v0, v4
	buffer_load_dword v0, off, s[0:3], s32 offset:236 ; 4-byte Folded Reload
	buffer_load_dword v1, off, s[0:3], s32 offset:240 ; 4-byte Folded Reload
	;; [unrolled: 1-line block ×4, first 2 shown]
	v_or_b32_e32 v23, v21, v23
	v_or_b32_e32 v22, v20, v22
	v_accvgpr_read_b32 v20, a62
	v_accvgpr_read_b32 v21, a63
	s_waitcnt vmcnt(0)
	v_or_b32_e32 v1, v1, v5
	v_or_b32_e32 v0, v0, v4
	buffer_load_dword v4, off, s[0:3], s32 offset:220 ; 4-byte Folded Reload
	buffer_load_dword v5, off, s[0:3], s32 offset:224 ; 4-byte Folded Reload
	;; [unrolled: 1-line block ×4, first 2 shown]
	s_waitcnt vmcnt(0)
	v_or_b32_e32 v33, v5, v17
	v_or_b32_e32 v32, v4, v16
	buffer_load_dword v4, off, s[0:3], s32 offset:204 ; 4-byte Folded Reload
	buffer_load_dword v5, off, s[0:3], s32 offset:208 ; 4-byte Folded Reload
	v_accvgpr_read_b32 v16, a42
	v_accvgpr_read_b32 v17, a43
	s_waitcnt vmcnt(0)
	v_or_b32_e32 v5, v43, v5
	v_or_b32_e32 v4, v42, v4
	buffer_load_dword v42, off, s[0:3], s32 offset:196 ; 4-byte Folded Reload
	buffer_load_dword v43, off, s[0:3], s32 offset:200 ; 4-byte Folded Reload
	s_waitcnt vmcnt(0)
	v_or_b32_e32 v17, v17, v43
	v_or_b32_e32 v16, v16, v42
	buffer_load_dword v42, off, s[0:3], s32 offset:264 ; 4-byte Folded Reload
	buffer_load_dword v43, off, s[0:3], s32 offset:268 ; 4-byte Folded Reload
	s_waitcnt vmcnt(0)
	v_pk_mul_f32 v[10:11], v[42:43], v[10:11] op_sel_hi:[0,1]
	v_accvgpr_write_b32 a6, v10
	v_pk_mul_f32 v[18:19], v[42:43], v[18:19] op_sel_hi:[0,1]
	v_accvgpr_write_b32 a7, v11
	;; [unrolled: 2-line block ×3, first 2 shown]
	v_accvgpr_write_b32 a8, v10
	v_accvgpr_write_b32 a5, v19
	;; [unrolled: 1-line block ×3, first 2 shown]
	v_pk_mul_f32 v[18:19], v[42:43], v[26:27] op_sel_hi:[0,1]
	v_pk_mul_f32 v[10:11], v[42:43], v[8:9] op_sel_hi:[0,1]
	;; [unrolled: 1-line block ×9, first 2 shown]
	buffer_load_dword v0, off, s[0:3], s32 offset:296 ; 4-byte Folded Reload
	buffer_load_dword v1, off, s[0:3], s32 offset:300 ; 4-byte Folded Reload
	;; [unrolled: 1-line block ×4, first 2 shown]
	v_pk_mul_f32 v[4:5], v[42:43], v[4:5] op_sel_hi:[0,1]
	v_pk_mul_f32 v[16:17], v[42:43], v[16:17] op_sel_hi:[0,1]
	;; [unrolled: 1-line block ×4, first 2 shown]
	v_accvgpr_write_b32 a0, v20
	v_accvgpr_write_b32 a1, v21
	v_accvgpr_read_b32 v20, a52
	v_accvgpr_read_b32 v21, a53
	v_pk_mul_f32 v[20:21], v[42:43], v[20:21] op_sel_hi:[0,1]
	v_accvgpr_write_b32 a2, v20
	v_accvgpr_write_b32 a3, v21
	v_pk_mul_f32 v[20:21], v[42:43], v[36:37] op_sel_hi:[0,1]
	v_pk_mul_f32 v[36:37], v[42:43], v[52:53] op_sel_hi:[0,1]
	;; [unrolled: 1-line block ×13, first 2 shown]
	s_waitcnt vmcnt(1)
	v_mul_f32_e32 v4, v2, v4
	s_waitcnt vmcnt(0)
	v_mul_f32_e32 v5, v3, v5
	v_fmac_f32_e32 v4, v0, v16
	v_fmac_f32_e32 v5, v1, v17
	buffer_load_dword v0, off, s[0:3], s32 offset:312 ; 4-byte Folded Reload
	buffer_load_dword v1, off, s[0:3], s32 offset:316 ; 4-byte Folded Reload
	buffer_load_dword v2, off, s[0:3], s32 offset:320 ; 4-byte Folded Reload
	buffer_load_dword v3, off, s[0:3], s32 offset:324 ; 4-byte Folded Reload
	s_waitcnt vmcnt(3)
	v_fmac_f32_e32 v4, v0, v32
	s_waitcnt vmcnt(2)
	v_fmac_f32_e32 v5, v1, v33
	s_waitcnt vmcnt(1)
	v_fmac_f32_e32 v4, v2, v46
	s_waitcnt vmcnt(0)
	v_fmac_f32_e32 v5, v3, v47
	buffer_load_dword v0, off, s[0:3], s32 offset:336 ; 4-byte Folded Reload
	buffer_load_dword v1, off, s[0:3], s32 offset:340 ; 4-byte Folded Reload
	buffer_load_dword v2, off, s[0:3], s32 offset:344 ; 4-byte Folded Reload
	buffer_load_dword v3, off, s[0:3], s32 offset:348 ; 4-byte Folded Reload
	s_waitcnt vmcnt(3)
	v_fmac_f32_e32 v4, v0, v44
	s_waitcnt vmcnt(2)
	v_fmac_f32_e32 v5, v1, v45
	s_waitcnt vmcnt(1)
	v_fmac_f32_e32 v4, v2, v14
	s_waitcnt vmcnt(0)
	;; [unrolled: 12-line block ×5, first 2 shown]
	v_fmac_f32_e32 v5, v3, v51
	buffer_load_dword v0, off, s[0:3], s32 offset:400 ; 4-byte Folded Reload
	buffer_load_dword v1, off, s[0:3], s32 offset:404 ; 4-byte Folded Reload
	buffer_load_dword v2, off, s[0:3], s32 offset:408 ; 4-byte Folded Reload
	buffer_load_dword v3, off, s[0:3], s32 offset:412 ; 4-byte Folded Reload
	v_accvgpr_read_b32 v6, a8
	v_accvgpr_read_b32 v7, a9
	s_waitcnt vmcnt(3)
	v_fmac_f32_e32 v4, v0, v38
	s_waitcnt vmcnt(2)
	v_fmac_f32_e32 v5, v1, v39
	s_waitcnt vmcnt(1)
	v_fmac_f32_e32 v4, v2, v36
	s_waitcnt vmcnt(0)
	v_fmac_f32_e32 v5, v3, v37
	buffer_load_dword v0, off, s[0:3], s32 offset:416 ; 4-byte Folded Reload
	buffer_load_dword v1, off, s[0:3], s32 offset:420 ; 4-byte Folded Reload
	buffer_load_dword v2, off, s[0:3], s32 offset:424 ; 4-byte Folded Reload
	buffer_load_dword v3, off, s[0:3], s32 offset:428 ; 4-byte Folded Reload
	s_waitcnt vmcnt(3)
	v_fmac_f32_e32 v4, v0, v34
	s_waitcnt vmcnt(2)
	v_fmac_f32_e32 v5, v1, v35
	s_waitcnt vmcnt(1)
	v_fmac_f32_e32 v4, v2, v48
	s_waitcnt vmcnt(0)
	v_fmac_f32_e32 v5, v3, v49
	buffer_load_dword v0, off, s[0:3], s32 offset:432 ; 4-byte Folded Reload
	buffer_load_dword v1, off, s[0:3], s32 offset:436 ; 4-byte Folded Reload
	buffer_load_dword v2, off, s[0:3], s32 offset:440 ; 4-byte Folded Reload
	buffer_load_dword v3, off, s[0:3], s32 offset:444 ; 4-byte Folded Reload
	;; [unrolled: 12-line block ×6, first 2 shown]
	s_waitcnt vmcnt(3)
	v_fmac_f32_e32 v4, v0, v6
	s_waitcnt vmcnt(2)
	v_fmac_f32_e32 v5, v1, v7
	v_accvgpr_read_b32 v0, a6
	v_accvgpr_read_b32 v1, a7
	s_waitcnt vmcnt(1)
	v_fmac_f32_e32 v4, v2, v0
	s_waitcnt vmcnt(0)
	v_fmac_f32_e32 v5, v3, v1
	buffer_load_dword v0, off, s[0:3], s32 offset:512 ; 4-byte Folded Reload
	buffer_load_dword v1, off, s[0:3], s32 offset:516 ; 4-byte Folded Reload
	;; [unrolled: 1-line block ×4, first 2 shown]
	v_accvgpr_read_b32 v7, a5
	v_accvgpr_read_b32 v6, a4
	s_waitcnt vmcnt(3)
	v_fmac_f32_e32 v4, v0, v6
	s_waitcnt vmcnt(2)
	v_fmac_f32_e32 v5, v1, v7
	v_accvgpr_read_b32 v0, a2
	v_accvgpr_read_b32 v1, a3
	s_waitcnt vmcnt(1)
	v_fmac_f32_e32 v4, v2, v0
	s_waitcnt vmcnt(0)
	v_fmac_f32_e32 v5, v3, v1
	buffer_load_dword v0, off, s[0:3], s32 offset:528 ; 4-byte Folded Reload
	buffer_load_dword v1, off, s[0:3], s32 offset:532 ; 4-byte Folded Reload
	;; [unrolled: 1-line block ×4, first 2 shown]
	v_accvgpr_read_b32 v7, a1
	v_accvgpr_read_b32 v6, a0
	s_waitcnt vmcnt(2)
	v_fmac_f32_e32 v5, v1, v7
	buffer_load_dword v1, off, s[0:3], s32 offset:284 ; 4-byte Folded Reload
	v_fmac_f32_e32 v4, v0, v6
	s_waitcnt vmcnt(2)
	v_fmac_f32_e32 v4, v2, v22
	s_waitcnt vmcnt(1)
	v_fmac_f32_e32 v5, v3, v23
	v_add_f32_e32 v0, v4, v5
	s_waitcnt vmcnt(0)
	ds_bpermute_b32 v1, v1, v0
	s_and_saveexec_b64 s[34:35], s[6:7]
	s_cbranch_execz .LBB249_9
; %bb.371:                              ;   in Loop: Header=BB249_10 Depth=1
	s_waitcnt lgkmcnt(0)
	v_add_f32_e32 v0, v0, v1
	buffer_load_dword v1, off, s[0:3], s32 offset:544 ; 4-byte Folded Reload
	buffer_load_dword v3, off, s[0:3], s32 offset:548 ; 4-byte Folded Reload
	v_accvgpr_read_b32 v4, a60
	v_sub_u32_e32 v2, 1, v62
	v_add_u32_e32 v2, v2, v4
	v_cvt_f32_i32_e32 v2, v2
	s_load_dword vcc_lo, s[26:27], 0x0
	s_waitcnt vmcnt(1)
	v_mul_f32_e32 v1, v1, v2
	v_accvgpr_read_b32 v2, a61
	v_cndmask_b32_e64 v1, 0, v1, s[8:9]
	s_waitcnt lgkmcnt(0)
	v_add_u32_e32 v2, vcc_lo, v2
	s_waitcnt vmcnt(0)
	v_fmac_f32_e32 v1, v0, v3
	v_cmp_lt_i32_e32 vcc, v4, v62
	v_cndmask_b32_e32 v0, 0, v1, vcc
	ds_write_b32 v2, v0
	buffer_load_dword v2, off, s[0:3], s32 offset:280 ; 4-byte Folded Reload
	s_waitcnt vmcnt(0)
	v_max_f32_e32 v0, v2, v2
	v_max_f32_e32 v0, v0, v1
	v_cndmask_b32_e32 v2, v2, v0, vcc
	buffer_store_dword v2, off, s[0:3], s32 offset:280 ; 4-byte Folded Spill
	s_branch .LBB249_9
.LBB249_372:
	s_or_b64 exec, exec, s[28:29]
	buffer_load_dword v11, off, s[0:3], s32 offset:628 ; 4-byte Folded Reload
	buffer_load_dword v10, off, s[0:3], s32 offset:624 ; 4-byte Folded Reload
	s_waitcnt lgkmcnt(0)
	buffer_load_dword v1, off, s[0:3], s32 offset:620 ; 4-byte Folded Reload
	buffer_load_dword v0, off, s[0:3], s32 offset:616 ; 4-byte Folded Reload
	;; [unrolled: 1-line block ×16, first 2 shown]
.LBB249_373:
	s_or_b64 exec, exec, s[10:11]
	s_waitcnt vmcnt(2)
	v_xor_b32_e32 v4, 32, v14
	s_waitcnt vmcnt(1)
	v_cmp_lt_i32_e32 vcc, v4, v13
	v_cndmask_b32_e32 v4, v14, v4, vcc
	v_lshlrev_b32_e32 v4, 2, v4
	s_waitcnt vmcnt(0)
	ds_bpermute_b32 v5, v4, v18
	v_xor_b32_e32 v7, 16, v14
	v_max_f32_e32 v6, v18, v18
	v_cmp_lt_i32_e32 vcc, v7, v13
	v_xor_b32_e32 v8, 8, v14
	s_waitcnt lgkmcnt(0)
	v_max_f32_e32 v5, v5, v5
	v_max_f32_e32 v6, v6, v5
	v_cndmask_b32_e32 v5, v14, v7, vcc
	v_lshlrev_b32_e32 v5, 2, v5
	ds_bpermute_b32 v7, v5, v6
	v_cmp_lt_i32_e32 vcc, v8, v13
	v_xor_b32_e32 v9, 4, v14
	s_lshr_b32 s28, s40, 16
	s_waitcnt lgkmcnt(0)
	v_max_f32_e32 v7, v7, v7
	v_max_f32_e32 v6, v6, v7
	v_cndmask_b32_e32 v7, v14, v8, vcc
	v_lshlrev_b32_e32 v8, 2, v7
	ds_bpermute_b32 v7, v8, v6
	v_cmp_lt_i32_e32 vcc, v9, v13
	s_waitcnt lgkmcnt(0)
	v_max_f32_e32 v7, v7, v7
	v_max_f32_e32 v6, v6, v7
	v_cndmask_b32_e32 v7, v14, v9, vcc
	v_lshlrev_b32_e32 v24, 2, v7
	ds_bpermute_b32 v7, v24, v6
	v_xor_b32_e32 v9, 2, v14
	v_cmp_lt_i32_e32 vcc, v9, v13
	s_waitcnt lgkmcnt(0)
	v_max_f32_e32 v7, v7, v7
	v_max_f32_e32 v6, v6, v7
	v_cndmask_b32_e32 v7, v14, v9, vcc
	buffer_load_dword v9, off, s[0:3], s32 offset:552 ; 4-byte Folded Reload
	v_lshlrev_b32_e32 v25, 2, v7
	ds_bpermute_b32 v7, v25, v6
	s_waitcnt vmcnt(0)
	v_and_b32_e32 v29, 63, v9
	v_cmp_eq_u32_e32 vcc, 0, v29
	v_lshlrev_b32_e32 v9, 2, v31
	s_and_saveexec_b64 s[6:7], vcc
	s_cbranch_execz .LBB249_375
; %bb.374:
	s_waitcnt lgkmcnt(0)
	v_max_f32_e32 v7, v7, v7
	v_max_f32_e32 v6, v6, v6
	;; [unrolled: 1-line block ×3, first 2 shown]
	ds_write_b32 v9, v6 offset:480
.LBB249_375:
	s_or_b64 exec, exec, s[6:7]
	v_cmp_gt_u32_e64 s[6:7], 2, v29
	v_mov_b32_e32 v6, 0xff7fffff
	v_lshlrev_b32_e32 v12, 2, v29
	s_waitcnt lgkmcnt(0)
	s_barrier
	s_and_saveexec_b64 s[8:9], s[6:7]
	s_cbranch_execz .LBB249_377
; %bb.376:
	ds_read_b32 v6, v12 offset:480
.LBB249_377:
	s_or_b64 exec, exec, s[8:9]
	v_xor_b32_e32 v7, 1, v14
	v_cmp_lt_i32_e64 s[8:9], v7, v13
	buffer_load_dword v13, off, s[0:3], s32 offset:252 ; 4-byte Folded Reload
	buffer_load_dword v16, off, s[0:3], s32 offset:552 ; 4-byte Folded Reload
	v_cndmask_b32_e64 v7, v14, v7, s[8:9]
	v_lshlrev_b32_e32 v30, 2, v7
	s_waitcnt lgkmcnt(0)
	ds_bpermute_b32 v7, v30, v6
	v_max_f32_e32 v6, v6, v6
	v_mov_b32_e32 v19, 0
	s_waitcnt lgkmcnt(0)
	v_max_f32_e32 v7, v7, v7
	v_max_f32_e32 v6, v6, v7
	v_lshlrev_b32_e32 v7, 2, v14
	v_and_b32_e32 v14, 0xffffff00, v7
	ds_bpermute_b32 v6, v14, v6
	s_waitcnt vmcnt(1)
	v_subrev_u32_e32 v13, s21, v13
	v_lshl_add_u32 v13, v13, 5, s23
	v_min_i32_e32 v13, v13, v62
	v_subrev_u32_e32 v7, s23, v13
	s_waitcnt vmcnt(0)
	v_cmp_lt_i32_e64 s[8:9], v16, v7
	s_and_saveexec_b64 s[24:25], s[8:9]
	s_cbranch_execz .LBB249_381
; %bb.378:
	buffer_load_dword v17, off, s[0:3], s32 offset:552 ; 4-byte Folded Reload
	s_ashr_i32 s19, s18, 31
	s_lshl_b64 s[10:11], s[18:19], 2
	s_getpc_b64 s[26:27]
	s_add_u32 s26, s26, llvm.amdgcn.dynlds.offset.table@rel32@lo+4
	s_addc_u32 s27, s27, llvm.amdgcn.dynlds.offset.table@rel32@hi+12
	s_add_u32 s10, s10, s26
	s_addc_u32 s11, s11, s27
	s_load_dword s10, s[10:11], 0x0
	s_mov_b64 s[26:27], 0
	v_mov_b32_e32 v19, 0
	s_waitcnt vmcnt(0) lgkmcnt(0)
	v_lshl_add_u32 v16, v17, 2, s10
.LBB249_379:                            ; =>This Inner Loop Header: Depth=1
	ds_read_b32 v18, v16
	v_add_u32_e32 v17, 0x80, v17
	v_cmp_ge_i32_e64 s[10:11], v17, v7
	s_or_b64 s[26:27], s[10:11], s[26:27]
	s_waitcnt lgkmcnt(0)
	v_sub_f32_e32 v18, v18, v6
	v_mul_f32_e32 v18, 0x3fb8aa3b, v18
	v_exp_f32_e32 v18, v18
	ds_write_b32 v16, v18
	v_add_f32_e32 v19, v19, v18
	v_add_u32_e32 v16, 0x200, v16
	s_andn2_b64 exec, exec, s[26:27]
	s_cbranch_execnz .LBB249_379
; %bb.380:
	s_or_b64 exec, exec, s[26:27]
.LBB249_381:
	s_or_b64 exec, exec, s[24:25]
	ds_bpermute_b32 v4, v4, v19
	s_waitcnt lgkmcnt(0)
	v_add_f32_e32 v4, v19, v4
	ds_bpermute_b32 v5, v5, v4
	s_waitcnt lgkmcnt(0)
	v_add_f32_e32 v4, v4, v5
	;; [unrolled: 3-line block ×6, first 2 shown]
	s_and_saveexec_b64 s[10:11], vcc
	s_cbranch_execz .LBB249_383
; %bb.382:
	ds_write_b32 v9, v4 offset:488
.LBB249_383:
	s_or_b64 exec, exec, s[10:11]
	s_waitcnt lgkmcnt(0)
	s_barrier
	s_and_saveexec_b64 s[10:11], s[6:7]
	s_cbranch_execz .LBB249_385
; %bb.384:
	ds_read_b32 v4, v12 offset:488
.LBB249_385:
	s_or_b64 exec, exec, s[10:11]
	s_waitcnt lgkmcnt(0)
	ds_bpermute_b32 v5, v30, v4
	s_waitcnt lgkmcnt(0)
	v_add_f32_e32 v4, v4, v5
	ds_bpermute_b32 v8, v14, v4
	s_and_saveexec_b64 s[6:7], s[8:9]
	s_cbranch_execz .LBB249_398
; %bb.386:
	s_waitcnt lgkmcnt(0)
	v_add_f32_e32 v4, 0x358637bd, v8
	v_div_scale_f32 v5, s[8:9], v4, v4, 1.0
	v_rcp_f32_e32 v9, v5
	v_div_scale_f32 v12, vcc, 1.0, v4, 1.0
	s_movk_i32 s8, 0x7f
	v_fma_f32 v14, -v5, v9, 1.0
	v_fmac_f32_e32 v9, v14, v9
	v_mul_f32_e32 v14, v12, v9
	v_fma_f32 v16, -v5, v14, v12
	v_fmac_f32_e32 v14, v16, v9
	v_fma_f32 v5, -v5, v14, v12
	buffer_load_dword v12, off, s[0:3], s32 offset:552 ; 4-byte Folded Reload
	v_div_fmas_f32 v5, v5, v9, v14
	v_div_fixup_f32 v4, v5, v4, 1.0
	s_mov_b64 s[10:11], -1
	s_waitcnt vmcnt(0)
	v_xad_u32 v5, v12, -1, v13
	v_subrev_u32_e32 v9, s23, v5
	v_cmp_lt_u32_e32 vcc, s8, v9
	v_mov_b32_e32 v5, v12
	s_and_saveexec_b64 s[8:9], vcc
	s_cbranch_execz .LBB249_395
; %bb.387:
	v_lshrrev_b32_e32 v9, 7, v9
	v_add_u32_e32 v13, -1, v9
	v_lshrrev_b32_e32 v12, 1, v13
	v_mov_b32_e32 v5, v4
	v_add_u32_e32 v12, 1, v12
	v_cmp_lt_u32_e32 vcc, 13, v13
	v_mov_b32_e32 v16, 0
	s_and_saveexec_b64 s[10:11], vcc
	s_cbranch_execz .LBB249_391
; %bb.388:
	buffer_load_dword v14, off, s[0:3], s32 offset:552 ; 4-byte Folded Reload
	s_ashr_i32 s19, s18, 31
	s_lshl_b64 s[24:25], s[18:19], 2
	s_getpc_b64 s[26:27]
	s_add_u32 s26, s26, llvm.amdgcn.dynlds.offset.table@rel32@lo+4
	s_addc_u32 s27, s27, llvm.amdgcn.dynlds.offset.table@rel32@hi+12
	s_add_u32 s24, s24, s26
	s_addc_u32 s25, s25, s27
	s_load_dword s21, s[24:25], 0x0
	v_and_b32_e32 v13, -8, v12
	s_mov_b32 s19, 0
	s_mov_b64 s[24:25], 0
	s_waitcnt vmcnt(0) lgkmcnt(0)
	v_lshl_add_u32 v14, v14, 2, s21
.LBB249_389:                            ; =>This Inner Loop Header: Depth=1
	ds_read2st64_b32 v[16:17], v14 offset1:2
	ds_read2st64_b32 v[18:19], v14 offset0:4 offset1:6
	ds_read2st64_b32 v[20:21], v14 offset0:8 offset1:10
	;; [unrolled: 1-line block ×3, first 2 shown]
	v_add_u32_e32 v13, -8, v13
	s_waitcnt lgkmcnt(3)
	v_pk_mul_f32 v[16:17], v[4:5], v[16:17]
	s_waitcnt lgkmcnt(2)
	v_pk_mul_f32 v[18:19], v[4:5], v[18:19]
	ds_write2st64_b32 v14, v16, v17 offset1:2
	ds_write2st64_b32 v14, v18, v19 offset0:4 offset1:6
	ds_read2st64_b32 v[18:19], v14 offset0:16 offset1:18
	s_waitcnt lgkmcnt(4)
	v_pk_mul_f32 v[16:17], v[4:5], v[20:21]
	ds_write2st64_b32 v14, v16, v17 offset0:8 offset1:10
	s_waitcnt lgkmcnt(4)
	v_pk_mul_f32 v[16:17], v[4:5], v[22:23]
	ds_write2st64_b32 v14, v16, v17 offset0:12 offset1:14
	ds_read2st64_b32 v[16:17], v14 offset0:20 offset1:22
	s_waitcnt lgkmcnt(3)
	v_pk_mul_f32 v[18:19], v[4:5], v[18:19]
	ds_read2st64_b32 v[20:21], v14 offset0:24 offset1:26
	ds_write2st64_b32 v14, v18, v19 offset0:16 offset1:18
	ds_read2st64_b32 v[18:19], v14 offset0:28 offset1:30
	s_waitcnt lgkmcnt(3)
	v_pk_mul_f32 v[16:17], v[4:5], v[16:17]
	ds_write2st64_b32 v14, v16, v17 offset0:20 offset1:22
	s_waitcnt lgkmcnt(3)
	v_pk_mul_f32 v[16:17], v[4:5], v[20:21]
	ds_write2st64_b32 v14, v16, v17 offset0:24 offset1:26
	s_waitcnt lgkmcnt(2)
	v_pk_mul_f32 v[16:17], v[4:5], v[18:19]
	s_add_i32 s19, s19, 16
	v_cmp_eq_u32_e32 vcc, 0, v13
	ds_write2st64_b32 v14, v16, v17 offset0:28 offset1:30
	v_add_u32_e32 v14, 0x2000, v14
	s_or_b64 s[24:25], vcc, s[24:25]
	v_mov_b32_e32 v16, s19
	s_andn2_b64 exec, exec, s[24:25]
	s_cbranch_execnz .LBB249_389
; %bb.390:
	s_or_b64 exec, exec, s[24:25]
.LBB249_391:
	s_or_b64 exec, exec, s[10:11]
	v_and_b32_e32 v12, 7, v12
	v_cmp_ne_u32_e32 vcc, 0, v12
	s_and_saveexec_b64 s[10:11], vcc
	s_cbranch_execz .LBB249_394
; %bb.392:
	s_ashr_i32 s19, s18, 31
	s_lshl_b64 s[24:25], s[18:19], 2
	s_getpc_b64 s[26:27]
	s_add_u32 s26, s26, llvm.amdgcn.dynlds.offset.table@rel32@lo+4
	s_addc_u32 s27, s27, llvm.amdgcn.dynlds.offset.table@rel32@hi+12
	s_add_u32 s24, s24, s26
	s_addc_u32 s25, s25, s27
	s_load_dword s19, s[24:25], 0x0
	v_lshlrev_b32_e32 v13, 9, v16
	s_mov_b64 s[24:25], 0
	s_waitcnt lgkmcnt(0)
	v_add3_u32 v13, v13, v32, s19
.LBB249_393:                            ; =>This Inner Loop Header: Depth=1
	ds_read2st64_b32 v[16:17], v13 offset1:2
	v_add_u32_e32 v12, -1, v12
	v_cmp_eq_u32_e32 vcc, 0, v12
	s_or_b64 s[24:25], vcc, s[24:25]
	s_waitcnt lgkmcnt(0)
	v_pk_mul_f32 v[16:17], v[4:5], v[16:17]
	ds_write2st64_b32 v13, v16, v17 offset1:2
	v_add_u32_e32 v13, 0x400, v13
	s_andn2_b64 exec, exec, s[24:25]
	s_cbranch_execnz .LBB249_393
.LBB249_394:
	s_or_b64 exec, exec, s[10:11]
	buffer_load_dword v5, off, s[0:3], s32 offset:552 ; 4-byte Folded Reload
	v_add_u32_e32 v9, 1, v9
	v_and_b32_e32 v12, 0x3fffffe, v9
	v_cmp_ne_u32_e32 vcc, v9, v12
	s_orn2_b64 s[10:11], vcc, exec
	s_waitcnt vmcnt(0)
	v_lshl_add_u32 v5, v12, 7, v5
.LBB249_395:
	s_or_b64 exec, exec, s[8:9]
	s_and_b64 exec, exec, s[10:11]
	s_cbranch_execz .LBB249_398
; %bb.396:
	s_ashr_i32 s19, s18, 31
	s_lshl_b64 s[8:9], s[18:19], 2
	s_getpc_b64 s[10:11]
	s_add_u32 s10, s10, llvm.amdgcn.dynlds.offset.table@rel32@lo+4
	s_addc_u32 s11, s11, llvm.amdgcn.dynlds.offset.table@rel32@hi+12
	s_add_u32 s8, s8, s10
	s_addc_u32 s9, s9, s11
	s_load_dword s8, s[8:9], 0x0
	s_waitcnt lgkmcnt(0)
	v_lshl_add_u32 v9, v5, 2, s8
	s_mov_b64 s[8:9], 0
.LBB249_397:                            ; =>This Inner Loop Header: Depth=1
	ds_read_b32 v12, v9
	v_add_u32_e32 v5, 0x80, v5
	v_cmp_ge_i32_e32 vcc, v5, v7
	s_or_b64 s[8:9], vcc, s[8:9]
	s_waitcnt lgkmcnt(0)
	v_mul_f32_e32 v12, v4, v12
	ds_write_b32 v9, v12
	v_add_u32_e32 v9, 0x200, v9
	s_andn2_b64 exec, exec, s[8:9]
	s_cbranch_execnz .LBB249_397
.LBB249_398:
	s_or_b64 exec, exec, s[6:7]
	s_waitcnt lgkmcnt(0)
	s_barrier
	buffer_load_dword v4, off, s[0:3], s32 offset:552 ; 4-byte Folded Reload
	v_cmp_ne_u16_e64 s[6:7], s28, 0
	s_cmp_lg_u64 s[6:7], 0
	s_addc_u32 s21, s13, 0
	s_mul_i32 s6, s21, s22
	s_mul_i32 s6, s6, s15
	s_waitcnt vmcnt(0)
	v_cmp_eq_u32_e32 vcc, 0, v4
	s_and_saveexec_b64 s[8:9], vcc
	s_cbranch_execz .LBB249_400
; %bb.399:
	s_mul_i32 s12, s21, s12
	s_ashr_i32 s7, s6, 31
	s_ashr_i32 s13, s12, 31
	;; [unrolled: 1-line block ×3, first 2 shown]
	s_lshl_b64 s[10:11], s[6:7], 2
	s_lshl_b64 s[12:13], s[12:13], 2
	s_lshl_b64 s[24:25], s[14:15], 2
	s_add_u32 s7, s24, s12
	s_addc_u32 s12, s25, s13
	s_add_u32 s7, s7, s10
	s_addc_u32 s10, s12, s11
	v_mov_b32_e32 v4, s10
	v_add_co_u32_e32 v2, vcc, s7, v2
	v_addc_co_u32_e32 v3, vcc, v4, v3, vcc
	flat_store_dword v[2:3], v6
	v_mov_b32_e32 v2, s10
	v_add_co_u32_e32 v0, vcc, s7, v0
	v_addc_co_u32_e32 v1, vcc, v2, v1, vcc
	flat_store_dword v[0:1], v8
.LBB249_400:
	s_or_b64 exec, exec, s[8:9]
	buffer_load_dword v0, off, s[0:3], s32 offset:552 ; 4-byte Folded Reload
	s_mov_b32 s10, 0
	v_mov_b32_e32 v22, 0
	v_mov_b32_e32 v23, 0
	;; [unrolled: 1-line block ×15, first 2 shown]
	s_waitcnt vmcnt(0)
	v_and_b32_e32 v36, 7, v0
	s_and_saveexec_b64 s[8:9], s[4:5]
	s_cbranch_execz .LBB249_794
; %bb.401:
	v_add_co_u32_e32 v3, vcc, v10, v34
	v_addc_co_u32_e32 v4, vcc, v11, v35, vcc
	v_and_b32_e32 v5, 0xfc, v32
	v_accvgpr_write_b32 a1, v24
	flat_load_dword v24, v[26:27]
	buffer_load_dword v0, off, s[0:3], s32 offset:188 ; 4-byte Folded Reload
	buffer_load_dword v1, off, s[0:3], s32 offset:192 ; 4-byte Folded Reload
	v_add_co_u32_e32 v26, vcc, v3, v5
	v_addc_co_u32_e32 v27, vcc, 0, v4, vcc
	buffer_load_dword v4, off, s[0:3], s32 offset:564 ; 4-byte Folded Reload
	buffer_load_dword v5, off, s[0:3], s32 offset:568 ; 4-byte Folded Reload
	s_ashr_i32 s19, s18, 31
	s_getpc_b64 s[4:5]
	s_add_u32 s4, s4, llvm.amdgcn.dynlds.offset.table@rel32@lo+4
	s_addc_u32 s5, s5, llvm.amdgcn.dynlds.offset.table@rel32@hi+12
	s_lshl_b64 s[24:25], s[18:19], 2
	s_add_u32 s4, s24, s4
	s_addc_u32 s5, s25, s5
	s_load_dword s4, s[4:5], 0x0
	v_and_b32_e32 v2, 28, v32
	v_lshl_add_u32 v10, v31, 5, s23
	v_lshlrev_b32_e32 v11, 4, v36
	v_add_u32_e32 v58, -1, v33
	v_accvgpr_write_b32 a14, v26
	v_add3_u32 v56, v10, v2, 3
	v_lshl_or_b32 v2, v31, 7, v11
	v_accvgpr_write_b32 a3, v30
	v_accvgpr_write_b32 a2, v25
	;; [unrolled: 1-line block ×3, first 2 shown]
	v_mov_b32_e32 v47, 0
	v_accvgpr_write_b32 a4, v36
	s_mov_b64 s[12:13], 0
	s_movk_i32 s7, 0x80
	s_movk_i32 s15, 0x7f
	s_brev_b32 s11, 1
	s_mov_b32 s23, 0x7f800001
	s_mov_b32 s30, 0xffffff
	v_bfrev_b32_e32 v57, 60
	v_mov_b32_e32 v59, 0
	v_mov_b32_e32 v7, 0
	;; [unrolled: 1-line block ×14, first 2 shown]
	v_accvgpr_write_b32 a15, v27
	v_mov_b32_e32 v22, 0
	v_accvgpr_write_b32 a11, v58
	s_waitcnt vmcnt(0) lgkmcnt(0)
	v_mov_b32_e32 v25, v24
	v_lshlrev_b64 v[0:1], 2, v[0:1]
	v_add_co_u32_e32 v0, vcc, v4, v0
	v_addc_co_u32_e32 v1, vcc, v5, v1, vcc
	v_add_co_u32_e32 v4, vcc, v28, v0
	v_addc_co_u32_e32 v5, vcc, v15, v1, vcc
	v_add_u32_e32 v1, s4, v2
	s_branch .LBB249_403
.LBB249_402:                            ;   in Loop: Header=BB249_403 Depth=1
	s_or_b64 exec, exec, s[4:5]
	v_mul_f32_e32 v15, v1, v15
	v_fmac_f32_e32 v15, v0, v14
	v_mul_f32_e32 v14, v1, v61
	v_fmac_f32_e32 v14, v0, v60
	;; [unrolled: 2-line block ×3, first 2 shown]
	v_fmac_f32_e32 v14, v2, v26
	v_fmac_f32_e32 v10, v0, v52
	;; [unrolled: 1-line block ×5, first 2 shown]
	v_add_f32_e32 v13, v13, v15
	v_add_f32_e32 v12, v12, v14
	v_accvgpr_read_b32 v14, a38
	v_fmac_f32_e32 v10, v3, v55
	v_accvgpr_read_b32 v15, a39
	v_add_f32_e32 v7, v7, v10
	v_mul_f32_e32 v10, v1, v15
	v_fmac_f32_e32 v10, v0, v14
	v_accvgpr_read_b32 v14, a40
	v_accvgpr_read_b32 v15, a41
	v_fmac_f32_e32 v10, v2, v14
	v_fmac_f32_e32 v10, v3, v15
	v_accvgpr_read_b32 v14, a34
	v_accvgpr_read_b32 v15, a35
	v_add_f32_e32 v16, v16, v10
	v_mul_f32_e32 v10, v1, v15
	v_fmac_f32_e32 v10, v0, v14
	v_accvgpr_read_b32 v14, a36
	v_accvgpr_read_b32 v15, a37
	v_fmac_f32_e32 v10, v2, v14
	v_fmac_f32_e32 v10, v3, v15
	v_accvgpr_read_b32 v14, a30
	;; [unrolled: 9-line block ×5, first 2 shown]
	v_accvgpr_read_b32 v15, a19
	v_add_f32_e32 v20, v20, v10
	v_mul_f32_e32 v10, v1, v15
	v_fmac_f32_e32 v10, v0, v14
	v_accvgpr_read_b32 v14, a20
	v_accvgpr_read_b32 v15, a21
	v_fmac_f32_e32 v10, v2, v14
	v_accvgpr_read_b32 v28, a42
	v_fmac_f32_e32 v10, v3, v15
	v_accvgpr_read_b32 v15, a7
	v_accvgpr_read_b32 v29, a43
	v_add_f32_e32 v23, v23, v10
	v_accvgpr_read_b32 v14, a6
	v_mul_f32_e32 v10, v1, v15
	v_mul_f32_e32 v11, v1, v49
	;; [unrolled: 1-line block ×5, first 2 shown]
	v_fmac_f32_e32 v10, v0, v14
	v_accvgpr_read_b32 v15, a9
	v_mul_f32_e32 v1, v1, v31
	v_fmac_f32_e32 v11, v0, v48
	v_fmac_f32_e32 v37, v0, v36
	;; [unrolled: 1-line block ×4, first 2 shown]
	v_accvgpr_read_b32 v28, a44
	v_accvgpr_read_b32 v14, a8
	v_fmac_f32_e32 v1, v0, v30
	v_fmac_f32_e32 v11, v2, v50
	;; [unrolled: 1-line block ×4, first 2 shown]
	v_accvgpr_read_b32 v29, a45
	v_fmac_f32_e32 v26, v2, v28
	v_fmac_f32_e32 v10, v2, v14
	;; [unrolled: 1-line block ×9, first 2 shown]
	buffer_load_dword v2, off, s[0:3], s32 offset:188 ; 4-byte Folded Reload
	buffer_load_dword v3, off, s[0:3], s32 offset:192 ; 4-byte Folded Reload
	v_add_f32_e32 v59, v59, v1
	v_add_co_u32_e32 v4, vcc, 8, v4
	v_addc_co_u32_e32 v5, vcc, 0, v5, vcc
	v_add_f32_e32 v6, v6, v11
	v_add_f32_e32 v9, v9, v37
	;; [unrolled: 1-line block ×5, first 2 shown]
	v_add_u32_e32 v56, 64, v56
	s_waitcnt vmcnt(1)
	v_add_u32_e32 v2, 2, v2
	v_mov_b32_e32 v0, v2
	buffer_store_dword v0, off, s[0:3], s32 offset:188 ; 4-byte Folded Spill
	s_nop 0
	buffer_store_dword v1, off, s[0:3], s32 offset:192 ; 4-byte Folded Spill
	buffer_load_dword v0, off, s[0:3], s32 offset:252 ; 4-byte Folded Reload
	v_accvgpr_read_b32 v1, a13
	v_add_u32_e32 v1, 0x100, v1
	s_waitcnt vmcnt(0)
	v_cmp_ge_i32_e32 vcc, v2, v0
	s_or_b64 s[12:13], vcc, s[12:13]
	s_andn2_b64 exec, exec, s[12:13]
	s_cbranch_execz .LBB249_793
.LBB249_403:                            ; =>This Inner Loop Header: Depth=1
	flat_load_dword v0, v[4:5]
	buffer_load_dword v2, off, s[0:3], s32 offset:244 ; 4-byte Folded Reload
	buffer_load_dword v3, off, s[0:3], s32 offset:248 ; 4-byte Folded Reload
	v_accvgpr_read_b32 v10, a14
	v_accvgpr_read_b32 v11, a15
	v_accvgpr_write_b32 a13, v1
	v_pk_mov_b32 v[28:29], 0, 0
	v_pk_mov_b32 v[26:27], v[28:29], v[28:29] op_sel:[0,1]
	s_waitcnt vmcnt(0) lgkmcnt(0)
	v_mad_i64_i32 v[30:31], s[4:5], v0, v2, v[10:11]
	flat_load_dword v14, v[30:31]
	ds_read_b128 v[0:3], v1
	s_waitcnt vmcnt(0) lgkmcnt(0)
	v_cmp_ne_u16_sdwa s[24:25], v14, v47 src0_sel:BYTE_0 src1_sel:DWORD
	s_and_saveexec_b64 s[4:5], s[24:25]
	s_cbranch_execz .LBB249_409
; %bb.404:                              ;   in Loop: Header=BB249_403 Depth=1
	v_bfrev_b32_e32 v26, 1
	v_cmp_ne_u16_sdwa s[26:27], v14, s7 src0_sel:BYTE_0 src1_sel:DWORD
	v_mov_b32_e32 v27, 0
	s_and_saveexec_b64 s[24:25], s[26:27]
	s_cbranch_execz .LBB249_408
; %bb.405:                              ;   in Loop: Header=BB249_403 Depth=1
	v_and_b32_e32 v10, 0x7f, v14
	v_mov_b32_e32 v26, 0x7f800001
	v_cmp_ne_u32_e32 vcc, s15, v10
	v_mov_b32_e32 v27, 0
	s_and_saveexec_b64 s[26:27], vcc
	s_cbranch_execz .LBB249_407
; %bb.406:                              ;   in Loop: Header=BB249_403 Depth=1
	v_and_b32_e32 v11, 7, v14
	v_ffbh_u32_e32 v26, v11
	v_min_u32_e32 v32, 32, v26
	v_lshrrev_b32_e32 v15, 3, v10
	v_subrev_u32_e32 v26, 28, v32
	v_lshlrev_b64 v[26:27], v26, v[14:15]
	v_sub_u32_e32 v27, 29, v32
	v_and_b32_e32 v26, 7, v26
	v_cmp_gt_u32_e32 vcc, 8, v10
	v_cndmask_b32_e32 v10, v15, v27, vcc
	v_cndmask_b32_e32 v11, v11, v26, vcc
	v_lshlrev_b32_e32 v11, 20, v11
	v_and_b32_sdwa v15, sext(v14), s11 dst_sel:DWORD dst_unused:UNUSED_PAD src0_sel:BYTE_0 src1_sel:DWORD
	v_lshl_add_u32 v10, v10, 23, v57
	v_or3_b32 v46, v15, v10, v11
	v_pk_mov_b32 v[26:27], v[46:47], v[46:47] op_sel:[0,1]
.LBB249_407:                            ;   in Loop: Header=BB249_403 Depth=1
	s_or_b64 exec, exec, s[26:27]
.LBB249_408:                            ;   in Loop: Header=BB249_403 Depth=1
	s_or_b64 exec, exec, s[24:25]
.LBB249_409:                            ;   in Loop: Header=BB249_403 Depth=1
	s_or_b64 exec, exec, s[4:5]
	v_cmp_ne_u16_sdwa s[24:25], v14, v47 src0_sel:BYTE_1 src1_sel:DWORD
	s_and_saveexec_b64 s[4:5], s[24:25]
	s_cbranch_execz .LBB249_415
; %bb.410:                              ;   in Loop: Header=BB249_403 Depth=1
	v_cmp_ne_u16_sdwa s[26:27], v14, s7 src0_sel:BYTE_1 src1_sel:DWORD
	v_pk_mov_b32 v[28:29], s[10:11], s[10:11] op_sel:[0,1]
	s_and_saveexec_b64 s[24:25], s[26:27]
	s_cbranch_execz .LBB249_414
; %bb.411:                              ;   in Loop: Header=BB249_403 Depth=1
	v_and_b32_sdwa v10, v14, s15 dst_sel:DWORD dst_unused:UNUSED_PAD src0_sel:BYTE_1 src1_sel:DWORD
	s_mov_b32 s22, s10
	v_cmp_ne_u32_e32 vcc, s15, v10
	v_pk_mov_b32 v[28:29], s[22:23], s[22:23] op_sel:[0,1]
	s_and_saveexec_b64 s[26:27], vcc
	s_cbranch_execz .LBB249_413
; %bb.412:                              ;   in Loop: Header=BB249_403 Depth=1
	v_mov_b32_e32 v11, 7
	v_and_b32_sdwa v46, v14, v11 dst_sel:DWORD dst_unused:UNUSED_PAD src0_sel:BYTE_1 src1_sel:DWORD
	v_ffbh_u32_e32 v15, v46
	v_min_u32_e32 v15, 32, v15
	v_subrev_u32_e32 v28, 28, v15
	v_lshrrev_b32_e32 v11, 3, v10
	v_lshlrev_b64 v[28:29], v28, v[46:47]
	v_sub_u32_e32 v15, 29, v15
	v_cmp_gt_u32_e32 vcc, 8, v10
	v_and_b32_e32 v28, 7, v28
	v_cndmask_b32_e32 v10, v11, v15, vcc
	v_cndmask_b32_e32 v11, v46, v28, vcc
	v_lshlrev_b32_e32 v15, 16, v14
	v_lshl_add_u32 v10, v10, 23, v57
	v_and_or_b32 v10, v15, s11, v10
	v_lshlrev_b32_e32 v11, 20, v11
	v_or_b32_e32 v29, v10, v11
	v_mov_b32_e32 v28, v47
.LBB249_413:                            ;   in Loop: Header=BB249_403 Depth=1
	s_or_b64 exec, exec, s[26:27]
.LBB249_414:                            ;   in Loop: Header=BB249_403 Depth=1
	s_or_b64 exec, exec, s[24:25]
.LBB249_415:                            ;   in Loop: Header=BB249_403 Depth=1
	s_or_b64 exec, exec, s[4:5]
	v_lshrrev_b32_e32 v10, 16, v14
	v_pk_mov_b32 v[34:35], 0, 0
	v_cmp_ne_u16_sdwa s[24:25], v10, v47 src0_sel:BYTE_0 src1_sel:DWORD
	v_pk_mov_b32 v[32:33], v[34:35], v[34:35] op_sel:[0,1]
	s_and_saveexec_b64 s[4:5], s[24:25]
	s_cbranch_execz .LBB249_421
; %bb.416:                              ;   in Loop: Header=BB249_403 Depth=1
	v_bfrev_b32_e32 v32, 1
	v_cmp_ne_u16_sdwa s[26:27], v10, s7 src0_sel:BYTE_0 src1_sel:DWORD
	v_mov_b32_e32 v33, 0
	s_and_saveexec_b64 s[24:25], s[26:27]
	s_cbranch_execz .LBB249_420
; %bb.417:                              ;   in Loop: Header=BB249_403 Depth=1
	v_bfe_u32 v11, v14, 16, 7
	v_mov_b32_e32 v32, 0x7f800001
	v_cmp_ne_u32_e32 vcc, s15, v11
	v_mov_b32_e32 v33, 0
	s_and_saveexec_b64 s[26:27], vcc
	s_cbranch_execz .LBB249_419
; %bb.418:                              ;   in Loop: Header=BB249_403 Depth=1
	v_and_b32_e32 v15, 7, v10
	v_ffbh_u32_e32 v32, v15
	v_min_u32_e32 v37, 32, v32
	v_subrev_u32_e32 v32, 28, v37
	v_lshlrev_b64 v[32:33], v32, v[10:11]
	v_lshrrev_b32_e32 v36, 3, v11
	v_sub_u32_e32 v33, 29, v37
	v_and_b32_e32 v32, 7, v32
	v_cmp_gt_u32_e32 vcc, 8, v11
	v_cndmask_b32_e32 v11, v36, v33, vcc
	v_cndmask_b32_e32 v15, v15, v32, vcc
	v_lshlrev_b32_e32 v15, 20, v15
	v_and_b32_sdwa v10, sext(v10), s11 dst_sel:DWORD dst_unused:UNUSED_PAD src0_sel:BYTE_0 src1_sel:DWORD
	v_lshl_add_u32 v11, v11, 23, v57
	v_or3_b32 v46, v10, v11, v15
	v_pk_mov_b32 v[32:33], v[46:47], v[46:47] op_sel:[0,1]
.LBB249_419:                            ;   in Loop: Header=BB249_403 Depth=1
	s_or_b64 exec, exec, s[26:27]
.LBB249_420:                            ;   in Loop: Header=BB249_403 Depth=1
	s_or_b64 exec, exec, s[24:25]
.LBB249_421:                            ;   in Loop: Header=BB249_403 Depth=1
	s_or_b64 exec, exec, s[4:5]
	v_cmp_lt_u32_e32 vcc, s30, v14
	s_and_saveexec_b64 s[4:5], vcc
	s_cbranch_execz .LBB249_427
; %bb.422:                              ;   in Loop: Header=BB249_403 Depth=1
	v_cmp_ne_u32_sdwa s[26:27], v14, s7 src0_sel:BYTE_3 src1_sel:DWORD
	v_pk_mov_b32 v[34:35], s[10:11], s[10:11] op_sel:[0,1]
	s_and_saveexec_b64 s[24:25], s[26:27]
	s_cbranch_execz .LBB249_426
; %bb.423:                              ;   in Loop: Header=BB249_403 Depth=1
	v_bfe_u32 v10, v14, 24, 7
	s_mov_b32 s22, s10
	v_cmp_ne_u32_e32 vcc, s15, v10
	v_pk_mov_b32 v[34:35], s[22:23], s[22:23] op_sel:[0,1]
	s_and_saveexec_b64 s[26:27], vcc
	s_cbranch_execz .LBB249_425
; %bb.424:                              ;   in Loop: Header=BB249_403 Depth=1
	v_mov_b32_e32 v11, 7
	v_and_b32_sdwa v46, v14, v11 dst_sel:DWORD dst_unused:UNUSED_PAD src0_sel:BYTE_3 src1_sel:DWORD
	v_ffbh_u32_e32 v15, v46
	v_min_u32_e32 v15, 32, v15
	v_subrev_u32_e32 v34, 28, v15
	v_lshrrev_b32_e32 v11, 3, v10
	v_lshlrev_b64 v[34:35], v34, v[46:47]
	v_sub_u32_e32 v15, 29, v15
	v_cmp_gt_u32_e32 vcc, 8, v10
	v_and_b32_e32 v34, 7, v34
	v_cndmask_b32_e32 v10, v11, v15, vcc
	v_mov_b32_e32 v15, 24
	v_cndmask_b32_e32 v11, v46, v34, vcc
	v_lshlrev_b32_sdwa v14, v15, v14 dst_sel:DWORD dst_unused:UNUSED_PAD src0_sel:DWORD src1_sel:BYTE_3
	v_lshl_add_u32 v10, v10, 23, v57
	v_and_or_b32 v10, v14, s11, v10
	v_lshlrev_b32_e32 v11, 20, v11
	v_or_b32_e32 v35, v10, v11
	v_mov_b32_e32 v34, v47
.LBB249_425:                            ;   in Loop: Header=BB249_403 Depth=1
	s_or_b64 exec, exec, s[26:27]
.LBB249_426:                            ;   in Loop: Header=BB249_403 Depth=1
	s_or_b64 exec, exec, s[24:25]
.LBB249_427:                            ;   in Loop: Header=BB249_403 Depth=1
	s_or_b64 exec, exec, s[4:5]
	v_add_u32_e32 v10, -3, v56
	v_accvgpr_write_b32 a10, v10
	buffer_load_dword v10, off, s[0:3], s32 offset:188 ; 4-byte Folded Reload
	buffer_load_dword v11, off, s[0:3], s32 offset:192 ; 4-byte Folded Reload
	s_waitcnt vmcnt(0)
	v_or_b32_e32 v11, v29, v27
	v_cmp_eq_u32_e32 vcc, v58, v10
	v_or_b32_e32 v10, v28, v26
	v_pk_mul_f32 v[10:11], v[24:25], v[10:11]
	v_accvgpr_write_b32 a6, v10
	v_accvgpr_write_b32 a7, v11
	v_or_b32_e32 v11, v35, v33
	v_or_b32_e32 v10, v34, v32
	v_pk_mul_f32 v[10:11], v[24:25], v[10:11]
	v_accvgpr_write_b32 a8, v10
	v_accvgpr_write_b32 a9, v11
	v_add_u32_e32 v10, -2, v56
	v_accvgpr_write_b32 a17, v10
	v_add_u32_e32 v10, -1, v56
	v_accvgpr_write_b32 a16, v10
	s_and_saveexec_b64 s[24:25], vcc
	s_cbranch_execz .LBB249_429
; %bb.428:                              ;   in Loop: Header=BB249_403 Depth=1
	v_accvgpr_read_b32 v10, a10
	v_cmp_lt_i32_e64 s[4:5], v10, v62
	v_accvgpr_read_b32 v11, a7
	v_accvgpr_read_b32 v10, a6
	;; [unrolled: 1-line block ×3, first 2 shown]
	v_cndmask_b32_e64 v10, 0, v10, s[4:5]
	v_cmp_lt_i32_e64 s[4:5], v14, v62
	v_cndmask_b32_e64 v11, 0, v11, s[4:5]
	v_accvgpr_write_b32 a6, v10
	v_accvgpr_write_b32 a7, v11
	v_accvgpr_read_b32 v10, a16
	v_cmp_lt_i32_e64 s[4:5], v10, v62
	v_accvgpr_read_b32 v11, a9
	v_accvgpr_read_b32 v10, a8
	v_cndmask_b32_e64 v10, 0, v10, s[4:5]
	v_cmp_lt_i32_e64 s[4:5], v56, v62
	v_cndmask_b32_e64 v11, 0, v11, s[4:5]
	v_accvgpr_write_b32 a8, v10
	v_accvgpr_write_b32 a9, v11
.LBB249_429:                            ;   in Loop: Header=BB249_403 Depth=1
	s_or_b64 exec, exec, s[24:25]
	flat_load_dword v14, v[30:31] offset:256
	v_pk_mov_b32 v[28:29], 0, 0
	v_pk_mov_b32 v[26:27], v[28:29], v[28:29] op_sel:[0,1]
	s_waitcnt vmcnt(0) lgkmcnt(0)
	v_cmp_ne_u16_sdwa s[4:5], v14, v47 src0_sel:BYTE_0 src1_sel:DWORD
	s_and_saveexec_b64 s[24:25], s[4:5]
	s_cbranch_execz .LBB249_435
; %bb.430:                              ;   in Loop: Header=BB249_403 Depth=1
	v_bfrev_b32_e32 v26, 1
	v_cmp_ne_u16_sdwa s[4:5], v14, s7 src0_sel:BYTE_0 src1_sel:DWORD
	v_mov_b32_e32 v27, 0
	s_and_saveexec_b64 s[26:27], s[4:5]
	s_cbranch_execz .LBB249_434
; %bb.431:                              ;   in Loop: Header=BB249_403 Depth=1
	v_and_b32_e32 v10, 0x7f, v14
	v_mov_b32_e32 v26, 0x7f800001
	v_cmp_ne_u32_e64 s[4:5], s15, v10
	v_mov_b32_e32 v27, 0
	s_and_saveexec_b64 s[28:29], s[4:5]
	s_cbranch_execz .LBB249_433
; %bb.432:                              ;   in Loop: Header=BB249_403 Depth=1
	v_and_b32_e32 v11, 7, v14
	v_ffbh_u32_e32 v26, v11
	v_min_u32_e32 v32, 32, v26
	v_lshrrev_b32_e32 v15, 3, v10
	v_subrev_u32_e32 v26, 28, v32
	v_lshlrev_b64 v[26:27], v26, v[14:15]
	v_sub_u32_e32 v27, 29, v32
	v_and_b32_e32 v26, 7, v26
	v_cmp_gt_u32_e64 s[4:5], 8, v10
	v_cndmask_b32_e64 v10, v15, v27, s[4:5]
	v_cndmask_b32_e64 v11, v11, v26, s[4:5]
	v_lshlrev_b32_e32 v11, 20, v11
	v_and_b32_sdwa v15, sext(v14), s11 dst_sel:DWORD dst_unused:UNUSED_PAD src0_sel:BYTE_0 src1_sel:DWORD
	v_lshl_add_u32 v10, v10, 23, v57
	v_or3_b32 v46, v15, v10, v11
	v_pk_mov_b32 v[26:27], v[46:47], v[46:47] op_sel:[0,1]
.LBB249_433:                            ;   in Loop: Header=BB249_403 Depth=1
	s_or_b64 exec, exec, s[28:29]
.LBB249_434:                            ;   in Loop: Header=BB249_403 Depth=1
	s_or_b64 exec, exec, s[26:27]
.LBB249_435:                            ;   in Loop: Header=BB249_403 Depth=1
	s_or_b64 exec, exec, s[24:25]
	v_cmp_ne_u16_sdwa s[4:5], v14, v47 src0_sel:BYTE_1 src1_sel:DWORD
	s_and_saveexec_b64 s[24:25], s[4:5]
	s_cbranch_execz .LBB249_441
; %bb.436:                              ;   in Loop: Header=BB249_403 Depth=1
	v_cmp_ne_u16_sdwa s[4:5], v14, s7 src0_sel:BYTE_1 src1_sel:DWORD
	v_pk_mov_b32 v[28:29], s[10:11], s[10:11] op_sel:[0,1]
	s_and_saveexec_b64 s[26:27], s[4:5]
	s_cbranch_execz .LBB249_440
; %bb.437:                              ;   in Loop: Header=BB249_403 Depth=1
	v_and_b32_sdwa v10, v14, s15 dst_sel:DWORD dst_unused:UNUSED_PAD src0_sel:BYTE_1 src1_sel:DWORD
	s_mov_b32 s22, s10
	v_cmp_ne_u32_e64 s[4:5], s15, v10
	v_pk_mov_b32 v[28:29], s[22:23], s[22:23] op_sel:[0,1]
	s_and_saveexec_b64 s[28:29], s[4:5]
	s_cbranch_execz .LBB249_439
; %bb.438:                              ;   in Loop: Header=BB249_403 Depth=1
	v_mov_b32_e32 v11, 7
	v_and_b32_sdwa v46, v14, v11 dst_sel:DWORD dst_unused:UNUSED_PAD src0_sel:BYTE_1 src1_sel:DWORD
	v_ffbh_u32_e32 v15, v46
	v_min_u32_e32 v15, 32, v15
	v_subrev_u32_e32 v28, 28, v15
	v_lshrrev_b32_e32 v11, 3, v10
	v_lshlrev_b64 v[28:29], v28, v[46:47]
	v_sub_u32_e32 v15, 29, v15
	v_cmp_gt_u32_e64 s[4:5], 8, v10
	v_and_b32_e32 v28, 7, v28
	v_cndmask_b32_e64 v10, v11, v15, s[4:5]
	v_cndmask_b32_e64 v11, v46, v28, s[4:5]
	v_lshlrev_b32_e32 v15, 16, v14
	v_lshl_add_u32 v10, v10, 23, v57
	v_and_or_b32 v10, v15, s11, v10
	v_lshlrev_b32_e32 v11, 20, v11
	v_or_b32_e32 v29, v10, v11
	v_mov_b32_e32 v28, v47
.LBB249_439:                            ;   in Loop: Header=BB249_403 Depth=1
	s_or_b64 exec, exec, s[28:29]
.LBB249_440:                            ;   in Loop: Header=BB249_403 Depth=1
	s_or_b64 exec, exec, s[26:27]
.LBB249_441:                            ;   in Loop: Header=BB249_403 Depth=1
	s_or_b64 exec, exec, s[24:25]
	v_lshrrev_b32_e32 v34, 16, v14
	v_pk_mov_b32 v[10:11], 0, 0
	v_cmp_ne_u16_sdwa s[4:5], v34, v47 src0_sel:BYTE_0 src1_sel:DWORD
	v_pk_mov_b32 v[32:33], v[10:11], v[10:11] op_sel:[0,1]
	s_and_saveexec_b64 s[24:25], s[4:5]
	s_cbranch_execz .LBB249_447
; %bb.442:                              ;   in Loop: Header=BB249_403 Depth=1
	v_bfrev_b32_e32 v32, 1
	v_cmp_ne_u16_sdwa s[4:5], v34, s7 src0_sel:BYTE_0 src1_sel:DWORD
	v_mov_b32_e32 v33, 0
	s_and_saveexec_b64 s[26:27], s[4:5]
	s_cbranch_execz .LBB249_446
; %bb.443:                              ;   in Loop: Header=BB249_403 Depth=1
	v_bfe_u32 v15, v14, 16, 7
	v_mov_b32_e32 v32, 0x7f800001
	v_cmp_ne_u32_e64 s[4:5], s15, v15
	v_mov_b32_e32 v33, 0
	s_and_saveexec_b64 s[28:29], s[4:5]
	s_cbranch_execz .LBB249_445
; %bb.444:                              ;   in Loop: Header=BB249_403 Depth=1
	v_and_b32_e32 v35, 7, v34
	v_ffbh_u32_e32 v32, v35
	v_min_u32_e32 v37, 32, v32
	v_subrev_u32_e32 v32, 28, v37
	v_lshlrev_b64 v[32:33], v32, v[34:35]
	v_lshrrev_b32_e32 v36, 3, v15
	v_sub_u32_e32 v33, 29, v37
	v_and_b32_e32 v32, 7, v32
	v_cmp_gt_u32_e64 s[4:5], 8, v15
	v_cndmask_b32_e64 v15, v36, v33, s[4:5]
	v_cndmask_b32_e64 v32, v35, v32, s[4:5]
	v_lshlrev_b32_e32 v32, 20, v32
	v_and_b32_sdwa v33, sext(v34), s11 dst_sel:DWORD dst_unused:UNUSED_PAD src0_sel:BYTE_0 src1_sel:DWORD
	v_lshl_add_u32 v15, v15, 23, v57
	v_or3_b32 v46, v33, v15, v32
	v_pk_mov_b32 v[32:33], v[46:47], v[46:47] op_sel:[0,1]
.LBB249_445:                            ;   in Loop: Header=BB249_403 Depth=1
	s_or_b64 exec, exec, s[28:29]
.LBB249_446:                            ;   in Loop: Header=BB249_403 Depth=1
	s_or_b64 exec, exec, s[26:27]
.LBB249_447:                            ;   in Loop: Header=BB249_403 Depth=1
	s_or_b64 exec, exec, s[24:25]
	v_cmp_lt_u32_e64 s[4:5], s30, v14
	s_and_saveexec_b64 s[24:25], s[4:5]
	s_cbranch_execz .LBB249_453
; %bb.448:                              ;   in Loop: Header=BB249_403 Depth=1
	v_cmp_ne_u32_sdwa s[4:5], v14, s7 src0_sel:BYTE_3 src1_sel:DWORD
	v_pk_mov_b32 v[10:11], s[10:11], s[10:11] op_sel:[0,1]
	s_and_saveexec_b64 s[26:27], s[4:5]
	s_cbranch_execz .LBB249_452
; %bb.449:                              ;   in Loop: Header=BB249_403 Depth=1
	v_bfe_u32 v15, v14, 24, 7
	s_mov_b32 s22, s10
	v_cmp_ne_u32_e64 s[4:5], s15, v15
	v_pk_mov_b32 v[10:11], s[22:23], s[22:23] op_sel:[0,1]
	s_and_saveexec_b64 s[28:29], s[4:5]
	s_cbranch_execz .LBB249_451
; %bb.450:                              ;   in Loop: Header=BB249_403 Depth=1
	v_mov_b32_e32 v10, 7
	v_and_b32_sdwa v46, v14, v10 dst_sel:DWORD dst_unused:UNUSED_PAD src0_sel:BYTE_3 src1_sel:DWORD
	v_ffbh_u32_e32 v10, v46
	v_min_u32_e32 v35, 32, v10
	v_subrev_u32_e32 v10, 28, v35
	v_lshlrev_b64 v[10:11], v10, v[46:47]
	v_lshrrev_b32_e32 v34, 3, v15
	v_sub_u32_e32 v11, 29, v35
	v_cmp_gt_u32_e64 s[4:5], 8, v15
	v_and_b32_e32 v10, 7, v10
	v_cndmask_b32_e64 v11, v34, v11, s[4:5]
	v_mov_b32_e32 v15, 24
	v_cndmask_b32_e64 v10, v46, v10, s[4:5]
	v_lshlrev_b32_sdwa v14, v15, v14 dst_sel:DWORD dst_unused:UNUSED_PAD src0_sel:DWORD src1_sel:BYTE_3
	v_lshl_add_u32 v11, v11, 23, v57
	v_and_or_b32 v11, v14, s11, v11
	v_lshlrev_b32_e32 v10, 20, v10
	v_or_b32_e32 v11, v11, v10
	v_mov_b32_e32 v10, v47
.LBB249_451:                            ;   in Loop: Header=BB249_403 Depth=1
	s_or_b64 exec, exec, s[28:29]
.LBB249_452:                            ;   in Loop: Header=BB249_403 Depth=1
	s_or_b64 exec, exec, s[26:27]
.LBB249_453:                            ;   in Loop: Header=BB249_403 Depth=1
	s_or_b64 exec, exec, s[24:25]
	v_or_b32_e32 v15, v29, v27
	v_or_b32_e32 v14, v28, v26
	v_or_b32_e32 v11, v11, v33
	v_or_b32_e32 v10, v10, v32
	v_pk_mul_f32 v[14:15], v[24:25], v[14:15]
	v_pk_mul_f32 v[10:11], v[24:25], v[10:11]
	v_accvgpr_write_b32 a19, v15
	v_accvgpr_write_b32 a21, v11
	;; [unrolled: 1-line block ×4, first 2 shown]
	s_and_saveexec_b64 s[24:25], vcc
	s_cbranch_execz .LBB249_455
; %bb.454:                              ;   in Loop: Header=BB249_403 Depth=1
	v_accvgpr_read_b32 v10, a10
	v_cmp_lt_i32_e64 s[4:5], v10, v62
	v_accvgpr_read_b32 v14, a18
	v_accvgpr_read_b32 v10, a17
	;; [unrolled: 1-line block ×3, first 2 shown]
	v_cndmask_b32_e64 v14, 0, v14, s[4:5]
	v_cmp_lt_i32_e64 s[4:5], v10, v62
	v_accvgpr_read_b32 v10, a16
	v_cndmask_b32_e64 v15, 0, v15, s[4:5]
	v_cmp_lt_i32_e64 s[4:5], v10, v62
	v_accvgpr_read_b32 v10, a20
	v_accvgpr_read_b32 v11, a21
	v_cndmask_b32_e64 v10, 0, v10, s[4:5]
	v_cmp_lt_i32_e64 s[4:5], v56, v62
	v_cndmask_b32_e64 v11, 0, v11, s[4:5]
	v_accvgpr_write_b32 a19, v15
	v_accvgpr_write_b32 a21, v11
	v_accvgpr_write_b32 a18, v14
	v_accvgpr_write_b32 a20, v10
.LBB249_455:                            ;   in Loop: Header=BB249_403 Depth=1
	s_or_b64 exec, exec, s[24:25]
	flat_load_dword v14, v[30:31] offset:512
	v_pk_mov_b32 v[28:29], 0, 0
	v_pk_mov_b32 v[26:27], v[28:29], v[28:29] op_sel:[0,1]
	s_waitcnt vmcnt(0) lgkmcnt(0)
	v_cmp_ne_u16_sdwa s[4:5], v14, v47 src0_sel:BYTE_0 src1_sel:DWORD
	s_and_saveexec_b64 s[24:25], s[4:5]
	s_cbranch_execz .LBB249_461
; %bb.456:                              ;   in Loop: Header=BB249_403 Depth=1
	v_bfrev_b32_e32 v26, 1
	v_cmp_ne_u16_sdwa s[4:5], v14, s7 src0_sel:BYTE_0 src1_sel:DWORD
	v_mov_b32_e32 v27, 0
	s_and_saveexec_b64 s[26:27], s[4:5]
	s_cbranch_execz .LBB249_460
; %bb.457:                              ;   in Loop: Header=BB249_403 Depth=1
	v_and_b32_e32 v10, 0x7f, v14
	v_mov_b32_e32 v26, 0x7f800001
	v_cmp_ne_u32_e64 s[4:5], s15, v10
	v_mov_b32_e32 v27, 0
	s_and_saveexec_b64 s[28:29], s[4:5]
	s_cbranch_execz .LBB249_459
; %bb.458:                              ;   in Loop: Header=BB249_403 Depth=1
	v_and_b32_e32 v11, 7, v14
	v_ffbh_u32_e32 v26, v11
	v_min_u32_e32 v32, 32, v26
	v_lshrrev_b32_e32 v15, 3, v10
	v_subrev_u32_e32 v26, 28, v32
	v_lshlrev_b64 v[26:27], v26, v[14:15]
	v_sub_u32_e32 v27, 29, v32
	v_and_b32_e32 v26, 7, v26
	v_cmp_gt_u32_e64 s[4:5], 8, v10
	v_cndmask_b32_e64 v10, v15, v27, s[4:5]
	v_cndmask_b32_e64 v11, v11, v26, s[4:5]
	v_lshlrev_b32_e32 v11, 20, v11
	v_and_b32_sdwa v15, sext(v14), s11 dst_sel:DWORD dst_unused:UNUSED_PAD src0_sel:BYTE_0 src1_sel:DWORD
	v_lshl_add_u32 v10, v10, 23, v57
	v_or3_b32 v46, v15, v10, v11
	v_pk_mov_b32 v[26:27], v[46:47], v[46:47] op_sel:[0,1]
.LBB249_459:                            ;   in Loop: Header=BB249_403 Depth=1
	s_or_b64 exec, exec, s[28:29]
.LBB249_460:                            ;   in Loop: Header=BB249_403 Depth=1
	s_or_b64 exec, exec, s[26:27]
.LBB249_461:                            ;   in Loop: Header=BB249_403 Depth=1
	s_or_b64 exec, exec, s[24:25]
	v_cmp_ne_u16_sdwa s[4:5], v14, v47 src0_sel:BYTE_1 src1_sel:DWORD
	s_and_saveexec_b64 s[24:25], s[4:5]
	s_cbranch_execz .LBB249_467
; %bb.462:                              ;   in Loop: Header=BB249_403 Depth=1
	v_cmp_ne_u16_sdwa s[4:5], v14, s7 src0_sel:BYTE_1 src1_sel:DWORD
	v_pk_mov_b32 v[28:29], s[10:11], s[10:11] op_sel:[0,1]
	s_and_saveexec_b64 s[26:27], s[4:5]
	s_cbranch_execz .LBB249_466
; %bb.463:                              ;   in Loop: Header=BB249_403 Depth=1
	v_and_b32_sdwa v10, v14, s15 dst_sel:DWORD dst_unused:UNUSED_PAD src0_sel:BYTE_1 src1_sel:DWORD
	s_mov_b32 s22, s10
	v_cmp_ne_u32_e64 s[4:5], s15, v10
	v_pk_mov_b32 v[28:29], s[22:23], s[22:23] op_sel:[0,1]
	s_and_saveexec_b64 s[28:29], s[4:5]
	s_cbranch_execz .LBB249_465
; %bb.464:                              ;   in Loop: Header=BB249_403 Depth=1
	v_mov_b32_e32 v11, 7
	v_and_b32_sdwa v46, v14, v11 dst_sel:DWORD dst_unused:UNUSED_PAD src0_sel:BYTE_1 src1_sel:DWORD
	v_ffbh_u32_e32 v15, v46
	v_min_u32_e32 v15, 32, v15
	v_subrev_u32_e32 v28, 28, v15
	v_lshrrev_b32_e32 v11, 3, v10
	v_lshlrev_b64 v[28:29], v28, v[46:47]
	v_sub_u32_e32 v15, 29, v15
	v_cmp_gt_u32_e64 s[4:5], 8, v10
	v_and_b32_e32 v28, 7, v28
	v_cndmask_b32_e64 v10, v11, v15, s[4:5]
	v_cndmask_b32_e64 v11, v46, v28, s[4:5]
	v_lshlrev_b32_e32 v15, 16, v14
	v_lshl_add_u32 v10, v10, 23, v57
	v_and_or_b32 v10, v15, s11, v10
	v_lshlrev_b32_e32 v11, 20, v11
	v_or_b32_e32 v29, v10, v11
	v_mov_b32_e32 v28, v47
.LBB249_465:                            ;   in Loop: Header=BB249_403 Depth=1
	s_or_b64 exec, exec, s[28:29]
.LBB249_466:                            ;   in Loop: Header=BB249_403 Depth=1
	s_or_b64 exec, exec, s[26:27]
.LBB249_467:                            ;   in Loop: Header=BB249_403 Depth=1
	s_or_b64 exec, exec, s[24:25]
	v_lshrrev_b32_e32 v34, 16, v14
	v_pk_mov_b32 v[10:11], 0, 0
	v_cmp_ne_u16_sdwa s[4:5], v34, v47 src0_sel:BYTE_0 src1_sel:DWORD
	v_pk_mov_b32 v[32:33], v[10:11], v[10:11] op_sel:[0,1]
	s_and_saveexec_b64 s[24:25], s[4:5]
	s_cbranch_execz .LBB249_473
; %bb.468:                              ;   in Loop: Header=BB249_403 Depth=1
	v_bfrev_b32_e32 v32, 1
	v_cmp_ne_u16_sdwa s[4:5], v34, s7 src0_sel:BYTE_0 src1_sel:DWORD
	v_mov_b32_e32 v33, 0
	s_and_saveexec_b64 s[26:27], s[4:5]
	s_cbranch_execz .LBB249_472
; %bb.469:                              ;   in Loop: Header=BB249_403 Depth=1
	v_bfe_u32 v15, v14, 16, 7
	v_mov_b32_e32 v32, 0x7f800001
	v_cmp_ne_u32_e64 s[4:5], s15, v15
	v_mov_b32_e32 v33, 0
	s_and_saveexec_b64 s[28:29], s[4:5]
	s_cbranch_execz .LBB249_471
; %bb.470:                              ;   in Loop: Header=BB249_403 Depth=1
	v_and_b32_e32 v35, 7, v34
	v_ffbh_u32_e32 v32, v35
	v_min_u32_e32 v37, 32, v32
	v_subrev_u32_e32 v32, 28, v37
	v_lshlrev_b64 v[32:33], v32, v[34:35]
	v_lshrrev_b32_e32 v36, 3, v15
	v_sub_u32_e32 v33, 29, v37
	v_and_b32_e32 v32, 7, v32
	v_cmp_gt_u32_e64 s[4:5], 8, v15
	v_cndmask_b32_e64 v15, v36, v33, s[4:5]
	v_cndmask_b32_e64 v32, v35, v32, s[4:5]
	v_lshlrev_b32_e32 v32, 20, v32
	v_and_b32_sdwa v33, sext(v34), s11 dst_sel:DWORD dst_unused:UNUSED_PAD src0_sel:BYTE_0 src1_sel:DWORD
	v_lshl_add_u32 v15, v15, 23, v57
	v_or3_b32 v46, v33, v15, v32
	v_pk_mov_b32 v[32:33], v[46:47], v[46:47] op_sel:[0,1]
.LBB249_471:                            ;   in Loop: Header=BB249_403 Depth=1
	s_or_b64 exec, exec, s[28:29]
.LBB249_472:                            ;   in Loop: Header=BB249_403 Depth=1
	s_or_b64 exec, exec, s[26:27]
.LBB249_473:                            ;   in Loop: Header=BB249_403 Depth=1
	s_or_b64 exec, exec, s[24:25]
	v_cmp_lt_u32_e64 s[4:5], s30, v14
	s_and_saveexec_b64 s[24:25], s[4:5]
	s_cbranch_execz .LBB249_479
; %bb.474:                              ;   in Loop: Header=BB249_403 Depth=1
	v_cmp_ne_u32_sdwa s[4:5], v14, s7 src0_sel:BYTE_3 src1_sel:DWORD
	v_pk_mov_b32 v[10:11], s[10:11], s[10:11] op_sel:[0,1]
	s_and_saveexec_b64 s[26:27], s[4:5]
	s_cbranch_execz .LBB249_478
; %bb.475:                              ;   in Loop: Header=BB249_403 Depth=1
	v_bfe_u32 v15, v14, 24, 7
	s_mov_b32 s22, s10
	v_cmp_ne_u32_e64 s[4:5], s15, v15
	v_pk_mov_b32 v[10:11], s[22:23], s[22:23] op_sel:[0,1]
	s_and_saveexec_b64 s[28:29], s[4:5]
	s_cbranch_execz .LBB249_477
; %bb.476:                              ;   in Loop: Header=BB249_403 Depth=1
	v_mov_b32_e32 v10, 7
	v_and_b32_sdwa v46, v14, v10 dst_sel:DWORD dst_unused:UNUSED_PAD src0_sel:BYTE_3 src1_sel:DWORD
	v_ffbh_u32_e32 v10, v46
	v_min_u32_e32 v35, 32, v10
	v_subrev_u32_e32 v10, 28, v35
	v_lshlrev_b64 v[10:11], v10, v[46:47]
	v_lshrrev_b32_e32 v34, 3, v15
	v_sub_u32_e32 v11, 29, v35
	v_cmp_gt_u32_e64 s[4:5], 8, v15
	v_and_b32_e32 v10, 7, v10
	v_cndmask_b32_e64 v11, v34, v11, s[4:5]
	v_mov_b32_e32 v15, 24
	v_cndmask_b32_e64 v10, v46, v10, s[4:5]
	v_lshlrev_b32_sdwa v14, v15, v14 dst_sel:DWORD dst_unused:UNUSED_PAD src0_sel:DWORD src1_sel:BYTE_3
	v_lshl_add_u32 v11, v11, 23, v57
	v_and_or_b32 v11, v14, s11, v11
	v_lshlrev_b32_e32 v10, 20, v10
	v_or_b32_e32 v11, v11, v10
	v_mov_b32_e32 v10, v47
.LBB249_477:                            ;   in Loop: Header=BB249_403 Depth=1
	s_or_b64 exec, exec, s[28:29]
.LBB249_478:                            ;   in Loop: Header=BB249_403 Depth=1
	s_or_b64 exec, exec, s[26:27]
.LBB249_479:                            ;   in Loop: Header=BB249_403 Depth=1
	s_or_b64 exec, exec, s[24:25]
	v_or_b32_e32 v15, v29, v27
	v_or_b32_e32 v14, v28, v26
	;; [unrolled: 1-line block ×4, first 2 shown]
	v_pk_mul_f32 v[14:15], v[24:25], v[14:15]
	v_pk_mul_f32 v[10:11], v[24:25], v[10:11]
	v_accvgpr_write_b32 a23, v15
	v_accvgpr_write_b32 a25, v11
	;; [unrolled: 1-line block ×4, first 2 shown]
	s_and_saveexec_b64 s[24:25], vcc
	s_cbranch_execz .LBB249_481
; %bb.480:                              ;   in Loop: Header=BB249_403 Depth=1
	v_accvgpr_read_b32 v10, a10
	v_cmp_lt_i32_e64 s[4:5], v10, v62
	v_accvgpr_read_b32 v14, a22
	v_accvgpr_read_b32 v10, a17
	;; [unrolled: 1-line block ×3, first 2 shown]
	v_cndmask_b32_e64 v14, 0, v14, s[4:5]
	v_cmp_lt_i32_e64 s[4:5], v10, v62
	v_accvgpr_read_b32 v10, a16
	v_cndmask_b32_e64 v15, 0, v15, s[4:5]
	v_cmp_lt_i32_e64 s[4:5], v10, v62
	v_accvgpr_read_b32 v10, a24
	v_accvgpr_read_b32 v11, a25
	v_cndmask_b32_e64 v10, 0, v10, s[4:5]
	v_cmp_lt_i32_e64 s[4:5], v56, v62
	v_cndmask_b32_e64 v11, 0, v11, s[4:5]
	v_accvgpr_write_b32 a23, v15
	v_accvgpr_write_b32 a25, v11
	;; [unrolled: 1-line block ×4, first 2 shown]
.LBB249_481:                            ;   in Loop: Header=BB249_403 Depth=1
	s_or_b64 exec, exec, s[24:25]
	flat_load_dword v14, v[30:31] offset:768
	v_pk_mov_b32 v[28:29], 0, 0
	v_pk_mov_b32 v[26:27], v[28:29], v[28:29] op_sel:[0,1]
	s_waitcnt vmcnt(0) lgkmcnt(0)
	v_cmp_ne_u16_sdwa s[4:5], v14, v47 src0_sel:BYTE_0 src1_sel:DWORD
	s_and_saveexec_b64 s[24:25], s[4:5]
	s_cbranch_execz .LBB249_487
; %bb.482:                              ;   in Loop: Header=BB249_403 Depth=1
	v_bfrev_b32_e32 v26, 1
	v_cmp_ne_u16_sdwa s[4:5], v14, s7 src0_sel:BYTE_0 src1_sel:DWORD
	v_mov_b32_e32 v27, 0
	s_and_saveexec_b64 s[26:27], s[4:5]
	s_cbranch_execz .LBB249_486
; %bb.483:                              ;   in Loop: Header=BB249_403 Depth=1
	v_and_b32_e32 v10, 0x7f, v14
	v_mov_b32_e32 v26, 0x7f800001
	v_cmp_ne_u32_e64 s[4:5], s15, v10
	v_mov_b32_e32 v27, 0
	s_and_saveexec_b64 s[28:29], s[4:5]
	s_cbranch_execz .LBB249_485
; %bb.484:                              ;   in Loop: Header=BB249_403 Depth=1
	v_and_b32_e32 v11, 7, v14
	v_ffbh_u32_e32 v26, v11
	v_min_u32_e32 v32, 32, v26
	v_lshrrev_b32_e32 v15, 3, v10
	v_subrev_u32_e32 v26, 28, v32
	v_lshlrev_b64 v[26:27], v26, v[14:15]
	v_sub_u32_e32 v27, 29, v32
	v_and_b32_e32 v26, 7, v26
	v_cmp_gt_u32_e64 s[4:5], 8, v10
	v_cndmask_b32_e64 v10, v15, v27, s[4:5]
	v_cndmask_b32_e64 v11, v11, v26, s[4:5]
	v_lshlrev_b32_e32 v11, 20, v11
	v_and_b32_sdwa v15, sext(v14), s11 dst_sel:DWORD dst_unused:UNUSED_PAD src0_sel:BYTE_0 src1_sel:DWORD
	v_lshl_add_u32 v10, v10, 23, v57
	v_or3_b32 v46, v15, v10, v11
	v_pk_mov_b32 v[26:27], v[46:47], v[46:47] op_sel:[0,1]
.LBB249_485:                            ;   in Loop: Header=BB249_403 Depth=1
	s_or_b64 exec, exec, s[28:29]
.LBB249_486:                            ;   in Loop: Header=BB249_403 Depth=1
	s_or_b64 exec, exec, s[26:27]
.LBB249_487:                            ;   in Loop: Header=BB249_403 Depth=1
	s_or_b64 exec, exec, s[24:25]
	v_cmp_ne_u16_sdwa s[4:5], v14, v47 src0_sel:BYTE_1 src1_sel:DWORD
	s_and_saveexec_b64 s[24:25], s[4:5]
	s_cbranch_execz .LBB249_493
; %bb.488:                              ;   in Loop: Header=BB249_403 Depth=1
	v_cmp_ne_u16_sdwa s[4:5], v14, s7 src0_sel:BYTE_1 src1_sel:DWORD
	v_pk_mov_b32 v[28:29], s[10:11], s[10:11] op_sel:[0,1]
	s_and_saveexec_b64 s[26:27], s[4:5]
	s_cbranch_execz .LBB249_492
; %bb.489:                              ;   in Loop: Header=BB249_403 Depth=1
	v_and_b32_sdwa v10, v14, s15 dst_sel:DWORD dst_unused:UNUSED_PAD src0_sel:BYTE_1 src1_sel:DWORD
	s_mov_b32 s22, s10
	v_cmp_ne_u32_e64 s[4:5], s15, v10
	v_pk_mov_b32 v[28:29], s[22:23], s[22:23] op_sel:[0,1]
	s_and_saveexec_b64 s[28:29], s[4:5]
	s_cbranch_execz .LBB249_491
; %bb.490:                              ;   in Loop: Header=BB249_403 Depth=1
	v_mov_b32_e32 v11, 7
	v_and_b32_sdwa v46, v14, v11 dst_sel:DWORD dst_unused:UNUSED_PAD src0_sel:BYTE_1 src1_sel:DWORD
	v_ffbh_u32_e32 v15, v46
	v_min_u32_e32 v15, 32, v15
	v_subrev_u32_e32 v28, 28, v15
	v_lshrrev_b32_e32 v11, 3, v10
	v_lshlrev_b64 v[28:29], v28, v[46:47]
	v_sub_u32_e32 v15, 29, v15
	v_cmp_gt_u32_e64 s[4:5], 8, v10
	v_and_b32_e32 v28, 7, v28
	v_cndmask_b32_e64 v10, v11, v15, s[4:5]
	v_cndmask_b32_e64 v11, v46, v28, s[4:5]
	v_lshlrev_b32_e32 v15, 16, v14
	v_lshl_add_u32 v10, v10, 23, v57
	v_and_or_b32 v10, v15, s11, v10
	v_lshlrev_b32_e32 v11, 20, v11
	v_or_b32_e32 v29, v10, v11
	v_mov_b32_e32 v28, v47
.LBB249_491:                            ;   in Loop: Header=BB249_403 Depth=1
	s_or_b64 exec, exec, s[28:29]
.LBB249_492:                            ;   in Loop: Header=BB249_403 Depth=1
	s_or_b64 exec, exec, s[26:27]
.LBB249_493:                            ;   in Loop: Header=BB249_403 Depth=1
	s_or_b64 exec, exec, s[24:25]
	v_lshrrev_b32_e32 v34, 16, v14
	v_pk_mov_b32 v[10:11], 0, 0
	v_cmp_ne_u16_sdwa s[4:5], v34, v47 src0_sel:BYTE_0 src1_sel:DWORD
	v_pk_mov_b32 v[32:33], v[10:11], v[10:11] op_sel:[0,1]
	s_and_saveexec_b64 s[24:25], s[4:5]
	s_cbranch_execz .LBB249_499
; %bb.494:                              ;   in Loop: Header=BB249_403 Depth=1
	v_bfrev_b32_e32 v32, 1
	v_cmp_ne_u16_sdwa s[4:5], v34, s7 src0_sel:BYTE_0 src1_sel:DWORD
	v_mov_b32_e32 v33, 0
	s_and_saveexec_b64 s[26:27], s[4:5]
	s_cbranch_execz .LBB249_498
; %bb.495:                              ;   in Loop: Header=BB249_403 Depth=1
	v_bfe_u32 v15, v14, 16, 7
	v_mov_b32_e32 v32, 0x7f800001
	v_cmp_ne_u32_e64 s[4:5], s15, v15
	v_mov_b32_e32 v33, 0
	s_and_saveexec_b64 s[28:29], s[4:5]
	s_cbranch_execz .LBB249_497
; %bb.496:                              ;   in Loop: Header=BB249_403 Depth=1
	v_and_b32_e32 v35, 7, v34
	v_ffbh_u32_e32 v32, v35
	v_min_u32_e32 v37, 32, v32
	v_subrev_u32_e32 v32, 28, v37
	v_lshlrev_b64 v[32:33], v32, v[34:35]
	v_lshrrev_b32_e32 v36, 3, v15
	v_sub_u32_e32 v33, 29, v37
	v_and_b32_e32 v32, 7, v32
	v_cmp_gt_u32_e64 s[4:5], 8, v15
	v_cndmask_b32_e64 v15, v36, v33, s[4:5]
	v_cndmask_b32_e64 v32, v35, v32, s[4:5]
	v_lshlrev_b32_e32 v32, 20, v32
	v_and_b32_sdwa v33, sext(v34), s11 dst_sel:DWORD dst_unused:UNUSED_PAD src0_sel:BYTE_0 src1_sel:DWORD
	v_lshl_add_u32 v15, v15, 23, v57
	v_or3_b32 v46, v33, v15, v32
	v_pk_mov_b32 v[32:33], v[46:47], v[46:47] op_sel:[0,1]
.LBB249_497:                            ;   in Loop: Header=BB249_403 Depth=1
	s_or_b64 exec, exec, s[28:29]
.LBB249_498:                            ;   in Loop: Header=BB249_403 Depth=1
	s_or_b64 exec, exec, s[26:27]
.LBB249_499:                            ;   in Loop: Header=BB249_403 Depth=1
	s_or_b64 exec, exec, s[24:25]
	v_cmp_lt_u32_e64 s[4:5], s30, v14
	s_and_saveexec_b64 s[24:25], s[4:5]
	s_cbranch_execz .LBB249_505
; %bb.500:                              ;   in Loop: Header=BB249_403 Depth=1
	v_cmp_ne_u32_sdwa s[4:5], v14, s7 src0_sel:BYTE_3 src1_sel:DWORD
	v_pk_mov_b32 v[10:11], s[10:11], s[10:11] op_sel:[0,1]
	s_and_saveexec_b64 s[26:27], s[4:5]
	s_cbranch_execz .LBB249_504
; %bb.501:                              ;   in Loop: Header=BB249_403 Depth=1
	v_bfe_u32 v15, v14, 24, 7
	s_mov_b32 s22, s10
	v_cmp_ne_u32_e64 s[4:5], s15, v15
	v_pk_mov_b32 v[10:11], s[22:23], s[22:23] op_sel:[0,1]
	s_and_saveexec_b64 s[28:29], s[4:5]
	s_cbranch_execz .LBB249_503
; %bb.502:                              ;   in Loop: Header=BB249_403 Depth=1
	v_mov_b32_e32 v10, 7
	v_and_b32_sdwa v46, v14, v10 dst_sel:DWORD dst_unused:UNUSED_PAD src0_sel:BYTE_3 src1_sel:DWORD
	v_ffbh_u32_e32 v10, v46
	v_min_u32_e32 v35, 32, v10
	v_subrev_u32_e32 v10, 28, v35
	v_lshlrev_b64 v[10:11], v10, v[46:47]
	v_lshrrev_b32_e32 v34, 3, v15
	v_sub_u32_e32 v11, 29, v35
	v_cmp_gt_u32_e64 s[4:5], 8, v15
	v_and_b32_e32 v10, 7, v10
	v_cndmask_b32_e64 v11, v34, v11, s[4:5]
	v_mov_b32_e32 v15, 24
	v_cndmask_b32_e64 v10, v46, v10, s[4:5]
	v_lshlrev_b32_sdwa v14, v15, v14 dst_sel:DWORD dst_unused:UNUSED_PAD src0_sel:DWORD src1_sel:BYTE_3
	v_lshl_add_u32 v11, v11, 23, v57
	v_and_or_b32 v11, v14, s11, v11
	v_lshlrev_b32_e32 v10, 20, v10
	v_or_b32_e32 v11, v11, v10
	v_mov_b32_e32 v10, v47
.LBB249_503:                            ;   in Loop: Header=BB249_403 Depth=1
	s_or_b64 exec, exec, s[28:29]
.LBB249_504:                            ;   in Loop: Header=BB249_403 Depth=1
	s_or_b64 exec, exec, s[26:27]
.LBB249_505:                            ;   in Loop: Header=BB249_403 Depth=1
	s_or_b64 exec, exec, s[24:25]
	v_or_b32_e32 v15, v29, v27
	v_or_b32_e32 v14, v28, v26
	;; [unrolled: 1-line block ×4, first 2 shown]
	v_pk_mul_f32 v[14:15], v[24:25], v[14:15]
	v_pk_mul_f32 v[10:11], v[24:25], v[10:11]
	v_accvgpr_write_b32 a27, v15
	v_accvgpr_write_b32 a29, v11
	;; [unrolled: 1-line block ×4, first 2 shown]
	s_and_saveexec_b64 s[24:25], vcc
	s_cbranch_execz .LBB249_507
; %bb.506:                              ;   in Loop: Header=BB249_403 Depth=1
	v_accvgpr_read_b32 v10, a10
	v_cmp_lt_i32_e64 s[4:5], v10, v62
	v_accvgpr_read_b32 v14, a26
	v_accvgpr_read_b32 v10, a17
	;; [unrolled: 1-line block ×3, first 2 shown]
	v_cndmask_b32_e64 v14, 0, v14, s[4:5]
	v_cmp_lt_i32_e64 s[4:5], v10, v62
	v_accvgpr_read_b32 v10, a16
	v_cndmask_b32_e64 v15, 0, v15, s[4:5]
	v_cmp_lt_i32_e64 s[4:5], v10, v62
	v_accvgpr_read_b32 v10, a28
	v_accvgpr_read_b32 v11, a29
	v_cndmask_b32_e64 v10, 0, v10, s[4:5]
	v_cmp_lt_i32_e64 s[4:5], v56, v62
	v_cndmask_b32_e64 v11, 0, v11, s[4:5]
	v_accvgpr_write_b32 a27, v15
	v_accvgpr_write_b32 a29, v11
	;; [unrolled: 1-line block ×4, first 2 shown]
.LBB249_507:                            ;   in Loop: Header=BB249_403 Depth=1
	s_or_b64 exec, exec, s[24:25]
	flat_load_dword v14, v[30:31] offset:1024
	v_pk_mov_b32 v[28:29], 0, 0
	v_pk_mov_b32 v[26:27], v[28:29], v[28:29] op_sel:[0,1]
	s_waitcnt vmcnt(0) lgkmcnt(0)
	v_cmp_ne_u16_sdwa s[4:5], v14, v47 src0_sel:BYTE_0 src1_sel:DWORD
	s_and_saveexec_b64 s[24:25], s[4:5]
	s_cbranch_execz .LBB249_513
; %bb.508:                              ;   in Loop: Header=BB249_403 Depth=1
	v_bfrev_b32_e32 v26, 1
	v_cmp_ne_u16_sdwa s[4:5], v14, s7 src0_sel:BYTE_0 src1_sel:DWORD
	v_mov_b32_e32 v27, 0
	s_and_saveexec_b64 s[26:27], s[4:5]
	s_cbranch_execz .LBB249_512
; %bb.509:                              ;   in Loop: Header=BB249_403 Depth=1
	v_and_b32_e32 v10, 0x7f, v14
	v_mov_b32_e32 v26, 0x7f800001
	v_cmp_ne_u32_e64 s[4:5], s15, v10
	v_mov_b32_e32 v27, 0
	s_and_saveexec_b64 s[28:29], s[4:5]
	s_cbranch_execz .LBB249_511
; %bb.510:                              ;   in Loop: Header=BB249_403 Depth=1
	v_and_b32_e32 v11, 7, v14
	v_ffbh_u32_e32 v26, v11
	v_min_u32_e32 v32, 32, v26
	v_lshrrev_b32_e32 v15, 3, v10
	v_subrev_u32_e32 v26, 28, v32
	v_lshlrev_b64 v[26:27], v26, v[14:15]
	v_sub_u32_e32 v27, 29, v32
	v_and_b32_e32 v26, 7, v26
	v_cmp_gt_u32_e64 s[4:5], 8, v10
	v_cndmask_b32_e64 v10, v15, v27, s[4:5]
	v_cndmask_b32_e64 v11, v11, v26, s[4:5]
	v_lshlrev_b32_e32 v11, 20, v11
	v_and_b32_sdwa v15, sext(v14), s11 dst_sel:DWORD dst_unused:UNUSED_PAD src0_sel:BYTE_0 src1_sel:DWORD
	v_lshl_add_u32 v10, v10, 23, v57
	v_or3_b32 v46, v15, v10, v11
	v_pk_mov_b32 v[26:27], v[46:47], v[46:47] op_sel:[0,1]
.LBB249_511:                            ;   in Loop: Header=BB249_403 Depth=1
	s_or_b64 exec, exec, s[28:29]
.LBB249_512:                            ;   in Loop: Header=BB249_403 Depth=1
	s_or_b64 exec, exec, s[26:27]
.LBB249_513:                            ;   in Loop: Header=BB249_403 Depth=1
	s_or_b64 exec, exec, s[24:25]
	v_cmp_ne_u16_sdwa s[4:5], v14, v47 src0_sel:BYTE_1 src1_sel:DWORD
	s_and_saveexec_b64 s[24:25], s[4:5]
	s_cbranch_execz .LBB249_519
; %bb.514:                              ;   in Loop: Header=BB249_403 Depth=1
	v_cmp_ne_u16_sdwa s[4:5], v14, s7 src0_sel:BYTE_1 src1_sel:DWORD
	v_pk_mov_b32 v[28:29], s[10:11], s[10:11] op_sel:[0,1]
	s_and_saveexec_b64 s[26:27], s[4:5]
	s_cbranch_execz .LBB249_518
; %bb.515:                              ;   in Loop: Header=BB249_403 Depth=1
	v_and_b32_sdwa v10, v14, s15 dst_sel:DWORD dst_unused:UNUSED_PAD src0_sel:BYTE_1 src1_sel:DWORD
	s_mov_b32 s22, s10
	v_cmp_ne_u32_e64 s[4:5], s15, v10
	v_pk_mov_b32 v[28:29], s[22:23], s[22:23] op_sel:[0,1]
	s_and_saveexec_b64 s[28:29], s[4:5]
	s_cbranch_execz .LBB249_517
; %bb.516:                              ;   in Loop: Header=BB249_403 Depth=1
	v_mov_b32_e32 v11, 7
	v_and_b32_sdwa v46, v14, v11 dst_sel:DWORD dst_unused:UNUSED_PAD src0_sel:BYTE_1 src1_sel:DWORD
	v_ffbh_u32_e32 v15, v46
	v_min_u32_e32 v15, 32, v15
	v_subrev_u32_e32 v28, 28, v15
	v_lshrrev_b32_e32 v11, 3, v10
	v_lshlrev_b64 v[28:29], v28, v[46:47]
	v_sub_u32_e32 v15, 29, v15
	v_cmp_gt_u32_e64 s[4:5], 8, v10
	v_and_b32_e32 v28, 7, v28
	v_cndmask_b32_e64 v10, v11, v15, s[4:5]
	v_cndmask_b32_e64 v11, v46, v28, s[4:5]
	v_lshlrev_b32_e32 v15, 16, v14
	v_lshl_add_u32 v10, v10, 23, v57
	v_and_or_b32 v10, v15, s11, v10
	v_lshlrev_b32_e32 v11, 20, v11
	v_or_b32_e32 v29, v10, v11
	v_mov_b32_e32 v28, v47
.LBB249_517:                            ;   in Loop: Header=BB249_403 Depth=1
	s_or_b64 exec, exec, s[28:29]
.LBB249_518:                            ;   in Loop: Header=BB249_403 Depth=1
	s_or_b64 exec, exec, s[26:27]
.LBB249_519:                            ;   in Loop: Header=BB249_403 Depth=1
	s_or_b64 exec, exec, s[24:25]
	v_lshrrev_b32_e32 v34, 16, v14
	v_pk_mov_b32 v[10:11], 0, 0
	v_cmp_ne_u16_sdwa s[4:5], v34, v47 src0_sel:BYTE_0 src1_sel:DWORD
	v_pk_mov_b32 v[32:33], v[10:11], v[10:11] op_sel:[0,1]
	s_and_saveexec_b64 s[24:25], s[4:5]
	s_cbranch_execz .LBB249_525
; %bb.520:                              ;   in Loop: Header=BB249_403 Depth=1
	v_bfrev_b32_e32 v32, 1
	v_cmp_ne_u16_sdwa s[4:5], v34, s7 src0_sel:BYTE_0 src1_sel:DWORD
	v_mov_b32_e32 v33, 0
	s_and_saveexec_b64 s[26:27], s[4:5]
	s_cbranch_execz .LBB249_524
; %bb.521:                              ;   in Loop: Header=BB249_403 Depth=1
	v_bfe_u32 v15, v14, 16, 7
	v_mov_b32_e32 v32, 0x7f800001
	v_cmp_ne_u32_e64 s[4:5], s15, v15
	v_mov_b32_e32 v33, 0
	s_and_saveexec_b64 s[28:29], s[4:5]
	s_cbranch_execz .LBB249_523
; %bb.522:                              ;   in Loop: Header=BB249_403 Depth=1
	v_and_b32_e32 v35, 7, v34
	v_ffbh_u32_e32 v32, v35
	v_min_u32_e32 v37, 32, v32
	v_subrev_u32_e32 v32, 28, v37
	v_lshlrev_b64 v[32:33], v32, v[34:35]
	v_lshrrev_b32_e32 v36, 3, v15
	v_sub_u32_e32 v33, 29, v37
	v_and_b32_e32 v32, 7, v32
	v_cmp_gt_u32_e64 s[4:5], 8, v15
	v_cndmask_b32_e64 v15, v36, v33, s[4:5]
	v_cndmask_b32_e64 v32, v35, v32, s[4:5]
	v_lshlrev_b32_e32 v32, 20, v32
	v_and_b32_sdwa v33, sext(v34), s11 dst_sel:DWORD dst_unused:UNUSED_PAD src0_sel:BYTE_0 src1_sel:DWORD
	v_lshl_add_u32 v15, v15, 23, v57
	v_or3_b32 v46, v33, v15, v32
	v_pk_mov_b32 v[32:33], v[46:47], v[46:47] op_sel:[0,1]
.LBB249_523:                            ;   in Loop: Header=BB249_403 Depth=1
	s_or_b64 exec, exec, s[28:29]
.LBB249_524:                            ;   in Loop: Header=BB249_403 Depth=1
	s_or_b64 exec, exec, s[26:27]
.LBB249_525:                            ;   in Loop: Header=BB249_403 Depth=1
	s_or_b64 exec, exec, s[24:25]
	v_cmp_lt_u32_e64 s[4:5], s30, v14
	s_and_saveexec_b64 s[24:25], s[4:5]
	s_cbranch_execz .LBB249_531
; %bb.526:                              ;   in Loop: Header=BB249_403 Depth=1
	v_cmp_ne_u32_sdwa s[4:5], v14, s7 src0_sel:BYTE_3 src1_sel:DWORD
	v_pk_mov_b32 v[10:11], s[10:11], s[10:11] op_sel:[0,1]
	s_and_saveexec_b64 s[26:27], s[4:5]
	s_cbranch_execz .LBB249_530
; %bb.527:                              ;   in Loop: Header=BB249_403 Depth=1
	v_bfe_u32 v15, v14, 24, 7
	s_mov_b32 s22, s10
	v_cmp_ne_u32_e64 s[4:5], s15, v15
	v_pk_mov_b32 v[10:11], s[22:23], s[22:23] op_sel:[0,1]
	s_and_saveexec_b64 s[28:29], s[4:5]
	s_cbranch_execz .LBB249_529
; %bb.528:                              ;   in Loop: Header=BB249_403 Depth=1
	v_mov_b32_e32 v10, 7
	v_and_b32_sdwa v46, v14, v10 dst_sel:DWORD dst_unused:UNUSED_PAD src0_sel:BYTE_3 src1_sel:DWORD
	v_ffbh_u32_e32 v10, v46
	v_min_u32_e32 v35, 32, v10
	v_subrev_u32_e32 v10, 28, v35
	v_lshlrev_b64 v[10:11], v10, v[46:47]
	v_lshrrev_b32_e32 v34, 3, v15
	v_sub_u32_e32 v11, 29, v35
	v_cmp_gt_u32_e64 s[4:5], 8, v15
	v_and_b32_e32 v10, 7, v10
	v_cndmask_b32_e64 v11, v34, v11, s[4:5]
	v_mov_b32_e32 v15, 24
	v_cndmask_b32_e64 v10, v46, v10, s[4:5]
	v_lshlrev_b32_sdwa v14, v15, v14 dst_sel:DWORD dst_unused:UNUSED_PAD src0_sel:DWORD src1_sel:BYTE_3
	v_lshl_add_u32 v11, v11, 23, v57
	v_and_or_b32 v11, v14, s11, v11
	v_lshlrev_b32_e32 v10, 20, v10
	v_or_b32_e32 v11, v11, v10
	v_mov_b32_e32 v10, v47
.LBB249_529:                            ;   in Loop: Header=BB249_403 Depth=1
	s_or_b64 exec, exec, s[28:29]
.LBB249_530:                            ;   in Loop: Header=BB249_403 Depth=1
	s_or_b64 exec, exec, s[26:27]
.LBB249_531:                            ;   in Loop: Header=BB249_403 Depth=1
	s_or_b64 exec, exec, s[24:25]
	v_or_b32_e32 v15, v29, v27
	v_or_b32_e32 v14, v28, v26
	;; [unrolled: 1-line block ×4, first 2 shown]
	v_pk_mul_f32 v[14:15], v[24:25], v[14:15]
	v_pk_mul_f32 v[10:11], v[24:25], v[10:11]
	v_accvgpr_write_b32 a31, v15
	v_accvgpr_write_b32 a33, v11
	;; [unrolled: 1-line block ×4, first 2 shown]
	s_and_saveexec_b64 s[24:25], vcc
	s_cbranch_execz .LBB249_533
; %bb.532:                              ;   in Loop: Header=BB249_403 Depth=1
	v_accvgpr_read_b32 v10, a10
	v_cmp_lt_i32_e64 s[4:5], v10, v62
	v_accvgpr_read_b32 v14, a30
	v_accvgpr_read_b32 v10, a17
	v_accvgpr_read_b32 v15, a31
	v_cndmask_b32_e64 v14, 0, v14, s[4:5]
	v_cmp_lt_i32_e64 s[4:5], v10, v62
	v_accvgpr_read_b32 v10, a16
	v_cndmask_b32_e64 v15, 0, v15, s[4:5]
	v_cmp_lt_i32_e64 s[4:5], v10, v62
	v_accvgpr_read_b32 v10, a32
	v_accvgpr_read_b32 v11, a33
	v_cndmask_b32_e64 v10, 0, v10, s[4:5]
	v_cmp_lt_i32_e64 s[4:5], v56, v62
	v_cndmask_b32_e64 v11, 0, v11, s[4:5]
	v_accvgpr_write_b32 a31, v15
	v_accvgpr_write_b32 a33, v11
	;; [unrolled: 1-line block ×4, first 2 shown]
.LBB249_533:                            ;   in Loop: Header=BB249_403 Depth=1
	s_or_b64 exec, exec, s[24:25]
	flat_load_dword v14, v[30:31] offset:1280
	v_pk_mov_b32 v[28:29], 0, 0
	v_pk_mov_b32 v[26:27], v[28:29], v[28:29] op_sel:[0,1]
	s_waitcnt vmcnt(0) lgkmcnt(0)
	v_cmp_ne_u16_sdwa s[4:5], v14, v47 src0_sel:BYTE_0 src1_sel:DWORD
	s_and_saveexec_b64 s[24:25], s[4:5]
	s_cbranch_execz .LBB249_539
; %bb.534:                              ;   in Loop: Header=BB249_403 Depth=1
	v_bfrev_b32_e32 v26, 1
	v_cmp_ne_u16_sdwa s[4:5], v14, s7 src0_sel:BYTE_0 src1_sel:DWORD
	v_mov_b32_e32 v27, 0
	s_and_saveexec_b64 s[26:27], s[4:5]
	s_cbranch_execz .LBB249_538
; %bb.535:                              ;   in Loop: Header=BB249_403 Depth=1
	v_and_b32_e32 v10, 0x7f, v14
	v_mov_b32_e32 v26, 0x7f800001
	v_cmp_ne_u32_e64 s[4:5], s15, v10
	v_mov_b32_e32 v27, 0
	s_and_saveexec_b64 s[28:29], s[4:5]
	s_cbranch_execz .LBB249_537
; %bb.536:                              ;   in Loop: Header=BB249_403 Depth=1
	v_and_b32_e32 v11, 7, v14
	v_ffbh_u32_e32 v26, v11
	v_min_u32_e32 v32, 32, v26
	v_lshrrev_b32_e32 v15, 3, v10
	v_subrev_u32_e32 v26, 28, v32
	v_lshlrev_b64 v[26:27], v26, v[14:15]
	v_sub_u32_e32 v27, 29, v32
	v_and_b32_e32 v26, 7, v26
	v_cmp_gt_u32_e64 s[4:5], 8, v10
	v_cndmask_b32_e64 v10, v15, v27, s[4:5]
	v_cndmask_b32_e64 v11, v11, v26, s[4:5]
	v_lshlrev_b32_e32 v11, 20, v11
	v_and_b32_sdwa v15, sext(v14), s11 dst_sel:DWORD dst_unused:UNUSED_PAD src0_sel:BYTE_0 src1_sel:DWORD
	v_lshl_add_u32 v10, v10, 23, v57
	v_or3_b32 v46, v15, v10, v11
	v_pk_mov_b32 v[26:27], v[46:47], v[46:47] op_sel:[0,1]
.LBB249_537:                            ;   in Loop: Header=BB249_403 Depth=1
	s_or_b64 exec, exec, s[28:29]
.LBB249_538:                            ;   in Loop: Header=BB249_403 Depth=1
	s_or_b64 exec, exec, s[26:27]
.LBB249_539:                            ;   in Loop: Header=BB249_403 Depth=1
	s_or_b64 exec, exec, s[24:25]
	v_cmp_ne_u16_sdwa s[4:5], v14, v47 src0_sel:BYTE_1 src1_sel:DWORD
	s_and_saveexec_b64 s[24:25], s[4:5]
	s_cbranch_execz .LBB249_545
; %bb.540:                              ;   in Loop: Header=BB249_403 Depth=1
	v_cmp_ne_u16_sdwa s[4:5], v14, s7 src0_sel:BYTE_1 src1_sel:DWORD
	v_pk_mov_b32 v[28:29], s[10:11], s[10:11] op_sel:[0,1]
	s_and_saveexec_b64 s[26:27], s[4:5]
	s_cbranch_execz .LBB249_544
; %bb.541:                              ;   in Loop: Header=BB249_403 Depth=1
	v_and_b32_sdwa v10, v14, s15 dst_sel:DWORD dst_unused:UNUSED_PAD src0_sel:BYTE_1 src1_sel:DWORD
	s_mov_b32 s22, s10
	v_cmp_ne_u32_e64 s[4:5], s15, v10
	v_pk_mov_b32 v[28:29], s[22:23], s[22:23] op_sel:[0,1]
	s_and_saveexec_b64 s[28:29], s[4:5]
	s_cbranch_execz .LBB249_543
; %bb.542:                              ;   in Loop: Header=BB249_403 Depth=1
	v_mov_b32_e32 v11, 7
	v_and_b32_sdwa v46, v14, v11 dst_sel:DWORD dst_unused:UNUSED_PAD src0_sel:BYTE_1 src1_sel:DWORD
	v_ffbh_u32_e32 v15, v46
	v_min_u32_e32 v15, 32, v15
	v_subrev_u32_e32 v28, 28, v15
	v_lshrrev_b32_e32 v11, 3, v10
	v_lshlrev_b64 v[28:29], v28, v[46:47]
	v_sub_u32_e32 v15, 29, v15
	v_cmp_gt_u32_e64 s[4:5], 8, v10
	v_and_b32_e32 v28, 7, v28
	v_cndmask_b32_e64 v10, v11, v15, s[4:5]
	v_cndmask_b32_e64 v11, v46, v28, s[4:5]
	v_lshlrev_b32_e32 v15, 16, v14
	v_lshl_add_u32 v10, v10, 23, v57
	v_and_or_b32 v10, v15, s11, v10
	v_lshlrev_b32_e32 v11, 20, v11
	v_or_b32_e32 v29, v10, v11
	v_mov_b32_e32 v28, v47
.LBB249_543:                            ;   in Loop: Header=BB249_403 Depth=1
	s_or_b64 exec, exec, s[28:29]
.LBB249_544:                            ;   in Loop: Header=BB249_403 Depth=1
	s_or_b64 exec, exec, s[26:27]
.LBB249_545:                            ;   in Loop: Header=BB249_403 Depth=1
	s_or_b64 exec, exec, s[24:25]
	v_lshrrev_b32_e32 v34, 16, v14
	v_pk_mov_b32 v[10:11], 0, 0
	v_cmp_ne_u16_sdwa s[4:5], v34, v47 src0_sel:BYTE_0 src1_sel:DWORD
	v_pk_mov_b32 v[32:33], v[10:11], v[10:11] op_sel:[0,1]
	s_and_saveexec_b64 s[24:25], s[4:5]
	s_cbranch_execz .LBB249_551
; %bb.546:                              ;   in Loop: Header=BB249_403 Depth=1
	v_bfrev_b32_e32 v32, 1
	v_cmp_ne_u16_sdwa s[4:5], v34, s7 src0_sel:BYTE_0 src1_sel:DWORD
	v_mov_b32_e32 v33, 0
	s_and_saveexec_b64 s[26:27], s[4:5]
	s_cbranch_execz .LBB249_550
; %bb.547:                              ;   in Loop: Header=BB249_403 Depth=1
	v_bfe_u32 v15, v14, 16, 7
	v_mov_b32_e32 v32, 0x7f800001
	v_cmp_ne_u32_e64 s[4:5], s15, v15
	v_mov_b32_e32 v33, 0
	s_and_saveexec_b64 s[28:29], s[4:5]
	s_cbranch_execz .LBB249_549
; %bb.548:                              ;   in Loop: Header=BB249_403 Depth=1
	v_and_b32_e32 v35, 7, v34
	v_ffbh_u32_e32 v32, v35
	v_min_u32_e32 v37, 32, v32
	v_subrev_u32_e32 v32, 28, v37
	v_lshlrev_b64 v[32:33], v32, v[34:35]
	v_lshrrev_b32_e32 v36, 3, v15
	v_sub_u32_e32 v33, 29, v37
	v_and_b32_e32 v32, 7, v32
	v_cmp_gt_u32_e64 s[4:5], 8, v15
	v_cndmask_b32_e64 v15, v36, v33, s[4:5]
	v_cndmask_b32_e64 v32, v35, v32, s[4:5]
	v_lshlrev_b32_e32 v32, 20, v32
	v_and_b32_sdwa v33, sext(v34), s11 dst_sel:DWORD dst_unused:UNUSED_PAD src0_sel:BYTE_0 src1_sel:DWORD
	v_lshl_add_u32 v15, v15, 23, v57
	v_or3_b32 v46, v33, v15, v32
	v_pk_mov_b32 v[32:33], v[46:47], v[46:47] op_sel:[0,1]
.LBB249_549:                            ;   in Loop: Header=BB249_403 Depth=1
	s_or_b64 exec, exec, s[28:29]
.LBB249_550:                            ;   in Loop: Header=BB249_403 Depth=1
	s_or_b64 exec, exec, s[26:27]
.LBB249_551:                            ;   in Loop: Header=BB249_403 Depth=1
	s_or_b64 exec, exec, s[24:25]
	v_cmp_lt_u32_e64 s[4:5], s30, v14
	s_and_saveexec_b64 s[24:25], s[4:5]
	s_cbranch_execz .LBB249_557
; %bb.552:                              ;   in Loop: Header=BB249_403 Depth=1
	v_cmp_ne_u32_sdwa s[4:5], v14, s7 src0_sel:BYTE_3 src1_sel:DWORD
	v_pk_mov_b32 v[10:11], s[10:11], s[10:11] op_sel:[0,1]
	s_and_saveexec_b64 s[26:27], s[4:5]
	s_cbranch_execz .LBB249_556
; %bb.553:                              ;   in Loop: Header=BB249_403 Depth=1
	v_bfe_u32 v15, v14, 24, 7
	s_mov_b32 s22, s10
	v_cmp_ne_u32_e64 s[4:5], s15, v15
	v_pk_mov_b32 v[10:11], s[22:23], s[22:23] op_sel:[0,1]
	s_and_saveexec_b64 s[28:29], s[4:5]
	s_cbranch_execz .LBB249_555
; %bb.554:                              ;   in Loop: Header=BB249_403 Depth=1
	v_mov_b32_e32 v10, 7
	v_and_b32_sdwa v46, v14, v10 dst_sel:DWORD dst_unused:UNUSED_PAD src0_sel:BYTE_3 src1_sel:DWORD
	v_ffbh_u32_e32 v10, v46
	v_min_u32_e32 v35, 32, v10
	v_subrev_u32_e32 v10, 28, v35
	v_lshlrev_b64 v[10:11], v10, v[46:47]
	v_lshrrev_b32_e32 v34, 3, v15
	v_sub_u32_e32 v11, 29, v35
	v_cmp_gt_u32_e64 s[4:5], 8, v15
	v_and_b32_e32 v10, 7, v10
	v_cndmask_b32_e64 v11, v34, v11, s[4:5]
	v_mov_b32_e32 v15, 24
	v_cndmask_b32_e64 v10, v46, v10, s[4:5]
	v_lshlrev_b32_sdwa v14, v15, v14 dst_sel:DWORD dst_unused:UNUSED_PAD src0_sel:DWORD src1_sel:BYTE_3
	v_lshl_add_u32 v11, v11, 23, v57
	v_and_or_b32 v11, v14, s11, v11
	v_lshlrev_b32_e32 v10, 20, v10
	v_or_b32_e32 v11, v11, v10
	v_mov_b32_e32 v10, v47
.LBB249_555:                            ;   in Loop: Header=BB249_403 Depth=1
	s_or_b64 exec, exec, s[28:29]
.LBB249_556:                            ;   in Loop: Header=BB249_403 Depth=1
	s_or_b64 exec, exec, s[26:27]
.LBB249_557:                            ;   in Loop: Header=BB249_403 Depth=1
	s_or_b64 exec, exec, s[24:25]
	v_or_b32_e32 v15, v29, v27
	v_or_b32_e32 v14, v28, v26
	;; [unrolled: 1-line block ×4, first 2 shown]
	v_pk_mul_f32 v[14:15], v[24:25], v[14:15]
	v_pk_mul_f32 v[10:11], v[24:25], v[10:11]
	v_accvgpr_write_b32 a35, v15
	v_accvgpr_write_b32 a37, v11
	;; [unrolled: 1-line block ×4, first 2 shown]
	s_and_saveexec_b64 s[24:25], vcc
	s_cbranch_execz .LBB249_559
; %bb.558:                              ;   in Loop: Header=BB249_403 Depth=1
	v_accvgpr_read_b32 v10, a10
	v_cmp_lt_i32_e64 s[4:5], v10, v62
	v_accvgpr_read_b32 v14, a34
	v_accvgpr_read_b32 v10, a17
	;; [unrolled: 1-line block ×3, first 2 shown]
	v_cndmask_b32_e64 v14, 0, v14, s[4:5]
	v_cmp_lt_i32_e64 s[4:5], v10, v62
	v_accvgpr_read_b32 v10, a16
	v_cndmask_b32_e64 v15, 0, v15, s[4:5]
	v_cmp_lt_i32_e64 s[4:5], v10, v62
	v_accvgpr_read_b32 v10, a36
	v_accvgpr_read_b32 v11, a37
	v_cndmask_b32_e64 v10, 0, v10, s[4:5]
	v_cmp_lt_i32_e64 s[4:5], v56, v62
	v_cndmask_b32_e64 v11, 0, v11, s[4:5]
	v_accvgpr_write_b32 a35, v15
	v_accvgpr_write_b32 a37, v11
	;; [unrolled: 1-line block ×4, first 2 shown]
.LBB249_559:                            ;   in Loop: Header=BB249_403 Depth=1
	s_or_b64 exec, exec, s[24:25]
	flat_load_dword v14, v[30:31] offset:1536
	v_pk_mov_b32 v[28:29], 0, 0
	v_pk_mov_b32 v[26:27], v[28:29], v[28:29] op_sel:[0,1]
	s_waitcnt vmcnt(0) lgkmcnt(0)
	v_cmp_ne_u16_sdwa s[4:5], v14, v47 src0_sel:BYTE_0 src1_sel:DWORD
	s_and_saveexec_b64 s[24:25], s[4:5]
	s_cbranch_execz .LBB249_565
; %bb.560:                              ;   in Loop: Header=BB249_403 Depth=1
	v_bfrev_b32_e32 v26, 1
	v_cmp_ne_u16_sdwa s[4:5], v14, s7 src0_sel:BYTE_0 src1_sel:DWORD
	v_mov_b32_e32 v27, 0
	s_and_saveexec_b64 s[26:27], s[4:5]
	s_cbranch_execz .LBB249_564
; %bb.561:                              ;   in Loop: Header=BB249_403 Depth=1
	v_and_b32_e32 v10, 0x7f, v14
	v_mov_b32_e32 v26, 0x7f800001
	v_cmp_ne_u32_e64 s[4:5], s15, v10
	v_mov_b32_e32 v27, 0
	s_and_saveexec_b64 s[28:29], s[4:5]
	s_cbranch_execz .LBB249_563
; %bb.562:                              ;   in Loop: Header=BB249_403 Depth=1
	v_and_b32_e32 v11, 7, v14
	v_ffbh_u32_e32 v26, v11
	v_min_u32_e32 v32, 32, v26
	v_lshrrev_b32_e32 v15, 3, v10
	v_subrev_u32_e32 v26, 28, v32
	v_lshlrev_b64 v[26:27], v26, v[14:15]
	v_sub_u32_e32 v27, 29, v32
	v_and_b32_e32 v26, 7, v26
	v_cmp_gt_u32_e64 s[4:5], 8, v10
	v_cndmask_b32_e64 v10, v15, v27, s[4:5]
	v_cndmask_b32_e64 v11, v11, v26, s[4:5]
	v_lshlrev_b32_e32 v11, 20, v11
	v_and_b32_sdwa v15, sext(v14), s11 dst_sel:DWORD dst_unused:UNUSED_PAD src0_sel:BYTE_0 src1_sel:DWORD
	v_lshl_add_u32 v10, v10, 23, v57
	v_or3_b32 v46, v15, v10, v11
	v_pk_mov_b32 v[26:27], v[46:47], v[46:47] op_sel:[0,1]
.LBB249_563:                            ;   in Loop: Header=BB249_403 Depth=1
	s_or_b64 exec, exec, s[28:29]
.LBB249_564:                            ;   in Loop: Header=BB249_403 Depth=1
	s_or_b64 exec, exec, s[26:27]
.LBB249_565:                            ;   in Loop: Header=BB249_403 Depth=1
	s_or_b64 exec, exec, s[24:25]
	v_cmp_ne_u16_sdwa s[4:5], v14, v47 src0_sel:BYTE_1 src1_sel:DWORD
	s_and_saveexec_b64 s[24:25], s[4:5]
	s_cbranch_execz .LBB249_571
; %bb.566:                              ;   in Loop: Header=BB249_403 Depth=1
	v_cmp_ne_u16_sdwa s[4:5], v14, s7 src0_sel:BYTE_1 src1_sel:DWORD
	v_pk_mov_b32 v[28:29], s[10:11], s[10:11] op_sel:[0,1]
	s_and_saveexec_b64 s[26:27], s[4:5]
	s_cbranch_execz .LBB249_570
; %bb.567:                              ;   in Loop: Header=BB249_403 Depth=1
	v_and_b32_sdwa v10, v14, s15 dst_sel:DWORD dst_unused:UNUSED_PAD src0_sel:BYTE_1 src1_sel:DWORD
	s_mov_b32 s22, s10
	v_cmp_ne_u32_e64 s[4:5], s15, v10
	v_pk_mov_b32 v[28:29], s[22:23], s[22:23] op_sel:[0,1]
	s_and_saveexec_b64 s[28:29], s[4:5]
	s_cbranch_execz .LBB249_569
; %bb.568:                              ;   in Loop: Header=BB249_403 Depth=1
	v_mov_b32_e32 v11, 7
	v_and_b32_sdwa v46, v14, v11 dst_sel:DWORD dst_unused:UNUSED_PAD src0_sel:BYTE_1 src1_sel:DWORD
	v_ffbh_u32_e32 v15, v46
	v_min_u32_e32 v15, 32, v15
	v_subrev_u32_e32 v28, 28, v15
	v_lshrrev_b32_e32 v11, 3, v10
	v_lshlrev_b64 v[28:29], v28, v[46:47]
	v_sub_u32_e32 v15, 29, v15
	v_cmp_gt_u32_e64 s[4:5], 8, v10
	v_and_b32_e32 v28, 7, v28
	v_cndmask_b32_e64 v10, v11, v15, s[4:5]
	v_cndmask_b32_e64 v11, v46, v28, s[4:5]
	v_lshlrev_b32_e32 v15, 16, v14
	v_lshl_add_u32 v10, v10, 23, v57
	v_and_or_b32 v10, v15, s11, v10
	v_lshlrev_b32_e32 v11, 20, v11
	v_or_b32_e32 v29, v10, v11
	v_mov_b32_e32 v28, v47
.LBB249_569:                            ;   in Loop: Header=BB249_403 Depth=1
	s_or_b64 exec, exec, s[28:29]
.LBB249_570:                            ;   in Loop: Header=BB249_403 Depth=1
	s_or_b64 exec, exec, s[26:27]
.LBB249_571:                            ;   in Loop: Header=BB249_403 Depth=1
	s_or_b64 exec, exec, s[24:25]
	v_lshrrev_b32_e32 v34, 16, v14
	v_pk_mov_b32 v[10:11], 0, 0
	v_cmp_ne_u16_sdwa s[4:5], v34, v47 src0_sel:BYTE_0 src1_sel:DWORD
	v_pk_mov_b32 v[32:33], v[10:11], v[10:11] op_sel:[0,1]
	s_and_saveexec_b64 s[24:25], s[4:5]
	s_cbranch_execz .LBB249_577
; %bb.572:                              ;   in Loop: Header=BB249_403 Depth=1
	v_bfrev_b32_e32 v32, 1
	v_cmp_ne_u16_sdwa s[4:5], v34, s7 src0_sel:BYTE_0 src1_sel:DWORD
	v_mov_b32_e32 v33, 0
	s_and_saveexec_b64 s[26:27], s[4:5]
	s_cbranch_execz .LBB249_576
; %bb.573:                              ;   in Loop: Header=BB249_403 Depth=1
	v_bfe_u32 v15, v14, 16, 7
	v_mov_b32_e32 v32, 0x7f800001
	v_cmp_ne_u32_e64 s[4:5], s15, v15
	v_mov_b32_e32 v33, 0
	s_and_saveexec_b64 s[28:29], s[4:5]
	s_cbranch_execz .LBB249_575
; %bb.574:                              ;   in Loop: Header=BB249_403 Depth=1
	v_and_b32_e32 v35, 7, v34
	v_ffbh_u32_e32 v32, v35
	v_min_u32_e32 v37, 32, v32
	v_subrev_u32_e32 v32, 28, v37
	v_lshlrev_b64 v[32:33], v32, v[34:35]
	v_lshrrev_b32_e32 v36, 3, v15
	v_sub_u32_e32 v33, 29, v37
	v_and_b32_e32 v32, 7, v32
	v_cmp_gt_u32_e64 s[4:5], 8, v15
	v_cndmask_b32_e64 v15, v36, v33, s[4:5]
	v_cndmask_b32_e64 v32, v35, v32, s[4:5]
	v_lshlrev_b32_e32 v32, 20, v32
	v_and_b32_sdwa v33, sext(v34), s11 dst_sel:DWORD dst_unused:UNUSED_PAD src0_sel:BYTE_0 src1_sel:DWORD
	v_lshl_add_u32 v15, v15, 23, v57
	v_or3_b32 v46, v33, v15, v32
	v_pk_mov_b32 v[32:33], v[46:47], v[46:47] op_sel:[0,1]
.LBB249_575:                            ;   in Loop: Header=BB249_403 Depth=1
	s_or_b64 exec, exec, s[28:29]
.LBB249_576:                            ;   in Loop: Header=BB249_403 Depth=1
	s_or_b64 exec, exec, s[26:27]
.LBB249_577:                            ;   in Loop: Header=BB249_403 Depth=1
	s_or_b64 exec, exec, s[24:25]
	v_cmp_lt_u32_e64 s[4:5], s30, v14
	s_and_saveexec_b64 s[24:25], s[4:5]
	s_cbranch_execz .LBB249_583
; %bb.578:                              ;   in Loop: Header=BB249_403 Depth=1
	v_cmp_ne_u32_sdwa s[4:5], v14, s7 src0_sel:BYTE_3 src1_sel:DWORD
	v_pk_mov_b32 v[10:11], s[10:11], s[10:11] op_sel:[0,1]
	s_and_saveexec_b64 s[26:27], s[4:5]
	s_cbranch_execz .LBB249_582
; %bb.579:                              ;   in Loop: Header=BB249_403 Depth=1
	v_bfe_u32 v15, v14, 24, 7
	s_mov_b32 s22, s10
	v_cmp_ne_u32_e64 s[4:5], s15, v15
	v_pk_mov_b32 v[10:11], s[22:23], s[22:23] op_sel:[0,1]
	s_and_saveexec_b64 s[28:29], s[4:5]
	s_cbranch_execz .LBB249_581
; %bb.580:                              ;   in Loop: Header=BB249_403 Depth=1
	v_mov_b32_e32 v10, 7
	v_and_b32_sdwa v46, v14, v10 dst_sel:DWORD dst_unused:UNUSED_PAD src0_sel:BYTE_3 src1_sel:DWORD
	v_ffbh_u32_e32 v10, v46
	v_min_u32_e32 v35, 32, v10
	v_subrev_u32_e32 v10, 28, v35
	v_lshlrev_b64 v[10:11], v10, v[46:47]
	v_lshrrev_b32_e32 v34, 3, v15
	v_sub_u32_e32 v11, 29, v35
	v_cmp_gt_u32_e64 s[4:5], 8, v15
	v_and_b32_e32 v10, 7, v10
	v_cndmask_b32_e64 v11, v34, v11, s[4:5]
	v_mov_b32_e32 v15, 24
	v_cndmask_b32_e64 v10, v46, v10, s[4:5]
	v_lshlrev_b32_sdwa v14, v15, v14 dst_sel:DWORD dst_unused:UNUSED_PAD src0_sel:DWORD src1_sel:BYTE_3
	v_lshl_add_u32 v11, v11, 23, v57
	v_and_or_b32 v11, v14, s11, v11
	v_lshlrev_b32_e32 v10, 20, v10
	v_or_b32_e32 v11, v11, v10
	v_mov_b32_e32 v10, v47
.LBB249_581:                            ;   in Loop: Header=BB249_403 Depth=1
	s_or_b64 exec, exec, s[28:29]
.LBB249_582:                            ;   in Loop: Header=BB249_403 Depth=1
	s_or_b64 exec, exec, s[26:27]
.LBB249_583:                            ;   in Loop: Header=BB249_403 Depth=1
	s_or_b64 exec, exec, s[24:25]
	v_or_b32_e32 v15, v29, v27
	v_or_b32_e32 v14, v28, v26
	v_or_b32_e32 v11, v11, v33
	v_or_b32_e32 v10, v10, v32
	v_pk_mul_f32 v[14:15], v[24:25], v[14:15]
	v_pk_mul_f32 v[10:11], v[24:25], v[10:11]
	v_accvgpr_write_b32 a39, v15
	v_accvgpr_write_b32 a41, v11
	;; [unrolled: 1-line block ×4, first 2 shown]
	s_and_saveexec_b64 s[24:25], vcc
	s_cbranch_execz .LBB249_585
; %bb.584:                              ;   in Loop: Header=BB249_403 Depth=1
	v_accvgpr_read_b32 v10, a10
	v_cmp_lt_i32_e64 s[4:5], v10, v62
	v_accvgpr_read_b32 v14, a38
	v_accvgpr_read_b32 v10, a17
	;; [unrolled: 1-line block ×3, first 2 shown]
	v_cndmask_b32_e64 v14, 0, v14, s[4:5]
	v_cmp_lt_i32_e64 s[4:5], v10, v62
	v_accvgpr_read_b32 v10, a16
	v_cndmask_b32_e64 v15, 0, v15, s[4:5]
	v_cmp_lt_i32_e64 s[4:5], v10, v62
	v_accvgpr_read_b32 v10, a40
	v_accvgpr_read_b32 v11, a41
	v_cndmask_b32_e64 v10, 0, v10, s[4:5]
	v_cmp_lt_i32_e64 s[4:5], v56, v62
	v_cndmask_b32_e64 v11, 0, v11, s[4:5]
	v_accvgpr_write_b32 a39, v15
	v_accvgpr_write_b32 a41, v11
	;; [unrolled: 1-line block ×4, first 2 shown]
.LBB249_585:                            ;   in Loop: Header=BB249_403 Depth=1
	s_or_b64 exec, exec, s[24:25]
	flat_load_dword v14, v[30:31] offset:1792
	v_pk_mov_b32 v[28:29], 0, 0
	v_pk_mov_b32 v[26:27], v[28:29], v[28:29] op_sel:[0,1]
	s_waitcnt vmcnt(0) lgkmcnt(0)
	v_cmp_ne_u16_sdwa s[4:5], v14, v47 src0_sel:BYTE_0 src1_sel:DWORD
	s_and_saveexec_b64 s[24:25], s[4:5]
	s_cbranch_execz .LBB249_591
; %bb.586:                              ;   in Loop: Header=BB249_403 Depth=1
	v_bfrev_b32_e32 v26, 1
	v_cmp_ne_u16_sdwa s[4:5], v14, s7 src0_sel:BYTE_0 src1_sel:DWORD
	v_mov_b32_e32 v27, 0
	s_and_saveexec_b64 s[26:27], s[4:5]
	s_cbranch_execz .LBB249_590
; %bb.587:                              ;   in Loop: Header=BB249_403 Depth=1
	v_and_b32_e32 v10, 0x7f, v14
	v_mov_b32_e32 v26, 0x7f800001
	v_cmp_ne_u32_e64 s[4:5], s15, v10
	v_mov_b32_e32 v27, 0
	s_and_saveexec_b64 s[28:29], s[4:5]
	s_cbranch_execz .LBB249_589
; %bb.588:                              ;   in Loop: Header=BB249_403 Depth=1
	v_and_b32_e32 v11, 7, v14
	v_ffbh_u32_e32 v26, v11
	v_min_u32_e32 v32, 32, v26
	v_lshrrev_b32_e32 v15, 3, v10
	v_subrev_u32_e32 v26, 28, v32
	v_lshlrev_b64 v[26:27], v26, v[14:15]
	v_sub_u32_e32 v27, 29, v32
	v_and_b32_e32 v26, 7, v26
	v_cmp_gt_u32_e64 s[4:5], 8, v10
	v_cndmask_b32_e64 v10, v15, v27, s[4:5]
	v_cndmask_b32_e64 v11, v11, v26, s[4:5]
	v_lshlrev_b32_e32 v11, 20, v11
	v_and_b32_sdwa v15, sext(v14), s11 dst_sel:DWORD dst_unused:UNUSED_PAD src0_sel:BYTE_0 src1_sel:DWORD
	v_lshl_add_u32 v10, v10, 23, v57
	v_or3_b32 v46, v15, v10, v11
	v_pk_mov_b32 v[26:27], v[46:47], v[46:47] op_sel:[0,1]
.LBB249_589:                            ;   in Loop: Header=BB249_403 Depth=1
	s_or_b64 exec, exec, s[28:29]
.LBB249_590:                            ;   in Loop: Header=BB249_403 Depth=1
	s_or_b64 exec, exec, s[26:27]
.LBB249_591:                            ;   in Loop: Header=BB249_403 Depth=1
	s_or_b64 exec, exec, s[24:25]
	v_cmp_ne_u16_sdwa s[4:5], v14, v47 src0_sel:BYTE_1 src1_sel:DWORD
	s_and_saveexec_b64 s[24:25], s[4:5]
	s_cbranch_execz .LBB249_597
; %bb.592:                              ;   in Loop: Header=BB249_403 Depth=1
	v_cmp_ne_u16_sdwa s[4:5], v14, s7 src0_sel:BYTE_1 src1_sel:DWORD
	v_pk_mov_b32 v[28:29], s[10:11], s[10:11] op_sel:[0,1]
	s_and_saveexec_b64 s[26:27], s[4:5]
	s_cbranch_execz .LBB249_596
; %bb.593:                              ;   in Loop: Header=BB249_403 Depth=1
	v_and_b32_sdwa v10, v14, s15 dst_sel:DWORD dst_unused:UNUSED_PAD src0_sel:BYTE_1 src1_sel:DWORD
	s_mov_b32 s22, s10
	v_cmp_ne_u32_e64 s[4:5], s15, v10
	v_pk_mov_b32 v[28:29], s[22:23], s[22:23] op_sel:[0,1]
	s_and_saveexec_b64 s[28:29], s[4:5]
	s_cbranch_execz .LBB249_595
; %bb.594:                              ;   in Loop: Header=BB249_403 Depth=1
	v_mov_b32_e32 v11, 7
	v_and_b32_sdwa v46, v14, v11 dst_sel:DWORD dst_unused:UNUSED_PAD src0_sel:BYTE_1 src1_sel:DWORD
	v_ffbh_u32_e32 v15, v46
	v_min_u32_e32 v15, 32, v15
	v_subrev_u32_e32 v28, 28, v15
	v_lshrrev_b32_e32 v11, 3, v10
	v_lshlrev_b64 v[28:29], v28, v[46:47]
	v_sub_u32_e32 v15, 29, v15
	v_cmp_gt_u32_e64 s[4:5], 8, v10
	v_and_b32_e32 v28, 7, v28
	v_cndmask_b32_e64 v10, v11, v15, s[4:5]
	v_cndmask_b32_e64 v11, v46, v28, s[4:5]
	v_lshlrev_b32_e32 v15, 16, v14
	v_lshl_add_u32 v10, v10, 23, v57
	v_and_or_b32 v10, v15, s11, v10
	v_lshlrev_b32_e32 v11, 20, v11
	v_or_b32_e32 v29, v10, v11
	v_mov_b32_e32 v28, v47
.LBB249_595:                            ;   in Loop: Header=BB249_403 Depth=1
	s_or_b64 exec, exec, s[28:29]
.LBB249_596:                            ;   in Loop: Header=BB249_403 Depth=1
	s_or_b64 exec, exec, s[26:27]
.LBB249_597:                            ;   in Loop: Header=BB249_403 Depth=1
	s_or_b64 exec, exec, s[24:25]
	v_lshrrev_b32_e32 v34, 16, v14
	v_pk_mov_b32 v[10:11], 0, 0
	v_cmp_ne_u16_sdwa s[4:5], v34, v47 src0_sel:BYTE_0 src1_sel:DWORD
	v_pk_mov_b32 v[32:33], v[10:11], v[10:11] op_sel:[0,1]
	s_and_saveexec_b64 s[24:25], s[4:5]
	s_cbranch_execz .LBB249_603
; %bb.598:                              ;   in Loop: Header=BB249_403 Depth=1
	v_bfrev_b32_e32 v32, 1
	v_cmp_ne_u16_sdwa s[4:5], v34, s7 src0_sel:BYTE_0 src1_sel:DWORD
	v_mov_b32_e32 v33, 0
	s_and_saveexec_b64 s[26:27], s[4:5]
	s_cbranch_execz .LBB249_602
; %bb.599:                              ;   in Loop: Header=BB249_403 Depth=1
	v_bfe_u32 v15, v14, 16, 7
	v_mov_b32_e32 v32, 0x7f800001
	v_cmp_ne_u32_e64 s[4:5], s15, v15
	v_mov_b32_e32 v33, 0
	s_and_saveexec_b64 s[28:29], s[4:5]
	s_cbranch_execz .LBB249_601
; %bb.600:                              ;   in Loop: Header=BB249_403 Depth=1
	v_and_b32_e32 v35, 7, v34
	v_ffbh_u32_e32 v32, v35
	v_min_u32_e32 v37, 32, v32
	v_subrev_u32_e32 v32, 28, v37
	v_lshlrev_b64 v[32:33], v32, v[34:35]
	v_lshrrev_b32_e32 v36, 3, v15
	v_sub_u32_e32 v33, 29, v37
	v_and_b32_e32 v32, 7, v32
	v_cmp_gt_u32_e64 s[4:5], 8, v15
	v_cndmask_b32_e64 v15, v36, v33, s[4:5]
	v_cndmask_b32_e64 v32, v35, v32, s[4:5]
	v_lshlrev_b32_e32 v32, 20, v32
	v_and_b32_sdwa v33, sext(v34), s11 dst_sel:DWORD dst_unused:UNUSED_PAD src0_sel:BYTE_0 src1_sel:DWORD
	v_lshl_add_u32 v15, v15, 23, v57
	v_or3_b32 v46, v33, v15, v32
	v_pk_mov_b32 v[32:33], v[46:47], v[46:47] op_sel:[0,1]
.LBB249_601:                            ;   in Loop: Header=BB249_403 Depth=1
	s_or_b64 exec, exec, s[28:29]
.LBB249_602:                            ;   in Loop: Header=BB249_403 Depth=1
	s_or_b64 exec, exec, s[26:27]
.LBB249_603:                            ;   in Loop: Header=BB249_403 Depth=1
	s_or_b64 exec, exec, s[24:25]
	v_cmp_lt_u32_e64 s[4:5], s30, v14
	s_and_saveexec_b64 s[24:25], s[4:5]
	s_cbranch_execz .LBB249_609
; %bb.604:                              ;   in Loop: Header=BB249_403 Depth=1
	v_cmp_ne_u32_sdwa s[4:5], v14, s7 src0_sel:BYTE_3 src1_sel:DWORD
	v_pk_mov_b32 v[10:11], s[10:11], s[10:11] op_sel:[0,1]
	s_and_saveexec_b64 s[26:27], s[4:5]
	s_cbranch_execz .LBB249_608
; %bb.605:                              ;   in Loop: Header=BB249_403 Depth=1
	v_bfe_u32 v15, v14, 24, 7
	s_mov_b32 s22, s10
	v_cmp_ne_u32_e64 s[4:5], s15, v15
	v_pk_mov_b32 v[10:11], s[22:23], s[22:23] op_sel:[0,1]
	s_and_saveexec_b64 s[28:29], s[4:5]
	s_cbranch_execz .LBB249_607
; %bb.606:                              ;   in Loop: Header=BB249_403 Depth=1
	v_mov_b32_e32 v10, 7
	v_and_b32_sdwa v46, v14, v10 dst_sel:DWORD dst_unused:UNUSED_PAD src0_sel:BYTE_3 src1_sel:DWORD
	v_ffbh_u32_e32 v10, v46
	v_min_u32_e32 v35, 32, v10
	v_subrev_u32_e32 v10, 28, v35
	v_lshlrev_b64 v[10:11], v10, v[46:47]
	v_lshrrev_b32_e32 v34, 3, v15
	v_sub_u32_e32 v11, 29, v35
	v_cmp_gt_u32_e64 s[4:5], 8, v15
	v_and_b32_e32 v10, 7, v10
	v_cndmask_b32_e64 v11, v34, v11, s[4:5]
	v_mov_b32_e32 v15, 24
	v_cndmask_b32_e64 v10, v46, v10, s[4:5]
	v_lshlrev_b32_sdwa v14, v15, v14 dst_sel:DWORD dst_unused:UNUSED_PAD src0_sel:DWORD src1_sel:BYTE_3
	v_lshl_add_u32 v11, v11, 23, v57
	v_and_or_b32 v11, v14, s11, v11
	v_lshlrev_b32_e32 v10, 20, v10
	v_or_b32_e32 v11, v11, v10
	v_mov_b32_e32 v10, v47
.LBB249_607:                            ;   in Loop: Header=BB249_403 Depth=1
	s_or_b64 exec, exec, s[28:29]
.LBB249_608:                            ;   in Loop: Header=BB249_403 Depth=1
	s_or_b64 exec, exec, s[26:27]
.LBB249_609:                            ;   in Loop: Header=BB249_403 Depth=1
	s_or_b64 exec, exec, s[24:25]
	v_or_b32_e32 v15, v29, v27
	v_or_b32_e32 v14, v28, v26
	;; [unrolled: 1-line block ×4, first 2 shown]
	v_pk_mul_f32 v[14:15], v[24:25], v[14:15]
	v_pk_mul_f32 v[10:11], v[24:25], v[10:11]
	v_accvgpr_write_b32 a43, v15
	v_accvgpr_write_b32 a45, v11
	;; [unrolled: 1-line block ×4, first 2 shown]
	s_and_saveexec_b64 s[24:25], vcc
	s_cbranch_execz .LBB249_611
; %bb.610:                              ;   in Loop: Header=BB249_403 Depth=1
	v_accvgpr_read_b32 v10, a10
	v_cmp_lt_i32_e64 s[4:5], v10, v62
	v_accvgpr_read_b32 v14, a42
	v_accvgpr_read_b32 v10, a17
	;; [unrolled: 1-line block ×3, first 2 shown]
	v_cndmask_b32_e64 v14, 0, v14, s[4:5]
	v_cmp_lt_i32_e64 s[4:5], v10, v62
	v_accvgpr_read_b32 v10, a16
	v_cndmask_b32_e64 v15, 0, v15, s[4:5]
	v_cmp_lt_i32_e64 s[4:5], v10, v62
	v_accvgpr_read_b32 v10, a44
	v_accvgpr_read_b32 v11, a45
	v_cndmask_b32_e64 v10, 0, v10, s[4:5]
	v_cmp_lt_i32_e64 s[4:5], v56, v62
	v_cndmask_b32_e64 v11, 0, v11, s[4:5]
	v_accvgpr_write_b32 a43, v15
	v_accvgpr_write_b32 a45, v11
	;; [unrolled: 1-line block ×4, first 2 shown]
.LBB249_611:                            ;   in Loop: Header=BB249_403 Depth=1
	s_or_b64 exec, exec, s[24:25]
	flat_load_dword v14, v[30:31] offset:2048
	v_pk_mov_b32 v[28:29], 0, 0
	v_pk_mov_b32 v[26:27], v[28:29], v[28:29] op_sel:[0,1]
	s_waitcnt vmcnt(0) lgkmcnt(0)
	v_cmp_ne_u16_sdwa s[4:5], v14, v47 src0_sel:BYTE_0 src1_sel:DWORD
	s_and_saveexec_b64 s[24:25], s[4:5]
	s_cbranch_execz .LBB249_617
; %bb.612:                              ;   in Loop: Header=BB249_403 Depth=1
	v_bfrev_b32_e32 v26, 1
	v_cmp_ne_u16_sdwa s[4:5], v14, s7 src0_sel:BYTE_0 src1_sel:DWORD
	v_mov_b32_e32 v27, 0
	s_and_saveexec_b64 s[26:27], s[4:5]
	s_cbranch_execz .LBB249_616
; %bb.613:                              ;   in Loop: Header=BB249_403 Depth=1
	v_and_b32_e32 v10, 0x7f, v14
	v_mov_b32_e32 v26, 0x7f800001
	v_cmp_ne_u32_e64 s[4:5], s15, v10
	v_mov_b32_e32 v27, 0
	s_and_saveexec_b64 s[28:29], s[4:5]
	s_cbranch_execz .LBB249_615
; %bb.614:                              ;   in Loop: Header=BB249_403 Depth=1
	v_and_b32_e32 v11, 7, v14
	v_ffbh_u32_e32 v26, v11
	v_min_u32_e32 v32, 32, v26
	v_lshrrev_b32_e32 v15, 3, v10
	v_subrev_u32_e32 v26, 28, v32
	v_lshlrev_b64 v[26:27], v26, v[14:15]
	v_sub_u32_e32 v27, 29, v32
	v_and_b32_e32 v26, 7, v26
	v_cmp_gt_u32_e64 s[4:5], 8, v10
	v_cndmask_b32_e64 v10, v15, v27, s[4:5]
	v_cndmask_b32_e64 v11, v11, v26, s[4:5]
	v_lshlrev_b32_e32 v11, 20, v11
	v_and_b32_sdwa v15, sext(v14), s11 dst_sel:DWORD dst_unused:UNUSED_PAD src0_sel:BYTE_0 src1_sel:DWORD
	v_lshl_add_u32 v10, v10, 23, v57
	v_or3_b32 v46, v15, v10, v11
	v_pk_mov_b32 v[26:27], v[46:47], v[46:47] op_sel:[0,1]
.LBB249_615:                            ;   in Loop: Header=BB249_403 Depth=1
	s_or_b64 exec, exec, s[28:29]
.LBB249_616:                            ;   in Loop: Header=BB249_403 Depth=1
	s_or_b64 exec, exec, s[26:27]
.LBB249_617:                            ;   in Loop: Header=BB249_403 Depth=1
	s_or_b64 exec, exec, s[24:25]
	v_cmp_ne_u16_sdwa s[4:5], v14, v47 src0_sel:BYTE_1 src1_sel:DWORD
	s_and_saveexec_b64 s[24:25], s[4:5]
	s_cbranch_execz .LBB249_623
; %bb.618:                              ;   in Loop: Header=BB249_403 Depth=1
	v_cmp_ne_u16_sdwa s[4:5], v14, s7 src0_sel:BYTE_1 src1_sel:DWORD
	v_pk_mov_b32 v[28:29], s[10:11], s[10:11] op_sel:[0,1]
	s_and_saveexec_b64 s[26:27], s[4:5]
	s_cbranch_execz .LBB249_622
; %bb.619:                              ;   in Loop: Header=BB249_403 Depth=1
	v_and_b32_sdwa v10, v14, s15 dst_sel:DWORD dst_unused:UNUSED_PAD src0_sel:BYTE_1 src1_sel:DWORD
	s_mov_b32 s22, s10
	v_cmp_ne_u32_e64 s[4:5], s15, v10
	v_pk_mov_b32 v[28:29], s[22:23], s[22:23] op_sel:[0,1]
	s_and_saveexec_b64 s[28:29], s[4:5]
	s_cbranch_execz .LBB249_621
; %bb.620:                              ;   in Loop: Header=BB249_403 Depth=1
	v_mov_b32_e32 v11, 7
	v_and_b32_sdwa v46, v14, v11 dst_sel:DWORD dst_unused:UNUSED_PAD src0_sel:BYTE_1 src1_sel:DWORD
	v_ffbh_u32_e32 v15, v46
	v_min_u32_e32 v15, 32, v15
	v_subrev_u32_e32 v28, 28, v15
	v_lshrrev_b32_e32 v11, 3, v10
	v_lshlrev_b64 v[28:29], v28, v[46:47]
	v_sub_u32_e32 v15, 29, v15
	v_cmp_gt_u32_e64 s[4:5], 8, v10
	v_and_b32_e32 v28, 7, v28
	v_cndmask_b32_e64 v10, v11, v15, s[4:5]
	v_cndmask_b32_e64 v11, v46, v28, s[4:5]
	v_lshlrev_b32_e32 v15, 16, v14
	v_lshl_add_u32 v10, v10, 23, v57
	v_and_or_b32 v10, v15, s11, v10
	v_lshlrev_b32_e32 v11, 20, v11
	v_or_b32_e32 v29, v10, v11
	v_mov_b32_e32 v28, v47
.LBB249_621:                            ;   in Loop: Header=BB249_403 Depth=1
	s_or_b64 exec, exec, s[28:29]
.LBB249_622:                            ;   in Loop: Header=BB249_403 Depth=1
	s_or_b64 exec, exec, s[26:27]
.LBB249_623:                            ;   in Loop: Header=BB249_403 Depth=1
	s_or_b64 exec, exec, s[24:25]
	v_lshrrev_b32_e32 v34, 16, v14
	v_pk_mov_b32 v[10:11], 0, 0
	v_cmp_ne_u16_sdwa s[4:5], v34, v47 src0_sel:BYTE_0 src1_sel:DWORD
	v_pk_mov_b32 v[32:33], v[10:11], v[10:11] op_sel:[0,1]
	s_and_saveexec_b64 s[24:25], s[4:5]
	s_cbranch_execz .LBB249_629
; %bb.624:                              ;   in Loop: Header=BB249_403 Depth=1
	v_bfrev_b32_e32 v32, 1
	v_cmp_ne_u16_sdwa s[4:5], v34, s7 src0_sel:BYTE_0 src1_sel:DWORD
	v_mov_b32_e32 v33, 0
	s_and_saveexec_b64 s[26:27], s[4:5]
	s_cbranch_execz .LBB249_628
; %bb.625:                              ;   in Loop: Header=BB249_403 Depth=1
	v_bfe_u32 v15, v14, 16, 7
	v_mov_b32_e32 v32, 0x7f800001
	v_cmp_ne_u32_e64 s[4:5], s15, v15
	v_mov_b32_e32 v33, 0
	s_and_saveexec_b64 s[28:29], s[4:5]
	s_cbranch_execz .LBB249_627
; %bb.626:                              ;   in Loop: Header=BB249_403 Depth=1
	v_and_b32_e32 v35, 7, v34
	v_ffbh_u32_e32 v32, v35
	v_min_u32_e32 v37, 32, v32
	v_subrev_u32_e32 v32, 28, v37
	v_lshlrev_b64 v[32:33], v32, v[34:35]
	v_lshrrev_b32_e32 v36, 3, v15
	v_sub_u32_e32 v33, 29, v37
	v_and_b32_e32 v32, 7, v32
	v_cmp_gt_u32_e64 s[4:5], 8, v15
	v_cndmask_b32_e64 v15, v36, v33, s[4:5]
	v_cndmask_b32_e64 v32, v35, v32, s[4:5]
	v_lshlrev_b32_e32 v32, 20, v32
	v_and_b32_sdwa v33, sext(v34), s11 dst_sel:DWORD dst_unused:UNUSED_PAD src0_sel:BYTE_0 src1_sel:DWORD
	v_lshl_add_u32 v15, v15, 23, v57
	v_or3_b32 v46, v33, v15, v32
	v_pk_mov_b32 v[32:33], v[46:47], v[46:47] op_sel:[0,1]
.LBB249_627:                            ;   in Loop: Header=BB249_403 Depth=1
	s_or_b64 exec, exec, s[28:29]
.LBB249_628:                            ;   in Loop: Header=BB249_403 Depth=1
	s_or_b64 exec, exec, s[26:27]
.LBB249_629:                            ;   in Loop: Header=BB249_403 Depth=1
	s_or_b64 exec, exec, s[24:25]
	v_cmp_lt_u32_e64 s[4:5], s30, v14
	s_and_saveexec_b64 s[24:25], s[4:5]
	s_cbranch_execz .LBB249_635
; %bb.630:                              ;   in Loop: Header=BB249_403 Depth=1
	v_cmp_ne_u32_sdwa s[4:5], v14, s7 src0_sel:BYTE_3 src1_sel:DWORD
	v_pk_mov_b32 v[10:11], s[10:11], s[10:11] op_sel:[0,1]
	s_and_saveexec_b64 s[26:27], s[4:5]
	s_cbranch_execz .LBB249_634
; %bb.631:                              ;   in Loop: Header=BB249_403 Depth=1
	v_bfe_u32 v15, v14, 24, 7
	s_mov_b32 s22, s10
	v_cmp_ne_u32_e64 s[4:5], s15, v15
	v_pk_mov_b32 v[10:11], s[22:23], s[22:23] op_sel:[0,1]
	s_and_saveexec_b64 s[28:29], s[4:5]
	s_cbranch_execz .LBB249_633
; %bb.632:                              ;   in Loop: Header=BB249_403 Depth=1
	v_mov_b32_e32 v10, 7
	v_and_b32_sdwa v46, v14, v10 dst_sel:DWORD dst_unused:UNUSED_PAD src0_sel:BYTE_3 src1_sel:DWORD
	v_ffbh_u32_e32 v10, v46
	v_min_u32_e32 v35, 32, v10
	v_subrev_u32_e32 v10, 28, v35
	v_lshlrev_b64 v[10:11], v10, v[46:47]
	v_lshrrev_b32_e32 v34, 3, v15
	v_sub_u32_e32 v11, 29, v35
	v_cmp_gt_u32_e64 s[4:5], 8, v15
	v_and_b32_e32 v10, 7, v10
	v_cndmask_b32_e64 v11, v34, v11, s[4:5]
	v_mov_b32_e32 v15, 24
	v_cndmask_b32_e64 v10, v46, v10, s[4:5]
	v_lshlrev_b32_sdwa v14, v15, v14 dst_sel:DWORD dst_unused:UNUSED_PAD src0_sel:DWORD src1_sel:BYTE_3
	v_lshl_add_u32 v11, v11, 23, v57
	v_and_or_b32 v11, v14, s11, v11
	v_lshlrev_b32_e32 v10, 20, v10
	v_or_b32_e32 v11, v11, v10
	v_mov_b32_e32 v10, v47
.LBB249_633:                            ;   in Loop: Header=BB249_403 Depth=1
	s_or_b64 exec, exec, s[28:29]
.LBB249_634:                            ;   in Loop: Header=BB249_403 Depth=1
	s_or_b64 exec, exec, s[26:27]
.LBB249_635:                            ;   in Loop: Header=BB249_403 Depth=1
	s_or_b64 exec, exec, s[24:25]
	v_or_b32_e32 v15, v29, v27
	v_or_b32_e32 v14, v28, v26
	;; [unrolled: 1-line block ×4, first 2 shown]
	v_pk_mul_f32 v[60:61], v[24:25], v[14:15]
	v_pk_mul_f32 v[26:27], v[24:25], v[10:11]
	s_and_saveexec_b64 s[24:25], vcc
; %bb.636:                              ;   in Loop: Header=BB249_403 Depth=1
	v_accvgpr_read_b32 v10, a10
	v_cmp_lt_i32_e64 s[4:5], v10, v62
	v_accvgpr_read_b32 v10, a17
	v_cndmask_b32_e64 v60, 0, v60, s[4:5]
	v_cmp_lt_i32_e64 s[4:5], v10, v62
	v_accvgpr_read_b32 v10, a16
	v_cndmask_b32_e64 v61, 0, v61, s[4:5]
	v_cmp_lt_i32_e64 s[4:5], v10, v62
	v_cndmask_b32_e64 v26, 0, v26, s[4:5]
	v_cmp_lt_i32_e64 s[4:5], v56, v62
	v_cndmask_b32_e64 v27, 0, v27, s[4:5]
; %bb.637:                              ;   in Loop: Header=BB249_403 Depth=1
	s_or_b64 exec, exec, s[24:25]
	flat_load_dword v14, v[30:31] offset:2304
	v_pk_mov_b32 v[32:33], 0, 0
	v_pk_mov_b32 v[28:29], v[32:33], v[32:33] op_sel:[0,1]
	s_waitcnt vmcnt(0) lgkmcnt(0)
	v_cmp_ne_u16_sdwa s[4:5], v14, v47 src0_sel:BYTE_0 src1_sel:DWORD
	s_and_saveexec_b64 s[24:25], s[4:5]
	s_cbranch_execz .LBB249_643
; %bb.638:                              ;   in Loop: Header=BB249_403 Depth=1
	v_bfrev_b32_e32 v28, 1
	v_cmp_ne_u16_sdwa s[4:5], v14, s7 src0_sel:BYTE_0 src1_sel:DWORD
	v_mov_b32_e32 v29, 0
	s_and_saveexec_b64 s[26:27], s[4:5]
	s_cbranch_execz .LBB249_642
; %bb.639:                              ;   in Loop: Header=BB249_403 Depth=1
	v_and_b32_e32 v10, 0x7f, v14
	v_mov_b32_e32 v28, 0x7f800001
	v_cmp_ne_u32_e64 s[4:5], s15, v10
	v_mov_b32_e32 v29, 0
	s_and_saveexec_b64 s[28:29], s[4:5]
	s_cbranch_execz .LBB249_641
; %bb.640:                              ;   in Loop: Header=BB249_403 Depth=1
	v_and_b32_e32 v11, 7, v14
	v_ffbh_u32_e32 v28, v11
	v_min_u32_e32 v34, 32, v28
	v_lshrrev_b32_e32 v15, 3, v10
	v_subrev_u32_e32 v28, 28, v34
	v_lshlrev_b64 v[28:29], v28, v[14:15]
	v_sub_u32_e32 v29, 29, v34
	v_and_b32_e32 v28, 7, v28
	v_cmp_gt_u32_e64 s[4:5], 8, v10
	v_cndmask_b32_e64 v10, v15, v29, s[4:5]
	v_cndmask_b32_e64 v11, v11, v28, s[4:5]
	v_lshlrev_b32_e32 v11, 20, v11
	v_and_b32_sdwa v15, sext(v14), s11 dst_sel:DWORD dst_unused:UNUSED_PAD src0_sel:BYTE_0 src1_sel:DWORD
	v_lshl_add_u32 v10, v10, 23, v57
	v_or3_b32 v46, v15, v10, v11
	v_pk_mov_b32 v[28:29], v[46:47], v[46:47] op_sel:[0,1]
.LBB249_641:                            ;   in Loop: Header=BB249_403 Depth=1
	s_or_b64 exec, exec, s[28:29]
.LBB249_642:                            ;   in Loop: Header=BB249_403 Depth=1
	s_or_b64 exec, exec, s[26:27]
.LBB249_643:                            ;   in Loop: Header=BB249_403 Depth=1
	s_or_b64 exec, exec, s[24:25]
	v_cmp_ne_u16_sdwa s[4:5], v14, v47 src0_sel:BYTE_1 src1_sel:DWORD
	s_and_saveexec_b64 s[24:25], s[4:5]
	s_cbranch_execz .LBB249_649
; %bb.644:                              ;   in Loop: Header=BB249_403 Depth=1
	v_cmp_ne_u16_sdwa s[4:5], v14, s7 src0_sel:BYTE_1 src1_sel:DWORD
	v_pk_mov_b32 v[32:33], s[10:11], s[10:11] op_sel:[0,1]
	s_and_saveexec_b64 s[26:27], s[4:5]
	s_cbranch_execz .LBB249_648
; %bb.645:                              ;   in Loop: Header=BB249_403 Depth=1
	v_and_b32_sdwa v10, v14, s15 dst_sel:DWORD dst_unused:UNUSED_PAD src0_sel:BYTE_1 src1_sel:DWORD
	s_mov_b32 s22, s10
	v_cmp_ne_u32_e64 s[4:5], s15, v10
	v_pk_mov_b32 v[32:33], s[22:23], s[22:23] op_sel:[0,1]
	s_and_saveexec_b64 s[28:29], s[4:5]
	s_cbranch_execz .LBB249_647
; %bb.646:                              ;   in Loop: Header=BB249_403 Depth=1
	v_mov_b32_e32 v11, 7
	v_and_b32_sdwa v46, v14, v11 dst_sel:DWORD dst_unused:UNUSED_PAD src0_sel:BYTE_1 src1_sel:DWORD
	v_ffbh_u32_e32 v15, v46
	v_min_u32_e32 v15, 32, v15
	v_subrev_u32_e32 v32, 28, v15
	v_lshrrev_b32_e32 v11, 3, v10
	v_lshlrev_b64 v[32:33], v32, v[46:47]
	v_sub_u32_e32 v15, 29, v15
	v_cmp_gt_u32_e64 s[4:5], 8, v10
	v_and_b32_e32 v32, 7, v32
	v_cndmask_b32_e64 v10, v11, v15, s[4:5]
	v_cndmask_b32_e64 v11, v46, v32, s[4:5]
	v_lshlrev_b32_e32 v15, 16, v14
	v_lshl_add_u32 v10, v10, 23, v57
	v_and_or_b32 v10, v15, s11, v10
	v_lshlrev_b32_e32 v11, 20, v11
	v_or_b32_e32 v33, v10, v11
	v_mov_b32_e32 v32, v47
.LBB249_647:                            ;   in Loop: Header=BB249_403 Depth=1
	s_or_b64 exec, exec, s[28:29]
.LBB249_648:                            ;   in Loop: Header=BB249_403 Depth=1
	s_or_b64 exec, exec, s[26:27]
.LBB249_649:                            ;   in Loop: Header=BB249_403 Depth=1
	s_or_b64 exec, exec, s[24:25]
	v_lshrrev_b32_e32 v36, 16, v14
	v_pk_mov_b32 v[10:11], 0, 0
	v_cmp_ne_u16_sdwa s[4:5], v36, v47 src0_sel:BYTE_0 src1_sel:DWORD
	v_pk_mov_b32 v[34:35], v[10:11], v[10:11] op_sel:[0,1]
	s_and_saveexec_b64 s[24:25], s[4:5]
	s_cbranch_execz .LBB249_655
; %bb.650:                              ;   in Loop: Header=BB249_403 Depth=1
	v_bfrev_b32_e32 v34, 1
	v_cmp_ne_u16_sdwa s[4:5], v36, s7 src0_sel:BYTE_0 src1_sel:DWORD
	v_mov_b32_e32 v35, 0
	s_and_saveexec_b64 s[26:27], s[4:5]
	s_cbranch_execz .LBB249_654
; %bb.651:                              ;   in Loop: Header=BB249_403 Depth=1
	v_bfe_u32 v15, v14, 16, 7
	v_mov_b32_e32 v34, 0x7f800001
	v_cmp_ne_u32_e64 s[4:5], s15, v15
	v_mov_b32_e32 v35, 0
	s_and_saveexec_b64 s[28:29], s[4:5]
	s_cbranch_execz .LBB249_653
; %bb.652:                              ;   in Loop: Header=BB249_403 Depth=1
	v_and_b32_e32 v37, 7, v36
	v_ffbh_u32_e32 v34, v37
	v_min_u32_e32 v39, 32, v34
	v_subrev_u32_e32 v34, 28, v39
	v_lshlrev_b64 v[34:35], v34, v[36:37]
	v_lshrrev_b32_e32 v38, 3, v15
	v_sub_u32_e32 v35, 29, v39
	v_and_b32_e32 v34, 7, v34
	v_cmp_gt_u32_e64 s[4:5], 8, v15
	v_cndmask_b32_e64 v15, v38, v35, s[4:5]
	v_cndmask_b32_e64 v34, v37, v34, s[4:5]
	v_lshlrev_b32_e32 v34, 20, v34
	v_and_b32_sdwa v35, sext(v36), s11 dst_sel:DWORD dst_unused:UNUSED_PAD src0_sel:BYTE_0 src1_sel:DWORD
	v_lshl_add_u32 v15, v15, 23, v57
	v_or3_b32 v46, v35, v15, v34
	v_pk_mov_b32 v[34:35], v[46:47], v[46:47] op_sel:[0,1]
.LBB249_653:                            ;   in Loop: Header=BB249_403 Depth=1
	s_or_b64 exec, exec, s[28:29]
.LBB249_654:                            ;   in Loop: Header=BB249_403 Depth=1
	s_or_b64 exec, exec, s[26:27]
.LBB249_655:                            ;   in Loop: Header=BB249_403 Depth=1
	s_or_b64 exec, exec, s[24:25]
	v_cmp_lt_u32_e64 s[4:5], s30, v14
	s_and_saveexec_b64 s[24:25], s[4:5]
	s_cbranch_execz .LBB249_661
; %bb.656:                              ;   in Loop: Header=BB249_403 Depth=1
	v_cmp_ne_u32_sdwa s[4:5], v14, s7 src0_sel:BYTE_3 src1_sel:DWORD
	v_pk_mov_b32 v[10:11], s[10:11], s[10:11] op_sel:[0,1]
	s_and_saveexec_b64 s[26:27], s[4:5]
	s_cbranch_execz .LBB249_660
; %bb.657:                              ;   in Loop: Header=BB249_403 Depth=1
	v_bfe_u32 v15, v14, 24, 7
	s_mov_b32 s22, s10
	v_cmp_ne_u32_e64 s[4:5], s15, v15
	v_pk_mov_b32 v[10:11], s[22:23], s[22:23] op_sel:[0,1]
	s_and_saveexec_b64 s[28:29], s[4:5]
	s_cbranch_execz .LBB249_659
; %bb.658:                              ;   in Loop: Header=BB249_403 Depth=1
	v_mov_b32_e32 v10, 7
	v_and_b32_sdwa v46, v14, v10 dst_sel:DWORD dst_unused:UNUSED_PAD src0_sel:BYTE_3 src1_sel:DWORD
	v_ffbh_u32_e32 v10, v46
	v_min_u32_e32 v37, 32, v10
	v_subrev_u32_e32 v10, 28, v37
	v_lshlrev_b64 v[10:11], v10, v[46:47]
	v_lshrrev_b32_e32 v36, 3, v15
	v_sub_u32_e32 v11, 29, v37
	v_cmp_gt_u32_e64 s[4:5], 8, v15
	v_and_b32_e32 v10, 7, v10
	v_cndmask_b32_e64 v11, v36, v11, s[4:5]
	v_mov_b32_e32 v15, 24
	v_cndmask_b32_e64 v10, v46, v10, s[4:5]
	v_lshlrev_b32_sdwa v14, v15, v14 dst_sel:DWORD dst_unused:UNUSED_PAD src0_sel:DWORD src1_sel:BYTE_3
	v_lshl_add_u32 v11, v11, 23, v57
	v_and_or_b32 v11, v14, s11, v11
	v_lshlrev_b32_e32 v10, 20, v10
	v_or_b32_e32 v11, v11, v10
	v_mov_b32_e32 v10, v47
.LBB249_659:                            ;   in Loop: Header=BB249_403 Depth=1
	s_or_b64 exec, exec, s[28:29]
.LBB249_660:                            ;   in Loop: Header=BB249_403 Depth=1
	s_or_b64 exec, exec, s[26:27]
.LBB249_661:                            ;   in Loop: Header=BB249_403 Depth=1
	s_or_b64 exec, exec, s[24:25]
	v_or_b32_e32 v15, v33, v29
	v_or_b32_e32 v14, v32, v28
	;; [unrolled: 1-line block ×4, first 2 shown]
	v_pk_mul_f32 v[14:15], v[24:25], v[14:15]
	v_pk_mul_f32 v[28:29], v[24:25], v[10:11]
	s_and_saveexec_b64 s[24:25], vcc
; %bb.662:                              ;   in Loop: Header=BB249_403 Depth=1
	v_accvgpr_read_b32 v10, a10
	v_cmp_lt_i32_e64 s[4:5], v10, v62
	v_accvgpr_read_b32 v10, a17
	v_cndmask_b32_e64 v14, 0, v14, s[4:5]
	v_cmp_lt_i32_e64 s[4:5], v10, v62
	v_accvgpr_read_b32 v10, a16
	v_cndmask_b32_e64 v15, 0, v15, s[4:5]
	v_cmp_lt_i32_e64 s[4:5], v10, v62
	v_cndmask_b32_e64 v28, 0, v28, s[4:5]
	v_cmp_lt_i32_e64 s[4:5], v56, v62
	v_cndmask_b32_e64 v29, 0, v29, s[4:5]
; %bb.663:                              ;   in Loop: Header=BB249_403 Depth=1
	s_or_b64 exec, exec, s[24:25]
	flat_load_dword v32, v[30:31] offset:2560
	v_pk_mov_b32 v[36:37], 0, 0
	v_pk_mov_b32 v[34:35], v[36:37], v[36:37] op_sel:[0,1]
	s_waitcnt vmcnt(0) lgkmcnt(0)
	v_cmp_ne_u16_sdwa s[4:5], v32, v47 src0_sel:BYTE_0 src1_sel:DWORD
	s_and_saveexec_b64 s[24:25], s[4:5]
	s_cbranch_execz .LBB249_669
; %bb.664:                              ;   in Loop: Header=BB249_403 Depth=1
	v_bfrev_b32_e32 v34, 1
	v_cmp_ne_u16_sdwa s[4:5], v32, s7 src0_sel:BYTE_0 src1_sel:DWORD
	v_mov_b32_e32 v35, 0
	s_and_saveexec_b64 s[26:27], s[4:5]
	s_cbranch_execz .LBB249_668
; %bb.665:                              ;   in Loop: Header=BB249_403 Depth=1
	v_and_b32_e32 v10, 0x7f, v32
	v_mov_b32_e32 v34, 0x7f800001
	v_cmp_ne_u32_e64 s[4:5], s15, v10
	v_mov_b32_e32 v35, 0
	s_and_saveexec_b64 s[28:29], s[4:5]
	s_cbranch_execz .LBB249_667
; %bb.666:                              ;   in Loop: Header=BB249_403 Depth=1
	v_and_b32_e32 v11, 7, v32
	v_ffbh_u32_e32 v34, v11
	v_min_u32_e32 v38, 32, v34
	v_lshrrev_b32_e32 v33, 3, v10
	v_subrev_u32_e32 v34, 28, v38
	v_lshlrev_b64 v[34:35], v34, v[32:33]
	v_sub_u32_e32 v35, 29, v38
	v_and_b32_e32 v34, 7, v34
	v_cmp_gt_u32_e64 s[4:5], 8, v10
	v_cndmask_b32_e64 v10, v33, v35, s[4:5]
	v_cndmask_b32_e64 v11, v11, v34, s[4:5]
	v_lshlrev_b32_e32 v11, 20, v11
	v_and_b32_sdwa v33, sext(v32), s11 dst_sel:DWORD dst_unused:UNUSED_PAD src0_sel:BYTE_0 src1_sel:DWORD
	v_lshl_add_u32 v10, v10, 23, v57
	v_or3_b32 v46, v33, v10, v11
	v_pk_mov_b32 v[34:35], v[46:47], v[46:47] op_sel:[0,1]
.LBB249_667:                            ;   in Loop: Header=BB249_403 Depth=1
	s_or_b64 exec, exec, s[28:29]
.LBB249_668:                            ;   in Loop: Header=BB249_403 Depth=1
	s_or_b64 exec, exec, s[26:27]
.LBB249_669:                            ;   in Loop: Header=BB249_403 Depth=1
	s_or_b64 exec, exec, s[24:25]
	v_cmp_ne_u16_sdwa s[4:5], v32, v47 src0_sel:BYTE_1 src1_sel:DWORD
	s_and_saveexec_b64 s[24:25], s[4:5]
	s_cbranch_execz .LBB249_675
; %bb.670:                              ;   in Loop: Header=BB249_403 Depth=1
	v_cmp_ne_u16_sdwa s[4:5], v32, s7 src0_sel:BYTE_1 src1_sel:DWORD
	v_pk_mov_b32 v[36:37], s[10:11], s[10:11] op_sel:[0,1]
	s_and_saveexec_b64 s[26:27], s[4:5]
	s_cbranch_execz .LBB249_674
; %bb.671:                              ;   in Loop: Header=BB249_403 Depth=1
	v_and_b32_sdwa v10, v32, s15 dst_sel:DWORD dst_unused:UNUSED_PAD src0_sel:BYTE_1 src1_sel:DWORD
	s_mov_b32 s22, s10
	v_cmp_ne_u32_e64 s[4:5], s15, v10
	v_pk_mov_b32 v[36:37], s[22:23], s[22:23] op_sel:[0,1]
	s_and_saveexec_b64 s[28:29], s[4:5]
	s_cbranch_execz .LBB249_673
; %bb.672:                              ;   in Loop: Header=BB249_403 Depth=1
	v_mov_b32_e32 v11, 7
	v_and_b32_sdwa v46, v32, v11 dst_sel:DWORD dst_unused:UNUSED_PAD src0_sel:BYTE_1 src1_sel:DWORD
	v_ffbh_u32_e32 v33, v46
	v_min_u32_e32 v33, 32, v33
	v_subrev_u32_e32 v36, 28, v33
	v_lshrrev_b32_e32 v11, 3, v10
	v_lshlrev_b64 v[36:37], v36, v[46:47]
	v_sub_u32_e32 v33, 29, v33
	v_cmp_gt_u32_e64 s[4:5], 8, v10
	v_and_b32_e32 v36, 7, v36
	v_cndmask_b32_e64 v10, v11, v33, s[4:5]
	v_cndmask_b32_e64 v11, v46, v36, s[4:5]
	v_lshlrev_b32_e32 v33, 16, v32
	v_lshl_add_u32 v10, v10, 23, v57
	v_and_or_b32 v10, v33, s11, v10
	v_lshlrev_b32_e32 v11, 20, v11
	v_or_b32_e32 v37, v10, v11
	v_mov_b32_e32 v36, v47
.LBB249_673:                            ;   in Loop: Header=BB249_403 Depth=1
	s_or_b64 exec, exec, s[28:29]
.LBB249_674:                            ;   in Loop: Header=BB249_403 Depth=1
	s_or_b64 exec, exec, s[26:27]
.LBB249_675:                            ;   in Loop: Header=BB249_403 Depth=1
	s_or_b64 exec, exec, s[24:25]
	v_lshrrev_b32_e32 v48, 16, v32
	v_pk_mov_b32 v[10:11], 0, 0
	v_cmp_ne_u16_sdwa s[4:5], v48, v47 src0_sel:BYTE_0 src1_sel:DWORD
	v_pk_mov_b32 v[38:39], v[10:11], v[10:11] op_sel:[0,1]
	s_and_saveexec_b64 s[24:25], s[4:5]
	s_cbranch_execz .LBB249_681
; %bb.676:                              ;   in Loop: Header=BB249_403 Depth=1
	v_bfrev_b32_e32 v38, 1
	v_cmp_ne_u16_sdwa s[4:5], v48, s7 src0_sel:BYTE_0 src1_sel:DWORD
	v_mov_b32_e32 v39, 0
	s_and_saveexec_b64 s[26:27], s[4:5]
	s_cbranch_execz .LBB249_680
; %bb.677:                              ;   in Loop: Header=BB249_403 Depth=1
	v_bfe_u32 v33, v32, 16, 7
	v_mov_b32_e32 v38, 0x7f800001
	v_cmp_ne_u32_e64 s[4:5], s15, v33
	v_mov_b32_e32 v39, 0
	s_and_saveexec_b64 s[28:29], s[4:5]
	s_cbranch_execz .LBB249_679
; %bb.678:                              ;   in Loop: Header=BB249_403 Depth=1
	v_and_b32_e32 v49, 7, v48
	v_ffbh_u32_e32 v38, v49
	v_min_u32_e32 v51, 32, v38
	v_subrev_u32_e32 v38, 28, v51
	v_lshlrev_b64 v[38:39], v38, v[48:49]
	v_lshrrev_b32_e32 v50, 3, v33
	v_sub_u32_e32 v39, 29, v51
	v_and_b32_e32 v38, 7, v38
	v_cmp_gt_u32_e64 s[4:5], 8, v33
	v_cndmask_b32_e64 v33, v50, v39, s[4:5]
	v_cndmask_b32_e64 v38, v49, v38, s[4:5]
	v_lshlrev_b32_e32 v38, 20, v38
	v_and_b32_sdwa v39, sext(v48), s11 dst_sel:DWORD dst_unused:UNUSED_PAD src0_sel:BYTE_0 src1_sel:DWORD
	v_lshl_add_u32 v33, v33, 23, v57
	v_or3_b32 v46, v39, v33, v38
	v_pk_mov_b32 v[38:39], v[46:47], v[46:47] op_sel:[0,1]
.LBB249_679:                            ;   in Loop: Header=BB249_403 Depth=1
	s_or_b64 exec, exec, s[28:29]
.LBB249_680:                            ;   in Loop: Header=BB249_403 Depth=1
	s_or_b64 exec, exec, s[26:27]
.LBB249_681:                            ;   in Loop: Header=BB249_403 Depth=1
	s_or_b64 exec, exec, s[24:25]
	v_cmp_lt_u32_e64 s[4:5], s30, v32
	s_and_saveexec_b64 s[24:25], s[4:5]
	s_cbranch_execz .LBB249_687
; %bb.682:                              ;   in Loop: Header=BB249_403 Depth=1
	v_cmp_ne_u32_sdwa s[4:5], v32, s7 src0_sel:BYTE_3 src1_sel:DWORD
	v_pk_mov_b32 v[10:11], s[10:11], s[10:11] op_sel:[0,1]
	s_and_saveexec_b64 s[26:27], s[4:5]
	s_cbranch_execz .LBB249_686
; %bb.683:                              ;   in Loop: Header=BB249_403 Depth=1
	v_bfe_u32 v33, v32, 24, 7
	s_mov_b32 s22, s10
	v_cmp_ne_u32_e64 s[4:5], s15, v33
	v_pk_mov_b32 v[10:11], s[22:23], s[22:23] op_sel:[0,1]
	s_and_saveexec_b64 s[28:29], s[4:5]
	s_cbranch_execz .LBB249_685
; %bb.684:                              ;   in Loop: Header=BB249_403 Depth=1
	v_mov_b32_e32 v10, 7
	v_and_b32_sdwa v46, v32, v10 dst_sel:DWORD dst_unused:UNUSED_PAD src0_sel:BYTE_3 src1_sel:DWORD
	v_ffbh_u32_e32 v10, v46
	v_min_u32_e32 v49, 32, v10
	v_subrev_u32_e32 v10, 28, v49
	v_lshlrev_b64 v[10:11], v10, v[46:47]
	v_lshrrev_b32_e32 v48, 3, v33
	v_sub_u32_e32 v11, 29, v49
	v_cmp_gt_u32_e64 s[4:5], 8, v33
	v_and_b32_e32 v10, 7, v10
	v_cndmask_b32_e64 v11, v48, v11, s[4:5]
	v_mov_b32_e32 v33, 24
	v_cndmask_b32_e64 v10, v46, v10, s[4:5]
	v_lshlrev_b32_sdwa v32, v33, v32 dst_sel:DWORD dst_unused:UNUSED_PAD src0_sel:DWORD src1_sel:BYTE_3
	v_lshl_add_u32 v11, v11, 23, v57
	v_and_or_b32 v11, v32, s11, v11
	v_lshlrev_b32_e32 v10, 20, v10
	v_or_b32_e32 v11, v11, v10
	v_mov_b32_e32 v10, v47
.LBB249_685:                            ;   in Loop: Header=BB249_403 Depth=1
	s_or_b64 exec, exec, s[28:29]
.LBB249_686:                            ;   in Loop: Header=BB249_403 Depth=1
	s_or_b64 exec, exec, s[26:27]
.LBB249_687:                            ;   in Loop: Header=BB249_403 Depth=1
	s_or_b64 exec, exec, s[24:25]
	v_or_b32_e32 v33, v37, v35
	v_or_b32_e32 v32, v36, v34
	v_or_b32_e32 v11, v11, v39
	v_or_b32_e32 v10, v10, v38
	v_pk_mul_f32 v[32:33], v[24:25], v[32:33]
	v_pk_mul_f32 v[34:35], v[24:25], v[10:11]
	s_and_saveexec_b64 s[24:25], vcc
; %bb.688:                              ;   in Loop: Header=BB249_403 Depth=1
	v_accvgpr_read_b32 v10, a10
	v_cmp_lt_i32_e64 s[4:5], v10, v62
	v_accvgpr_read_b32 v10, a17
	v_cndmask_b32_e64 v32, 0, v32, s[4:5]
	v_cmp_lt_i32_e64 s[4:5], v10, v62
	v_accvgpr_read_b32 v10, a16
	v_cndmask_b32_e64 v33, 0, v33, s[4:5]
	v_cmp_lt_i32_e64 s[4:5], v10, v62
	v_cndmask_b32_e64 v34, 0, v34, s[4:5]
	v_cmp_lt_i32_e64 s[4:5], v56, v62
	v_cndmask_b32_e64 v35, 0, v35, s[4:5]
; %bb.689:                              ;   in Loop: Header=BB249_403 Depth=1
	s_or_b64 exec, exec, s[24:25]
	flat_load_dword v36, v[30:31] offset:2816
	v_pk_mov_b32 v[48:49], 0, 0
	v_pk_mov_b32 v[38:39], v[48:49], v[48:49] op_sel:[0,1]
	s_waitcnt vmcnt(0) lgkmcnt(0)
	v_cmp_ne_u16_sdwa s[4:5], v36, v47 src0_sel:BYTE_0 src1_sel:DWORD
	s_and_saveexec_b64 s[24:25], s[4:5]
	s_cbranch_execz .LBB249_695
; %bb.690:                              ;   in Loop: Header=BB249_403 Depth=1
	v_bfrev_b32_e32 v38, 1
	v_cmp_ne_u16_sdwa s[4:5], v36, s7 src0_sel:BYTE_0 src1_sel:DWORD
	v_mov_b32_e32 v39, 0
	s_and_saveexec_b64 s[26:27], s[4:5]
	s_cbranch_execz .LBB249_694
; %bb.691:                              ;   in Loop: Header=BB249_403 Depth=1
	v_and_b32_e32 v10, 0x7f, v36
	v_mov_b32_e32 v38, 0x7f800001
	v_cmp_ne_u32_e64 s[4:5], s15, v10
	v_mov_b32_e32 v39, 0
	s_and_saveexec_b64 s[28:29], s[4:5]
	s_cbranch_execz .LBB249_693
; %bb.692:                              ;   in Loop: Header=BB249_403 Depth=1
	v_and_b32_e32 v11, 7, v36
	v_ffbh_u32_e32 v38, v11
	v_min_u32_e32 v50, 32, v38
	v_lshrrev_b32_e32 v37, 3, v10
	v_subrev_u32_e32 v38, 28, v50
	v_lshlrev_b64 v[38:39], v38, v[36:37]
	v_sub_u32_e32 v39, 29, v50
	v_and_b32_e32 v38, 7, v38
	v_cmp_gt_u32_e64 s[4:5], 8, v10
	v_cndmask_b32_e64 v10, v37, v39, s[4:5]
	v_cndmask_b32_e64 v11, v11, v38, s[4:5]
	v_lshlrev_b32_e32 v11, 20, v11
	v_and_b32_sdwa v37, sext(v36), s11 dst_sel:DWORD dst_unused:UNUSED_PAD src0_sel:BYTE_0 src1_sel:DWORD
	v_lshl_add_u32 v10, v10, 23, v57
	v_or3_b32 v46, v37, v10, v11
	v_pk_mov_b32 v[38:39], v[46:47], v[46:47] op_sel:[0,1]
.LBB249_693:                            ;   in Loop: Header=BB249_403 Depth=1
	s_or_b64 exec, exec, s[28:29]
.LBB249_694:                            ;   in Loop: Header=BB249_403 Depth=1
	s_or_b64 exec, exec, s[26:27]
.LBB249_695:                            ;   in Loop: Header=BB249_403 Depth=1
	s_or_b64 exec, exec, s[24:25]
	v_cmp_ne_u16_sdwa s[4:5], v36, v47 src0_sel:BYTE_1 src1_sel:DWORD
	s_and_saveexec_b64 s[24:25], s[4:5]
	s_cbranch_execz .LBB249_701
; %bb.696:                              ;   in Loop: Header=BB249_403 Depth=1
	v_cmp_ne_u16_sdwa s[4:5], v36, s7 src0_sel:BYTE_1 src1_sel:DWORD
	v_pk_mov_b32 v[48:49], s[10:11], s[10:11] op_sel:[0,1]
	s_and_saveexec_b64 s[26:27], s[4:5]
	s_cbranch_execz .LBB249_700
; %bb.697:                              ;   in Loop: Header=BB249_403 Depth=1
	v_and_b32_sdwa v10, v36, s15 dst_sel:DWORD dst_unused:UNUSED_PAD src0_sel:BYTE_1 src1_sel:DWORD
	s_mov_b32 s22, s10
	v_cmp_ne_u32_e64 s[4:5], s15, v10
	v_pk_mov_b32 v[48:49], s[22:23], s[22:23] op_sel:[0,1]
	s_and_saveexec_b64 s[28:29], s[4:5]
	s_cbranch_execz .LBB249_699
; %bb.698:                              ;   in Loop: Header=BB249_403 Depth=1
	v_mov_b32_e32 v11, 7
	v_and_b32_sdwa v46, v36, v11 dst_sel:DWORD dst_unused:UNUSED_PAD src0_sel:BYTE_1 src1_sel:DWORD
	v_ffbh_u32_e32 v37, v46
	v_min_u32_e32 v37, 32, v37
	v_subrev_u32_e32 v48, 28, v37
	v_lshrrev_b32_e32 v11, 3, v10
	v_lshlrev_b64 v[48:49], v48, v[46:47]
	v_sub_u32_e32 v37, 29, v37
	v_cmp_gt_u32_e64 s[4:5], 8, v10
	v_and_b32_e32 v48, 7, v48
	v_cndmask_b32_e64 v10, v11, v37, s[4:5]
	v_cndmask_b32_e64 v11, v46, v48, s[4:5]
	v_lshlrev_b32_e32 v37, 16, v36
	v_lshl_add_u32 v10, v10, 23, v57
	v_and_or_b32 v10, v37, s11, v10
	v_lshlrev_b32_e32 v11, 20, v11
	v_or_b32_e32 v49, v10, v11
	v_mov_b32_e32 v48, v47
.LBB249_699:                            ;   in Loop: Header=BB249_403 Depth=1
	s_or_b64 exec, exec, s[28:29]
.LBB249_700:                            ;   in Loop: Header=BB249_403 Depth=1
	s_or_b64 exec, exec, s[26:27]
.LBB249_701:                            ;   in Loop: Header=BB249_403 Depth=1
	s_or_b64 exec, exec, s[24:25]
	v_lshrrev_b32_e32 v52, 16, v36
	v_pk_mov_b32 v[10:11], 0, 0
	v_cmp_ne_u16_sdwa s[4:5], v52, v47 src0_sel:BYTE_0 src1_sel:DWORD
	v_pk_mov_b32 v[50:51], v[10:11], v[10:11] op_sel:[0,1]
	s_and_saveexec_b64 s[24:25], s[4:5]
	s_cbranch_execz .LBB249_707
; %bb.702:                              ;   in Loop: Header=BB249_403 Depth=1
	v_bfrev_b32_e32 v50, 1
	v_cmp_ne_u16_sdwa s[4:5], v52, s7 src0_sel:BYTE_0 src1_sel:DWORD
	v_mov_b32_e32 v51, 0
	s_and_saveexec_b64 s[26:27], s[4:5]
	s_cbranch_execz .LBB249_706
; %bb.703:                              ;   in Loop: Header=BB249_403 Depth=1
	v_bfe_u32 v37, v36, 16, 7
	v_mov_b32_e32 v50, 0x7f800001
	v_cmp_ne_u32_e64 s[4:5], s15, v37
	v_mov_b32_e32 v51, 0
	s_and_saveexec_b64 s[28:29], s[4:5]
	s_cbranch_execz .LBB249_705
; %bb.704:                              ;   in Loop: Header=BB249_403 Depth=1
	v_and_b32_e32 v53, 7, v52
	v_ffbh_u32_e32 v50, v53
	v_min_u32_e32 v55, 32, v50
	v_subrev_u32_e32 v50, 28, v55
	v_lshlrev_b64 v[50:51], v50, v[52:53]
	v_lshrrev_b32_e32 v54, 3, v37
	v_sub_u32_e32 v51, 29, v55
	v_and_b32_e32 v50, 7, v50
	v_cmp_gt_u32_e64 s[4:5], 8, v37
	v_cndmask_b32_e64 v37, v54, v51, s[4:5]
	v_cndmask_b32_e64 v50, v53, v50, s[4:5]
	v_lshlrev_b32_e32 v50, 20, v50
	v_and_b32_sdwa v51, sext(v52), s11 dst_sel:DWORD dst_unused:UNUSED_PAD src0_sel:BYTE_0 src1_sel:DWORD
	v_lshl_add_u32 v37, v37, 23, v57
	v_or3_b32 v46, v51, v37, v50
	v_pk_mov_b32 v[50:51], v[46:47], v[46:47] op_sel:[0,1]
.LBB249_705:                            ;   in Loop: Header=BB249_403 Depth=1
	s_or_b64 exec, exec, s[28:29]
.LBB249_706:                            ;   in Loop: Header=BB249_403 Depth=1
	s_or_b64 exec, exec, s[26:27]
.LBB249_707:                            ;   in Loop: Header=BB249_403 Depth=1
	s_or_b64 exec, exec, s[24:25]
	v_cmp_lt_u32_e64 s[4:5], s30, v36
	s_and_saveexec_b64 s[24:25], s[4:5]
	s_cbranch_execz .LBB249_713
; %bb.708:                              ;   in Loop: Header=BB249_403 Depth=1
	v_cmp_ne_u32_sdwa s[4:5], v36, s7 src0_sel:BYTE_3 src1_sel:DWORD
	v_pk_mov_b32 v[10:11], s[10:11], s[10:11] op_sel:[0,1]
	s_and_saveexec_b64 s[26:27], s[4:5]
	s_cbranch_execz .LBB249_712
; %bb.709:                              ;   in Loop: Header=BB249_403 Depth=1
	v_bfe_u32 v37, v36, 24, 7
	s_mov_b32 s22, s10
	v_cmp_ne_u32_e64 s[4:5], s15, v37
	v_pk_mov_b32 v[10:11], s[22:23], s[22:23] op_sel:[0,1]
	s_and_saveexec_b64 s[28:29], s[4:5]
	s_cbranch_execz .LBB249_711
; %bb.710:                              ;   in Loop: Header=BB249_403 Depth=1
	v_mov_b32_e32 v10, 7
	v_and_b32_sdwa v46, v36, v10 dst_sel:DWORD dst_unused:UNUSED_PAD src0_sel:BYTE_3 src1_sel:DWORD
	v_ffbh_u32_e32 v10, v46
	v_min_u32_e32 v53, 32, v10
	v_subrev_u32_e32 v10, 28, v53
	v_lshlrev_b64 v[10:11], v10, v[46:47]
	v_lshrrev_b32_e32 v52, 3, v37
	v_sub_u32_e32 v11, 29, v53
	v_cmp_gt_u32_e64 s[4:5], 8, v37
	v_and_b32_e32 v10, 7, v10
	v_cndmask_b32_e64 v11, v52, v11, s[4:5]
	v_mov_b32_e32 v37, 24
	v_cndmask_b32_e64 v10, v46, v10, s[4:5]
	v_lshlrev_b32_sdwa v36, v37, v36 dst_sel:DWORD dst_unused:UNUSED_PAD src0_sel:DWORD src1_sel:BYTE_3
	v_lshl_add_u32 v11, v11, 23, v57
	v_and_or_b32 v11, v36, s11, v11
	v_lshlrev_b32_e32 v10, 20, v10
	v_or_b32_e32 v11, v11, v10
	v_mov_b32_e32 v10, v47
.LBB249_711:                            ;   in Loop: Header=BB249_403 Depth=1
	s_or_b64 exec, exec, s[28:29]
.LBB249_712:                            ;   in Loop: Header=BB249_403 Depth=1
	s_or_b64 exec, exec, s[26:27]
.LBB249_713:                            ;   in Loop: Header=BB249_403 Depth=1
	s_or_b64 exec, exec, s[24:25]
	v_or_b32_e32 v37, v49, v39
	v_or_b32_e32 v36, v48, v38
	;; [unrolled: 1-line block ×4, first 2 shown]
	v_pk_mul_f32 v[36:37], v[24:25], v[36:37]
	v_pk_mul_f32 v[38:39], v[24:25], v[10:11]
	s_and_saveexec_b64 s[24:25], vcc
; %bb.714:                              ;   in Loop: Header=BB249_403 Depth=1
	v_accvgpr_read_b32 v10, a10
	v_cmp_lt_i32_e64 s[4:5], v10, v62
	v_accvgpr_read_b32 v10, a17
	v_cndmask_b32_e64 v36, 0, v36, s[4:5]
	v_cmp_lt_i32_e64 s[4:5], v10, v62
	v_accvgpr_read_b32 v10, a16
	v_cndmask_b32_e64 v37, 0, v37, s[4:5]
	v_cmp_lt_i32_e64 s[4:5], v10, v62
	v_cndmask_b32_e64 v38, 0, v38, s[4:5]
	v_cmp_lt_i32_e64 s[4:5], v56, v62
	v_cndmask_b32_e64 v39, 0, v39, s[4:5]
; %bb.715:                              ;   in Loop: Header=BB249_403 Depth=1
	s_or_b64 exec, exec, s[24:25]
	flat_load_dword v48, v[30:31] offset:3072
	v_pk_mov_b32 v[52:53], 0, 0
	v_pk_mov_b32 v[50:51], v[52:53], v[52:53] op_sel:[0,1]
	s_waitcnt vmcnt(0) lgkmcnt(0)
	v_cmp_ne_u16_sdwa s[4:5], v48, v47 src0_sel:BYTE_0 src1_sel:DWORD
	s_and_saveexec_b64 s[24:25], s[4:5]
	s_cbranch_execz .LBB249_721
; %bb.716:                              ;   in Loop: Header=BB249_403 Depth=1
	v_bfrev_b32_e32 v50, 1
	v_cmp_ne_u16_sdwa s[4:5], v48, s7 src0_sel:BYTE_0 src1_sel:DWORD
	v_mov_b32_e32 v51, 0
	s_and_saveexec_b64 s[26:27], s[4:5]
	s_cbranch_execz .LBB249_720
; %bb.717:                              ;   in Loop: Header=BB249_403 Depth=1
	v_and_b32_e32 v10, 0x7f, v48
	v_mov_b32_e32 v50, 0x7f800001
	v_cmp_ne_u32_e64 s[4:5], s15, v10
	v_mov_b32_e32 v51, 0
	s_and_saveexec_b64 s[28:29], s[4:5]
	s_cbranch_execz .LBB249_719
; %bb.718:                              ;   in Loop: Header=BB249_403 Depth=1
	v_and_b32_e32 v11, 7, v48
	v_ffbh_u32_e32 v50, v11
	v_min_u32_e32 v54, 32, v50
	v_lshrrev_b32_e32 v49, 3, v10
	v_subrev_u32_e32 v50, 28, v54
	v_lshlrev_b64 v[50:51], v50, v[48:49]
	v_sub_u32_e32 v51, 29, v54
	v_and_b32_e32 v50, 7, v50
	v_cmp_gt_u32_e64 s[4:5], 8, v10
	v_cndmask_b32_e64 v10, v49, v51, s[4:5]
	v_cndmask_b32_e64 v11, v11, v50, s[4:5]
	v_lshlrev_b32_e32 v11, 20, v11
	v_and_b32_sdwa v49, sext(v48), s11 dst_sel:DWORD dst_unused:UNUSED_PAD src0_sel:BYTE_0 src1_sel:DWORD
	v_lshl_add_u32 v10, v10, 23, v57
	v_or3_b32 v46, v49, v10, v11
	v_pk_mov_b32 v[50:51], v[46:47], v[46:47] op_sel:[0,1]
.LBB249_719:                            ;   in Loop: Header=BB249_403 Depth=1
	s_or_b64 exec, exec, s[28:29]
.LBB249_720:                            ;   in Loop: Header=BB249_403 Depth=1
	s_or_b64 exec, exec, s[26:27]
.LBB249_721:                            ;   in Loop: Header=BB249_403 Depth=1
	s_or_b64 exec, exec, s[24:25]
	v_cmp_ne_u16_sdwa s[4:5], v48, v47 src0_sel:BYTE_1 src1_sel:DWORD
	s_and_saveexec_b64 s[24:25], s[4:5]
	s_cbranch_execz .LBB249_727
; %bb.722:                              ;   in Loop: Header=BB249_403 Depth=1
	v_cmp_ne_u16_sdwa s[4:5], v48, s7 src0_sel:BYTE_1 src1_sel:DWORD
	v_pk_mov_b32 v[52:53], s[10:11], s[10:11] op_sel:[0,1]
	s_and_saveexec_b64 s[26:27], s[4:5]
	s_cbranch_execz .LBB249_726
; %bb.723:                              ;   in Loop: Header=BB249_403 Depth=1
	v_and_b32_sdwa v10, v48, s15 dst_sel:DWORD dst_unused:UNUSED_PAD src0_sel:BYTE_1 src1_sel:DWORD
	s_mov_b32 s22, s10
	v_cmp_ne_u32_e64 s[4:5], s15, v10
	v_pk_mov_b32 v[52:53], s[22:23], s[22:23] op_sel:[0,1]
	s_and_saveexec_b64 s[28:29], s[4:5]
	s_cbranch_execz .LBB249_725
; %bb.724:                              ;   in Loop: Header=BB249_403 Depth=1
	v_mov_b32_e32 v11, 7
	v_and_b32_sdwa v46, v48, v11 dst_sel:DWORD dst_unused:UNUSED_PAD src0_sel:BYTE_1 src1_sel:DWORD
	v_ffbh_u32_e32 v49, v46
	v_min_u32_e32 v49, 32, v49
	v_subrev_u32_e32 v52, 28, v49
	v_lshrrev_b32_e32 v11, 3, v10
	v_lshlrev_b64 v[52:53], v52, v[46:47]
	v_sub_u32_e32 v49, 29, v49
	v_cmp_gt_u32_e64 s[4:5], 8, v10
	v_and_b32_e32 v52, 7, v52
	v_cndmask_b32_e64 v10, v11, v49, s[4:5]
	v_cndmask_b32_e64 v11, v46, v52, s[4:5]
	v_lshlrev_b32_e32 v49, 16, v48
	v_lshl_add_u32 v10, v10, 23, v57
	v_and_or_b32 v10, v49, s11, v10
	v_lshlrev_b32_e32 v11, 20, v11
	v_or_b32_e32 v53, v10, v11
	v_mov_b32_e32 v52, v47
.LBB249_725:                            ;   in Loop: Header=BB249_403 Depth=1
	s_or_b64 exec, exec, s[28:29]
.LBB249_726:                            ;   in Loop: Header=BB249_403 Depth=1
	s_or_b64 exec, exec, s[26:27]
.LBB249_727:                            ;   in Loop: Header=BB249_403 Depth=1
	s_or_b64 exec, exec, s[24:25]
	v_lshrrev_b32_e32 v40, 16, v48
	v_pk_mov_b32 v[10:11], 0, 0
	v_cmp_ne_u16_sdwa s[4:5], v40, v47 src0_sel:BYTE_0 src1_sel:DWORD
	v_pk_mov_b32 v[54:55], v[10:11], v[10:11] op_sel:[0,1]
	s_and_saveexec_b64 s[24:25], s[4:5]
	s_cbranch_execz .LBB249_733
; %bb.728:                              ;   in Loop: Header=BB249_403 Depth=1
	v_bfrev_b32_e32 v54, 1
	v_cmp_ne_u16_sdwa s[4:5], v40, s7 src0_sel:BYTE_0 src1_sel:DWORD
	v_mov_b32_e32 v55, 0
	s_and_saveexec_b64 s[26:27], s[4:5]
	s_cbranch_execz .LBB249_732
; %bb.729:                              ;   in Loop: Header=BB249_403 Depth=1
	v_bfe_u32 v49, v48, 16, 7
	v_mov_b32_e32 v54, 0x7f800001
	v_cmp_ne_u32_e64 s[4:5], s15, v49
	v_mov_b32_e32 v55, 0
	s_and_saveexec_b64 s[28:29], s[4:5]
	s_cbranch_execz .LBB249_731
; %bb.730:                              ;   in Loop: Header=BB249_403 Depth=1
	v_and_b32_e32 v41, 7, v40
	v_ffbh_u32_e32 v54, v41
	v_min_u32_e32 v43, 32, v54
	v_subrev_u32_e32 v54, 28, v43
	v_lshlrev_b64 v[54:55], v54, v[40:41]
	v_lshrrev_b32_e32 v42, 3, v49
	v_sub_u32_e32 v55, 29, v43
	v_and_b32_e32 v54, 7, v54
	v_cmp_gt_u32_e64 s[4:5], 8, v49
	v_cndmask_b32_e64 v49, v42, v55, s[4:5]
	v_cndmask_b32_e64 v54, v41, v54, s[4:5]
	v_lshlrev_b32_e32 v54, 20, v54
	v_and_b32_sdwa v55, sext(v40), s11 dst_sel:DWORD dst_unused:UNUSED_PAD src0_sel:BYTE_0 src1_sel:DWORD
	v_lshl_add_u32 v49, v49, 23, v57
	v_or3_b32 v46, v55, v49, v54
	v_pk_mov_b32 v[54:55], v[46:47], v[46:47] op_sel:[0,1]
.LBB249_731:                            ;   in Loop: Header=BB249_403 Depth=1
	s_or_b64 exec, exec, s[28:29]
.LBB249_732:                            ;   in Loop: Header=BB249_403 Depth=1
	s_or_b64 exec, exec, s[26:27]
.LBB249_733:                            ;   in Loop: Header=BB249_403 Depth=1
	s_or_b64 exec, exec, s[24:25]
	v_cmp_lt_u32_e64 s[4:5], s30, v48
	s_and_saveexec_b64 s[24:25], s[4:5]
	s_cbranch_execz .LBB249_739
; %bb.734:                              ;   in Loop: Header=BB249_403 Depth=1
	v_cmp_ne_u32_sdwa s[4:5], v48, s7 src0_sel:BYTE_3 src1_sel:DWORD
	v_pk_mov_b32 v[10:11], s[10:11], s[10:11] op_sel:[0,1]
	s_and_saveexec_b64 s[26:27], s[4:5]
	s_cbranch_execz .LBB249_738
; %bb.735:                              ;   in Loop: Header=BB249_403 Depth=1
	v_bfe_u32 v49, v48, 24, 7
	s_mov_b32 s22, s10
	v_cmp_ne_u32_e64 s[4:5], s15, v49
	v_pk_mov_b32 v[10:11], s[22:23], s[22:23] op_sel:[0,1]
	s_and_saveexec_b64 s[28:29], s[4:5]
	s_cbranch_execz .LBB249_737
; %bb.736:                              ;   in Loop: Header=BB249_403 Depth=1
	v_mov_b32_e32 v10, 7
	v_and_b32_sdwa v46, v48, v10 dst_sel:DWORD dst_unused:UNUSED_PAD src0_sel:BYTE_3 src1_sel:DWORD
	v_ffbh_u32_e32 v10, v46
	v_min_u32_e32 v41, 32, v10
	v_subrev_u32_e32 v10, 28, v41
	v_lshlrev_b64 v[10:11], v10, v[46:47]
	v_lshrrev_b32_e32 v40, 3, v49
	v_sub_u32_e32 v11, 29, v41
	v_cmp_gt_u32_e64 s[4:5], 8, v49
	v_and_b32_e32 v10, 7, v10
	v_cndmask_b32_e64 v11, v40, v11, s[4:5]
	v_mov_b32_e32 v49, 24
	v_cndmask_b32_e64 v10, v46, v10, s[4:5]
	v_lshlrev_b32_sdwa v48, v49, v48 dst_sel:DWORD dst_unused:UNUSED_PAD src0_sel:DWORD src1_sel:BYTE_3
	v_lshl_add_u32 v11, v11, 23, v57
	v_and_or_b32 v11, v48, s11, v11
	v_lshlrev_b32_e32 v10, 20, v10
	v_or_b32_e32 v11, v11, v10
	v_mov_b32_e32 v10, v47
.LBB249_737:                            ;   in Loop: Header=BB249_403 Depth=1
	s_or_b64 exec, exec, s[28:29]
.LBB249_738:                            ;   in Loop: Header=BB249_403 Depth=1
	s_or_b64 exec, exec, s[26:27]
.LBB249_739:                            ;   in Loop: Header=BB249_403 Depth=1
	s_or_b64 exec, exec, s[24:25]
	v_or_b32_e32 v49, v53, v51
	v_or_b32_e32 v48, v52, v50
	;; [unrolled: 1-line block ×4, first 2 shown]
	v_pk_mul_f32 v[48:49], v[24:25], v[48:49]
	v_pk_mul_f32 v[50:51], v[24:25], v[10:11]
	s_and_saveexec_b64 s[24:25], vcc
; %bb.740:                              ;   in Loop: Header=BB249_403 Depth=1
	v_accvgpr_read_b32 v10, a10
	v_cmp_lt_i32_e64 s[4:5], v10, v62
	v_accvgpr_read_b32 v10, a17
	v_cndmask_b32_e64 v48, 0, v48, s[4:5]
	v_cmp_lt_i32_e64 s[4:5], v10, v62
	v_accvgpr_read_b32 v10, a16
	v_cndmask_b32_e64 v49, 0, v49, s[4:5]
	v_cmp_lt_i32_e64 s[4:5], v10, v62
	v_cndmask_b32_e64 v50, 0, v50, s[4:5]
	v_cmp_lt_i32_e64 s[4:5], v56, v62
	v_cndmask_b32_e64 v51, 0, v51, s[4:5]
; %bb.741:                              ;   in Loop: Header=BB249_403 Depth=1
	s_or_b64 exec, exec, s[24:25]
	flat_load_dword v52, v[30:31] offset:3328
	v_pk_mov_b32 v[54:55], 0, 0
	v_pk_mov_b32 v[40:41], v[54:55], v[54:55] op_sel:[0,1]
	s_waitcnt vmcnt(0) lgkmcnt(0)
	v_cmp_ne_u16_sdwa s[4:5], v52, v47 src0_sel:BYTE_0 src1_sel:DWORD
	s_and_saveexec_b64 s[24:25], s[4:5]
	s_cbranch_execz .LBB249_747
; %bb.742:                              ;   in Loop: Header=BB249_403 Depth=1
	v_bfrev_b32_e32 v40, 1
	v_cmp_ne_u16_sdwa s[4:5], v52, s7 src0_sel:BYTE_0 src1_sel:DWORD
	v_mov_b32_e32 v41, 0
	s_and_saveexec_b64 s[26:27], s[4:5]
	s_cbranch_execz .LBB249_746
; %bb.743:                              ;   in Loop: Header=BB249_403 Depth=1
	v_and_b32_e32 v10, 0x7f, v52
	v_mov_b32_e32 v40, 0x7f800001
	v_cmp_ne_u32_e64 s[4:5], s15, v10
	v_mov_b32_e32 v41, 0
	s_and_saveexec_b64 s[28:29], s[4:5]
	s_cbranch_execz .LBB249_745
; %bb.744:                              ;   in Loop: Header=BB249_403 Depth=1
	v_and_b32_e32 v11, 7, v52
	v_ffbh_u32_e32 v40, v11
	v_min_u32_e32 v42, 32, v40
	v_lshrrev_b32_e32 v53, 3, v10
	v_subrev_u32_e32 v40, 28, v42
	v_lshlrev_b64 v[40:41], v40, v[52:53]
	v_sub_u32_e32 v41, 29, v42
	v_and_b32_e32 v40, 7, v40
	v_cmp_gt_u32_e64 s[4:5], 8, v10
	v_cndmask_b32_e64 v10, v53, v41, s[4:5]
	v_cndmask_b32_e64 v11, v11, v40, s[4:5]
	v_lshlrev_b32_e32 v11, 20, v11
	v_and_b32_sdwa v53, sext(v52), s11 dst_sel:DWORD dst_unused:UNUSED_PAD src0_sel:BYTE_0 src1_sel:DWORD
	v_lshl_add_u32 v10, v10, 23, v57
	v_or3_b32 v46, v53, v10, v11
	v_pk_mov_b32 v[40:41], v[46:47], v[46:47] op_sel:[0,1]
.LBB249_745:                            ;   in Loop: Header=BB249_403 Depth=1
	s_or_b64 exec, exec, s[28:29]
.LBB249_746:                            ;   in Loop: Header=BB249_403 Depth=1
	s_or_b64 exec, exec, s[26:27]
.LBB249_747:                            ;   in Loop: Header=BB249_403 Depth=1
	s_or_b64 exec, exec, s[24:25]
	v_cmp_ne_u16_sdwa s[4:5], v52, v47 src0_sel:BYTE_1 src1_sel:DWORD
	s_and_saveexec_b64 s[24:25], s[4:5]
	s_cbranch_execz .LBB249_753
; %bb.748:                              ;   in Loop: Header=BB249_403 Depth=1
	v_cmp_ne_u16_sdwa s[4:5], v52, s7 src0_sel:BYTE_1 src1_sel:DWORD
	v_pk_mov_b32 v[54:55], s[10:11], s[10:11] op_sel:[0,1]
	s_and_saveexec_b64 s[26:27], s[4:5]
	s_cbranch_execz .LBB249_752
; %bb.749:                              ;   in Loop: Header=BB249_403 Depth=1
	v_and_b32_sdwa v10, v52, s15 dst_sel:DWORD dst_unused:UNUSED_PAD src0_sel:BYTE_1 src1_sel:DWORD
	s_mov_b32 s22, s10
	v_cmp_ne_u32_e64 s[4:5], s15, v10
	v_pk_mov_b32 v[54:55], s[22:23], s[22:23] op_sel:[0,1]
	s_and_saveexec_b64 s[28:29], s[4:5]
	s_cbranch_execz .LBB249_751
; %bb.750:                              ;   in Loop: Header=BB249_403 Depth=1
	v_mov_b32_e32 v11, 7
	v_and_b32_sdwa v46, v52, v11 dst_sel:DWORD dst_unused:UNUSED_PAD src0_sel:BYTE_1 src1_sel:DWORD
	v_ffbh_u32_e32 v53, v46
	v_min_u32_e32 v53, 32, v53
	v_subrev_u32_e32 v54, 28, v53
	v_lshrrev_b32_e32 v11, 3, v10
	v_lshlrev_b64 v[54:55], v54, v[46:47]
	v_sub_u32_e32 v53, 29, v53
	v_cmp_gt_u32_e64 s[4:5], 8, v10
	v_and_b32_e32 v54, 7, v54
	v_cndmask_b32_e64 v10, v11, v53, s[4:5]
	v_cndmask_b32_e64 v11, v46, v54, s[4:5]
	v_lshlrev_b32_e32 v53, 16, v52
	v_lshl_add_u32 v10, v10, 23, v57
	v_and_or_b32 v10, v53, s11, v10
	v_lshlrev_b32_e32 v11, 20, v11
	v_or_b32_e32 v55, v10, v11
	v_mov_b32_e32 v54, v47
.LBB249_751:                            ;   in Loop: Header=BB249_403 Depth=1
	s_or_b64 exec, exec, s[28:29]
.LBB249_752:                            ;   in Loop: Header=BB249_403 Depth=1
	s_or_b64 exec, exec, s[26:27]
.LBB249_753:                            ;   in Loop: Header=BB249_403 Depth=1
	s_or_b64 exec, exec, s[24:25]
	v_lshrrev_b32_e32 v44, 16, v52
	v_pk_mov_b32 v[10:11], 0, 0
	v_cmp_ne_u16_sdwa s[4:5], v44, v47 src0_sel:BYTE_0 src1_sel:DWORD
	v_pk_mov_b32 v[42:43], v[10:11], v[10:11] op_sel:[0,1]
	s_and_saveexec_b64 s[24:25], s[4:5]
	s_cbranch_execz .LBB249_759
; %bb.754:                              ;   in Loop: Header=BB249_403 Depth=1
	v_bfrev_b32_e32 v42, 1
	v_cmp_ne_u16_sdwa s[4:5], v44, s7 src0_sel:BYTE_0 src1_sel:DWORD
	v_mov_b32_e32 v43, 0
	s_and_saveexec_b64 s[26:27], s[4:5]
	s_cbranch_execz .LBB249_758
; %bb.755:                              ;   in Loop: Header=BB249_403 Depth=1
	v_bfe_u32 v53, v52, 16, 7
	v_mov_b32_e32 v42, 0x7f800001
	v_cmp_ne_u32_e64 s[4:5], s15, v53
	v_mov_b32_e32 v43, 0
	s_and_saveexec_b64 s[28:29], s[4:5]
	s_cbranch_execz .LBB249_757
; %bb.756:                              ;   in Loop: Header=BB249_403 Depth=1
	v_and_b32_e32 v45, 7, v44
	v_ffbh_u32_e32 v42, v45
	v_min_u32_e32 v57, 32, v42
	v_subrev_u32_e32 v42, 28, v57
	v_lshlrev_b64 v[42:43], v42, v[44:45]
	v_lshrrev_b32_e32 v46, 3, v53
	v_sub_u32_e32 v43, 29, v57
	v_and_b32_e32 v42, 7, v42
	v_cmp_gt_u32_e64 s[4:5], 8, v53
	v_bfrev_b32_e32 v57, 60
	v_cndmask_b32_e64 v53, v46, v43, s[4:5]
	v_cndmask_b32_e64 v42, v45, v42, s[4:5]
	v_lshlrev_b32_e32 v42, 20, v42
	v_and_b32_sdwa v43, sext(v44), s11 dst_sel:DWORD dst_unused:UNUSED_PAD src0_sel:BYTE_0 src1_sel:DWORD
	v_lshl_add_u32 v53, v53, 23, v57
	v_or3_b32 v46, v43, v53, v42
	v_pk_mov_b32 v[42:43], v[46:47], v[46:47] op_sel:[0,1]
.LBB249_757:                            ;   in Loop: Header=BB249_403 Depth=1
	s_or_b64 exec, exec, s[28:29]
.LBB249_758:                            ;   in Loop: Header=BB249_403 Depth=1
	s_or_b64 exec, exec, s[26:27]
.LBB249_759:                            ;   in Loop: Header=BB249_403 Depth=1
	s_or_b64 exec, exec, s[24:25]
	v_cmp_lt_u32_e64 s[4:5], s30, v52
	s_and_saveexec_b64 s[24:25], s[4:5]
	s_cbranch_execz .LBB249_765
; %bb.760:                              ;   in Loop: Header=BB249_403 Depth=1
	v_cmp_ne_u32_sdwa s[4:5], v52, s7 src0_sel:BYTE_3 src1_sel:DWORD
	v_pk_mov_b32 v[10:11], s[10:11], s[10:11] op_sel:[0,1]
	s_and_saveexec_b64 s[26:27], s[4:5]
	s_cbranch_execz .LBB249_764
; %bb.761:                              ;   in Loop: Header=BB249_403 Depth=1
	v_bfe_u32 v53, v52, 24, 7
	s_mov_b32 s22, s10
	v_cmp_ne_u32_e64 s[4:5], s15, v53
	v_pk_mov_b32 v[10:11], s[22:23], s[22:23] op_sel:[0,1]
	s_and_saveexec_b64 s[28:29], s[4:5]
	s_cbranch_execz .LBB249_763
; %bb.762:                              ;   in Loop: Header=BB249_403 Depth=1
	v_mov_b32_e32 v10, 7
	v_and_b32_sdwa v46, v52, v10 dst_sel:DWORD dst_unused:UNUSED_PAD src0_sel:BYTE_3 src1_sel:DWORD
	v_ffbh_u32_e32 v10, v46
	v_min_u32_e32 v45, 32, v10
	v_subrev_u32_e32 v10, 28, v45
	v_lshlrev_b64 v[10:11], v10, v[46:47]
	v_lshrrev_b32_e32 v44, 3, v53
	v_sub_u32_e32 v11, 29, v45
	v_cmp_gt_u32_e64 s[4:5], 8, v53
	v_and_b32_e32 v10, 7, v10
	v_cndmask_b32_e64 v11, v44, v11, s[4:5]
	v_mov_b32_e32 v53, 24
	v_cndmask_b32_e64 v10, v46, v10, s[4:5]
	v_lshlrev_b32_sdwa v52, v53, v52 dst_sel:DWORD dst_unused:UNUSED_PAD src0_sel:DWORD src1_sel:BYTE_3
	v_lshl_add_u32 v11, v11, 23, v57
	v_and_or_b32 v11, v52, s11, v11
	v_lshlrev_b32_e32 v10, 20, v10
	v_or_b32_e32 v11, v11, v10
	v_mov_b32_e32 v10, v47
.LBB249_763:                            ;   in Loop: Header=BB249_403 Depth=1
	s_or_b64 exec, exec, s[28:29]
.LBB249_764:                            ;   in Loop: Header=BB249_403 Depth=1
	s_or_b64 exec, exec, s[26:27]
.LBB249_765:                            ;   in Loop: Header=BB249_403 Depth=1
	s_or_b64 exec, exec, s[24:25]
	v_or_b32_e32 v53, v55, v41
	v_or_b32_e32 v52, v54, v40
	;; [unrolled: 1-line block ×4, first 2 shown]
	v_pk_mul_f32 v[52:53], v[24:25], v[52:53]
	v_pk_mul_f32 v[54:55], v[24:25], v[10:11]
	s_and_saveexec_b64 s[24:25], vcc
; %bb.766:                              ;   in Loop: Header=BB249_403 Depth=1
	v_accvgpr_read_b32 v10, a10
	v_cmp_lt_i32_e64 s[4:5], v10, v62
	v_accvgpr_read_b32 v10, a17
	v_cndmask_b32_e64 v52, 0, v52, s[4:5]
	v_cmp_lt_i32_e64 s[4:5], v10, v62
	v_accvgpr_read_b32 v10, a16
	v_cndmask_b32_e64 v53, 0, v53, s[4:5]
	v_cmp_lt_i32_e64 s[4:5], v10, v62
	v_cndmask_b32_e64 v54, 0, v54, s[4:5]
	v_cmp_lt_i32_e64 s[4:5], v56, v62
	v_cndmask_b32_e64 v55, 0, v55, s[4:5]
; %bb.767:                              ;   in Loop: Header=BB249_403 Depth=1
	s_or_b64 exec, exec, s[24:25]
	flat_load_dword v30, v[30:31] offset:3584
	v_pk_mov_b32 v[40:41], 0, 0
	v_pk_mov_b32 v[42:43], v[40:41], v[40:41] op_sel:[0,1]
	s_waitcnt vmcnt(0) lgkmcnt(0)
	v_cmp_ne_u16_sdwa s[4:5], v30, v47 src0_sel:BYTE_0 src1_sel:DWORD
	s_and_saveexec_b64 s[24:25], s[4:5]
	s_cbranch_execz .LBB249_773
; %bb.768:                              ;   in Loop: Header=BB249_403 Depth=1
	v_bfrev_b32_e32 v42, 1
	v_cmp_ne_u16_sdwa s[4:5], v30, s7 src0_sel:BYTE_0 src1_sel:DWORD
	v_mov_b32_e32 v43, 0
	s_and_saveexec_b64 s[26:27], s[4:5]
	s_cbranch_execz .LBB249_772
; %bb.769:                              ;   in Loop: Header=BB249_403 Depth=1
	v_and_b32_e32 v10, 0x7f, v30
	v_mov_b32_e32 v42, 0x7f800001
	v_cmp_ne_u32_e64 s[4:5], s15, v10
	v_mov_b32_e32 v43, 0
	s_and_saveexec_b64 s[28:29], s[4:5]
	s_cbranch_execz .LBB249_771
; %bb.770:                              ;   in Loop: Header=BB249_403 Depth=1
	v_and_b32_e32 v11, 7, v30
	v_ffbh_u32_e32 v42, v11
	v_min_u32_e32 v44, 32, v42
	v_lshrrev_b32_e32 v31, 3, v10
	v_subrev_u32_e32 v42, 28, v44
	v_lshlrev_b64 v[42:43], v42, v[30:31]
	v_sub_u32_e32 v43, 29, v44
	v_and_b32_e32 v42, 7, v42
	v_cmp_gt_u32_e64 s[4:5], 8, v10
	v_cndmask_b32_e64 v10, v31, v43, s[4:5]
	v_cndmask_b32_e64 v11, v11, v42, s[4:5]
	v_lshlrev_b32_e32 v11, 20, v11
	v_and_b32_sdwa v31, sext(v30), s11 dst_sel:DWORD dst_unused:UNUSED_PAD src0_sel:BYTE_0 src1_sel:DWORD
	v_lshl_add_u32 v10, v10, 23, v57
	v_or3_b32 v46, v31, v10, v11
	v_pk_mov_b32 v[42:43], v[46:47], v[46:47] op_sel:[0,1]
.LBB249_771:                            ;   in Loop: Header=BB249_403 Depth=1
	s_or_b64 exec, exec, s[28:29]
.LBB249_772:                            ;   in Loop: Header=BB249_403 Depth=1
	s_or_b64 exec, exec, s[26:27]
.LBB249_773:                            ;   in Loop: Header=BB249_403 Depth=1
	s_or_b64 exec, exec, s[24:25]
	v_cmp_ne_u16_sdwa s[4:5], v30, v47 src0_sel:BYTE_1 src1_sel:DWORD
	s_and_saveexec_b64 s[24:25], s[4:5]
	s_cbranch_execz .LBB249_779
; %bb.774:                              ;   in Loop: Header=BB249_403 Depth=1
	v_cmp_ne_u16_sdwa s[4:5], v30, s7 src0_sel:BYTE_1 src1_sel:DWORD
	v_pk_mov_b32 v[40:41], s[10:11], s[10:11] op_sel:[0,1]
	s_and_saveexec_b64 s[26:27], s[4:5]
	s_cbranch_execz .LBB249_778
; %bb.775:                              ;   in Loop: Header=BB249_403 Depth=1
	v_and_b32_sdwa v10, v30, s15 dst_sel:DWORD dst_unused:UNUSED_PAD src0_sel:BYTE_1 src1_sel:DWORD
	s_mov_b32 s22, s10
	v_cmp_ne_u32_e64 s[4:5], s15, v10
	v_pk_mov_b32 v[40:41], s[22:23], s[22:23] op_sel:[0,1]
	s_and_saveexec_b64 s[28:29], s[4:5]
	s_cbranch_execz .LBB249_777
; %bb.776:                              ;   in Loop: Header=BB249_403 Depth=1
	v_mov_b32_e32 v11, 7
	v_and_b32_sdwa v46, v30, v11 dst_sel:DWORD dst_unused:UNUSED_PAD src0_sel:BYTE_1 src1_sel:DWORD
	v_ffbh_u32_e32 v31, v46
	v_min_u32_e32 v31, 32, v31
	v_subrev_u32_e32 v40, 28, v31
	v_lshrrev_b32_e32 v11, 3, v10
	v_lshlrev_b64 v[40:41], v40, v[46:47]
	v_sub_u32_e32 v31, 29, v31
	v_cmp_gt_u32_e64 s[4:5], 8, v10
	v_and_b32_e32 v40, 7, v40
	v_cndmask_b32_e64 v10, v11, v31, s[4:5]
	v_cndmask_b32_e64 v11, v46, v40, s[4:5]
	v_lshlrev_b32_e32 v31, 16, v30
	v_lshl_add_u32 v10, v10, 23, v57
	v_and_or_b32 v10, v31, s11, v10
	v_lshlrev_b32_e32 v11, 20, v11
	v_or_b32_e32 v41, v10, v11
	v_mov_b32_e32 v40, v47
.LBB249_777:                            ;   in Loop: Header=BB249_403 Depth=1
	s_or_b64 exec, exec, s[28:29]
.LBB249_778:                            ;   in Loop: Header=BB249_403 Depth=1
	s_or_b64 exec, exec, s[26:27]
.LBB249_779:                            ;   in Loop: Header=BB249_403 Depth=1
	s_or_b64 exec, exec, s[24:25]
	v_lshrrev_b32_e32 v46, 16, v30
	v_pk_mov_b32 v[10:11], 0, 0
	v_cmp_ne_u16_sdwa s[4:5], v46, v47 src0_sel:BYTE_0 src1_sel:DWORD
	v_pk_mov_b32 v[44:45], v[10:11], v[10:11] op_sel:[0,1]
	s_and_saveexec_b64 s[24:25], s[4:5]
	s_cbranch_execz .LBB249_785
; %bb.780:                              ;   in Loop: Header=BB249_403 Depth=1
	v_bfrev_b32_e32 v44, 1
	v_cmp_ne_u16_sdwa s[4:5], v46, s7 src0_sel:BYTE_0 src1_sel:DWORD
	v_mov_b32_e32 v45, 0
	s_and_saveexec_b64 s[26:27], s[4:5]
	s_cbranch_execz .LBB249_784
; %bb.781:                              ;   in Loop: Header=BB249_403 Depth=1
	v_bfe_u32 v31, v30, 16, 7
	v_mov_b32_e32 v44, 0x7f800001
	v_cmp_ne_u32_e64 s[4:5], s15, v31
	v_mov_b32_e32 v45, 0
	s_and_saveexec_b64 s[28:29], s[4:5]
	s_cbranch_execz .LBB249_783
; %bb.782:                              ;   in Loop: Header=BB249_403 Depth=1
	v_and_b32_e32 v57, 7, v46
	v_ffbh_u32_e32 v44, v57
	v_accvgpr_write_b32 a5, v59
	v_min_u32_e32 v59, 32, v44
	v_subrev_u32_e32 v44, 28, v59
	v_lshlrev_b64 v[44:45], v44, v[46:47]
	v_lshrrev_b32_e32 v58, 3, v31
	v_sub_u32_e32 v45, 29, v59
	v_and_b32_e32 v44, 7, v44
	v_cmp_gt_u32_e64 s[4:5], 8, v31
	v_cndmask_b32_e64 v31, v58, v45, s[4:5]
	v_cndmask_b32_e64 v44, v57, v44, s[4:5]
	v_bfrev_b32_e32 v57, 60
	v_lshlrev_b32_e32 v44, 20, v44
	v_and_b32_sdwa v45, sext(v46), s11 dst_sel:DWORD dst_unused:UNUSED_PAD src0_sel:BYTE_0 src1_sel:DWORD
	v_lshl_add_u32 v31, v31, 23, v57
	v_or3_b32 v46, v45, v31, v44
	v_accvgpr_read_b32 v59, a5
	v_accvgpr_read_b32 v58, a11
	v_pk_mov_b32 v[44:45], v[46:47], v[46:47] op_sel:[0,1]
.LBB249_783:                            ;   in Loop: Header=BB249_403 Depth=1
	s_or_b64 exec, exec, s[28:29]
.LBB249_784:                            ;   in Loop: Header=BB249_403 Depth=1
	s_or_b64 exec, exec, s[26:27]
.LBB249_785:                            ;   in Loop: Header=BB249_403 Depth=1
	s_or_b64 exec, exec, s[24:25]
	v_cmp_lt_u32_e64 s[4:5], s30, v30
	s_and_saveexec_b64 s[24:25], s[4:5]
	s_cbranch_execz .LBB249_791
; %bb.786:                              ;   in Loop: Header=BB249_403 Depth=1
	v_cmp_ne_u32_sdwa s[4:5], v30, s7 src0_sel:BYTE_3 src1_sel:DWORD
	v_pk_mov_b32 v[10:11], s[10:11], s[10:11] op_sel:[0,1]
	s_and_saveexec_b64 s[26:27], s[4:5]
	s_cbranch_execz .LBB249_790
; %bb.787:                              ;   in Loop: Header=BB249_403 Depth=1
	v_bfe_u32 v31, v30, 24, 7
	s_mov_b32 s22, s10
	v_cmp_ne_u32_e64 s[4:5], s15, v31
	v_pk_mov_b32 v[10:11], s[22:23], s[22:23] op_sel:[0,1]
	s_and_saveexec_b64 s[28:29], s[4:5]
	s_cbranch_execz .LBB249_789
; %bb.788:                              ;   in Loop: Header=BB249_403 Depth=1
	v_mov_b32_e32 v10, 7
	v_and_b32_sdwa v46, v30, v10 dst_sel:DWORD dst_unused:UNUSED_PAD src0_sel:BYTE_3 src1_sel:DWORD
	v_ffbh_u32_e32 v10, v46
	v_min_u32_e32 v58, 32, v10
	v_subrev_u32_e32 v10, 28, v58
	v_lshlrev_b64 v[10:11], v10, v[46:47]
	v_lshrrev_b32_e32 v57, 3, v31
	v_sub_u32_e32 v11, 29, v58
	v_cmp_gt_u32_e64 s[4:5], 8, v31
	v_and_b32_e32 v10, 7, v10
	v_cndmask_b32_e64 v11, v57, v11, s[4:5]
	v_bfrev_b32_e32 v57, 60
	v_mov_b32_e32 v31, 24
	v_cndmask_b32_e64 v10, v46, v10, s[4:5]
	v_lshlrev_b32_sdwa v30, v31, v30 dst_sel:DWORD dst_unused:UNUSED_PAD src0_sel:DWORD src1_sel:BYTE_3
	v_lshl_add_u32 v11, v11, 23, v57
	v_and_or_b32 v11, v30, s11, v11
	v_lshlrev_b32_e32 v10, 20, v10
	v_accvgpr_read_b32 v58, a11
	v_or_b32_e32 v11, v11, v10
	v_mov_b32_e32 v10, v47
.LBB249_789:                            ;   in Loop: Header=BB249_403 Depth=1
	s_or_b64 exec, exec, s[28:29]
.LBB249_790:                            ;   in Loop: Header=BB249_403 Depth=1
	s_or_b64 exec, exec, s[26:27]
.LBB249_791:                            ;   in Loop: Header=BB249_403 Depth=1
	s_or_b64 exec, exec, s[24:25]
	v_or_b32_e32 v31, v41, v43
	v_or_b32_e32 v30, v40, v42
	;; [unrolled: 1-line block ×4, first 2 shown]
	v_pk_mul_f32 v[30:31], v[24:25], v[30:31]
	v_pk_mul_f32 v[40:41], v[24:25], v[10:11]
	s_and_saveexec_b64 s[4:5], vcc
	s_cbranch_execz .LBB249_402
; %bb.792:                              ;   in Loop: Header=BB249_403 Depth=1
	v_accvgpr_read_b32 v10, a10
	v_cmp_lt_i32_e32 vcc, v10, v62
	v_accvgpr_read_b32 v10, a17
	v_cndmask_b32_e32 v30, 0, v30, vcc
	v_cmp_lt_i32_e32 vcc, v10, v62
	v_accvgpr_read_b32 v10, a16
	v_cndmask_b32_e32 v31, 0, v31, vcc
	v_cmp_lt_i32_e32 vcc, v10, v62
	v_cndmask_b32_e32 v40, 0, v40, vcc
	v_cmp_lt_i32_e32 vcc, v56, v62
	v_cndmask_b32_e32 v41, 0, v41, vcc
	s_branch .LBB249_402
.LBB249_793:
	s_or_b64 exec, exec, s[12:13]
	v_accvgpr_read_b32 v29, a0
	v_accvgpr_read_b32 v24, a1
	;; [unrolled: 1-line block ×5, first 2 shown]
.LBB249_794:
	s_or_b64 exec, exec, s[8:9]
	ds_bpermute_b32 v2, v24, v20
	ds_bpermute_b32 v3, v24, v21
	;; [unrolled: 1-line block ×4, first 2 shown]
	s_waitcnt lgkmcnt(0)
	s_barrier
	v_pk_add_f32 v[2:3], v[20:21], v[2:3]
	ds_bpermute_b32 v10, v25, v2
	ds_bpermute_b32 v11, v25, v3
	s_waitcnt lgkmcnt(0)
	ds_bpermute_b32 v0, v24, v22
	ds_bpermute_b32 v1, v24, v23
	;; [unrolled: 1-line block ×3, first 2 shown]
	v_pk_add_f32 v[2:3], v[2:3], v[10:11]
	v_pk_add_f32 v[10:11], v[18:19], v[14:15]
	ds_bpermute_b32 v18, v30, v2
	ds_bpermute_b32 v19, v30, v3
	s_waitcnt lgkmcnt(3)
	v_pk_add_f32 v[0:1], v[22:23], v[0:1]
	ds_bpermute_b32 v4, v25, v0
	ds_bpermute_b32 v5, v25, v1
	ds_bpermute_b32 v14, v25, v10
	s_waitcnt lgkmcnt(3)
	v_pk_add_f32 v[2:3], v[2:3], v[18:19]
	ds_bpermute_b32 v18, v24, v8
	;; [unrolled: 5-line block ×3, first 2 shown]
	ds_bpermute_b32 v23, v24, v13
	s_waitcnt lgkmcnt(3)
	v_pk_add_f32 v[8:9], v[8:9], v[18:19]
	ds_bpermute_b32 v18, v25, v8
	ds_bpermute_b32 v19, v25, v9
	s_waitcnt lgkmcnt(4)
	v_pk_add_f32 v[10:11], v[10:11], v[14:15]
	ds_bpermute_b32 v4, v30, v0
	ds_bpermute_b32 v5, v30, v1
	;; [unrolled: 1-line block ×3, first 2 shown]
	s_waitcnt lgkmcnt(3)
	v_pk_add_f32 v[8:9], v[8:9], v[18:19]
	ds_bpermute_b32 v18, v30, v8
	ds_bpermute_b32 v19, v30, v9
	;; [unrolled: 1-line block ×3, first 2 shown]
	v_pk_add_f32 v[12:13], v[12:13], v[22:23]
	ds_bpermute_b32 v21, v24, v17
	s_waitcnt lgkmcnt(5)
	v_pk_add_f32 v[4:5], v[0:1], v[4:5]
	s_waitcnt lgkmcnt(2)
	v_pk_add_f32 v[8:9], v[8:9], v[18:19]
	buffer_load_dword v18, off, s[0:3], s32 offset:552 ; 4-byte Folded Reload
	s_waitcnt lgkmcnt(1)
	v_pk_add_f32 v[0:1], v[10:11], v[14:15]
	ds_bpermute_b32 v14, v25, v12
	ds_bpermute_b32 v15, v25, v13
	s_waitcnt lgkmcnt(2)
	v_pk_add_f32 v[16:17], v[16:17], v[20:21]
	ds_bpermute_b32 v20, v25, v16
	ds_bpermute_b32 v21, v25, v17
	s_waitcnt lgkmcnt(2)
	v_pk_add_f32 v[14:15], v[12:13], v[14:15]
	ds_bpermute_b32 v12, v24, v6
	ds_bpermute_b32 v13, v24, v7
	ds_bpermute_b32 v24, v24, v59
	s_waitcnt lgkmcnt(3)
	v_pk_add_f32 v[10:11], v[16:17], v[20:21]
	ds_bpermute_b32 v16, v30, v10
	ds_bpermute_b32 v17, v30, v11
	s_waitcnt lgkmcnt(3)
	v_pk_add_f32 v[6:7], v[6:7], v[12:13]
	ds_bpermute_b32 v12, v25, v6
	ds_bpermute_b32 v13, v25, v7
	s_waitcnt lgkmcnt(4)
	v_add_f32_e32 v24, v59, v24
	ds_bpermute_b32 v20, v30, v14
	ds_bpermute_b32 v21, v30, v15
	;; [unrolled: 1-line block ×3, first 2 shown]
	s_waitcnt lgkmcnt(3)
	v_pk_add_f32 v[6:7], v[6:7], v[12:13]
	ds_bpermute_b32 v22, v30, v6
	ds_bpermute_b32 v23, v30, v7
	v_pk_add_f32 v[12:13], v[10:11], v[16:17]
	s_waitcnt lgkmcnt(3)
	v_pk_add_f32 v[10:11], v[14:15], v[20:21]
	s_waitcnt lgkmcnt(2)
	v_add_f32_e32 v15, v24, v25
	ds_bpermute_b32 v16, v30, v15
	s_waitcnt lgkmcnt(1)
	v_pk_add_f32 v[6:7], v[6:7], v[22:23]
	s_waitcnt vmcnt(0)
	v_and_b32_e32 v14, 0x3c7, v18
	v_cmp_ne_u32_e32 vcc, 64, v14
	s_and_saveexec_b64 s[4:5], vcc
	s_xor_b64 s[4:5], exec, s[4:5]
; %bb.795:
                                        ; implicit-def: $vgpr29
; %bb.796:
	s_or_saveexec_b64 s[4:5], s[4:5]
	s_waitcnt lgkmcnt(0)
	v_add_f32_e32 v15, v15, v16
	s_xor_b64 exec, exec, s[4:5]
	s_cbranch_execz .LBB249_798
; %bb.797:
	s_ashr_i32 s19, s18, 31
	s_lshl_b64 s[8:9], s[18:19], 2
	s_getpc_b64 s[10:11]
	s_add_u32 s10, s10, llvm.amdgcn.dynlds.offset.table@rel32@lo+4
	s_addc_u32 s11, s11, llvm.amdgcn.dynlds.offset.table@rel32@hi+12
	s_add_u32 s8, s8, s10
	s_addc_u32 s9, s9, s11
	s_load_dword s7, s[8:9], 0x0
	v_lshrrev_b32_e32 v16, 1, v29
	s_waitcnt lgkmcnt(0)
	v_add_u32_e32 v16, s7, v16
	ds_write2_b32 v16, v4, v5 offset1:8
	ds_write2_b32 v16, v2, v3 offset0:16 offset1:24
	ds_write2_b32 v16, v0, v1 offset0:32 offset1:40
	;; [unrolled: 1-line block ×6, first 2 shown]
	ds_write_b32 v16, v15 offset:448
.LBB249_798:
	s_or_b64 exec, exec, s[4:5]
	v_cmp_gt_u32_e32 vcc, 64, v18
	s_waitcnt lgkmcnt(0)
	s_barrier
	s_and_saveexec_b64 s[4:5], vcc
	s_cbranch_execz .LBB249_816
; %bb.799:
	v_cmp_eq_u32_e32 vcc, 0, v36
	v_lshrrev_b32_e32 v16, 3, v18
	s_and_saveexec_b64 s[8:9], vcc
	s_cbranch_execnz .LBB249_819
; %bb.800:
	s_or_b64 exec, exec, s[8:9]
	s_and_saveexec_b64 s[8:9], vcc
	s_cbranch_execnz .LBB249_820
.LBB249_801:
	s_or_b64 exec, exec, s[8:9]
	s_and_saveexec_b64 s[8:9], vcc
	s_cbranch_execnz .LBB249_821
.LBB249_802:
	s_or_b64 exec, exec, s[8:9]
	s_and_saveexec_b64 s[8:9], vcc
	s_cbranch_execnz .LBB249_822
.LBB249_803:
	s_or_b64 exec, exec, s[8:9]
	s_and_saveexec_b64 s[8:9], vcc
	s_cbranch_execnz .LBB249_823
.LBB249_804:
	s_or_b64 exec, exec, s[8:9]
	s_and_saveexec_b64 s[8:9], vcc
	s_cbranch_execnz .LBB249_824
.LBB249_805:
	s_or_b64 exec, exec, s[8:9]
	s_and_saveexec_b64 s[8:9], vcc
	s_cbranch_execnz .LBB249_825
.LBB249_806:
	s_or_b64 exec, exec, s[8:9]
	s_and_saveexec_b64 s[8:9], vcc
	s_cbranch_execnz .LBB249_826
.LBB249_807:
	s_or_b64 exec, exec, s[8:9]
	s_and_saveexec_b64 s[8:9], vcc
	s_cbranch_execnz .LBB249_827
.LBB249_808:
	s_or_b64 exec, exec, s[8:9]
	s_and_saveexec_b64 s[8:9], vcc
	s_cbranch_execnz .LBB249_828
.LBB249_809:
	s_or_b64 exec, exec, s[8:9]
	s_and_saveexec_b64 s[8:9], vcc
	s_cbranch_execnz .LBB249_829
.LBB249_810:
	s_or_b64 exec, exec, s[8:9]
	s_and_saveexec_b64 s[8:9], vcc
	s_cbranch_execnz .LBB249_830
.LBB249_811:
	s_or_b64 exec, exec, s[8:9]
	s_and_saveexec_b64 s[8:9], vcc
	s_cbranch_execnz .LBB249_831
.LBB249_812:
	s_or_b64 exec, exec, s[8:9]
	s_and_saveexec_b64 s[8:9], vcc
	s_cbranch_execnz .LBB249_832
.LBB249_813:
	s_or_b64 exec, exec, s[8:9]
	s_and_saveexec_b64 s[8:9], vcc
	s_cbranch_execz .LBB249_815
.LBB249_814:
	s_ashr_i32 s19, s18, 31
	s_lshl_b64 s[10:11], s[18:19], 2
	s_getpc_b64 s[12:13]
	s_add_u32 s12, s12, llvm.amdgcn.dynlds.offset.table@rel32@lo+4
	s_addc_u32 s13, s13, llvm.amdgcn.dynlds.offset.table@rel32@hi+12
	s_add_u32 s10, s10, s12
	s_addc_u32 s11, s11, s13
	s_load_dword s7, s[10:11], 0x0
	s_waitcnt lgkmcnt(0)
	v_lshl_add_u32 v16, v16, 2, s7
	ds_read_b32 v16, v16 offset:448
	s_waitcnt lgkmcnt(0)
	v_add_f32_e32 v15, v16, v15
.LBB249_815:
	s_or_b64 exec, exec, s[8:9]
.LBB249_816:
	s_or_b64 exec, exec, s[4:5]
	v_cmp_eq_u32_e32 vcc, 0, v14
	s_barrier
	s_and_b64 exec, exec, vcc
	s_cbranch_execz .LBB249_818
; %bb.817:
	buffer_load_dword v16, off, s[0:3], s32 offset:556 ; 4-byte Folded Reload
	buffer_load_dword v17, off, s[0:3], s32 offset:560 ; 4-byte Folded Reload
	s_mul_i32 s4, s6, 0x78
	s_mul_i32 s6, s20, s21
	;; [unrolled: 1-line block ×3, first 2 shown]
	s_ashr_i32 s5, s4, 31
	s_ashr_i32 s7, s6, 31
	;; [unrolled: 1-line block ×3, first 2 shown]
	s_lshl_b64 s[4:5], s[4:5], 2
	s_lshl_b64 s[6:7], s[6:7], 2
	;; [unrolled: 1-line block ×3, first 2 shown]
	s_add_u32 s6, s8, s6
	s_addc_u32 s7, s9, s7
	s_add_u32 s4, s6, s4
	s_addc_u32 s5, s7, s5
	v_mov_b32_e32 v14, s5
	s_waitcnt vmcnt(1)
	v_add_co_u32_e32 v16, vcc, s4, v16
	s_waitcnt vmcnt(0)
	v_addc_co_u32_e32 v14, vcc, v14, v17, vcc
	v_lshrrev_b32_e32 v17, 1, v18
	v_add_co_u32_e32 v16, vcc, v16, v17
	v_addc_co_u32_e32 v17, vcc, 0, v14, vcc
	flat_store_dword v[16:17], v4
	flat_store_dword v[16:17], v5 offset:32
	flat_store_dword v[16:17], v2 offset:64
	;; [unrolled: 1-line block ×14, first 2 shown]
.LBB249_818:
	s_or_b64 exec, exec, s[16:17]
	buffer_load_dword a63, off, s[0:3], s32 ; 4-byte Folded Reload
	buffer_load_dword a62, off, s[0:3], s32 offset:4 ; 4-byte Folded Reload
	buffer_load_dword a61, off, s[0:3], s32 offset:8 ; 4-byte Folded Reload
	;; [unrolled: 1-line block ×46, first 2 shown]
	v_readlane_b32 s30, v63, 8
	v_readlane_b32 s31, v63, 9
	;; [unrolled: 1-line block ×10, first 2 shown]
	s_or_saveexec_b64 s[4:5], -1
	buffer_load_dword v63, off, s[0:3], s32 offset:640 ; 4-byte Folded Reload
	s_mov_b64 exec, s[4:5]
	s_waitcnt vmcnt(0) lgkmcnt(0)
	s_setpc_b64 s[30:31]
.LBB249_819:
	s_ashr_i32 s19, s18, 31
	s_lshl_b64 s[10:11], s[18:19], 2
	s_getpc_b64 s[12:13]
	s_add_u32 s12, s12, llvm.amdgcn.dynlds.offset.table@rel32@lo+4
	s_addc_u32 s13, s13, llvm.amdgcn.dynlds.offset.table@rel32@hi+12
	s_add_u32 s10, s10, s12
	s_addc_u32 s11, s11, s13
	s_load_dword s7, s[10:11], 0x0
	s_waitcnt lgkmcnt(0)
	v_lshl_add_u32 v17, v16, 2, s7
	ds_read_b32 v17, v17
	s_waitcnt lgkmcnt(0)
	v_add_f32_e32 v4, v17, v4
	s_or_b64 exec, exec, s[8:9]
	s_and_saveexec_b64 s[8:9], vcc
	s_cbranch_execz .LBB249_801
.LBB249_820:
	s_ashr_i32 s19, s18, 31
	s_lshl_b64 s[10:11], s[18:19], 2
	s_getpc_b64 s[12:13]
	s_add_u32 s12, s12, llvm.amdgcn.dynlds.offset.table@rel32@lo+4
	s_addc_u32 s13, s13, llvm.amdgcn.dynlds.offset.table@rel32@hi+12
	s_add_u32 s10, s10, s12
	s_addc_u32 s11, s11, s13
	s_load_dword s7, s[10:11], 0x0
	s_waitcnt lgkmcnt(0)
	v_lshl_add_u32 v17, v16, 2, s7
	ds_read_b32 v17, v17 offset:32
	s_waitcnt lgkmcnt(0)
	v_add_f32_e32 v5, v17, v5
	s_or_b64 exec, exec, s[8:9]
	s_and_saveexec_b64 s[8:9], vcc
	s_cbranch_execz .LBB249_802
.LBB249_821:
	s_ashr_i32 s19, s18, 31
	s_lshl_b64 s[10:11], s[18:19], 2
	s_getpc_b64 s[12:13]
	s_add_u32 s12, s12, llvm.amdgcn.dynlds.offset.table@rel32@lo+4
	s_addc_u32 s13, s13, llvm.amdgcn.dynlds.offset.table@rel32@hi+12
	s_add_u32 s10, s10, s12
	s_addc_u32 s11, s11, s13
	s_load_dword s7, s[10:11], 0x0
	s_waitcnt lgkmcnt(0)
	v_lshl_add_u32 v17, v16, 2, s7
	ds_read_b32 v17, v17 offset:64
	s_waitcnt lgkmcnt(0)
	v_add_f32_e32 v2, v17, v2
	s_or_b64 exec, exec, s[8:9]
	s_and_saveexec_b64 s[8:9], vcc
	s_cbranch_execz .LBB249_803
.LBB249_822:
	s_ashr_i32 s19, s18, 31
	s_lshl_b64 s[10:11], s[18:19], 2
	s_getpc_b64 s[12:13]
	s_add_u32 s12, s12, llvm.amdgcn.dynlds.offset.table@rel32@lo+4
	s_addc_u32 s13, s13, llvm.amdgcn.dynlds.offset.table@rel32@hi+12
	s_add_u32 s10, s10, s12
	s_addc_u32 s11, s11, s13
	s_load_dword s7, s[10:11], 0x0
	s_waitcnt lgkmcnt(0)
	v_lshl_add_u32 v17, v16, 2, s7
	ds_read_b32 v17, v17 offset:96
	s_waitcnt lgkmcnt(0)
	v_add_f32_e32 v3, v17, v3
	s_or_b64 exec, exec, s[8:9]
	s_and_saveexec_b64 s[8:9], vcc
	s_cbranch_execz .LBB249_804
.LBB249_823:
	s_ashr_i32 s19, s18, 31
	s_lshl_b64 s[10:11], s[18:19], 2
	s_getpc_b64 s[12:13]
	s_add_u32 s12, s12, llvm.amdgcn.dynlds.offset.table@rel32@lo+4
	s_addc_u32 s13, s13, llvm.amdgcn.dynlds.offset.table@rel32@hi+12
	s_add_u32 s10, s10, s12
	s_addc_u32 s11, s11, s13
	s_load_dword s7, s[10:11], 0x0
	s_waitcnt lgkmcnt(0)
	v_lshl_add_u32 v17, v16, 2, s7
	ds_read_b32 v17, v17 offset:128
	s_waitcnt lgkmcnt(0)
	v_add_f32_e32 v0, v17, v0
	s_or_b64 exec, exec, s[8:9]
	s_and_saveexec_b64 s[8:9], vcc
	s_cbranch_execz .LBB249_805
.LBB249_824:
	s_ashr_i32 s19, s18, 31
	s_lshl_b64 s[10:11], s[18:19], 2
	s_getpc_b64 s[12:13]
	s_add_u32 s12, s12, llvm.amdgcn.dynlds.offset.table@rel32@lo+4
	s_addc_u32 s13, s13, llvm.amdgcn.dynlds.offset.table@rel32@hi+12
	s_add_u32 s10, s10, s12
	s_addc_u32 s11, s11, s13
	s_load_dword s7, s[10:11], 0x0
	s_waitcnt lgkmcnt(0)
	v_lshl_add_u32 v17, v16, 2, s7
	ds_read_b32 v17, v17 offset:160
	s_waitcnt lgkmcnt(0)
	v_add_f32_e32 v1, v17, v1
	s_or_b64 exec, exec, s[8:9]
	s_and_saveexec_b64 s[8:9], vcc
	s_cbranch_execz .LBB249_806
.LBB249_825:
	s_ashr_i32 s19, s18, 31
	s_lshl_b64 s[10:11], s[18:19], 2
	s_getpc_b64 s[12:13]
	s_add_u32 s12, s12, llvm.amdgcn.dynlds.offset.table@rel32@lo+4
	s_addc_u32 s13, s13, llvm.amdgcn.dynlds.offset.table@rel32@hi+12
	s_add_u32 s10, s10, s12
	s_addc_u32 s11, s11, s13
	s_load_dword s7, s[10:11], 0x0
	s_waitcnt lgkmcnt(0)
	v_lshl_add_u32 v17, v16, 2, s7
	ds_read_b32 v17, v17 offset:192
	s_waitcnt lgkmcnt(0)
	v_add_f32_e32 v12, v17, v12
	s_or_b64 exec, exec, s[8:9]
	s_and_saveexec_b64 s[8:9], vcc
	s_cbranch_execz .LBB249_807
.LBB249_826:
	s_ashr_i32 s19, s18, 31
	s_lshl_b64 s[10:11], s[18:19], 2
	s_getpc_b64 s[12:13]
	s_add_u32 s12, s12, llvm.amdgcn.dynlds.offset.table@rel32@lo+4
	s_addc_u32 s13, s13, llvm.amdgcn.dynlds.offset.table@rel32@hi+12
	s_add_u32 s10, s10, s12
	s_addc_u32 s11, s11, s13
	s_load_dword s7, s[10:11], 0x0
	s_waitcnt lgkmcnt(0)
	v_lshl_add_u32 v17, v16, 2, s7
	ds_read_b32 v17, v17 offset:224
	s_waitcnt lgkmcnt(0)
	v_add_f32_e32 v13, v17, v13
	s_or_b64 exec, exec, s[8:9]
	s_and_saveexec_b64 s[8:9], vcc
	s_cbranch_execz .LBB249_808
.LBB249_827:
	s_ashr_i32 s19, s18, 31
	s_lshl_b64 s[10:11], s[18:19], 2
	s_getpc_b64 s[12:13]
	s_add_u32 s12, s12, llvm.amdgcn.dynlds.offset.table@rel32@lo+4
	s_addc_u32 s13, s13, llvm.amdgcn.dynlds.offset.table@rel32@hi+12
	s_add_u32 s10, s10, s12
	s_addc_u32 s11, s11, s13
	s_load_dword s7, s[10:11], 0x0
	s_waitcnt lgkmcnt(0)
	v_lshl_add_u32 v17, v16, 2, s7
	ds_read_b32 v17, v17 offset:256
	s_waitcnt lgkmcnt(0)
	v_add_f32_e32 v10, v17, v10
	s_or_b64 exec, exec, s[8:9]
	s_and_saveexec_b64 s[8:9], vcc
	s_cbranch_execz .LBB249_809
.LBB249_828:
	s_ashr_i32 s19, s18, 31
	s_lshl_b64 s[10:11], s[18:19], 2
	s_getpc_b64 s[12:13]
	s_add_u32 s12, s12, llvm.amdgcn.dynlds.offset.table@rel32@lo+4
	s_addc_u32 s13, s13, llvm.amdgcn.dynlds.offset.table@rel32@hi+12
	s_add_u32 s10, s10, s12
	s_addc_u32 s11, s11, s13
	s_load_dword s7, s[10:11], 0x0
	s_waitcnt lgkmcnt(0)
	v_lshl_add_u32 v17, v16, 2, s7
	ds_read_b32 v17, v17 offset:288
	s_waitcnt lgkmcnt(0)
	v_add_f32_e32 v11, v17, v11
	s_or_b64 exec, exec, s[8:9]
	s_and_saveexec_b64 s[8:9], vcc
	s_cbranch_execz .LBB249_810
.LBB249_829:
	s_ashr_i32 s19, s18, 31
	s_lshl_b64 s[10:11], s[18:19], 2
	s_getpc_b64 s[12:13]
	s_add_u32 s12, s12, llvm.amdgcn.dynlds.offset.table@rel32@lo+4
	s_addc_u32 s13, s13, llvm.amdgcn.dynlds.offset.table@rel32@hi+12
	s_add_u32 s10, s10, s12
	s_addc_u32 s11, s11, s13
	s_load_dword s7, s[10:11], 0x0
	s_waitcnt lgkmcnt(0)
	v_lshl_add_u32 v17, v16, 2, s7
	ds_read_b32 v17, v17 offset:320
	s_waitcnt lgkmcnt(0)
	v_add_f32_e32 v8, v17, v8
	s_or_b64 exec, exec, s[8:9]
	s_and_saveexec_b64 s[8:9], vcc
	s_cbranch_execz .LBB249_811
.LBB249_830:
	s_ashr_i32 s19, s18, 31
	s_lshl_b64 s[10:11], s[18:19], 2
	s_getpc_b64 s[12:13]
	s_add_u32 s12, s12, llvm.amdgcn.dynlds.offset.table@rel32@lo+4
	s_addc_u32 s13, s13, llvm.amdgcn.dynlds.offset.table@rel32@hi+12
	s_add_u32 s10, s10, s12
	s_addc_u32 s11, s11, s13
	s_load_dword s7, s[10:11], 0x0
	s_waitcnt lgkmcnt(0)
	v_lshl_add_u32 v17, v16, 2, s7
	ds_read_b32 v17, v17 offset:352
	s_waitcnt lgkmcnt(0)
	v_add_f32_e32 v9, v17, v9
	s_or_b64 exec, exec, s[8:9]
	s_and_saveexec_b64 s[8:9], vcc
	s_cbranch_execz .LBB249_812
.LBB249_831:
	s_ashr_i32 s19, s18, 31
	s_lshl_b64 s[10:11], s[18:19], 2
	s_getpc_b64 s[12:13]
	s_add_u32 s12, s12, llvm.amdgcn.dynlds.offset.table@rel32@lo+4
	s_addc_u32 s13, s13, llvm.amdgcn.dynlds.offset.table@rel32@hi+12
	s_add_u32 s10, s10, s12
	s_addc_u32 s11, s11, s13
	s_load_dword s7, s[10:11], 0x0
	s_waitcnt lgkmcnt(0)
	v_lshl_add_u32 v17, v16, 2, s7
	ds_read_b32 v17, v17 offset:384
	s_waitcnt lgkmcnt(0)
	v_add_f32_e32 v6, v17, v6
	s_or_b64 exec, exec, s[8:9]
	s_and_saveexec_b64 s[8:9], vcc
	s_cbranch_execz .LBB249_813
.LBB249_832:
	s_ashr_i32 s19, s18, 31
	s_lshl_b64 s[10:11], s[18:19], 2
	s_getpc_b64 s[12:13]
	s_add_u32 s12, s12, llvm.amdgcn.dynlds.offset.table@rel32@lo+4
	s_addc_u32 s13, s13, llvm.amdgcn.dynlds.offset.table@rel32@hi+12
	s_add_u32 s10, s10, s12
	s_addc_u32 s11, s11, s13
	s_load_dword s7, s[10:11], 0x0
	s_waitcnt lgkmcnt(0)
	v_lshl_add_u32 v17, v16, 2, s7
	ds_read_b32 v17, v17 offset:416
	s_waitcnt lgkmcnt(0)
	v_add_f32_e32 v7, v17, v7
	s_or_b64 exec, exec, s[8:9]
	s_and_saveexec_b64 s[8:9], vcc
	s_cbranch_execnz .LBB249_814
	s_branch .LBB249_815
.Lfunc_end249:
	.size	_ZN4vllm22paged_attention_kernelIfhLi120ELi32ELi128ELNS_18Fp8KVCacheDataTypeE1ELb0ELi512EEEvPfS2_PT_PKS3_PKT0_S9_ifPKiSB_iPKfiiiSD_SD_iiiii, .Lfunc_end249-_ZN4vllm22paged_attention_kernelIfhLi120ELi32ELi128ELNS_18Fp8KVCacheDataTypeE1ELb0ELi512EEEvPfS2_PT_PKS3_PKT0_S9_ifPKiSB_iPKfiiiSD_SD_iiiii
                                        ; -- End function
	.section	.AMDGPU.csdata,"",@progbits
; Function info:
; codeLenInByte = 39964
; NumSgprs: 46
; NumVgprs: 64
; NumAgprs: 64
; TotalNumVgprs: 128
; ScratchSize: 648
; MemoryBound: 0
	.section	.text._ZN4vllm25paged_attention_v2_kernelIfhLi120ELi32ELi128ELNS_18Fp8KVCacheDataTypeE1ELb0ELi512EEEvPfS2_PT_PKS3_PKT0_S9_ifPKiSB_iPKfiiiSD_SD_iiiii,"axG",@progbits,_ZN4vllm25paged_attention_v2_kernelIfhLi120ELi32ELi128ELNS_18Fp8KVCacheDataTypeE1ELb0ELi512EEEvPfS2_PT_PKS3_PKT0_S9_ifPKiSB_iPKfiiiSD_SD_iiiii,comdat
	.protected	_ZN4vllm25paged_attention_v2_kernelIfhLi120ELi32ELi128ELNS_18Fp8KVCacheDataTypeE1ELb0ELi512EEEvPfS2_PT_PKS3_PKT0_S9_ifPKiSB_iPKfiiiSD_SD_iiiii ; -- Begin function _ZN4vllm25paged_attention_v2_kernelIfhLi120ELi32ELi128ELNS_18Fp8KVCacheDataTypeE1ELb0ELi512EEEvPfS2_PT_PKS3_PKT0_S9_ifPKiSB_iPKfiiiSD_SD_iiiii
	.globl	_ZN4vllm25paged_attention_v2_kernelIfhLi120ELi32ELi128ELNS_18Fp8KVCacheDataTypeE1ELb0ELi512EEEvPfS2_PT_PKS3_PKT0_S9_ifPKiSB_iPKfiiiSD_SD_iiiii
	.p2align	8
	.type	_ZN4vllm25paged_attention_v2_kernelIfhLi120ELi32ELi128ELNS_18Fp8KVCacheDataTypeE1ELb0ELi512EEEvPfS2_PT_PKS3_PKT0_S9_ifPKiSB_iPKfiiiSD_SD_iiiii,@function
_ZN4vllm25paged_attention_v2_kernelIfhLi120ELi32ELi128ELNS_18Fp8KVCacheDataTypeE1ELb0ELi512EEEvPfS2_PT_PKS3_PKT0_S9_ifPKiSB_iPKfiiiSD_SD_iiiii: ; @_ZN4vllm25paged_attention_v2_kernelIfhLi120ELi32ELi128ELNS_18Fp8KVCacheDataTypeE1ELb0ELi512EEEvPfS2_PT_PKS3_PKT0_S9_ifPKiSB_iPKfiiiSD_SD_iiiii
; %bb.0:
	s_add_u32 flat_scratch_lo, s6, s11
	s_addc_u32 flat_scratch_hi, s7, 0
	s_add_u32 s0, s0, s11
	s_load_dwordx8 s[24:31], s[4:5], 0x0
	s_load_dwordx8 s[16:23], s[4:5], 0x20
	s_load_dwordx2 s[6:7], s[4:5], 0x40
	s_load_dwordx2 s[34:35], s[4:5], 0x50
	s_load_dword s11, s[4:5], 0x48
	s_load_dwordx8 s[36:43], s[4:5], 0x58
	s_addc_u32 s1, s1, 0
	s_mov_b32 s12, s8
	s_add_u32 s8, s4, 0x90
	s_mov_b32 s13, s9
	s_addc_u32 s9, s5, 0
	s_mov_b32 s14, s10
	s_mov_b32 s15, 30
	v_mov_b32_e32 v31, v0
	s_waitcnt lgkmcnt(0)
	v_mov_b32_e32 v0, s24
	v_mov_b32_e32 v1, s25
	;; [unrolled: 1-line block ×28, first 2 shown]
	s_mov_b32 s32, 0
	s_getpc_b64 s[4:5]
	s_add_u32 s4, s4, _ZN4vllm22paged_attention_kernelIfhLi120ELi32ELi128ELNS_18Fp8KVCacheDataTypeE1ELb0ELi512EEEvPfS2_PT_PKS3_PKT0_S9_ifPKiSB_iPKfiiiSD_SD_iiiii@rel32@lo+4
	s_addc_u32 s5, s5, _ZN4vllm22paged_attention_kernelIfhLi120ELi32ELi128ELNS_18Fp8KVCacheDataTypeE1ELb0ELi512EEEvPfS2_PT_PKS3_PKT0_S9_ifPKiSB_iPKfiiiSD_SD_iiiii@rel32@hi+12
	s_swappc_b64 s[30:31], s[4:5]
	s_endpgm
	.section	.rodata,"a",@progbits
	.p2align	6, 0x0
	.amdhsa_kernel _ZN4vllm25paged_attention_v2_kernelIfhLi120ELi32ELi128ELNS_18Fp8KVCacheDataTypeE1ELb0ELi512EEEvPfS2_PT_PKS3_PKT0_S9_ifPKiSB_iPKfiiiSD_SD_iiiii
		.amdhsa_group_segment_fixed_size 496
		.amdhsa_private_segment_fixed_size 648
		.amdhsa_kernarg_size 400
		.amdhsa_user_sgpr_count 8
		.amdhsa_user_sgpr_private_segment_buffer 1
		.amdhsa_user_sgpr_dispatch_ptr 0
		.amdhsa_user_sgpr_queue_ptr 0
		.amdhsa_user_sgpr_kernarg_segment_ptr 1
		.amdhsa_user_sgpr_dispatch_id 0
		.amdhsa_user_sgpr_flat_scratch_init 1
		.amdhsa_user_sgpr_kernarg_preload_length 0
		.amdhsa_user_sgpr_kernarg_preload_offset 0
		.amdhsa_user_sgpr_private_segment_size 0
		.amdhsa_uses_dynamic_stack 0
		.amdhsa_system_sgpr_private_segment_wavefront_offset 1
		.amdhsa_system_sgpr_workgroup_id_x 1
		.amdhsa_system_sgpr_workgroup_id_y 1
		.amdhsa_system_sgpr_workgroup_id_z 1
		.amdhsa_system_sgpr_workgroup_info 0
		.amdhsa_system_vgpr_workitem_id 0
		.amdhsa_next_free_vgpr 128
		.amdhsa_next_free_sgpr 44
		.amdhsa_accum_offset 64
		.amdhsa_reserve_vcc 1
		.amdhsa_reserve_flat_scratch 1
		.amdhsa_float_round_mode_32 0
		.amdhsa_float_round_mode_16_64 0
		.amdhsa_float_denorm_mode_32 3
		.amdhsa_float_denorm_mode_16_64 3
		.amdhsa_dx10_clamp 1
		.amdhsa_ieee_mode 1
		.amdhsa_fp16_overflow 0
		.amdhsa_tg_split 0
		.amdhsa_exception_fp_ieee_invalid_op 0
		.amdhsa_exception_fp_denorm_src 0
		.amdhsa_exception_fp_ieee_div_zero 0
		.amdhsa_exception_fp_ieee_overflow 0
		.amdhsa_exception_fp_ieee_underflow 0
		.amdhsa_exception_fp_ieee_inexact 0
		.amdhsa_exception_int_div_zero 0
	.end_amdhsa_kernel
	.section	.text._ZN4vllm25paged_attention_v2_kernelIfhLi120ELi32ELi128ELNS_18Fp8KVCacheDataTypeE1ELb0ELi512EEEvPfS2_PT_PKS3_PKT0_S9_ifPKiSB_iPKfiiiSD_SD_iiiii,"axG",@progbits,_ZN4vllm25paged_attention_v2_kernelIfhLi120ELi32ELi128ELNS_18Fp8KVCacheDataTypeE1ELb0ELi512EEEvPfS2_PT_PKS3_PKT0_S9_ifPKiSB_iPKfiiiSD_SD_iiiii,comdat
.Lfunc_end250:
	.size	_ZN4vllm25paged_attention_v2_kernelIfhLi120ELi32ELi128ELNS_18Fp8KVCacheDataTypeE1ELb0ELi512EEEvPfS2_PT_PKS3_PKT0_S9_ifPKiSB_iPKfiiiSD_SD_iiiii, .Lfunc_end250-_ZN4vllm25paged_attention_v2_kernelIfhLi120ELi32ELi128ELNS_18Fp8KVCacheDataTypeE1ELb0ELi512EEEvPfS2_PT_PKS3_PKT0_S9_ifPKiSB_iPKfiiiSD_SD_iiiii
                                        ; -- End function
	.section	.AMDGPU.csdata,"",@progbits
; Kernel info:
; codeLenInByte = 244
; NumSgprs: 50
; NumVgprs: 64
; NumAgprs: 64
; TotalNumVgprs: 128
; ScratchSize: 648
; MemoryBound: 0
; FloatMode: 240
; IeeeMode: 1
; LDSByteSize: 496 bytes/workgroup (compile time only)
; SGPRBlocks: 6
; VGPRBlocks: 15
; NumSGPRsForWavesPerEU: 50
; NumVGPRsForWavesPerEU: 128
; AccumOffset: 64
; Occupancy: 4
; WaveLimiterHint : 1
; COMPUTE_PGM_RSRC2:SCRATCH_EN: 1
; COMPUTE_PGM_RSRC2:USER_SGPR: 8
; COMPUTE_PGM_RSRC2:TRAP_HANDLER: 0
; COMPUTE_PGM_RSRC2:TGID_X_EN: 1
; COMPUTE_PGM_RSRC2:TGID_Y_EN: 1
; COMPUTE_PGM_RSRC2:TGID_Z_EN: 1
; COMPUTE_PGM_RSRC2:TIDIG_COMP_CNT: 0
; COMPUTE_PGM_RSRC3_GFX90A:ACCUM_OFFSET: 15
; COMPUTE_PGM_RSRC3_GFX90A:TG_SPLIT: 0
	.text
	.p2align	2                               ; -- Begin function _ZN4vllm22paged_attention_kernelIfhLi128ELi32ELi128ELNS_18Fp8KVCacheDataTypeE1ELb0ELi512EEEvPfS2_PT_PKS3_PKT0_S9_ifPKiSB_iPKfiiiSD_SD_iiiii
	.type	_ZN4vllm22paged_attention_kernelIfhLi128ELi32ELi128ELNS_18Fp8KVCacheDataTypeE1ELb0ELi512EEEvPfS2_PT_PKS3_PKT0_S9_ifPKiSB_iPKfiiiSD_SD_iiiii,@function
_ZN4vllm22paged_attention_kernelIfhLi128ELi32ELi128ELNS_18Fp8KVCacheDataTypeE1ELb0ELi512EEEvPfS2_PT_PKS3_PKT0_S9_ifPKiSB_iPKfiiiSD_SD_iiiii: ; @_ZN4vllm22paged_attention_kernelIfhLi128ELi32ELi128ELNS_18Fp8KVCacheDataTypeE1ELb0ELi512EEEvPfS2_PT_PKS3_PKT0_S9_ifPKiSB_iPKfiiiSD_SD_iiiii
; %bb.0:
	s_waitcnt vmcnt(0) expcnt(0) lgkmcnt(0)
	s_or_saveexec_b64 s[4:5], -1
	buffer_store_dword v63, off, s[0:3], s32 offset:712 ; 4-byte Folded Spill
	s_mov_b64 exec, s[4:5]
	buffer_store_dword v40, off, s[0:3], s32 offset:184 ; 4-byte Folded Spill
	buffer_store_dword v41, off, s[0:3], s32 offset:180 ; 4-byte Folded Spill
	;; [unrolled: 1-line block ×46, first 2 shown]
	buffer_store_dword a63, off, s[0:3], s32 ; 4-byte Folded Spill
	v_writelane_b32 v63, s34, 0
	v_writelane_b32 v63, s35, 1
	;; [unrolled: 1-line block ×12, first 2 shown]
	s_mov_b32 s24, s13
	s_ashr_i32 s25, s13, 31
	s_lshl_b64 s[4:5], s[24:25], 2
	buffer_store_dword v26, off, s[0:3], s32 offset:656 ; 4-byte Folded Spill
	s_nop 0
	buffer_store_dword v27, off, s[0:3], s32 offset:660 ; 4-byte Folded Spill
	buffer_store_dword v24, off, s[0:3], s32 offset:332 ; 4-byte Folded Spill
	s_nop 0
	buffer_store_dword v25, off, s[0:3], s32 offset:336 ; 4-byte Folded Spill
	;; [unrolled: 3-line block ×3, first 2 shown]
	buffer_store_dword v15, off, s[0:3], s32 offset:628 ; 4-byte Folded Spill
	buffer_store_dword v14, off, s[0:3], s32 offset:632 ; 4-byte Folded Spill
	;; [unrolled: 1-line block ×5, first 2 shown]
	v_mov_b32_e32 v5, s5
	v_add_co_u32_e32 v4, vcc, s4, v16
	v_addc_co_u32_e32 v5, vcc, v17, v5, vcc
	flat_load_dword v62, v[4:5]
	s_lshl_b32 s25, s14, 9
	v_mov_b32_e32 v25, v20
	v_mov_b32_e32 v24, v19
	s_waitcnt vmcnt(0) lgkmcnt(0)
	v_cmp_lt_i32_e32 vcc, s25, v62
	s_and_saveexec_b64 s[18:19], vcc
	s_cbranch_execz .LBB251_869
; %bb.1:
	v_sub_u32_e32 v4, 0, v12
	v_max_i32_e32 v4, v12, v4
	v_cvt_f32_u32_e32 v5, v4
	s_load_dword s4, s[8:9], 0x10
	s_load_dword s6, s[8:9], 0x0
	v_sub_u32_e32 v13, 0, v4
	s_mov_b32 s20, s15
	v_rcp_iflag_f32_e32 v5, v5
	s_waitcnt lgkmcnt(0)
	s_lshr_b32 s4, s4, 16
	s_cmp_lg_u32 s4, 0
	s_cselect_b64 s[4:5], -1, 0
	v_mul_f32_e32 v5, 0x4f7ffffe, v5
	v_cvt_u32_f32_e32 v5, v5
	s_cmp_lg_u64 s[4:5], 0
	s_addc_u32 s15, s6, 0
	s_abs_i32 s4, s15
	v_mul_lo_u32 v13, v13, v5
	v_mul_hi_u32 v13, v5, v13
	v_add_u32_e32 v5, v5, v13
	v_mul_hi_u32 v5, s4, v5
	v_mul_lo_u32 v13, v5, v4
	v_sub_u32_e32 v13, s4, v13
	v_add_u32_e32 v14, 1, v5
	v_cmp_ge_u32_e32 vcc, v13, v4
	v_cndmask_b32_e32 v5, v5, v14, vcc
	v_sub_u32_e32 v14, v13, v4
	v_cndmask_b32_e32 v13, v13, v14, vcc
	v_xor_b32_e32 v12, s15, v12
	v_add_u32_e32 v14, 1, v5
	v_cmp_ge_u32_e32 vcc, v13, v4
	v_ashrrev_i32_e32 v12, 31, v12
	v_cndmask_b32_e32 v4, v5, v14, vcc
	v_xor_b32_e32 v4, v4, v12
	v_sub_u32_e32 v12, v4, v12
	v_sub_u32_e32 v4, 0, v12
	v_max_i32_e32 v13, v12, v4
	v_cvt_f32_u32_e32 v4, v13
	v_sub_u32_e32 v5, 0, v13
	s_abs_i32 s10, s12
	v_cmp_ne_u64_e32 vcc, 0, v[24:25]
	v_rcp_iflag_f32_e32 v4, v4
	v_mul_f32_e32 v4, 0x4f7ffffe, v4
	v_cvt_u32_f32_e32 v4, v4
	v_mul_lo_u32 v5, v5, v4
	v_mul_hi_u32 v5, v4, v5
	v_add_u32_e32 v4, v4, v5
	v_mad_u64_u32 v[4:5], s[4:5], s10, v4, 0
	v_mov_b32_e32 v4, 0
	buffer_store_dword v4, off, s[0:3], s32 offset:616 ; 4-byte Folded Spill
	s_and_saveexec_b64 s[4:5], vcc
	s_cbranch_execz .LBB251_3
; %bb.2:
	s_ashr_i32 s13, s12, 31
	s_lshl_b64 s[6:7], s[12:13], 2
	v_mov_b32_e32 v4, s7
	v_add_co_u32_e32 v14, vcc, s6, v24
	v_addc_co_u32_e32 v15, vcc, v25, v4, vcc
	flat_load_dword v4, v[14:15]
	s_waitcnt vmcnt(0) lgkmcnt(0)
	buffer_store_dword v4, off, s[0:3], s32 offset:616 ; 4-byte Folded Spill
.LBB251_3:
	s_or_b64 exec, exec, s[4:5]
	v_and_b32_e32 v19, 0x3ff, v31
	s_ashr_i32 s11, s12, 31
	v_ashrrev_i32_e32 v4, 31, v12
	v_and_b32_e32 v12, 1, v19
	s_lshl_b32 s22, s12, 7
	v_cmp_gt_u32_e64 s[4:5], 64, v19
	v_lshlrev_b32_e32 v14, 2, v19
	buffer_store_dword v14, off, s[0:3], s32 offset:680 ; 4-byte Folded Spill
	s_and_saveexec_b64 s[6:7], s[4:5]
	s_cbranch_execz .LBB251_5
; %bb.4:
	v_mul_lo_u32 v14, s24, v21
	v_ashrrev_i32_e32 v15, 31, v14
	v_lshlrev_b64 v[14:15], 2, v[14:15]
	v_add_co_u32_e32 v6, vcc, v6, v14
	s_ashr_i32 s23, s22, 31
	v_addc_co_u32_e32 v7, vcc, v7, v15, vcc
	s_lshl_b64 s[16:17], s[22:23], 2
	v_mov_b32_e32 v14, s17
	v_add_co_u32_e32 v6, vcc, s16, v6
	v_addc_co_u32_e32 v7, vcc, v7, v14, vcc
	v_lshlrev_b32_e32 v14, 3, v19
	v_add_co_u32_e32 v6, vcc, v6, v14
	v_addc_co_u32_e32 v7, vcc, 0, v7, vcc
	flat_load_dwordx2 v[6:7], v[6:7]
	v_lshlrev_b32_e32 v14, 2, v19
	v_and_b32_e32 v14, 0xff8, v14
	v_lshl_add_u32 v14, v12, 8, v14
	s_waitcnt vmcnt(0) lgkmcnt(0)
	ds_write_b64 v14, v[6:7]
.LBB251_5:
	s_or_b64 exec, exec, s[6:7]
	v_add_u32_e32 v6, 31, v62
	v_ashrrev_i32_e32 v7, 31, v6
	v_lshrrev_b32_e32 v7, 27, v7
	v_add_u32_e32 v6, v6, v7
	s_lshl_b32 s23, s14, 4
	v_ashrrev_i32_e32 v6, 5, v6
	s_add_i32 s6, s23, 16
	buffer_store_dword v6, off, s[0:3], s32 offset:684 ; 4-byte Folded Spill
	v_min_i32_e32 v14, s6, v6
	v_mul_lo_u32 v6, v5, v13
	v_sub_u32_e32 v6, s10, v6
	v_add_u32_e32 v7, 1, v5
	v_cmp_ge_u32_e32 vcc, v6, v13
	v_cndmask_b32_e32 v5, v5, v7, vcc
	v_sub_u32_e32 v7, v6, v13
	v_cndmask_b32_e32 v6, v6, v7, vcc
	v_add_u32_e32 v7, 1, v5
	v_cmp_ge_u32_e32 vcc, v6, v13
	v_xor_b32_e32 v4, s11, v4
	v_cndmask_b32_e32 v5, v5, v7, vcc
	v_lshrrev_b32_e32 v15, 6, v19
	v_xor_b32_e32 v5, v5, v4
	v_sub_u32_e32 v7, v5, v4
	v_mul_lo_u32 v4, s24, v18
	v_or_b32_e32 v6, s23, v15
	v_ashrrev_i32_e32 v5, 31, v4
	v_cmp_lt_i32_e64 s[6:7], v6, v14
	v_mov_b32_e32 v16, v6
	v_cmp_ge_i32_e32 vcc, v6, v14
	v_mbcnt_lo_u32_b32 v6, -1, 0
                                        ; implicit-def: $vgpr13
	s_waitcnt lgkmcnt(0)
	s_barrier
	buffer_store_dword v15, off, s[0:3], s32 offset:624 ; 4-byte Folded Spill
	buffer_store_dword v14, off, s[0:3], s32 offset:308 ; 4-byte Folded Spill
                                        ; implicit-def: $sgpr21
                                        ; kill: killed $vgpr13
                                        ; implicit-def: $vgpr13
                                        ; kill: killed $vgpr13
	s_and_saveexec_b64 s[10:11], vcc
	s_xor_b64 s[10:11], exec, s[10:11]
	s_cbranch_execz .LBB251_7
; %bb.6:
	v_mbcnt_hi_u32_b32 v6, -1, v6
	buffer_store_dword v6, off, s[0:3], s32 offset:636 ; 4-byte Folded Spill
	v_and_b32_e32 v6, 64, v6
	v_add_u32_e32 v6, 64, v6
	buffer_store_dword v6, off, s[0:3], s32 offset:640 ; 4-byte Folded Spill
                                        ; implicit-def: $vgpr6
                                        ; kill: killed $vgpr6
                                        ; implicit-def: $vgpr6
                                        ; kill: killed $vgpr6
                                        ; implicit-def: $vgpr6
	s_mov_b32 s21, 0xff7fffff
	buffer_store_dword v6, off, s[0:3], s32 offset:332 ; 4-byte Folded Spill
	s_nop 0
	buffer_store_dword v7, off, s[0:3], s32 offset:336 ; 4-byte Folded Spill
                                        ; implicit-def: $vgpr8
                                        ; implicit-def: $vgpr9
                                        ; implicit-def: $vgpr12
                                        ; implicit-def: $vgpr6
.LBB251_7:
	s_or_saveexec_b64 s[16:17], s[10:11]
	s_load_dword s42, s[8:9], 0x14
	s_load_dword s13, s[8:9], 0x8
	v_mov_b32_e32 v13, s21
	v_mul_lo_u32 v7, v7, v23
	v_ashrrev_i32_e32 v17, 31, v16
	buffer_store_dword v13, off, s[0:3], s32 offset:328 ; 4-byte Folded Spill
	buffer_store_dword v16, off, s[0:3], s32 offset:188 ; 4-byte Folded Spill
	s_nop 0
	buffer_store_dword v17, off, s[0:3], s32 offset:192 ; 4-byte Folded Spill
	buffer_store_dword v7, off, s[0:3], s32 offset:676 ; 4-byte Folded Spill
	v_ashrrev_i32_e32 v7, 31, v7
	v_lshlrev_b64 v[4:5], 2, v[4:5]
	buffer_store_dword v7, off, s[0:3], s32 offset:672 ; 4-byte Folded Spill
	buffer_store_dword v4, off, s[0:3], s32 offset:664 ; 4-byte Folded Spill
	s_nop 0
	buffer_store_dword v5, off, s[0:3], s32 offset:668 ; 4-byte Folded Spill
	buffer_store_dword v19, off, s[0:3], s32 offset:644 ; 4-byte Folded Spill
	s_xor_b64 exec, exec, s[16:17]
	s_cbranch_execz .LBB251_397
; %bb.8:
	buffer_store_dword v2, off, s[0:3], s32 offset:700 ; 4-byte Folded Spill
	buffer_store_dword v3, off, s[0:3], s32 offset:688 ; 4-byte Folded Spill
	;; [unrolled: 1-line block ×6, first 2 shown]
	buffer_load_dword v0, off, s[0:3], s32 offset:676 ; 4-byte Folded Reload
	v_bfe_u32 v2, v19, 1, 5
	buffer_load_dword v1, off, s[0:3], s32 offset:672 ; 4-byte Folded Reload
	v_lshlrev_b32_e32 v3, 4, v2
	v_mbcnt_hi_u32_b32 v4, -1, v6
	s_ashr_i32 s21, s20, 31
	s_lshl_b64 s[28:29], s[20:21], 2
	s_mov_b32 s26, 0
	s_brev_b32 s27, 1
	v_mov_b32_e32 v29, 0
	v_cmp_eq_u32_e64 s[8:9], 0, v12
	s_mov_b64 s[30:31], 0
	s_movk_i32 s21, 0x80
	s_movk_i32 s43, 0x7f
	s_mov_b32 s35, 0x7f800001
	s_waitcnt vmcnt(1)
	v_add_co_u32_e32 v0, vcc, v8, v0
	s_waitcnt vmcnt(0)
	v_addc_co_u32_e32 v1, vcc, v9, v1, vcc
	v_add_co_u32_e32 v0, vcc, v0, v3
	v_addc_co_u32_e32 v1, vcc, 0, v1, vcc
	buffer_store_dword v0, off, s[0:3], s32 offset:392 ; 4-byte Folded Spill
	s_nop 0
	buffer_store_dword v1, off, s[0:3], s32 offset:396 ; 4-byte Folded Spill
	v_lshlrev_b32_e32 v0, 1, v12
	v_lshlrev_b32_e32 v3, 8, v12
	buffer_store_dword v0, off, s[0:3], s32 offset:400 ; 4-byte Folded Spill
	s_nop 0
	buffer_store_dword v1, off, s[0:3], s32 offset:404 ; 4-byte Folded Spill
	ds_read_b128 v[8:11], v3
	s_waitcnt lgkmcnt(0)
	buffer_store_dword v8, off, s[0:3], s32 offset:344 ; 4-byte Folded Spill
	s_nop 0
	buffer_store_dword v9, off, s[0:3], s32 offset:348 ; 4-byte Folded Spill
	buffer_store_dword v10, off, s[0:3], s32 offset:352 ; 4-byte Folded Spill
	buffer_store_dword v11, off, s[0:3], s32 offset:356 ; 4-byte Folded Spill
	ds_read_b128 v[8:11], v3 offset:16
	s_waitcnt lgkmcnt(0)
	buffer_store_dword v8, off, s[0:3], s32 offset:360 ; 4-byte Folded Spill
	s_nop 0
	buffer_store_dword v9, off, s[0:3], s32 offset:364 ; 4-byte Folded Spill
	buffer_store_dword v10, off, s[0:3], s32 offset:368 ; 4-byte Folded Spill
	buffer_store_dword v11, off, s[0:3], s32 offset:372 ; 4-byte Folded Spill
	ds_read_b128 v[8:11], v3 offset:32
	;; [unrolled: 7-line block ×5, first 2 shown]
	v_and_b32_e32 v1, 64, v4
	v_xor_b32_e32 v0, 1, v4
	v_add_u32_e32 v1, 64, v1
	v_cmp_lt_i32_e32 vcc, v0, v1
	v_cndmask_b32_e32 v0, v4, v0, vcc
	v_lshlrev_b32_e32 v0, 2, v0
	s_waitcnt lgkmcnt(0)
	buffer_store_dword v8, off, s[0:3], s32 offset:440 ; 4-byte Folded Spill
	s_nop 0
	buffer_store_dword v9, off, s[0:3], s32 offset:444 ; 4-byte Folded Spill
	buffer_store_dword v10, off, s[0:3], s32 offset:448 ; 4-byte Folded Spill
	;; [unrolled: 1-line block ×6, first 2 shown]
	buffer_load_dword v0, off, s[0:3], s32 offset:616 ; 4-byte Folded Reload
	s_nop 0
	buffer_load_dword v4, off, s[0:3], s32 offset:188 ; 4-byte Folded Reload
	buffer_load_dword v5, off, s[0:3], s32 offset:192 ; 4-byte Folded Reload
	;; [unrolled: 1-line block ×4, first 2 shown]
	s_getpc_b64 vcc
	s_add_u32 vcc_lo, vcc_lo, llvm.amdgcn.dynlds.offset.table@rel32@lo+4
	s_addc_u32 vcc_hi, vcc_hi, llvm.amdgcn.dynlds.offset.table@rel32@hi+12
	s_add_u32 s28, s28, vcc_lo
	s_addc_u32 s29, s29, vcc_hi
	ds_read_b128 v[8:11], v3 offset:96
	s_waitcnt vmcnt(4)
	v_cmp_neq_f32_e64 s[10:11], 0, v0
	s_waitcnt vmcnt(2)
	v_lshlrev_b64 v[0:1], 2, v[4:5]
	buffer_load_dword v5, off, s[0:3], s32 offset:632 ; 4-byte Folded Reload
	s_waitcnt vmcnt(2)
	v_add_co_u32_e32 v0, vcc, v6, v0
	s_waitcnt vmcnt(1)
	v_addc_co_u32_e32 v1, vcc, v7, v1, vcc
	v_mov_b32_e32 v19, v4
	s_waitcnt vmcnt(0)
	v_add_co_u32_e32 v6, vcc, v5, v0
	buffer_load_dword v0, off, s[0:3], s32 offset:628 ; 4-byte Folded Reload
	s_waitcnt vmcnt(0)
	v_addc_co_u32_e32 v7, vcc, v0, v1, vcc
	buffer_load_dword v1, off, s[0:3], s32 offset:624 ; 4-byte Folded Reload
	s_waitcnt vmcnt(0)
	v_lshlrev_b32_e32 v0, 5, v1
	v_add3_u32 v0, s25, v0, v2
	v_accvgpr_write_b32 a60, v0
	v_lshlrev_b32_e32 v0, 2, v2
	v_lshl_or_b32 v0, v1, 7, v0
	v_accvgpr_write_b32 a61, v0
	v_mov_b32_e32 v0, 0xff7fffff
	buffer_store_dword v0, off, s[0:3], s32 offset:328 ; 4-byte Folded Spill
	s_waitcnt lgkmcnt(0)
	buffer_store_dword v8, off, s[0:3], s32 offset:456 ; 4-byte Folded Spill
	s_nop 0
	buffer_store_dword v9, off, s[0:3], s32 offset:460 ; 4-byte Folded Spill
	buffer_store_dword v10, off, s[0:3], s32 offset:464 ; 4-byte Folded Spill
	buffer_store_dword v11, off, s[0:3], s32 offset:468 ; 4-byte Folded Spill
	ds_read_b128 v[8:11], v3 offset:112
	s_waitcnt lgkmcnt(0)
	buffer_store_dword v8, off, s[0:3], s32 offset:472 ; 4-byte Folded Spill
	s_nop 0
	buffer_store_dword v9, off, s[0:3], s32 offset:476 ; 4-byte Folded Spill
	buffer_store_dword v10, off, s[0:3], s32 offset:480 ; 4-byte Folded Spill
	buffer_store_dword v11, off, s[0:3], s32 offset:484 ; 4-byte Folded Spill
	ds_read_b128 v[8:11], v3 offset:128
	s_waitcnt lgkmcnt(0)
	buffer_store_dword v8, off, s[0:3], s32 offset:488 ; 4-byte Folded Spill
	s_nop 0
	buffer_store_dword v9, off, s[0:3], s32 offset:492 ; 4-byte Folded Spill
	buffer_store_dword v10, off, s[0:3], s32 offset:496 ; 4-byte Folded Spill
	buffer_store_dword v11, off, s[0:3], s32 offset:500 ; 4-byte Folded Spill
	ds_read_b128 v[8:11], v3 offset:144
	s_waitcnt lgkmcnt(0)
	buffer_store_dword v8, off, s[0:3], s32 offset:504 ; 4-byte Folded Spill
	s_nop 0
	buffer_store_dword v9, off, s[0:3], s32 offset:508 ; 4-byte Folded Spill
	buffer_store_dword v10, off, s[0:3], s32 offset:512 ; 4-byte Folded Spill
	buffer_store_dword v11, off, s[0:3], s32 offset:516 ; 4-byte Folded Spill
	ds_read_b128 v[8:11], v3 offset:160
	s_waitcnt lgkmcnt(0)
	buffer_store_dword v8, off, s[0:3], s32 offset:520 ; 4-byte Folded Spill
	s_nop 0
	buffer_store_dword v9, off, s[0:3], s32 offset:524 ; 4-byte Folded Spill
	buffer_store_dword v10, off, s[0:3], s32 offset:528 ; 4-byte Folded Spill
	buffer_store_dword v11, off, s[0:3], s32 offset:532 ; 4-byte Folded Spill
	ds_read_b128 v[8:11], v3 offset:176
	s_waitcnt lgkmcnt(0)
	buffer_store_dword v8, off, s[0:3], s32 offset:536 ; 4-byte Folded Spill
	s_nop 0
	buffer_store_dword v9, off, s[0:3], s32 offset:540 ; 4-byte Folded Spill
	buffer_store_dword v10, off, s[0:3], s32 offset:544 ; 4-byte Folded Spill
	buffer_store_dword v11, off, s[0:3], s32 offset:548 ; 4-byte Folded Spill
	ds_read_b128 v[8:11], v3 offset:192
	s_waitcnt lgkmcnt(0)
	buffer_store_dword v8, off, s[0:3], s32 offset:552 ; 4-byte Folded Spill
	s_nop 0
	buffer_store_dword v9, off, s[0:3], s32 offset:556 ; 4-byte Folded Spill
	buffer_store_dword v10, off, s[0:3], s32 offset:560 ; 4-byte Folded Spill
	buffer_store_dword v11, off, s[0:3], s32 offset:564 ; 4-byte Folded Spill
	ds_read_b128 v[8:11], v3 offset:208
	s_waitcnt lgkmcnt(0)
	buffer_store_dword v8, off, s[0:3], s32 offset:568 ; 4-byte Folded Spill
	s_nop 0
	buffer_store_dword v9, off, s[0:3], s32 offset:572 ; 4-byte Folded Spill
	buffer_store_dword v10, off, s[0:3], s32 offset:576 ; 4-byte Folded Spill
	buffer_store_dword v11, off, s[0:3], s32 offset:580 ; 4-byte Folded Spill
	ds_read_b128 v[8:11], v3 offset:224
	s_waitcnt lgkmcnt(0)
	buffer_store_dword v8, off, s[0:3], s32 offset:584 ; 4-byte Folded Spill
	s_nop 0
	buffer_store_dword v9, off, s[0:3], s32 offset:588 ; 4-byte Folded Spill
	buffer_store_dword v10, off, s[0:3], s32 offset:592 ; 4-byte Folded Spill
	buffer_store_dword v11, off, s[0:3], s32 offset:596 ; 4-byte Folded Spill
	ds_read_b128 v[0:3], v3 offset:240
	s_waitcnt lgkmcnt(0)
	buffer_store_dword v0, off, s[0:3], s32 offset:600 ; 4-byte Folded Spill
	s_nop 0
	buffer_store_dword v1, off, s[0:3], s32 offset:604 ; 4-byte Folded Spill
	buffer_store_dword v2, off, s[0:3], s32 offset:608 ; 4-byte Folded Spill
	;; [unrolled: 1-line block ×3, first 2 shown]
	s_branch .LBB251_10
.LBB251_9:                              ;   in Loop: Header=BB251_10 Depth=1
	s_or_b64 exec, exec, s[36:37]
	buffer_load_dword v6, off, s[0:3], s32 offset:312 ; 4-byte Folded Reload
	buffer_load_dword v7, off, s[0:3], s32 offset:316 ; 4-byte Folded Reload
	v_accvgpr_read_b32 v0, a60
	v_add_u32_e32 v0, 64, v0
	v_accvgpr_write_b32 a60, v0
	buffer_load_dword v0, off, s[0:3], s32 offset:308 ; 4-byte Folded Reload
	v_add_u32_e32 v19, 2, v19
	s_waitcnt vmcnt(2)
	v_add_co_u32_e32 v6, vcc, 8, v6
	s_waitcnt vmcnt(1)
	v_addc_co_u32_e32 v7, vcc, 0, v7, vcc
	s_waitcnt vmcnt(0)
	v_cmp_ge_i32_e32 vcc, v19, v0
	v_accvgpr_read_b32 v0, a61
	v_add_u32_e32 v0, 0x100, v0
	s_or_b64 s[30:31], vcc, s[30:31]
	v_accvgpr_write_b32 a61, v0
	s_andn2_b64 exec, exec, s[30:31]
	s_cbranch_execz .LBB251_396
.LBB251_10:                             ; =>This Inner Loop Header: Depth=1
	buffer_store_dword v6, off, s[0:3], s32 offset:312 ; 4-byte Folded Spill
	s_nop 0
	buffer_store_dword v7, off, s[0:3], s32 offset:316 ; 4-byte Folded Spill
	flat_load_dword v0, v[6:7]
	buffer_load_dword v2, off, s[0:3], s32 offset:300 ; 4-byte Folded Reload
	buffer_load_dword v3, off, s[0:3], s32 offset:304 ; 4-byte Folded Reload
	;; [unrolled: 1-line block ×4, first 2 shown]
	s_waitcnt vmcnt(0) lgkmcnt(0)
	v_mad_i64_i32 v[0:1], vcc, v0, v2, v[4:5]
	buffer_load_dword v2, off, s[0:3], s32 offset:400 ; 4-byte Folded Reload
	buffer_load_dword v3, off, s[0:3], s32 offset:404 ; 4-byte Folded Reload
	s_waitcnt vmcnt(1)
	v_add_co_u32_e32 v48, vcc, v0, v2
	v_addc_co_u32_e32 v49, vcc, 0, v1, vcc
	flat_load_ushort v1, v[48:49]
	buffer_load_dword v2, off, s[0:3], s32 offset:332 ; 4-byte Folded Reload
	buffer_load_dword v3, off, s[0:3], s32 offset:336 ; 4-byte Folded Reload
	s_waitcnt vmcnt(0)
	flat_load_dword v0, v[2:3]
	v_pk_mov_b32 v[2:3], 0, 0
	s_waitcnt vmcnt(0) lgkmcnt(0)
	buffer_store_dword v0, off, s[0:3], s32 offset:320 ; 4-byte Folded Spill
	s_nop 0
	buffer_store_dword v1, off, s[0:3], s32 offset:324 ; 4-byte Folded Spill
	buffer_store_dword v2, off, s[0:3], s32 offset:204 ; 4-byte Folded Spill
	s_nop 0
	buffer_store_dword v3, off, s[0:3], s32 offset:208 ; 4-byte Folded Spill
	;; [unrolled: 3-line block ×3, first 2 shown]
	v_and_b32_e32 v0, 0xffff, v1
	v_cmp_ne_u16_sdwa vcc, v1, v29 src0_sel:BYTE_0 src1_sel:DWORD
	s_mov_b64 s[36:37], exec
	s_and_b64 vcc, s[36:37], vcc
	v_mov_b32_e32 v45, v19
	s_mov_b64 exec, vcc
	s_cbranch_execz .LBB251_16
; %bb.11:                               ;   in Loop: Header=BB251_10 Depth=1
	v_bfrev_b32_e32 v2, 1
	v_cmp_ne_u16_sdwa vcc, v0, s21 src0_sel:BYTE_0 src1_sel:DWORD
	v_mov_b32_e32 v3, 0
	buffer_store_dword v2, off, s[0:3], s32 offset:196 ; 4-byte Folded Spill
	s_nop 0
	buffer_store_dword v3, off, s[0:3], s32 offset:200 ; 4-byte Folded Spill
	s_and_saveexec_b64 s[38:39], vcc
	s_cbranch_execz .LBB251_15
; %bb.12:                               ;   in Loop: Header=BB251_10 Depth=1
	v_and_b32_e32 v1, 0x7f, v0
	v_mov_b32_e32 v2, 0x7f800001
	v_cmp_ne_u32_e32 vcc, s43, v1
	v_mov_b32_e32 v3, 0
	buffer_store_dword v2, off, s[0:3], s32 offset:196 ; 4-byte Folded Spill
	s_nop 0
	buffer_store_dword v3, off, s[0:3], s32 offset:200 ; 4-byte Folded Spill
	s_and_saveexec_b64 s[40:41], vcc
	s_cbranch_execz .LBB251_14
; %bb.13:                               ;   in Loop: Header=BB251_10 Depth=1
	v_and_b32_e32 v4, 7, v0
	v_ffbh_u32_e32 v2, v4
	v_min_u32_e32 v6, 32, v2
	v_subrev_u32_e32 v2, 28, v6
	v_lshlrev_b64 v[2:3], v2, v[0:1]
	v_lshrrev_b32_e32 v5, 3, v1
	v_sub_u32_e32 v3, 29, v6
	v_and_b32_e32 v2, 7, v2
	v_cmp_gt_u32_e32 vcc, 8, v1
	v_cndmask_b32_e32 v1, v5, v3, vcc
	v_cndmask_b32_e32 v2, v4, v2, vcc
	v_bfrev_b32_e32 v4, 60
	v_lshlrev_b32_e32 v2, 20, v2
	v_and_b32_sdwa v3, sext(v0), s27 dst_sel:DWORD dst_unused:UNUSED_PAD src0_sel:BYTE_0 src1_sel:DWORD
	v_lshl_add_u32 v1, v1, 23, v4
	v_or3_b32 v28, v3, v1, v2
	v_mov_b32_e32 v19, v45
	buffer_store_dword v28, off, s[0:3], s32 offset:196 ; 4-byte Folded Spill
	s_nop 0
	buffer_store_dword v29, off, s[0:3], s32 offset:200 ; 4-byte Folded Spill
.LBB251_14:                             ;   in Loop: Header=BB251_10 Depth=1
	s_or_b64 exec, exec, s[40:41]
.LBB251_15:                             ;   in Loop: Header=BB251_10 Depth=1
	s_or_b64 exec, exec, s[38:39]
.LBB251_16:                             ;   in Loop: Header=BB251_10 Depth=1
	s_or_b64 exec, exec, s[36:37]
	v_cmp_ne_u16_sdwa vcc, v0, v29 src0_sel:BYTE_1 src1_sel:DWORD
	s_and_saveexec_b64 s[36:37], vcc
	s_cbranch_execz .LBB251_22
; %bb.17:                               ;   in Loop: Header=BB251_10 Depth=1
	v_cmp_ne_u16_sdwa vcc, v0, s21 src0_sel:BYTE_1 src1_sel:DWORD
	v_pk_mov_b32 v[2:3], s[26:27], s[26:27] op_sel:[0,1]
	buffer_store_dword v2, off, s[0:3], s32 offset:204 ; 4-byte Folded Spill
	s_nop 0
	buffer_store_dword v3, off, s[0:3], s32 offset:208 ; 4-byte Folded Spill
	s_and_saveexec_b64 s[38:39], vcc
	s_cbranch_execz .LBB251_21
; %bb.18:                               ;   in Loop: Header=BB251_10 Depth=1
	v_and_b32_sdwa v1, v0, s43 dst_sel:DWORD dst_unused:UNUSED_PAD src0_sel:BYTE_1 src1_sel:DWORD
	s_mov_b32 s34, s26
	v_cmp_ne_u32_e32 vcc, s43, v1
	v_pk_mov_b32 v[2:3], s[34:35], s[34:35] op_sel:[0,1]
	buffer_store_dword v2, off, s[0:3], s32 offset:204 ; 4-byte Folded Spill
	s_nop 0
	buffer_store_dword v3, off, s[0:3], s32 offset:208 ; 4-byte Folded Spill
	s_and_saveexec_b64 s[40:41], vcc
	s_cbranch_execz .LBB251_20
; %bb.19:                               ;   in Loop: Header=BB251_10 Depth=1
	v_mov_b32_e32 v2, 7
	v_and_b32_sdwa v28, v0, v2 dst_sel:DWORD dst_unused:UNUSED_PAD src0_sel:BYTE_1 src1_sel:DWORD
	v_ffbh_u32_e32 v2, v28
	v_min_u32_e32 v5, 32, v2
	v_subrev_u32_e32 v2, 28, v5
	v_lshlrev_b64 v[2:3], v2, v[28:29]
	v_lshrrev_b32_e32 v4, 3, v1
	v_sub_u32_e32 v3, 29, v5
	v_cmp_gt_u32_e32 vcc, 8, v1
	v_and_b32_e32 v2, 7, v2
	v_cndmask_b32_e32 v1, v4, v3, vcc
	v_bfrev_b32_e32 v3, 60
	v_cndmask_b32_e32 v2, v28, v2, vcc
	v_lshlrev_b32_e32 v0, 16, v0
	v_lshl_add_u32 v1, v1, 23, v3
	v_and_or_b32 v0, v0, s27, v1
	v_lshlrev_b32_e32 v1, 20, v2
	v_mov_b32_e32 v19, v45
	v_or_b32_e32 v1, v0, v1
	v_mov_b32_e32 v0, v29
	buffer_store_dword v0, off, s[0:3], s32 offset:204 ; 4-byte Folded Spill
	s_nop 0
	buffer_store_dword v1, off, s[0:3], s32 offset:208 ; 4-byte Folded Spill
.LBB251_20:                             ;   in Loop: Header=BB251_10 Depth=1
	s_or_b64 exec, exec, s[40:41]
.LBB251_21:                             ;   in Loop: Header=BB251_10 Depth=1
	s_or_b64 exec, exec, s[38:39]
.LBB251_22:                             ;   in Loop: Header=BB251_10 Depth=1
	s_or_b64 exec, exec, s[36:37]
	flat_load_ushort v1, v[48:49] offset:4
	v_pk_mov_b32 v[2:3], 0, 0
	buffer_store_dword v2, off, s[0:3], s32 offset:220 ; 4-byte Folded Spill
	s_nop 0
	buffer_store_dword v3, off, s[0:3], s32 offset:224 ; 4-byte Folded Spill
	buffer_store_dword v2, off, s[0:3], s32 offset:212 ; 4-byte Folded Spill
	s_nop 0
	buffer_store_dword v3, off, s[0:3], s32 offset:216 ; 4-byte Folded Spill
	s_waitcnt vmcnt(0) lgkmcnt(0)
	v_and_b32_e32 v0, 0xffff, v1
	v_cmp_ne_u16_sdwa vcc, v1, v29 src0_sel:BYTE_0 src1_sel:DWORD
	s_and_saveexec_b64 s[36:37], vcc
	s_cbranch_execz .LBB251_28
; %bb.23:                               ;   in Loop: Header=BB251_10 Depth=1
	v_bfrev_b32_e32 v2, 1
	v_cmp_ne_u16_sdwa vcc, v0, s21 src0_sel:BYTE_0 src1_sel:DWORD
	v_mov_b32_e32 v3, 0
	buffer_store_dword v2, off, s[0:3], s32 offset:212 ; 4-byte Folded Spill
	s_nop 0
	buffer_store_dword v3, off, s[0:3], s32 offset:216 ; 4-byte Folded Spill
	s_and_saveexec_b64 s[38:39], vcc
	s_cbranch_execz .LBB251_27
; %bb.24:                               ;   in Loop: Header=BB251_10 Depth=1
	v_and_b32_e32 v1, 0x7f, v0
	v_mov_b32_e32 v2, 0x7f800001
	v_cmp_ne_u32_e32 vcc, s43, v1
	v_mov_b32_e32 v3, 0
	buffer_store_dword v2, off, s[0:3], s32 offset:212 ; 4-byte Folded Spill
	s_nop 0
	buffer_store_dword v3, off, s[0:3], s32 offset:216 ; 4-byte Folded Spill
	s_and_saveexec_b64 s[40:41], vcc
	s_cbranch_execz .LBB251_26
; %bb.25:                               ;   in Loop: Header=BB251_10 Depth=1
	v_and_b32_e32 v4, 7, v0
	v_ffbh_u32_e32 v2, v4
	v_min_u32_e32 v6, 32, v2
	v_subrev_u32_e32 v2, 28, v6
	v_lshlrev_b64 v[2:3], v2, v[0:1]
	v_lshrrev_b32_e32 v5, 3, v1
	v_sub_u32_e32 v3, 29, v6
	v_and_b32_e32 v2, 7, v2
	v_cmp_gt_u32_e32 vcc, 8, v1
	v_cndmask_b32_e32 v1, v5, v3, vcc
	v_cndmask_b32_e32 v2, v4, v2, vcc
	v_bfrev_b32_e32 v4, 60
	v_lshlrev_b32_e32 v2, 20, v2
	v_and_b32_sdwa v3, sext(v0), s27 dst_sel:DWORD dst_unused:UNUSED_PAD src0_sel:BYTE_0 src1_sel:DWORD
	v_lshl_add_u32 v1, v1, 23, v4
	v_or3_b32 v28, v3, v1, v2
	v_mov_b32_e32 v19, v45
	buffer_store_dword v28, off, s[0:3], s32 offset:212 ; 4-byte Folded Spill
	s_nop 0
	buffer_store_dword v29, off, s[0:3], s32 offset:216 ; 4-byte Folded Spill
.LBB251_26:                             ;   in Loop: Header=BB251_10 Depth=1
	s_or_b64 exec, exec, s[40:41]
.LBB251_27:                             ;   in Loop: Header=BB251_10 Depth=1
	s_or_b64 exec, exec, s[38:39]
.LBB251_28:                             ;   in Loop: Header=BB251_10 Depth=1
	s_or_b64 exec, exec, s[36:37]
	v_cmp_ne_u16_sdwa vcc, v0, v29 src0_sel:BYTE_1 src1_sel:DWORD
	s_and_saveexec_b64 s[36:37], vcc
	s_cbranch_execz .LBB251_34
; %bb.29:                               ;   in Loop: Header=BB251_10 Depth=1
	v_cmp_ne_u16_sdwa vcc, v0, s21 src0_sel:BYTE_1 src1_sel:DWORD
	v_pk_mov_b32 v[2:3], s[26:27], s[26:27] op_sel:[0,1]
	buffer_store_dword v2, off, s[0:3], s32 offset:220 ; 4-byte Folded Spill
	s_nop 0
	buffer_store_dword v3, off, s[0:3], s32 offset:224 ; 4-byte Folded Spill
	s_and_saveexec_b64 s[38:39], vcc
	s_cbranch_execz .LBB251_33
; %bb.30:                               ;   in Loop: Header=BB251_10 Depth=1
	v_and_b32_sdwa v1, v0, s43 dst_sel:DWORD dst_unused:UNUSED_PAD src0_sel:BYTE_1 src1_sel:DWORD
	s_mov_b32 s34, s26
	v_cmp_ne_u32_e32 vcc, s43, v1
	v_pk_mov_b32 v[2:3], s[34:35], s[34:35] op_sel:[0,1]
	buffer_store_dword v2, off, s[0:3], s32 offset:220 ; 4-byte Folded Spill
	s_nop 0
	buffer_store_dword v3, off, s[0:3], s32 offset:224 ; 4-byte Folded Spill
	s_and_saveexec_b64 s[40:41], vcc
	s_cbranch_execz .LBB251_32
; %bb.31:                               ;   in Loop: Header=BB251_10 Depth=1
	v_mov_b32_e32 v2, 7
	v_and_b32_sdwa v28, v0, v2 dst_sel:DWORD dst_unused:UNUSED_PAD src0_sel:BYTE_1 src1_sel:DWORD
	v_ffbh_u32_e32 v2, v28
	v_min_u32_e32 v5, 32, v2
	v_subrev_u32_e32 v2, 28, v5
	v_lshlrev_b64 v[2:3], v2, v[28:29]
	v_lshrrev_b32_e32 v4, 3, v1
	v_sub_u32_e32 v3, 29, v5
	v_cmp_gt_u32_e32 vcc, 8, v1
	v_and_b32_e32 v2, 7, v2
	v_cndmask_b32_e32 v1, v4, v3, vcc
	v_bfrev_b32_e32 v3, 60
	v_cndmask_b32_e32 v2, v28, v2, vcc
	v_lshlrev_b32_e32 v0, 16, v0
	v_lshl_add_u32 v1, v1, 23, v3
	v_and_or_b32 v0, v0, s27, v1
	v_lshlrev_b32_e32 v1, 20, v2
	v_mov_b32_e32 v19, v45
	v_or_b32_e32 v1, v0, v1
	v_mov_b32_e32 v0, v29
	buffer_store_dword v0, off, s[0:3], s32 offset:220 ; 4-byte Folded Spill
	s_nop 0
	buffer_store_dword v1, off, s[0:3], s32 offset:224 ; 4-byte Folded Spill
.LBB251_32:                             ;   in Loop: Header=BB251_10 Depth=1
	s_or_b64 exec, exec, s[40:41]
.LBB251_33:                             ;   in Loop: Header=BB251_10 Depth=1
	s_or_b64 exec, exec, s[38:39]
.LBB251_34:                             ;   in Loop: Header=BB251_10 Depth=1
	s_or_b64 exec, exec, s[36:37]
	flat_load_ushort v1, v[48:49] offset:8
	v_pk_mov_b32 v[2:3], 0, 0
	buffer_store_dword v2, off, s[0:3], s32 offset:236 ; 4-byte Folded Spill
	s_nop 0
	buffer_store_dword v3, off, s[0:3], s32 offset:240 ; 4-byte Folded Spill
	buffer_store_dword v2, off, s[0:3], s32 offset:228 ; 4-byte Folded Spill
	s_nop 0
	buffer_store_dword v3, off, s[0:3], s32 offset:232 ; 4-byte Folded Spill
	s_waitcnt vmcnt(0) lgkmcnt(0)
	v_and_b32_e32 v0, 0xffff, v1
	v_cmp_ne_u16_sdwa vcc, v1, v29 src0_sel:BYTE_0 src1_sel:DWORD
	s_and_saveexec_b64 s[36:37], vcc
	s_cbranch_execz .LBB251_40
; %bb.35:                               ;   in Loop: Header=BB251_10 Depth=1
	v_bfrev_b32_e32 v2, 1
	v_cmp_ne_u16_sdwa vcc, v0, s21 src0_sel:BYTE_0 src1_sel:DWORD
	v_mov_b32_e32 v3, 0
	buffer_store_dword v2, off, s[0:3], s32 offset:228 ; 4-byte Folded Spill
	s_nop 0
	buffer_store_dword v3, off, s[0:3], s32 offset:232 ; 4-byte Folded Spill
	s_and_saveexec_b64 s[38:39], vcc
	s_cbranch_execz .LBB251_39
; %bb.36:                               ;   in Loop: Header=BB251_10 Depth=1
	v_and_b32_e32 v1, 0x7f, v0
	v_mov_b32_e32 v2, 0x7f800001
	v_cmp_ne_u32_e32 vcc, s43, v1
	v_mov_b32_e32 v3, 0
	buffer_store_dword v2, off, s[0:3], s32 offset:228 ; 4-byte Folded Spill
	s_nop 0
	buffer_store_dword v3, off, s[0:3], s32 offset:232 ; 4-byte Folded Spill
	s_and_saveexec_b64 s[40:41], vcc
	s_cbranch_execz .LBB251_38
; %bb.37:                               ;   in Loop: Header=BB251_10 Depth=1
	v_and_b32_e32 v4, 7, v0
	v_lshrrev_b32_e32 v5, 3, v1
	v_cmp_gt_u32_e32 vcc, 8, v1
	v_ffbh_u32_e32 v1, v4
	v_min_u32_e32 v1, 32, v1
	v_subrev_u32_e32 v2, 28, v1
	v_lshlrev_b64 v[2:3], v2, v[0:1]
	v_sub_u32_e32 v1, 29, v1
	v_and_b32_e32 v2, 7, v2
	v_cndmask_b32_e32 v1, v5, v1, vcc
	v_cndmask_b32_e32 v2, v4, v2, vcc
	v_bfrev_b32_e32 v4, 60
	v_lshlrev_b32_e32 v2, 20, v2
	v_and_b32_sdwa v3, sext(v0), s27 dst_sel:DWORD dst_unused:UNUSED_PAD src0_sel:BYTE_0 src1_sel:DWORD
	v_lshl_add_u32 v1, v1, 23, v4
	v_or3_b32 v28, v3, v1, v2
	v_mov_b32_e32 v19, v45
	buffer_store_dword v28, off, s[0:3], s32 offset:228 ; 4-byte Folded Spill
	s_nop 0
	buffer_store_dword v29, off, s[0:3], s32 offset:232 ; 4-byte Folded Spill
.LBB251_38:                             ;   in Loop: Header=BB251_10 Depth=1
	s_or_b64 exec, exec, s[40:41]
.LBB251_39:                             ;   in Loop: Header=BB251_10 Depth=1
	s_or_b64 exec, exec, s[38:39]
.LBB251_40:                             ;   in Loop: Header=BB251_10 Depth=1
	s_or_b64 exec, exec, s[36:37]
	v_cmp_ne_u16_sdwa vcc, v0, v29 src0_sel:BYTE_1 src1_sel:DWORD
	s_and_saveexec_b64 s[36:37], vcc
	s_cbranch_execz .LBB251_46
; %bb.41:                               ;   in Loop: Header=BB251_10 Depth=1
	v_cmp_ne_u16_sdwa vcc, v0, s21 src0_sel:BYTE_1 src1_sel:DWORD
	v_pk_mov_b32 v[2:3], s[26:27], s[26:27] op_sel:[0,1]
	buffer_store_dword v2, off, s[0:3], s32 offset:236 ; 4-byte Folded Spill
	s_nop 0
	buffer_store_dword v3, off, s[0:3], s32 offset:240 ; 4-byte Folded Spill
	s_and_saveexec_b64 s[38:39], vcc
	s_cbranch_execz .LBB251_45
; %bb.42:                               ;   in Loop: Header=BB251_10 Depth=1
	v_and_b32_sdwa v1, v0, s43 dst_sel:DWORD dst_unused:UNUSED_PAD src0_sel:BYTE_1 src1_sel:DWORD
	s_mov_b32 s34, s26
	v_cmp_ne_u32_e32 vcc, s43, v1
	v_pk_mov_b32 v[2:3], s[34:35], s[34:35] op_sel:[0,1]
	buffer_store_dword v2, off, s[0:3], s32 offset:236 ; 4-byte Folded Spill
	s_nop 0
	buffer_store_dword v3, off, s[0:3], s32 offset:240 ; 4-byte Folded Spill
	s_and_saveexec_b64 s[40:41], vcc
	s_cbranch_execz .LBB251_44
; %bb.43:                               ;   in Loop: Header=BB251_10 Depth=1
	v_mov_b32_e32 v2, 7
	v_and_b32_sdwa v28, v0, v2 dst_sel:DWORD dst_unused:UNUSED_PAD src0_sel:BYTE_1 src1_sel:DWORD
	v_lshrrev_b32_e32 v4, 3, v1
	v_cmp_gt_u32_e32 vcc, 8, v1
	v_ffbh_u32_e32 v1, v28
	v_min_u32_e32 v1, 32, v1
	v_subrev_u32_e32 v2, 28, v1
	v_lshlrev_b64 v[2:3], v2, v[28:29]
	v_sub_u32_e32 v1, 29, v1
	v_and_b32_e32 v2, 7, v2
	v_cndmask_b32_e32 v1, v4, v1, vcc
	v_bfrev_b32_e32 v3, 60
	v_cndmask_b32_e32 v2, v28, v2, vcc
	v_lshlrev_b32_e32 v0, 16, v0
	v_lshl_add_u32 v1, v1, 23, v3
	v_and_or_b32 v0, v0, s27, v1
	v_lshlrev_b32_e32 v1, 20, v2
	v_mov_b32_e32 v19, v45
	v_or_b32_e32 v1, v0, v1
	v_mov_b32_e32 v0, v29
	buffer_store_dword v0, off, s[0:3], s32 offset:236 ; 4-byte Folded Spill
	s_nop 0
	buffer_store_dword v1, off, s[0:3], s32 offset:240 ; 4-byte Folded Spill
.LBB251_44:                             ;   in Loop: Header=BB251_10 Depth=1
	s_or_b64 exec, exec, s[40:41]
.LBB251_45:                             ;   in Loop: Header=BB251_10 Depth=1
	s_or_b64 exec, exec, s[38:39]
.LBB251_46:                             ;   in Loop: Header=BB251_10 Depth=1
	s_or_b64 exec, exec, s[36:37]
	flat_load_ushort v1, v[48:49] offset:12
	v_pk_mov_b32 v[2:3], 0, 0
	buffer_store_dword v2, off, s[0:3], s32 offset:252 ; 4-byte Folded Spill
	s_nop 0
	buffer_store_dword v3, off, s[0:3], s32 offset:256 ; 4-byte Folded Spill
	buffer_store_dword v2, off, s[0:3], s32 offset:244 ; 4-byte Folded Spill
	s_nop 0
	buffer_store_dword v3, off, s[0:3], s32 offset:248 ; 4-byte Folded Spill
	s_waitcnt vmcnt(0) lgkmcnt(0)
	v_and_b32_e32 v0, 0xffff, v1
	v_cmp_ne_u16_sdwa vcc, v1, v29 src0_sel:BYTE_0 src1_sel:DWORD
	s_and_saveexec_b64 s[36:37], vcc
	s_cbranch_execz .LBB251_52
; %bb.47:                               ;   in Loop: Header=BB251_10 Depth=1
	v_bfrev_b32_e32 v2, 1
	v_cmp_ne_u16_sdwa vcc, v0, s21 src0_sel:BYTE_0 src1_sel:DWORD
	v_mov_b32_e32 v3, 0
	buffer_store_dword v2, off, s[0:3], s32 offset:244 ; 4-byte Folded Spill
	s_nop 0
	buffer_store_dword v3, off, s[0:3], s32 offset:248 ; 4-byte Folded Spill
	s_and_saveexec_b64 s[38:39], vcc
	s_cbranch_execz .LBB251_51
; %bb.48:                               ;   in Loop: Header=BB251_10 Depth=1
	v_and_b32_e32 v1, 0x7f, v0
	v_mov_b32_e32 v2, 0x7f800001
	v_cmp_ne_u32_e32 vcc, s43, v1
	v_mov_b32_e32 v3, 0
	buffer_store_dword v2, off, s[0:3], s32 offset:244 ; 4-byte Folded Spill
	s_nop 0
	buffer_store_dword v3, off, s[0:3], s32 offset:248 ; 4-byte Folded Spill
	s_and_saveexec_b64 s[40:41], vcc
	s_cbranch_execz .LBB251_50
; %bb.49:                               ;   in Loop: Header=BB251_10 Depth=1
	v_and_b32_e32 v4, 7, v0
	v_lshrrev_b32_e32 v5, 3, v1
	v_cmp_gt_u32_e32 vcc, 8, v1
	v_ffbh_u32_e32 v1, v4
	v_min_u32_e32 v1, 32, v1
	v_subrev_u32_e32 v2, 28, v1
	v_lshlrev_b64 v[2:3], v2, v[0:1]
	v_sub_u32_e32 v1, 29, v1
	v_and_b32_e32 v2, 7, v2
	v_cndmask_b32_e32 v1, v5, v1, vcc
	v_cndmask_b32_e32 v2, v4, v2, vcc
	v_bfrev_b32_e32 v4, 60
	v_lshlrev_b32_e32 v2, 20, v2
	v_and_b32_sdwa v3, sext(v0), s27 dst_sel:DWORD dst_unused:UNUSED_PAD src0_sel:BYTE_0 src1_sel:DWORD
	v_lshl_add_u32 v1, v1, 23, v4
	v_or3_b32 v28, v3, v1, v2
	v_mov_b32_e32 v19, v45
	buffer_store_dword v28, off, s[0:3], s32 offset:244 ; 4-byte Folded Spill
	s_nop 0
	buffer_store_dword v29, off, s[0:3], s32 offset:248 ; 4-byte Folded Spill
.LBB251_50:                             ;   in Loop: Header=BB251_10 Depth=1
	s_or_b64 exec, exec, s[40:41]
.LBB251_51:                             ;   in Loop: Header=BB251_10 Depth=1
	s_or_b64 exec, exec, s[38:39]
.LBB251_52:                             ;   in Loop: Header=BB251_10 Depth=1
	s_or_b64 exec, exec, s[36:37]
	v_cmp_ne_u16_sdwa vcc, v0, v29 src0_sel:BYTE_1 src1_sel:DWORD
	s_and_saveexec_b64 s[36:37], vcc
	s_cbranch_execz .LBB251_58
; %bb.53:                               ;   in Loop: Header=BB251_10 Depth=1
	v_cmp_ne_u16_sdwa vcc, v0, s21 src0_sel:BYTE_1 src1_sel:DWORD
	v_pk_mov_b32 v[2:3], s[26:27], s[26:27] op_sel:[0,1]
	buffer_store_dword v2, off, s[0:3], s32 offset:252 ; 4-byte Folded Spill
	s_nop 0
	buffer_store_dword v3, off, s[0:3], s32 offset:256 ; 4-byte Folded Spill
	s_and_saveexec_b64 s[38:39], vcc
	s_cbranch_execz .LBB251_57
; %bb.54:                               ;   in Loop: Header=BB251_10 Depth=1
	v_and_b32_sdwa v1, v0, s43 dst_sel:DWORD dst_unused:UNUSED_PAD src0_sel:BYTE_1 src1_sel:DWORD
	s_mov_b32 s34, s26
	v_cmp_ne_u32_e32 vcc, s43, v1
	v_pk_mov_b32 v[2:3], s[34:35], s[34:35] op_sel:[0,1]
	buffer_store_dword v2, off, s[0:3], s32 offset:252 ; 4-byte Folded Spill
	s_nop 0
	buffer_store_dword v3, off, s[0:3], s32 offset:256 ; 4-byte Folded Spill
	s_and_saveexec_b64 s[40:41], vcc
	s_cbranch_execz .LBB251_56
; %bb.55:                               ;   in Loop: Header=BB251_10 Depth=1
	v_mov_b32_e32 v2, 7
	v_and_b32_sdwa v28, v0, v2 dst_sel:DWORD dst_unused:UNUSED_PAD src0_sel:BYTE_1 src1_sel:DWORD
	v_lshrrev_b32_e32 v4, 3, v1
	v_cmp_gt_u32_e32 vcc, 8, v1
	v_ffbh_u32_e32 v1, v28
	v_min_u32_e32 v1, 32, v1
	v_subrev_u32_e32 v2, 28, v1
	v_lshlrev_b64 v[2:3], v2, v[28:29]
	v_sub_u32_e32 v1, 29, v1
	v_and_b32_e32 v2, 7, v2
	v_cndmask_b32_e32 v1, v4, v1, vcc
	v_bfrev_b32_e32 v3, 60
	v_cndmask_b32_e32 v2, v28, v2, vcc
	v_lshlrev_b32_e32 v0, 16, v0
	v_lshl_add_u32 v1, v1, 23, v3
	v_and_or_b32 v0, v0, s27, v1
	v_lshlrev_b32_e32 v1, 20, v2
	v_mov_b32_e32 v19, v45
	v_or_b32_e32 v1, v0, v1
	v_mov_b32_e32 v0, v29
	buffer_store_dword v0, off, s[0:3], s32 offset:252 ; 4-byte Folded Spill
	s_nop 0
	buffer_store_dword v1, off, s[0:3], s32 offset:256 ; 4-byte Folded Spill
.LBB251_56:                             ;   in Loop: Header=BB251_10 Depth=1
	s_or_b64 exec, exec, s[40:41]
.LBB251_57:                             ;   in Loop: Header=BB251_10 Depth=1
	s_or_b64 exec, exec, s[38:39]
.LBB251_58:                             ;   in Loop: Header=BB251_10 Depth=1
	s_or_b64 exec, exec, s[36:37]
	flat_load_ushort v1, v[48:49] offset:512
	v_pk_mov_b32 v[2:3], 0, 0
	buffer_store_dword v2, off, s[0:3], s32 offset:268 ; 4-byte Folded Spill
	s_nop 0
	buffer_store_dword v3, off, s[0:3], s32 offset:272 ; 4-byte Folded Spill
	buffer_store_dword v2, off, s[0:3], s32 offset:260 ; 4-byte Folded Spill
	s_nop 0
	buffer_store_dword v3, off, s[0:3], s32 offset:264 ; 4-byte Folded Spill
	s_waitcnt vmcnt(0) lgkmcnt(0)
	v_and_b32_e32 v0, 0xffff, v1
	v_cmp_ne_u16_sdwa vcc, v1, v29 src0_sel:BYTE_0 src1_sel:DWORD
	s_and_saveexec_b64 s[36:37], vcc
	s_cbranch_execz .LBB251_64
; %bb.59:                               ;   in Loop: Header=BB251_10 Depth=1
	v_bfrev_b32_e32 v2, 1
	v_cmp_ne_u16_sdwa vcc, v0, s21 src0_sel:BYTE_0 src1_sel:DWORD
	v_mov_b32_e32 v3, 0
	buffer_store_dword v2, off, s[0:3], s32 offset:260 ; 4-byte Folded Spill
	s_nop 0
	buffer_store_dword v3, off, s[0:3], s32 offset:264 ; 4-byte Folded Spill
	s_and_saveexec_b64 s[38:39], vcc
	s_cbranch_execz .LBB251_63
; %bb.60:                               ;   in Loop: Header=BB251_10 Depth=1
	v_and_b32_e32 v1, 0x7f, v0
	v_mov_b32_e32 v2, 0x7f800001
	v_cmp_ne_u32_e32 vcc, s43, v1
	v_mov_b32_e32 v3, 0
	buffer_store_dword v2, off, s[0:3], s32 offset:260 ; 4-byte Folded Spill
	s_nop 0
	buffer_store_dword v3, off, s[0:3], s32 offset:264 ; 4-byte Folded Spill
	s_and_saveexec_b64 s[40:41], vcc
	s_cbranch_execz .LBB251_62
; %bb.61:                               ;   in Loop: Header=BB251_10 Depth=1
	v_and_b32_e32 v4, 7, v0
	v_lshrrev_b32_e32 v5, 3, v1
	v_cmp_gt_u32_e32 vcc, 8, v1
	v_ffbh_u32_e32 v1, v4
	v_min_u32_e32 v1, 32, v1
	v_subrev_u32_e32 v2, 28, v1
	v_lshlrev_b64 v[2:3], v2, v[0:1]
	v_sub_u32_e32 v1, 29, v1
	v_and_b32_e32 v2, 7, v2
	v_cndmask_b32_e32 v1, v5, v1, vcc
	v_cndmask_b32_e32 v2, v4, v2, vcc
	v_bfrev_b32_e32 v4, 60
	v_lshlrev_b32_e32 v2, 20, v2
	v_and_b32_sdwa v3, sext(v0), s27 dst_sel:DWORD dst_unused:UNUSED_PAD src0_sel:BYTE_0 src1_sel:DWORD
	v_lshl_add_u32 v1, v1, 23, v4
	v_or3_b32 v28, v3, v1, v2
	v_mov_b32_e32 v19, v45
	buffer_store_dword v28, off, s[0:3], s32 offset:260 ; 4-byte Folded Spill
	s_nop 0
	buffer_store_dword v29, off, s[0:3], s32 offset:264 ; 4-byte Folded Spill
.LBB251_62:                             ;   in Loop: Header=BB251_10 Depth=1
	s_or_b64 exec, exec, s[40:41]
.LBB251_63:                             ;   in Loop: Header=BB251_10 Depth=1
	s_or_b64 exec, exec, s[38:39]
.LBB251_64:                             ;   in Loop: Header=BB251_10 Depth=1
	s_or_b64 exec, exec, s[36:37]
	v_cmp_ne_u16_sdwa vcc, v0, v29 src0_sel:BYTE_1 src1_sel:DWORD
	s_and_saveexec_b64 s[36:37], vcc
	s_cbranch_execz .LBB251_70
; %bb.65:                               ;   in Loop: Header=BB251_10 Depth=1
	v_cmp_ne_u16_sdwa vcc, v0, s21 src0_sel:BYTE_1 src1_sel:DWORD
	v_pk_mov_b32 v[2:3], s[26:27], s[26:27] op_sel:[0,1]
	buffer_store_dword v2, off, s[0:3], s32 offset:268 ; 4-byte Folded Spill
	s_nop 0
	buffer_store_dword v3, off, s[0:3], s32 offset:272 ; 4-byte Folded Spill
	s_and_saveexec_b64 s[38:39], vcc
	s_cbranch_execz .LBB251_69
; %bb.66:                               ;   in Loop: Header=BB251_10 Depth=1
	v_and_b32_sdwa v1, v0, s43 dst_sel:DWORD dst_unused:UNUSED_PAD src0_sel:BYTE_1 src1_sel:DWORD
	s_mov_b32 s34, s26
	v_cmp_ne_u32_e32 vcc, s43, v1
	v_pk_mov_b32 v[2:3], s[34:35], s[34:35] op_sel:[0,1]
	buffer_store_dword v2, off, s[0:3], s32 offset:268 ; 4-byte Folded Spill
	s_nop 0
	buffer_store_dword v3, off, s[0:3], s32 offset:272 ; 4-byte Folded Spill
	s_and_saveexec_b64 s[40:41], vcc
	s_cbranch_execz .LBB251_68
; %bb.67:                               ;   in Loop: Header=BB251_10 Depth=1
	v_mov_b32_e32 v2, 7
	v_and_b32_sdwa v28, v0, v2 dst_sel:DWORD dst_unused:UNUSED_PAD src0_sel:BYTE_1 src1_sel:DWORD
	v_lshrrev_b32_e32 v4, 3, v1
	v_cmp_gt_u32_e32 vcc, 8, v1
	v_ffbh_u32_e32 v1, v28
	v_min_u32_e32 v1, 32, v1
	v_subrev_u32_e32 v2, 28, v1
	v_lshlrev_b64 v[2:3], v2, v[28:29]
	v_sub_u32_e32 v1, 29, v1
	v_and_b32_e32 v2, 7, v2
	v_cndmask_b32_e32 v1, v4, v1, vcc
	v_bfrev_b32_e32 v3, 60
	v_cndmask_b32_e32 v2, v28, v2, vcc
	v_lshlrev_b32_e32 v0, 16, v0
	v_lshl_add_u32 v1, v1, 23, v3
	v_and_or_b32 v0, v0, s27, v1
	v_lshlrev_b32_e32 v1, 20, v2
	v_mov_b32_e32 v19, v45
	v_or_b32_e32 v1, v0, v1
	v_mov_b32_e32 v0, v29
	buffer_store_dword v0, off, s[0:3], s32 offset:268 ; 4-byte Folded Spill
	s_nop 0
	buffer_store_dword v1, off, s[0:3], s32 offset:272 ; 4-byte Folded Spill
.LBB251_68:                             ;   in Loop: Header=BB251_10 Depth=1
	s_or_b64 exec, exec, s[40:41]
.LBB251_69:                             ;   in Loop: Header=BB251_10 Depth=1
	s_or_b64 exec, exec, s[38:39]
.LBB251_70:                             ;   in Loop: Header=BB251_10 Depth=1
	s_or_b64 exec, exec, s[36:37]
	flat_load_ushort v1, v[48:49] offset:516
	v_pk_mov_b32 v[2:3], 0, 0
	buffer_store_dword v2, off, s[0:3], s32 offset:284 ; 4-byte Folded Spill
	s_nop 0
	buffer_store_dword v3, off, s[0:3], s32 offset:288 ; 4-byte Folded Spill
	buffer_store_dword v2, off, s[0:3], s32 offset:276 ; 4-byte Folded Spill
	s_nop 0
	buffer_store_dword v3, off, s[0:3], s32 offset:280 ; 4-byte Folded Spill
	s_waitcnt vmcnt(0) lgkmcnt(0)
	v_and_b32_e32 v0, 0xffff, v1
	v_cmp_ne_u16_sdwa vcc, v1, v29 src0_sel:BYTE_0 src1_sel:DWORD
	s_and_saveexec_b64 s[36:37], vcc
	s_cbranch_execz .LBB251_76
; %bb.71:                               ;   in Loop: Header=BB251_10 Depth=1
	v_bfrev_b32_e32 v2, 1
	v_cmp_ne_u16_sdwa vcc, v0, s21 src0_sel:BYTE_0 src1_sel:DWORD
	v_mov_b32_e32 v3, 0
	buffer_store_dword v2, off, s[0:3], s32 offset:276 ; 4-byte Folded Spill
	s_nop 0
	buffer_store_dword v3, off, s[0:3], s32 offset:280 ; 4-byte Folded Spill
	s_and_saveexec_b64 s[38:39], vcc
	s_cbranch_execz .LBB251_75
; %bb.72:                               ;   in Loop: Header=BB251_10 Depth=1
	v_and_b32_e32 v1, 0x7f, v0
	v_mov_b32_e32 v2, 0x7f800001
	v_cmp_ne_u32_e32 vcc, s43, v1
	v_mov_b32_e32 v3, 0
	buffer_store_dword v2, off, s[0:3], s32 offset:276 ; 4-byte Folded Spill
	s_nop 0
	buffer_store_dword v3, off, s[0:3], s32 offset:280 ; 4-byte Folded Spill
	s_and_saveexec_b64 s[40:41], vcc
	s_cbranch_execz .LBB251_74
; %bb.73:                               ;   in Loop: Header=BB251_10 Depth=1
	v_and_b32_e32 v4, 7, v0
	v_lshrrev_b32_e32 v5, 3, v1
	v_cmp_gt_u32_e32 vcc, 8, v1
	v_ffbh_u32_e32 v1, v4
	v_min_u32_e32 v1, 32, v1
	v_subrev_u32_e32 v2, 28, v1
	v_lshlrev_b64 v[2:3], v2, v[0:1]
	v_sub_u32_e32 v1, 29, v1
	v_and_b32_e32 v2, 7, v2
	v_cndmask_b32_e32 v1, v5, v1, vcc
	v_cndmask_b32_e32 v2, v4, v2, vcc
	v_bfrev_b32_e32 v4, 60
	v_lshlrev_b32_e32 v2, 20, v2
	v_and_b32_sdwa v3, sext(v0), s27 dst_sel:DWORD dst_unused:UNUSED_PAD src0_sel:BYTE_0 src1_sel:DWORD
	v_lshl_add_u32 v1, v1, 23, v4
	v_or3_b32 v28, v3, v1, v2
	v_mov_b32_e32 v19, v45
	buffer_store_dword v28, off, s[0:3], s32 offset:276 ; 4-byte Folded Spill
	s_nop 0
	buffer_store_dword v29, off, s[0:3], s32 offset:280 ; 4-byte Folded Spill
.LBB251_74:                             ;   in Loop: Header=BB251_10 Depth=1
	s_or_b64 exec, exec, s[40:41]
.LBB251_75:                             ;   in Loop: Header=BB251_10 Depth=1
	s_or_b64 exec, exec, s[38:39]
.LBB251_76:                             ;   in Loop: Header=BB251_10 Depth=1
	s_or_b64 exec, exec, s[36:37]
	v_cmp_ne_u16_sdwa vcc, v0, v29 src0_sel:BYTE_1 src1_sel:DWORD
	s_and_saveexec_b64 s[36:37], vcc
	s_cbranch_execz .LBB251_82
; %bb.77:                               ;   in Loop: Header=BB251_10 Depth=1
	v_cmp_ne_u16_sdwa vcc, v0, s21 src0_sel:BYTE_1 src1_sel:DWORD
	v_pk_mov_b32 v[2:3], s[26:27], s[26:27] op_sel:[0,1]
	buffer_store_dword v2, off, s[0:3], s32 offset:284 ; 4-byte Folded Spill
	s_nop 0
	buffer_store_dword v3, off, s[0:3], s32 offset:288 ; 4-byte Folded Spill
	s_and_saveexec_b64 s[38:39], vcc
	s_cbranch_execz .LBB251_81
; %bb.78:                               ;   in Loop: Header=BB251_10 Depth=1
	v_and_b32_sdwa v1, v0, s43 dst_sel:DWORD dst_unused:UNUSED_PAD src0_sel:BYTE_1 src1_sel:DWORD
	s_mov_b32 s34, s26
	v_cmp_ne_u32_e32 vcc, s43, v1
	v_pk_mov_b32 v[2:3], s[34:35], s[34:35] op_sel:[0,1]
	buffer_store_dword v2, off, s[0:3], s32 offset:284 ; 4-byte Folded Spill
	s_nop 0
	buffer_store_dword v3, off, s[0:3], s32 offset:288 ; 4-byte Folded Spill
	s_and_saveexec_b64 s[40:41], vcc
	s_cbranch_execz .LBB251_80
; %bb.79:                               ;   in Loop: Header=BB251_10 Depth=1
	v_mov_b32_e32 v2, 7
	v_and_b32_sdwa v28, v0, v2 dst_sel:DWORD dst_unused:UNUSED_PAD src0_sel:BYTE_1 src1_sel:DWORD
	v_lshrrev_b32_e32 v4, 3, v1
	v_cmp_gt_u32_e32 vcc, 8, v1
	v_ffbh_u32_e32 v1, v28
	v_min_u32_e32 v1, 32, v1
	v_subrev_u32_e32 v2, 28, v1
	v_lshlrev_b64 v[2:3], v2, v[28:29]
	v_sub_u32_e32 v1, 29, v1
	v_and_b32_e32 v2, 7, v2
	v_cndmask_b32_e32 v1, v4, v1, vcc
	v_bfrev_b32_e32 v3, 60
	v_cndmask_b32_e32 v2, v28, v2, vcc
	v_lshlrev_b32_e32 v0, 16, v0
	v_lshl_add_u32 v1, v1, 23, v3
	v_and_or_b32 v0, v0, s27, v1
	v_lshlrev_b32_e32 v1, 20, v2
	v_mov_b32_e32 v19, v45
	v_or_b32_e32 v1, v0, v1
	v_mov_b32_e32 v0, v29
	buffer_store_dword v0, off, s[0:3], s32 offset:284 ; 4-byte Folded Spill
	s_nop 0
	buffer_store_dword v1, off, s[0:3], s32 offset:288 ; 4-byte Folded Spill
.LBB251_80:                             ;   in Loop: Header=BB251_10 Depth=1
	s_or_b64 exec, exec, s[40:41]
.LBB251_81:                             ;   in Loop: Header=BB251_10 Depth=1
	s_or_b64 exec, exec, s[38:39]
.LBB251_82:                             ;   in Loop: Header=BB251_10 Depth=1
	s_or_b64 exec, exec, s[36:37]
	v_add_co_u32_e32 v0, vcc, 0x200, v48
	v_addc_co_u32_e32 v1, vcc, 0, v49, vcc
	flat_load_ushort v3, v[0:1] offset:8
	v_pk_mov_b32 v[4:5], 0, 0
	v_accvgpr_write_b32 a2, v4
	v_accvgpr_write_b32 a3, v5
	buffer_store_dword v4, off, s[0:3], s32 offset:292 ; 4-byte Folded Spill
	s_nop 0
	buffer_store_dword v5, off, s[0:3], s32 offset:296 ; 4-byte Folded Spill
	s_waitcnt vmcnt(0) lgkmcnt(0)
	v_and_b32_e32 v2, 0xffff, v3
	v_cmp_ne_u16_sdwa vcc, v3, v29 src0_sel:BYTE_0 src1_sel:DWORD
	s_and_saveexec_b64 s[36:37], vcc
	s_cbranch_execz .LBB251_88
; %bb.83:                               ;   in Loop: Header=BB251_10 Depth=1
	v_bfrev_b32_e32 v4, 1
	v_cmp_ne_u16_sdwa vcc, v2, s21 src0_sel:BYTE_0 src1_sel:DWORD
	v_mov_b32_e32 v5, 0
	buffer_store_dword v4, off, s[0:3], s32 offset:292 ; 4-byte Folded Spill
	s_nop 0
	buffer_store_dword v5, off, s[0:3], s32 offset:296 ; 4-byte Folded Spill
	s_and_saveexec_b64 s[38:39], vcc
	s_cbranch_execz .LBB251_87
; %bb.84:                               ;   in Loop: Header=BB251_10 Depth=1
	v_and_b32_e32 v3, 0x7f, v2
	v_mov_b32_e32 v4, 0x7f800001
	v_cmp_ne_u32_e32 vcc, s43, v3
	v_mov_b32_e32 v5, 0
	buffer_store_dword v4, off, s[0:3], s32 offset:292 ; 4-byte Folded Spill
	s_nop 0
	buffer_store_dword v5, off, s[0:3], s32 offset:296 ; 4-byte Folded Spill
	s_and_saveexec_b64 s[40:41], vcc
	s_cbranch_execz .LBB251_86
; %bb.85:                               ;   in Loop: Header=BB251_10 Depth=1
	v_and_b32_e32 v4, 7, v2
	v_lshrrev_b32_e32 v5, 3, v3
	v_cmp_gt_u32_e32 vcc, 8, v3
	v_ffbh_u32_e32 v3, v4
	v_min_u32_e32 v3, 32, v3
	v_subrev_u32_e32 v6, 28, v3
	v_lshlrev_b64 v[6:7], v6, v[2:3]
	v_sub_u32_e32 v3, 29, v3
	v_and_b32_e32 v6, 7, v6
	v_cndmask_b32_e32 v3, v5, v3, vcc
	v_cndmask_b32_e32 v4, v4, v6, vcc
	v_bfrev_b32_e32 v6, 60
	v_lshlrev_b32_e32 v4, 20, v4
	v_and_b32_sdwa v5, sext(v2), s27 dst_sel:DWORD dst_unused:UNUSED_PAD src0_sel:BYTE_0 src1_sel:DWORD
	v_lshl_add_u32 v3, v3, 23, v6
	v_or3_b32 v28, v5, v3, v4
	v_mov_b32_e32 v19, v45
	buffer_store_dword v28, off, s[0:3], s32 offset:292 ; 4-byte Folded Spill
	s_nop 0
	buffer_store_dword v29, off, s[0:3], s32 offset:296 ; 4-byte Folded Spill
.LBB251_86:                             ;   in Loop: Header=BB251_10 Depth=1
	s_or_b64 exec, exec, s[40:41]
.LBB251_87:                             ;   in Loop: Header=BB251_10 Depth=1
	s_or_b64 exec, exec, s[38:39]
.LBB251_88:                             ;   in Loop: Header=BB251_10 Depth=1
	s_or_b64 exec, exec, s[36:37]
	v_cmp_ne_u16_sdwa vcc, v2, v29 src0_sel:BYTE_1 src1_sel:DWORD
	s_and_saveexec_b64 s[36:37], vcc
	s_cbranch_execz .LBB251_94
; %bb.89:                               ;   in Loop: Header=BB251_10 Depth=1
	v_accvgpr_write_b32 a2, s26
	v_cmp_ne_u16_sdwa vcc, v2, s21 src0_sel:BYTE_1 src1_sel:DWORD
	v_accvgpr_write_b32 a3, s27
	s_and_saveexec_b64 s[38:39], vcc
	s_cbranch_execz .LBB251_93
; %bb.90:                               ;   in Loop: Header=BB251_10 Depth=1
	s_mov_b32 s34, s26
	v_and_b32_sdwa v3, v2, s43 dst_sel:DWORD dst_unused:UNUSED_PAD src0_sel:BYTE_1 src1_sel:DWORD
	v_accvgpr_write_b32 a2, s34
	v_cmp_ne_u32_e32 vcc, s43, v3
	v_accvgpr_write_b32 a3, s35
	s_and_saveexec_b64 s[40:41], vcc
	s_cbranch_execz .LBB251_92
; %bb.91:                               ;   in Loop: Header=BB251_10 Depth=1
	v_mov_b32_e32 v4, 7
	v_and_b32_sdwa v28, v2, v4 dst_sel:DWORD dst_unused:UNUSED_PAD src0_sel:BYTE_1 src1_sel:DWORD
	v_lshrrev_b32_e32 v4, 3, v3
	v_cmp_gt_u32_e32 vcc, 8, v3
	v_ffbh_u32_e32 v3, v28
	v_min_u32_e32 v3, 32, v3
	v_subrev_u32_e32 v5, 28, v3
	v_lshlrev_b64 v[6:7], v5, v[28:29]
	v_sub_u32_e32 v3, 29, v3
	v_and_b32_e32 v5, 7, v6
	v_cndmask_b32_e32 v3, v4, v3, vcc
	v_cndmask_b32_e32 v4, v28, v5, vcc
	v_bfrev_b32_e32 v5, 60
	v_lshlrev_b32_e32 v2, 16, v2
	v_lshl_add_u32 v3, v3, 23, v5
	v_and_or_b32 v2, v2, s27, v3
	v_lshlrev_b32_e32 v3, 20, v4
	v_or_b32_e32 v3, v2, v3
	v_mov_b32_e32 v2, v29
	v_accvgpr_write_b32 a2, v2
	v_mov_b32_e32 v19, v45
	v_accvgpr_write_b32 a3, v3
.LBB251_92:                             ;   in Loop: Header=BB251_10 Depth=1
	s_or_b64 exec, exec, s[40:41]
.LBB251_93:                             ;   in Loop: Header=BB251_10 Depth=1
	s_or_b64 exec, exec, s[38:39]
.LBB251_94:                             ;   in Loop: Header=BB251_10 Depth=1
	s_or_b64 exec, exec, s[36:37]
	flat_load_ushort v1, v[0:1] offset:12
	v_pk_mov_b32 v[2:3], 0, 0
	v_accvgpr_write_b32 a19, v3
	v_accvgpr_write_b32 a27, v3
	;; [unrolled: 1-line block ×4, first 2 shown]
	s_waitcnt vmcnt(0) lgkmcnt(0)
	v_and_b32_e32 v0, 0xffff, v1
	v_cmp_ne_u16_sdwa vcc, v1, v29 src0_sel:BYTE_0 src1_sel:DWORD
	s_and_saveexec_b64 s[36:37], vcc
	s_cbranch_execz .LBB251_100
; %bb.95:                               ;   in Loop: Header=BB251_10 Depth=1
	v_bfrev_b32_e32 v2, 1
	v_mov_b32_e32 v3, 0
	v_accvgpr_write_b32 a27, v3
	v_cmp_ne_u16_sdwa vcc, v0, s21 src0_sel:BYTE_0 src1_sel:DWORD
	v_accvgpr_write_b32 a26, v2
	s_and_saveexec_b64 s[38:39], vcc
	s_cbranch_execz .LBB251_99
; %bb.96:                               ;   in Loop: Header=BB251_10 Depth=1
	v_mov_b32_e32 v2, 0x7f800001
	v_mov_b32_e32 v3, 0
	v_and_b32_e32 v1, 0x7f, v0
	v_accvgpr_write_b32 a27, v3
	v_cmp_ne_u32_e32 vcc, s43, v1
	v_accvgpr_write_b32 a26, v2
	s_and_saveexec_b64 s[40:41], vcc
	s_cbranch_execz .LBB251_98
; %bb.97:                               ;   in Loop: Header=BB251_10 Depth=1
	v_and_b32_e32 v4, 7, v0
	v_lshrrev_b32_e32 v5, 3, v1
	v_cmp_gt_u32_e32 vcc, 8, v1
	v_ffbh_u32_e32 v1, v4
	v_min_u32_e32 v1, 32, v1
	v_subrev_u32_e32 v2, 28, v1
	v_lshlrev_b64 v[2:3], v2, v[0:1]
	v_sub_u32_e32 v1, 29, v1
	v_and_b32_e32 v2, 7, v2
	v_cndmask_b32_e32 v1, v5, v1, vcc
	v_cndmask_b32_e32 v2, v4, v2, vcc
	v_bfrev_b32_e32 v4, 60
	v_lshlrev_b32_e32 v2, 20, v2
	v_and_b32_sdwa v3, sext(v0), s27 dst_sel:DWORD dst_unused:UNUSED_PAD src0_sel:BYTE_0 src1_sel:DWORD
	v_lshl_add_u32 v1, v1, 23, v4
	v_or3_b32 v28, v3, v1, v2
	v_accvgpr_write_b32 a26, v28
	v_accvgpr_write_b32 a27, v29
	v_mov_b32_e32 v19, v45
.LBB251_98:                             ;   in Loop: Header=BB251_10 Depth=1
	s_or_b64 exec, exec, s[40:41]
.LBB251_99:                             ;   in Loop: Header=BB251_10 Depth=1
	s_or_b64 exec, exec, s[38:39]
.LBB251_100:                            ;   in Loop: Header=BB251_10 Depth=1
	s_or_b64 exec, exec, s[36:37]
	v_cmp_ne_u16_sdwa vcc, v0, v29 src0_sel:BYTE_1 src1_sel:DWORD
	s_and_saveexec_b64 s[36:37], vcc
	s_cbranch_execz .LBB251_106
; %bb.101:                              ;   in Loop: Header=BB251_10 Depth=1
	v_accvgpr_write_b32 a18, s26
	v_cmp_ne_u16_sdwa vcc, v0, s21 src0_sel:BYTE_1 src1_sel:DWORD
	v_accvgpr_write_b32 a19, s27
	s_and_saveexec_b64 s[38:39], vcc
	s_cbranch_execz .LBB251_105
; %bb.102:                              ;   in Loop: Header=BB251_10 Depth=1
	s_mov_b32 s34, s26
	v_and_b32_sdwa v1, v0, s43 dst_sel:DWORD dst_unused:UNUSED_PAD src0_sel:BYTE_1 src1_sel:DWORD
	v_accvgpr_write_b32 a18, s34
	v_cmp_ne_u32_e32 vcc, s43, v1
	v_accvgpr_write_b32 a19, s35
	s_and_saveexec_b64 s[40:41], vcc
	s_cbranch_execz .LBB251_104
; %bb.103:                              ;   in Loop: Header=BB251_10 Depth=1
	v_mov_b32_e32 v2, 7
	v_and_b32_sdwa v28, v0, v2 dst_sel:DWORD dst_unused:UNUSED_PAD src0_sel:BYTE_1 src1_sel:DWORD
	v_lshrrev_b32_e32 v4, 3, v1
	v_cmp_gt_u32_e32 vcc, 8, v1
	v_ffbh_u32_e32 v1, v28
	v_min_u32_e32 v1, 32, v1
	v_subrev_u32_e32 v2, 28, v1
	v_lshlrev_b64 v[2:3], v2, v[28:29]
	v_sub_u32_e32 v1, 29, v1
	v_and_b32_e32 v2, 7, v2
	v_cndmask_b32_e32 v1, v4, v1, vcc
	v_bfrev_b32_e32 v3, 60
	v_cndmask_b32_e32 v2, v28, v2, vcc
	v_lshlrev_b32_e32 v0, 16, v0
	v_lshl_add_u32 v1, v1, 23, v3
	v_and_or_b32 v0, v0, s27, v1
	v_lshlrev_b32_e32 v1, 20, v2
	v_or_b32_e32 v1, v0, v1
	v_mov_b32_e32 v0, v29
	v_accvgpr_write_b32 a19, v1
	v_mov_b32_e32 v19, v45
	v_accvgpr_write_b32 a18, v0
.LBB251_104:                            ;   in Loop: Header=BB251_10 Depth=1
	s_or_b64 exec, exec, s[40:41]
.LBB251_105:                            ;   in Loop: Header=BB251_10 Depth=1
	s_or_b64 exec, exec, s[38:39]
.LBB251_106:                            ;   in Loop: Header=BB251_10 Depth=1
	s_or_b64 exec, exec, s[36:37]
	flat_load_ushort v1, v[48:49] offset:1024
	v_pk_mov_b32 v[2:3], 0, 0
	v_accvgpr_write_b32 a29, v3
	v_accvgpr_write_b32 a9, v3
	;; [unrolled: 1-line block ×4, first 2 shown]
	s_waitcnt vmcnt(0) lgkmcnt(0)
	v_and_b32_e32 v0, 0xffff, v1
	v_cmp_ne_u16_sdwa vcc, v1, v29 src0_sel:BYTE_0 src1_sel:DWORD
	s_and_saveexec_b64 s[36:37], vcc
	s_cbranch_execz .LBB251_112
; %bb.107:                              ;   in Loop: Header=BB251_10 Depth=1
	v_bfrev_b32_e32 v2, 1
	v_mov_b32_e32 v3, 0
	v_accvgpr_write_b32 a9, v3
	v_cmp_ne_u16_sdwa vcc, v0, s21 src0_sel:BYTE_0 src1_sel:DWORD
	v_accvgpr_write_b32 a8, v2
	s_and_saveexec_b64 s[38:39], vcc
	s_cbranch_execz .LBB251_111
; %bb.108:                              ;   in Loop: Header=BB251_10 Depth=1
	v_mov_b32_e32 v2, 0x7f800001
	v_mov_b32_e32 v3, 0
	v_and_b32_e32 v1, 0x7f, v0
	v_accvgpr_write_b32 a9, v3
	v_cmp_ne_u32_e32 vcc, s43, v1
	v_accvgpr_write_b32 a8, v2
	s_and_saveexec_b64 s[40:41], vcc
	s_cbranch_execz .LBB251_110
; %bb.109:                              ;   in Loop: Header=BB251_10 Depth=1
	v_and_b32_e32 v4, 7, v0
	v_lshrrev_b32_e32 v5, 3, v1
	v_cmp_gt_u32_e32 vcc, 8, v1
	v_ffbh_u32_e32 v1, v4
	v_min_u32_e32 v1, 32, v1
	v_subrev_u32_e32 v2, 28, v1
	v_lshlrev_b64 v[2:3], v2, v[0:1]
	v_sub_u32_e32 v1, 29, v1
	v_and_b32_e32 v2, 7, v2
	v_cndmask_b32_e32 v1, v5, v1, vcc
	v_cndmask_b32_e32 v2, v4, v2, vcc
	v_bfrev_b32_e32 v4, 60
	v_lshlrev_b32_e32 v2, 20, v2
	v_and_b32_sdwa v3, sext(v0), s27 dst_sel:DWORD dst_unused:UNUSED_PAD src0_sel:BYTE_0 src1_sel:DWORD
	v_lshl_add_u32 v1, v1, 23, v4
	v_or3_b32 v28, v3, v1, v2
	v_accvgpr_write_b32 a8, v28
	v_accvgpr_write_b32 a9, v29
	v_mov_b32_e32 v19, v45
.LBB251_110:                            ;   in Loop: Header=BB251_10 Depth=1
	s_or_b64 exec, exec, s[40:41]
.LBB251_111:                            ;   in Loop: Header=BB251_10 Depth=1
	s_or_b64 exec, exec, s[38:39]
.LBB251_112:                            ;   in Loop: Header=BB251_10 Depth=1
	s_or_b64 exec, exec, s[36:37]
	v_cmp_ne_u16_sdwa vcc, v0, v29 src0_sel:BYTE_1 src1_sel:DWORD
	s_and_saveexec_b64 s[36:37], vcc
	s_cbranch_execz .LBB251_118
; %bb.113:                              ;   in Loop: Header=BB251_10 Depth=1
	v_accvgpr_write_b32 a29, s27
	v_cmp_ne_u16_sdwa vcc, v0, s21 src0_sel:BYTE_1 src1_sel:DWORD
	v_accvgpr_write_b32 a28, s26
	s_and_saveexec_b64 s[38:39], vcc
	s_cbranch_execz .LBB251_117
; %bb.114:                              ;   in Loop: Header=BB251_10 Depth=1
	s_mov_b32 s34, s26
	v_and_b32_sdwa v1, v0, s43 dst_sel:DWORD dst_unused:UNUSED_PAD src0_sel:BYTE_1 src1_sel:DWORD
	v_accvgpr_write_b32 a28, s34
	v_cmp_ne_u32_e32 vcc, s43, v1
	v_accvgpr_write_b32 a29, s35
	s_and_saveexec_b64 s[40:41], vcc
	s_cbranch_execz .LBB251_116
; %bb.115:                              ;   in Loop: Header=BB251_10 Depth=1
	v_mov_b32_e32 v2, 7
	v_and_b32_sdwa v28, v0, v2 dst_sel:DWORD dst_unused:UNUSED_PAD src0_sel:BYTE_1 src1_sel:DWORD
	v_lshrrev_b32_e32 v4, 3, v1
	v_cmp_gt_u32_e32 vcc, 8, v1
	v_ffbh_u32_e32 v1, v28
	v_min_u32_e32 v1, 32, v1
	v_subrev_u32_e32 v2, 28, v1
	v_lshlrev_b64 v[2:3], v2, v[28:29]
	v_sub_u32_e32 v1, 29, v1
	v_and_b32_e32 v2, 7, v2
	v_cndmask_b32_e32 v1, v4, v1, vcc
	v_bfrev_b32_e32 v3, 60
	v_cndmask_b32_e32 v2, v28, v2, vcc
	v_lshlrev_b32_e32 v0, 16, v0
	v_lshl_add_u32 v1, v1, 23, v3
	v_and_or_b32 v0, v0, s27, v1
	v_lshlrev_b32_e32 v1, 20, v2
	v_or_b32_e32 v1, v0, v1
	v_mov_b32_e32 v0, v29
	v_accvgpr_write_b32 a29, v1
	v_mov_b32_e32 v19, v45
	v_accvgpr_write_b32 a28, v0
.LBB251_116:                            ;   in Loop: Header=BB251_10 Depth=1
	s_or_b64 exec, exec, s[40:41]
.LBB251_117:                            ;   in Loop: Header=BB251_10 Depth=1
	s_or_b64 exec, exec, s[38:39]
.LBB251_118:                            ;   in Loop: Header=BB251_10 Depth=1
	s_or_b64 exec, exec, s[36:37]
	flat_load_ushort v1, v[48:49] offset:1028
	v_pk_mov_b32 v[2:3], 0, 0
	v_accvgpr_write_b32 a11, v3
	v_accvgpr_write_b32 a31, v3
	;; [unrolled: 1-line block ×4, first 2 shown]
	s_waitcnt vmcnt(0) lgkmcnt(0)
	v_and_b32_e32 v0, 0xffff, v1
	v_cmp_ne_u16_sdwa vcc, v1, v29 src0_sel:BYTE_0 src1_sel:DWORD
	s_and_saveexec_b64 s[36:37], vcc
	s_cbranch_execz .LBB251_124
; %bb.119:                              ;   in Loop: Header=BB251_10 Depth=1
	v_bfrev_b32_e32 v2, 1
	v_mov_b32_e32 v3, 0
	v_accvgpr_write_b32 a31, v3
	v_cmp_ne_u16_sdwa vcc, v0, s21 src0_sel:BYTE_0 src1_sel:DWORD
	v_accvgpr_write_b32 a30, v2
	s_and_saveexec_b64 s[38:39], vcc
	s_cbranch_execz .LBB251_123
; %bb.120:                              ;   in Loop: Header=BB251_10 Depth=1
	v_mov_b32_e32 v2, 0x7f800001
	v_mov_b32_e32 v3, 0
	v_and_b32_e32 v1, 0x7f, v0
	v_accvgpr_write_b32 a31, v3
	v_cmp_ne_u32_e32 vcc, s43, v1
	v_accvgpr_write_b32 a30, v2
	s_and_saveexec_b64 s[40:41], vcc
	s_cbranch_execz .LBB251_122
; %bb.121:                              ;   in Loop: Header=BB251_10 Depth=1
	v_and_b32_e32 v4, 7, v0
	v_lshrrev_b32_e32 v5, 3, v1
	v_cmp_gt_u32_e32 vcc, 8, v1
	v_ffbh_u32_e32 v1, v4
	v_min_u32_e32 v1, 32, v1
	v_subrev_u32_e32 v2, 28, v1
	v_lshlrev_b64 v[2:3], v2, v[0:1]
	v_sub_u32_e32 v1, 29, v1
	v_and_b32_e32 v2, 7, v2
	v_cndmask_b32_e32 v1, v5, v1, vcc
	v_cndmask_b32_e32 v2, v4, v2, vcc
	v_bfrev_b32_e32 v4, 60
	v_lshlrev_b32_e32 v2, 20, v2
	v_and_b32_sdwa v3, sext(v0), s27 dst_sel:DWORD dst_unused:UNUSED_PAD src0_sel:BYTE_0 src1_sel:DWORD
	v_lshl_add_u32 v1, v1, 23, v4
	v_or3_b32 v28, v3, v1, v2
	v_accvgpr_write_b32 a31, v29
	v_accvgpr_write_b32 a30, v28
	v_mov_b32_e32 v19, v45
.LBB251_122:                            ;   in Loop: Header=BB251_10 Depth=1
	s_or_b64 exec, exec, s[40:41]
.LBB251_123:                            ;   in Loop: Header=BB251_10 Depth=1
	s_or_b64 exec, exec, s[38:39]
.LBB251_124:                            ;   in Loop: Header=BB251_10 Depth=1
	s_or_b64 exec, exec, s[36:37]
	v_cmp_ne_u16_sdwa vcc, v0, v29 src0_sel:BYTE_1 src1_sel:DWORD
	s_and_saveexec_b64 s[36:37], vcc
	s_cbranch_execz .LBB251_130
; %bb.125:                              ;   in Loop: Header=BB251_10 Depth=1
	v_accvgpr_write_b32 a10, s26
	v_cmp_ne_u16_sdwa vcc, v0, s21 src0_sel:BYTE_1 src1_sel:DWORD
	v_accvgpr_write_b32 a11, s27
	s_and_saveexec_b64 s[38:39], vcc
	s_cbranch_execz .LBB251_129
; %bb.126:                              ;   in Loop: Header=BB251_10 Depth=1
	s_mov_b32 s34, s26
	v_and_b32_sdwa v1, v0, s43 dst_sel:DWORD dst_unused:UNUSED_PAD src0_sel:BYTE_1 src1_sel:DWORD
	v_accvgpr_write_b32 a10, s34
	v_cmp_ne_u32_e32 vcc, s43, v1
	v_accvgpr_write_b32 a11, s35
	s_and_saveexec_b64 s[40:41], vcc
	s_cbranch_execz .LBB251_128
; %bb.127:                              ;   in Loop: Header=BB251_10 Depth=1
	v_mov_b32_e32 v2, 7
	v_and_b32_sdwa v28, v0, v2 dst_sel:DWORD dst_unused:UNUSED_PAD src0_sel:BYTE_1 src1_sel:DWORD
	v_lshrrev_b32_e32 v4, 3, v1
	v_cmp_gt_u32_e32 vcc, 8, v1
	v_ffbh_u32_e32 v1, v28
	v_min_u32_e32 v1, 32, v1
	v_subrev_u32_e32 v2, 28, v1
	v_lshlrev_b64 v[2:3], v2, v[28:29]
	v_sub_u32_e32 v1, 29, v1
	v_and_b32_e32 v2, 7, v2
	v_cndmask_b32_e32 v1, v4, v1, vcc
	v_bfrev_b32_e32 v3, 60
	v_cndmask_b32_e32 v2, v28, v2, vcc
	v_lshlrev_b32_e32 v0, 16, v0
	v_lshl_add_u32 v1, v1, 23, v3
	v_and_or_b32 v0, v0, s27, v1
	v_lshlrev_b32_e32 v1, 20, v2
	v_or_b32_e32 v1, v0, v1
	v_mov_b32_e32 v0, v29
	v_accvgpr_write_b32 a11, v1
	v_mov_b32_e32 v19, v45
	v_accvgpr_write_b32 a10, v0
.LBB251_128:                            ;   in Loop: Header=BB251_10 Depth=1
	s_or_b64 exec, exec, s[40:41]
.LBB251_129:                            ;   in Loop: Header=BB251_10 Depth=1
	s_or_b64 exec, exec, s[38:39]
.LBB251_130:                            ;   in Loop: Header=BB251_10 Depth=1
	s_or_b64 exec, exec, s[36:37]
	v_add_co_u32_e32 v0, vcc, 0x400, v48
	v_addc_co_u32_e32 v1, vcc, 0, v49, vcc
	flat_load_ushort v3, v[0:1] offset:8
	v_pk_mov_b32 v[4:5], 0, 0
	v_accvgpr_write_b32 a33, v5
	v_accvgpr_write_b32 a35, v5
	v_accvgpr_write_b32 a32, v4
	v_accvgpr_write_b32 a34, v4
	s_waitcnt vmcnt(0) lgkmcnt(0)
	v_and_b32_e32 v2, 0xffff, v3
	v_cmp_ne_u16_sdwa vcc, v3, v29 src0_sel:BYTE_0 src1_sel:DWORD
	s_and_saveexec_b64 s[36:37], vcc
	s_cbranch_execz .LBB251_136
; %bb.131:                              ;   in Loop: Header=BB251_10 Depth=1
	v_bfrev_b32_e32 v4, 1
	v_mov_b32_e32 v5, 0
	v_accvgpr_write_b32 a35, v5
	v_cmp_ne_u16_sdwa vcc, v2, s21 src0_sel:BYTE_0 src1_sel:DWORD
	v_accvgpr_write_b32 a34, v4
	s_and_saveexec_b64 s[38:39], vcc
	s_cbranch_execz .LBB251_135
; %bb.132:                              ;   in Loop: Header=BB251_10 Depth=1
	v_mov_b32_e32 v4, 0x7f800001
	v_mov_b32_e32 v5, 0
	v_and_b32_e32 v3, 0x7f, v2
	v_accvgpr_write_b32 a35, v5
	v_cmp_ne_u32_e32 vcc, s43, v3
	v_accvgpr_write_b32 a34, v4
	s_and_saveexec_b64 s[40:41], vcc
	s_cbranch_execz .LBB251_134
; %bb.133:                              ;   in Loop: Header=BB251_10 Depth=1
	v_and_b32_e32 v4, 7, v2
	v_lshrrev_b32_e32 v5, 3, v3
	v_cmp_gt_u32_e32 vcc, 8, v3
	v_ffbh_u32_e32 v3, v4
	v_min_u32_e32 v3, 32, v3
	v_subrev_u32_e32 v6, 28, v3
	v_lshlrev_b64 v[6:7], v6, v[2:3]
	v_sub_u32_e32 v3, 29, v3
	v_and_b32_e32 v6, 7, v6
	v_cndmask_b32_e32 v3, v5, v3, vcc
	v_cndmask_b32_e32 v4, v4, v6, vcc
	v_bfrev_b32_e32 v6, 60
	v_lshlrev_b32_e32 v4, 20, v4
	v_and_b32_sdwa v5, sext(v2), s27 dst_sel:DWORD dst_unused:UNUSED_PAD src0_sel:BYTE_0 src1_sel:DWORD
	v_lshl_add_u32 v3, v3, 23, v6
	v_or3_b32 v28, v5, v3, v4
	v_accvgpr_write_b32 a35, v29
	v_accvgpr_write_b32 a34, v28
	v_mov_b32_e32 v19, v45
.LBB251_134:                            ;   in Loop: Header=BB251_10 Depth=1
	s_or_b64 exec, exec, s[40:41]
.LBB251_135:                            ;   in Loop: Header=BB251_10 Depth=1
	s_or_b64 exec, exec, s[38:39]
.LBB251_136:                            ;   in Loop: Header=BB251_10 Depth=1
	s_or_b64 exec, exec, s[36:37]
	v_cmp_ne_u16_sdwa vcc, v2, v29 src0_sel:BYTE_1 src1_sel:DWORD
	s_and_saveexec_b64 s[36:37], vcc
	s_cbranch_execz .LBB251_142
; %bb.137:                              ;   in Loop: Header=BB251_10 Depth=1
	v_accvgpr_write_b32 a33, s27
	v_cmp_ne_u16_sdwa vcc, v2, s21 src0_sel:BYTE_1 src1_sel:DWORD
	v_accvgpr_write_b32 a32, s26
	s_and_saveexec_b64 s[38:39], vcc
	s_cbranch_execz .LBB251_141
; %bb.138:                              ;   in Loop: Header=BB251_10 Depth=1
	s_mov_b32 s34, s26
	v_and_b32_sdwa v3, v2, s43 dst_sel:DWORD dst_unused:UNUSED_PAD src0_sel:BYTE_1 src1_sel:DWORD
	v_accvgpr_write_b32 a32, s34
	v_cmp_ne_u32_e32 vcc, s43, v3
	v_accvgpr_write_b32 a33, s35
	s_and_saveexec_b64 s[40:41], vcc
	s_cbranch_execz .LBB251_140
; %bb.139:                              ;   in Loop: Header=BB251_10 Depth=1
	v_mov_b32_e32 v4, 7
	v_and_b32_sdwa v28, v2, v4 dst_sel:DWORD dst_unused:UNUSED_PAD src0_sel:BYTE_1 src1_sel:DWORD
	v_lshrrev_b32_e32 v4, 3, v3
	v_cmp_gt_u32_e32 vcc, 8, v3
	v_ffbh_u32_e32 v3, v28
	v_min_u32_e32 v3, 32, v3
	v_subrev_u32_e32 v5, 28, v3
	v_lshlrev_b64 v[6:7], v5, v[28:29]
	v_sub_u32_e32 v3, 29, v3
	v_and_b32_e32 v5, 7, v6
	v_cndmask_b32_e32 v3, v4, v3, vcc
	v_cndmask_b32_e32 v4, v28, v5, vcc
	v_bfrev_b32_e32 v5, 60
	v_lshlrev_b32_e32 v2, 16, v2
	v_lshl_add_u32 v3, v3, 23, v5
	v_and_or_b32 v2, v2, s27, v3
	v_lshlrev_b32_e32 v3, 20, v4
	v_or_b32_e32 v3, v2, v3
	v_mov_b32_e32 v2, v29
	v_accvgpr_write_b32 a33, v3
	v_mov_b32_e32 v19, v45
	v_accvgpr_write_b32 a32, v2
.LBB251_140:                            ;   in Loop: Header=BB251_10 Depth=1
	s_or_b64 exec, exec, s[40:41]
.LBB251_141:                            ;   in Loop: Header=BB251_10 Depth=1
	s_or_b64 exec, exec, s[38:39]
.LBB251_142:                            ;   in Loop: Header=BB251_10 Depth=1
	s_or_b64 exec, exec, s[36:37]
	flat_load_ushort v1, v[0:1] offset:12
	v_pk_mov_b32 v[2:3], 0, 0
	v_accvgpr_write_b32 a37, v3
	v_accvgpr_write_b32 a39, v3
	;; [unrolled: 1-line block ×4, first 2 shown]
	s_waitcnt vmcnt(0) lgkmcnt(0)
	v_and_b32_e32 v0, 0xffff, v1
	v_cmp_ne_u16_sdwa vcc, v1, v29 src0_sel:BYTE_0 src1_sel:DWORD
	s_and_saveexec_b64 s[36:37], vcc
	s_cbranch_execz .LBB251_148
; %bb.143:                              ;   in Loop: Header=BB251_10 Depth=1
	v_bfrev_b32_e32 v2, 1
	v_mov_b32_e32 v3, 0
	v_accvgpr_write_b32 a39, v3
	v_cmp_ne_u16_sdwa vcc, v0, s21 src0_sel:BYTE_0 src1_sel:DWORD
	v_accvgpr_write_b32 a38, v2
	s_and_saveexec_b64 s[38:39], vcc
	s_cbranch_execz .LBB251_147
; %bb.144:                              ;   in Loop: Header=BB251_10 Depth=1
	v_mov_b32_e32 v2, 0x7f800001
	v_mov_b32_e32 v3, 0
	v_and_b32_e32 v1, 0x7f, v0
	v_accvgpr_write_b32 a39, v3
	v_cmp_ne_u32_e32 vcc, s43, v1
	v_accvgpr_write_b32 a38, v2
	s_and_saveexec_b64 s[40:41], vcc
	s_cbranch_execz .LBB251_146
; %bb.145:                              ;   in Loop: Header=BB251_10 Depth=1
	v_and_b32_e32 v4, 7, v0
	v_lshrrev_b32_e32 v5, 3, v1
	v_cmp_gt_u32_e32 vcc, 8, v1
	v_ffbh_u32_e32 v1, v4
	v_min_u32_e32 v1, 32, v1
	v_subrev_u32_e32 v2, 28, v1
	v_lshlrev_b64 v[2:3], v2, v[0:1]
	v_sub_u32_e32 v1, 29, v1
	v_and_b32_e32 v2, 7, v2
	v_cndmask_b32_e32 v1, v5, v1, vcc
	v_cndmask_b32_e32 v2, v4, v2, vcc
	v_bfrev_b32_e32 v4, 60
	v_lshlrev_b32_e32 v2, 20, v2
	v_and_b32_sdwa v3, sext(v0), s27 dst_sel:DWORD dst_unused:UNUSED_PAD src0_sel:BYTE_0 src1_sel:DWORD
	v_lshl_add_u32 v1, v1, 23, v4
	v_or3_b32 v28, v3, v1, v2
	v_accvgpr_write_b32 a39, v29
	v_accvgpr_write_b32 a38, v28
	v_mov_b32_e32 v19, v45
.LBB251_146:                            ;   in Loop: Header=BB251_10 Depth=1
	s_or_b64 exec, exec, s[40:41]
.LBB251_147:                            ;   in Loop: Header=BB251_10 Depth=1
	s_or_b64 exec, exec, s[38:39]
.LBB251_148:                            ;   in Loop: Header=BB251_10 Depth=1
	s_or_b64 exec, exec, s[36:37]
	v_cmp_ne_u16_sdwa vcc, v0, v29 src0_sel:BYTE_1 src1_sel:DWORD
	s_and_saveexec_b64 s[36:37], vcc
	s_cbranch_execz .LBB251_154
; %bb.149:                              ;   in Loop: Header=BB251_10 Depth=1
	v_accvgpr_write_b32 a37, s27
	v_cmp_ne_u16_sdwa vcc, v0, s21 src0_sel:BYTE_1 src1_sel:DWORD
	v_accvgpr_write_b32 a36, s26
	s_and_saveexec_b64 s[38:39], vcc
	s_cbranch_execz .LBB251_153
; %bb.150:                              ;   in Loop: Header=BB251_10 Depth=1
	v_and_b32_sdwa v1, v0, s43 dst_sel:DWORD dst_unused:UNUSED_PAD src0_sel:BYTE_1 src1_sel:DWORD
	s_mov_b32 s34, s26
	v_accvgpr_write_b32 a37, s35
	v_cmp_ne_u32_e32 vcc, s43, v1
	v_accvgpr_write_b32 a36, s34
	s_and_saveexec_b64 s[40:41], vcc
	s_cbranch_execz .LBB251_152
; %bb.151:                              ;   in Loop: Header=BB251_10 Depth=1
	v_mov_b32_e32 v2, 7
	v_and_b32_sdwa v28, v0, v2 dst_sel:DWORD dst_unused:UNUSED_PAD src0_sel:BYTE_1 src1_sel:DWORD
	v_lshrrev_b32_e32 v4, 3, v1
	v_cmp_gt_u32_e32 vcc, 8, v1
	v_ffbh_u32_e32 v1, v28
	v_min_u32_e32 v1, 32, v1
	v_subrev_u32_e32 v2, 28, v1
	v_lshlrev_b64 v[2:3], v2, v[28:29]
	v_sub_u32_e32 v1, 29, v1
	v_and_b32_e32 v2, 7, v2
	v_cndmask_b32_e32 v1, v4, v1, vcc
	v_bfrev_b32_e32 v3, 60
	v_cndmask_b32_e32 v2, v28, v2, vcc
	v_lshlrev_b32_e32 v0, 16, v0
	v_lshl_add_u32 v1, v1, 23, v3
	v_and_or_b32 v0, v0, s27, v1
	v_lshlrev_b32_e32 v1, 20, v2
	v_or_b32_e32 v1, v0, v1
	v_mov_b32_e32 v0, v29
	v_accvgpr_write_b32 a37, v1
	v_mov_b32_e32 v19, v45
	v_accvgpr_write_b32 a36, v0
.LBB251_152:                            ;   in Loop: Header=BB251_10 Depth=1
	s_or_b64 exec, exec, s[40:41]
.LBB251_153:                            ;   in Loop: Header=BB251_10 Depth=1
	s_or_b64 exec, exec, s[38:39]
.LBB251_154:                            ;   in Loop: Header=BB251_10 Depth=1
	s_or_b64 exec, exec, s[36:37]
	flat_load_ushort v1, v[48:49] offset:1536
	v_pk_mov_b32 v[2:3], 0, 0
	v_accvgpr_write_b32 a41, v3
	v_accvgpr_write_b32 a43, v3
	v_accvgpr_write_b32 a40, v2
	v_accvgpr_write_b32 a42, v2
	s_waitcnt vmcnt(0) lgkmcnt(0)
	v_and_b32_e32 v0, 0xffff, v1
	v_cmp_ne_u16_sdwa vcc, v1, v29 src0_sel:BYTE_0 src1_sel:DWORD
	s_and_saveexec_b64 s[36:37], vcc
	s_cbranch_execz .LBB251_160
; %bb.155:                              ;   in Loop: Header=BB251_10 Depth=1
	v_bfrev_b32_e32 v2, 1
	v_mov_b32_e32 v3, 0
	v_accvgpr_write_b32 a43, v3
	v_cmp_ne_u16_sdwa vcc, v0, s21 src0_sel:BYTE_0 src1_sel:DWORD
	v_accvgpr_write_b32 a42, v2
	s_and_saveexec_b64 s[38:39], vcc
	s_cbranch_execz .LBB251_159
; %bb.156:                              ;   in Loop: Header=BB251_10 Depth=1
	v_mov_b32_e32 v2, 0x7f800001
	v_mov_b32_e32 v3, 0
	v_and_b32_e32 v1, 0x7f, v0
	v_accvgpr_write_b32 a43, v3
	v_cmp_ne_u32_e32 vcc, s43, v1
	v_accvgpr_write_b32 a42, v2
	s_and_saveexec_b64 s[40:41], vcc
	s_cbranch_execz .LBB251_158
; %bb.157:                              ;   in Loop: Header=BB251_10 Depth=1
	v_and_b32_e32 v4, 7, v0
	v_lshrrev_b32_e32 v5, 3, v1
	v_cmp_gt_u32_e32 vcc, 8, v1
	v_ffbh_u32_e32 v1, v4
	v_min_u32_e32 v1, 32, v1
	v_subrev_u32_e32 v2, 28, v1
	v_lshlrev_b64 v[2:3], v2, v[0:1]
	v_sub_u32_e32 v1, 29, v1
	v_and_b32_e32 v2, 7, v2
	v_cndmask_b32_e32 v1, v5, v1, vcc
	v_cndmask_b32_e32 v2, v4, v2, vcc
	v_bfrev_b32_e32 v4, 60
	v_lshlrev_b32_e32 v2, 20, v2
	v_and_b32_sdwa v3, sext(v0), s27 dst_sel:DWORD dst_unused:UNUSED_PAD src0_sel:BYTE_0 src1_sel:DWORD
	v_lshl_add_u32 v1, v1, 23, v4
	v_or3_b32 v28, v3, v1, v2
	v_accvgpr_write_b32 a43, v29
	v_accvgpr_write_b32 a42, v28
	v_mov_b32_e32 v19, v45
.LBB251_158:                            ;   in Loop: Header=BB251_10 Depth=1
	s_or_b64 exec, exec, s[40:41]
.LBB251_159:                            ;   in Loop: Header=BB251_10 Depth=1
	s_or_b64 exec, exec, s[38:39]
.LBB251_160:                            ;   in Loop: Header=BB251_10 Depth=1
	s_or_b64 exec, exec, s[36:37]
	v_cmp_ne_u16_sdwa vcc, v0, v29 src0_sel:BYTE_1 src1_sel:DWORD
	s_and_saveexec_b64 s[36:37], vcc
	s_cbranch_execz .LBB251_166
; %bb.161:                              ;   in Loop: Header=BB251_10 Depth=1
	v_accvgpr_write_b32 a41, s27
	v_cmp_ne_u16_sdwa vcc, v0, s21 src0_sel:BYTE_1 src1_sel:DWORD
	v_accvgpr_write_b32 a40, s26
	s_and_saveexec_b64 s[38:39], vcc
	s_cbranch_execz .LBB251_165
; %bb.162:                              ;   in Loop: Header=BB251_10 Depth=1
	v_and_b32_sdwa v1, v0, s43 dst_sel:DWORD dst_unused:UNUSED_PAD src0_sel:BYTE_1 src1_sel:DWORD
	s_mov_b32 s34, s26
	v_accvgpr_write_b32 a41, s35
	v_cmp_ne_u32_e32 vcc, s43, v1
	v_accvgpr_write_b32 a40, s34
	s_and_saveexec_b64 s[40:41], vcc
	s_cbranch_execz .LBB251_164
; %bb.163:                              ;   in Loop: Header=BB251_10 Depth=1
	v_mov_b32_e32 v2, 7
	v_and_b32_sdwa v28, v0, v2 dst_sel:DWORD dst_unused:UNUSED_PAD src0_sel:BYTE_1 src1_sel:DWORD
	v_lshrrev_b32_e32 v4, 3, v1
	v_cmp_gt_u32_e32 vcc, 8, v1
	v_ffbh_u32_e32 v1, v28
	v_min_u32_e32 v1, 32, v1
	v_subrev_u32_e32 v2, 28, v1
	v_lshlrev_b64 v[2:3], v2, v[28:29]
	v_sub_u32_e32 v1, 29, v1
	v_and_b32_e32 v2, 7, v2
	v_cndmask_b32_e32 v1, v4, v1, vcc
	v_bfrev_b32_e32 v3, 60
	v_cndmask_b32_e32 v2, v28, v2, vcc
	v_lshlrev_b32_e32 v0, 16, v0
	v_lshl_add_u32 v1, v1, 23, v3
	v_and_or_b32 v0, v0, s27, v1
	v_lshlrev_b32_e32 v1, 20, v2
	v_or_b32_e32 v1, v0, v1
	v_mov_b32_e32 v0, v29
	v_accvgpr_write_b32 a41, v1
	v_mov_b32_e32 v19, v45
	v_accvgpr_write_b32 a40, v0
.LBB251_164:                            ;   in Loop: Header=BB251_10 Depth=1
	s_or_b64 exec, exec, s[40:41]
.LBB251_165:                            ;   in Loop: Header=BB251_10 Depth=1
	s_or_b64 exec, exec, s[38:39]
.LBB251_166:                            ;   in Loop: Header=BB251_10 Depth=1
	s_or_b64 exec, exec, s[36:37]
	flat_load_ushort v1, v[48:49] offset:1540
	v_pk_mov_b32 v[2:3], 0, 0
	v_accvgpr_write_b32 a45, v3
	v_accvgpr_write_b32 a25, v3
	;; [unrolled: 1-line block ×4, first 2 shown]
	s_waitcnt vmcnt(0) lgkmcnt(0)
	v_and_b32_e32 v0, 0xffff, v1
	v_cmp_ne_u16_sdwa vcc, v1, v29 src0_sel:BYTE_0 src1_sel:DWORD
	s_and_saveexec_b64 s[36:37], vcc
	s_cbranch_execz .LBB251_172
; %bb.167:                              ;   in Loop: Header=BB251_10 Depth=1
	v_bfrev_b32_e32 v2, 1
	v_mov_b32_e32 v3, 0
	v_accvgpr_write_b32 a25, v3
	v_cmp_ne_u16_sdwa vcc, v0, s21 src0_sel:BYTE_0 src1_sel:DWORD
	v_accvgpr_write_b32 a24, v2
	s_and_saveexec_b64 s[38:39], vcc
	s_cbranch_execz .LBB251_171
; %bb.168:                              ;   in Loop: Header=BB251_10 Depth=1
	v_mov_b32_e32 v2, 0x7f800001
	v_mov_b32_e32 v3, 0
	v_and_b32_e32 v1, 0x7f, v0
	v_accvgpr_write_b32 a25, v3
	v_cmp_ne_u32_e32 vcc, s43, v1
	v_accvgpr_write_b32 a24, v2
	s_and_saveexec_b64 s[40:41], vcc
	s_cbranch_execz .LBB251_170
; %bb.169:                              ;   in Loop: Header=BB251_10 Depth=1
	v_and_b32_e32 v4, 7, v0
	v_lshrrev_b32_e32 v5, 3, v1
	v_cmp_gt_u32_e32 vcc, 8, v1
	v_ffbh_u32_e32 v1, v4
	v_min_u32_e32 v1, 32, v1
	v_subrev_u32_e32 v2, 28, v1
	v_lshlrev_b64 v[2:3], v2, v[0:1]
	v_sub_u32_e32 v1, 29, v1
	v_and_b32_e32 v2, 7, v2
	v_cndmask_b32_e32 v1, v5, v1, vcc
	v_cndmask_b32_e32 v2, v4, v2, vcc
	v_bfrev_b32_e32 v4, 60
	v_lshlrev_b32_e32 v2, 20, v2
	v_and_b32_sdwa v3, sext(v0), s27 dst_sel:DWORD dst_unused:UNUSED_PAD src0_sel:BYTE_0 src1_sel:DWORD
	v_lshl_add_u32 v1, v1, 23, v4
	v_or3_b32 v28, v3, v1, v2
	v_accvgpr_write_b32 a24, v28
	v_accvgpr_write_b32 a25, v29
	v_mov_b32_e32 v19, v45
.LBB251_170:                            ;   in Loop: Header=BB251_10 Depth=1
	s_or_b64 exec, exec, s[40:41]
.LBB251_171:                            ;   in Loop: Header=BB251_10 Depth=1
	s_or_b64 exec, exec, s[38:39]
.LBB251_172:                            ;   in Loop: Header=BB251_10 Depth=1
	s_or_b64 exec, exec, s[36:37]
	v_cmp_ne_u16_sdwa vcc, v0, v29 src0_sel:BYTE_1 src1_sel:DWORD
	s_and_saveexec_b64 s[36:37], vcc
	s_cbranch_execz .LBB251_178
; %bb.173:                              ;   in Loop: Header=BB251_10 Depth=1
	v_accvgpr_write_b32 a45, s27
	v_cmp_ne_u16_sdwa vcc, v0, s21 src0_sel:BYTE_1 src1_sel:DWORD
	v_accvgpr_write_b32 a44, s26
	s_and_saveexec_b64 s[38:39], vcc
	s_cbranch_execz .LBB251_177
; %bb.174:                              ;   in Loop: Header=BB251_10 Depth=1
	v_and_b32_sdwa v1, v0, s43 dst_sel:DWORD dst_unused:UNUSED_PAD src0_sel:BYTE_1 src1_sel:DWORD
	s_mov_b32 s34, s26
	v_accvgpr_write_b32 a45, s35
	v_cmp_ne_u32_e32 vcc, s43, v1
	v_accvgpr_write_b32 a44, s34
	s_and_saveexec_b64 s[40:41], vcc
	s_cbranch_execz .LBB251_176
; %bb.175:                              ;   in Loop: Header=BB251_10 Depth=1
	v_mov_b32_e32 v2, 7
	v_and_b32_sdwa v28, v0, v2 dst_sel:DWORD dst_unused:UNUSED_PAD src0_sel:BYTE_1 src1_sel:DWORD
	v_lshrrev_b32_e32 v4, 3, v1
	v_cmp_gt_u32_e32 vcc, 8, v1
	v_ffbh_u32_e32 v1, v28
	v_min_u32_e32 v1, 32, v1
	v_subrev_u32_e32 v2, 28, v1
	v_lshlrev_b64 v[2:3], v2, v[28:29]
	v_sub_u32_e32 v1, 29, v1
	v_and_b32_e32 v2, 7, v2
	v_cndmask_b32_e32 v1, v4, v1, vcc
	v_bfrev_b32_e32 v3, 60
	v_cndmask_b32_e32 v2, v28, v2, vcc
	v_lshlrev_b32_e32 v0, 16, v0
	v_lshl_add_u32 v1, v1, 23, v3
	v_and_or_b32 v0, v0, s27, v1
	v_lshlrev_b32_e32 v1, 20, v2
	v_or_b32_e32 v1, v0, v1
	v_mov_b32_e32 v0, v29
	v_accvgpr_write_b32 a45, v1
	v_mov_b32_e32 v19, v45
	v_accvgpr_write_b32 a44, v0
.LBB251_176:                            ;   in Loop: Header=BB251_10 Depth=1
	s_or_b64 exec, exec, s[40:41]
.LBB251_177:                            ;   in Loop: Header=BB251_10 Depth=1
	s_or_b64 exec, exec, s[38:39]
.LBB251_178:                            ;   in Loop: Header=BB251_10 Depth=1
	s_or_b64 exec, exec, s[36:37]
	v_add_co_u32_e32 v0, vcc, 0x600, v48
	v_addc_co_u32_e32 v1, vcc, 0, v49, vcc
	flat_load_ushort v3, v[0:1] offset:8
	v_pk_mov_b32 v[4:5], 0, 0
	v_accvgpr_write_b32 a59, v5
	v_accvgpr_write_b32 a13, v5
	;; [unrolled: 1-line block ×4, first 2 shown]
	s_waitcnt vmcnt(0) lgkmcnt(0)
	v_and_b32_e32 v2, 0xffff, v3
	v_cmp_ne_u16_sdwa vcc, v3, v29 src0_sel:BYTE_0 src1_sel:DWORD
	s_and_saveexec_b64 s[36:37], vcc
	s_cbranch_execz .LBB251_184
; %bb.179:                              ;   in Loop: Header=BB251_10 Depth=1
	v_bfrev_b32_e32 v4, 1
	v_mov_b32_e32 v5, 0
	v_accvgpr_write_b32 a13, v5
	v_cmp_ne_u16_sdwa vcc, v2, s21 src0_sel:BYTE_0 src1_sel:DWORD
	v_accvgpr_write_b32 a12, v4
	s_and_saveexec_b64 s[38:39], vcc
	s_cbranch_execz .LBB251_183
; %bb.180:                              ;   in Loop: Header=BB251_10 Depth=1
	v_mov_b32_e32 v4, 0x7f800001
	v_mov_b32_e32 v5, 0
	v_and_b32_e32 v3, 0x7f, v2
	v_accvgpr_write_b32 a13, v5
	v_cmp_ne_u32_e32 vcc, s43, v3
	v_accvgpr_write_b32 a12, v4
	s_and_saveexec_b64 s[40:41], vcc
	s_cbranch_execz .LBB251_182
; %bb.181:                              ;   in Loop: Header=BB251_10 Depth=1
	v_and_b32_e32 v4, 7, v2
	v_lshrrev_b32_e32 v5, 3, v3
	v_cmp_gt_u32_e32 vcc, 8, v3
	v_ffbh_u32_e32 v3, v4
	v_min_u32_e32 v3, 32, v3
	v_subrev_u32_e32 v6, 28, v3
	v_lshlrev_b64 v[6:7], v6, v[2:3]
	v_sub_u32_e32 v3, 29, v3
	v_and_b32_e32 v6, 7, v6
	v_cndmask_b32_e32 v3, v5, v3, vcc
	v_cndmask_b32_e32 v4, v4, v6, vcc
	v_bfrev_b32_e32 v6, 60
	v_lshlrev_b32_e32 v4, 20, v4
	v_and_b32_sdwa v5, sext(v2), s27 dst_sel:DWORD dst_unused:UNUSED_PAD src0_sel:BYTE_0 src1_sel:DWORD
	v_lshl_add_u32 v3, v3, 23, v6
	v_or3_b32 v28, v5, v3, v4
	v_accvgpr_write_b32 a12, v28
	v_accvgpr_write_b32 a13, v29
	v_mov_b32_e32 v19, v45
.LBB251_182:                            ;   in Loop: Header=BB251_10 Depth=1
	s_or_b64 exec, exec, s[40:41]
.LBB251_183:                            ;   in Loop: Header=BB251_10 Depth=1
	s_or_b64 exec, exec, s[38:39]
.LBB251_184:                            ;   in Loop: Header=BB251_10 Depth=1
	s_or_b64 exec, exec, s[36:37]
	v_cmp_ne_u16_sdwa vcc, v2, v29 src0_sel:BYTE_1 src1_sel:DWORD
	s_and_saveexec_b64 s[36:37], vcc
	s_cbranch_execz .LBB251_190
; %bb.185:                              ;   in Loop: Header=BB251_10 Depth=1
	v_accvgpr_write_b32 a59, s27
	v_cmp_ne_u16_sdwa vcc, v2, s21 src0_sel:BYTE_1 src1_sel:DWORD
	v_accvgpr_write_b32 a58, s26
	s_and_saveexec_b64 s[38:39], vcc
	s_cbranch_execz .LBB251_189
; %bb.186:                              ;   in Loop: Header=BB251_10 Depth=1
	v_and_b32_sdwa v3, v2, s43 dst_sel:DWORD dst_unused:UNUSED_PAD src0_sel:BYTE_1 src1_sel:DWORD
	s_mov_b32 s34, s26
	v_accvgpr_write_b32 a59, s35
	v_cmp_ne_u32_e32 vcc, s43, v3
	v_accvgpr_write_b32 a58, s34
	s_and_saveexec_b64 s[40:41], vcc
	s_cbranch_execz .LBB251_188
; %bb.187:                              ;   in Loop: Header=BB251_10 Depth=1
	v_mov_b32_e32 v4, 7
	v_and_b32_sdwa v28, v2, v4 dst_sel:DWORD dst_unused:UNUSED_PAD src0_sel:BYTE_1 src1_sel:DWORD
	v_lshrrev_b32_e32 v4, 3, v3
	v_cmp_gt_u32_e32 vcc, 8, v3
	v_ffbh_u32_e32 v3, v28
	v_min_u32_e32 v3, 32, v3
	v_subrev_u32_e32 v5, 28, v3
	v_lshlrev_b64 v[6:7], v5, v[28:29]
	v_sub_u32_e32 v3, 29, v3
	v_and_b32_e32 v5, 7, v6
	v_cndmask_b32_e32 v3, v4, v3, vcc
	v_cndmask_b32_e32 v4, v28, v5, vcc
	v_bfrev_b32_e32 v5, 60
	v_lshlrev_b32_e32 v2, 16, v2
	v_lshl_add_u32 v3, v3, 23, v5
	v_and_or_b32 v2, v2, s27, v3
	v_lshlrev_b32_e32 v3, 20, v4
	v_or_b32_e32 v3, v2, v3
	v_mov_b32_e32 v2, v29
	v_accvgpr_write_b32 a59, v3
	v_mov_b32_e32 v19, v45
	v_accvgpr_write_b32 a58, v2
.LBB251_188:                            ;   in Loop: Header=BB251_10 Depth=1
	s_or_b64 exec, exec, s[40:41]
.LBB251_189:                            ;   in Loop: Header=BB251_10 Depth=1
	s_or_b64 exec, exec, s[38:39]
.LBB251_190:                            ;   in Loop: Header=BB251_10 Depth=1
	s_or_b64 exec, exec, s[36:37]
	flat_load_ushort v1, v[0:1] offset:12
	v_pk_mov_b32 v[2:3], 0, 0
	v_accvgpr_write_b32 a47, v3
	v_accvgpr_write_b32 a15, v3
	v_accvgpr_write_b32 a46, v2
	v_accvgpr_write_b32 a14, v2
	s_waitcnt vmcnt(0) lgkmcnt(0)
	v_and_b32_e32 v0, 0xffff, v1
	v_cmp_ne_u16_sdwa vcc, v1, v29 src0_sel:BYTE_0 src1_sel:DWORD
	s_and_saveexec_b64 s[36:37], vcc
	s_cbranch_execz .LBB251_196
; %bb.191:                              ;   in Loop: Header=BB251_10 Depth=1
	v_bfrev_b32_e32 v2, 1
	v_mov_b32_e32 v3, 0
	v_accvgpr_write_b32 a15, v3
	v_cmp_ne_u16_sdwa vcc, v0, s21 src0_sel:BYTE_0 src1_sel:DWORD
	v_accvgpr_write_b32 a14, v2
	s_and_saveexec_b64 s[38:39], vcc
	s_cbranch_execz .LBB251_195
; %bb.192:                              ;   in Loop: Header=BB251_10 Depth=1
	v_mov_b32_e32 v2, 0x7f800001
	v_mov_b32_e32 v3, 0
	v_and_b32_e32 v1, 0x7f, v0
	v_accvgpr_write_b32 a15, v3
	v_cmp_ne_u32_e32 vcc, s43, v1
	v_accvgpr_write_b32 a14, v2
	s_and_saveexec_b64 s[40:41], vcc
	s_cbranch_execz .LBB251_194
; %bb.193:                              ;   in Loop: Header=BB251_10 Depth=1
	v_and_b32_e32 v4, 7, v0
	v_lshrrev_b32_e32 v5, 3, v1
	v_cmp_gt_u32_e32 vcc, 8, v1
	v_ffbh_u32_e32 v1, v4
	v_min_u32_e32 v1, 32, v1
	v_subrev_u32_e32 v2, 28, v1
	v_lshlrev_b64 v[2:3], v2, v[0:1]
	v_sub_u32_e32 v1, 29, v1
	v_and_b32_e32 v2, 7, v2
	v_cndmask_b32_e32 v1, v5, v1, vcc
	v_cndmask_b32_e32 v2, v4, v2, vcc
	v_bfrev_b32_e32 v4, 60
	v_lshlrev_b32_e32 v2, 20, v2
	v_and_b32_sdwa v3, sext(v0), s27 dst_sel:DWORD dst_unused:UNUSED_PAD src0_sel:BYTE_0 src1_sel:DWORD
	v_lshl_add_u32 v1, v1, 23, v4
	v_or3_b32 v28, v3, v1, v2
	v_accvgpr_write_b32 a14, v28
	v_accvgpr_write_b32 a15, v29
	v_mov_b32_e32 v19, v45
.LBB251_194:                            ;   in Loop: Header=BB251_10 Depth=1
	s_or_b64 exec, exec, s[40:41]
.LBB251_195:                            ;   in Loop: Header=BB251_10 Depth=1
	s_or_b64 exec, exec, s[38:39]
.LBB251_196:                            ;   in Loop: Header=BB251_10 Depth=1
	s_or_b64 exec, exec, s[36:37]
	v_cmp_ne_u16_sdwa vcc, v0, v29 src0_sel:BYTE_1 src1_sel:DWORD
	s_and_saveexec_b64 s[36:37], vcc
	s_cbranch_execz .LBB251_202
; %bb.197:                              ;   in Loop: Header=BB251_10 Depth=1
	v_accvgpr_write_b32 a47, s27
	v_cmp_ne_u16_sdwa vcc, v0, s21 src0_sel:BYTE_1 src1_sel:DWORD
	v_accvgpr_write_b32 a46, s26
	s_and_saveexec_b64 s[38:39], vcc
	s_cbranch_execz .LBB251_201
; %bb.198:                              ;   in Loop: Header=BB251_10 Depth=1
	v_and_b32_sdwa v1, v0, s43 dst_sel:DWORD dst_unused:UNUSED_PAD src0_sel:BYTE_1 src1_sel:DWORD
	s_mov_b32 s34, s26
	v_accvgpr_write_b32 a47, s35
	v_cmp_ne_u32_e32 vcc, s43, v1
	v_accvgpr_write_b32 a46, s34
	s_and_saveexec_b64 s[40:41], vcc
	s_cbranch_execz .LBB251_200
; %bb.199:                              ;   in Loop: Header=BB251_10 Depth=1
	v_mov_b32_e32 v2, 7
	v_and_b32_sdwa v28, v0, v2 dst_sel:DWORD dst_unused:UNUSED_PAD src0_sel:BYTE_1 src1_sel:DWORD
	v_lshrrev_b32_e32 v4, 3, v1
	v_cmp_gt_u32_e32 vcc, 8, v1
	v_ffbh_u32_e32 v1, v28
	v_min_u32_e32 v1, 32, v1
	v_subrev_u32_e32 v2, 28, v1
	v_lshlrev_b64 v[2:3], v2, v[28:29]
	v_sub_u32_e32 v1, 29, v1
	v_and_b32_e32 v2, 7, v2
	v_cndmask_b32_e32 v1, v4, v1, vcc
	v_bfrev_b32_e32 v3, 60
	v_cndmask_b32_e32 v2, v28, v2, vcc
	v_lshlrev_b32_e32 v0, 16, v0
	v_lshl_add_u32 v1, v1, 23, v3
	v_and_or_b32 v0, v0, s27, v1
	v_lshlrev_b32_e32 v1, 20, v2
	v_or_b32_e32 v1, v0, v1
	v_mov_b32_e32 v0, v29
	v_accvgpr_write_b32 a47, v1
	v_mov_b32_e32 v19, v45
	v_accvgpr_write_b32 a46, v0
.LBB251_200:                            ;   in Loop: Header=BB251_10 Depth=1
	s_or_b64 exec, exec, s[40:41]
.LBB251_201:                            ;   in Loop: Header=BB251_10 Depth=1
	s_or_b64 exec, exec, s[38:39]
.LBB251_202:                            ;   in Loop: Header=BB251_10 Depth=1
	s_or_b64 exec, exec, s[36:37]
	flat_load_ushort v1, v[48:49] offset:2048
	v_pk_mov_b32 v[2:3], 0, 0
	v_accvgpr_write_b32 a63, v3
	v_accvgpr_write_b32 a51, v3
	;; [unrolled: 1-line block ×4, first 2 shown]
	s_waitcnt vmcnt(0) lgkmcnt(0)
	v_and_b32_e32 v0, 0xffff, v1
	v_cmp_ne_u16_sdwa vcc, v1, v29 src0_sel:BYTE_0 src1_sel:DWORD
	s_and_saveexec_b64 s[36:37], vcc
	s_cbranch_execz .LBB251_208
; %bb.203:                              ;   in Loop: Header=BB251_10 Depth=1
	v_bfrev_b32_e32 v2, 1
	v_mov_b32_e32 v3, 0
	v_accvgpr_write_b32 a51, v3
	v_cmp_ne_u16_sdwa vcc, v0, s21 src0_sel:BYTE_0 src1_sel:DWORD
	v_accvgpr_write_b32 a50, v2
	s_and_saveexec_b64 s[38:39], vcc
	s_cbranch_execz .LBB251_207
; %bb.204:                              ;   in Loop: Header=BB251_10 Depth=1
	v_mov_b32_e32 v2, 0x7f800001
	v_mov_b32_e32 v3, 0
	v_and_b32_e32 v1, 0x7f, v0
	v_accvgpr_write_b32 a51, v3
	v_cmp_ne_u32_e32 vcc, s43, v1
	v_accvgpr_write_b32 a50, v2
	s_and_saveexec_b64 s[40:41], vcc
	s_cbranch_execz .LBB251_206
; %bb.205:                              ;   in Loop: Header=BB251_10 Depth=1
	v_and_b32_e32 v4, 7, v0
	v_lshrrev_b32_e32 v5, 3, v1
	v_cmp_gt_u32_e32 vcc, 8, v1
	v_ffbh_u32_e32 v1, v4
	v_min_u32_e32 v1, 32, v1
	v_subrev_u32_e32 v2, 28, v1
	v_lshlrev_b64 v[2:3], v2, v[0:1]
	v_sub_u32_e32 v1, 29, v1
	v_and_b32_e32 v2, 7, v2
	v_cndmask_b32_e32 v1, v5, v1, vcc
	v_cndmask_b32_e32 v2, v4, v2, vcc
	v_bfrev_b32_e32 v4, 60
	v_lshlrev_b32_e32 v2, 20, v2
	v_and_b32_sdwa v3, sext(v0), s27 dst_sel:DWORD dst_unused:UNUSED_PAD src0_sel:BYTE_0 src1_sel:DWORD
	v_lshl_add_u32 v1, v1, 23, v4
	v_or3_b32 v28, v3, v1, v2
	v_accvgpr_write_b32 a51, v29
	v_accvgpr_write_b32 a50, v28
	v_mov_b32_e32 v19, v45
.LBB251_206:                            ;   in Loop: Header=BB251_10 Depth=1
	s_or_b64 exec, exec, s[40:41]
.LBB251_207:                            ;   in Loop: Header=BB251_10 Depth=1
	s_or_b64 exec, exec, s[38:39]
.LBB251_208:                            ;   in Loop: Header=BB251_10 Depth=1
	s_or_b64 exec, exec, s[36:37]
	v_cmp_ne_u16_sdwa vcc, v0, v29 src0_sel:BYTE_1 src1_sel:DWORD
	s_and_saveexec_b64 s[36:37], vcc
	s_cbranch_execz .LBB251_214
; %bb.209:                              ;   in Loop: Header=BB251_10 Depth=1
	v_accvgpr_write_b32 a63, s27
	v_cmp_ne_u16_sdwa vcc, v0, s21 src0_sel:BYTE_1 src1_sel:DWORD
	v_accvgpr_write_b32 a62, s26
	s_and_saveexec_b64 s[38:39], vcc
	s_cbranch_execz .LBB251_213
; %bb.210:                              ;   in Loop: Header=BB251_10 Depth=1
	v_and_b32_sdwa v1, v0, s43 dst_sel:DWORD dst_unused:UNUSED_PAD src0_sel:BYTE_1 src1_sel:DWORD
	s_mov_b32 s34, s26
	v_accvgpr_write_b32 a63, s35
	v_cmp_ne_u32_e32 vcc, s43, v1
	v_accvgpr_write_b32 a62, s34
	s_and_saveexec_b64 s[40:41], vcc
	s_cbranch_execz .LBB251_212
; %bb.211:                              ;   in Loop: Header=BB251_10 Depth=1
	v_mov_b32_e32 v2, 7
	v_and_b32_sdwa v28, v0, v2 dst_sel:DWORD dst_unused:UNUSED_PAD src0_sel:BYTE_1 src1_sel:DWORD
	v_lshrrev_b32_e32 v4, 3, v1
	v_cmp_gt_u32_e32 vcc, 8, v1
	v_ffbh_u32_e32 v1, v28
	v_min_u32_e32 v1, 32, v1
	v_subrev_u32_e32 v2, 28, v1
	v_lshlrev_b64 v[2:3], v2, v[28:29]
	v_sub_u32_e32 v1, 29, v1
	v_and_b32_e32 v2, 7, v2
	v_cndmask_b32_e32 v1, v4, v1, vcc
	v_bfrev_b32_e32 v3, 60
	v_cndmask_b32_e32 v2, v28, v2, vcc
	v_lshlrev_b32_e32 v0, 16, v0
	v_lshl_add_u32 v1, v1, 23, v3
	v_and_or_b32 v0, v0, s27, v1
	v_lshlrev_b32_e32 v1, 20, v2
	v_or_b32_e32 v1, v0, v1
	v_mov_b32_e32 v0, v29
	v_accvgpr_write_b32 a63, v1
	v_mov_b32_e32 v19, v45
	v_accvgpr_write_b32 a62, v0
.LBB251_212:                            ;   in Loop: Header=BB251_10 Depth=1
	s_or_b64 exec, exec, s[40:41]
.LBB251_213:                            ;   in Loop: Header=BB251_10 Depth=1
	s_or_b64 exec, exec, s[38:39]
.LBB251_214:                            ;   in Loop: Header=BB251_10 Depth=1
	s_or_b64 exec, exec, s[36:37]
	flat_load_ushort v1, v[48:49] offset:2052
	v_pk_mov_b32 v[2:3], 0, 0
	v_accvgpr_write_b32 a49, v3
	v_accvgpr_write_b32 a55, v3
	;; [unrolled: 1-line block ×4, first 2 shown]
	s_waitcnt vmcnt(0) lgkmcnt(0)
	v_and_b32_e32 v0, 0xffff, v1
	v_cmp_ne_u16_sdwa vcc, v1, v29 src0_sel:BYTE_0 src1_sel:DWORD
	s_and_saveexec_b64 s[36:37], vcc
	s_cbranch_execz .LBB251_220
; %bb.215:                              ;   in Loop: Header=BB251_10 Depth=1
	v_bfrev_b32_e32 v2, 1
	v_mov_b32_e32 v3, 0
	v_accvgpr_write_b32 a55, v3
	v_cmp_ne_u16_sdwa vcc, v0, s21 src0_sel:BYTE_0 src1_sel:DWORD
	v_accvgpr_write_b32 a54, v2
	s_and_saveexec_b64 s[38:39], vcc
	s_cbranch_execz .LBB251_219
; %bb.216:                              ;   in Loop: Header=BB251_10 Depth=1
	v_mov_b32_e32 v2, 0x7f800001
	v_mov_b32_e32 v3, 0
	v_and_b32_e32 v1, 0x7f, v0
	v_accvgpr_write_b32 a55, v3
	v_cmp_ne_u32_e32 vcc, s43, v1
	v_accvgpr_write_b32 a54, v2
	s_and_saveexec_b64 s[40:41], vcc
	s_cbranch_execz .LBB251_218
; %bb.217:                              ;   in Loop: Header=BB251_10 Depth=1
	v_and_b32_e32 v4, 7, v0
	v_lshrrev_b32_e32 v5, 3, v1
	v_cmp_gt_u32_e32 vcc, 8, v1
	v_ffbh_u32_e32 v1, v4
	v_min_u32_e32 v1, 32, v1
	v_subrev_u32_e32 v2, 28, v1
	v_lshlrev_b64 v[2:3], v2, v[0:1]
	v_sub_u32_e32 v1, 29, v1
	v_and_b32_e32 v2, 7, v2
	v_cndmask_b32_e32 v1, v5, v1, vcc
	v_cndmask_b32_e32 v2, v4, v2, vcc
	v_bfrev_b32_e32 v4, 60
	v_lshlrev_b32_e32 v2, 20, v2
	v_and_b32_sdwa v3, sext(v0), s27 dst_sel:DWORD dst_unused:UNUSED_PAD src0_sel:BYTE_0 src1_sel:DWORD
	v_lshl_add_u32 v1, v1, 23, v4
	v_or3_b32 v28, v3, v1, v2
	v_accvgpr_write_b32 a55, v29
	v_accvgpr_write_b32 a54, v28
	v_mov_b32_e32 v19, v45
.LBB251_218:                            ;   in Loop: Header=BB251_10 Depth=1
	s_or_b64 exec, exec, s[40:41]
.LBB251_219:                            ;   in Loop: Header=BB251_10 Depth=1
	s_or_b64 exec, exec, s[38:39]
.LBB251_220:                            ;   in Loop: Header=BB251_10 Depth=1
	s_or_b64 exec, exec, s[36:37]
	v_cmp_ne_u16_sdwa vcc, v0, v29 src0_sel:BYTE_1 src1_sel:DWORD
	s_and_saveexec_b64 s[36:37], vcc
	s_cbranch_execz .LBB251_226
; %bb.221:                              ;   in Loop: Header=BB251_10 Depth=1
	v_accvgpr_write_b32 a49, s27
	v_cmp_ne_u16_sdwa vcc, v0, s21 src0_sel:BYTE_1 src1_sel:DWORD
	v_accvgpr_write_b32 a48, s26
	s_and_saveexec_b64 s[38:39], vcc
	s_cbranch_execz .LBB251_225
; %bb.222:                              ;   in Loop: Header=BB251_10 Depth=1
	v_and_b32_sdwa v1, v0, s43 dst_sel:DWORD dst_unused:UNUSED_PAD src0_sel:BYTE_1 src1_sel:DWORD
	s_mov_b32 s34, s26
	v_accvgpr_write_b32 a49, s35
	v_cmp_ne_u32_e32 vcc, s43, v1
	v_accvgpr_write_b32 a48, s34
	s_and_saveexec_b64 s[40:41], vcc
	s_cbranch_execz .LBB251_224
; %bb.223:                              ;   in Loop: Header=BB251_10 Depth=1
	v_mov_b32_e32 v2, 7
	v_and_b32_sdwa v28, v0, v2 dst_sel:DWORD dst_unused:UNUSED_PAD src0_sel:BYTE_1 src1_sel:DWORD
	v_lshrrev_b32_e32 v4, 3, v1
	v_cmp_gt_u32_e32 vcc, 8, v1
	v_ffbh_u32_e32 v1, v28
	v_min_u32_e32 v1, 32, v1
	v_subrev_u32_e32 v2, 28, v1
	v_lshlrev_b64 v[2:3], v2, v[28:29]
	v_sub_u32_e32 v1, 29, v1
	v_and_b32_e32 v2, 7, v2
	v_cndmask_b32_e32 v1, v4, v1, vcc
	v_bfrev_b32_e32 v3, 60
	v_cndmask_b32_e32 v2, v28, v2, vcc
	v_lshlrev_b32_e32 v0, 16, v0
	v_lshl_add_u32 v1, v1, 23, v3
	v_and_or_b32 v0, v0, s27, v1
	v_lshlrev_b32_e32 v1, 20, v2
	v_or_b32_e32 v1, v0, v1
	v_mov_b32_e32 v0, v29
	v_accvgpr_write_b32 a49, v1
	v_mov_b32_e32 v19, v45
	v_accvgpr_write_b32 a48, v0
.LBB251_224:                            ;   in Loop: Header=BB251_10 Depth=1
	s_or_b64 exec, exec, s[40:41]
.LBB251_225:                            ;   in Loop: Header=BB251_10 Depth=1
	s_or_b64 exec, exec, s[38:39]
.LBB251_226:                            ;   in Loop: Header=BB251_10 Depth=1
	s_or_b64 exec, exec, s[36:37]
	v_add_co_u32_e32 v0, vcc, 0x800, v48
	v_addc_co_u32_e32 v1, vcc, 0, v49, vcc
	flat_load_ushort v3, v[0:1] offset:8
	v_pk_mov_b32 v[60:61], 0, 0
	v_accvgpr_write_b32 a52, v60
	v_accvgpr_write_b32 a53, v61
	s_waitcnt vmcnt(0) lgkmcnt(0)
	v_and_b32_e32 v2, 0xffff, v3
	v_cmp_ne_u16_sdwa vcc, v3, v29 src0_sel:BYTE_0 src1_sel:DWORD
	s_and_saveexec_b64 s[36:37], vcc
	s_cbranch_execz .LBB251_232
; %bb.227:                              ;   in Loop: Header=BB251_10 Depth=1
	v_bfrev_b32_e32 v4, 1
	v_mov_b32_e32 v5, 0
	v_accvgpr_write_b32 a53, v5
	v_cmp_ne_u16_sdwa vcc, v2, s21 src0_sel:BYTE_0 src1_sel:DWORD
	v_accvgpr_write_b32 a52, v4
	s_and_saveexec_b64 s[38:39], vcc
	s_cbranch_execz .LBB251_231
; %bb.228:                              ;   in Loop: Header=BB251_10 Depth=1
	v_mov_b32_e32 v4, 0x7f800001
	v_mov_b32_e32 v5, 0
	v_and_b32_e32 v3, 0x7f, v2
	v_accvgpr_write_b32 a53, v5
	v_cmp_ne_u32_e32 vcc, s43, v3
	v_accvgpr_write_b32 a52, v4
	s_and_saveexec_b64 s[40:41], vcc
	s_cbranch_execz .LBB251_230
; %bb.229:                              ;   in Loop: Header=BB251_10 Depth=1
	v_and_b32_e32 v4, 7, v2
	v_lshrrev_b32_e32 v5, 3, v3
	v_cmp_gt_u32_e32 vcc, 8, v3
	v_ffbh_u32_e32 v3, v4
	v_min_u32_e32 v3, 32, v3
	v_subrev_u32_e32 v6, 28, v3
	v_lshlrev_b64 v[6:7], v6, v[2:3]
	v_sub_u32_e32 v3, 29, v3
	v_and_b32_e32 v6, 7, v6
	v_cndmask_b32_e32 v3, v5, v3, vcc
	v_cndmask_b32_e32 v4, v4, v6, vcc
	v_bfrev_b32_e32 v6, 60
	v_lshlrev_b32_e32 v4, 20, v4
	v_and_b32_sdwa v5, sext(v2), s27 dst_sel:DWORD dst_unused:UNUSED_PAD src0_sel:BYTE_0 src1_sel:DWORD
	v_lshl_add_u32 v3, v3, 23, v6
	v_or3_b32 v28, v5, v3, v4
	v_accvgpr_write_b32 a53, v29
	v_accvgpr_write_b32 a52, v28
	v_mov_b32_e32 v19, v45
.LBB251_230:                            ;   in Loop: Header=BB251_10 Depth=1
	s_or_b64 exec, exec, s[40:41]
.LBB251_231:                            ;   in Loop: Header=BB251_10 Depth=1
	s_or_b64 exec, exec, s[38:39]
.LBB251_232:                            ;   in Loop: Header=BB251_10 Depth=1
	s_or_b64 exec, exec, s[36:37]
	v_cmp_ne_u16_sdwa vcc, v2, v29 src0_sel:BYTE_1 src1_sel:DWORD
	s_and_saveexec_b64 s[36:37], vcc
	s_cbranch_execz .LBB251_238
; %bb.233:                              ;   in Loop: Header=BB251_10 Depth=1
	v_cmp_ne_u16_sdwa vcc, v2, s21 src0_sel:BYTE_1 src1_sel:DWORD
	v_pk_mov_b32 v[60:61], s[26:27], s[26:27] op_sel:[0,1]
	s_and_saveexec_b64 s[38:39], vcc
	s_cbranch_execz .LBB251_237
; %bb.234:                              ;   in Loop: Header=BB251_10 Depth=1
	v_and_b32_sdwa v3, v2, s43 dst_sel:DWORD dst_unused:UNUSED_PAD src0_sel:BYTE_1 src1_sel:DWORD
	s_mov_b32 s34, s26
	v_cmp_ne_u32_e32 vcc, s43, v3
	v_pk_mov_b32 v[60:61], s[34:35], s[34:35] op_sel:[0,1]
	s_and_saveexec_b64 s[40:41], vcc
	s_cbranch_execz .LBB251_236
; %bb.235:                              ;   in Loop: Header=BB251_10 Depth=1
	v_mov_b32_e32 v4, 7
	v_and_b32_sdwa v28, v2, v4 dst_sel:DWORD dst_unused:UNUSED_PAD src0_sel:BYTE_1 src1_sel:DWORD
	v_lshrrev_b32_e32 v4, 3, v3
	v_cmp_gt_u32_e32 vcc, 8, v3
	v_ffbh_u32_e32 v3, v28
	v_min_u32_e32 v3, 32, v3
	v_subrev_u32_e32 v5, 28, v3
	v_lshlrev_b64 v[6:7], v5, v[28:29]
	v_sub_u32_e32 v3, 29, v3
	v_and_b32_e32 v5, 7, v6
	v_cndmask_b32_e32 v3, v4, v3, vcc
	v_cndmask_b32_e32 v4, v28, v5, vcc
	v_bfrev_b32_e32 v5, 60
	v_lshlrev_b32_e32 v2, 16, v2
	v_lshl_add_u32 v3, v3, 23, v5
	v_and_or_b32 v2, v2, s27, v3
	v_lshlrev_b32_e32 v3, 20, v4
	v_mov_b32_e32 v19, v45
	v_or_b32_e32 v61, v2, v3
	v_mov_b32_e32 v60, v29
.LBB251_236:                            ;   in Loop: Header=BB251_10 Depth=1
	s_or_b64 exec, exec, s[40:41]
.LBB251_237:                            ;   in Loop: Header=BB251_10 Depth=1
	s_or_b64 exec, exec, s[38:39]
.LBB251_238:                            ;   in Loop: Header=BB251_10 Depth=1
	s_or_b64 exec, exec, s[36:37]
	flat_load_ushort v1, v[0:1] offset:12
	v_pk_mov_b32 v[16:17], 0, 0
	v_accvgpr_write_b32 a21, v17
	v_accvgpr_write_b32 a20, v16
	s_waitcnt vmcnt(0) lgkmcnt(0)
	v_and_b32_e32 v0, 0xffff, v1
	v_cmp_ne_u16_sdwa vcc, v1, v29 src0_sel:BYTE_0 src1_sel:DWORD
	s_and_saveexec_b64 s[36:37], vcc
	s_cbranch_execz .LBB251_244
; %bb.239:                              ;   in Loop: Header=BB251_10 Depth=1
	v_bfrev_b32_e32 v2, 1
	v_mov_b32_e32 v3, 0
	v_accvgpr_write_b32 a21, v3
	v_cmp_ne_u16_sdwa vcc, v0, s21 src0_sel:BYTE_0 src1_sel:DWORD
	v_accvgpr_write_b32 a20, v2
	s_and_saveexec_b64 s[38:39], vcc
	s_cbranch_execz .LBB251_243
; %bb.240:                              ;   in Loop: Header=BB251_10 Depth=1
	v_mov_b32_e32 v2, 0x7f800001
	v_mov_b32_e32 v3, 0
	v_and_b32_e32 v1, 0x7f, v0
	v_accvgpr_write_b32 a21, v3
	v_cmp_ne_u32_e32 vcc, s43, v1
	v_accvgpr_write_b32 a20, v2
	s_and_saveexec_b64 s[40:41], vcc
	s_cbranch_execz .LBB251_242
; %bb.241:                              ;   in Loop: Header=BB251_10 Depth=1
	v_and_b32_e32 v4, 7, v0
	v_lshrrev_b32_e32 v5, 3, v1
	v_cmp_gt_u32_e32 vcc, 8, v1
	v_ffbh_u32_e32 v1, v4
	v_min_u32_e32 v1, 32, v1
	v_subrev_u32_e32 v2, 28, v1
	v_lshlrev_b64 v[2:3], v2, v[0:1]
	v_sub_u32_e32 v1, 29, v1
	v_and_b32_e32 v2, 7, v2
	v_cndmask_b32_e32 v1, v5, v1, vcc
	v_cndmask_b32_e32 v2, v4, v2, vcc
	v_bfrev_b32_e32 v4, 60
	v_lshlrev_b32_e32 v2, 20, v2
	v_and_b32_sdwa v3, sext(v0), s27 dst_sel:DWORD dst_unused:UNUSED_PAD src0_sel:BYTE_0 src1_sel:DWORD
	v_lshl_add_u32 v1, v1, 23, v4
	v_or3_b32 v28, v3, v1, v2
	v_accvgpr_write_b32 a20, v28
	v_accvgpr_write_b32 a21, v29
	v_mov_b32_e32 v19, v45
.LBB251_242:                            ;   in Loop: Header=BB251_10 Depth=1
	s_or_b64 exec, exec, s[40:41]
.LBB251_243:                            ;   in Loop: Header=BB251_10 Depth=1
	s_or_b64 exec, exec, s[38:39]
.LBB251_244:                            ;   in Loop: Header=BB251_10 Depth=1
	s_or_b64 exec, exec, s[36:37]
	v_cmp_ne_u16_sdwa vcc, v0, v29 src0_sel:BYTE_1 src1_sel:DWORD
	s_and_saveexec_b64 s[36:37], vcc
	s_cbranch_execz .LBB251_250
; %bb.245:                              ;   in Loop: Header=BB251_10 Depth=1
	v_cmp_ne_u16_sdwa vcc, v0, s21 src0_sel:BYTE_1 src1_sel:DWORD
	v_pk_mov_b32 v[16:17], s[26:27], s[26:27] op_sel:[0,1]
	s_and_saveexec_b64 s[38:39], vcc
	s_cbranch_execz .LBB251_249
; %bb.246:                              ;   in Loop: Header=BB251_10 Depth=1
	v_and_b32_sdwa v1, v0, s43 dst_sel:DWORD dst_unused:UNUSED_PAD src0_sel:BYTE_1 src1_sel:DWORD
	s_mov_b32 s34, s26
	v_cmp_ne_u32_e32 vcc, s43, v1
	v_pk_mov_b32 v[16:17], s[34:35], s[34:35] op_sel:[0,1]
	s_and_saveexec_b64 s[40:41], vcc
	s_cbranch_execz .LBB251_248
; %bb.247:                              ;   in Loop: Header=BB251_10 Depth=1
	v_mov_b32_e32 v2, 7
	v_and_b32_sdwa v28, v0, v2 dst_sel:DWORD dst_unused:UNUSED_PAD src0_sel:BYTE_1 src1_sel:DWORD
	v_lshrrev_b32_e32 v4, 3, v1
	v_cmp_gt_u32_e32 vcc, 8, v1
	v_ffbh_u32_e32 v1, v28
	v_min_u32_e32 v1, 32, v1
	v_subrev_u32_e32 v2, 28, v1
	v_lshlrev_b64 v[2:3], v2, v[28:29]
	v_sub_u32_e32 v1, 29, v1
	v_and_b32_e32 v2, 7, v2
	v_cndmask_b32_e32 v1, v4, v1, vcc
	v_bfrev_b32_e32 v3, 60
	v_cndmask_b32_e32 v2, v28, v2, vcc
	v_lshlrev_b32_e32 v0, 16, v0
	v_lshl_add_u32 v1, v1, 23, v3
	v_and_or_b32 v0, v0, s27, v1
	v_lshlrev_b32_e32 v1, 20, v2
	v_mov_b32_e32 v19, v45
	v_or_b32_e32 v17, v0, v1
	v_mov_b32_e32 v16, v29
.LBB251_248:                            ;   in Loop: Header=BB251_10 Depth=1
	s_or_b64 exec, exec, s[40:41]
.LBB251_249:                            ;   in Loop: Header=BB251_10 Depth=1
	s_or_b64 exec, exec, s[38:39]
.LBB251_250:                            ;   in Loop: Header=BB251_10 Depth=1
	s_or_b64 exec, exec, s[36:37]
	flat_load_ushort v3, v[48:49] offset:2560
	v_pk_mov_b32 v[0:1], 0, 0
	v_accvgpr_write_b32 a57, v1
	v_accvgpr_write_b32 a56, v0
	s_waitcnt vmcnt(0) lgkmcnt(0)
	v_and_b32_e32 v2, 0xffff, v3
	v_cmp_ne_u16_sdwa vcc, v3, v29 src0_sel:BYTE_0 src1_sel:DWORD
	s_and_saveexec_b64 s[36:37], vcc
	s_cbranch_execz .LBB251_256
; %bb.251:                              ;   in Loop: Header=BB251_10 Depth=1
	v_bfrev_b32_e32 v4, 1
	v_mov_b32_e32 v5, 0
	v_accvgpr_write_b32 a57, v5
	v_cmp_ne_u16_sdwa vcc, v2, s21 src0_sel:BYTE_0 src1_sel:DWORD
	v_accvgpr_write_b32 a56, v4
	s_and_saveexec_b64 s[38:39], vcc
	s_cbranch_execz .LBB251_255
; %bb.252:                              ;   in Loop: Header=BB251_10 Depth=1
	v_mov_b32_e32 v4, 0x7f800001
	v_mov_b32_e32 v5, 0
	v_and_b32_e32 v3, 0x7f, v2
	v_accvgpr_write_b32 a57, v5
	v_cmp_ne_u32_e32 vcc, s43, v3
	v_accvgpr_write_b32 a56, v4
	s_and_saveexec_b64 s[40:41], vcc
	s_cbranch_execz .LBB251_254
; %bb.253:                              ;   in Loop: Header=BB251_10 Depth=1
	v_and_b32_e32 v4, 7, v2
	v_lshrrev_b32_e32 v5, 3, v3
	v_cmp_gt_u32_e32 vcc, 8, v3
	v_ffbh_u32_e32 v3, v4
	v_min_u32_e32 v3, 32, v3
	v_subrev_u32_e32 v6, 28, v3
	v_lshlrev_b64 v[6:7], v6, v[2:3]
	v_sub_u32_e32 v3, 29, v3
	v_and_b32_e32 v6, 7, v6
	v_cndmask_b32_e32 v3, v5, v3, vcc
	v_cndmask_b32_e32 v4, v4, v6, vcc
	v_bfrev_b32_e32 v6, 60
	v_lshlrev_b32_e32 v4, 20, v4
	v_and_b32_sdwa v5, sext(v2), s27 dst_sel:DWORD dst_unused:UNUSED_PAD src0_sel:BYTE_0 src1_sel:DWORD
	v_lshl_add_u32 v3, v3, 23, v6
	v_or3_b32 v28, v5, v3, v4
	v_accvgpr_write_b32 a57, v29
	v_accvgpr_write_b32 a56, v28
	v_mov_b32_e32 v19, v45
.LBB251_254:                            ;   in Loop: Header=BB251_10 Depth=1
	s_or_b64 exec, exec, s[40:41]
.LBB251_255:                            ;   in Loop: Header=BB251_10 Depth=1
	s_or_b64 exec, exec, s[38:39]
.LBB251_256:                            ;   in Loop: Header=BB251_10 Depth=1
	s_or_b64 exec, exec, s[36:37]
	v_cmp_ne_u16_sdwa vcc, v2, v29 src0_sel:BYTE_1 src1_sel:DWORD
	s_and_saveexec_b64 s[36:37], vcc
	s_cbranch_execz .LBB251_262
; %bb.257:                              ;   in Loop: Header=BB251_10 Depth=1
	v_cmp_ne_u16_sdwa vcc, v2, s21 src0_sel:BYTE_1 src1_sel:DWORD
	v_pk_mov_b32 v[0:1], s[26:27], s[26:27] op_sel:[0,1]
	s_and_saveexec_b64 s[38:39], vcc
	s_cbranch_execz .LBB251_261
; %bb.258:                              ;   in Loop: Header=BB251_10 Depth=1
	v_and_b32_sdwa v3, v2, s43 dst_sel:DWORD dst_unused:UNUSED_PAD src0_sel:BYTE_1 src1_sel:DWORD
	s_mov_b32 s34, s26
	v_cmp_ne_u32_e32 vcc, s43, v3
	v_pk_mov_b32 v[0:1], s[34:35], s[34:35] op_sel:[0,1]
	s_and_saveexec_b64 s[40:41], vcc
	s_cbranch_execz .LBB251_260
; %bb.259:                              ;   in Loop: Header=BB251_10 Depth=1
	v_mov_b32_e32 v0, 7
	v_and_b32_sdwa v28, v2, v0 dst_sel:DWORD dst_unused:UNUSED_PAD src0_sel:BYTE_1 src1_sel:DWORD
	v_ffbh_u32_e32 v0, v28
	v_lshrrev_b32_e32 v4, 3, v3
	v_cmp_gt_u32_e32 vcc, 8, v3
	v_min_u32_e32 v3, 32, v0
	v_subrev_u32_e32 v0, 28, v3
	v_lshlrev_b64 v[0:1], v0, v[28:29]
	v_sub_u32_e32 v1, 29, v3
	v_and_b32_e32 v0, 7, v0
	v_cndmask_b32_e32 v1, v4, v1, vcc
	v_bfrev_b32_e32 v3, 60
	v_cndmask_b32_e32 v0, v28, v0, vcc
	v_lshlrev_b32_e32 v2, 16, v2
	v_lshl_add_u32 v1, v1, 23, v3
	v_and_or_b32 v1, v2, s27, v1
	v_lshlrev_b32_e32 v0, 20, v0
	v_mov_b32_e32 v19, v45
	v_or_b32_e32 v1, v1, v0
	v_mov_b32_e32 v0, v29
.LBB251_260:                            ;   in Loop: Header=BB251_10 Depth=1
	s_or_b64 exec, exec, s[40:41]
.LBB251_261:                            ;   in Loop: Header=BB251_10 Depth=1
	s_or_b64 exec, exec, s[38:39]
.LBB251_262:                            ;   in Loop: Header=BB251_10 Depth=1
	s_or_b64 exec, exec, s[36:37]
	flat_load_ushort v3, v[48:49] offset:2564
	v_pk_mov_b32 v[54:55], 0, 0
	v_pk_mov_b32 v[50:51], v[54:55], v[54:55] op_sel:[0,1]
	s_waitcnt vmcnt(0) lgkmcnt(0)
	v_and_b32_e32 v2, 0xffff, v3
	v_cmp_ne_u16_sdwa vcc, v3, v29 src0_sel:BYTE_0 src1_sel:DWORD
	s_and_saveexec_b64 s[36:37], vcc
	s_cbranch_execz .LBB251_268
; %bb.263:                              ;   in Loop: Header=BB251_10 Depth=1
	v_bfrev_b32_e32 v50, 1
	v_cmp_ne_u16_sdwa vcc, v2, s21 src0_sel:BYTE_0 src1_sel:DWORD
	v_mov_b32_e32 v51, 0
	s_and_saveexec_b64 s[38:39], vcc
	s_cbranch_execz .LBB251_267
; %bb.264:                              ;   in Loop: Header=BB251_10 Depth=1
	v_and_b32_e32 v3, 0x7f, v2
	v_mov_b32_e32 v50, 0x7f800001
	v_cmp_ne_u32_e32 vcc, s43, v3
	v_mov_b32_e32 v51, 0
	s_and_saveexec_b64 s[40:41], vcc
	s_cbranch_execz .LBB251_266
; %bb.265:                              ;   in Loop: Header=BB251_10 Depth=1
	v_and_b32_e32 v4, 7, v2
	v_lshrrev_b32_e32 v5, 3, v3
	v_cmp_gt_u32_e32 vcc, 8, v3
	v_ffbh_u32_e32 v3, v4
	v_min_u32_e32 v3, 32, v3
	v_subrev_u32_e32 v6, 28, v3
	v_lshlrev_b64 v[6:7], v6, v[2:3]
	v_sub_u32_e32 v3, 29, v3
	v_and_b32_e32 v6, 7, v6
	v_cndmask_b32_e32 v3, v5, v3, vcc
	v_cndmask_b32_e32 v4, v4, v6, vcc
	v_bfrev_b32_e32 v6, 60
	v_lshlrev_b32_e32 v4, 20, v4
	v_and_b32_sdwa v5, sext(v2), s27 dst_sel:DWORD dst_unused:UNUSED_PAD src0_sel:BYTE_0 src1_sel:DWORD
	v_lshl_add_u32 v3, v3, 23, v6
	v_or3_b32 v28, v5, v3, v4
	v_pk_mov_b32 v[50:51], v[28:29], v[28:29] op_sel:[0,1]
	v_mov_b32_e32 v19, v45
.LBB251_266:                            ;   in Loop: Header=BB251_10 Depth=1
	s_or_b64 exec, exec, s[40:41]
.LBB251_267:                            ;   in Loop: Header=BB251_10 Depth=1
	s_or_b64 exec, exec, s[38:39]
.LBB251_268:                            ;   in Loop: Header=BB251_10 Depth=1
	s_or_b64 exec, exec, s[36:37]
	v_cmp_ne_u16_sdwa vcc, v2, v29 src0_sel:BYTE_1 src1_sel:DWORD
	s_and_saveexec_b64 s[36:37], vcc
	s_cbranch_execz .LBB251_274
; %bb.269:                              ;   in Loop: Header=BB251_10 Depth=1
	v_cmp_ne_u16_sdwa vcc, v2, s21 src0_sel:BYTE_1 src1_sel:DWORD
	v_pk_mov_b32 v[54:55], s[26:27], s[26:27] op_sel:[0,1]
	s_and_saveexec_b64 s[38:39], vcc
	s_cbranch_execz .LBB251_273
; %bb.270:                              ;   in Loop: Header=BB251_10 Depth=1
	v_and_b32_sdwa v3, v2, s43 dst_sel:DWORD dst_unused:UNUSED_PAD src0_sel:BYTE_1 src1_sel:DWORD
	s_mov_b32 s34, s26
	v_cmp_ne_u32_e32 vcc, s43, v3
	v_pk_mov_b32 v[54:55], s[34:35], s[34:35] op_sel:[0,1]
	s_and_saveexec_b64 s[40:41], vcc
	s_cbranch_execz .LBB251_272
; %bb.271:                              ;   in Loop: Header=BB251_10 Depth=1
	v_mov_b32_e32 v4, 7
	v_and_b32_sdwa v28, v2, v4 dst_sel:DWORD dst_unused:UNUSED_PAD src0_sel:BYTE_1 src1_sel:DWORD
	v_lshrrev_b32_e32 v4, 3, v3
	v_cmp_gt_u32_e32 vcc, 8, v3
	v_ffbh_u32_e32 v3, v28
	v_min_u32_e32 v3, 32, v3
	v_subrev_u32_e32 v5, 28, v3
	v_lshlrev_b64 v[6:7], v5, v[28:29]
	v_sub_u32_e32 v3, 29, v3
	v_and_b32_e32 v5, 7, v6
	v_cndmask_b32_e32 v3, v4, v3, vcc
	v_cndmask_b32_e32 v4, v28, v5, vcc
	v_bfrev_b32_e32 v5, 60
	v_lshlrev_b32_e32 v2, 16, v2
	v_lshl_add_u32 v3, v3, 23, v5
	v_and_or_b32 v2, v2, s27, v3
	v_lshlrev_b32_e32 v3, 20, v4
	v_mov_b32_e32 v19, v45
	v_or_b32_e32 v55, v2, v3
	v_mov_b32_e32 v54, v29
.LBB251_272:                            ;   in Loop: Header=BB251_10 Depth=1
	s_or_b64 exec, exec, s[40:41]
.LBB251_273:                            ;   in Loop: Header=BB251_10 Depth=1
	s_or_b64 exec, exec, s[38:39]
.LBB251_274:                            ;   in Loop: Header=BB251_10 Depth=1
	s_or_b64 exec, exec, s[36:37]
	v_add_co_u32_e32 v2, vcc, 0xa00, v48
	v_addc_co_u32_e32 v3, vcc, 0, v49, vcc
	flat_load_ushort v4, v[2:3] offset:8
	v_pk_mov_b32 v[42:43], 0, 0
	v_pk_mov_b32 v[24:25], v[42:43], v[42:43] op_sel:[0,1]
	s_waitcnt vmcnt(0) lgkmcnt(0)
	v_and_b32_e32 v10, 0xffff, v4
	v_cmp_ne_u16_sdwa vcc, v4, v29 src0_sel:BYTE_0 src1_sel:DWORD
	s_and_saveexec_b64 s[36:37], vcc
	s_cbranch_execz .LBB251_280
; %bb.275:                              ;   in Loop: Header=BB251_10 Depth=1
	v_bfrev_b32_e32 v24, 1
	v_cmp_ne_u16_sdwa vcc, v10, s21 src0_sel:BYTE_0 src1_sel:DWORD
	v_mov_b32_e32 v25, 0
	s_and_saveexec_b64 s[38:39], vcc
	s_cbranch_execz .LBB251_279
; %bb.276:                              ;   in Loop: Header=BB251_10 Depth=1
	v_and_b32_e32 v4, 0x7f, v10
	v_mov_b32_e32 v24, 0x7f800001
	v_cmp_ne_u32_e32 vcc, s43, v4
	v_mov_b32_e32 v25, 0
	s_and_saveexec_b64 s[40:41], vcc
	s_cbranch_execz .LBB251_278
; %bb.277:                              ;   in Loop: Header=BB251_10 Depth=1
	v_and_b32_e32 v5, 7, v10
	v_lshrrev_b32_e32 v8, 3, v4
	v_cmp_gt_u32_e32 vcc, 8, v4
	v_ffbh_u32_e32 v4, v5
	v_min_u32_e32 v4, 32, v4
	v_subrev_u32_e32 v6, 28, v4
	v_lshlrev_b64 v[6:7], v6, v[10:11]
	v_sub_u32_e32 v4, 29, v4
	v_and_b32_e32 v6, 7, v6
	v_cndmask_b32_e32 v4, v8, v4, vcc
	v_cndmask_b32_e32 v5, v5, v6, vcc
	v_bfrev_b32_e32 v7, 60
	v_lshlrev_b32_e32 v5, 20, v5
	v_and_b32_sdwa v6, sext(v10), s27 dst_sel:DWORD dst_unused:UNUSED_PAD src0_sel:BYTE_0 src1_sel:DWORD
	v_lshl_add_u32 v4, v4, 23, v7
	v_or3_b32 v28, v6, v4, v5
	v_pk_mov_b32 v[24:25], v[28:29], v[28:29] op_sel:[0,1]
	v_mov_b32_e32 v19, v45
.LBB251_278:                            ;   in Loop: Header=BB251_10 Depth=1
	s_or_b64 exec, exec, s[40:41]
.LBB251_279:                            ;   in Loop: Header=BB251_10 Depth=1
	s_or_b64 exec, exec, s[38:39]
.LBB251_280:                            ;   in Loop: Header=BB251_10 Depth=1
	s_or_b64 exec, exec, s[36:37]
	v_cmp_ne_u16_sdwa vcc, v10, v29 src0_sel:BYTE_1 src1_sel:DWORD
	s_and_saveexec_b64 s[36:37], vcc
	s_cbranch_execz .LBB251_286
; %bb.281:                              ;   in Loop: Header=BB251_10 Depth=1
	v_cmp_ne_u16_sdwa vcc, v10, s21 src0_sel:BYTE_1 src1_sel:DWORD
	v_pk_mov_b32 v[42:43], s[26:27], s[26:27] op_sel:[0,1]
	s_and_saveexec_b64 s[38:39], vcc
	s_cbranch_execz .LBB251_285
; %bb.282:                              ;   in Loop: Header=BB251_10 Depth=1
	v_and_b32_sdwa v6, v10, s43 dst_sel:DWORD dst_unused:UNUSED_PAD src0_sel:BYTE_1 src1_sel:DWORD
	s_mov_b32 s34, s26
	v_cmp_ne_u32_e32 vcc, s43, v6
	v_pk_mov_b32 v[42:43], s[34:35], s[34:35] op_sel:[0,1]
	s_and_saveexec_b64 s[40:41], vcc
	s_cbranch_execz .LBB251_284
; %bb.283:                              ;   in Loop: Header=BB251_10 Depth=1
	v_mov_b32_e32 v4, 7
	v_and_b32_sdwa v28, v10, v4 dst_sel:DWORD dst_unused:UNUSED_PAD src0_sel:BYTE_1 src1_sel:DWORD
	v_ffbh_u32_e32 v5, v28
	v_min_u32_e32 v5, 32, v5
	v_lshrrev_b32_e32 v4, 3, v6
	v_cmp_gt_u32_e32 vcc, 8, v6
	v_subrev_u32_e32 v6, 28, v5
	v_lshlrev_b64 v[6:7], v6, v[28:29]
	v_sub_u32_e32 v5, 29, v5
	v_and_b32_e32 v6, 7, v6
	v_cndmask_b32_e32 v4, v4, v5, vcc
	v_bfrev_b32_e32 v7, 60
	v_cndmask_b32_e32 v5, v28, v6, vcc
	v_lshlrev_b32_e32 v6, 16, v10
	v_lshl_add_u32 v4, v4, 23, v7
	v_and_or_b32 v4, v6, s27, v4
	v_lshlrev_b32_e32 v5, 20, v5
	v_mov_b32_e32 v19, v45
	v_or_b32_e32 v43, v4, v5
	v_mov_b32_e32 v42, v29
.LBB251_284:                            ;   in Loop: Header=BB251_10 Depth=1
	s_or_b64 exec, exec, s[40:41]
.LBB251_285:                            ;   in Loop: Header=BB251_10 Depth=1
	s_or_b64 exec, exec, s[38:39]
.LBB251_286:                            ;   in Loop: Header=BB251_10 Depth=1
	s_or_b64 exec, exec, s[36:37]
	flat_load_ushort v3, v[2:3] offset:12
	v_pk_mov_b32 v[46:47], 0, 0
	v_pk_mov_b32 v[10:11], v[46:47], v[46:47] op_sel:[0,1]
	s_waitcnt vmcnt(0) lgkmcnt(0)
	v_and_b32_e32 v2, 0xffff, v3
	v_cmp_ne_u16_sdwa vcc, v3, v29 src0_sel:BYTE_0 src1_sel:DWORD
	s_and_saveexec_b64 s[36:37], vcc
	s_cbranch_execz .LBB251_292
; %bb.287:                              ;   in Loop: Header=BB251_10 Depth=1
	v_bfrev_b32_e32 v10, 1
	v_cmp_ne_u16_sdwa vcc, v2, s21 src0_sel:BYTE_0 src1_sel:DWORD
	v_mov_b32_e32 v11, 0
	s_and_saveexec_b64 s[38:39], vcc
	s_cbranch_execz .LBB251_291
; %bb.288:                              ;   in Loop: Header=BB251_10 Depth=1
	v_and_b32_e32 v3, 0x7f, v2
	v_mov_b32_e32 v10, 0x7f800001
	v_cmp_ne_u32_e32 vcc, s43, v3
	v_mov_b32_e32 v11, 0
	s_and_saveexec_b64 s[40:41], vcc
	s_cbranch_execz .LBB251_290
; %bb.289:                              ;   in Loop: Header=BB251_10 Depth=1
	v_and_b32_e32 v4, 7, v2
	v_lshrrev_b32_e32 v5, 3, v3
	v_cmp_gt_u32_e32 vcc, 8, v3
	v_ffbh_u32_e32 v3, v4
	v_min_u32_e32 v3, 32, v3
	v_subrev_u32_e32 v6, 28, v3
	v_lshlrev_b64 v[6:7], v6, v[2:3]
	v_sub_u32_e32 v3, 29, v3
	v_and_b32_e32 v6, 7, v6
	v_cndmask_b32_e32 v3, v5, v3, vcc
	v_cndmask_b32_e32 v4, v4, v6, vcc
	v_bfrev_b32_e32 v6, 60
	v_lshlrev_b32_e32 v4, 20, v4
	v_and_b32_sdwa v5, sext(v2), s27 dst_sel:DWORD dst_unused:UNUSED_PAD src0_sel:BYTE_0 src1_sel:DWORD
	v_lshl_add_u32 v3, v3, 23, v6
	v_or3_b32 v28, v5, v3, v4
	v_pk_mov_b32 v[10:11], v[28:29], v[28:29] op_sel:[0,1]
	v_mov_b32_e32 v19, v45
.LBB251_290:                            ;   in Loop: Header=BB251_10 Depth=1
	s_or_b64 exec, exec, s[40:41]
.LBB251_291:                            ;   in Loop: Header=BB251_10 Depth=1
	s_or_b64 exec, exec, s[38:39]
.LBB251_292:                            ;   in Loop: Header=BB251_10 Depth=1
	s_or_b64 exec, exec, s[36:37]
	v_cmp_ne_u16_sdwa vcc, v2, v29 src0_sel:BYTE_1 src1_sel:DWORD
	s_and_saveexec_b64 s[36:37], vcc
	s_cbranch_execz .LBB251_298
; %bb.293:                              ;   in Loop: Header=BB251_10 Depth=1
	v_cmp_ne_u16_sdwa vcc, v2, s21 src0_sel:BYTE_1 src1_sel:DWORD
	v_pk_mov_b32 v[46:47], s[26:27], s[26:27] op_sel:[0,1]
	s_and_saveexec_b64 s[38:39], vcc
	s_cbranch_execz .LBB251_297
; %bb.294:                              ;   in Loop: Header=BB251_10 Depth=1
	v_and_b32_sdwa v3, v2, s43 dst_sel:DWORD dst_unused:UNUSED_PAD src0_sel:BYTE_1 src1_sel:DWORD
	s_mov_b32 s34, s26
	v_cmp_ne_u32_e32 vcc, s43, v3
	v_pk_mov_b32 v[46:47], s[34:35], s[34:35] op_sel:[0,1]
	s_and_saveexec_b64 s[40:41], vcc
	s_cbranch_execz .LBB251_296
; %bb.295:                              ;   in Loop: Header=BB251_10 Depth=1
	v_mov_b32_e32 v4, 7
	v_and_b32_sdwa v28, v2, v4 dst_sel:DWORD dst_unused:UNUSED_PAD src0_sel:BYTE_1 src1_sel:DWORD
	v_lshrrev_b32_e32 v4, 3, v3
	v_cmp_gt_u32_e32 vcc, 8, v3
	v_ffbh_u32_e32 v3, v28
	v_min_u32_e32 v3, 32, v3
	v_subrev_u32_e32 v5, 28, v3
	v_lshlrev_b64 v[6:7], v5, v[28:29]
	v_sub_u32_e32 v3, 29, v3
	v_and_b32_e32 v5, 7, v6
	v_cndmask_b32_e32 v3, v4, v3, vcc
	v_cndmask_b32_e32 v4, v28, v5, vcc
	v_bfrev_b32_e32 v5, 60
	v_lshlrev_b32_e32 v2, 16, v2
	v_lshl_add_u32 v3, v3, 23, v5
	v_and_or_b32 v2, v2, s27, v3
	v_lshlrev_b32_e32 v3, 20, v4
	v_mov_b32_e32 v19, v45
	v_or_b32_e32 v47, v2, v3
	v_mov_b32_e32 v46, v29
.LBB251_296:                            ;   in Loop: Header=BB251_10 Depth=1
	s_or_b64 exec, exec, s[40:41]
.LBB251_297:                            ;   in Loop: Header=BB251_10 Depth=1
	s_or_b64 exec, exec, s[38:39]
.LBB251_298:                            ;   in Loop: Header=BB251_10 Depth=1
	s_or_b64 exec, exec, s[36:37]
	flat_load_ushort v3, v[48:49] offset:3072
	v_pk_mov_b32 v[58:59], 0, 0
	v_pk_mov_b32 v[30:31], v[58:59], v[58:59] op_sel:[0,1]
	s_waitcnt vmcnt(0) lgkmcnt(0)
	v_and_b32_e32 v2, 0xffff, v3
	v_cmp_ne_u16_sdwa vcc, v3, v29 src0_sel:BYTE_0 src1_sel:DWORD
	s_and_saveexec_b64 s[36:37], vcc
	s_cbranch_execz .LBB251_304
; %bb.299:                              ;   in Loop: Header=BB251_10 Depth=1
	v_bfrev_b32_e32 v30, 1
	v_cmp_ne_u16_sdwa vcc, v2, s21 src0_sel:BYTE_0 src1_sel:DWORD
	v_mov_b32_e32 v31, 0
	s_and_saveexec_b64 s[38:39], vcc
	s_cbranch_execz .LBB251_303
; %bb.300:                              ;   in Loop: Header=BB251_10 Depth=1
	v_and_b32_e32 v3, 0x7f, v2
	v_mov_b32_e32 v30, 0x7f800001
	v_cmp_ne_u32_e32 vcc, s43, v3
	v_mov_b32_e32 v31, 0
	s_and_saveexec_b64 s[40:41], vcc
	s_cbranch_execz .LBB251_302
; %bb.301:                              ;   in Loop: Header=BB251_10 Depth=1
	v_and_b32_e32 v4, 7, v2
	v_lshrrev_b32_e32 v5, 3, v3
	v_cmp_gt_u32_e32 vcc, 8, v3
	v_ffbh_u32_e32 v3, v4
	v_min_u32_e32 v3, 32, v3
	v_subrev_u32_e32 v6, 28, v3
	v_lshlrev_b64 v[6:7], v6, v[2:3]
	v_sub_u32_e32 v3, 29, v3
	v_and_b32_e32 v6, 7, v6
	v_cndmask_b32_e32 v3, v5, v3, vcc
	v_cndmask_b32_e32 v4, v4, v6, vcc
	v_bfrev_b32_e32 v6, 60
	v_lshlrev_b32_e32 v4, 20, v4
	v_and_b32_sdwa v5, sext(v2), s27 dst_sel:DWORD dst_unused:UNUSED_PAD src0_sel:BYTE_0 src1_sel:DWORD
	v_lshl_add_u32 v3, v3, 23, v6
	v_or3_b32 v28, v5, v3, v4
	v_pk_mov_b32 v[30:31], v[28:29], v[28:29] op_sel:[0,1]
	v_mov_b32_e32 v19, v45
.LBB251_302:                            ;   in Loop: Header=BB251_10 Depth=1
	s_or_b64 exec, exec, s[40:41]
.LBB251_303:                            ;   in Loop: Header=BB251_10 Depth=1
	s_or_b64 exec, exec, s[38:39]
.LBB251_304:                            ;   in Loop: Header=BB251_10 Depth=1
	s_or_b64 exec, exec, s[36:37]
	v_cmp_ne_u16_sdwa vcc, v2, v29 src0_sel:BYTE_1 src1_sel:DWORD
	s_and_saveexec_b64 s[36:37], vcc
	s_cbranch_execz .LBB251_310
; %bb.305:                              ;   in Loop: Header=BB251_10 Depth=1
	v_cmp_ne_u16_sdwa vcc, v2, s21 src0_sel:BYTE_1 src1_sel:DWORD
	v_pk_mov_b32 v[58:59], s[26:27], s[26:27] op_sel:[0,1]
	s_and_saveexec_b64 s[38:39], vcc
	s_cbranch_execz .LBB251_309
; %bb.306:                              ;   in Loop: Header=BB251_10 Depth=1
	v_and_b32_sdwa v3, v2, s43 dst_sel:DWORD dst_unused:UNUSED_PAD src0_sel:BYTE_1 src1_sel:DWORD
	s_mov_b32 s34, s26
	v_cmp_ne_u32_e32 vcc, s43, v3
	v_pk_mov_b32 v[58:59], s[34:35], s[34:35] op_sel:[0,1]
	s_and_saveexec_b64 s[40:41], vcc
	s_cbranch_execz .LBB251_308
; %bb.307:                              ;   in Loop: Header=BB251_10 Depth=1
	v_mov_b32_e32 v4, 7
	v_and_b32_sdwa v28, v2, v4 dst_sel:DWORD dst_unused:UNUSED_PAD src0_sel:BYTE_1 src1_sel:DWORD
	v_lshrrev_b32_e32 v4, 3, v3
	v_cmp_gt_u32_e32 vcc, 8, v3
	v_ffbh_u32_e32 v3, v28
	v_min_u32_e32 v3, 32, v3
	v_subrev_u32_e32 v5, 28, v3
	v_lshlrev_b64 v[6:7], v5, v[28:29]
	v_sub_u32_e32 v3, 29, v3
	v_and_b32_e32 v5, 7, v6
	v_cndmask_b32_e32 v3, v4, v3, vcc
	v_cndmask_b32_e32 v4, v28, v5, vcc
	v_bfrev_b32_e32 v5, 60
	v_lshlrev_b32_e32 v2, 16, v2
	v_lshl_add_u32 v3, v3, 23, v5
	v_and_or_b32 v2, v2, s27, v3
	v_lshlrev_b32_e32 v3, 20, v4
	v_mov_b32_e32 v19, v45
	v_or_b32_e32 v59, v2, v3
	v_mov_b32_e32 v58, v29
.LBB251_308:                            ;   in Loop: Header=BB251_10 Depth=1
	s_or_b64 exec, exec, s[40:41]
.LBB251_309:                            ;   in Loop: Header=BB251_10 Depth=1
	s_or_b64 exec, exec, s[38:39]
.LBB251_310:                            ;   in Loop: Header=BB251_10 Depth=1
	s_or_b64 exec, exec, s[36:37]
	flat_load_ushort v3, v[48:49] offset:3076
	v_pk_mov_b32 v[38:39], 0, 0
	v_pk_mov_b32 v[8:9], v[38:39], v[38:39] op_sel:[0,1]
	s_waitcnt vmcnt(0) lgkmcnt(0)
	v_and_b32_e32 v2, 0xffff, v3
	v_cmp_ne_u16_sdwa vcc, v3, v29 src0_sel:BYTE_0 src1_sel:DWORD
	s_and_saveexec_b64 s[36:37], vcc
	s_cbranch_execz .LBB251_316
; %bb.311:                              ;   in Loop: Header=BB251_10 Depth=1
	v_bfrev_b32_e32 v8, 1
	v_cmp_ne_u16_sdwa vcc, v2, s21 src0_sel:BYTE_0 src1_sel:DWORD
	v_mov_b32_e32 v9, 0
	s_and_saveexec_b64 s[38:39], vcc
	s_cbranch_execz .LBB251_315
; %bb.312:                              ;   in Loop: Header=BB251_10 Depth=1
	v_and_b32_e32 v3, 0x7f, v2
	v_mov_b32_e32 v8, 0x7f800001
	v_cmp_ne_u32_e32 vcc, s43, v3
	v_mov_b32_e32 v9, 0
	s_and_saveexec_b64 s[40:41], vcc
	s_cbranch_execz .LBB251_314
; %bb.313:                              ;   in Loop: Header=BB251_10 Depth=1
	v_and_b32_e32 v4, 7, v2
	v_lshrrev_b32_e32 v5, 3, v3
	v_cmp_gt_u32_e32 vcc, 8, v3
	v_ffbh_u32_e32 v3, v4
	v_min_u32_e32 v3, 32, v3
	v_subrev_u32_e32 v6, 28, v3
	v_lshlrev_b64 v[6:7], v6, v[2:3]
	v_sub_u32_e32 v3, 29, v3
	v_and_b32_e32 v6, 7, v6
	v_cndmask_b32_e32 v3, v5, v3, vcc
	v_cndmask_b32_e32 v4, v4, v6, vcc
	v_bfrev_b32_e32 v6, 60
	v_lshlrev_b32_e32 v4, 20, v4
	v_and_b32_sdwa v5, sext(v2), s27 dst_sel:DWORD dst_unused:UNUSED_PAD src0_sel:BYTE_0 src1_sel:DWORD
	v_lshl_add_u32 v3, v3, 23, v6
	v_or3_b32 v28, v5, v3, v4
	v_pk_mov_b32 v[8:9], v[28:29], v[28:29] op_sel:[0,1]
	v_mov_b32_e32 v19, v45
.LBB251_314:                            ;   in Loop: Header=BB251_10 Depth=1
	s_or_b64 exec, exec, s[40:41]
.LBB251_315:                            ;   in Loop: Header=BB251_10 Depth=1
	s_or_b64 exec, exec, s[38:39]
.LBB251_316:                            ;   in Loop: Header=BB251_10 Depth=1
	s_or_b64 exec, exec, s[36:37]
	v_cmp_ne_u16_sdwa vcc, v2, v29 src0_sel:BYTE_1 src1_sel:DWORD
	s_and_saveexec_b64 s[36:37], vcc
	s_cbranch_execz .LBB251_322
; %bb.317:                              ;   in Loop: Header=BB251_10 Depth=1
	v_cmp_ne_u16_sdwa vcc, v2, s21 src0_sel:BYTE_1 src1_sel:DWORD
	v_pk_mov_b32 v[38:39], s[26:27], s[26:27] op_sel:[0,1]
	s_and_saveexec_b64 s[38:39], vcc
	s_cbranch_execz .LBB251_321
; %bb.318:                              ;   in Loop: Header=BB251_10 Depth=1
	v_and_b32_sdwa v3, v2, s43 dst_sel:DWORD dst_unused:UNUSED_PAD src0_sel:BYTE_1 src1_sel:DWORD
	s_mov_b32 s34, s26
	v_cmp_ne_u32_e32 vcc, s43, v3
	v_pk_mov_b32 v[38:39], s[34:35], s[34:35] op_sel:[0,1]
	s_and_saveexec_b64 s[40:41], vcc
	s_cbranch_execz .LBB251_320
; %bb.319:                              ;   in Loop: Header=BB251_10 Depth=1
	v_mov_b32_e32 v4, 7
	v_and_b32_sdwa v28, v2, v4 dst_sel:DWORD dst_unused:UNUSED_PAD src0_sel:BYTE_1 src1_sel:DWORD
	v_lshrrev_b32_e32 v4, 3, v3
	v_cmp_gt_u32_e32 vcc, 8, v3
	v_ffbh_u32_e32 v3, v28
	v_min_u32_e32 v3, 32, v3
	v_subrev_u32_e32 v5, 28, v3
	v_lshlrev_b64 v[6:7], v5, v[28:29]
	v_sub_u32_e32 v3, 29, v3
	v_and_b32_e32 v5, 7, v6
	v_cndmask_b32_e32 v3, v4, v3, vcc
	v_cndmask_b32_e32 v4, v28, v5, vcc
	v_bfrev_b32_e32 v5, 60
	v_lshlrev_b32_e32 v2, 16, v2
	v_lshl_add_u32 v3, v3, 23, v5
	v_and_or_b32 v2, v2, s27, v3
	v_lshlrev_b32_e32 v3, 20, v4
	v_mov_b32_e32 v19, v45
	v_or_b32_e32 v39, v2, v3
	v_mov_b32_e32 v38, v29
.LBB251_320:                            ;   in Loop: Header=BB251_10 Depth=1
	s_or_b64 exec, exec, s[40:41]
.LBB251_321:                            ;   in Loop: Header=BB251_10 Depth=1
	s_or_b64 exec, exec, s[38:39]
.LBB251_322:                            ;   in Loop: Header=BB251_10 Depth=1
	s_or_b64 exec, exec, s[36:37]
	v_add_co_u32_e32 v2, vcc, 0xc00, v48
	v_addc_co_u32_e32 v3, vcc, 0, v49, vcc
	flat_load_ushort v4, v[2:3] offset:8
	v_pk_mov_b32 v[40:41], 0, 0
	v_pk_mov_b32 v[22:23], v[40:41], v[40:41] op_sel:[0,1]
	s_waitcnt vmcnt(0) lgkmcnt(0)
	v_and_b32_e32 v12, 0xffff, v4
	v_cmp_ne_u16_sdwa vcc, v4, v29 src0_sel:BYTE_0 src1_sel:DWORD
	s_and_saveexec_b64 s[36:37], vcc
	s_cbranch_execz .LBB251_328
; %bb.323:                              ;   in Loop: Header=BB251_10 Depth=1
	v_bfrev_b32_e32 v22, 1
	v_cmp_ne_u16_sdwa vcc, v12, s21 src0_sel:BYTE_0 src1_sel:DWORD
	v_mov_b32_e32 v23, 0
	s_and_saveexec_b64 s[38:39], vcc
	s_cbranch_execz .LBB251_327
; %bb.324:                              ;   in Loop: Header=BB251_10 Depth=1
	v_and_b32_e32 v4, 0x7f, v12
	v_mov_b32_e32 v22, 0x7f800001
	v_cmp_ne_u32_e32 vcc, s43, v4
	v_mov_b32_e32 v23, 0
	s_and_saveexec_b64 s[40:41], vcc
	s_cbranch_execz .LBB251_326
; %bb.325:                              ;   in Loop: Header=BB251_10 Depth=1
	v_and_b32_e32 v5, 7, v12
	v_lshrrev_b32_e32 v13, 3, v4
	v_cmp_gt_u32_e32 vcc, 8, v4
	v_ffbh_u32_e32 v4, v5
	v_min_u32_e32 v4, 32, v4
	v_subrev_u32_e32 v6, 28, v4
	v_lshlrev_b64 v[6:7], v6, v[12:13]
	v_sub_u32_e32 v4, 29, v4
	v_and_b32_e32 v6, 7, v6
	v_cndmask_b32_e32 v4, v13, v4, vcc
	v_cndmask_b32_e32 v5, v5, v6, vcc
	v_bfrev_b32_e32 v7, 60
	v_lshlrev_b32_e32 v5, 20, v5
	v_and_b32_sdwa v6, sext(v12), s27 dst_sel:DWORD dst_unused:UNUSED_PAD src0_sel:BYTE_0 src1_sel:DWORD
	v_lshl_add_u32 v4, v4, 23, v7
	v_or3_b32 v28, v6, v4, v5
	v_pk_mov_b32 v[22:23], v[28:29], v[28:29] op_sel:[0,1]
	v_mov_b32_e32 v19, v45
.LBB251_326:                            ;   in Loop: Header=BB251_10 Depth=1
	s_or_b64 exec, exec, s[40:41]
.LBB251_327:                            ;   in Loop: Header=BB251_10 Depth=1
	s_or_b64 exec, exec, s[38:39]
.LBB251_328:                            ;   in Loop: Header=BB251_10 Depth=1
	s_or_b64 exec, exec, s[36:37]
	v_cmp_ne_u16_sdwa vcc, v12, v29 src0_sel:BYTE_1 src1_sel:DWORD
	s_and_saveexec_b64 s[36:37], vcc
	s_cbranch_execz .LBB251_334
; %bb.329:                              ;   in Loop: Header=BB251_10 Depth=1
	v_cmp_ne_u16_sdwa vcc, v12, s21 src0_sel:BYTE_1 src1_sel:DWORD
	v_pk_mov_b32 v[40:41], s[26:27], s[26:27] op_sel:[0,1]
	s_and_saveexec_b64 s[38:39], vcc
	s_cbranch_execz .LBB251_333
; %bb.330:                              ;   in Loop: Header=BB251_10 Depth=1
	v_and_b32_sdwa v6, v12, s43 dst_sel:DWORD dst_unused:UNUSED_PAD src0_sel:BYTE_1 src1_sel:DWORD
	s_mov_b32 s34, s26
	v_cmp_ne_u32_e32 vcc, s43, v6
	v_pk_mov_b32 v[40:41], s[34:35], s[34:35] op_sel:[0,1]
	s_and_saveexec_b64 s[40:41], vcc
	s_cbranch_execz .LBB251_332
; %bb.331:                              ;   in Loop: Header=BB251_10 Depth=1
	v_mov_b32_e32 v4, 7
	v_and_b32_sdwa v28, v12, v4 dst_sel:DWORD dst_unused:UNUSED_PAD src0_sel:BYTE_1 src1_sel:DWORD
	v_ffbh_u32_e32 v5, v28
	v_min_u32_e32 v5, 32, v5
	v_lshrrev_b32_e32 v4, 3, v6
	v_cmp_gt_u32_e32 vcc, 8, v6
	v_subrev_u32_e32 v6, 28, v5
	v_lshlrev_b64 v[6:7], v6, v[28:29]
	v_sub_u32_e32 v5, 29, v5
	v_and_b32_e32 v6, 7, v6
	v_cndmask_b32_e32 v4, v4, v5, vcc
	v_bfrev_b32_e32 v7, 60
	v_cndmask_b32_e32 v5, v28, v6, vcc
	v_lshlrev_b32_e32 v6, 16, v12
	v_lshl_add_u32 v4, v4, 23, v7
	v_and_or_b32 v4, v6, s27, v4
	v_lshlrev_b32_e32 v5, 20, v5
	v_mov_b32_e32 v19, v45
	v_or_b32_e32 v41, v4, v5
	v_mov_b32_e32 v40, v29
.LBB251_332:                            ;   in Loop: Header=BB251_10 Depth=1
	s_or_b64 exec, exec, s[40:41]
.LBB251_333:                            ;   in Loop: Header=BB251_10 Depth=1
	s_or_b64 exec, exec, s[38:39]
.LBB251_334:                            ;   in Loop: Header=BB251_10 Depth=1
	s_or_b64 exec, exec, s[36:37]
	flat_load_ushort v2, v[2:3] offset:12
	v_pk_mov_b32 v[56:57], 0, 0
	s_waitcnt vmcnt(0) lgkmcnt(0)
	v_and_b32_e32 v12, 0xffff, v2
	v_cmp_ne_u16_sdwa vcc, v2, v29 src0_sel:BYTE_0 src1_sel:DWORD
	v_pk_mov_b32 v[2:3], v[56:57], v[56:57] op_sel:[0,1]
	s_and_saveexec_b64 s[36:37], vcc
	s_cbranch_execz .LBB251_340
; %bb.335:                              ;   in Loop: Header=BB251_10 Depth=1
	v_bfrev_b32_e32 v2, 1
	v_cmp_ne_u16_sdwa vcc, v12, s21 src0_sel:BYTE_0 src1_sel:DWORD
	v_mov_b32_e32 v3, 0
	s_and_saveexec_b64 s[38:39], vcc
	s_cbranch_execz .LBB251_339
; %bb.336:                              ;   in Loop: Header=BB251_10 Depth=1
	v_and_b32_e32 v4, 0x7f, v12
	v_mov_b32_e32 v2, 0x7f800001
	v_cmp_ne_u32_e32 vcc, s43, v4
	v_mov_b32_e32 v3, 0
	s_and_saveexec_b64 s[40:41], vcc
	s_cbranch_execz .LBB251_338
; %bb.337:                              ;   in Loop: Header=BB251_10 Depth=1
	v_and_b32_e32 v5, 7, v12
	v_ffbh_u32_e32 v2, v5
	v_lshrrev_b32_e32 v6, 3, v4
	v_cmp_gt_u32_e32 vcc, 8, v4
	v_min_u32_e32 v4, 32, v2
	v_subrev_u32_e32 v2, 28, v4
	v_lshlrev_b64 v[2:3], v2, v[12:13]
	v_sub_u32_e32 v3, 29, v4
	v_and_b32_e32 v2, 7, v2
	v_cndmask_b32_e32 v3, v6, v3, vcc
	v_cndmask_b32_e32 v2, v5, v2, vcc
	v_bfrev_b32_e32 v5, 60
	v_lshlrev_b32_e32 v2, 20, v2
	v_and_b32_sdwa v4, sext(v12), s27 dst_sel:DWORD dst_unused:UNUSED_PAD src0_sel:BYTE_0 src1_sel:DWORD
	v_lshl_add_u32 v3, v3, 23, v5
	v_or3_b32 v28, v4, v3, v2
	v_pk_mov_b32 v[2:3], v[28:29], v[28:29] op_sel:[0,1]
	v_mov_b32_e32 v19, v45
.LBB251_338:                            ;   in Loop: Header=BB251_10 Depth=1
	s_or_b64 exec, exec, s[40:41]
.LBB251_339:                            ;   in Loop: Header=BB251_10 Depth=1
	s_or_b64 exec, exec, s[38:39]
.LBB251_340:                            ;   in Loop: Header=BB251_10 Depth=1
	s_or_b64 exec, exec, s[36:37]
	v_cmp_ne_u16_sdwa vcc, v12, v29 src0_sel:BYTE_1 src1_sel:DWORD
	s_and_saveexec_b64 s[36:37], vcc
	s_cbranch_execz .LBB251_346
; %bb.341:                              ;   in Loop: Header=BB251_10 Depth=1
	v_cmp_ne_u16_sdwa vcc, v12, s21 src0_sel:BYTE_1 src1_sel:DWORD
	v_pk_mov_b32 v[56:57], s[26:27], s[26:27] op_sel:[0,1]
	s_and_saveexec_b64 s[38:39], vcc
	s_cbranch_execz .LBB251_345
; %bb.342:                              ;   in Loop: Header=BB251_10 Depth=1
	v_and_b32_sdwa v6, v12, s43 dst_sel:DWORD dst_unused:UNUSED_PAD src0_sel:BYTE_1 src1_sel:DWORD
	s_mov_b32 s34, s26
	v_cmp_ne_u32_e32 vcc, s43, v6
	v_pk_mov_b32 v[56:57], s[34:35], s[34:35] op_sel:[0,1]
	s_and_saveexec_b64 s[40:41], vcc
	s_cbranch_execz .LBB251_344
; %bb.343:                              ;   in Loop: Header=BB251_10 Depth=1
	v_mov_b32_e32 v4, 7
	v_and_b32_sdwa v28, v12, v4 dst_sel:DWORD dst_unused:UNUSED_PAD src0_sel:BYTE_1 src1_sel:DWORD
	v_ffbh_u32_e32 v5, v28
	v_min_u32_e32 v5, 32, v5
	v_lshrrev_b32_e32 v4, 3, v6
	v_cmp_gt_u32_e32 vcc, 8, v6
	v_subrev_u32_e32 v6, 28, v5
	v_lshlrev_b64 v[6:7], v6, v[28:29]
	v_sub_u32_e32 v5, 29, v5
	v_and_b32_e32 v6, 7, v6
	v_cndmask_b32_e32 v4, v4, v5, vcc
	v_bfrev_b32_e32 v7, 60
	v_cndmask_b32_e32 v5, v28, v6, vcc
	v_lshlrev_b32_e32 v6, 16, v12
	v_lshl_add_u32 v4, v4, 23, v7
	v_and_or_b32 v4, v6, s27, v4
	v_lshlrev_b32_e32 v5, 20, v5
	v_mov_b32_e32 v19, v45
	v_or_b32_e32 v57, v4, v5
	v_mov_b32_e32 v56, v29
.LBB251_344:                            ;   in Loop: Header=BB251_10 Depth=1
	s_or_b64 exec, exec, s[40:41]
.LBB251_345:                            ;   in Loop: Header=BB251_10 Depth=1
	s_or_b64 exec, exec, s[38:39]
.LBB251_346:                            ;   in Loop: Header=BB251_10 Depth=1
	s_or_b64 exec, exec, s[36:37]
	flat_load_ushort v4, v[48:49] offset:3584
	v_pk_mov_b32 v[26:27], 0, 0
	v_pk_mov_b32 v[14:15], v[26:27], v[26:27] op_sel:[0,1]
	s_waitcnt vmcnt(0) lgkmcnt(0)
	v_and_b32_e32 v12, 0xffff, v4
	v_cmp_ne_u16_sdwa vcc, v4, v29 src0_sel:BYTE_0 src1_sel:DWORD
	s_and_saveexec_b64 s[36:37], vcc
	s_cbranch_execz .LBB251_352
; %bb.347:                              ;   in Loop: Header=BB251_10 Depth=1
	v_bfrev_b32_e32 v14, 1
	v_cmp_ne_u16_sdwa vcc, v12, s21 src0_sel:BYTE_0 src1_sel:DWORD
	v_mov_b32_e32 v15, 0
	s_and_saveexec_b64 s[38:39], vcc
	s_cbranch_execz .LBB251_351
; %bb.348:                              ;   in Loop: Header=BB251_10 Depth=1
	v_and_b32_e32 v4, 0x7f, v12
	v_mov_b32_e32 v14, 0x7f800001
	v_cmp_ne_u32_e32 vcc, s43, v4
	v_mov_b32_e32 v15, 0
	s_and_saveexec_b64 s[40:41], vcc
	s_cbranch_execz .LBB251_350
; %bb.349:                              ;   in Loop: Header=BB251_10 Depth=1
	v_and_b32_e32 v5, 7, v12
	v_lshrrev_b32_e32 v13, 3, v4
	v_cmp_gt_u32_e32 vcc, 8, v4
	v_ffbh_u32_e32 v4, v5
	v_min_u32_e32 v4, 32, v4
	v_subrev_u32_e32 v6, 28, v4
	v_lshlrev_b64 v[6:7], v6, v[12:13]
	v_sub_u32_e32 v4, 29, v4
	v_and_b32_e32 v6, 7, v6
	v_cndmask_b32_e32 v4, v13, v4, vcc
	v_cndmask_b32_e32 v5, v5, v6, vcc
	v_bfrev_b32_e32 v7, 60
	v_lshlrev_b32_e32 v5, 20, v5
	v_and_b32_sdwa v6, sext(v12), s27 dst_sel:DWORD dst_unused:UNUSED_PAD src0_sel:BYTE_0 src1_sel:DWORD
	v_lshl_add_u32 v4, v4, 23, v7
	v_or3_b32 v28, v6, v4, v5
	v_pk_mov_b32 v[14:15], v[28:29], v[28:29] op_sel:[0,1]
	v_mov_b32_e32 v19, v45
.LBB251_350:                            ;   in Loop: Header=BB251_10 Depth=1
	s_or_b64 exec, exec, s[40:41]
.LBB251_351:                            ;   in Loop: Header=BB251_10 Depth=1
	s_or_b64 exec, exec, s[38:39]
.LBB251_352:                            ;   in Loop: Header=BB251_10 Depth=1
	s_or_b64 exec, exec, s[36:37]
	v_cmp_ne_u16_sdwa vcc, v12, v29 src0_sel:BYTE_1 src1_sel:DWORD
	s_and_saveexec_b64 s[36:37], vcc
	s_cbranch_execz .LBB251_358
; %bb.353:                              ;   in Loop: Header=BB251_10 Depth=1
	v_cmp_ne_u16_sdwa vcc, v12, s21 src0_sel:BYTE_1 src1_sel:DWORD
	v_pk_mov_b32 v[26:27], s[26:27], s[26:27] op_sel:[0,1]
	s_and_saveexec_b64 s[38:39], vcc
	s_cbranch_execz .LBB251_357
; %bb.354:                              ;   in Loop: Header=BB251_10 Depth=1
	v_and_b32_sdwa v6, v12, s43 dst_sel:DWORD dst_unused:UNUSED_PAD src0_sel:BYTE_1 src1_sel:DWORD
	s_mov_b32 s34, s26
	v_cmp_ne_u32_e32 vcc, s43, v6
	v_pk_mov_b32 v[26:27], s[34:35], s[34:35] op_sel:[0,1]
	s_and_saveexec_b64 s[40:41], vcc
	s_cbranch_execz .LBB251_356
; %bb.355:                              ;   in Loop: Header=BB251_10 Depth=1
	v_mov_b32_e32 v4, 7
	v_and_b32_sdwa v28, v12, v4 dst_sel:DWORD dst_unused:UNUSED_PAD src0_sel:BYTE_1 src1_sel:DWORD
	v_ffbh_u32_e32 v5, v28
	v_min_u32_e32 v5, 32, v5
	v_lshrrev_b32_e32 v4, 3, v6
	v_cmp_gt_u32_e32 vcc, 8, v6
	v_subrev_u32_e32 v6, 28, v5
	v_lshlrev_b64 v[6:7], v6, v[28:29]
	v_sub_u32_e32 v5, 29, v5
	v_and_b32_e32 v6, 7, v6
	v_cndmask_b32_e32 v4, v4, v5, vcc
	v_bfrev_b32_e32 v7, 60
	v_cndmask_b32_e32 v5, v28, v6, vcc
	v_lshlrev_b32_e32 v6, 16, v12
	v_lshl_add_u32 v4, v4, 23, v7
	v_and_or_b32 v4, v6, s27, v4
	v_lshlrev_b32_e32 v5, 20, v5
	v_mov_b32_e32 v19, v45
	v_or_b32_e32 v27, v4, v5
	v_mov_b32_e32 v26, v29
.LBB251_356:                            ;   in Loop: Header=BB251_10 Depth=1
	s_or_b64 exec, exec, s[40:41]
.LBB251_357:                            ;   in Loop: Header=BB251_10 Depth=1
	s_or_b64 exec, exec, s[38:39]
.LBB251_358:                            ;   in Loop: Header=BB251_10 Depth=1
	s_or_b64 exec, exec, s[36:37]
	flat_load_ushort v4, v[48:49] offset:3588
	v_pk_mov_b32 v[12:13], 0, 0
	v_pk_mov_b32 v[32:33], v[12:13], v[12:13] op_sel:[0,1]
	s_waitcnt vmcnt(0) lgkmcnt(0)
	v_and_b32_e32 v34, 0xffff, v4
	v_cmp_ne_u16_sdwa vcc, v4, v29 src0_sel:BYTE_0 src1_sel:DWORD
	s_and_saveexec_b64 s[36:37], vcc
	s_cbranch_execz .LBB251_364
; %bb.359:                              ;   in Loop: Header=BB251_10 Depth=1
	v_bfrev_b32_e32 v32, 1
	v_cmp_ne_u16_sdwa vcc, v34, s21 src0_sel:BYTE_0 src1_sel:DWORD
	v_mov_b32_e32 v33, 0
	s_and_saveexec_b64 s[38:39], vcc
	s_cbranch_execz .LBB251_363
; %bb.360:                              ;   in Loop: Header=BB251_10 Depth=1
	v_and_b32_e32 v4, 0x7f, v34
	v_mov_b32_e32 v32, 0x7f800001
	v_cmp_ne_u32_e32 vcc, s43, v4
	v_mov_b32_e32 v33, 0
	s_and_saveexec_b64 s[40:41], vcc
	s_cbranch_execz .LBB251_362
; %bb.361:                              ;   in Loop: Header=BB251_10 Depth=1
	v_and_b32_e32 v5, 7, v34
	v_lshrrev_b32_e32 v18, 3, v4
	v_cmp_gt_u32_e32 vcc, 8, v4
	v_ffbh_u32_e32 v4, v5
	v_min_u32_e32 v4, 32, v4
	v_subrev_u32_e32 v6, 28, v4
	v_lshlrev_b64 v[6:7], v6, v[34:35]
	v_sub_u32_e32 v4, 29, v4
	v_and_b32_e32 v6, 7, v6
	v_cndmask_b32_e32 v4, v18, v4, vcc
	v_cndmask_b32_e32 v5, v5, v6, vcc
	v_bfrev_b32_e32 v7, 60
	v_lshlrev_b32_e32 v5, 20, v5
	v_and_b32_sdwa v6, sext(v34), s27 dst_sel:DWORD dst_unused:UNUSED_PAD src0_sel:BYTE_0 src1_sel:DWORD
	v_lshl_add_u32 v4, v4, 23, v7
	v_or3_b32 v28, v6, v4, v5
	v_pk_mov_b32 v[32:33], v[28:29], v[28:29] op_sel:[0,1]
	v_mov_b32_e32 v19, v45
.LBB251_362:                            ;   in Loop: Header=BB251_10 Depth=1
	s_or_b64 exec, exec, s[40:41]
.LBB251_363:                            ;   in Loop: Header=BB251_10 Depth=1
	s_or_b64 exec, exec, s[38:39]
.LBB251_364:                            ;   in Loop: Header=BB251_10 Depth=1
	s_or_b64 exec, exec, s[36:37]
	v_cmp_ne_u16_sdwa vcc, v34, v29 src0_sel:BYTE_1 src1_sel:DWORD
	s_and_saveexec_b64 s[36:37], vcc
	s_cbranch_execz .LBB251_370
; %bb.365:                              ;   in Loop: Header=BB251_10 Depth=1
	v_cmp_ne_u16_sdwa vcc, v34, s21 src0_sel:BYTE_1 src1_sel:DWORD
	v_pk_mov_b32 v[12:13], s[26:27], s[26:27] op_sel:[0,1]
	s_and_saveexec_b64 s[38:39], vcc
	s_cbranch_execz .LBB251_369
; %bb.366:                              ;   in Loop: Header=BB251_10 Depth=1
	v_and_b32_sdwa v6, v34, s43 dst_sel:DWORD dst_unused:UNUSED_PAD src0_sel:BYTE_1 src1_sel:DWORD
	s_mov_b32 s34, s26
	v_cmp_ne_u32_e32 vcc, s43, v6
	v_pk_mov_b32 v[12:13], s[34:35], s[34:35] op_sel:[0,1]
	s_and_saveexec_b64 s[40:41], vcc
	s_cbranch_execz .LBB251_368
; %bb.367:                              ;   in Loop: Header=BB251_10 Depth=1
	v_mov_b32_e32 v4, 7
	v_and_b32_sdwa v28, v34, v4 dst_sel:DWORD dst_unused:UNUSED_PAD src0_sel:BYTE_1 src1_sel:DWORD
	v_ffbh_u32_e32 v5, v28
	v_min_u32_e32 v5, 32, v5
	v_lshrrev_b32_e32 v4, 3, v6
	v_cmp_gt_u32_e32 vcc, 8, v6
	v_subrev_u32_e32 v6, 28, v5
	v_lshlrev_b64 v[6:7], v6, v[28:29]
	v_sub_u32_e32 v5, 29, v5
	v_and_b32_e32 v6, 7, v6
	v_cndmask_b32_e32 v4, v4, v5, vcc
	v_bfrev_b32_e32 v7, 60
	v_cndmask_b32_e32 v5, v28, v6, vcc
	v_lshlrev_b32_e32 v6, 16, v34
	v_lshl_add_u32 v4, v4, 23, v7
	v_and_or_b32 v4, v6, s27, v4
	v_lshlrev_b32_e32 v5, 20, v5
	v_mov_b32_e32 v19, v45
	v_or_b32_e32 v13, v4, v5
	v_mov_b32_e32 v12, v29
.LBB251_368:                            ;   in Loop: Header=BB251_10 Depth=1
	s_or_b64 exec, exec, s[40:41]
.LBB251_369:                            ;   in Loop: Header=BB251_10 Depth=1
	s_or_b64 exec, exec, s[38:39]
.LBB251_370:                            ;   in Loop: Header=BB251_10 Depth=1
	s_or_b64 exec, exec, s[36:37]
	v_add_co_u32_e32 v34, vcc, 0xe00, v48
	v_addc_co_u32_e32 v35, vcc, 0, v49, vcc
	flat_load_ushort v4, v[34:35] offset:8
	v_pk_mov_b32 v[36:37], 0, 0
	v_pk_mov_b32 v[52:53], v[36:37], v[36:37] op_sel:[0,1]
	s_waitcnt vmcnt(0) lgkmcnt(0)
	v_and_b32_e32 v48, 0xffff, v4
	v_cmp_ne_u16_sdwa vcc, v4, v29 src0_sel:BYTE_0 src1_sel:DWORD
	s_and_saveexec_b64 s[36:37], vcc
	s_cbranch_execz .LBB251_376
; %bb.371:                              ;   in Loop: Header=BB251_10 Depth=1
	v_bfrev_b32_e32 v52, 1
	v_cmp_ne_u16_sdwa vcc, v48, s21 src0_sel:BYTE_0 src1_sel:DWORD
	v_mov_b32_e32 v53, 0
	s_and_saveexec_b64 s[38:39], vcc
	s_cbranch_execz .LBB251_375
; %bb.372:                              ;   in Loop: Header=BB251_10 Depth=1
	v_and_b32_e32 v4, 0x7f, v48
	v_mov_b32_e32 v52, 0x7f800001
	v_cmp_ne_u32_e32 vcc, s43, v4
	v_mov_b32_e32 v53, 0
	s_and_saveexec_b64 s[40:41], vcc
	s_cbranch_execz .LBB251_374
; %bb.373:                              ;   in Loop: Header=BB251_10 Depth=1
	v_and_b32_e32 v5, 7, v48
	v_lshrrev_b32_e32 v18, 3, v4
	v_cmp_gt_u32_e32 vcc, 8, v4
	v_ffbh_u32_e32 v4, v5
	v_min_u32_e32 v4, 32, v4
	v_subrev_u32_e32 v6, 28, v4
	v_lshlrev_b64 v[6:7], v6, v[48:49]
	v_sub_u32_e32 v4, 29, v4
	v_and_b32_e32 v6, 7, v6
	v_cndmask_b32_e32 v4, v18, v4, vcc
	v_cndmask_b32_e32 v5, v5, v6, vcc
	v_bfrev_b32_e32 v7, 60
	v_lshlrev_b32_e32 v5, 20, v5
	v_and_b32_sdwa v6, sext(v48), s27 dst_sel:DWORD dst_unused:UNUSED_PAD src0_sel:BYTE_0 src1_sel:DWORD
	v_lshl_add_u32 v4, v4, 23, v7
	v_or3_b32 v28, v6, v4, v5
	v_pk_mov_b32 v[52:53], v[28:29], v[28:29] op_sel:[0,1]
	v_mov_b32_e32 v19, v45
.LBB251_374:                            ;   in Loop: Header=BB251_10 Depth=1
	s_or_b64 exec, exec, s[40:41]
.LBB251_375:                            ;   in Loop: Header=BB251_10 Depth=1
	s_or_b64 exec, exec, s[38:39]
.LBB251_376:                            ;   in Loop: Header=BB251_10 Depth=1
	s_or_b64 exec, exec, s[36:37]
	v_cmp_ne_u16_sdwa vcc, v48, v29 src0_sel:BYTE_1 src1_sel:DWORD
	s_and_saveexec_b64 s[36:37], vcc
	s_cbranch_execz .LBB251_382
; %bb.377:                              ;   in Loop: Header=BB251_10 Depth=1
	v_cmp_ne_u16_sdwa vcc, v48, s21 src0_sel:BYTE_1 src1_sel:DWORD
	v_pk_mov_b32 v[36:37], s[26:27], s[26:27] op_sel:[0,1]
	s_and_saveexec_b64 s[38:39], vcc
	s_cbranch_execz .LBB251_381
; %bb.378:                              ;   in Loop: Header=BB251_10 Depth=1
	v_and_b32_sdwa v6, v48, s43 dst_sel:DWORD dst_unused:UNUSED_PAD src0_sel:BYTE_1 src1_sel:DWORD
	s_mov_b32 s34, s26
	v_cmp_ne_u32_e32 vcc, s43, v6
	v_pk_mov_b32 v[36:37], s[34:35], s[34:35] op_sel:[0,1]
	s_and_saveexec_b64 s[40:41], vcc
	s_cbranch_execz .LBB251_380
; %bb.379:                              ;   in Loop: Header=BB251_10 Depth=1
	v_mov_b32_e32 v4, 7
	v_and_b32_sdwa v28, v48, v4 dst_sel:DWORD dst_unused:UNUSED_PAD src0_sel:BYTE_1 src1_sel:DWORD
	v_ffbh_u32_e32 v5, v28
	v_min_u32_e32 v5, 32, v5
	v_lshrrev_b32_e32 v4, 3, v6
	v_cmp_gt_u32_e32 vcc, 8, v6
	v_subrev_u32_e32 v6, 28, v5
	v_lshlrev_b64 v[6:7], v6, v[28:29]
	v_sub_u32_e32 v5, 29, v5
	v_and_b32_e32 v6, 7, v6
	v_cndmask_b32_e32 v4, v4, v5, vcc
	v_bfrev_b32_e32 v7, 60
	v_cndmask_b32_e32 v5, v28, v6, vcc
	v_lshlrev_b32_e32 v6, 16, v48
	v_lshl_add_u32 v4, v4, 23, v7
	v_and_or_b32 v4, v6, s27, v4
	v_lshlrev_b32_e32 v5, 20, v5
	v_mov_b32_e32 v19, v45
	v_or_b32_e32 v37, v4, v5
	v_mov_b32_e32 v36, v29
.LBB251_380:                            ;   in Loop: Header=BB251_10 Depth=1
	s_or_b64 exec, exec, s[40:41]
.LBB251_381:                            ;   in Loop: Header=BB251_10 Depth=1
	s_or_b64 exec, exec, s[38:39]
.LBB251_382:                            ;   in Loop: Header=BB251_10 Depth=1
	s_or_b64 exec, exec, s[36:37]
	flat_load_ushort v4, v[34:35] offset:12
	v_pk_mov_b32 v[6:7], 0, 0
	v_pk_mov_b32 v[20:21], v[6:7], v[6:7] op_sel:[0,1]
	s_waitcnt vmcnt(0) lgkmcnt(0)
	v_and_b32_e32 v44, 0xffff, v4
	v_cmp_ne_u16_sdwa vcc, v4, v29 src0_sel:BYTE_0 src1_sel:DWORD
	s_and_saveexec_b64 s[36:37], vcc
	s_cbranch_execz .LBB251_388
; %bb.383:                              ;   in Loop: Header=BB251_10 Depth=1
	v_bfrev_b32_e32 v20, 1
	v_cmp_ne_u16_sdwa vcc, v44, s21 src0_sel:BYTE_0 src1_sel:DWORD
	v_mov_b32_e32 v21, 0
	s_and_saveexec_b64 s[38:39], vcc
	s_cbranch_execz .LBB251_387
; %bb.384:                              ;   in Loop: Header=BB251_10 Depth=1
	v_and_b32_e32 v4, 0x7f, v44
	v_mov_b32_e32 v20, 0x7f800001
	v_cmp_ne_u32_e32 vcc, s43, v4
	v_mov_b32_e32 v21, 0
	s_and_saveexec_b64 s[40:41], vcc
	s_cbranch_execz .LBB251_386
; %bb.385:                              ;   in Loop: Header=BB251_10 Depth=1
	v_and_b32_e32 v5, 7, v44
	v_lshrrev_b32_e32 v18, 3, v4
	v_cmp_gt_u32_e32 vcc, 8, v4
	v_ffbh_u32_e32 v4, v5
	v_min_u32_e32 v4, 32, v4
	v_subrev_u32_e32 v20, 28, v4
	v_lshlrev_b64 v[20:21], v20, v[44:45]
	v_sub_u32_e32 v4, 29, v4
	v_and_b32_e32 v20, 7, v20
	v_cndmask_b32_e32 v4, v18, v4, vcc
	v_cndmask_b32_e32 v5, v5, v20, vcc
	v_bfrev_b32_e32 v20, 60
	v_lshlrev_b32_e32 v5, 20, v5
	v_and_b32_sdwa v18, sext(v44), s27 dst_sel:DWORD dst_unused:UNUSED_PAD src0_sel:BYTE_0 src1_sel:DWORD
	v_lshl_add_u32 v4, v4, 23, v20
	v_or3_b32 v28, v18, v4, v5
	v_pk_mov_b32 v[20:21], v[28:29], v[28:29] op_sel:[0,1]
	v_mov_b32_e32 v19, v45
.LBB251_386:                            ;   in Loop: Header=BB251_10 Depth=1
	s_or_b64 exec, exec, s[40:41]
.LBB251_387:                            ;   in Loop: Header=BB251_10 Depth=1
	s_or_b64 exec, exec, s[38:39]
.LBB251_388:                            ;   in Loop: Header=BB251_10 Depth=1
	s_or_b64 exec, exec, s[36:37]
	v_cmp_ne_u16_sdwa vcc, v44, v29 src0_sel:BYTE_1 src1_sel:DWORD
	s_and_saveexec_b64 s[36:37], vcc
	s_cbranch_execz .LBB251_394
; %bb.389:                              ;   in Loop: Header=BB251_10 Depth=1
	v_cmp_ne_u16_sdwa vcc, v44, s21 src0_sel:BYTE_1 src1_sel:DWORD
	v_pk_mov_b32 v[6:7], s[26:27], s[26:27] op_sel:[0,1]
	s_and_saveexec_b64 s[38:39], vcc
	s_cbranch_execz .LBB251_393
; %bb.390:                              ;   in Loop: Header=BB251_10 Depth=1
	v_and_b32_sdwa v34, v44, s43 dst_sel:DWORD dst_unused:UNUSED_PAD src0_sel:BYTE_1 src1_sel:DWORD
	s_mov_b32 s34, s26
	v_cmp_ne_u32_e32 vcc, s43, v34
	v_pk_mov_b32 v[6:7], s[34:35], s[34:35] op_sel:[0,1]
	s_and_saveexec_b64 s[40:41], vcc
	s_cbranch_execz .LBB251_392
; %bb.391:                              ;   in Loop: Header=BB251_10 Depth=1
	v_mov_b32_e32 v4, 7
	v_and_b32_sdwa v28, v44, v4 dst_sel:DWORD dst_unused:UNUSED_PAD src0_sel:BYTE_1 src1_sel:DWORD
	v_ffbh_u32_e32 v5, v28
	v_min_u32_e32 v5, 32, v5
	v_subrev_u32_e32 v6, 28, v5
	v_lshrrev_b32_e32 v4, 3, v34
	v_cmp_gt_u32_e32 vcc, 8, v34
	v_lshlrev_b64 v[34:35], v6, v[28:29]
	v_sub_u32_e32 v5, 29, v5
	v_and_b32_e32 v6, 7, v34
	v_cndmask_b32_e32 v4, v4, v5, vcc
	v_bfrev_b32_e32 v7, 60
	v_cndmask_b32_e32 v5, v28, v6, vcc
	v_lshlrev_b32_e32 v6, 16, v44
	v_lshl_add_u32 v4, v4, 23, v7
	v_and_or_b32 v4, v6, s27, v4
	v_lshlrev_b32_e32 v5, 20, v5
	v_mov_b32_e32 v19, v45
	v_or_b32_e32 v7, v4, v5
	v_mov_b32_e32 v6, v29
.LBB251_392:                            ;   in Loop: Header=BB251_10 Depth=1
	s_or_b64 exec, exec, s[40:41]
.LBB251_393:                            ;   in Loop: Header=BB251_10 Depth=1
	s_or_b64 exec, exec, s[38:39]
.LBB251_394:                            ;   in Loop: Header=BB251_10 Depth=1
	s_or_b64 exec, exec, s[36:37]
	v_or_b32_e32 v3, v57, v3
	v_or_b32_e32 v2, v56, v2
	v_accvgpr_write_b32 a17, v3
	v_accvgpr_write_b32 a16, v2
	v_or_b32_e32 v3, v41, v23
	v_or_b32_e32 v2, v40, v22
	v_accvgpr_write_b32 a7, v3
	v_or_b32_e32 v4, v36, v52
	v_accvgpr_write_b32 a6, v2
	v_accvgpr_read_b32 v2, a56
	v_or_b32_e32 v5, v37, v53
	v_accvgpr_write_b32 a0, v4
	v_accvgpr_read_b32 v3, a57
	v_accvgpr_write_b32 a1, v5
	v_or_b32_e32 v5, v13, v33
	v_or_b32_e32 v3, v1, v3
	;; [unrolled: 1-line block ×3, first 2 shown]
	v_accvgpr_read_b32 v0, a20
	v_or_b32_e32 v4, v12, v32
	v_accvgpr_write_b32 a23, v5
	v_accvgpr_read_b32 v1, a21
	v_accvgpr_write_b32 a22, v4
	v_or_b32_e32 v4, v26, v14
	v_or_b32_e32 v17, v17, v1
	v_or_b32_e32 v16, v16, v0
	v_accvgpr_read_b32 v0, a52
	v_or_b32_e32 v5, v27, v15
	v_accvgpr_write_b32 a4, v4
	v_accvgpr_read_b32 v1, a53
	v_accvgpr_write_b32 a5, v5
	v_or_b32_e32 v53, v61, v1
	v_or_b32_e32 v52, v60, v0
	v_accvgpr_read_b32 v0, a48
	v_accvgpr_read_b32 v4, a54
	;; [unrolled: 1-line block ×4, first 2 shown]
	v_or_b32_e32 v13, v55, v51
	v_or_b32_e32 v12, v54, v50
	;; [unrolled: 1-line block ×4, first 2 shown]
	v_accvgpr_read_b32 v0, a62
	v_accvgpr_read_b32 v4, a50
	;; [unrolled: 1-line block ×4, first 2 shown]
	v_or_b32_e32 v41, v1, v5
	v_or_b32_e32 v40, v0, v4
	v_accvgpr_read_b32 v0, a46
	v_accvgpr_read_b32 v4, a14
	;; [unrolled: 1-line block ×4, first 2 shown]
	v_or_b32_e32 v37, v39, v9
	v_or_b32_e32 v36, v38, v8
	v_or_b32_e32 v39, v43, v25
	v_or_b32_e32 v38, v42, v24
	v_or_b32_e32 v43, v1, v5
	v_or_b32_e32 v42, v0, v4
	v_accvgpr_read_b32 v0, a58
	v_accvgpr_read_b32 v4, a12
	v_accvgpr_read_b32 v1, a59
	v_accvgpr_read_b32 v5, a13
	v_or_b32_e32 v45, v1, v5
	v_or_b32_e32 v44, v0, v4
	v_accvgpr_read_b32 v0, a44
	v_accvgpr_read_b32 v4, a24
	;; [unrolled: 1-line block ×4, first 2 shown]
	v_or_b32_e32 v27, v47, v11
	v_or_b32_e32 v26, v46, v10
	;; [unrolled: 1-line block ×4, first 2 shown]
	v_accvgpr_read_b32 v0, a40
	v_accvgpr_read_b32 v4, a42
	;; [unrolled: 1-line block ×4, first 2 shown]
	v_or_b32_e32 v57, v1, v5
	v_or_b32_e32 v56, v0, v4
	v_accvgpr_read_b32 v0, a36
	v_accvgpr_read_b32 v4, a38
	;; [unrolled: 1-line block ×4, first 2 shown]
	v_or_b32_e32 v33, v59, v31
	v_or_b32_e32 v32, v58, v30
	;; [unrolled: 1-line block ×4, first 2 shown]
	v_accvgpr_read_b32 v0, a32
	v_accvgpr_read_b32 v4, a34
	v_accvgpr_read_b32 v1, a33
	v_accvgpr_read_b32 v5, a35
	v_or_b32_e32 v15, v1, v5
	v_or_b32_e32 v14, v0, v4
	v_accvgpr_read_b32 v0, a10
	v_accvgpr_read_b32 v4, a30
	v_accvgpr_read_b32 v1, a11
	v_accvgpr_read_b32 v5, a31
	v_or_b32_e32 v61, v1, v5
	v_or_b32_e32 v60, v0, v4
	;; [unrolled: 6-line block ×4, first 2 shown]
	buffer_load_dword v8, off, s[0:3], s32 offset:292 ; 4-byte Folded Reload
	buffer_load_dword v9, off, s[0:3], s32 offset:296 ; 4-byte Folded Reload
	v_accvgpr_read_b32 v5, a3
	v_accvgpr_read_b32 v4, a2
	s_waitcnt vmcnt(0)
	v_or_b32_e32 v49, v5, v9
	v_or_b32_e32 v48, v4, v8
	buffer_load_dword v4, off, s[0:3], s32 offset:284 ; 4-byte Folded Reload
	buffer_load_dword v5, off, s[0:3], s32 offset:288 ; 4-byte Folded Reload
	buffer_load_dword v8, off, s[0:3], s32 offset:276 ; 4-byte Folded Reload
	buffer_load_dword v9, off, s[0:3], s32 offset:280 ; 4-byte Folded Reload
	s_waitcnt vmcnt(0)
	v_or_b32_e32 v5, v5, v9
	v_or_b32_e32 v4, v4, v8
	buffer_load_dword v8, off, s[0:3], s32 offset:268 ; 4-byte Folded Reload
	buffer_load_dword v9, off, s[0:3], s32 offset:272 ; 4-byte Folded Reload
	buffer_load_dword v10, off, s[0:3], s32 offset:260 ; 4-byte Folded Reload
	buffer_load_dword v11, off, s[0:3], s32 offset:264 ; 4-byte Folded Reload
	;; [unrolled: 7-line block ×6, first 2 shown]
	s_waitcnt vmcnt(0)
	v_or_b32_e32 v9, v9, v23
	v_or_b32_e32 v8, v8, v22
	;; [unrolled: 1-line block ×4, first 2 shown]
	buffer_load_dword v6, off, s[0:3], s32 offset:320 ; 4-byte Folded Reload
	buffer_load_dword v7, off, s[0:3], s32 offset:324 ; 4-byte Folded Reload
	s_waitcnt vmcnt(1)
	v_mov_b32_e32 v18, v6
	s_waitcnt vmcnt(0)
	v_accvgpr_read_b32 v7, a1
	v_accvgpr_read_b32 v6, a0
	v_pk_mul_f32 v[6:7], v[18:19], v[6:7] op_sel_hi:[0,1]
	v_accvgpr_write_b32 a0, v6
	v_accvgpr_write_b32 a1, v7
	v_accvgpr_read_b32 v6, a22
	v_accvgpr_read_b32 v7, a23
	v_pk_mul_f32 v[6:7], v[18:19], v[6:7] op_sel_hi:[0,1]
	v_accvgpr_write_b32 a2, v6
	v_accvgpr_write_b32 a3, v7
	v_accvgpr_read_b32 v7, a5
	v_accvgpr_read_b32 v6, a4
	v_pk_mul_f32 v[6:7], v[18:19], v[6:7] op_sel_hi:[0,1]
	v_accvgpr_write_b32 a4, v6
	v_accvgpr_write_b32 a5, v7
	v_accvgpr_read_b32 v6, a16
	v_accvgpr_read_b32 v7, a17
	v_pk_mul_f32 v[6:7], v[18:19], v[6:7] op_sel_hi:[0,1]
	v_accvgpr_write_b32 a9, v7
	v_accvgpr_write_b32 a8, v6
	v_accvgpr_read_b32 v6, a6
	v_accvgpr_read_b32 v7, a7
	v_pk_mul_f32 v[6:7], v[18:19], v[6:7] op_sel_hi:[0,1]
	v_accvgpr_write_b32 a6, v6
	v_accvgpr_write_b32 a7, v7
	v_pk_mul_f32 v[6:7], v[18:19], v[36:37] op_sel_hi:[0,1]
	v_accvgpr_write_b32 a11, v7
	v_accvgpr_write_b32 a10, v6
	v_pk_mul_f32 v[6:7], v[18:19], v[32:33] op_sel_hi:[0,1]
	v_accvgpr_write_b32 a13, v7
	v_accvgpr_write_b32 a12, v6
	;; [unrolled: 3-line block ×3, first 2 shown]
	v_pk_mul_f32 v[6:7], v[18:19], v[12:13] op_sel_hi:[0,1]
	v_pk_mul_f32 v[26:27], v[18:19], v[2:3] op_sel_hi:[0,1]
	;; [unrolled: 1-line block ×6, first 2 shown]
	buffer_load_dword v56, off, s[0:3], s32 offset:344 ; 4-byte Folded Reload
	buffer_load_dword v57, off, s[0:3], s32 offset:348 ; 4-byte Folded Reload
	;; [unrolled: 1-line block ×4, first 2 shown]
	v_pk_mul_f32 v[20:21], v[18:19], v[38:39] op_sel_hi:[0,1]
	v_pk_mul_f32 v[38:39], v[18:19], v[44:45] op_sel_hi:[0,1]
	;; [unrolled: 1-line block ×18, first 2 shown]
	s_waitcnt vmcnt(1)
	v_mul_f32_e32 v0, v58, v0
	s_waitcnt vmcnt(0)
	v_mul_f32_e32 v1, v59, v1
	v_fmac_f32_e32 v0, v56, v8
	v_fmac_f32_e32 v1, v57, v9
	buffer_load_dword v56, off, s[0:3], s32 offset:360 ; 4-byte Folded Reload
	buffer_load_dword v57, off, s[0:3], s32 offset:364 ; 4-byte Folded Reload
	;; [unrolled: 1-line block ×4, first 2 shown]
	s_waitcnt vmcnt(3)
	v_fmac_f32_e32 v0, v56, v10
	s_waitcnt vmcnt(2)
	v_fmac_f32_e32 v1, v57, v11
	buffer_load_dword v8, off, s[0:3], s32 offset:376 ; 4-byte Folded Reload
	buffer_load_dword v9, off, s[0:3], s32 offset:380 ; 4-byte Folded Reload
	;; [unrolled: 1-line block ×4, first 2 shown]
	s_waitcnt vmcnt(5)
	v_fmac_f32_e32 v0, v58, v24
	s_waitcnt vmcnt(4)
	v_fmac_f32_e32 v1, v59, v25
	;; [unrolled: 2-line block ×6, first 2 shown]
	buffer_load_dword v8, off, s[0:3], s32 offset:408 ; 4-byte Folded Reload
	buffer_load_dword v9, off, s[0:3], s32 offset:412 ; 4-byte Folded Reload
	buffer_load_dword v10, off, s[0:3], s32 offset:416 ; 4-byte Folded Reload
	buffer_load_dword v11, off, s[0:3], s32 offset:420 ; 4-byte Folded Reload
	s_waitcnt vmcnt(3)
	v_fmac_f32_e32 v0, v8, v48
	s_waitcnt vmcnt(2)
	v_fmac_f32_e32 v1, v9, v49
	s_waitcnt vmcnt(1)
	v_fmac_f32_e32 v0, v10, v34
	s_waitcnt vmcnt(0)
	v_fmac_f32_e32 v1, v11, v35
	buffer_load_dword v8, off, s[0:3], s32 offset:424 ; 4-byte Folded Reload
	buffer_load_dword v9, off, s[0:3], s32 offset:428 ; 4-byte Folded Reload
	buffer_load_dword v10, off, s[0:3], s32 offset:432 ; 4-byte Folded Reload
	buffer_load_dword v11, off, s[0:3], s32 offset:436 ; 4-byte Folded Reload
	s_waitcnt vmcnt(3)
	v_fmac_f32_e32 v0, v8, v44
	s_waitcnt vmcnt(2)
	v_fmac_f32_e32 v1, v9, v45
	s_waitcnt vmcnt(1)
	v_fmac_f32_e32 v0, v10, v42
	s_waitcnt vmcnt(0)
	v_fmac_f32_e32 v1, v11, v43
	;; [unrolled: 12-line block ×3, first 2 shown]
	buffer_load_dword v8, off, s[0:3], s32 offset:456 ; 4-byte Folded Reload
	buffer_load_dword v9, off, s[0:3], s32 offset:460 ; 4-byte Folded Reload
	buffer_load_dword v10, off, s[0:3], s32 offset:464 ; 4-byte Folded Reload
	buffer_load_dword v11, off, s[0:3], s32 offset:468 ; 4-byte Folded Reload
	s_waitcnt vmcnt(3)
	v_fmac_f32_e32 v0, v8, v2
	s_waitcnt vmcnt(2)
	v_fmac_f32_e32 v1, v9, v3
	buffer_load_dword v2, off, s[0:3], s32 offset:472 ; 4-byte Folded Reload
	buffer_load_dword v3, off, s[0:3], s32 offset:476 ; 4-byte Folded Reload
	;; [unrolled: 1-line block ×4, first 2 shown]
	s_waitcnt vmcnt(5)
	v_fmac_f32_e32 v0, v10, v54
	s_waitcnt vmcnt(4)
	v_fmac_f32_e32 v1, v11, v55
	;; [unrolled: 2-line block ×6, first 2 shown]
	buffer_load_dword v2, off, s[0:3], s32 offset:488 ; 4-byte Folded Reload
	buffer_load_dword v3, off, s[0:3], s32 offset:492 ; 4-byte Folded Reload
	buffer_load_dword v4, off, s[0:3], s32 offset:496 ; 4-byte Folded Reload
	buffer_load_dword v5, off, s[0:3], s32 offset:500 ; 4-byte Folded Reload
	s_waitcnt vmcnt(3)
	v_fmac_f32_e32 v0, v2, v52
	s_waitcnt vmcnt(2)
	v_fmac_f32_e32 v1, v3, v53
	s_waitcnt vmcnt(1)
	v_fmac_f32_e32 v0, v4, v32
	s_waitcnt vmcnt(0)
	v_fmac_f32_e32 v1, v5, v33
	buffer_load_dword v2, off, s[0:3], s32 offset:504 ; 4-byte Folded Reload
	buffer_load_dword v3, off, s[0:3], s32 offset:508 ; 4-byte Folded Reload
	buffer_load_dword v4, off, s[0:3], s32 offset:512 ; 4-byte Folded Reload
	buffer_load_dword v5, off, s[0:3], s32 offset:516 ; 4-byte Folded Reload
	s_waitcnt vmcnt(3)
	v_fmac_f32_e32 v0, v2, v12
	s_waitcnt vmcnt(2)
	v_fmac_f32_e32 v1, v3, v13
	s_waitcnt vmcnt(1)
	v_fmac_f32_e32 v0, v4, v16
	s_waitcnt vmcnt(0)
	v_fmac_f32_e32 v1, v5, v17
	;; [unrolled: 12-line block ×3, first 2 shown]
	buffer_load_dword v2, off, s[0:3], s32 offset:536 ; 4-byte Folded Reload
	buffer_load_dword v3, off, s[0:3], s32 offset:540 ; 4-byte Folded Reload
	;; [unrolled: 1-line block ×4, first 2 shown]
	v_accvgpr_read_b32 v6, a12
	v_accvgpr_read_b32 v7, a13
	s_waitcnt vmcnt(3)
	v_fmac_f32_e32 v0, v2, v20
	s_waitcnt vmcnt(2)
	v_fmac_f32_e32 v1, v3, v21
	v_accvgpr_read_b32 v2, a14
	v_accvgpr_read_b32 v3, a15
	s_waitcnt vmcnt(1)
	v_fmac_f32_e32 v0, v4, v2
	s_waitcnt vmcnt(0)
	v_fmac_f32_e32 v1, v5, v3
	buffer_load_dword v2, off, s[0:3], s32 offset:552 ; 4-byte Folded Reload
	buffer_load_dword v3, off, s[0:3], s32 offset:556 ; 4-byte Folded Reload
	;; [unrolled: 1-line block ×4, first 2 shown]
	s_waitcnt vmcnt(3)
	v_fmac_f32_e32 v0, v2, v6
	s_waitcnt vmcnt(2)
	v_fmac_f32_e32 v1, v3, v7
	v_accvgpr_read_b32 v2, a10
	v_accvgpr_read_b32 v3, a11
	s_waitcnt vmcnt(1)
	v_fmac_f32_e32 v0, v4, v2
	s_waitcnt vmcnt(0)
	v_fmac_f32_e32 v1, v5, v3
	buffer_load_dword v2, off, s[0:3], s32 offset:568 ; 4-byte Folded Reload
	buffer_load_dword v3, off, s[0:3], s32 offset:572 ; 4-byte Folded Reload
	buffer_load_dword v4, off, s[0:3], s32 offset:576 ; 4-byte Folded Reload
	buffer_load_dword v5, off, s[0:3], s32 offset:580 ; 4-byte Folded Reload
	v_accvgpr_read_b32 v6, a6
	v_accvgpr_read_b32 v7, a7
	s_waitcnt vmcnt(3)
	v_fmac_f32_e32 v0, v2, v6
	s_waitcnt vmcnt(2)
	v_fmac_f32_e32 v1, v3, v7
	v_accvgpr_read_b32 v2, a8
	v_accvgpr_read_b32 v3, a9
	s_waitcnt vmcnt(1)
	v_fmac_f32_e32 v0, v4, v2
	s_waitcnt vmcnt(0)
	v_fmac_f32_e32 v1, v5, v3
	buffer_load_dword v2, off, s[0:3], s32 offset:584 ; 4-byte Folded Reload
	buffer_load_dword v3, off, s[0:3], s32 offset:588 ; 4-byte Folded Reload
	buffer_load_dword v4, off, s[0:3], s32 offset:592 ; 4-byte Folded Reload
	buffer_load_dword v5, off, s[0:3], s32 offset:596 ; 4-byte Folded Reload
	v_accvgpr_read_b32 v7, a5
	v_accvgpr_read_b32 v6, a4
	;; [unrolled: 16-line block ×3, first 2 shown]
	s_waitcnt vmcnt(3)
	v_fmac_f32_e32 v0, v2, v6
	s_waitcnt vmcnt(2)
	v_fmac_f32_e32 v1, v3, v7
	;; [unrolled: 2-line block ×4, first 2 shown]
	v_add_f32_e32 v0, v0, v1
	buffer_load_dword v1, off, s[0:3], s32 offset:340 ; 4-byte Folded Reload
	s_waitcnt vmcnt(0)
	ds_bpermute_b32 v1, v1, v0
	s_and_saveexec_b64 s[36:37], s[8:9]
	s_cbranch_execz .LBB251_9
; %bb.395:                              ;   in Loop: Header=BB251_10 Depth=1
	s_waitcnt lgkmcnt(0)
	v_add_f32_e32 v0, v0, v1
	buffer_load_dword v1, off, s[0:3], s32 offset:616 ; 4-byte Folded Reload
	buffer_load_dword v3, off, s[0:3], s32 offset:620 ; 4-byte Folded Reload
	v_accvgpr_read_b32 v4, a60
	v_sub_u32_e32 v2, 1, v62
	v_add_u32_e32 v2, v2, v4
	v_cvt_f32_i32_e32 v2, v2
	s_load_dword vcc_lo, s[28:29], 0x0
	s_waitcnt vmcnt(1)
	v_mul_f32_e32 v1, v1, v2
	v_accvgpr_read_b32 v2, a61
	v_cndmask_b32_e64 v1, 0, v1, s[10:11]
	s_waitcnt lgkmcnt(0)
	v_add_u32_e32 v2, vcc_lo, v2
	s_waitcnt vmcnt(0)
	v_fmac_f32_e32 v1, v0, v3
	v_cmp_lt_i32_e32 vcc, v4, v62
	v_cndmask_b32_e32 v0, 0, v1, vcc
	ds_write_b32 v2, v0
	buffer_load_dword v2, off, s[0:3], s32 offset:328 ; 4-byte Folded Reload
	s_waitcnt vmcnt(0)
	v_max_f32_e32 v0, v2, v2
	v_max_f32_e32 v0, v0, v1
	v_cndmask_b32_e32 v2, v2, v0, vcc
	buffer_store_dword v2, off, s[0:3], s32 offset:328 ; 4-byte Folded Spill
	s_branch .LBB251_9
.LBB251_396:
	s_or_b64 exec, exec, s[30:31]
	buffer_load_dword v11, off, s[0:3], s32 offset:708 ; 4-byte Folded Reload
	buffer_load_dword v10, off, s[0:3], s32 offset:704 ; 4-byte Folded Reload
	s_waitcnt lgkmcnt(0)
	buffer_load_dword v1, off, s[0:3], s32 offset:696 ; 4-byte Folded Reload
	buffer_load_dword v0, off, s[0:3], s32 offset:692 ; 4-byte Folded Reload
	;; [unrolled: 1-line block ×5, first 2 shown]
.LBB251_397:
	s_or_b64 exec, exec, s[16:17]
	buffer_load_dword v12, off, s[0:3], s32 offset:636 ; 4-byte Folded Reload
	buffer_load_dword v13, off, s[0:3], s32 offset:640 ; 4-byte Folded Reload
	;; [unrolled: 1-line block ×3, first 2 shown]
	s_waitcnt vmcnt(3)
	v_and_b32_e32 v30, 63, v19
	s_waitcnt lgkmcnt(0)
	s_lshr_b32 s30, s42, 16
	s_waitcnt vmcnt(2)
	v_xor_b32_e32 v4, 32, v12
	s_waitcnt vmcnt(1)
	v_cmp_lt_i32_e32 vcc, v4, v13
	v_cndmask_b32_e32 v4, v12, v4, vcc
	v_lshlrev_b32_e32 v4, 2, v4
	s_waitcnt vmcnt(0)
	ds_bpermute_b32 v5, v4, v6
	v_xor_b32_e32 v7, 16, v12
	v_max_f32_e32 v6, v6, v6
	v_cmp_lt_i32_e32 vcc, v7, v13
	v_xor_b32_e32 v8, 8, v12
	s_waitcnt lgkmcnt(0)
	v_max_f32_e32 v5, v5, v5
	v_max_f32_e32 v6, v6, v5
	v_cndmask_b32_e32 v5, v12, v7, vcc
	v_lshlrev_b32_e32 v5, 2, v5
	ds_bpermute_b32 v7, v5, v6
	v_cmp_lt_i32_e32 vcc, v8, v13
	v_xor_b32_e32 v9, 4, v12
	s_waitcnt lgkmcnt(0)
	v_max_f32_e32 v7, v7, v7
	v_max_f32_e32 v6, v6, v7
	v_cndmask_b32_e32 v7, v12, v8, vcc
	v_lshlrev_b32_e32 v8, 2, v7
	ds_bpermute_b32 v7, v8, v6
	v_cmp_lt_i32_e32 vcc, v9, v13
	s_waitcnt lgkmcnt(0)
	v_max_f32_e32 v7, v7, v7
	v_max_f32_e32 v6, v6, v7
	v_cndmask_b32_e32 v7, v12, v9, vcc
	v_lshlrev_b32_e32 v26, 2, v7
	ds_bpermute_b32 v7, v26, v6
	v_xor_b32_e32 v9, 2, v12
	v_cmp_lt_i32_e32 vcc, v9, v13
	s_waitcnt lgkmcnt(0)
	v_max_f32_e32 v7, v7, v7
	v_max_f32_e32 v6, v6, v7
	v_cndmask_b32_e32 v7, v12, v9, vcc
	buffer_load_dword v9, off, s[0:3], s32 offset:624 ; 4-byte Folded Reload
	v_lshlrev_b32_e32 v29, 2, v7
	ds_bpermute_b32 v7, v29, v6
	v_cmp_eq_u32_e32 vcc, 0, v30
	s_waitcnt vmcnt(0)
	v_lshlrev_b32_e32 v9, 2, v9
	s_and_saveexec_b64 s[8:9], vcc
	s_cbranch_execz .LBB251_399
; %bb.398:
	s_waitcnt lgkmcnt(0)
	v_max_f32_e32 v7, v7, v7
	v_max_f32_e32 v6, v6, v6
	v_max_f32_e32 v6, v6, v7
	ds_write_b32 v9, v6 offset:512
.LBB251_399:
	s_or_b64 exec, exec, s[8:9]
	v_cmp_gt_u32_e64 s[8:9], 2, v30
	v_mov_b32_e32 v6, 0xff7fffff
	v_lshlrev_b32_e32 v12, 2, v30
	s_waitcnt lgkmcnt(0)
	s_barrier
	s_and_saveexec_b64 s[10:11], s[8:9]
	s_cbranch_execz .LBB251_401
; %bb.400:
	ds_read_b32 v6, v12 offset:512
.LBB251_401:
	s_or_b64 exec, exec, s[10:11]
	buffer_load_dword v14, off, s[0:3], s32 offset:636 ; 4-byte Folded Reload
	buffer_load_dword v13, off, s[0:3], s32 offset:640 ; 4-byte Folded Reload
	v_mov_b32_e32 v15, 0
	s_waitcnt vmcnt(1)
	v_xor_b32_e32 v7, 1, v14
	s_waitcnt vmcnt(0)
	v_cmp_lt_i32_e64 s[10:11], v7, v13
	buffer_load_dword v13, off, s[0:3], s32 offset:308 ; 4-byte Folded Reload
	v_cndmask_b32_e64 v7, v14, v7, s[10:11]
	v_lshlrev_b32_e32 v31, 2, v7
	s_waitcnt lgkmcnt(0)
	ds_bpermute_b32 v7, v31, v6
	v_max_f32_e32 v6, v6, v6
	s_waitcnt lgkmcnt(0)
	v_max_f32_e32 v7, v7, v7
	v_max_f32_e32 v6, v6, v7
	v_lshlrev_b32_e32 v7, 2, v14
	v_and_b32_e32 v14, 0xffffff00, v7
	ds_bpermute_b32 v6, v14, v6
	s_waitcnt vmcnt(0)
	v_subrev_u32_e32 v13, s23, v13
	v_lshl_add_u32 v13, v13, 5, s25
	v_min_i32_e32 v13, v13, v62
	v_subrev_u32_e32 v7, s25, v13
	v_cmp_lt_i32_e64 s[10:11], v19, v7
	s_and_saveexec_b64 s[26:27], s[10:11]
	s_cbranch_execz .LBB251_405
; %bb.402:
	s_ashr_i32 s21, s20, 31
	s_lshl_b64 s[16:17], s[20:21], 2
	s_getpc_b64 s[28:29]
	s_add_u32 s28, s28, llvm.amdgcn.dynlds.offset.table@rel32@lo+4
	s_addc_u32 s29, s29, llvm.amdgcn.dynlds.offset.table@rel32@hi+12
	s_add_u32 s16, s16, s28
	s_addc_u32 s17, s17, s29
	s_load_dword s16, s[16:17], 0x0
	s_mov_b64 s[28:29], 0
	v_mov_b32_e32 v15, 0
	v_mov_b32_e32 v17, v19
	s_waitcnt lgkmcnt(0)
	v_lshl_add_u32 v16, v19, 2, s16
.LBB251_403:                            ; =>This Inner Loop Header: Depth=1
	ds_read_b32 v18, v16
	v_add_u32_e32 v17, 0x80, v17
	v_cmp_ge_i32_e64 s[16:17], v17, v7
	s_or_b64 s[28:29], s[16:17], s[28:29]
	s_waitcnt lgkmcnt(0)
	v_sub_f32_e32 v18, v18, v6
	v_mul_f32_e32 v18, 0x3fb8aa3b, v18
	v_exp_f32_e32 v18, v18
	ds_write_b32 v16, v18
	v_add_f32_e32 v15, v15, v18
	v_add_u32_e32 v16, 0x200, v16
	s_andn2_b64 exec, exec, s[28:29]
	s_cbranch_execnz .LBB251_403
; %bb.404:
	s_or_b64 exec, exec, s[28:29]
.LBB251_405:
	s_or_b64 exec, exec, s[26:27]
	ds_bpermute_b32 v4, v4, v15
	s_waitcnt lgkmcnt(0)
	v_add_f32_e32 v4, v15, v4
	ds_bpermute_b32 v5, v5, v4
	s_waitcnt lgkmcnt(0)
	v_add_f32_e32 v4, v4, v5
	;; [unrolled: 3-line block ×6, first 2 shown]
	s_and_saveexec_b64 s[16:17], vcc
	s_cbranch_execz .LBB251_407
; %bb.406:
	ds_write_b32 v9, v4 offset:520
.LBB251_407:
	s_or_b64 exec, exec, s[16:17]
	s_waitcnt lgkmcnt(0)
	s_barrier
	s_and_saveexec_b64 s[16:17], s[8:9]
	s_cbranch_execz .LBB251_409
; %bb.408:
	ds_read_b32 v4, v12 offset:520
.LBB251_409:
	s_or_b64 exec, exec, s[16:17]
	s_waitcnt lgkmcnt(0)
	ds_bpermute_b32 v5, v31, v4
	s_waitcnt lgkmcnt(0)
	v_add_f32_e32 v4, v4, v5
	ds_bpermute_b32 v8, v14, v4
	s_and_saveexec_b64 s[8:9], s[10:11]
	s_cbranch_execz .LBB251_422
; %bb.410:
	s_waitcnt lgkmcnt(0)
	v_add_f32_e32 v4, 0x358637bd, v8
	v_div_scale_f32 v5, s[10:11], v4, v4, 1.0
	v_rcp_f32_e32 v9, v5
	v_div_scale_f32 v12, vcc, 1.0, v4, 1.0
	s_movk_i32 s10, 0x7f
	v_fma_f32 v14, -v5, v9, 1.0
	v_fmac_f32_e32 v9, v14, v9
	v_mul_f32_e32 v14, v12, v9
	v_fma_f32 v15, -v5, v14, v12
	v_fmac_f32_e32 v14, v15, v9
	v_fma_f32 v5, -v5, v14, v12
	v_div_fmas_f32 v5, v5, v9, v14
	v_div_fixup_f32 v4, v5, v4, 1.0
	v_xad_u32 v5, v19, -1, v13
	v_subrev_u32_e32 v9, s25, v5
	v_cmp_lt_u32_e32 vcc, s10, v9
	s_mov_b64 s[16:17], -1
	v_mov_b32_e32 v5, v19
	s_and_saveexec_b64 s[10:11], vcc
	s_cbranch_execz .LBB251_419
; %bb.411:
	v_lshrrev_b32_e32 v9, 7, v9
	v_add_u32_e32 v13, -1, v9
	v_lshrrev_b32_e32 v12, 1, v13
	v_mov_b32_e32 v5, v4
	v_add_u32_e32 v12, 1, v12
	v_cmp_lt_u32_e32 vcc, 13, v13
	v_mov_b32_e32 v15, 0
	s_and_saveexec_b64 s[16:17], vcc
	s_cbranch_execz .LBB251_415
; %bb.412:
	s_ashr_i32 s21, s20, 31
	s_lshl_b64 s[26:27], s[20:21], 2
	s_getpc_b64 s[28:29]
	s_add_u32 s28, s28, llvm.amdgcn.dynlds.offset.table@rel32@lo+4
	s_addc_u32 s29, s29, llvm.amdgcn.dynlds.offset.table@rel32@hi+12
	s_add_u32 s26, s26, s28
	s_addc_u32 s27, s27, s29
	s_load_dword s23, s[26:27], 0x0
	v_and_b32_e32 v13, -8, v12
	s_mov_b32 s21, 0
	s_mov_b64 s[26:27], 0
	s_waitcnt lgkmcnt(0)
	v_lshl_add_u32 v14, v19, 2, s23
.LBB251_413:                            ; =>This Inner Loop Header: Depth=1
	ds_read2st64_b32 v[16:17], v14 offset1:2
	ds_read2st64_b32 v[18:19], v14 offset0:4 offset1:6
	ds_read2st64_b32 v[20:21], v14 offset0:8 offset1:10
	;; [unrolled: 1-line block ×3, first 2 shown]
	v_add_u32_e32 v13, -8, v13
	s_waitcnt lgkmcnt(3)
	v_pk_mul_f32 v[16:17], v[4:5], v[16:17]
	s_waitcnt lgkmcnt(2)
	v_pk_mul_f32 v[18:19], v[4:5], v[18:19]
	ds_write2st64_b32 v14, v16, v17 offset1:2
	ds_write2st64_b32 v14, v18, v19 offset0:4 offset1:6
	ds_read2st64_b32 v[18:19], v14 offset0:16 offset1:18
	s_waitcnt lgkmcnt(4)
	v_pk_mul_f32 v[16:17], v[4:5], v[20:21]
	ds_write2st64_b32 v14, v16, v17 offset0:8 offset1:10
	s_waitcnt lgkmcnt(4)
	v_pk_mul_f32 v[16:17], v[4:5], v[22:23]
	ds_write2st64_b32 v14, v16, v17 offset0:12 offset1:14
	ds_read2st64_b32 v[16:17], v14 offset0:20 offset1:22
	s_waitcnt lgkmcnt(3)
	v_pk_mul_f32 v[18:19], v[4:5], v[18:19]
	ds_read2st64_b32 v[20:21], v14 offset0:24 offset1:26
	ds_write2st64_b32 v14, v18, v19 offset0:16 offset1:18
	ds_read2st64_b32 v[18:19], v14 offset0:28 offset1:30
	s_waitcnt lgkmcnt(3)
	v_pk_mul_f32 v[16:17], v[4:5], v[16:17]
	ds_write2st64_b32 v14, v16, v17 offset0:20 offset1:22
	s_waitcnt lgkmcnt(3)
	v_pk_mul_f32 v[16:17], v[4:5], v[20:21]
	ds_write2st64_b32 v14, v16, v17 offset0:24 offset1:26
	s_waitcnt lgkmcnt(2)
	v_pk_mul_f32 v[16:17], v[4:5], v[18:19]
	s_add_i32 s21, s21, 16
	v_cmp_eq_u32_e32 vcc, 0, v13
	ds_write2st64_b32 v14, v16, v17 offset0:28 offset1:30
	v_add_u32_e32 v14, 0x2000, v14
	s_or_b64 s[26:27], vcc, s[26:27]
	v_mov_b32_e32 v15, s21
	s_andn2_b64 exec, exec, s[26:27]
	s_cbranch_execnz .LBB251_413
; %bb.414:
	s_or_b64 exec, exec, s[26:27]
	buffer_load_dword v19, off, s[0:3], s32 offset:644 ; 4-byte Folded Reload
.LBB251_415:
	s_or_b64 exec, exec, s[16:17]
	v_and_b32_e32 v12, 7, v12
	v_cmp_ne_u32_e32 vcc, 0, v12
	s_and_saveexec_b64 s[16:17], vcc
	s_cbranch_execz .LBB251_418
; %bb.416:
	buffer_load_dword v14, off, s[0:3], s32 offset:680 ; 4-byte Folded Reload
	s_ashr_i32 s21, s20, 31
	s_lshl_b64 s[26:27], s[20:21], 2
	s_getpc_b64 s[28:29]
	s_add_u32 s28, s28, llvm.amdgcn.dynlds.offset.table@rel32@lo+4
	s_addc_u32 s29, s29, llvm.amdgcn.dynlds.offset.table@rel32@hi+12
	s_add_u32 s26, s26, s28
	s_addc_u32 s27, s27, s29
	s_load_dword s21, s[26:27], 0x0
	v_lshlrev_b32_e32 v13, 9, v15
	s_mov_b64 s[26:27], 0
	s_waitcnt vmcnt(0) lgkmcnt(0)
	v_add3_u32 v13, v13, v14, s21
.LBB251_417:                            ; =>This Inner Loop Header: Depth=1
	ds_read2st64_b32 v[14:15], v13 offset1:2
	v_add_u32_e32 v12, -1, v12
	v_cmp_eq_u32_e32 vcc, 0, v12
	s_or_b64 s[26:27], vcc, s[26:27]
	s_waitcnt lgkmcnt(0)
	v_pk_mul_f32 v[14:15], v[4:5], v[14:15]
	ds_write2st64_b32 v13, v14, v15 offset1:2
	v_add_u32_e32 v13, 0x400, v13
	s_andn2_b64 exec, exec, s[26:27]
	s_cbranch_execnz .LBB251_417
.LBB251_418:
	s_or_b64 exec, exec, s[16:17]
	v_add_u32_e32 v9, 1, v9
	v_and_b32_e32 v12, 0x3fffffe, v9
	v_cmp_ne_u32_e32 vcc, v9, v12
	s_waitcnt vmcnt(0)
	v_lshl_add_u32 v5, v12, 7, v19
	s_orn2_b64 s[16:17], vcc, exec
.LBB251_419:
	s_or_b64 exec, exec, s[10:11]
	s_and_b64 exec, exec, s[16:17]
	s_cbranch_execz .LBB251_422
; %bb.420:
	s_ashr_i32 s21, s20, 31
	s_lshl_b64 s[10:11], s[20:21], 2
	s_getpc_b64 s[16:17]
	s_add_u32 s16, s16, llvm.amdgcn.dynlds.offset.table@rel32@lo+4
	s_addc_u32 s17, s17, llvm.amdgcn.dynlds.offset.table@rel32@hi+12
	s_add_u32 s10, s10, s16
	s_addc_u32 s11, s11, s17
	s_load_dword s10, s[10:11], 0x0
	s_waitcnt lgkmcnt(0)
	v_lshl_add_u32 v9, v5, 2, s10
	s_mov_b64 s[10:11], 0
.LBB251_421:                            ; =>This Inner Loop Header: Depth=1
	ds_read_b32 v12, v9
	v_add_u32_e32 v5, 0x80, v5
	v_cmp_ge_i32_e32 vcc, v5, v7
	s_or_b64 s[10:11], vcc, s[10:11]
	s_waitcnt lgkmcnt(0)
	v_mul_f32_e32 v12, v4, v12
	ds_write_b32 v9, v12
	v_add_u32_e32 v9, 0x200, v9
	s_andn2_b64 exec, exec, s[10:11]
	s_cbranch_execnz .LBB251_421
.LBB251_422:
	s_or_b64 exec, exec, s[8:9]
	v_cmp_ne_u16_e64 s[8:9], s30, 0
	s_cmp_lg_u64 s[8:9], 0
	s_addc_u32 s23, s13, 0
	s_mul_i32 s8, s23, s24
	v_cmp_eq_u32_e32 vcc, 0, v19
	s_mul_i32 s8, s8, s15
	s_waitcnt lgkmcnt(0)
	s_barrier
	s_and_saveexec_b64 s[10:11], vcc
	s_cbranch_execz .LBB251_424
; %bb.423:
	s_mul_i32 s12, s23, s12
	s_ashr_i32 s9, s8, 31
	s_ashr_i32 s13, s12, 31
	;; [unrolled: 1-line block ×3, first 2 shown]
	s_lshl_b64 s[16:17], s[8:9], 2
	s_lshl_b64 s[12:13], s[12:13], 2
	;; [unrolled: 1-line block ×3, first 2 shown]
	s_add_u32 s9, s26, s12
	s_addc_u32 s12, s27, s13
	s_add_u32 s9, s9, s16
	s_addc_u32 s12, s12, s17
	v_mov_b32_e32 v4, s12
	v_add_co_u32_e32 v2, vcc, s9, v2
	v_addc_co_u32_e32 v3, vcc, v4, v3, vcc
	flat_store_dword v[2:3], v6
	v_mov_b32_e32 v2, s12
	v_add_co_u32_e32 v0, vcc, s9, v0
	v_addc_co_u32_e32 v1, vcc, v2, v1, vcc
	flat_store_dword v[0:1], v8
.LBB251_424:
	s_or_b64 exec, exec, s[10:11]
	v_and_b32_e32 v0, 7, v19
	s_mov_b32 s12, 0
	v_mov_b32_e32 v24, 0
	v_accvgpr_write_b32 a4, v0
	v_mov_b32_e32 v25, 0
	v_mov_b32_e32 v22, 0
	;; [unrolled: 1-line block ×15, first 2 shown]
	s_and_saveexec_b64 s[10:11], s[6:7]
	s_cbranch_execz .LBB251_844
; %bb.425:
	buffer_load_dword v0, off, s[0:3], s32 offset:656 ; 4-byte Folded Reload
	buffer_load_dword v1, off, s[0:3], s32 offset:660 ; 4-byte Folded Reload
	v_accvgpr_write_b32 a2, v26
	s_ashr_i32 s21, s20, 31
	s_getpc_b64 s[6:7]
	s_add_u32 s6, s6, llvm.amdgcn.dynlds.offset.table@rel32@lo+4
	s_addc_u32 s7, s7, llvm.amdgcn.dynlds.offset.table@rel32@hi+12
	s_lshl_b64 s[26:27], s[20:21], 2
	s_add_u32 s6, s26, s6
	s_addc_u32 s7, s27, s7
	v_accvgpr_write_b32 a3, v31
	v_accvgpr_write_b32 a1, v29
	;; [unrolled: 1-line block ×3, first 2 shown]
	v_mov_b32_e32 v53, 0
	s_mov_b64 s[16:17], 0
	s_movk_i32 s9, 0x80
	s_movk_i32 s15, 0x7f
	s_brev_b32 s13, 1
	s_mov_b32 s34, 0xffffff
	v_mov_b32_e32 v37, 0
	v_mov_b32_e32 v36, 0
	v_mov_b32_e32 v9, 0
	v_mov_b32_e32 v8, 0
	v_mov_b32_e32 v13, 0
	v_mov_b32_e32 v12, 0
	v_mov_b32_e32 v17, 0
	v_mov_b32_e32 v16, 0
	v_mov_b32_e32 v19, 0
	v_mov_b32_e32 v18, 0
	v_mov_b32_e32 v21, 0
	v_mov_b32_e32 v20, 0
	v_mov_b32_e32 v23, 0
	v_mov_b32_e32 v22, 0
	v_mov_b32_e32 v25, 0
	v_mov_b32_e32 v24, 0
	s_waitcnt vmcnt(0)
	flat_load_dword v26, v[0:1]
	s_nop 0
	buffer_load_dword v1, off, s[0:3], s32 offset:676 ; 4-byte Folded Reload
	buffer_load_dword v0, off, s[0:3], s32 offset:680 ; 4-byte Folded Reload
	s_waitcnt vmcnt(0) lgkmcnt(0)
	v_mov_b32_e32 v27, v26
	v_add_co_u32_e32 v4, vcc, v10, v1
	buffer_load_dword v1, off, s[0:3], s32 offset:672 ; 4-byte Folded Reload
	v_and_b32_e32 v2, 28, v0
	s_waitcnt vmcnt(0)
	v_addc_co_u32_e32 v5, vcc, v11, v1, vcc
	buffer_load_dword v1, off, s[0:3], s32 offset:684 ; 4-byte Folded Reload
	v_accvgpr_write_b32 a17, v5
	v_accvgpr_write_b32 a16, v4
	v_and_b32_e32 v4, 0xfc, v0
	v_or_b32_e32 v0, 0xf00, v0
	v_accvgpr_write_b32 a22, v0
	v_accvgpr_write_b32 a18, v4
	v_accvgpr_read_b32 v4, a4
	v_lshlrev_b32_e32 v4, 4, v4
	s_waitcnt vmcnt(0)
	v_add_u32_e32 v1, -1, v1
	v_accvgpr_write_b32 a5, v1
	buffer_load_dword v0, off, s[0:3], s32 offset:188 ; 4-byte Folded Reload
	buffer_load_dword v1, off, s[0:3], s32 offset:192 ; 4-byte Folded Reload
	;; [unrolled: 1-line block ×5, first 2 shown]
	s_load_dword s6, s[6:7], 0x0
	s_waitcnt vmcnt(3)
	v_lshlrev_b64 v[0:1], 2, v[0:1]
	s_waitcnt vmcnt(2)
	v_lshl_add_u32 v3, v5, 5, s25
	s_waitcnt vmcnt(1)
	v_add_co_u32_e32 v0, vcc, v6, v0
	v_add3_u32 v6, v3, v2, 3
	buffer_load_dword v3, off, s[0:3], s32 offset:632 ; 4-byte Folded Reload
	s_waitcnt vmcnt(1)
	v_addc_co_u32_e32 v1, vcc, v7, v1, vcc
	v_lshl_or_b32 v2, v5, 7, v4
	s_mov_b32 s25, 0x7f800001
	s_waitcnt vmcnt(0)
	v_add_co_u32_e32 v4, vcc, v3, v0
	buffer_load_dword v0, off, s[0:3], s32 offset:628 ; 4-byte Folded Reload
	s_waitcnt vmcnt(0)
	v_addc_co_u32_e32 v5, vcc, v0, v1, vcc
	s_waitcnt lgkmcnt(0)
	v_add_u32_e32 v1, s6, v2
	s_branch .LBB251_427
.LBB251_426:                            ;   in Loop: Header=BB251_427 Depth=1
	s_or_b64 exec, exec, s[6:7]
	v_mul_f32_e32 v35, v1, v49
	v_fmac_f32_e32 v35, v0, v48
	v_fmac_f32_e32 v35, v2, v14
	v_mul_f32_e32 v14, v1, v37
	v_fmac_f32_e32 v14, v0, v36
	v_accvgpr_read_b32 v37, a21
	v_fmac_f32_e32 v14, v2, v10
	v_accvgpr_read_b32 v36, a20
	v_mul_f32_e32 v10, v1, v37
	v_fmac_f32_e32 v10, v0, v36
	v_accvgpr_read_b32 v36, a52
	v_accvgpr_read_b32 v37, a53
	v_fmac_f32_e32 v10, v2, v36
	v_fmac_f32_e32 v10, v3, v37
	v_accvgpr_read_b32 v36, a48
	v_accvgpr_read_b32 v37, a49
	v_fmac_f32_e32 v14, v3, v11
	v_mul_f32_e32 v11, v1, v37
	v_fmac_f32_e32 v11, v0, v36
	v_accvgpr_read_b32 v36, a50
	v_mul_f32_e32 v7, v1, v51
	v_accvgpr_read_b32 v37, a51
	v_fmac_f32_e32 v11, v2, v36
	v_fmac_f32_e32 v7, v0, v50
	;; [unrolled: 1-line block ×4, first 2 shown]
	v_accvgpr_read_b32 v37, a15
	v_add_f32_e32 v16, v16, v10
	v_add_f32_e32 v19, v19, v11
	v_accvgpr_read_b32 v10, a44
	v_fmac_f32_e32 v7, v3, v59
	v_accvgpr_read_b32 v36, a14
	v_accvgpr_read_b32 v11, a45
	v_add_f32_e32 v36, v36, v7
	v_mul_f32_e32 v7, v1, v11
	v_fmac_f32_e32 v7, v0, v10
	v_accvgpr_read_b32 v10, a46
	v_accvgpr_read_b32 v11, a47
	v_fmac_f32_e32 v7, v2, v10
	v_fmac_f32_e32 v7, v3, v11
	v_accvgpr_read_b32 v10, a40
	v_accvgpr_read_b32 v11, a41
	v_add_f32_e32 v18, v18, v7
	v_mul_f32_e32 v7, v1, v11
	v_fmac_f32_e32 v7, v0, v10
	v_accvgpr_read_b32 v10, a42
	v_accvgpr_read_b32 v11, a43
	v_fmac_f32_e32 v7, v2, v10
	;; [unrolled: 9-line block ×6, first 2 shown]
	v_fmac_f32_e32 v7, v3, v11
	v_accvgpr_read_b32 v11, a7
	v_add_f32_e32 v25, v25, v7
	v_accvgpr_read_b32 v10, a6
	v_mul_f32_e32 v7, v1, v11
	v_mul_f32_e32 v30, v1, v47
	;; [unrolled: 1-line block ×4, first 2 shown]
	v_fmac_f32_e32 v7, v0, v10
	v_accvgpr_read_b32 v11, a9
	v_mul_f32_e32 v1, v1, v29
	v_fmac_f32_e32 v30, v0, v46
	v_fmac_f32_e32 v31, v0, v42
	;; [unrolled: 1-line block ×3, first 2 shown]
	v_accvgpr_read_b32 v10, a8
	v_fmac_f32_e32 v1, v0, v28
	v_fmac_f32_e32 v30, v2, v56
	v_fmac_f32_e32 v31, v2, v44
	v_fmac_f32_e32 v34, v2, v40
	v_fmac_f32_e32 v7, v2, v10
	v_fmac_f32_e32 v1, v2, v32
	v_fmac_f32_e32 v30, v3, v57
	v_fmac_f32_e32 v31, v3, v45
	v_fmac_f32_e32 v34, v3, v41
	v_fmac_f32_e32 v35, v3, v15
	v_fmac_f32_e32 v7, v3, v11
	v_fmac_f32_e32 v1, v3, v33
	buffer_load_dword v2, off, s[0:3], s32 offset:188 ; 4-byte Folded Reload
	buffer_load_dword v3, off, s[0:3], s32 offset:192 ; 4-byte Folded Reload
	v_add_f32_e32 v37, v37, v1
	v_add_co_u32_e32 v4, vcc, 8, v4
	v_addc_co_u32_e32 v5, vcc, 0, v5, vcc
	v_add_f32_e32 v9, v9, v30
	v_add_f32_e32 v8, v8, v31
	;; [unrolled: 1-line block ×6, first 2 shown]
	v_add_u32_e32 v6, 64, v6
	s_waitcnt vmcnt(1)
	v_add_u32_e32 v2, 2, v2
	v_mov_b32_e32 v0, v2
	buffer_store_dword v0, off, s[0:3], s32 offset:188 ; 4-byte Folded Spill
	s_nop 0
	buffer_store_dword v1, off, s[0:3], s32 offset:192 ; 4-byte Folded Spill
	buffer_load_dword v0, off, s[0:3], s32 offset:308 ; 4-byte Folded Reload
	v_accvgpr_read_b32 v1, a11
	v_add_u32_e32 v1, 0x100, v1
	s_waitcnt vmcnt(0)
	v_cmp_ge_i32_e32 vcc, v2, v0
	s_or_b64 s[16:17], vcc, s[16:17]
	s_andn2_b64 exec, exec, s[16:17]
	s_cbranch_execz .LBB251_843
.LBB251_427:                            ; =>This Inner Loop Header: Depth=1
	flat_load_dword v0, v[4:5]
	buffer_load_dword v2, off, s[0:3], s32 offset:300 ; 4-byte Folded Reload
	buffer_load_dword v3, off, s[0:3], s32 offset:304 ; 4-byte Folded Reload
	v_accvgpr_read_b32 v10, a16
	v_accvgpr_read_b32 v11, a17
	v_accvgpr_write_b32 a11, v1
	v_accvgpr_write_b32 a14, v36
	v_pk_mov_b32 v[28:29], 0, 0
	v_accvgpr_write_b32 a15, v37
	v_pk_mov_b32 v[14:15], v[28:29], v[28:29] op_sel:[0,1]
	s_waitcnt vmcnt(0) lgkmcnt(0)
	v_mad_i64_i32 v[2:3], s[6:7], v0, v2, v[10:11]
	v_accvgpr_read_b32 v0, a18
	v_add_co_u32_e32 v50, vcc, v2, v0
	v_addc_co_u32_e32 v51, vcc, 0, v3, vcc
	flat_load_dword v10, v[50:51]
	v_accvgpr_write_b32 a21, v3
	v_accvgpr_write_b32 a20, v2
	ds_read_b128 v[0:3], v1
	s_waitcnt vmcnt(0) lgkmcnt(0)
	v_cmp_ne_u16_sdwa s[26:27], v10, v53 src0_sel:BYTE_0 src1_sel:DWORD
	s_and_saveexec_b64 s[6:7], s[26:27]
	s_cbranch_execz .LBB251_433
; %bb.428:                              ;   in Loop: Header=BB251_427 Depth=1
	v_bfrev_b32_e32 v14, 1
	v_cmp_ne_u16_sdwa s[28:29], v10, s9 src0_sel:BYTE_0 src1_sel:DWORD
	v_mov_b32_e32 v15, 0
	s_and_saveexec_b64 s[26:27], s[28:29]
	s_cbranch_execz .LBB251_432
; %bb.429:                              ;   in Loop: Header=BB251_427 Depth=1
	v_and_b32_e32 v11, 0x7f, v10
	v_mov_b32_e32 v14, 0x7f800001
	v_cmp_ne_u32_e32 vcc, s15, v11
	v_mov_b32_e32 v15, 0
	s_and_saveexec_b64 s[28:29], vcc
	s_cbranch_execz .LBB251_431
; %bb.430:                              ;   in Loop: Header=BB251_427 Depth=1
	v_and_b32_e32 v30, 7, v10
	v_ffbh_u32_e32 v14, v30
	v_min_u32_e32 v32, 32, v14
	v_subrev_u32_e32 v14, 28, v32
	v_lshlrev_b64 v[14:15], v14, v[10:11]
	v_lshrrev_b32_e32 v31, 3, v11
	v_sub_u32_e32 v15, 29, v32
	v_and_b32_e32 v14, 7, v14
	v_cmp_gt_u32_e32 vcc, 8, v11
	v_cndmask_b32_e32 v11, v31, v15, vcc
	v_cndmask_b32_e32 v14, v30, v14, vcc
	v_bfrev_b32_e32 v7, 60
	v_lshlrev_b32_e32 v14, 20, v14
	v_and_b32_sdwa v15, sext(v10), s13 dst_sel:DWORD dst_unused:UNUSED_PAD src0_sel:BYTE_0 src1_sel:DWORD
	v_lshl_add_u32 v11, v11, 23, v7
	v_or3_b32 v52, v15, v11, v14
	v_pk_mov_b32 v[14:15], v[52:53], v[52:53] op_sel:[0,1]
.LBB251_431:                            ;   in Loop: Header=BB251_427 Depth=1
	s_or_b64 exec, exec, s[28:29]
.LBB251_432:                            ;   in Loop: Header=BB251_427 Depth=1
	s_or_b64 exec, exec, s[26:27]
.LBB251_433:                            ;   in Loop: Header=BB251_427 Depth=1
	s_or_b64 exec, exec, s[6:7]
	v_cmp_ne_u16_sdwa s[26:27], v10, v53 src0_sel:BYTE_1 src1_sel:DWORD
	s_and_saveexec_b64 s[6:7], s[26:27]
	s_cbranch_execz .LBB251_439
; %bb.434:                              ;   in Loop: Header=BB251_427 Depth=1
	v_cmp_ne_u16_sdwa s[28:29], v10, s9 src0_sel:BYTE_1 src1_sel:DWORD
	v_pk_mov_b32 v[28:29], s[12:13], s[12:13] op_sel:[0,1]
	s_and_saveexec_b64 s[26:27], s[28:29]
	s_cbranch_execz .LBB251_438
; %bb.435:                              ;   in Loop: Header=BB251_427 Depth=1
	v_and_b32_sdwa v11, v10, s15 dst_sel:DWORD dst_unused:UNUSED_PAD src0_sel:BYTE_1 src1_sel:DWORD
	s_mov_b32 s24, s12
	v_cmp_ne_u32_e32 vcc, s15, v11
	v_pk_mov_b32 v[28:29], s[24:25], s[24:25] op_sel:[0,1]
	s_and_saveexec_b64 s[28:29], vcc
	s_cbranch_execz .LBB251_437
; %bb.436:                              ;   in Loop: Header=BB251_427 Depth=1
	v_mov_b32_e32 v7, 7
	v_and_b32_sdwa v52, v10, v7 dst_sel:DWORD dst_unused:UNUSED_PAD src0_sel:BYTE_1 src1_sel:DWORD
	v_ffbh_u32_e32 v28, v52
	v_min_u32_e32 v31, 32, v28
	v_subrev_u32_e32 v28, 28, v31
	v_lshlrev_b64 v[28:29], v28, v[52:53]
	v_lshrrev_b32_e32 v30, 3, v11
	v_sub_u32_e32 v29, 29, v31
	v_cmp_gt_u32_e32 vcc, 8, v11
	v_and_b32_e32 v28, 7, v28
	v_cndmask_b32_e32 v11, v30, v29, vcc
	v_bfrev_b32_e32 v7, 60
	v_cndmask_b32_e32 v28, v52, v28, vcc
	v_lshlrev_b32_e32 v29, 16, v10
	v_lshl_add_u32 v11, v11, 23, v7
	v_and_or_b32 v11, v29, s13, v11
	v_lshlrev_b32_e32 v28, 20, v28
	v_or_b32_e32 v29, v11, v28
	v_mov_b32_e32 v28, v53
.LBB251_437:                            ;   in Loop: Header=BB251_427 Depth=1
	s_or_b64 exec, exec, s[28:29]
.LBB251_438:                            ;   in Loop: Header=BB251_427 Depth=1
	s_or_b64 exec, exec, s[26:27]
.LBB251_439:                            ;   in Loop: Header=BB251_427 Depth=1
	s_or_b64 exec, exec, s[6:7]
	v_lshrrev_b32_e32 v30, 16, v10
	v_pk_mov_b32 v[34:35], 0, 0
	v_cmp_ne_u16_sdwa s[26:27], v30, v53 src0_sel:BYTE_0 src1_sel:DWORD
	v_pk_mov_b32 v[32:33], v[34:35], v[34:35] op_sel:[0,1]
	s_and_saveexec_b64 s[6:7], s[26:27]
	s_cbranch_execz .LBB251_445
; %bb.440:                              ;   in Loop: Header=BB251_427 Depth=1
	v_bfrev_b32_e32 v32, 1
	v_cmp_ne_u16_sdwa s[28:29], v30, s9 src0_sel:BYTE_0 src1_sel:DWORD
	v_mov_b32_e32 v33, 0
	s_and_saveexec_b64 s[26:27], s[28:29]
	s_cbranch_execz .LBB251_444
; %bb.441:                              ;   in Loop: Header=BB251_427 Depth=1
	v_bfe_u32 v11, v10, 16, 7
	v_mov_b32_e32 v32, 0x7f800001
	v_cmp_ne_u32_e32 vcc, s15, v11
	v_mov_b32_e32 v33, 0
	s_and_saveexec_b64 s[28:29], vcc
	s_cbranch_execz .LBB251_443
; %bb.442:                              ;   in Loop: Header=BB251_427 Depth=1
	v_and_b32_e32 v31, 7, v30
	v_ffbh_u32_e32 v32, v31
	v_min_u32_e32 v37, 32, v32
	v_subrev_u32_e32 v32, 28, v37
	v_lshlrev_b64 v[32:33], v32, v[30:31]
	v_lshrrev_b32_e32 v36, 3, v11
	v_sub_u32_e32 v33, 29, v37
	v_and_b32_e32 v32, 7, v32
	v_cmp_gt_u32_e32 vcc, 8, v11
	v_cndmask_b32_e32 v11, v36, v33, vcc
	v_cndmask_b32_e32 v31, v31, v32, vcc
	v_bfrev_b32_e32 v7, 60
	v_lshlrev_b32_e32 v31, 20, v31
	v_and_b32_sdwa v30, sext(v30), s13 dst_sel:DWORD dst_unused:UNUSED_PAD src0_sel:BYTE_0 src1_sel:DWORD
	v_lshl_add_u32 v11, v11, 23, v7
	v_or3_b32 v52, v30, v11, v31
	v_pk_mov_b32 v[32:33], v[52:53], v[52:53] op_sel:[0,1]
.LBB251_443:                            ;   in Loop: Header=BB251_427 Depth=1
	s_or_b64 exec, exec, s[28:29]
.LBB251_444:                            ;   in Loop: Header=BB251_427 Depth=1
	s_or_b64 exec, exec, s[26:27]
.LBB251_445:                            ;   in Loop: Header=BB251_427 Depth=1
	s_or_b64 exec, exec, s[6:7]
	v_cmp_lt_u32_e32 vcc, s34, v10
	s_and_saveexec_b64 s[6:7], vcc
	s_cbranch_execz .LBB251_451
; %bb.446:                              ;   in Loop: Header=BB251_427 Depth=1
	v_cmp_ne_u32_sdwa s[28:29], v10, s9 src0_sel:BYTE_3 src1_sel:DWORD
	v_pk_mov_b32 v[34:35], s[12:13], s[12:13] op_sel:[0,1]
	s_and_saveexec_b64 s[26:27], s[28:29]
	s_cbranch_execz .LBB251_450
; %bb.447:                              ;   in Loop: Header=BB251_427 Depth=1
	v_bfe_u32 v11, v10, 24, 7
	s_mov_b32 s24, s12
	v_cmp_ne_u32_e32 vcc, s15, v11
	v_pk_mov_b32 v[34:35], s[24:25], s[24:25] op_sel:[0,1]
	s_and_saveexec_b64 s[28:29], vcc
	s_cbranch_execz .LBB251_449
; %bb.448:                              ;   in Loop: Header=BB251_427 Depth=1
	v_mov_b32_e32 v7, 7
	v_and_b32_sdwa v52, v10, v7 dst_sel:DWORD dst_unused:UNUSED_PAD src0_sel:BYTE_3 src1_sel:DWORD
	v_ffbh_u32_e32 v30, v52
	v_min_u32_e32 v35, 32, v30
	v_subrev_u32_e32 v30, 28, v35
	v_lshlrev_b64 v[30:31], v30, v[52:53]
	v_lshrrev_b32_e32 v34, 3, v11
	v_sub_u32_e32 v31, 29, v35
	v_cmp_gt_u32_e32 vcc, 8, v11
	v_mov_b32_e32 v7, 24
	v_and_b32_e32 v30, 7, v30
	v_cndmask_b32_e32 v11, v34, v31, vcc
	v_lshlrev_b32_sdwa v10, v7, v10 dst_sel:DWORD dst_unused:UNUSED_PAD src0_sel:DWORD src1_sel:BYTE_3
	v_bfrev_b32_e32 v7, 60
	v_cndmask_b32_e32 v30, v52, v30, vcc
	v_lshl_add_u32 v11, v11, 23, v7
	v_and_or_b32 v10, v10, s13, v11
	v_lshlrev_b32_e32 v11, 20, v30
	v_or_b32_e32 v35, v10, v11
	v_mov_b32_e32 v34, v53
.LBB251_449:                            ;   in Loop: Header=BB251_427 Depth=1
	s_or_b64 exec, exec, s[28:29]
.LBB251_450:                            ;   in Loop: Header=BB251_427 Depth=1
	s_or_b64 exec, exec, s[26:27]
.LBB251_451:                            ;   in Loop: Header=BB251_427 Depth=1
	s_or_b64 exec, exec, s[6:7]
	buffer_load_dword v10, off, s[0:3], s32 offset:188 ; 4-byte Folded Reload
	buffer_load_dword v11, off, s[0:3], s32 offset:192 ; 4-byte Folded Reload
	v_add_u32_e32 v7, -3, v6
	v_accvgpr_write_b32 a10, v7
	v_accvgpr_read_b32 v7, a5
	s_waitcnt vmcnt(0)
	v_or_b32_e32 v11, v29, v15
	v_cmp_eq_u32_e32 vcc, v7, v10
	v_or_b32_e32 v10, v28, v14
	v_pk_mul_f32 v[10:11], v[26:27], v[10:11]
	v_accvgpr_write_b32 a6, v10
	v_accvgpr_write_b32 a7, v11
	v_or_b32_e32 v11, v35, v33
	v_or_b32_e32 v10, v34, v32
	v_pk_mul_f32 v[10:11], v[26:27], v[10:11]
	v_add_u32_e32 v7, -2, v6
	v_accvgpr_write_b32 a8, v10
	v_accvgpr_write_b32 a19, v7
	v_add_u32_e32 v7, -1, v6
	v_accvgpr_write_b32 a9, v11
	v_accvgpr_write_b32 a13, v7
	s_and_saveexec_b64 s[26:27], vcc
	s_cbranch_execz .LBB251_453
; %bb.452:                              ;   in Loop: Header=BB251_427 Depth=1
	v_accvgpr_read_b32 v7, a10
	v_accvgpr_read_b32 v11, a7
	v_cmp_lt_i32_e64 s[6:7], v7, v62
	v_accvgpr_read_b32 v10, a6
	v_accvgpr_read_b32 v7, a19
	v_cndmask_b32_e64 v10, 0, v10, s[6:7]
	v_cmp_lt_i32_e64 s[6:7], v7, v62
	v_cndmask_b32_e64 v11, 0, v11, s[6:7]
	v_accvgpr_write_b32 a6, v10
	v_accvgpr_write_b32 a7, v11
	v_accvgpr_read_b32 v7, a13
	v_accvgpr_read_b32 v11, a9
	v_cmp_lt_i32_e64 s[6:7], v7, v62
	v_accvgpr_read_b32 v10, a8
	v_cndmask_b32_e64 v10, 0, v10, s[6:7]
	v_cmp_lt_i32_e64 s[6:7], v6, v62
	v_cndmask_b32_e64 v11, 0, v11, s[6:7]
	v_accvgpr_write_b32 a8, v10
	v_accvgpr_write_b32 a9, v11
.LBB251_453:                            ;   in Loop: Header=BB251_427 Depth=1
	s_or_b64 exec, exec, s[26:27]
	flat_load_dword v10, v[50:51] offset:256
	v_pk_mov_b32 v[28:29], 0, 0
	v_pk_mov_b32 v[14:15], v[28:29], v[28:29] op_sel:[0,1]
	s_waitcnt vmcnt(0) lgkmcnt(0)
	v_cmp_ne_u16_sdwa s[6:7], v10, v53 src0_sel:BYTE_0 src1_sel:DWORD
	s_and_saveexec_b64 s[26:27], s[6:7]
	s_cbranch_execz .LBB251_459
; %bb.454:                              ;   in Loop: Header=BB251_427 Depth=1
	v_bfrev_b32_e32 v14, 1
	v_cmp_ne_u16_sdwa s[6:7], v10, s9 src0_sel:BYTE_0 src1_sel:DWORD
	v_mov_b32_e32 v15, 0
	s_and_saveexec_b64 s[28:29], s[6:7]
	s_cbranch_execz .LBB251_458
; %bb.455:                              ;   in Loop: Header=BB251_427 Depth=1
	v_and_b32_e32 v11, 0x7f, v10
	v_mov_b32_e32 v14, 0x7f800001
	v_cmp_ne_u32_e64 s[6:7], s15, v11
	v_mov_b32_e32 v15, 0
	s_and_saveexec_b64 s[30:31], s[6:7]
	s_cbranch_execz .LBB251_457
; %bb.456:                              ;   in Loop: Header=BB251_427 Depth=1
	v_and_b32_e32 v30, 7, v10
	v_ffbh_u32_e32 v14, v30
	v_min_u32_e32 v32, 32, v14
	v_subrev_u32_e32 v14, 28, v32
	v_lshlrev_b64 v[14:15], v14, v[10:11]
	v_lshrrev_b32_e32 v31, 3, v11
	v_sub_u32_e32 v15, 29, v32
	v_and_b32_e32 v14, 7, v14
	v_cmp_gt_u32_e64 s[6:7], 8, v11
	v_cndmask_b32_e64 v11, v31, v15, s[6:7]
	v_cndmask_b32_e64 v14, v30, v14, s[6:7]
	v_bfrev_b32_e32 v7, 60
	v_lshlrev_b32_e32 v14, 20, v14
	v_and_b32_sdwa v15, sext(v10), s13 dst_sel:DWORD dst_unused:UNUSED_PAD src0_sel:BYTE_0 src1_sel:DWORD
	v_lshl_add_u32 v11, v11, 23, v7
	v_or3_b32 v52, v15, v11, v14
	v_pk_mov_b32 v[14:15], v[52:53], v[52:53] op_sel:[0,1]
.LBB251_457:                            ;   in Loop: Header=BB251_427 Depth=1
	s_or_b64 exec, exec, s[30:31]
.LBB251_458:                            ;   in Loop: Header=BB251_427 Depth=1
	s_or_b64 exec, exec, s[28:29]
.LBB251_459:                            ;   in Loop: Header=BB251_427 Depth=1
	s_or_b64 exec, exec, s[26:27]
	v_cmp_ne_u16_sdwa s[6:7], v10, v53 src0_sel:BYTE_1 src1_sel:DWORD
	s_and_saveexec_b64 s[26:27], s[6:7]
	s_cbranch_execz .LBB251_465
; %bb.460:                              ;   in Loop: Header=BB251_427 Depth=1
	v_cmp_ne_u16_sdwa s[6:7], v10, s9 src0_sel:BYTE_1 src1_sel:DWORD
	v_pk_mov_b32 v[28:29], s[12:13], s[12:13] op_sel:[0,1]
	s_and_saveexec_b64 s[28:29], s[6:7]
	s_cbranch_execz .LBB251_464
; %bb.461:                              ;   in Loop: Header=BB251_427 Depth=1
	v_and_b32_sdwa v11, v10, s15 dst_sel:DWORD dst_unused:UNUSED_PAD src0_sel:BYTE_1 src1_sel:DWORD
	s_mov_b32 s24, s12
	v_cmp_ne_u32_e64 s[6:7], s15, v11
	v_pk_mov_b32 v[28:29], s[24:25], s[24:25] op_sel:[0,1]
	s_and_saveexec_b64 s[30:31], s[6:7]
	s_cbranch_execz .LBB251_463
; %bb.462:                              ;   in Loop: Header=BB251_427 Depth=1
	v_mov_b32_e32 v7, 7
	v_and_b32_sdwa v52, v10, v7 dst_sel:DWORD dst_unused:UNUSED_PAD src0_sel:BYTE_1 src1_sel:DWORD
	v_ffbh_u32_e32 v28, v52
	v_min_u32_e32 v31, 32, v28
	v_subrev_u32_e32 v28, 28, v31
	v_lshlrev_b64 v[28:29], v28, v[52:53]
	v_lshrrev_b32_e32 v30, 3, v11
	v_sub_u32_e32 v29, 29, v31
	v_cmp_gt_u32_e64 s[6:7], 8, v11
	v_and_b32_e32 v28, 7, v28
	v_cndmask_b32_e64 v11, v30, v29, s[6:7]
	v_bfrev_b32_e32 v7, 60
	v_cndmask_b32_e64 v28, v52, v28, s[6:7]
	v_lshlrev_b32_e32 v29, 16, v10
	v_lshl_add_u32 v11, v11, 23, v7
	v_and_or_b32 v11, v29, s13, v11
	v_lshlrev_b32_e32 v28, 20, v28
	v_or_b32_e32 v29, v11, v28
	v_mov_b32_e32 v28, v53
.LBB251_463:                            ;   in Loop: Header=BB251_427 Depth=1
	s_or_b64 exec, exec, s[30:31]
.LBB251_464:                            ;   in Loop: Header=BB251_427 Depth=1
	s_or_b64 exec, exec, s[28:29]
.LBB251_465:                            ;   in Loop: Header=BB251_427 Depth=1
	s_or_b64 exec, exec, s[26:27]
	v_lshrrev_b32_e32 v34, 16, v10
	v_pk_mov_b32 v[30:31], 0, 0
	v_cmp_ne_u16_sdwa s[6:7], v34, v53 src0_sel:BYTE_0 src1_sel:DWORD
	v_pk_mov_b32 v[32:33], v[30:31], v[30:31] op_sel:[0,1]
	s_and_saveexec_b64 s[26:27], s[6:7]
	s_cbranch_execz .LBB251_471
; %bb.466:                              ;   in Loop: Header=BB251_427 Depth=1
	v_bfrev_b32_e32 v32, 1
	v_cmp_ne_u16_sdwa s[6:7], v34, s9 src0_sel:BYTE_0 src1_sel:DWORD
	v_mov_b32_e32 v33, 0
	s_and_saveexec_b64 s[28:29], s[6:7]
	s_cbranch_execz .LBB251_470
; %bb.467:                              ;   in Loop: Header=BB251_427 Depth=1
	v_bfe_u32 v11, v10, 16, 7
	v_mov_b32_e32 v32, 0x7f800001
	v_cmp_ne_u32_e64 s[6:7], s15, v11
	v_mov_b32_e32 v33, 0
	s_and_saveexec_b64 s[30:31], s[6:7]
	s_cbranch_execz .LBB251_469
; %bb.468:                              ;   in Loop: Header=BB251_427 Depth=1
	v_and_b32_e32 v35, 7, v34
	v_ffbh_u32_e32 v32, v35
	v_min_u32_e32 v37, 32, v32
	v_subrev_u32_e32 v32, 28, v37
	v_lshlrev_b64 v[32:33], v32, v[34:35]
	v_lshrrev_b32_e32 v36, 3, v11
	v_sub_u32_e32 v33, 29, v37
	v_and_b32_e32 v32, 7, v32
	v_cmp_gt_u32_e64 s[6:7], 8, v11
	v_cndmask_b32_e64 v11, v36, v33, s[6:7]
	v_cndmask_b32_e64 v32, v35, v32, s[6:7]
	v_bfrev_b32_e32 v7, 60
	v_lshlrev_b32_e32 v32, 20, v32
	v_and_b32_sdwa v33, sext(v34), s13 dst_sel:DWORD dst_unused:UNUSED_PAD src0_sel:BYTE_0 src1_sel:DWORD
	v_lshl_add_u32 v11, v11, 23, v7
	v_or3_b32 v52, v33, v11, v32
	v_pk_mov_b32 v[32:33], v[52:53], v[52:53] op_sel:[0,1]
.LBB251_469:                            ;   in Loop: Header=BB251_427 Depth=1
	s_or_b64 exec, exec, s[30:31]
.LBB251_470:                            ;   in Loop: Header=BB251_427 Depth=1
	s_or_b64 exec, exec, s[28:29]
.LBB251_471:                            ;   in Loop: Header=BB251_427 Depth=1
	s_or_b64 exec, exec, s[26:27]
	v_cmp_lt_u32_e64 s[6:7], s34, v10
	s_and_saveexec_b64 s[26:27], s[6:7]
	s_cbranch_execz .LBB251_477
; %bb.472:                              ;   in Loop: Header=BB251_427 Depth=1
	v_cmp_ne_u32_sdwa s[6:7], v10, s9 src0_sel:BYTE_3 src1_sel:DWORD
	v_pk_mov_b32 v[30:31], s[12:13], s[12:13] op_sel:[0,1]
	s_and_saveexec_b64 s[28:29], s[6:7]
	s_cbranch_execz .LBB251_476
; %bb.473:                              ;   in Loop: Header=BB251_427 Depth=1
	v_bfe_u32 v11, v10, 24, 7
	s_mov_b32 s24, s12
	v_cmp_ne_u32_e64 s[6:7], s15, v11
	v_pk_mov_b32 v[30:31], s[24:25], s[24:25] op_sel:[0,1]
	s_and_saveexec_b64 s[30:31], s[6:7]
	s_cbranch_execz .LBB251_475
; %bb.474:                              ;   in Loop: Header=BB251_427 Depth=1
	v_mov_b32_e32 v7, 7
	v_and_b32_sdwa v52, v10, v7 dst_sel:DWORD dst_unused:UNUSED_PAD src0_sel:BYTE_3 src1_sel:DWORD
	v_ffbh_u32_e32 v30, v52
	v_min_u32_e32 v35, 32, v30
	v_subrev_u32_e32 v30, 28, v35
	v_lshlrev_b64 v[30:31], v30, v[52:53]
	v_lshrrev_b32_e32 v34, 3, v11
	v_sub_u32_e32 v31, 29, v35
	v_cmp_gt_u32_e64 s[6:7], 8, v11
	v_mov_b32_e32 v7, 24
	v_and_b32_e32 v30, 7, v30
	v_cndmask_b32_e64 v11, v34, v31, s[6:7]
	v_lshlrev_b32_sdwa v10, v7, v10 dst_sel:DWORD dst_unused:UNUSED_PAD src0_sel:DWORD src1_sel:BYTE_3
	v_bfrev_b32_e32 v7, 60
	v_cndmask_b32_e64 v30, v52, v30, s[6:7]
	v_lshl_add_u32 v11, v11, 23, v7
	v_and_or_b32 v10, v10, s13, v11
	v_lshlrev_b32_e32 v11, 20, v30
	v_or_b32_e32 v31, v10, v11
	v_mov_b32_e32 v30, v53
.LBB251_475:                            ;   in Loop: Header=BB251_427 Depth=1
	s_or_b64 exec, exec, s[30:31]
.LBB251_476:                            ;   in Loop: Header=BB251_427 Depth=1
	s_or_b64 exec, exec, s[28:29]
.LBB251_477:                            ;   in Loop: Header=BB251_427 Depth=1
	s_or_b64 exec, exec, s[26:27]
	v_or_b32_e32 v11, v29, v15
	v_or_b32_e32 v10, v28, v14
	v_pk_mul_f32 v[10:11], v[26:27], v[10:11]
	v_accvgpr_write_b32 a25, v11
	v_accvgpr_write_b32 a24, v10
	v_or_b32_e32 v11, v31, v33
	v_or_b32_e32 v10, v30, v32
	v_pk_mul_f32 v[10:11], v[26:27], v[10:11]
	v_accvgpr_write_b32 a27, v11
	v_accvgpr_write_b32 a26, v10
	s_and_saveexec_b64 s[26:27], vcc
	s_cbranch_execz .LBB251_479
; %bb.478:                              ;   in Loop: Header=BB251_427 Depth=1
	v_accvgpr_read_b32 v7, a10
	v_cmp_lt_i32_e64 s[6:7], v7, v62
	v_accvgpr_read_b32 v10, a24
	v_accvgpr_read_b32 v7, a19
	;; [unrolled: 1-line block ×3, first 2 shown]
	v_cndmask_b32_e64 v10, 0, v10, s[6:7]
	v_cmp_lt_i32_e64 s[6:7], v7, v62
	v_cndmask_b32_e64 v11, 0, v11, s[6:7]
	v_accvgpr_write_b32 a25, v11
	v_accvgpr_read_b32 v7, a13
	v_accvgpr_write_b32 a24, v10
	v_cmp_lt_i32_e64 s[6:7], v7, v62
	v_accvgpr_read_b32 v10, a26
	v_accvgpr_read_b32 v11, a27
	v_cndmask_b32_e64 v10, 0, v10, s[6:7]
	v_cmp_lt_i32_e64 s[6:7], v6, v62
	v_cndmask_b32_e64 v11, 0, v11, s[6:7]
	v_accvgpr_write_b32 a27, v11
	v_accvgpr_write_b32 a26, v10
.LBB251_479:                            ;   in Loop: Header=BB251_427 Depth=1
	s_or_b64 exec, exec, s[26:27]
	flat_load_dword v10, v[50:51] offset:512
	v_pk_mov_b32 v[28:29], 0, 0
	v_pk_mov_b32 v[14:15], v[28:29], v[28:29] op_sel:[0,1]
	s_waitcnt vmcnt(0) lgkmcnt(0)
	v_cmp_ne_u16_sdwa s[6:7], v10, v53 src0_sel:BYTE_0 src1_sel:DWORD
	s_and_saveexec_b64 s[26:27], s[6:7]
	s_cbranch_execz .LBB251_485
; %bb.480:                              ;   in Loop: Header=BB251_427 Depth=1
	v_bfrev_b32_e32 v14, 1
	v_cmp_ne_u16_sdwa s[6:7], v10, s9 src0_sel:BYTE_0 src1_sel:DWORD
	v_mov_b32_e32 v15, 0
	s_and_saveexec_b64 s[28:29], s[6:7]
	s_cbranch_execz .LBB251_484
; %bb.481:                              ;   in Loop: Header=BB251_427 Depth=1
	v_and_b32_e32 v11, 0x7f, v10
	v_mov_b32_e32 v14, 0x7f800001
	v_cmp_ne_u32_e64 s[6:7], s15, v11
	v_mov_b32_e32 v15, 0
	s_and_saveexec_b64 s[30:31], s[6:7]
	s_cbranch_execz .LBB251_483
; %bb.482:                              ;   in Loop: Header=BB251_427 Depth=1
	v_and_b32_e32 v30, 7, v10
	v_ffbh_u32_e32 v14, v30
	v_min_u32_e32 v32, 32, v14
	v_subrev_u32_e32 v14, 28, v32
	v_lshlrev_b64 v[14:15], v14, v[10:11]
	v_lshrrev_b32_e32 v31, 3, v11
	v_sub_u32_e32 v15, 29, v32
	v_and_b32_e32 v14, 7, v14
	v_cmp_gt_u32_e64 s[6:7], 8, v11
	v_cndmask_b32_e64 v11, v31, v15, s[6:7]
	v_cndmask_b32_e64 v14, v30, v14, s[6:7]
	v_bfrev_b32_e32 v7, 60
	v_lshlrev_b32_e32 v14, 20, v14
	v_and_b32_sdwa v15, sext(v10), s13 dst_sel:DWORD dst_unused:UNUSED_PAD src0_sel:BYTE_0 src1_sel:DWORD
	v_lshl_add_u32 v11, v11, 23, v7
	v_or3_b32 v52, v15, v11, v14
	v_pk_mov_b32 v[14:15], v[52:53], v[52:53] op_sel:[0,1]
.LBB251_483:                            ;   in Loop: Header=BB251_427 Depth=1
	s_or_b64 exec, exec, s[30:31]
.LBB251_484:                            ;   in Loop: Header=BB251_427 Depth=1
	s_or_b64 exec, exec, s[28:29]
.LBB251_485:                            ;   in Loop: Header=BB251_427 Depth=1
	s_or_b64 exec, exec, s[26:27]
	v_cmp_ne_u16_sdwa s[6:7], v10, v53 src0_sel:BYTE_1 src1_sel:DWORD
	s_and_saveexec_b64 s[26:27], s[6:7]
	s_cbranch_execz .LBB251_491
; %bb.486:                              ;   in Loop: Header=BB251_427 Depth=1
	v_cmp_ne_u16_sdwa s[6:7], v10, s9 src0_sel:BYTE_1 src1_sel:DWORD
	v_pk_mov_b32 v[28:29], s[12:13], s[12:13] op_sel:[0,1]
	s_and_saveexec_b64 s[28:29], s[6:7]
	s_cbranch_execz .LBB251_490
; %bb.487:                              ;   in Loop: Header=BB251_427 Depth=1
	v_and_b32_sdwa v11, v10, s15 dst_sel:DWORD dst_unused:UNUSED_PAD src0_sel:BYTE_1 src1_sel:DWORD
	s_mov_b32 s24, s12
	v_cmp_ne_u32_e64 s[6:7], s15, v11
	v_pk_mov_b32 v[28:29], s[24:25], s[24:25] op_sel:[0,1]
	s_and_saveexec_b64 s[30:31], s[6:7]
	s_cbranch_execz .LBB251_489
; %bb.488:                              ;   in Loop: Header=BB251_427 Depth=1
	v_mov_b32_e32 v7, 7
	v_and_b32_sdwa v52, v10, v7 dst_sel:DWORD dst_unused:UNUSED_PAD src0_sel:BYTE_1 src1_sel:DWORD
	v_ffbh_u32_e32 v28, v52
	v_min_u32_e32 v31, 32, v28
	v_subrev_u32_e32 v28, 28, v31
	v_lshlrev_b64 v[28:29], v28, v[52:53]
	v_lshrrev_b32_e32 v30, 3, v11
	v_sub_u32_e32 v29, 29, v31
	v_cmp_gt_u32_e64 s[6:7], 8, v11
	v_and_b32_e32 v28, 7, v28
	v_cndmask_b32_e64 v11, v30, v29, s[6:7]
	v_bfrev_b32_e32 v7, 60
	v_cndmask_b32_e64 v28, v52, v28, s[6:7]
	v_lshlrev_b32_e32 v29, 16, v10
	v_lshl_add_u32 v11, v11, 23, v7
	v_and_or_b32 v11, v29, s13, v11
	v_lshlrev_b32_e32 v28, 20, v28
	v_or_b32_e32 v29, v11, v28
	v_mov_b32_e32 v28, v53
.LBB251_489:                            ;   in Loop: Header=BB251_427 Depth=1
	s_or_b64 exec, exec, s[30:31]
.LBB251_490:                            ;   in Loop: Header=BB251_427 Depth=1
	s_or_b64 exec, exec, s[28:29]
.LBB251_491:                            ;   in Loop: Header=BB251_427 Depth=1
	s_or_b64 exec, exec, s[26:27]
	v_lshrrev_b32_e32 v34, 16, v10
	v_pk_mov_b32 v[30:31], 0, 0
	v_cmp_ne_u16_sdwa s[6:7], v34, v53 src0_sel:BYTE_0 src1_sel:DWORD
	v_pk_mov_b32 v[32:33], v[30:31], v[30:31] op_sel:[0,1]
	s_and_saveexec_b64 s[26:27], s[6:7]
	s_cbranch_execz .LBB251_497
; %bb.492:                              ;   in Loop: Header=BB251_427 Depth=1
	v_bfrev_b32_e32 v32, 1
	v_cmp_ne_u16_sdwa s[6:7], v34, s9 src0_sel:BYTE_0 src1_sel:DWORD
	v_mov_b32_e32 v33, 0
	s_and_saveexec_b64 s[28:29], s[6:7]
	s_cbranch_execz .LBB251_496
; %bb.493:                              ;   in Loop: Header=BB251_427 Depth=1
	v_bfe_u32 v11, v10, 16, 7
	v_mov_b32_e32 v32, 0x7f800001
	v_cmp_ne_u32_e64 s[6:7], s15, v11
	v_mov_b32_e32 v33, 0
	s_and_saveexec_b64 s[30:31], s[6:7]
	s_cbranch_execz .LBB251_495
; %bb.494:                              ;   in Loop: Header=BB251_427 Depth=1
	v_and_b32_e32 v35, 7, v34
	v_ffbh_u32_e32 v32, v35
	v_min_u32_e32 v37, 32, v32
	v_subrev_u32_e32 v32, 28, v37
	v_lshlrev_b64 v[32:33], v32, v[34:35]
	v_lshrrev_b32_e32 v36, 3, v11
	v_sub_u32_e32 v33, 29, v37
	v_and_b32_e32 v32, 7, v32
	v_cmp_gt_u32_e64 s[6:7], 8, v11
	v_cndmask_b32_e64 v11, v36, v33, s[6:7]
	v_cndmask_b32_e64 v32, v35, v32, s[6:7]
	v_bfrev_b32_e32 v7, 60
	v_lshlrev_b32_e32 v32, 20, v32
	v_and_b32_sdwa v33, sext(v34), s13 dst_sel:DWORD dst_unused:UNUSED_PAD src0_sel:BYTE_0 src1_sel:DWORD
	v_lshl_add_u32 v11, v11, 23, v7
	v_or3_b32 v52, v33, v11, v32
	v_pk_mov_b32 v[32:33], v[52:53], v[52:53] op_sel:[0,1]
.LBB251_495:                            ;   in Loop: Header=BB251_427 Depth=1
	s_or_b64 exec, exec, s[30:31]
.LBB251_496:                            ;   in Loop: Header=BB251_427 Depth=1
	s_or_b64 exec, exec, s[28:29]
.LBB251_497:                            ;   in Loop: Header=BB251_427 Depth=1
	s_or_b64 exec, exec, s[26:27]
	v_cmp_lt_u32_e64 s[6:7], s34, v10
	s_and_saveexec_b64 s[26:27], s[6:7]
	s_cbranch_execz .LBB251_503
; %bb.498:                              ;   in Loop: Header=BB251_427 Depth=1
	v_cmp_ne_u32_sdwa s[6:7], v10, s9 src0_sel:BYTE_3 src1_sel:DWORD
	v_pk_mov_b32 v[30:31], s[12:13], s[12:13] op_sel:[0,1]
	s_and_saveexec_b64 s[28:29], s[6:7]
	s_cbranch_execz .LBB251_502
; %bb.499:                              ;   in Loop: Header=BB251_427 Depth=1
	v_bfe_u32 v11, v10, 24, 7
	s_mov_b32 s24, s12
	v_cmp_ne_u32_e64 s[6:7], s15, v11
	v_pk_mov_b32 v[30:31], s[24:25], s[24:25] op_sel:[0,1]
	s_and_saveexec_b64 s[30:31], s[6:7]
	s_cbranch_execz .LBB251_501
; %bb.500:                              ;   in Loop: Header=BB251_427 Depth=1
	v_mov_b32_e32 v7, 7
	v_and_b32_sdwa v52, v10, v7 dst_sel:DWORD dst_unused:UNUSED_PAD src0_sel:BYTE_3 src1_sel:DWORD
	v_ffbh_u32_e32 v30, v52
	v_min_u32_e32 v35, 32, v30
	v_subrev_u32_e32 v30, 28, v35
	v_lshlrev_b64 v[30:31], v30, v[52:53]
	v_lshrrev_b32_e32 v34, 3, v11
	v_sub_u32_e32 v31, 29, v35
	v_cmp_gt_u32_e64 s[6:7], 8, v11
	v_mov_b32_e32 v7, 24
	v_and_b32_e32 v30, 7, v30
	v_cndmask_b32_e64 v11, v34, v31, s[6:7]
	v_lshlrev_b32_sdwa v10, v7, v10 dst_sel:DWORD dst_unused:UNUSED_PAD src0_sel:DWORD src1_sel:BYTE_3
	v_bfrev_b32_e32 v7, 60
	v_cndmask_b32_e64 v30, v52, v30, s[6:7]
	v_lshl_add_u32 v11, v11, 23, v7
	v_and_or_b32 v10, v10, s13, v11
	v_lshlrev_b32_e32 v11, 20, v30
	v_or_b32_e32 v31, v10, v11
	v_mov_b32_e32 v30, v53
.LBB251_501:                            ;   in Loop: Header=BB251_427 Depth=1
	s_or_b64 exec, exec, s[30:31]
.LBB251_502:                            ;   in Loop: Header=BB251_427 Depth=1
	s_or_b64 exec, exec, s[28:29]
.LBB251_503:                            ;   in Loop: Header=BB251_427 Depth=1
	s_or_b64 exec, exec, s[26:27]
	v_or_b32_e32 v11, v29, v15
	v_or_b32_e32 v10, v28, v14
	v_pk_mul_f32 v[10:11], v[26:27], v[10:11]
	v_accvgpr_write_b32 a29, v11
	v_accvgpr_write_b32 a28, v10
	v_or_b32_e32 v11, v31, v33
	v_or_b32_e32 v10, v30, v32
	v_pk_mul_f32 v[10:11], v[26:27], v[10:11]
	v_accvgpr_write_b32 a31, v11
	v_accvgpr_write_b32 a30, v10
	s_and_saveexec_b64 s[26:27], vcc
	s_cbranch_execz .LBB251_505
; %bb.504:                              ;   in Loop: Header=BB251_427 Depth=1
	v_accvgpr_read_b32 v7, a10
	v_cmp_lt_i32_e64 s[6:7], v7, v62
	v_accvgpr_read_b32 v10, a28
	v_accvgpr_read_b32 v7, a19
	;; [unrolled: 1-line block ×3, first 2 shown]
	v_cndmask_b32_e64 v10, 0, v10, s[6:7]
	v_cmp_lt_i32_e64 s[6:7], v7, v62
	v_cndmask_b32_e64 v11, 0, v11, s[6:7]
	v_accvgpr_write_b32 a29, v11
	v_accvgpr_read_b32 v7, a13
	v_accvgpr_write_b32 a28, v10
	v_cmp_lt_i32_e64 s[6:7], v7, v62
	v_accvgpr_read_b32 v10, a30
	v_accvgpr_read_b32 v11, a31
	v_cndmask_b32_e64 v10, 0, v10, s[6:7]
	v_cmp_lt_i32_e64 s[6:7], v6, v62
	v_cndmask_b32_e64 v11, 0, v11, s[6:7]
	v_accvgpr_write_b32 a31, v11
	v_accvgpr_write_b32 a30, v10
.LBB251_505:                            ;   in Loop: Header=BB251_427 Depth=1
	s_or_b64 exec, exec, s[26:27]
	flat_load_dword v10, v[50:51] offset:768
	v_pk_mov_b32 v[28:29], 0, 0
	v_pk_mov_b32 v[14:15], v[28:29], v[28:29] op_sel:[0,1]
	s_waitcnt vmcnt(0) lgkmcnt(0)
	v_cmp_ne_u16_sdwa s[6:7], v10, v53 src0_sel:BYTE_0 src1_sel:DWORD
	s_and_saveexec_b64 s[26:27], s[6:7]
	s_cbranch_execz .LBB251_511
; %bb.506:                              ;   in Loop: Header=BB251_427 Depth=1
	v_bfrev_b32_e32 v14, 1
	v_cmp_ne_u16_sdwa s[6:7], v10, s9 src0_sel:BYTE_0 src1_sel:DWORD
	v_mov_b32_e32 v15, 0
	s_and_saveexec_b64 s[28:29], s[6:7]
	s_cbranch_execz .LBB251_510
; %bb.507:                              ;   in Loop: Header=BB251_427 Depth=1
	v_and_b32_e32 v11, 0x7f, v10
	v_mov_b32_e32 v14, 0x7f800001
	v_cmp_ne_u32_e64 s[6:7], s15, v11
	v_mov_b32_e32 v15, 0
	s_and_saveexec_b64 s[30:31], s[6:7]
	s_cbranch_execz .LBB251_509
; %bb.508:                              ;   in Loop: Header=BB251_427 Depth=1
	v_and_b32_e32 v30, 7, v10
	v_ffbh_u32_e32 v14, v30
	v_min_u32_e32 v32, 32, v14
	v_subrev_u32_e32 v14, 28, v32
	v_lshlrev_b64 v[14:15], v14, v[10:11]
	v_lshrrev_b32_e32 v31, 3, v11
	v_sub_u32_e32 v15, 29, v32
	v_and_b32_e32 v14, 7, v14
	v_cmp_gt_u32_e64 s[6:7], 8, v11
	v_cndmask_b32_e64 v11, v31, v15, s[6:7]
	v_cndmask_b32_e64 v14, v30, v14, s[6:7]
	v_bfrev_b32_e32 v7, 60
	v_lshlrev_b32_e32 v14, 20, v14
	v_and_b32_sdwa v15, sext(v10), s13 dst_sel:DWORD dst_unused:UNUSED_PAD src0_sel:BYTE_0 src1_sel:DWORD
	v_lshl_add_u32 v11, v11, 23, v7
	v_or3_b32 v52, v15, v11, v14
	v_pk_mov_b32 v[14:15], v[52:53], v[52:53] op_sel:[0,1]
.LBB251_509:                            ;   in Loop: Header=BB251_427 Depth=1
	s_or_b64 exec, exec, s[30:31]
.LBB251_510:                            ;   in Loop: Header=BB251_427 Depth=1
	s_or_b64 exec, exec, s[28:29]
.LBB251_511:                            ;   in Loop: Header=BB251_427 Depth=1
	s_or_b64 exec, exec, s[26:27]
	v_cmp_ne_u16_sdwa s[6:7], v10, v53 src0_sel:BYTE_1 src1_sel:DWORD
	s_and_saveexec_b64 s[26:27], s[6:7]
	s_cbranch_execz .LBB251_517
; %bb.512:                              ;   in Loop: Header=BB251_427 Depth=1
	v_cmp_ne_u16_sdwa s[6:7], v10, s9 src0_sel:BYTE_1 src1_sel:DWORD
	v_pk_mov_b32 v[28:29], s[12:13], s[12:13] op_sel:[0,1]
	s_and_saveexec_b64 s[28:29], s[6:7]
	s_cbranch_execz .LBB251_516
; %bb.513:                              ;   in Loop: Header=BB251_427 Depth=1
	v_and_b32_sdwa v11, v10, s15 dst_sel:DWORD dst_unused:UNUSED_PAD src0_sel:BYTE_1 src1_sel:DWORD
	s_mov_b32 s24, s12
	v_cmp_ne_u32_e64 s[6:7], s15, v11
	v_pk_mov_b32 v[28:29], s[24:25], s[24:25] op_sel:[0,1]
	s_and_saveexec_b64 s[30:31], s[6:7]
	s_cbranch_execz .LBB251_515
; %bb.514:                              ;   in Loop: Header=BB251_427 Depth=1
	v_mov_b32_e32 v7, 7
	v_and_b32_sdwa v52, v10, v7 dst_sel:DWORD dst_unused:UNUSED_PAD src0_sel:BYTE_1 src1_sel:DWORD
	v_ffbh_u32_e32 v28, v52
	v_min_u32_e32 v31, 32, v28
	v_subrev_u32_e32 v28, 28, v31
	v_lshlrev_b64 v[28:29], v28, v[52:53]
	v_lshrrev_b32_e32 v30, 3, v11
	v_sub_u32_e32 v29, 29, v31
	v_cmp_gt_u32_e64 s[6:7], 8, v11
	v_and_b32_e32 v28, 7, v28
	v_cndmask_b32_e64 v11, v30, v29, s[6:7]
	v_bfrev_b32_e32 v7, 60
	v_cndmask_b32_e64 v28, v52, v28, s[6:7]
	v_lshlrev_b32_e32 v29, 16, v10
	v_lshl_add_u32 v11, v11, 23, v7
	v_and_or_b32 v11, v29, s13, v11
	v_lshlrev_b32_e32 v28, 20, v28
	v_or_b32_e32 v29, v11, v28
	v_mov_b32_e32 v28, v53
.LBB251_515:                            ;   in Loop: Header=BB251_427 Depth=1
	s_or_b64 exec, exec, s[30:31]
.LBB251_516:                            ;   in Loop: Header=BB251_427 Depth=1
	s_or_b64 exec, exec, s[28:29]
.LBB251_517:                            ;   in Loop: Header=BB251_427 Depth=1
	s_or_b64 exec, exec, s[26:27]
	v_lshrrev_b32_e32 v34, 16, v10
	v_pk_mov_b32 v[30:31], 0, 0
	v_cmp_ne_u16_sdwa s[6:7], v34, v53 src0_sel:BYTE_0 src1_sel:DWORD
	v_pk_mov_b32 v[32:33], v[30:31], v[30:31] op_sel:[0,1]
	s_and_saveexec_b64 s[26:27], s[6:7]
	s_cbranch_execz .LBB251_523
; %bb.518:                              ;   in Loop: Header=BB251_427 Depth=1
	v_bfrev_b32_e32 v32, 1
	v_cmp_ne_u16_sdwa s[6:7], v34, s9 src0_sel:BYTE_0 src1_sel:DWORD
	v_mov_b32_e32 v33, 0
	s_and_saveexec_b64 s[28:29], s[6:7]
	s_cbranch_execz .LBB251_522
; %bb.519:                              ;   in Loop: Header=BB251_427 Depth=1
	v_bfe_u32 v11, v10, 16, 7
	v_mov_b32_e32 v32, 0x7f800001
	v_cmp_ne_u32_e64 s[6:7], s15, v11
	v_mov_b32_e32 v33, 0
	s_and_saveexec_b64 s[30:31], s[6:7]
	s_cbranch_execz .LBB251_521
; %bb.520:                              ;   in Loop: Header=BB251_427 Depth=1
	v_and_b32_e32 v35, 7, v34
	v_ffbh_u32_e32 v32, v35
	v_min_u32_e32 v37, 32, v32
	v_subrev_u32_e32 v32, 28, v37
	v_lshlrev_b64 v[32:33], v32, v[34:35]
	v_lshrrev_b32_e32 v36, 3, v11
	v_sub_u32_e32 v33, 29, v37
	v_and_b32_e32 v32, 7, v32
	v_cmp_gt_u32_e64 s[6:7], 8, v11
	v_cndmask_b32_e64 v11, v36, v33, s[6:7]
	v_cndmask_b32_e64 v32, v35, v32, s[6:7]
	v_bfrev_b32_e32 v7, 60
	v_lshlrev_b32_e32 v32, 20, v32
	v_and_b32_sdwa v33, sext(v34), s13 dst_sel:DWORD dst_unused:UNUSED_PAD src0_sel:BYTE_0 src1_sel:DWORD
	v_lshl_add_u32 v11, v11, 23, v7
	v_or3_b32 v52, v33, v11, v32
	v_pk_mov_b32 v[32:33], v[52:53], v[52:53] op_sel:[0,1]
.LBB251_521:                            ;   in Loop: Header=BB251_427 Depth=1
	s_or_b64 exec, exec, s[30:31]
.LBB251_522:                            ;   in Loop: Header=BB251_427 Depth=1
	s_or_b64 exec, exec, s[28:29]
.LBB251_523:                            ;   in Loop: Header=BB251_427 Depth=1
	s_or_b64 exec, exec, s[26:27]
	v_cmp_lt_u32_e64 s[6:7], s34, v10
	s_and_saveexec_b64 s[26:27], s[6:7]
	s_cbranch_execz .LBB251_529
; %bb.524:                              ;   in Loop: Header=BB251_427 Depth=1
	v_cmp_ne_u32_sdwa s[6:7], v10, s9 src0_sel:BYTE_3 src1_sel:DWORD
	v_pk_mov_b32 v[30:31], s[12:13], s[12:13] op_sel:[0,1]
	s_and_saveexec_b64 s[28:29], s[6:7]
	s_cbranch_execz .LBB251_528
; %bb.525:                              ;   in Loop: Header=BB251_427 Depth=1
	v_bfe_u32 v11, v10, 24, 7
	s_mov_b32 s24, s12
	v_cmp_ne_u32_e64 s[6:7], s15, v11
	v_pk_mov_b32 v[30:31], s[24:25], s[24:25] op_sel:[0,1]
	s_and_saveexec_b64 s[30:31], s[6:7]
	s_cbranch_execz .LBB251_527
; %bb.526:                              ;   in Loop: Header=BB251_427 Depth=1
	v_mov_b32_e32 v7, 7
	v_and_b32_sdwa v52, v10, v7 dst_sel:DWORD dst_unused:UNUSED_PAD src0_sel:BYTE_3 src1_sel:DWORD
	v_ffbh_u32_e32 v30, v52
	v_min_u32_e32 v35, 32, v30
	v_subrev_u32_e32 v30, 28, v35
	v_lshlrev_b64 v[30:31], v30, v[52:53]
	v_lshrrev_b32_e32 v34, 3, v11
	v_sub_u32_e32 v31, 29, v35
	v_cmp_gt_u32_e64 s[6:7], 8, v11
	v_mov_b32_e32 v7, 24
	v_and_b32_e32 v30, 7, v30
	v_cndmask_b32_e64 v11, v34, v31, s[6:7]
	v_lshlrev_b32_sdwa v10, v7, v10 dst_sel:DWORD dst_unused:UNUSED_PAD src0_sel:DWORD src1_sel:BYTE_3
	v_bfrev_b32_e32 v7, 60
	v_cndmask_b32_e64 v30, v52, v30, s[6:7]
	v_lshl_add_u32 v11, v11, 23, v7
	v_and_or_b32 v10, v10, s13, v11
	v_lshlrev_b32_e32 v11, 20, v30
	v_or_b32_e32 v31, v10, v11
	v_mov_b32_e32 v30, v53
.LBB251_527:                            ;   in Loop: Header=BB251_427 Depth=1
	s_or_b64 exec, exec, s[30:31]
.LBB251_528:                            ;   in Loop: Header=BB251_427 Depth=1
	s_or_b64 exec, exec, s[28:29]
.LBB251_529:                            ;   in Loop: Header=BB251_427 Depth=1
	s_or_b64 exec, exec, s[26:27]
	v_or_b32_e32 v11, v29, v15
	v_or_b32_e32 v10, v28, v14
	v_pk_mul_f32 v[10:11], v[26:27], v[10:11]
	v_accvgpr_write_b32 a33, v11
	v_accvgpr_write_b32 a32, v10
	v_or_b32_e32 v11, v31, v33
	v_or_b32_e32 v10, v30, v32
	v_pk_mul_f32 v[10:11], v[26:27], v[10:11]
	v_accvgpr_write_b32 a35, v11
	v_accvgpr_write_b32 a34, v10
	s_and_saveexec_b64 s[26:27], vcc
	s_cbranch_execz .LBB251_531
; %bb.530:                              ;   in Loop: Header=BB251_427 Depth=1
	v_accvgpr_read_b32 v7, a10
	v_cmp_lt_i32_e64 s[6:7], v7, v62
	v_accvgpr_read_b32 v10, a32
	v_accvgpr_read_b32 v7, a19
	;; [unrolled: 1-line block ×3, first 2 shown]
	v_cndmask_b32_e64 v10, 0, v10, s[6:7]
	v_cmp_lt_i32_e64 s[6:7], v7, v62
	v_cndmask_b32_e64 v11, 0, v11, s[6:7]
	v_accvgpr_write_b32 a33, v11
	v_accvgpr_read_b32 v7, a13
	v_accvgpr_write_b32 a32, v10
	v_cmp_lt_i32_e64 s[6:7], v7, v62
	v_accvgpr_read_b32 v10, a34
	v_accvgpr_read_b32 v11, a35
	v_cndmask_b32_e64 v10, 0, v10, s[6:7]
	v_cmp_lt_i32_e64 s[6:7], v6, v62
	v_cndmask_b32_e64 v11, 0, v11, s[6:7]
	v_accvgpr_write_b32 a35, v11
	v_accvgpr_write_b32 a34, v10
.LBB251_531:                            ;   in Loop: Header=BB251_427 Depth=1
	s_or_b64 exec, exec, s[26:27]
	flat_load_dword v10, v[50:51] offset:1024
	v_pk_mov_b32 v[28:29], 0, 0
	v_pk_mov_b32 v[14:15], v[28:29], v[28:29] op_sel:[0,1]
	s_waitcnt vmcnt(0) lgkmcnt(0)
	v_cmp_ne_u16_sdwa s[6:7], v10, v53 src0_sel:BYTE_0 src1_sel:DWORD
	s_and_saveexec_b64 s[26:27], s[6:7]
	s_cbranch_execz .LBB251_537
; %bb.532:                              ;   in Loop: Header=BB251_427 Depth=1
	v_bfrev_b32_e32 v14, 1
	v_cmp_ne_u16_sdwa s[6:7], v10, s9 src0_sel:BYTE_0 src1_sel:DWORD
	v_mov_b32_e32 v15, 0
	s_and_saveexec_b64 s[28:29], s[6:7]
	s_cbranch_execz .LBB251_536
; %bb.533:                              ;   in Loop: Header=BB251_427 Depth=1
	v_and_b32_e32 v11, 0x7f, v10
	v_mov_b32_e32 v14, 0x7f800001
	v_cmp_ne_u32_e64 s[6:7], s15, v11
	v_mov_b32_e32 v15, 0
	s_and_saveexec_b64 s[30:31], s[6:7]
	s_cbranch_execz .LBB251_535
; %bb.534:                              ;   in Loop: Header=BB251_427 Depth=1
	v_and_b32_e32 v30, 7, v10
	v_ffbh_u32_e32 v14, v30
	v_min_u32_e32 v32, 32, v14
	v_subrev_u32_e32 v14, 28, v32
	v_lshlrev_b64 v[14:15], v14, v[10:11]
	v_lshrrev_b32_e32 v31, 3, v11
	v_sub_u32_e32 v15, 29, v32
	v_and_b32_e32 v14, 7, v14
	v_cmp_gt_u32_e64 s[6:7], 8, v11
	v_cndmask_b32_e64 v11, v31, v15, s[6:7]
	v_cndmask_b32_e64 v14, v30, v14, s[6:7]
	v_bfrev_b32_e32 v7, 60
	v_lshlrev_b32_e32 v14, 20, v14
	v_and_b32_sdwa v15, sext(v10), s13 dst_sel:DWORD dst_unused:UNUSED_PAD src0_sel:BYTE_0 src1_sel:DWORD
	v_lshl_add_u32 v11, v11, 23, v7
	v_or3_b32 v52, v15, v11, v14
	v_pk_mov_b32 v[14:15], v[52:53], v[52:53] op_sel:[0,1]
.LBB251_535:                            ;   in Loop: Header=BB251_427 Depth=1
	s_or_b64 exec, exec, s[30:31]
.LBB251_536:                            ;   in Loop: Header=BB251_427 Depth=1
	s_or_b64 exec, exec, s[28:29]
.LBB251_537:                            ;   in Loop: Header=BB251_427 Depth=1
	s_or_b64 exec, exec, s[26:27]
	v_cmp_ne_u16_sdwa s[6:7], v10, v53 src0_sel:BYTE_1 src1_sel:DWORD
	s_and_saveexec_b64 s[26:27], s[6:7]
	s_cbranch_execz .LBB251_543
; %bb.538:                              ;   in Loop: Header=BB251_427 Depth=1
	v_cmp_ne_u16_sdwa s[6:7], v10, s9 src0_sel:BYTE_1 src1_sel:DWORD
	v_pk_mov_b32 v[28:29], s[12:13], s[12:13] op_sel:[0,1]
	s_and_saveexec_b64 s[28:29], s[6:7]
	s_cbranch_execz .LBB251_542
; %bb.539:                              ;   in Loop: Header=BB251_427 Depth=1
	v_and_b32_sdwa v11, v10, s15 dst_sel:DWORD dst_unused:UNUSED_PAD src0_sel:BYTE_1 src1_sel:DWORD
	s_mov_b32 s24, s12
	v_cmp_ne_u32_e64 s[6:7], s15, v11
	v_pk_mov_b32 v[28:29], s[24:25], s[24:25] op_sel:[0,1]
	s_and_saveexec_b64 s[30:31], s[6:7]
	s_cbranch_execz .LBB251_541
; %bb.540:                              ;   in Loop: Header=BB251_427 Depth=1
	v_mov_b32_e32 v7, 7
	v_and_b32_sdwa v52, v10, v7 dst_sel:DWORD dst_unused:UNUSED_PAD src0_sel:BYTE_1 src1_sel:DWORD
	v_ffbh_u32_e32 v28, v52
	v_min_u32_e32 v31, 32, v28
	v_subrev_u32_e32 v28, 28, v31
	v_lshlrev_b64 v[28:29], v28, v[52:53]
	v_lshrrev_b32_e32 v30, 3, v11
	v_sub_u32_e32 v29, 29, v31
	v_cmp_gt_u32_e64 s[6:7], 8, v11
	v_and_b32_e32 v28, 7, v28
	v_cndmask_b32_e64 v11, v30, v29, s[6:7]
	v_bfrev_b32_e32 v7, 60
	v_cndmask_b32_e64 v28, v52, v28, s[6:7]
	v_lshlrev_b32_e32 v29, 16, v10
	v_lshl_add_u32 v11, v11, 23, v7
	v_and_or_b32 v11, v29, s13, v11
	v_lshlrev_b32_e32 v28, 20, v28
	v_or_b32_e32 v29, v11, v28
	v_mov_b32_e32 v28, v53
.LBB251_541:                            ;   in Loop: Header=BB251_427 Depth=1
	s_or_b64 exec, exec, s[30:31]
.LBB251_542:                            ;   in Loop: Header=BB251_427 Depth=1
	s_or_b64 exec, exec, s[28:29]
.LBB251_543:                            ;   in Loop: Header=BB251_427 Depth=1
	s_or_b64 exec, exec, s[26:27]
	v_lshrrev_b32_e32 v34, 16, v10
	v_pk_mov_b32 v[30:31], 0, 0
	v_cmp_ne_u16_sdwa s[6:7], v34, v53 src0_sel:BYTE_0 src1_sel:DWORD
	v_pk_mov_b32 v[32:33], v[30:31], v[30:31] op_sel:[0,1]
	s_and_saveexec_b64 s[26:27], s[6:7]
	s_cbranch_execz .LBB251_549
; %bb.544:                              ;   in Loop: Header=BB251_427 Depth=1
	v_bfrev_b32_e32 v32, 1
	v_cmp_ne_u16_sdwa s[6:7], v34, s9 src0_sel:BYTE_0 src1_sel:DWORD
	v_mov_b32_e32 v33, 0
	s_and_saveexec_b64 s[28:29], s[6:7]
	s_cbranch_execz .LBB251_548
; %bb.545:                              ;   in Loop: Header=BB251_427 Depth=1
	v_bfe_u32 v11, v10, 16, 7
	v_mov_b32_e32 v32, 0x7f800001
	v_cmp_ne_u32_e64 s[6:7], s15, v11
	v_mov_b32_e32 v33, 0
	s_and_saveexec_b64 s[30:31], s[6:7]
	s_cbranch_execz .LBB251_547
; %bb.546:                              ;   in Loop: Header=BB251_427 Depth=1
	v_and_b32_e32 v35, 7, v34
	v_ffbh_u32_e32 v32, v35
	v_min_u32_e32 v37, 32, v32
	v_subrev_u32_e32 v32, 28, v37
	v_lshlrev_b64 v[32:33], v32, v[34:35]
	v_lshrrev_b32_e32 v36, 3, v11
	v_sub_u32_e32 v33, 29, v37
	v_and_b32_e32 v32, 7, v32
	v_cmp_gt_u32_e64 s[6:7], 8, v11
	v_cndmask_b32_e64 v11, v36, v33, s[6:7]
	v_cndmask_b32_e64 v32, v35, v32, s[6:7]
	v_bfrev_b32_e32 v7, 60
	v_lshlrev_b32_e32 v32, 20, v32
	v_and_b32_sdwa v33, sext(v34), s13 dst_sel:DWORD dst_unused:UNUSED_PAD src0_sel:BYTE_0 src1_sel:DWORD
	v_lshl_add_u32 v11, v11, 23, v7
	v_or3_b32 v52, v33, v11, v32
	v_pk_mov_b32 v[32:33], v[52:53], v[52:53] op_sel:[0,1]
.LBB251_547:                            ;   in Loop: Header=BB251_427 Depth=1
	s_or_b64 exec, exec, s[30:31]
.LBB251_548:                            ;   in Loop: Header=BB251_427 Depth=1
	s_or_b64 exec, exec, s[28:29]
.LBB251_549:                            ;   in Loop: Header=BB251_427 Depth=1
	s_or_b64 exec, exec, s[26:27]
	v_cmp_lt_u32_e64 s[6:7], s34, v10
	s_and_saveexec_b64 s[26:27], s[6:7]
	s_cbranch_execz .LBB251_555
; %bb.550:                              ;   in Loop: Header=BB251_427 Depth=1
	v_cmp_ne_u32_sdwa s[6:7], v10, s9 src0_sel:BYTE_3 src1_sel:DWORD
	v_pk_mov_b32 v[30:31], s[12:13], s[12:13] op_sel:[0,1]
	s_and_saveexec_b64 s[28:29], s[6:7]
	s_cbranch_execz .LBB251_554
; %bb.551:                              ;   in Loop: Header=BB251_427 Depth=1
	v_bfe_u32 v11, v10, 24, 7
	s_mov_b32 s24, s12
	v_cmp_ne_u32_e64 s[6:7], s15, v11
	v_pk_mov_b32 v[30:31], s[24:25], s[24:25] op_sel:[0,1]
	s_and_saveexec_b64 s[30:31], s[6:7]
	s_cbranch_execz .LBB251_553
; %bb.552:                              ;   in Loop: Header=BB251_427 Depth=1
	v_mov_b32_e32 v7, 7
	v_and_b32_sdwa v52, v10, v7 dst_sel:DWORD dst_unused:UNUSED_PAD src0_sel:BYTE_3 src1_sel:DWORD
	v_ffbh_u32_e32 v30, v52
	v_min_u32_e32 v35, 32, v30
	v_subrev_u32_e32 v30, 28, v35
	v_lshlrev_b64 v[30:31], v30, v[52:53]
	v_lshrrev_b32_e32 v34, 3, v11
	v_sub_u32_e32 v31, 29, v35
	v_cmp_gt_u32_e64 s[6:7], 8, v11
	v_mov_b32_e32 v7, 24
	v_and_b32_e32 v30, 7, v30
	v_cndmask_b32_e64 v11, v34, v31, s[6:7]
	v_lshlrev_b32_sdwa v10, v7, v10 dst_sel:DWORD dst_unused:UNUSED_PAD src0_sel:DWORD src1_sel:BYTE_3
	v_bfrev_b32_e32 v7, 60
	v_cndmask_b32_e64 v30, v52, v30, s[6:7]
	v_lshl_add_u32 v11, v11, 23, v7
	v_and_or_b32 v10, v10, s13, v11
	v_lshlrev_b32_e32 v11, 20, v30
	v_or_b32_e32 v31, v10, v11
	v_mov_b32_e32 v30, v53
.LBB251_553:                            ;   in Loop: Header=BB251_427 Depth=1
	s_or_b64 exec, exec, s[30:31]
.LBB251_554:                            ;   in Loop: Header=BB251_427 Depth=1
	s_or_b64 exec, exec, s[28:29]
.LBB251_555:                            ;   in Loop: Header=BB251_427 Depth=1
	s_or_b64 exec, exec, s[26:27]
	v_or_b32_e32 v11, v29, v15
	v_or_b32_e32 v10, v28, v14
	v_pk_mul_f32 v[10:11], v[26:27], v[10:11]
	v_accvgpr_write_b32 a37, v11
	v_accvgpr_write_b32 a36, v10
	v_or_b32_e32 v11, v31, v33
	v_or_b32_e32 v10, v30, v32
	v_pk_mul_f32 v[10:11], v[26:27], v[10:11]
	v_accvgpr_write_b32 a39, v11
	v_accvgpr_write_b32 a38, v10
	s_and_saveexec_b64 s[26:27], vcc
	s_cbranch_execz .LBB251_557
; %bb.556:                              ;   in Loop: Header=BB251_427 Depth=1
	v_accvgpr_read_b32 v7, a10
	v_cmp_lt_i32_e64 s[6:7], v7, v62
	v_accvgpr_read_b32 v10, a36
	v_accvgpr_read_b32 v7, a19
	;; [unrolled: 1-line block ×3, first 2 shown]
	v_cndmask_b32_e64 v10, 0, v10, s[6:7]
	v_cmp_lt_i32_e64 s[6:7], v7, v62
	v_cndmask_b32_e64 v11, 0, v11, s[6:7]
	v_accvgpr_write_b32 a37, v11
	v_accvgpr_read_b32 v7, a13
	v_accvgpr_write_b32 a36, v10
	v_cmp_lt_i32_e64 s[6:7], v7, v62
	v_accvgpr_read_b32 v10, a38
	v_accvgpr_read_b32 v11, a39
	v_cndmask_b32_e64 v10, 0, v10, s[6:7]
	v_cmp_lt_i32_e64 s[6:7], v6, v62
	v_cndmask_b32_e64 v11, 0, v11, s[6:7]
	v_accvgpr_write_b32 a39, v11
	v_accvgpr_write_b32 a38, v10
.LBB251_557:                            ;   in Loop: Header=BB251_427 Depth=1
	s_or_b64 exec, exec, s[26:27]
	flat_load_dword v10, v[50:51] offset:1280
	v_pk_mov_b32 v[28:29], 0, 0
	v_pk_mov_b32 v[14:15], v[28:29], v[28:29] op_sel:[0,1]
	s_waitcnt vmcnt(0) lgkmcnt(0)
	v_cmp_ne_u16_sdwa s[6:7], v10, v53 src0_sel:BYTE_0 src1_sel:DWORD
	s_and_saveexec_b64 s[26:27], s[6:7]
	s_cbranch_execz .LBB251_563
; %bb.558:                              ;   in Loop: Header=BB251_427 Depth=1
	v_bfrev_b32_e32 v14, 1
	v_cmp_ne_u16_sdwa s[6:7], v10, s9 src0_sel:BYTE_0 src1_sel:DWORD
	v_mov_b32_e32 v15, 0
	s_and_saveexec_b64 s[28:29], s[6:7]
	s_cbranch_execz .LBB251_562
; %bb.559:                              ;   in Loop: Header=BB251_427 Depth=1
	v_and_b32_e32 v11, 0x7f, v10
	v_mov_b32_e32 v14, 0x7f800001
	v_cmp_ne_u32_e64 s[6:7], s15, v11
	v_mov_b32_e32 v15, 0
	s_and_saveexec_b64 s[30:31], s[6:7]
	s_cbranch_execz .LBB251_561
; %bb.560:                              ;   in Loop: Header=BB251_427 Depth=1
	v_and_b32_e32 v30, 7, v10
	v_ffbh_u32_e32 v14, v30
	v_min_u32_e32 v32, 32, v14
	v_subrev_u32_e32 v14, 28, v32
	v_lshlrev_b64 v[14:15], v14, v[10:11]
	v_lshrrev_b32_e32 v31, 3, v11
	v_sub_u32_e32 v15, 29, v32
	v_and_b32_e32 v14, 7, v14
	v_cmp_gt_u32_e64 s[6:7], 8, v11
	v_cndmask_b32_e64 v11, v31, v15, s[6:7]
	v_cndmask_b32_e64 v14, v30, v14, s[6:7]
	v_bfrev_b32_e32 v7, 60
	v_lshlrev_b32_e32 v14, 20, v14
	v_and_b32_sdwa v15, sext(v10), s13 dst_sel:DWORD dst_unused:UNUSED_PAD src0_sel:BYTE_0 src1_sel:DWORD
	v_lshl_add_u32 v11, v11, 23, v7
	v_or3_b32 v52, v15, v11, v14
	v_pk_mov_b32 v[14:15], v[52:53], v[52:53] op_sel:[0,1]
.LBB251_561:                            ;   in Loop: Header=BB251_427 Depth=1
	s_or_b64 exec, exec, s[30:31]
.LBB251_562:                            ;   in Loop: Header=BB251_427 Depth=1
	s_or_b64 exec, exec, s[28:29]
.LBB251_563:                            ;   in Loop: Header=BB251_427 Depth=1
	s_or_b64 exec, exec, s[26:27]
	v_cmp_ne_u16_sdwa s[6:7], v10, v53 src0_sel:BYTE_1 src1_sel:DWORD
	s_and_saveexec_b64 s[26:27], s[6:7]
	s_cbranch_execz .LBB251_569
; %bb.564:                              ;   in Loop: Header=BB251_427 Depth=1
	v_cmp_ne_u16_sdwa s[6:7], v10, s9 src0_sel:BYTE_1 src1_sel:DWORD
	v_pk_mov_b32 v[28:29], s[12:13], s[12:13] op_sel:[0,1]
	s_and_saveexec_b64 s[28:29], s[6:7]
	s_cbranch_execz .LBB251_568
; %bb.565:                              ;   in Loop: Header=BB251_427 Depth=1
	v_and_b32_sdwa v11, v10, s15 dst_sel:DWORD dst_unused:UNUSED_PAD src0_sel:BYTE_1 src1_sel:DWORD
	s_mov_b32 s24, s12
	v_cmp_ne_u32_e64 s[6:7], s15, v11
	v_pk_mov_b32 v[28:29], s[24:25], s[24:25] op_sel:[0,1]
	s_and_saveexec_b64 s[30:31], s[6:7]
	s_cbranch_execz .LBB251_567
; %bb.566:                              ;   in Loop: Header=BB251_427 Depth=1
	v_mov_b32_e32 v7, 7
	v_and_b32_sdwa v52, v10, v7 dst_sel:DWORD dst_unused:UNUSED_PAD src0_sel:BYTE_1 src1_sel:DWORD
	v_ffbh_u32_e32 v28, v52
	v_min_u32_e32 v31, 32, v28
	v_subrev_u32_e32 v28, 28, v31
	v_lshlrev_b64 v[28:29], v28, v[52:53]
	v_lshrrev_b32_e32 v30, 3, v11
	v_sub_u32_e32 v29, 29, v31
	v_cmp_gt_u32_e64 s[6:7], 8, v11
	v_and_b32_e32 v28, 7, v28
	v_cndmask_b32_e64 v11, v30, v29, s[6:7]
	v_bfrev_b32_e32 v7, 60
	v_cndmask_b32_e64 v28, v52, v28, s[6:7]
	v_lshlrev_b32_e32 v29, 16, v10
	v_lshl_add_u32 v11, v11, 23, v7
	v_and_or_b32 v11, v29, s13, v11
	v_lshlrev_b32_e32 v28, 20, v28
	v_or_b32_e32 v29, v11, v28
	v_mov_b32_e32 v28, v53
.LBB251_567:                            ;   in Loop: Header=BB251_427 Depth=1
	s_or_b64 exec, exec, s[30:31]
.LBB251_568:                            ;   in Loop: Header=BB251_427 Depth=1
	s_or_b64 exec, exec, s[28:29]
.LBB251_569:                            ;   in Loop: Header=BB251_427 Depth=1
	s_or_b64 exec, exec, s[26:27]
	v_lshrrev_b32_e32 v34, 16, v10
	v_pk_mov_b32 v[30:31], 0, 0
	v_cmp_ne_u16_sdwa s[6:7], v34, v53 src0_sel:BYTE_0 src1_sel:DWORD
	v_pk_mov_b32 v[32:33], v[30:31], v[30:31] op_sel:[0,1]
	s_and_saveexec_b64 s[26:27], s[6:7]
	s_cbranch_execz .LBB251_575
; %bb.570:                              ;   in Loop: Header=BB251_427 Depth=1
	v_bfrev_b32_e32 v32, 1
	v_cmp_ne_u16_sdwa s[6:7], v34, s9 src0_sel:BYTE_0 src1_sel:DWORD
	v_mov_b32_e32 v33, 0
	s_and_saveexec_b64 s[28:29], s[6:7]
	s_cbranch_execz .LBB251_574
; %bb.571:                              ;   in Loop: Header=BB251_427 Depth=1
	v_bfe_u32 v11, v10, 16, 7
	v_mov_b32_e32 v32, 0x7f800001
	v_cmp_ne_u32_e64 s[6:7], s15, v11
	v_mov_b32_e32 v33, 0
	s_and_saveexec_b64 s[30:31], s[6:7]
	s_cbranch_execz .LBB251_573
; %bb.572:                              ;   in Loop: Header=BB251_427 Depth=1
	v_and_b32_e32 v35, 7, v34
	v_ffbh_u32_e32 v32, v35
	v_min_u32_e32 v37, 32, v32
	v_subrev_u32_e32 v32, 28, v37
	v_lshlrev_b64 v[32:33], v32, v[34:35]
	v_lshrrev_b32_e32 v36, 3, v11
	v_sub_u32_e32 v33, 29, v37
	v_and_b32_e32 v32, 7, v32
	v_cmp_gt_u32_e64 s[6:7], 8, v11
	v_cndmask_b32_e64 v11, v36, v33, s[6:7]
	v_cndmask_b32_e64 v32, v35, v32, s[6:7]
	v_bfrev_b32_e32 v7, 60
	v_lshlrev_b32_e32 v32, 20, v32
	v_and_b32_sdwa v33, sext(v34), s13 dst_sel:DWORD dst_unused:UNUSED_PAD src0_sel:BYTE_0 src1_sel:DWORD
	v_lshl_add_u32 v11, v11, 23, v7
	v_or3_b32 v52, v33, v11, v32
	v_pk_mov_b32 v[32:33], v[52:53], v[52:53] op_sel:[0,1]
.LBB251_573:                            ;   in Loop: Header=BB251_427 Depth=1
	s_or_b64 exec, exec, s[30:31]
.LBB251_574:                            ;   in Loop: Header=BB251_427 Depth=1
	s_or_b64 exec, exec, s[28:29]
.LBB251_575:                            ;   in Loop: Header=BB251_427 Depth=1
	s_or_b64 exec, exec, s[26:27]
	v_cmp_lt_u32_e64 s[6:7], s34, v10
	s_and_saveexec_b64 s[26:27], s[6:7]
	s_cbranch_execz .LBB251_581
; %bb.576:                              ;   in Loop: Header=BB251_427 Depth=1
	v_cmp_ne_u32_sdwa s[6:7], v10, s9 src0_sel:BYTE_3 src1_sel:DWORD
	v_pk_mov_b32 v[30:31], s[12:13], s[12:13] op_sel:[0,1]
	s_and_saveexec_b64 s[28:29], s[6:7]
	s_cbranch_execz .LBB251_580
; %bb.577:                              ;   in Loop: Header=BB251_427 Depth=1
	v_bfe_u32 v11, v10, 24, 7
	s_mov_b32 s24, s12
	v_cmp_ne_u32_e64 s[6:7], s15, v11
	v_pk_mov_b32 v[30:31], s[24:25], s[24:25] op_sel:[0,1]
	s_and_saveexec_b64 s[30:31], s[6:7]
	s_cbranch_execz .LBB251_579
; %bb.578:                              ;   in Loop: Header=BB251_427 Depth=1
	v_mov_b32_e32 v7, 7
	v_and_b32_sdwa v52, v10, v7 dst_sel:DWORD dst_unused:UNUSED_PAD src0_sel:BYTE_3 src1_sel:DWORD
	v_ffbh_u32_e32 v30, v52
	v_min_u32_e32 v35, 32, v30
	v_subrev_u32_e32 v30, 28, v35
	v_lshlrev_b64 v[30:31], v30, v[52:53]
	v_lshrrev_b32_e32 v34, 3, v11
	v_sub_u32_e32 v31, 29, v35
	v_cmp_gt_u32_e64 s[6:7], 8, v11
	v_mov_b32_e32 v7, 24
	v_and_b32_e32 v30, 7, v30
	v_cndmask_b32_e64 v11, v34, v31, s[6:7]
	v_lshlrev_b32_sdwa v10, v7, v10 dst_sel:DWORD dst_unused:UNUSED_PAD src0_sel:DWORD src1_sel:BYTE_3
	v_bfrev_b32_e32 v7, 60
	v_cndmask_b32_e64 v30, v52, v30, s[6:7]
	v_lshl_add_u32 v11, v11, 23, v7
	v_and_or_b32 v10, v10, s13, v11
	v_lshlrev_b32_e32 v11, 20, v30
	v_or_b32_e32 v31, v10, v11
	v_mov_b32_e32 v30, v53
.LBB251_579:                            ;   in Loop: Header=BB251_427 Depth=1
	s_or_b64 exec, exec, s[30:31]
.LBB251_580:                            ;   in Loop: Header=BB251_427 Depth=1
	s_or_b64 exec, exec, s[28:29]
.LBB251_581:                            ;   in Loop: Header=BB251_427 Depth=1
	s_or_b64 exec, exec, s[26:27]
	v_or_b32_e32 v11, v29, v15
	v_or_b32_e32 v10, v28, v14
	v_pk_mul_f32 v[10:11], v[26:27], v[10:11]
	v_accvgpr_write_b32 a41, v11
	v_accvgpr_write_b32 a40, v10
	v_or_b32_e32 v11, v31, v33
	v_or_b32_e32 v10, v30, v32
	v_pk_mul_f32 v[10:11], v[26:27], v[10:11]
	v_accvgpr_write_b32 a43, v11
	v_accvgpr_write_b32 a42, v10
	s_and_saveexec_b64 s[26:27], vcc
	s_cbranch_execz .LBB251_583
; %bb.582:                              ;   in Loop: Header=BB251_427 Depth=1
	v_accvgpr_read_b32 v7, a10
	v_cmp_lt_i32_e64 s[6:7], v7, v62
	v_accvgpr_read_b32 v10, a40
	v_accvgpr_read_b32 v7, a19
	;; [unrolled: 1-line block ×3, first 2 shown]
	v_cndmask_b32_e64 v10, 0, v10, s[6:7]
	v_cmp_lt_i32_e64 s[6:7], v7, v62
	v_cndmask_b32_e64 v11, 0, v11, s[6:7]
	v_accvgpr_write_b32 a41, v11
	v_accvgpr_read_b32 v7, a13
	v_accvgpr_write_b32 a40, v10
	v_cmp_lt_i32_e64 s[6:7], v7, v62
	v_accvgpr_read_b32 v10, a42
	v_accvgpr_read_b32 v11, a43
	v_cndmask_b32_e64 v10, 0, v10, s[6:7]
	v_cmp_lt_i32_e64 s[6:7], v6, v62
	v_cndmask_b32_e64 v11, 0, v11, s[6:7]
	v_accvgpr_write_b32 a43, v11
	v_accvgpr_write_b32 a42, v10
.LBB251_583:                            ;   in Loop: Header=BB251_427 Depth=1
	s_or_b64 exec, exec, s[26:27]
	flat_load_dword v10, v[50:51] offset:1536
	v_pk_mov_b32 v[28:29], 0, 0
	v_pk_mov_b32 v[14:15], v[28:29], v[28:29] op_sel:[0,1]
	s_waitcnt vmcnt(0) lgkmcnt(0)
	v_cmp_ne_u16_sdwa s[6:7], v10, v53 src0_sel:BYTE_0 src1_sel:DWORD
	s_and_saveexec_b64 s[26:27], s[6:7]
	s_cbranch_execz .LBB251_589
; %bb.584:                              ;   in Loop: Header=BB251_427 Depth=1
	v_bfrev_b32_e32 v14, 1
	v_cmp_ne_u16_sdwa s[6:7], v10, s9 src0_sel:BYTE_0 src1_sel:DWORD
	v_mov_b32_e32 v15, 0
	s_and_saveexec_b64 s[28:29], s[6:7]
	s_cbranch_execz .LBB251_588
; %bb.585:                              ;   in Loop: Header=BB251_427 Depth=1
	v_and_b32_e32 v11, 0x7f, v10
	v_mov_b32_e32 v14, 0x7f800001
	v_cmp_ne_u32_e64 s[6:7], s15, v11
	v_mov_b32_e32 v15, 0
	s_and_saveexec_b64 s[30:31], s[6:7]
	s_cbranch_execz .LBB251_587
; %bb.586:                              ;   in Loop: Header=BB251_427 Depth=1
	v_and_b32_e32 v30, 7, v10
	v_ffbh_u32_e32 v14, v30
	v_min_u32_e32 v32, 32, v14
	v_subrev_u32_e32 v14, 28, v32
	v_lshlrev_b64 v[14:15], v14, v[10:11]
	v_lshrrev_b32_e32 v31, 3, v11
	v_sub_u32_e32 v15, 29, v32
	v_and_b32_e32 v14, 7, v14
	v_cmp_gt_u32_e64 s[6:7], 8, v11
	v_cndmask_b32_e64 v11, v31, v15, s[6:7]
	v_cndmask_b32_e64 v14, v30, v14, s[6:7]
	v_bfrev_b32_e32 v7, 60
	v_lshlrev_b32_e32 v14, 20, v14
	v_and_b32_sdwa v15, sext(v10), s13 dst_sel:DWORD dst_unused:UNUSED_PAD src0_sel:BYTE_0 src1_sel:DWORD
	v_lshl_add_u32 v11, v11, 23, v7
	v_or3_b32 v52, v15, v11, v14
	v_pk_mov_b32 v[14:15], v[52:53], v[52:53] op_sel:[0,1]
.LBB251_587:                            ;   in Loop: Header=BB251_427 Depth=1
	s_or_b64 exec, exec, s[30:31]
.LBB251_588:                            ;   in Loop: Header=BB251_427 Depth=1
	s_or_b64 exec, exec, s[28:29]
.LBB251_589:                            ;   in Loop: Header=BB251_427 Depth=1
	s_or_b64 exec, exec, s[26:27]
	v_cmp_ne_u16_sdwa s[6:7], v10, v53 src0_sel:BYTE_1 src1_sel:DWORD
	s_and_saveexec_b64 s[26:27], s[6:7]
	s_cbranch_execz .LBB251_595
; %bb.590:                              ;   in Loop: Header=BB251_427 Depth=1
	v_cmp_ne_u16_sdwa s[6:7], v10, s9 src0_sel:BYTE_1 src1_sel:DWORD
	v_pk_mov_b32 v[28:29], s[12:13], s[12:13] op_sel:[0,1]
	s_and_saveexec_b64 s[28:29], s[6:7]
	s_cbranch_execz .LBB251_594
; %bb.591:                              ;   in Loop: Header=BB251_427 Depth=1
	v_and_b32_sdwa v11, v10, s15 dst_sel:DWORD dst_unused:UNUSED_PAD src0_sel:BYTE_1 src1_sel:DWORD
	s_mov_b32 s24, s12
	v_cmp_ne_u32_e64 s[6:7], s15, v11
	v_pk_mov_b32 v[28:29], s[24:25], s[24:25] op_sel:[0,1]
	s_and_saveexec_b64 s[30:31], s[6:7]
	s_cbranch_execz .LBB251_593
; %bb.592:                              ;   in Loop: Header=BB251_427 Depth=1
	v_mov_b32_e32 v7, 7
	v_and_b32_sdwa v52, v10, v7 dst_sel:DWORD dst_unused:UNUSED_PAD src0_sel:BYTE_1 src1_sel:DWORD
	v_ffbh_u32_e32 v28, v52
	v_min_u32_e32 v31, 32, v28
	v_subrev_u32_e32 v28, 28, v31
	v_lshlrev_b64 v[28:29], v28, v[52:53]
	v_lshrrev_b32_e32 v30, 3, v11
	v_sub_u32_e32 v29, 29, v31
	v_cmp_gt_u32_e64 s[6:7], 8, v11
	v_and_b32_e32 v28, 7, v28
	v_cndmask_b32_e64 v11, v30, v29, s[6:7]
	v_bfrev_b32_e32 v7, 60
	v_cndmask_b32_e64 v28, v52, v28, s[6:7]
	v_lshlrev_b32_e32 v29, 16, v10
	v_lshl_add_u32 v11, v11, 23, v7
	v_and_or_b32 v11, v29, s13, v11
	v_lshlrev_b32_e32 v28, 20, v28
	v_or_b32_e32 v29, v11, v28
	v_mov_b32_e32 v28, v53
.LBB251_593:                            ;   in Loop: Header=BB251_427 Depth=1
	s_or_b64 exec, exec, s[30:31]
.LBB251_594:                            ;   in Loop: Header=BB251_427 Depth=1
	s_or_b64 exec, exec, s[28:29]
.LBB251_595:                            ;   in Loop: Header=BB251_427 Depth=1
	s_or_b64 exec, exec, s[26:27]
	v_lshrrev_b32_e32 v34, 16, v10
	v_pk_mov_b32 v[30:31], 0, 0
	v_cmp_ne_u16_sdwa s[6:7], v34, v53 src0_sel:BYTE_0 src1_sel:DWORD
	v_pk_mov_b32 v[32:33], v[30:31], v[30:31] op_sel:[0,1]
	s_and_saveexec_b64 s[26:27], s[6:7]
	s_cbranch_execz .LBB251_601
; %bb.596:                              ;   in Loop: Header=BB251_427 Depth=1
	v_bfrev_b32_e32 v32, 1
	v_cmp_ne_u16_sdwa s[6:7], v34, s9 src0_sel:BYTE_0 src1_sel:DWORD
	v_mov_b32_e32 v33, 0
	s_and_saveexec_b64 s[28:29], s[6:7]
	s_cbranch_execz .LBB251_600
; %bb.597:                              ;   in Loop: Header=BB251_427 Depth=1
	v_bfe_u32 v11, v10, 16, 7
	v_mov_b32_e32 v32, 0x7f800001
	v_cmp_ne_u32_e64 s[6:7], s15, v11
	v_mov_b32_e32 v33, 0
	s_and_saveexec_b64 s[30:31], s[6:7]
	s_cbranch_execz .LBB251_599
; %bb.598:                              ;   in Loop: Header=BB251_427 Depth=1
	v_and_b32_e32 v35, 7, v34
	v_ffbh_u32_e32 v32, v35
	v_min_u32_e32 v37, 32, v32
	v_subrev_u32_e32 v32, 28, v37
	v_lshlrev_b64 v[32:33], v32, v[34:35]
	v_lshrrev_b32_e32 v36, 3, v11
	v_sub_u32_e32 v33, 29, v37
	v_and_b32_e32 v32, 7, v32
	v_cmp_gt_u32_e64 s[6:7], 8, v11
	v_cndmask_b32_e64 v11, v36, v33, s[6:7]
	v_cndmask_b32_e64 v32, v35, v32, s[6:7]
	v_bfrev_b32_e32 v7, 60
	v_lshlrev_b32_e32 v32, 20, v32
	v_and_b32_sdwa v33, sext(v34), s13 dst_sel:DWORD dst_unused:UNUSED_PAD src0_sel:BYTE_0 src1_sel:DWORD
	v_lshl_add_u32 v11, v11, 23, v7
	v_or3_b32 v52, v33, v11, v32
	v_pk_mov_b32 v[32:33], v[52:53], v[52:53] op_sel:[0,1]
.LBB251_599:                            ;   in Loop: Header=BB251_427 Depth=1
	s_or_b64 exec, exec, s[30:31]
.LBB251_600:                            ;   in Loop: Header=BB251_427 Depth=1
	s_or_b64 exec, exec, s[28:29]
.LBB251_601:                            ;   in Loop: Header=BB251_427 Depth=1
	s_or_b64 exec, exec, s[26:27]
	v_cmp_lt_u32_e64 s[6:7], s34, v10
	s_and_saveexec_b64 s[26:27], s[6:7]
	s_cbranch_execz .LBB251_607
; %bb.602:                              ;   in Loop: Header=BB251_427 Depth=1
	v_cmp_ne_u32_sdwa s[6:7], v10, s9 src0_sel:BYTE_3 src1_sel:DWORD
	v_pk_mov_b32 v[30:31], s[12:13], s[12:13] op_sel:[0,1]
	s_and_saveexec_b64 s[28:29], s[6:7]
	s_cbranch_execz .LBB251_606
; %bb.603:                              ;   in Loop: Header=BB251_427 Depth=1
	v_bfe_u32 v11, v10, 24, 7
	s_mov_b32 s24, s12
	v_cmp_ne_u32_e64 s[6:7], s15, v11
	v_pk_mov_b32 v[30:31], s[24:25], s[24:25] op_sel:[0,1]
	s_and_saveexec_b64 s[30:31], s[6:7]
	s_cbranch_execz .LBB251_605
; %bb.604:                              ;   in Loop: Header=BB251_427 Depth=1
	v_mov_b32_e32 v7, 7
	v_and_b32_sdwa v52, v10, v7 dst_sel:DWORD dst_unused:UNUSED_PAD src0_sel:BYTE_3 src1_sel:DWORD
	v_ffbh_u32_e32 v30, v52
	v_min_u32_e32 v35, 32, v30
	v_subrev_u32_e32 v30, 28, v35
	v_lshlrev_b64 v[30:31], v30, v[52:53]
	v_lshrrev_b32_e32 v34, 3, v11
	v_sub_u32_e32 v31, 29, v35
	v_cmp_gt_u32_e64 s[6:7], 8, v11
	v_mov_b32_e32 v7, 24
	v_and_b32_e32 v30, 7, v30
	v_cndmask_b32_e64 v11, v34, v31, s[6:7]
	v_lshlrev_b32_sdwa v10, v7, v10 dst_sel:DWORD dst_unused:UNUSED_PAD src0_sel:DWORD src1_sel:BYTE_3
	v_bfrev_b32_e32 v7, 60
	v_cndmask_b32_e64 v30, v52, v30, s[6:7]
	v_lshl_add_u32 v11, v11, 23, v7
	v_and_or_b32 v10, v10, s13, v11
	v_lshlrev_b32_e32 v11, 20, v30
	v_or_b32_e32 v31, v10, v11
	v_mov_b32_e32 v30, v53
.LBB251_605:                            ;   in Loop: Header=BB251_427 Depth=1
	s_or_b64 exec, exec, s[30:31]
.LBB251_606:                            ;   in Loop: Header=BB251_427 Depth=1
	s_or_b64 exec, exec, s[28:29]
.LBB251_607:                            ;   in Loop: Header=BB251_427 Depth=1
	s_or_b64 exec, exec, s[26:27]
	v_or_b32_e32 v11, v29, v15
	v_or_b32_e32 v10, v28, v14
	v_pk_mul_f32 v[10:11], v[26:27], v[10:11]
	v_accvgpr_write_b32 a45, v11
	v_accvgpr_write_b32 a44, v10
	v_or_b32_e32 v11, v31, v33
	v_or_b32_e32 v10, v30, v32
	v_pk_mul_f32 v[10:11], v[26:27], v[10:11]
	v_accvgpr_write_b32 a47, v11
	v_accvgpr_write_b32 a46, v10
	s_and_saveexec_b64 s[26:27], vcc
	s_cbranch_execz .LBB251_609
; %bb.608:                              ;   in Loop: Header=BB251_427 Depth=1
	v_accvgpr_read_b32 v7, a10
	v_cmp_lt_i32_e64 s[6:7], v7, v62
	v_accvgpr_read_b32 v10, a44
	v_accvgpr_read_b32 v7, a19
	;; [unrolled: 1-line block ×3, first 2 shown]
	v_cndmask_b32_e64 v10, 0, v10, s[6:7]
	v_cmp_lt_i32_e64 s[6:7], v7, v62
	v_cndmask_b32_e64 v11, 0, v11, s[6:7]
	v_accvgpr_write_b32 a45, v11
	v_accvgpr_read_b32 v7, a13
	v_accvgpr_write_b32 a44, v10
	v_cmp_lt_i32_e64 s[6:7], v7, v62
	v_accvgpr_read_b32 v10, a46
	v_accvgpr_read_b32 v11, a47
	v_cndmask_b32_e64 v10, 0, v10, s[6:7]
	v_cmp_lt_i32_e64 s[6:7], v6, v62
	v_cndmask_b32_e64 v11, 0, v11, s[6:7]
	v_accvgpr_write_b32 a47, v11
	v_accvgpr_write_b32 a46, v10
.LBB251_609:                            ;   in Loop: Header=BB251_427 Depth=1
	s_or_b64 exec, exec, s[26:27]
	flat_load_dword v10, v[50:51] offset:1792
	v_pk_mov_b32 v[32:33], 0, 0
	v_pk_mov_b32 v[14:15], v[32:33], v[32:33] op_sel:[0,1]
	s_waitcnt vmcnt(0) lgkmcnt(0)
	v_cmp_ne_u16_sdwa s[6:7], v10, v53 src0_sel:BYTE_0 src1_sel:DWORD
	s_and_saveexec_b64 s[26:27], s[6:7]
	s_cbranch_execz .LBB251_615
; %bb.610:                              ;   in Loop: Header=BB251_427 Depth=1
	v_bfrev_b32_e32 v14, 1
	v_cmp_ne_u16_sdwa s[6:7], v10, s9 src0_sel:BYTE_0 src1_sel:DWORD
	v_mov_b32_e32 v15, 0
	s_and_saveexec_b64 s[28:29], s[6:7]
	s_cbranch_execz .LBB251_614
; %bb.611:                              ;   in Loop: Header=BB251_427 Depth=1
	v_and_b32_e32 v11, 0x7f, v10
	v_mov_b32_e32 v14, 0x7f800001
	v_cmp_ne_u32_e64 s[6:7], s15, v11
	v_mov_b32_e32 v15, 0
	s_and_saveexec_b64 s[30:31], s[6:7]
	s_cbranch_execz .LBB251_613
; %bb.612:                              ;   in Loop: Header=BB251_427 Depth=1
	v_and_b32_e32 v28, 7, v10
	v_ffbh_u32_e32 v14, v28
	v_min_u32_e32 v30, 32, v14
	v_subrev_u32_e32 v14, 28, v30
	v_lshlrev_b64 v[14:15], v14, v[10:11]
	v_lshrrev_b32_e32 v29, 3, v11
	v_sub_u32_e32 v15, 29, v30
	v_and_b32_e32 v14, 7, v14
	v_cmp_gt_u32_e64 s[6:7], 8, v11
	v_cndmask_b32_e64 v11, v29, v15, s[6:7]
	v_cndmask_b32_e64 v14, v28, v14, s[6:7]
	v_bfrev_b32_e32 v7, 60
	v_lshlrev_b32_e32 v14, 20, v14
	v_and_b32_sdwa v15, sext(v10), s13 dst_sel:DWORD dst_unused:UNUSED_PAD src0_sel:BYTE_0 src1_sel:DWORD
	v_lshl_add_u32 v11, v11, 23, v7
	v_or3_b32 v52, v15, v11, v14
	v_pk_mov_b32 v[14:15], v[52:53], v[52:53] op_sel:[0,1]
.LBB251_613:                            ;   in Loop: Header=BB251_427 Depth=1
	s_or_b64 exec, exec, s[30:31]
.LBB251_614:                            ;   in Loop: Header=BB251_427 Depth=1
	s_or_b64 exec, exec, s[28:29]
.LBB251_615:                            ;   in Loop: Header=BB251_427 Depth=1
	s_or_b64 exec, exec, s[26:27]
	v_cmp_ne_u16_sdwa s[6:7], v10, v53 src0_sel:BYTE_1 src1_sel:DWORD
	s_and_saveexec_b64 s[26:27], s[6:7]
	s_cbranch_execz .LBB251_621
; %bb.616:                              ;   in Loop: Header=BB251_427 Depth=1
	v_cmp_ne_u16_sdwa s[6:7], v10, s9 src0_sel:BYTE_1 src1_sel:DWORD
	v_pk_mov_b32 v[32:33], s[12:13], s[12:13] op_sel:[0,1]
	s_and_saveexec_b64 s[28:29], s[6:7]
	s_cbranch_execz .LBB251_620
; %bb.617:                              ;   in Loop: Header=BB251_427 Depth=1
	v_and_b32_sdwa v11, v10, s15 dst_sel:DWORD dst_unused:UNUSED_PAD src0_sel:BYTE_1 src1_sel:DWORD
	s_mov_b32 s24, s12
	v_cmp_ne_u32_e64 s[6:7], s15, v11
	v_pk_mov_b32 v[32:33], s[24:25], s[24:25] op_sel:[0,1]
	s_and_saveexec_b64 s[30:31], s[6:7]
	s_cbranch_execz .LBB251_619
; %bb.618:                              ;   in Loop: Header=BB251_427 Depth=1
	v_mov_b32_e32 v7, 7
	v_and_b32_sdwa v52, v10, v7 dst_sel:DWORD dst_unused:UNUSED_PAD src0_sel:BYTE_1 src1_sel:DWORD
	v_ffbh_u32_e32 v28, v52
	v_min_u32_e32 v31, 32, v28
	v_subrev_u32_e32 v28, 28, v31
	v_lshlrev_b64 v[28:29], v28, v[52:53]
	v_lshrrev_b32_e32 v30, 3, v11
	v_sub_u32_e32 v29, 29, v31
	v_cmp_gt_u32_e64 s[6:7], 8, v11
	v_and_b32_e32 v28, 7, v28
	v_cndmask_b32_e64 v11, v30, v29, s[6:7]
	v_bfrev_b32_e32 v7, 60
	v_cndmask_b32_e64 v28, v52, v28, s[6:7]
	v_lshlrev_b32_e32 v29, 16, v10
	v_lshl_add_u32 v11, v11, 23, v7
	v_and_or_b32 v11, v29, s13, v11
	v_lshlrev_b32_e32 v28, 20, v28
	v_or_b32_e32 v33, v11, v28
	v_mov_b32_e32 v32, v53
.LBB251_619:                            ;   in Loop: Header=BB251_427 Depth=1
	s_or_b64 exec, exec, s[30:31]
.LBB251_620:                            ;   in Loop: Header=BB251_427 Depth=1
	s_or_b64 exec, exec, s[28:29]
.LBB251_621:                            ;   in Loop: Header=BB251_427 Depth=1
	s_or_b64 exec, exec, s[26:27]
	v_lshrrev_b32_e32 v34, 16, v10
	v_pk_mov_b32 v[30:31], 0, 0
	v_cmp_ne_u16_sdwa s[6:7], v34, v53 src0_sel:BYTE_0 src1_sel:DWORD
	v_pk_mov_b32 v[28:29], v[30:31], v[30:31] op_sel:[0,1]
	s_and_saveexec_b64 s[26:27], s[6:7]
	s_cbranch_execz .LBB251_627
; %bb.622:                              ;   in Loop: Header=BB251_427 Depth=1
	v_bfrev_b32_e32 v28, 1
	v_cmp_ne_u16_sdwa s[6:7], v34, s9 src0_sel:BYTE_0 src1_sel:DWORD
	v_mov_b32_e32 v29, 0
	s_and_saveexec_b64 s[28:29], s[6:7]
	s_cbranch_execz .LBB251_626
; %bb.623:                              ;   in Loop: Header=BB251_427 Depth=1
	v_bfe_u32 v11, v10, 16, 7
	v_mov_b32_e32 v28, 0x7f800001
	v_cmp_ne_u32_e64 s[6:7], s15, v11
	v_mov_b32_e32 v29, 0
	s_and_saveexec_b64 s[30:31], s[6:7]
	s_cbranch_execz .LBB251_625
; %bb.624:                              ;   in Loop: Header=BB251_427 Depth=1
	v_and_b32_e32 v35, 7, v34
	v_ffbh_u32_e32 v28, v35
	v_min_u32_e32 v37, 32, v28
	v_subrev_u32_e32 v28, 28, v37
	v_lshlrev_b64 v[28:29], v28, v[34:35]
	v_lshrrev_b32_e32 v36, 3, v11
	v_sub_u32_e32 v29, 29, v37
	v_and_b32_e32 v28, 7, v28
	v_cmp_gt_u32_e64 s[6:7], 8, v11
	v_cndmask_b32_e64 v11, v36, v29, s[6:7]
	v_cndmask_b32_e64 v28, v35, v28, s[6:7]
	v_bfrev_b32_e32 v7, 60
	v_lshlrev_b32_e32 v28, 20, v28
	v_and_b32_sdwa v29, sext(v34), s13 dst_sel:DWORD dst_unused:UNUSED_PAD src0_sel:BYTE_0 src1_sel:DWORD
	v_lshl_add_u32 v11, v11, 23, v7
	v_or3_b32 v52, v29, v11, v28
	v_pk_mov_b32 v[28:29], v[52:53], v[52:53] op_sel:[0,1]
.LBB251_625:                            ;   in Loop: Header=BB251_427 Depth=1
	s_or_b64 exec, exec, s[30:31]
.LBB251_626:                            ;   in Loop: Header=BB251_427 Depth=1
	s_or_b64 exec, exec, s[28:29]
.LBB251_627:                            ;   in Loop: Header=BB251_427 Depth=1
	s_or_b64 exec, exec, s[26:27]
	v_cmp_lt_u32_e64 s[6:7], s34, v10
	s_and_saveexec_b64 s[26:27], s[6:7]
	s_cbranch_execz .LBB251_633
; %bb.628:                              ;   in Loop: Header=BB251_427 Depth=1
	v_cmp_ne_u32_sdwa s[6:7], v10, s9 src0_sel:BYTE_3 src1_sel:DWORD
	v_pk_mov_b32 v[30:31], s[12:13], s[12:13] op_sel:[0,1]
	s_and_saveexec_b64 s[28:29], s[6:7]
	s_cbranch_execz .LBB251_632
; %bb.629:                              ;   in Loop: Header=BB251_427 Depth=1
	v_bfe_u32 v11, v10, 24, 7
	s_mov_b32 s24, s12
	v_cmp_ne_u32_e64 s[6:7], s15, v11
	v_pk_mov_b32 v[30:31], s[24:25], s[24:25] op_sel:[0,1]
	s_and_saveexec_b64 s[30:31], s[6:7]
	s_cbranch_execz .LBB251_631
; %bb.630:                              ;   in Loop: Header=BB251_427 Depth=1
	v_mov_b32_e32 v7, 7
	v_and_b32_sdwa v52, v10, v7 dst_sel:DWORD dst_unused:UNUSED_PAD src0_sel:BYTE_3 src1_sel:DWORD
	v_ffbh_u32_e32 v30, v52
	v_min_u32_e32 v35, 32, v30
	v_subrev_u32_e32 v30, 28, v35
	v_lshlrev_b64 v[30:31], v30, v[52:53]
	v_lshrrev_b32_e32 v34, 3, v11
	v_sub_u32_e32 v31, 29, v35
	v_cmp_gt_u32_e64 s[6:7], 8, v11
	v_mov_b32_e32 v7, 24
	v_and_b32_e32 v30, 7, v30
	v_cndmask_b32_e64 v11, v34, v31, s[6:7]
	v_lshlrev_b32_sdwa v10, v7, v10 dst_sel:DWORD dst_unused:UNUSED_PAD src0_sel:DWORD src1_sel:BYTE_3
	v_bfrev_b32_e32 v7, 60
	v_cndmask_b32_e64 v30, v52, v30, s[6:7]
	v_lshl_add_u32 v11, v11, 23, v7
	v_and_or_b32 v10, v10, s13, v11
	v_lshlrev_b32_e32 v11, 20, v30
	v_or_b32_e32 v31, v10, v11
	v_mov_b32_e32 v30, v53
.LBB251_631:                            ;   in Loop: Header=BB251_427 Depth=1
	s_or_b64 exec, exec, s[30:31]
.LBB251_632:                            ;   in Loop: Header=BB251_427 Depth=1
	s_or_b64 exec, exec, s[28:29]
.LBB251_633:                            ;   in Loop: Header=BB251_427 Depth=1
	s_or_b64 exec, exec, s[26:27]
	v_or_b32_e32 v11, v33, v15
	v_or_b32_e32 v10, v32, v14
	v_pk_mul_f32 v[10:11], v[26:27], v[10:11]
	v_accvgpr_write_b32 a49, v11
	v_accvgpr_write_b32 a48, v10
	v_or_b32_e32 v11, v31, v29
	v_or_b32_e32 v10, v30, v28
	v_pk_mul_f32 v[10:11], v[26:27], v[10:11]
	v_accvgpr_write_b32 a51, v11
	v_accvgpr_write_b32 a50, v10
	s_and_saveexec_b64 s[26:27], vcc
	s_cbranch_execz .LBB251_635
; %bb.634:                              ;   in Loop: Header=BB251_427 Depth=1
	v_accvgpr_read_b32 v7, a10
	v_cmp_lt_i32_e64 s[6:7], v7, v62
	v_accvgpr_read_b32 v10, a48
	v_accvgpr_read_b32 v7, a19
	;; [unrolled: 1-line block ×3, first 2 shown]
	v_cndmask_b32_e64 v10, 0, v10, s[6:7]
	v_cmp_lt_i32_e64 s[6:7], v7, v62
	v_cndmask_b32_e64 v11, 0, v11, s[6:7]
	v_accvgpr_write_b32 a49, v11
	v_accvgpr_read_b32 v7, a13
	v_accvgpr_write_b32 a48, v10
	v_cmp_lt_i32_e64 s[6:7], v7, v62
	v_accvgpr_read_b32 v10, a50
	v_accvgpr_read_b32 v11, a51
	v_cndmask_b32_e64 v10, 0, v10, s[6:7]
	v_cmp_lt_i32_e64 s[6:7], v6, v62
	v_cndmask_b32_e64 v11, 0, v11, s[6:7]
	v_accvgpr_write_b32 a51, v11
	v_accvgpr_write_b32 a50, v10
.LBB251_635:                            ;   in Loop: Header=BB251_427 Depth=1
	s_or_b64 exec, exec, s[26:27]
	flat_load_dword v14, v[50:51] offset:2048
	v_pk_mov_b32 v[36:37], 0, 0
	v_pk_mov_b32 v[34:35], v[36:37], v[36:37] op_sel:[0,1]
	s_waitcnt vmcnt(0) lgkmcnt(0)
	v_cmp_ne_u16_sdwa s[6:7], v14, v53 src0_sel:BYTE_0 src1_sel:DWORD
	s_and_saveexec_b64 s[26:27], s[6:7]
	s_cbranch_execz .LBB251_641
; %bb.636:                              ;   in Loop: Header=BB251_427 Depth=1
	v_bfrev_b32_e32 v34, 1
	v_cmp_ne_u16_sdwa s[6:7], v14, s9 src0_sel:BYTE_0 src1_sel:DWORD
	v_mov_b32_e32 v35, 0
	s_and_saveexec_b64 s[28:29], s[6:7]
	s_cbranch_execz .LBB251_640
; %bb.637:                              ;   in Loop: Header=BB251_427 Depth=1
	v_and_b32_e32 v10, 0x7f, v14
	v_mov_b32_e32 v34, 0x7f800001
	v_cmp_ne_u32_e64 s[6:7], s15, v10
	v_mov_b32_e32 v35, 0
	s_and_saveexec_b64 s[30:31], s[6:7]
	s_cbranch_execz .LBB251_639
; %bb.638:                              ;   in Loop: Header=BB251_427 Depth=1
	v_and_b32_e32 v11, 7, v14
	v_ffbh_u32_e32 v28, v11
	v_min_u32_e32 v30, 32, v28
	v_lshrrev_b32_e32 v15, 3, v10
	v_subrev_u32_e32 v28, 28, v30
	v_lshlrev_b64 v[28:29], v28, v[14:15]
	v_sub_u32_e32 v29, 29, v30
	v_and_b32_e32 v28, 7, v28
	v_cmp_gt_u32_e64 s[6:7], 8, v10
	v_cndmask_b32_e64 v10, v15, v29, s[6:7]
	v_cndmask_b32_e64 v11, v11, v28, s[6:7]
	v_bfrev_b32_e32 v7, 60
	v_lshlrev_b32_e32 v11, 20, v11
	v_and_b32_sdwa v15, sext(v14), s13 dst_sel:DWORD dst_unused:UNUSED_PAD src0_sel:BYTE_0 src1_sel:DWORD
	v_lshl_add_u32 v10, v10, 23, v7
	v_or3_b32 v52, v15, v10, v11
	v_pk_mov_b32 v[34:35], v[52:53], v[52:53] op_sel:[0,1]
.LBB251_639:                            ;   in Loop: Header=BB251_427 Depth=1
	s_or_b64 exec, exec, s[30:31]
.LBB251_640:                            ;   in Loop: Header=BB251_427 Depth=1
	s_or_b64 exec, exec, s[28:29]
.LBB251_641:                            ;   in Loop: Header=BB251_427 Depth=1
	s_or_b64 exec, exec, s[26:27]
	v_cmp_ne_u16_sdwa s[6:7], v14, v53 src0_sel:BYTE_1 src1_sel:DWORD
	s_and_saveexec_b64 s[26:27], s[6:7]
	s_cbranch_execz .LBB251_647
; %bb.642:                              ;   in Loop: Header=BB251_427 Depth=1
	v_cmp_ne_u16_sdwa s[6:7], v14, s9 src0_sel:BYTE_1 src1_sel:DWORD
	v_pk_mov_b32 v[36:37], s[12:13], s[12:13] op_sel:[0,1]
	s_and_saveexec_b64 s[28:29], s[6:7]
	s_cbranch_execz .LBB251_646
; %bb.643:                              ;   in Loop: Header=BB251_427 Depth=1
	v_and_b32_sdwa v10, v14, s15 dst_sel:DWORD dst_unused:UNUSED_PAD src0_sel:BYTE_1 src1_sel:DWORD
	s_mov_b32 s24, s12
	v_cmp_ne_u32_e64 s[6:7], s15, v10
	v_pk_mov_b32 v[36:37], s[24:25], s[24:25] op_sel:[0,1]
	s_and_saveexec_b64 s[30:31], s[6:7]
	s_cbranch_execz .LBB251_645
; %bb.644:                              ;   in Loop: Header=BB251_427 Depth=1
	v_mov_b32_e32 v7, 7
	v_and_b32_sdwa v52, v14, v7 dst_sel:DWORD dst_unused:UNUSED_PAD src0_sel:BYTE_1 src1_sel:DWORD
	v_ffbh_u32_e32 v15, v52
	v_min_u32_e32 v15, 32, v15
	v_subrev_u32_e32 v28, 28, v15
	v_lshrrev_b32_e32 v11, 3, v10
	v_lshlrev_b64 v[28:29], v28, v[52:53]
	v_sub_u32_e32 v15, 29, v15
	v_cmp_gt_u32_e64 s[6:7], 8, v10
	v_and_b32_e32 v28, 7, v28
	v_cndmask_b32_e64 v10, v11, v15, s[6:7]
	v_bfrev_b32_e32 v7, 60
	v_cndmask_b32_e64 v11, v52, v28, s[6:7]
	v_lshlrev_b32_e32 v15, 16, v14
	v_lshl_add_u32 v10, v10, 23, v7
	v_and_or_b32 v10, v15, s13, v10
	v_lshlrev_b32_e32 v11, 20, v11
	v_or_b32_e32 v37, v10, v11
	v_mov_b32_e32 v36, v53
.LBB251_645:                            ;   in Loop: Header=BB251_427 Depth=1
	s_or_b64 exec, exec, s[30:31]
.LBB251_646:                            ;   in Loop: Header=BB251_427 Depth=1
	s_or_b64 exec, exec, s[28:29]
.LBB251_647:                            ;   in Loop: Header=BB251_427 Depth=1
	s_or_b64 exec, exec, s[26:27]
	v_lshrrev_b32_e32 v30, 16, v14
	v_pk_mov_b32 v[10:11], 0, 0
	v_cmp_ne_u16_sdwa s[6:7], v30, v53 src0_sel:BYTE_0 src1_sel:DWORD
	v_pk_mov_b32 v[28:29], v[10:11], v[10:11] op_sel:[0,1]
	s_and_saveexec_b64 s[26:27], s[6:7]
	s_cbranch_execz .LBB251_653
; %bb.648:                              ;   in Loop: Header=BB251_427 Depth=1
	v_bfrev_b32_e32 v28, 1
	v_cmp_ne_u16_sdwa s[6:7], v30, s9 src0_sel:BYTE_0 src1_sel:DWORD
	v_mov_b32_e32 v29, 0
	s_and_saveexec_b64 s[28:29], s[6:7]
	s_cbranch_execz .LBB251_652
; %bb.649:                              ;   in Loop: Header=BB251_427 Depth=1
	v_bfe_u32 v15, v14, 16, 7
	v_mov_b32_e32 v28, 0x7f800001
	v_cmp_ne_u32_e64 s[6:7], s15, v15
	v_mov_b32_e32 v29, 0
	s_and_saveexec_b64 s[30:31], s[6:7]
	s_cbranch_execz .LBB251_651
; %bb.650:                              ;   in Loop: Header=BB251_427 Depth=1
	v_and_b32_e32 v31, 7, v30
	v_ffbh_u32_e32 v28, v31
	v_min_u32_e32 v33, 32, v28
	v_subrev_u32_e32 v28, 28, v33
	v_lshlrev_b64 v[28:29], v28, v[30:31]
	v_lshrrev_b32_e32 v32, 3, v15
	v_sub_u32_e32 v29, 29, v33
	v_and_b32_e32 v28, 7, v28
	v_cmp_gt_u32_e64 s[6:7], 8, v15
	v_cndmask_b32_e64 v15, v32, v29, s[6:7]
	v_cndmask_b32_e64 v28, v31, v28, s[6:7]
	v_bfrev_b32_e32 v7, 60
	v_lshlrev_b32_e32 v28, 20, v28
	v_and_b32_sdwa v29, sext(v30), s13 dst_sel:DWORD dst_unused:UNUSED_PAD src0_sel:BYTE_0 src1_sel:DWORD
	v_lshl_add_u32 v15, v15, 23, v7
	v_or3_b32 v52, v29, v15, v28
	v_pk_mov_b32 v[28:29], v[52:53], v[52:53] op_sel:[0,1]
.LBB251_651:                            ;   in Loop: Header=BB251_427 Depth=1
	s_or_b64 exec, exec, s[30:31]
.LBB251_652:                            ;   in Loop: Header=BB251_427 Depth=1
	s_or_b64 exec, exec, s[28:29]
.LBB251_653:                            ;   in Loop: Header=BB251_427 Depth=1
	s_or_b64 exec, exec, s[26:27]
	v_cmp_lt_u32_e64 s[6:7], s34, v14
	s_and_saveexec_b64 s[26:27], s[6:7]
	s_cbranch_execz .LBB251_659
; %bb.654:                              ;   in Loop: Header=BB251_427 Depth=1
	v_cmp_ne_u32_sdwa s[6:7], v14, s9 src0_sel:BYTE_3 src1_sel:DWORD
	v_pk_mov_b32 v[10:11], s[12:13], s[12:13] op_sel:[0,1]
	s_and_saveexec_b64 s[28:29], s[6:7]
	s_cbranch_execz .LBB251_658
; %bb.655:                              ;   in Loop: Header=BB251_427 Depth=1
	v_bfe_u32 v15, v14, 24, 7
	s_mov_b32 s24, s12
	v_cmp_ne_u32_e64 s[6:7], s15, v15
	v_pk_mov_b32 v[10:11], s[24:25], s[24:25] op_sel:[0,1]
	s_and_saveexec_b64 s[30:31], s[6:7]
	s_cbranch_execz .LBB251_657
; %bb.656:                              ;   in Loop: Header=BB251_427 Depth=1
	v_mov_b32_e32 v7, 7
	v_and_b32_sdwa v52, v14, v7 dst_sel:DWORD dst_unused:UNUSED_PAD src0_sel:BYTE_3 src1_sel:DWORD
	v_ffbh_u32_e32 v10, v52
	v_min_u32_e32 v31, 32, v10
	v_subrev_u32_e32 v10, 28, v31
	v_lshlrev_b64 v[10:11], v10, v[52:53]
	v_lshrrev_b32_e32 v30, 3, v15
	v_sub_u32_e32 v11, 29, v31
	v_cmp_gt_u32_e64 s[6:7], 8, v15
	v_mov_b32_e32 v7, 24
	v_and_b32_e32 v10, 7, v10
	v_cndmask_b32_e64 v11, v30, v11, s[6:7]
	v_lshlrev_b32_sdwa v14, v7, v14 dst_sel:DWORD dst_unused:UNUSED_PAD src0_sel:DWORD src1_sel:BYTE_3
	v_bfrev_b32_e32 v7, 60
	v_cndmask_b32_e64 v10, v52, v10, s[6:7]
	v_lshl_add_u32 v11, v11, 23, v7
	v_and_or_b32 v11, v14, s13, v11
	v_lshlrev_b32_e32 v10, 20, v10
	v_or_b32_e32 v11, v11, v10
	v_mov_b32_e32 v10, v53
.LBB251_657:                            ;   in Loop: Header=BB251_427 Depth=1
	s_or_b64 exec, exec, s[30:31]
.LBB251_658:                            ;   in Loop: Header=BB251_427 Depth=1
	s_or_b64 exec, exec, s[28:29]
.LBB251_659:                            ;   in Loop: Header=BB251_427 Depth=1
	s_or_b64 exec, exec, s[26:27]
	v_or_b32_e32 v11, v11, v29
	v_or_b32_e32 v10, v10, v28
	v_pk_mul_f32 v[10:11], v[26:27], v[10:11]
	v_or_b32_e32 v15, v37, v35
	v_or_b32_e32 v14, v36, v34
	v_accvgpr_write_b32 a53, v11
	v_pk_mul_f32 v[34:35], v[26:27], v[14:15]
	v_accvgpr_write_b32 a52, v10
	s_and_saveexec_b64 s[26:27], vcc
	s_cbranch_execz .LBB251_661
; %bb.660:                              ;   in Loop: Header=BB251_427 Depth=1
	v_accvgpr_read_b32 v7, a10
	v_cmp_lt_i32_e64 s[6:7], v7, v62
	v_accvgpr_read_b32 v7, a19
	v_cndmask_b32_e64 v34, 0, v34, s[6:7]
	v_cmp_lt_i32_e64 s[6:7], v7, v62
	v_accvgpr_read_b32 v7, a13
	v_cndmask_b32_e64 v35, 0, v35, s[6:7]
	v_cmp_lt_i32_e64 s[6:7], v7, v62
	v_accvgpr_read_b32 v10, a52
	v_accvgpr_read_b32 v11, a53
	v_cndmask_b32_e64 v10, 0, v10, s[6:7]
	v_cmp_lt_i32_e64 s[6:7], v6, v62
	v_cndmask_b32_e64 v11, 0, v11, s[6:7]
	v_accvgpr_write_b32 a53, v11
	v_accvgpr_write_b32 a52, v10
.LBB251_661:                            ;   in Loop: Header=BB251_427 Depth=1
	s_or_b64 exec, exec, s[26:27]
	flat_load_dword v36, v[50:51] offset:2304
	v_pk_mov_b32 v[48:49], 0, 0
	v_pk_mov_b32 v[30:31], v[48:49], v[48:49] op_sel:[0,1]
	s_waitcnt vmcnt(0) lgkmcnt(0)
	v_cmp_ne_u16_sdwa s[6:7], v36, v53 src0_sel:BYTE_0 src1_sel:DWORD
	s_and_saveexec_b64 s[26:27], s[6:7]
	s_cbranch_execz .LBB251_667
; %bb.662:                              ;   in Loop: Header=BB251_427 Depth=1
	v_bfrev_b32_e32 v30, 1
	v_cmp_ne_u16_sdwa s[6:7], v36, s9 src0_sel:BYTE_0 src1_sel:DWORD
	v_mov_b32_e32 v31, 0
	s_and_saveexec_b64 s[28:29], s[6:7]
	s_cbranch_execz .LBB251_666
; %bb.663:                              ;   in Loop: Header=BB251_427 Depth=1
	v_and_b32_e32 v10, 0x7f, v36
	v_mov_b32_e32 v30, 0x7f800001
	v_cmp_ne_u32_e64 s[6:7], s15, v10
	v_mov_b32_e32 v31, 0
	s_and_saveexec_b64 s[30:31], s[6:7]
	s_cbranch_execz .LBB251_665
; %bb.664:                              ;   in Loop: Header=BB251_427 Depth=1
	v_and_b32_e32 v11, 7, v36
	v_ffbh_u32_e32 v14, v11
	v_min_u32_e32 v29, 32, v14
	v_subrev_u32_e32 v14, 28, v29
	v_lshlrev_b64 v[14:15], v14, v[36:37]
	v_lshrrev_b32_e32 v28, 3, v10
	v_sub_u32_e32 v15, 29, v29
	v_and_b32_e32 v14, 7, v14
	v_cmp_gt_u32_e64 s[6:7], 8, v10
	v_cndmask_b32_e64 v10, v28, v15, s[6:7]
	v_cndmask_b32_e64 v11, v11, v14, s[6:7]
	v_bfrev_b32_e32 v7, 60
	v_lshlrev_b32_e32 v11, 20, v11
	v_and_b32_sdwa v14, sext(v36), s13 dst_sel:DWORD dst_unused:UNUSED_PAD src0_sel:BYTE_0 src1_sel:DWORD
	v_lshl_add_u32 v10, v10, 23, v7
	v_or3_b32 v52, v14, v10, v11
	v_pk_mov_b32 v[30:31], v[52:53], v[52:53] op_sel:[0,1]
.LBB251_665:                            ;   in Loop: Header=BB251_427 Depth=1
	s_or_b64 exec, exec, s[30:31]
.LBB251_666:                            ;   in Loop: Header=BB251_427 Depth=1
	s_or_b64 exec, exec, s[28:29]
.LBB251_667:                            ;   in Loop: Header=BB251_427 Depth=1
	s_or_b64 exec, exec, s[26:27]
	v_cmp_ne_u16_sdwa s[6:7], v36, v53 src0_sel:BYTE_1 src1_sel:DWORD
	s_and_saveexec_b64 s[26:27], s[6:7]
	s_cbranch_execz .LBB251_673
; %bb.668:                              ;   in Loop: Header=BB251_427 Depth=1
	v_cmp_ne_u16_sdwa s[6:7], v36, s9 src0_sel:BYTE_1 src1_sel:DWORD
	v_pk_mov_b32 v[48:49], s[12:13], s[12:13] op_sel:[0,1]
	s_and_saveexec_b64 s[28:29], s[6:7]
	s_cbranch_execz .LBB251_672
; %bb.669:                              ;   in Loop: Header=BB251_427 Depth=1
	v_and_b32_sdwa v10, v36, s15 dst_sel:DWORD dst_unused:UNUSED_PAD src0_sel:BYTE_1 src1_sel:DWORD
	s_mov_b32 s24, s12
	v_cmp_ne_u32_e64 s[6:7], s15, v10
	v_pk_mov_b32 v[48:49], s[24:25], s[24:25] op_sel:[0,1]
	s_and_saveexec_b64 s[30:31], s[6:7]
	s_cbranch_execz .LBB251_671
; %bb.670:                              ;   in Loop: Header=BB251_427 Depth=1
	v_mov_b32_e32 v7, 7
	v_and_b32_sdwa v52, v36, v7 dst_sel:DWORD dst_unused:UNUSED_PAD src0_sel:BYTE_1 src1_sel:DWORD
	v_ffbh_u32_e32 v14, v52
	v_min_u32_e32 v28, 32, v14
	v_subrev_u32_e32 v14, 28, v28
	v_lshlrev_b64 v[14:15], v14, v[52:53]
	v_lshrrev_b32_e32 v11, 3, v10
	v_sub_u32_e32 v15, 29, v28
	v_cmp_gt_u32_e64 s[6:7], 8, v10
	v_and_b32_e32 v14, 7, v14
	v_cndmask_b32_e64 v10, v11, v15, s[6:7]
	v_bfrev_b32_e32 v7, 60
	v_cndmask_b32_e64 v11, v52, v14, s[6:7]
	v_lshlrev_b32_e32 v14, 16, v36
	v_lshl_add_u32 v10, v10, 23, v7
	v_and_or_b32 v10, v14, s13, v10
	v_lshlrev_b32_e32 v11, 20, v11
	v_or_b32_e32 v49, v10, v11
	v_mov_b32_e32 v48, v53
.LBB251_671:                            ;   in Loop: Header=BB251_427 Depth=1
	s_or_b64 exec, exec, s[30:31]
.LBB251_672:                            ;   in Loop: Header=BB251_427 Depth=1
	s_or_b64 exec, exec, s[28:29]
.LBB251_673:                            ;   in Loop: Header=BB251_427 Depth=1
	s_or_b64 exec, exec, s[26:27]
	v_lshrrev_b32_e32 v14, 16, v36
	v_pk_mov_b32 v[10:11], 0, 0
	v_cmp_ne_u16_sdwa s[6:7], v14, v53 src0_sel:BYTE_0 src1_sel:DWORD
	v_pk_mov_b32 v[28:29], v[10:11], v[10:11] op_sel:[0,1]
	s_and_saveexec_b64 s[26:27], s[6:7]
	s_cbranch_execz .LBB251_679
; %bb.674:                              ;   in Loop: Header=BB251_427 Depth=1
	v_bfrev_b32_e32 v28, 1
	v_cmp_ne_u16_sdwa s[6:7], v14, s9 src0_sel:BYTE_0 src1_sel:DWORD
	v_mov_b32_e32 v29, 0
	s_and_saveexec_b64 s[28:29], s[6:7]
	s_cbranch_execz .LBB251_678
; %bb.675:                              ;   in Loop: Header=BB251_427 Depth=1
	v_bfe_u32 v15, v36, 16, 7
	v_mov_b32_e32 v28, 0x7f800001
	v_cmp_ne_u32_e64 s[6:7], s15, v15
	v_mov_b32_e32 v29, 0
	s_and_saveexec_b64 s[30:31], s[6:7]
	s_cbranch_execz .LBB251_677
; %bb.676:                              ;   in Loop: Header=BB251_427 Depth=1
	v_and_b32_e32 v32, 7, v14
	v_ffbh_u32_e32 v28, v32
	v_min_u32_e32 v37, 32, v28
	v_subrev_u32_e32 v28, 28, v37
	v_lshlrev_b64 v[28:29], v28, v[14:15]
	v_lshrrev_b32_e32 v33, 3, v15
	v_sub_u32_e32 v29, 29, v37
	v_and_b32_e32 v28, 7, v28
	v_cmp_gt_u32_e64 s[6:7], 8, v15
	v_cndmask_b32_e64 v15, v33, v29, s[6:7]
	v_cndmask_b32_e64 v28, v32, v28, s[6:7]
	v_bfrev_b32_e32 v7, 60
	v_lshlrev_b32_e32 v28, 20, v28
	v_and_b32_sdwa v14, sext(v14), s13 dst_sel:DWORD dst_unused:UNUSED_PAD src0_sel:BYTE_0 src1_sel:DWORD
	v_lshl_add_u32 v15, v15, 23, v7
	v_or3_b32 v52, v14, v15, v28
	v_pk_mov_b32 v[28:29], v[52:53], v[52:53] op_sel:[0,1]
.LBB251_677:                            ;   in Loop: Header=BB251_427 Depth=1
	s_or_b64 exec, exec, s[30:31]
.LBB251_678:                            ;   in Loop: Header=BB251_427 Depth=1
	s_or_b64 exec, exec, s[28:29]
.LBB251_679:                            ;   in Loop: Header=BB251_427 Depth=1
	s_or_b64 exec, exec, s[26:27]
	v_cmp_lt_u32_e64 s[6:7], s34, v36
	s_and_saveexec_b64 s[26:27], s[6:7]
	s_cbranch_execz .LBB251_685
; %bb.680:                              ;   in Loop: Header=BB251_427 Depth=1
	v_cmp_ne_u32_sdwa s[6:7], v36, s9 src0_sel:BYTE_3 src1_sel:DWORD
	v_pk_mov_b32 v[10:11], s[12:13], s[12:13] op_sel:[0,1]
	s_and_saveexec_b64 s[28:29], s[6:7]
	s_cbranch_execz .LBB251_684
; %bb.681:                              ;   in Loop: Header=BB251_427 Depth=1
	v_bfe_u32 v14, v36, 24, 7
	s_mov_b32 s24, s12
	v_cmp_ne_u32_e64 s[6:7], s15, v14
	v_pk_mov_b32 v[10:11], s[24:25], s[24:25] op_sel:[0,1]
	s_and_saveexec_b64 s[30:31], s[6:7]
	s_cbranch_execz .LBB251_683
; %bb.682:                              ;   in Loop: Header=BB251_427 Depth=1
	v_mov_b32_e32 v7, 7
	v_and_b32_sdwa v52, v36, v7 dst_sel:DWORD dst_unused:UNUSED_PAD src0_sel:BYTE_3 src1_sel:DWORD
	v_ffbh_u32_e32 v10, v52
	v_min_u32_e32 v32, 32, v10
	v_subrev_u32_e32 v10, 28, v32
	v_lshlrev_b64 v[10:11], v10, v[52:53]
	v_lshrrev_b32_e32 v15, 3, v14
	v_sub_u32_e32 v11, 29, v32
	v_cmp_gt_u32_e64 s[6:7], 8, v14
	v_mov_b32_e32 v7, 24
	v_and_b32_e32 v10, 7, v10
	v_cndmask_b32_e64 v11, v15, v11, s[6:7]
	v_lshlrev_b32_sdwa v14, v7, v36 dst_sel:DWORD dst_unused:UNUSED_PAD src0_sel:DWORD src1_sel:BYTE_3
	v_bfrev_b32_e32 v7, 60
	v_cndmask_b32_e64 v10, v52, v10, s[6:7]
	v_lshl_add_u32 v11, v11, 23, v7
	v_and_or_b32 v11, v14, s13, v11
	v_lshlrev_b32_e32 v10, 20, v10
	v_or_b32_e32 v11, v11, v10
	v_mov_b32_e32 v10, v53
.LBB251_683:                            ;   in Loop: Header=BB251_427 Depth=1
	s_or_b64 exec, exec, s[30:31]
.LBB251_684:                            ;   in Loop: Header=BB251_427 Depth=1
	s_or_b64 exec, exec, s[28:29]
.LBB251_685:                            ;   in Loop: Header=BB251_427 Depth=1
	s_or_b64 exec, exec, s[26:27]
	v_or_b32_e32 v15, v49, v31
	v_or_b32_e32 v14, v48, v30
	;; [unrolled: 1-line block ×4, first 2 shown]
	v_pk_mul_f32 v[36:37], v[26:27], v[14:15]
	v_pk_mul_f32 v[10:11], v[26:27], v[10:11]
	s_and_saveexec_b64 s[26:27], vcc
; %bb.686:                              ;   in Loop: Header=BB251_427 Depth=1
	v_accvgpr_read_b32 v7, a10
	v_cmp_lt_i32_e64 s[6:7], v7, v62
	v_accvgpr_read_b32 v7, a19
	v_cndmask_b32_e64 v36, 0, v36, s[6:7]
	v_cmp_lt_i32_e64 s[6:7], v7, v62
	v_accvgpr_read_b32 v7, a13
	v_cndmask_b32_e64 v37, 0, v37, s[6:7]
	v_cmp_lt_i32_e64 s[6:7], v7, v62
	v_cndmask_b32_e64 v10, 0, v10, s[6:7]
	v_cmp_lt_i32_e64 s[6:7], v6, v62
	v_cndmask_b32_e64 v11, 0, v11, s[6:7]
; %bb.687:                              ;   in Loop: Header=BB251_427 Depth=1
	s_or_b64 exec, exec, s[26:27]
	flat_load_dword v48, v[50:51] offset:2560
	v_pk_mov_b32 v[54:55], 0, 0
	v_pk_mov_b32 v[32:33], v[54:55], v[54:55] op_sel:[0,1]
	s_waitcnt vmcnt(0) lgkmcnt(0)
	v_cmp_ne_u16_sdwa s[6:7], v48, v53 src0_sel:BYTE_0 src1_sel:DWORD
	s_and_saveexec_b64 s[26:27], s[6:7]
	s_cbranch_execz .LBB251_693
; %bb.688:                              ;   in Loop: Header=BB251_427 Depth=1
	v_bfrev_b32_e32 v32, 1
	v_cmp_ne_u16_sdwa s[6:7], v48, s9 src0_sel:BYTE_0 src1_sel:DWORD
	v_mov_b32_e32 v33, 0
	s_and_saveexec_b64 s[28:29], s[6:7]
	s_cbranch_execz .LBB251_692
; %bb.689:                              ;   in Loop: Header=BB251_427 Depth=1
	v_and_b32_e32 v14, 0x7f, v48
	v_mov_b32_e32 v32, 0x7f800001
	v_cmp_ne_u32_e64 s[6:7], s15, v14
	v_mov_b32_e32 v33, 0
	s_and_saveexec_b64 s[30:31], s[6:7]
	s_cbranch_execz .LBB251_691
; %bb.690:                              ;   in Loop: Header=BB251_427 Depth=1
	v_and_b32_e32 v15, 7, v48
	v_ffbh_u32_e32 v28, v15
	v_min_u32_e32 v31, 32, v28
	v_subrev_u32_e32 v28, 28, v31
	v_lshlrev_b64 v[28:29], v28, v[48:49]
	v_lshrrev_b32_e32 v30, 3, v14
	v_sub_u32_e32 v29, 29, v31
	v_and_b32_e32 v28, 7, v28
	v_cmp_gt_u32_e64 s[6:7], 8, v14
	v_cndmask_b32_e64 v14, v30, v29, s[6:7]
	v_cndmask_b32_e64 v15, v15, v28, s[6:7]
	v_bfrev_b32_e32 v7, 60
	v_lshlrev_b32_e32 v15, 20, v15
	v_and_b32_sdwa v28, sext(v48), s13 dst_sel:DWORD dst_unused:UNUSED_PAD src0_sel:BYTE_0 src1_sel:DWORD
	v_lshl_add_u32 v14, v14, 23, v7
	v_or3_b32 v52, v28, v14, v15
	v_pk_mov_b32 v[32:33], v[52:53], v[52:53] op_sel:[0,1]
.LBB251_691:                            ;   in Loop: Header=BB251_427 Depth=1
	s_or_b64 exec, exec, s[30:31]
.LBB251_692:                            ;   in Loop: Header=BB251_427 Depth=1
	s_or_b64 exec, exec, s[28:29]
.LBB251_693:                            ;   in Loop: Header=BB251_427 Depth=1
	s_or_b64 exec, exec, s[26:27]
	v_cmp_ne_u16_sdwa s[6:7], v48, v53 src0_sel:BYTE_1 src1_sel:DWORD
	s_and_saveexec_b64 s[26:27], s[6:7]
	s_cbranch_execz .LBB251_699
; %bb.694:                              ;   in Loop: Header=BB251_427 Depth=1
	v_cmp_ne_u16_sdwa s[6:7], v48, s9 src0_sel:BYTE_1 src1_sel:DWORD
	v_pk_mov_b32 v[54:55], s[12:13], s[12:13] op_sel:[0,1]
	s_and_saveexec_b64 s[28:29], s[6:7]
	s_cbranch_execz .LBB251_698
; %bb.695:                              ;   in Loop: Header=BB251_427 Depth=1
	v_and_b32_sdwa v14, v48, s15 dst_sel:DWORD dst_unused:UNUSED_PAD src0_sel:BYTE_1 src1_sel:DWORD
	s_mov_b32 s24, s12
	v_cmp_ne_u32_e64 s[6:7], s15, v14
	v_pk_mov_b32 v[54:55], s[24:25], s[24:25] op_sel:[0,1]
	s_and_saveexec_b64 s[30:31], s[6:7]
	s_cbranch_execz .LBB251_697
; %bb.696:                              ;   in Loop: Header=BB251_427 Depth=1
	v_mov_b32_e32 v7, 7
	v_and_b32_sdwa v52, v48, v7 dst_sel:DWORD dst_unused:UNUSED_PAD src0_sel:BYTE_1 src1_sel:DWORD
	v_ffbh_u32_e32 v28, v52
	v_min_u32_e32 v30, 32, v28
	v_subrev_u32_e32 v28, 28, v30
	v_lshlrev_b64 v[28:29], v28, v[52:53]
	v_lshrrev_b32_e32 v15, 3, v14
	v_sub_u32_e32 v29, 29, v30
	v_cmp_gt_u32_e64 s[6:7], 8, v14
	v_and_b32_e32 v28, 7, v28
	v_cndmask_b32_e64 v14, v15, v29, s[6:7]
	v_bfrev_b32_e32 v7, 60
	v_cndmask_b32_e64 v15, v52, v28, s[6:7]
	v_lshlrev_b32_e32 v28, 16, v48
	v_lshl_add_u32 v14, v14, 23, v7
	v_and_or_b32 v14, v28, s13, v14
	v_lshlrev_b32_e32 v15, 20, v15
	v_or_b32_e32 v55, v14, v15
	v_mov_b32_e32 v54, v53
.LBB251_697:                            ;   in Loop: Header=BB251_427 Depth=1
	s_or_b64 exec, exec, s[30:31]
.LBB251_698:                            ;   in Loop: Header=BB251_427 Depth=1
	s_or_b64 exec, exec, s[28:29]
.LBB251_699:                            ;   in Loop: Header=BB251_427 Depth=1
	s_or_b64 exec, exec, s[26:27]
	v_lshrrev_b32_e32 v14, 16, v48
	v_pk_mov_b32 v[30:31], 0, 0
	v_cmp_ne_u16_sdwa s[6:7], v14, v53 src0_sel:BYTE_0 src1_sel:DWORD
	v_pk_mov_b32 v[28:29], v[30:31], v[30:31] op_sel:[0,1]
	s_and_saveexec_b64 s[26:27], s[6:7]
	s_cbranch_execz .LBB251_705
; %bb.700:                              ;   in Loop: Header=BB251_427 Depth=1
	v_bfrev_b32_e32 v28, 1
	v_cmp_ne_u16_sdwa s[6:7], v14, s9 src0_sel:BYTE_0 src1_sel:DWORD
	v_mov_b32_e32 v29, 0
	s_and_saveexec_b64 s[28:29], s[6:7]
	s_cbranch_execz .LBB251_704
; %bb.701:                              ;   in Loop: Header=BB251_427 Depth=1
	v_bfe_u32 v15, v48, 16, 7
	v_mov_b32_e32 v28, 0x7f800001
	v_cmp_ne_u32_e64 s[6:7], s15, v15
	v_mov_b32_e32 v29, 0
	s_and_saveexec_b64 s[30:31], s[6:7]
	s_cbranch_execz .LBB251_703
; %bb.702:                              ;   in Loop: Header=BB251_427 Depth=1
	v_and_b32_e32 v38, 7, v14
	v_ffbh_u32_e32 v28, v38
	v_min_u32_e32 v49, 32, v28
	v_subrev_u32_e32 v28, 28, v49
	v_lshlrev_b64 v[28:29], v28, v[14:15]
	v_lshrrev_b32_e32 v39, 3, v15
	v_sub_u32_e32 v29, 29, v49
	v_and_b32_e32 v28, 7, v28
	v_cmp_gt_u32_e64 s[6:7], 8, v15
	v_cndmask_b32_e64 v15, v39, v29, s[6:7]
	v_cndmask_b32_e64 v28, v38, v28, s[6:7]
	v_bfrev_b32_e32 v7, 60
	v_lshlrev_b32_e32 v28, 20, v28
	v_and_b32_sdwa v14, sext(v14), s13 dst_sel:DWORD dst_unused:UNUSED_PAD src0_sel:BYTE_0 src1_sel:DWORD
	v_lshl_add_u32 v15, v15, 23, v7
	v_or3_b32 v52, v14, v15, v28
	v_pk_mov_b32 v[28:29], v[52:53], v[52:53] op_sel:[0,1]
.LBB251_703:                            ;   in Loop: Header=BB251_427 Depth=1
	s_or_b64 exec, exec, s[30:31]
.LBB251_704:                            ;   in Loop: Header=BB251_427 Depth=1
	s_or_b64 exec, exec, s[28:29]
.LBB251_705:                            ;   in Loop: Header=BB251_427 Depth=1
	s_or_b64 exec, exec, s[26:27]
	v_cmp_lt_u32_e64 s[6:7], s34, v48
	s_and_saveexec_b64 s[26:27], s[6:7]
	s_cbranch_execz .LBB251_711
; %bb.706:                              ;   in Loop: Header=BB251_427 Depth=1
	v_cmp_ne_u32_sdwa s[6:7], v48, s9 src0_sel:BYTE_3 src1_sel:DWORD
	v_pk_mov_b32 v[30:31], s[12:13], s[12:13] op_sel:[0,1]
	s_and_saveexec_b64 s[28:29], s[6:7]
	s_cbranch_execz .LBB251_710
; %bb.707:                              ;   in Loop: Header=BB251_427 Depth=1
	v_bfe_u32 v14, v48, 24, 7
	s_mov_b32 s24, s12
	v_cmp_ne_u32_e64 s[6:7], s15, v14
	v_pk_mov_b32 v[30:31], s[24:25], s[24:25] op_sel:[0,1]
	s_and_saveexec_b64 s[30:31], s[6:7]
	s_cbranch_execz .LBB251_709
; %bb.708:                              ;   in Loop: Header=BB251_427 Depth=1
	v_mov_b32_e32 v7, 7
	v_and_b32_sdwa v52, v48, v7 dst_sel:DWORD dst_unused:UNUSED_PAD src0_sel:BYTE_3 src1_sel:DWORD
	v_ffbh_u32_e32 v30, v52
	v_min_u32_e32 v38, 32, v30
	v_subrev_u32_e32 v30, 28, v38
	v_lshlrev_b64 v[30:31], v30, v[52:53]
	v_lshrrev_b32_e32 v15, 3, v14
	v_sub_u32_e32 v31, 29, v38
	v_and_b32_e32 v30, 7, v30
	v_cmp_gt_u32_e64 s[6:7], 8, v14
	v_mov_b32_e32 v7, 24
	v_cndmask_b32_e64 v14, v15, v31, s[6:7]
	v_cndmask_b32_e64 v15, v52, v30, s[6:7]
	v_lshlrev_b32_sdwa v30, v7, v48 dst_sel:DWORD dst_unused:UNUSED_PAD src0_sel:DWORD src1_sel:BYTE_3
	v_bfrev_b32_e32 v7, 60
	v_lshl_add_u32 v14, v14, 23, v7
	v_and_or_b32 v14, v30, s13, v14
	v_lshlrev_b32_e32 v15, 20, v15
	v_or_b32_e32 v31, v14, v15
	v_mov_b32_e32 v30, v53
.LBB251_709:                            ;   in Loop: Header=BB251_427 Depth=1
	s_or_b64 exec, exec, s[30:31]
.LBB251_710:                            ;   in Loop: Header=BB251_427 Depth=1
	s_or_b64 exec, exec, s[28:29]
.LBB251_711:                            ;   in Loop: Header=BB251_427 Depth=1
	s_or_b64 exec, exec, s[26:27]
	v_or_b32_e32 v15, v55, v33
	v_or_b32_e32 v14, v54, v32
	v_pk_mul_f32 v[48:49], v[26:27], v[14:15]
	v_or_b32_e32 v15, v31, v29
	v_or_b32_e32 v14, v30, v28
	v_pk_mul_f32 v[14:15], v[26:27], v[14:15]
	s_and_saveexec_b64 s[26:27], vcc
; %bb.712:                              ;   in Loop: Header=BB251_427 Depth=1
	v_accvgpr_read_b32 v7, a10
	v_cmp_lt_i32_e64 s[6:7], v7, v62
	v_accvgpr_read_b32 v7, a19
	v_cndmask_b32_e64 v48, 0, v48, s[6:7]
	v_cmp_lt_i32_e64 s[6:7], v7, v62
	v_accvgpr_read_b32 v7, a13
	v_cndmask_b32_e64 v49, 0, v49, s[6:7]
	v_cmp_lt_i32_e64 s[6:7], v7, v62
	v_cndmask_b32_e64 v14, 0, v14, s[6:7]
	v_cmp_lt_i32_e64 s[6:7], v6, v62
	v_cndmask_b32_e64 v15, 0, v15, s[6:7]
; %bb.713:                              ;   in Loop: Header=BB251_427 Depth=1
	s_or_b64 exec, exec, s[26:27]
	flat_load_dword v54, v[50:51] offset:2816
	v_pk_mov_b32 v[42:43], 0, 0
	v_pk_mov_b32 v[40:41], v[42:43], v[42:43] op_sel:[0,1]
	s_waitcnt vmcnt(0) lgkmcnt(0)
	v_cmp_ne_u16_sdwa s[6:7], v54, v53 src0_sel:BYTE_0 src1_sel:DWORD
	s_and_saveexec_b64 s[26:27], s[6:7]
	s_cbranch_execz .LBB251_719
; %bb.714:                              ;   in Loop: Header=BB251_427 Depth=1
	v_bfrev_b32_e32 v40, 1
	v_cmp_ne_u16_sdwa s[6:7], v54, s9 src0_sel:BYTE_0 src1_sel:DWORD
	v_mov_b32_e32 v41, 0
	s_and_saveexec_b64 s[28:29], s[6:7]
	s_cbranch_execz .LBB251_718
; %bb.715:                              ;   in Loop: Header=BB251_427 Depth=1
	v_and_b32_e32 v28, 0x7f, v54
	v_mov_b32_e32 v40, 0x7f800001
	v_cmp_ne_u32_e64 s[6:7], s15, v28
	v_mov_b32_e32 v41, 0
	s_and_saveexec_b64 s[30:31], s[6:7]
	s_cbranch_execz .LBB251_717
; %bb.716:                              ;   in Loop: Header=BB251_427 Depth=1
	v_and_b32_e32 v29, 7, v54
	v_ffbh_u32_e32 v30, v29
	v_min_u32_e32 v33, 32, v30
	v_subrev_u32_e32 v30, 28, v33
	v_lshlrev_b64 v[30:31], v30, v[54:55]
	v_lshrrev_b32_e32 v32, 3, v28
	v_sub_u32_e32 v31, 29, v33
	v_and_b32_e32 v30, 7, v30
	v_cmp_gt_u32_e64 s[6:7], 8, v28
	v_cndmask_b32_e64 v28, v32, v31, s[6:7]
	v_cndmask_b32_e64 v29, v29, v30, s[6:7]
	v_bfrev_b32_e32 v7, 60
	v_lshlrev_b32_e32 v29, 20, v29
	v_and_b32_sdwa v30, sext(v54), s13 dst_sel:DWORD dst_unused:UNUSED_PAD src0_sel:BYTE_0 src1_sel:DWORD
	v_lshl_add_u32 v28, v28, 23, v7
	v_or3_b32 v52, v30, v28, v29
	v_pk_mov_b32 v[40:41], v[52:53], v[52:53] op_sel:[0,1]
.LBB251_717:                            ;   in Loop: Header=BB251_427 Depth=1
	s_or_b64 exec, exec, s[30:31]
.LBB251_718:                            ;   in Loop: Header=BB251_427 Depth=1
	s_or_b64 exec, exec, s[28:29]
.LBB251_719:                            ;   in Loop: Header=BB251_427 Depth=1
	s_or_b64 exec, exec, s[26:27]
	v_cmp_ne_u16_sdwa s[6:7], v54, v53 src0_sel:BYTE_1 src1_sel:DWORD
	s_and_saveexec_b64 s[26:27], s[6:7]
	s_cbranch_execz .LBB251_725
; %bb.720:                              ;   in Loop: Header=BB251_427 Depth=1
	v_cmp_ne_u16_sdwa s[6:7], v54, s9 src0_sel:BYTE_1 src1_sel:DWORD
	v_pk_mov_b32 v[42:43], s[12:13], s[12:13] op_sel:[0,1]
	s_and_saveexec_b64 s[28:29], s[6:7]
	s_cbranch_execz .LBB251_724
; %bb.721:                              ;   in Loop: Header=BB251_427 Depth=1
	v_and_b32_sdwa v28, v54, s15 dst_sel:DWORD dst_unused:UNUSED_PAD src0_sel:BYTE_1 src1_sel:DWORD
	s_mov_b32 s24, s12
	v_cmp_ne_u32_e64 s[6:7], s15, v28
	v_pk_mov_b32 v[42:43], s[24:25], s[24:25] op_sel:[0,1]
	s_and_saveexec_b64 s[30:31], s[6:7]
	s_cbranch_execz .LBB251_723
; %bb.722:                              ;   in Loop: Header=BB251_427 Depth=1
	v_mov_b32_e32 v7, 7
	v_and_b32_sdwa v52, v54, v7 dst_sel:DWORD dst_unused:UNUSED_PAD src0_sel:BYTE_1 src1_sel:DWORD
	v_ffbh_u32_e32 v30, v52
	v_min_u32_e32 v32, 32, v30
	v_subrev_u32_e32 v30, 28, v32
	v_lshlrev_b64 v[30:31], v30, v[52:53]
	v_lshrrev_b32_e32 v29, 3, v28
	v_sub_u32_e32 v31, 29, v32
	v_cmp_gt_u32_e64 s[6:7], 8, v28
	v_and_b32_e32 v30, 7, v30
	v_cndmask_b32_e64 v28, v29, v31, s[6:7]
	v_bfrev_b32_e32 v7, 60
	v_cndmask_b32_e64 v29, v52, v30, s[6:7]
	v_lshlrev_b32_e32 v30, 16, v54
	v_lshl_add_u32 v28, v28, 23, v7
	v_and_or_b32 v28, v30, s13, v28
	v_lshlrev_b32_e32 v29, 20, v29
	v_or_b32_e32 v43, v28, v29
	v_mov_b32_e32 v42, v53
.LBB251_723:                            ;   in Loop: Header=BB251_427 Depth=1
	s_or_b64 exec, exec, s[30:31]
.LBB251_724:                            ;   in Loop: Header=BB251_427 Depth=1
	s_or_b64 exec, exec, s[28:29]
.LBB251_725:                            ;   in Loop: Header=BB251_427 Depth=1
	s_or_b64 exec, exec, s[26:27]
	v_lshrrev_b32_e32 v32, 16, v54
	v_pk_mov_b32 v[30:31], 0, 0
	v_cmp_ne_u16_sdwa s[6:7], v32, v53 src0_sel:BYTE_0 src1_sel:DWORD
	v_pk_mov_b32 v[28:29], v[30:31], v[30:31] op_sel:[0,1]
	s_and_saveexec_b64 s[26:27], s[6:7]
	s_cbranch_execz .LBB251_731
; %bb.726:                              ;   in Loop: Header=BB251_427 Depth=1
	v_bfrev_b32_e32 v28, 1
	v_cmp_ne_u16_sdwa s[6:7], v32, s9 src0_sel:BYTE_0 src1_sel:DWORD
	v_mov_b32_e32 v29, 0
	s_and_saveexec_b64 s[28:29], s[6:7]
	s_cbranch_execz .LBB251_730
; %bb.727:                              ;   in Loop: Header=BB251_427 Depth=1
	v_bfe_u32 v33, v54, 16, 7
	v_mov_b32_e32 v28, 0x7f800001
	v_cmp_ne_u32_e64 s[6:7], s15, v33
	v_mov_b32_e32 v29, 0
	s_and_saveexec_b64 s[30:31], s[6:7]
	s_cbranch_execz .LBB251_729
; %bb.728:                              ;   in Loop: Header=BB251_427 Depth=1
	v_and_b32_e32 v38, 7, v32
	v_ffbh_u32_e32 v28, v38
	v_min_u32_e32 v52, 32, v28
	v_subrev_u32_e32 v28, 28, v52
	v_lshlrev_b64 v[28:29], v28, v[32:33]
	v_lshrrev_b32_e32 v39, 3, v33
	v_sub_u32_e32 v29, 29, v52
	v_and_b32_e32 v28, 7, v28
	v_cmp_gt_u32_e64 s[6:7], 8, v33
	v_cndmask_b32_e64 v29, v39, v29, s[6:7]
	v_cndmask_b32_e64 v28, v38, v28, s[6:7]
	v_bfrev_b32_e32 v7, 60
	v_lshlrev_b32_e32 v28, 20, v28
	v_and_b32_sdwa v32, sext(v32), s13 dst_sel:DWORD dst_unused:UNUSED_PAD src0_sel:BYTE_0 src1_sel:DWORD
	v_lshl_add_u32 v29, v29, 23, v7
	v_or3_b32 v52, v32, v29, v28
	v_pk_mov_b32 v[28:29], v[52:53], v[52:53] op_sel:[0,1]
.LBB251_729:                            ;   in Loop: Header=BB251_427 Depth=1
	s_or_b64 exec, exec, s[30:31]
.LBB251_730:                            ;   in Loop: Header=BB251_427 Depth=1
	s_or_b64 exec, exec, s[28:29]
.LBB251_731:                            ;   in Loop: Header=BB251_427 Depth=1
	s_or_b64 exec, exec, s[26:27]
	v_cmp_lt_u32_e64 s[6:7], s34, v54
	s_and_saveexec_b64 s[26:27], s[6:7]
	s_cbranch_execz .LBB251_737
; %bb.732:                              ;   in Loop: Header=BB251_427 Depth=1
	v_cmp_ne_u32_sdwa s[6:7], v54, s9 src0_sel:BYTE_3 src1_sel:DWORD
	v_pk_mov_b32 v[30:31], s[12:13], s[12:13] op_sel:[0,1]
	s_and_saveexec_b64 s[28:29], s[6:7]
	s_cbranch_execz .LBB251_736
; %bb.733:                              ;   in Loop: Header=BB251_427 Depth=1
	v_bfe_u32 v32, v54, 24, 7
	s_mov_b32 s24, s12
	v_cmp_ne_u32_e64 s[6:7], s15, v32
	v_pk_mov_b32 v[30:31], s[24:25], s[24:25] op_sel:[0,1]
	s_and_saveexec_b64 s[30:31], s[6:7]
	s_cbranch_execz .LBB251_735
; %bb.734:                              ;   in Loop: Header=BB251_427 Depth=1
	v_mov_b32_e32 v7, 7
	v_and_b32_sdwa v52, v54, v7 dst_sel:DWORD dst_unused:UNUSED_PAD src0_sel:BYTE_3 src1_sel:DWORD
	v_ffbh_u32_e32 v30, v52
	v_min_u32_e32 v38, 32, v30
	v_subrev_u32_e32 v30, 28, v38
	v_lshlrev_b64 v[30:31], v30, v[52:53]
	v_lshrrev_b32_e32 v33, 3, v32
	v_sub_u32_e32 v31, 29, v38
	v_cmp_gt_u32_e64 s[6:7], 8, v32
	v_mov_b32_e32 v7, 24
	v_and_b32_e32 v30, 7, v30
	v_cndmask_b32_e64 v31, v33, v31, s[6:7]
	v_lshlrev_b32_sdwa v32, v7, v54 dst_sel:DWORD dst_unused:UNUSED_PAD src0_sel:DWORD src1_sel:BYTE_3
	v_bfrev_b32_e32 v7, 60
	v_cndmask_b32_e64 v30, v52, v30, s[6:7]
	v_lshl_add_u32 v31, v31, 23, v7
	v_and_or_b32 v31, v32, s13, v31
	v_lshlrev_b32_e32 v30, 20, v30
	v_or_b32_e32 v31, v31, v30
	v_mov_b32_e32 v30, v53
.LBB251_735:                            ;   in Loop: Header=BB251_427 Depth=1
	s_or_b64 exec, exec, s[30:31]
.LBB251_736:                            ;   in Loop: Header=BB251_427 Depth=1
	s_or_b64 exec, exec, s[28:29]
.LBB251_737:                            ;   in Loop: Header=BB251_427 Depth=1
	s_or_b64 exec, exec, s[26:27]
	v_or_b32_e32 v33, v43, v41
	v_or_b32_e32 v32, v42, v40
	;; [unrolled: 1-line block ×4, first 2 shown]
	v_pk_mul_f32 v[54:55], v[26:27], v[32:33]
	v_pk_mul_f32 v[40:41], v[26:27], v[28:29]
	s_and_saveexec_b64 s[26:27], vcc
; %bb.738:                              ;   in Loop: Header=BB251_427 Depth=1
	v_accvgpr_read_b32 v7, a10
	v_cmp_lt_i32_e64 s[6:7], v7, v62
	v_accvgpr_read_b32 v7, a19
	v_cndmask_b32_e64 v54, 0, v54, s[6:7]
	v_cmp_lt_i32_e64 s[6:7], v7, v62
	v_accvgpr_read_b32 v7, a13
	v_cndmask_b32_e64 v55, 0, v55, s[6:7]
	v_cmp_lt_i32_e64 s[6:7], v7, v62
	v_cndmask_b32_e64 v40, 0, v40, s[6:7]
	v_cmp_lt_i32_e64 s[6:7], v6, v62
	v_cndmask_b32_e64 v41, 0, v41, s[6:7]
; %bb.739:                              ;   in Loop: Header=BB251_427 Depth=1
	s_or_b64 exec, exec, s[26:27]
	flat_load_dword v42, v[50:51] offset:3072
	v_pk_mov_b32 v[46:47], 0, 0
	v_pk_mov_b32 v[44:45], v[46:47], v[46:47] op_sel:[0,1]
	s_waitcnt vmcnt(0) lgkmcnt(0)
	v_cmp_ne_u16_sdwa s[6:7], v42, v53 src0_sel:BYTE_0 src1_sel:DWORD
	s_and_saveexec_b64 s[26:27], s[6:7]
	s_cbranch_execz .LBB251_745
; %bb.740:                              ;   in Loop: Header=BB251_427 Depth=1
	v_bfrev_b32_e32 v44, 1
	v_cmp_ne_u16_sdwa s[6:7], v42, s9 src0_sel:BYTE_0 src1_sel:DWORD
	v_mov_b32_e32 v45, 0
	s_and_saveexec_b64 s[28:29], s[6:7]
	s_cbranch_execz .LBB251_744
; %bb.741:                              ;   in Loop: Header=BB251_427 Depth=1
	v_and_b32_e32 v28, 0x7f, v42
	v_mov_b32_e32 v44, 0x7f800001
	v_cmp_ne_u32_e64 s[6:7], s15, v28
	v_mov_b32_e32 v45, 0
	s_and_saveexec_b64 s[30:31], s[6:7]
	s_cbranch_execz .LBB251_743
; %bb.742:                              ;   in Loop: Header=BB251_427 Depth=1
	v_and_b32_e32 v29, 7, v42
	v_ffbh_u32_e32 v30, v29
	v_min_u32_e32 v33, 32, v30
	v_subrev_u32_e32 v30, 28, v33
	v_lshlrev_b64 v[30:31], v30, v[42:43]
	v_lshrrev_b32_e32 v32, 3, v28
	v_sub_u32_e32 v31, 29, v33
	v_and_b32_e32 v30, 7, v30
	v_cmp_gt_u32_e64 s[6:7], 8, v28
	v_cndmask_b32_e64 v28, v32, v31, s[6:7]
	v_cndmask_b32_e64 v29, v29, v30, s[6:7]
	v_bfrev_b32_e32 v7, 60
	v_lshlrev_b32_e32 v29, 20, v29
	v_and_b32_sdwa v30, sext(v42), s13 dst_sel:DWORD dst_unused:UNUSED_PAD src0_sel:BYTE_0 src1_sel:DWORD
	v_lshl_add_u32 v28, v28, 23, v7
	v_or3_b32 v52, v30, v28, v29
	v_pk_mov_b32 v[44:45], v[52:53], v[52:53] op_sel:[0,1]
.LBB251_743:                            ;   in Loop: Header=BB251_427 Depth=1
	s_or_b64 exec, exec, s[30:31]
.LBB251_744:                            ;   in Loop: Header=BB251_427 Depth=1
	s_or_b64 exec, exec, s[28:29]
.LBB251_745:                            ;   in Loop: Header=BB251_427 Depth=1
	s_or_b64 exec, exec, s[26:27]
	v_cmp_ne_u16_sdwa s[6:7], v42, v53 src0_sel:BYTE_1 src1_sel:DWORD
	s_and_saveexec_b64 s[26:27], s[6:7]
	s_cbranch_execz .LBB251_751
; %bb.746:                              ;   in Loop: Header=BB251_427 Depth=1
	v_cmp_ne_u16_sdwa s[6:7], v42, s9 src0_sel:BYTE_1 src1_sel:DWORD
	v_pk_mov_b32 v[46:47], s[12:13], s[12:13] op_sel:[0,1]
	s_and_saveexec_b64 s[28:29], s[6:7]
	s_cbranch_execz .LBB251_750
; %bb.747:                              ;   in Loop: Header=BB251_427 Depth=1
	v_and_b32_sdwa v28, v42, s15 dst_sel:DWORD dst_unused:UNUSED_PAD src0_sel:BYTE_1 src1_sel:DWORD
	s_mov_b32 s24, s12
	v_cmp_ne_u32_e64 s[6:7], s15, v28
	v_pk_mov_b32 v[46:47], s[24:25], s[24:25] op_sel:[0,1]
	s_and_saveexec_b64 s[30:31], s[6:7]
	s_cbranch_execz .LBB251_749
; %bb.748:                              ;   in Loop: Header=BB251_427 Depth=1
	v_mov_b32_e32 v7, 7
	v_and_b32_sdwa v52, v42, v7 dst_sel:DWORD dst_unused:UNUSED_PAD src0_sel:BYTE_1 src1_sel:DWORD
	v_ffbh_u32_e32 v30, v52
	v_min_u32_e32 v32, 32, v30
	v_subrev_u32_e32 v30, 28, v32
	v_lshlrev_b64 v[30:31], v30, v[52:53]
	v_lshrrev_b32_e32 v29, 3, v28
	v_sub_u32_e32 v31, 29, v32
	v_cmp_gt_u32_e64 s[6:7], 8, v28
	v_and_b32_e32 v30, 7, v30
	v_cndmask_b32_e64 v28, v29, v31, s[6:7]
	v_bfrev_b32_e32 v7, 60
	v_cndmask_b32_e64 v29, v52, v30, s[6:7]
	v_lshlrev_b32_e32 v30, 16, v42
	v_lshl_add_u32 v28, v28, 23, v7
	v_and_or_b32 v28, v30, s13, v28
	v_lshlrev_b32_e32 v29, 20, v29
	v_or_b32_e32 v47, v28, v29
	v_mov_b32_e32 v46, v53
.LBB251_749:                            ;   in Loop: Header=BB251_427 Depth=1
	s_or_b64 exec, exec, s[30:31]
.LBB251_750:                            ;   in Loop: Header=BB251_427 Depth=1
	s_or_b64 exec, exec, s[28:29]
.LBB251_751:                            ;   in Loop: Header=BB251_427 Depth=1
	s_or_b64 exec, exec, s[26:27]
	v_lshrrev_b32_e32 v32, 16, v42
	v_pk_mov_b32 v[30:31], 0, 0
	v_cmp_ne_u16_sdwa s[6:7], v32, v53 src0_sel:BYTE_0 src1_sel:DWORD
	v_pk_mov_b32 v[28:29], v[30:31], v[30:31] op_sel:[0,1]
	s_and_saveexec_b64 s[26:27], s[6:7]
	s_cbranch_execz .LBB251_757
; %bb.752:                              ;   in Loop: Header=BB251_427 Depth=1
	v_bfrev_b32_e32 v28, 1
	v_cmp_ne_u16_sdwa s[6:7], v32, s9 src0_sel:BYTE_0 src1_sel:DWORD
	v_mov_b32_e32 v29, 0
	s_and_saveexec_b64 s[28:29], s[6:7]
	s_cbranch_execz .LBB251_756
; %bb.753:                              ;   in Loop: Header=BB251_427 Depth=1
	v_bfe_u32 v33, v42, 16, 7
	v_mov_b32_e32 v28, 0x7f800001
	v_cmp_ne_u32_e64 s[6:7], s15, v33
	v_mov_b32_e32 v29, 0
	s_and_saveexec_b64 s[30:31], s[6:7]
	s_cbranch_execz .LBB251_755
; %bb.754:                              ;   in Loop: Header=BB251_427 Depth=1
	v_and_b32_e32 v38, 7, v32
	v_ffbh_u32_e32 v28, v38
	v_min_u32_e32 v52, 32, v28
	v_subrev_u32_e32 v28, 28, v52
	v_lshlrev_b64 v[28:29], v28, v[32:33]
	v_lshrrev_b32_e32 v39, 3, v33
	v_sub_u32_e32 v29, 29, v52
	v_and_b32_e32 v28, 7, v28
	v_cmp_gt_u32_e64 s[6:7], 8, v33
	v_cndmask_b32_e64 v29, v39, v29, s[6:7]
	v_cndmask_b32_e64 v28, v38, v28, s[6:7]
	v_bfrev_b32_e32 v7, 60
	v_lshlrev_b32_e32 v28, 20, v28
	v_and_b32_sdwa v32, sext(v32), s13 dst_sel:DWORD dst_unused:UNUSED_PAD src0_sel:BYTE_0 src1_sel:DWORD
	v_lshl_add_u32 v29, v29, 23, v7
	v_or3_b32 v52, v32, v29, v28
	v_pk_mov_b32 v[28:29], v[52:53], v[52:53] op_sel:[0,1]
.LBB251_755:                            ;   in Loop: Header=BB251_427 Depth=1
	s_or_b64 exec, exec, s[30:31]
.LBB251_756:                            ;   in Loop: Header=BB251_427 Depth=1
	s_or_b64 exec, exec, s[28:29]
.LBB251_757:                            ;   in Loop: Header=BB251_427 Depth=1
	s_or_b64 exec, exec, s[26:27]
	v_cmp_lt_u32_e64 s[6:7], s34, v42
	s_and_saveexec_b64 s[26:27], s[6:7]
	s_cbranch_execz .LBB251_763
; %bb.758:                              ;   in Loop: Header=BB251_427 Depth=1
	v_cmp_ne_u32_sdwa s[6:7], v42, s9 src0_sel:BYTE_3 src1_sel:DWORD
	v_pk_mov_b32 v[30:31], s[12:13], s[12:13] op_sel:[0,1]
	s_and_saveexec_b64 s[28:29], s[6:7]
	s_cbranch_execz .LBB251_762
; %bb.759:                              ;   in Loop: Header=BB251_427 Depth=1
	v_bfe_u32 v32, v42, 24, 7
	s_mov_b32 s24, s12
	v_cmp_ne_u32_e64 s[6:7], s15, v32
	v_pk_mov_b32 v[30:31], s[24:25], s[24:25] op_sel:[0,1]
	s_and_saveexec_b64 s[30:31], s[6:7]
	s_cbranch_execz .LBB251_761
; %bb.760:                              ;   in Loop: Header=BB251_427 Depth=1
	v_mov_b32_e32 v7, 7
	v_and_b32_sdwa v52, v42, v7 dst_sel:DWORD dst_unused:UNUSED_PAD src0_sel:BYTE_3 src1_sel:DWORD
	v_ffbh_u32_e32 v30, v52
	v_min_u32_e32 v38, 32, v30
	v_subrev_u32_e32 v30, 28, v38
	v_lshlrev_b64 v[30:31], v30, v[52:53]
	v_lshrrev_b32_e32 v33, 3, v32
	v_sub_u32_e32 v31, 29, v38
	v_cmp_gt_u32_e64 s[6:7], 8, v32
	v_mov_b32_e32 v7, 24
	v_and_b32_e32 v30, 7, v30
	v_cndmask_b32_e64 v31, v33, v31, s[6:7]
	v_lshlrev_b32_sdwa v32, v7, v42 dst_sel:DWORD dst_unused:UNUSED_PAD src0_sel:DWORD src1_sel:BYTE_3
	v_bfrev_b32_e32 v7, 60
	v_cndmask_b32_e64 v30, v52, v30, s[6:7]
	v_lshl_add_u32 v31, v31, 23, v7
	v_and_or_b32 v31, v32, s13, v31
	v_lshlrev_b32_e32 v30, 20, v30
	v_or_b32_e32 v31, v31, v30
	v_mov_b32_e32 v30, v53
.LBB251_761:                            ;   in Loop: Header=BB251_427 Depth=1
	s_or_b64 exec, exec, s[30:31]
.LBB251_762:                            ;   in Loop: Header=BB251_427 Depth=1
	s_or_b64 exec, exec, s[28:29]
.LBB251_763:                            ;   in Loop: Header=BB251_427 Depth=1
	s_or_b64 exec, exec, s[26:27]
	v_or_b32_e32 v33, v47, v45
	v_or_b32_e32 v32, v46, v44
	;; [unrolled: 1-line block ×4, first 2 shown]
	v_pk_mul_f32 v[42:43], v[26:27], v[32:33]
	v_pk_mul_f32 v[44:45], v[26:27], v[28:29]
	s_and_saveexec_b64 s[26:27], vcc
; %bb.764:                              ;   in Loop: Header=BB251_427 Depth=1
	v_accvgpr_read_b32 v7, a10
	v_cmp_lt_i32_e64 s[6:7], v7, v62
	v_accvgpr_read_b32 v7, a19
	v_cndmask_b32_e64 v42, 0, v42, s[6:7]
	v_cmp_lt_i32_e64 s[6:7], v7, v62
	v_accvgpr_read_b32 v7, a13
	v_cndmask_b32_e64 v43, 0, v43, s[6:7]
	v_cmp_lt_i32_e64 s[6:7], v7, v62
	v_cndmask_b32_e64 v44, 0, v44, s[6:7]
	v_cmp_lt_i32_e64 s[6:7], v6, v62
	v_cndmask_b32_e64 v45, 0, v45, s[6:7]
; %bb.765:                              ;   in Loop: Header=BB251_427 Depth=1
	s_or_b64 exec, exec, s[26:27]
	flat_load_dword v46, v[50:51] offset:3328
	v_pk_mov_b32 v[58:59], 0, 0
	v_pk_mov_b32 v[56:57], v[58:59], v[58:59] op_sel:[0,1]
	s_waitcnt vmcnt(0) lgkmcnt(0)
	v_cmp_ne_u16_sdwa s[6:7], v46, v53 src0_sel:BYTE_0 src1_sel:DWORD
	s_and_saveexec_b64 s[26:27], s[6:7]
	s_cbranch_execz .LBB251_771
; %bb.766:                              ;   in Loop: Header=BB251_427 Depth=1
	v_bfrev_b32_e32 v56, 1
	v_cmp_ne_u16_sdwa s[6:7], v46, s9 src0_sel:BYTE_0 src1_sel:DWORD
	v_mov_b32_e32 v57, 0
	s_and_saveexec_b64 s[28:29], s[6:7]
	s_cbranch_execz .LBB251_770
; %bb.767:                              ;   in Loop: Header=BB251_427 Depth=1
	v_and_b32_e32 v28, 0x7f, v46
	v_mov_b32_e32 v56, 0x7f800001
	v_cmp_ne_u32_e64 s[6:7], s15, v28
	v_mov_b32_e32 v57, 0
	s_and_saveexec_b64 s[30:31], s[6:7]
	s_cbranch_execz .LBB251_769
; %bb.768:                              ;   in Loop: Header=BB251_427 Depth=1
	v_and_b32_e32 v29, 7, v46
	v_ffbh_u32_e32 v30, v29
	v_min_u32_e32 v33, 32, v30
	v_subrev_u32_e32 v30, 28, v33
	v_lshlrev_b64 v[30:31], v30, v[46:47]
	v_lshrrev_b32_e32 v32, 3, v28
	v_sub_u32_e32 v31, 29, v33
	v_and_b32_e32 v30, 7, v30
	v_cmp_gt_u32_e64 s[6:7], 8, v28
	v_cndmask_b32_e64 v28, v32, v31, s[6:7]
	v_cndmask_b32_e64 v29, v29, v30, s[6:7]
	v_bfrev_b32_e32 v7, 60
	v_lshlrev_b32_e32 v29, 20, v29
	v_and_b32_sdwa v30, sext(v46), s13 dst_sel:DWORD dst_unused:UNUSED_PAD src0_sel:BYTE_0 src1_sel:DWORD
	v_lshl_add_u32 v28, v28, 23, v7
	v_or3_b32 v52, v30, v28, v29
	v_pk_mov_b32 v[56:57], v[52:53], v[52:53] op_sel:[0,1]
.LBB251_769:                            ;   in Loop: Header=BB251_427 Depth=1
	s_or_b64 exec, exec, s[30:31]
.LBB251_770:                            ;   in Loop: Header=BB251_427 Depth=1
	s_or_b64 exec, exec, s[28:29]
.LBB251_771:                            ;   in Loop: Header=BB251_427 Depth=1
	s_or_b64 exec, exec, s[26:27]
	v_cmp_ne_u16_sdwa s[6:7], v46, v53 src0_sel:BYTE_1 src1_sel:DWORD
	s_and_saveexec_b64 s[26:27], s[6:7]
	s_cbranch_execz .LBB251_777
; %bb.772:                              ;   in Loop: Header=BB251_427 Depth=1
	v_cmp_ne_u16_sdwa s[6:7], v46, s9 src0_sel:BYTE_1 src1_sel:DWORD
	v_pk_mov_b32 v[58:59], s[12:13], s[12:13] op_sel:[0,1]
	s_and_saveexec_b64 s[28:29], s[6:7]
	s_cbranch_execz .LBB251_776
; %bb.773:                              ;   in Loop: Header=BB251_427 Depth=1
	v_and_b32_sdwa v28, v46, s15 dst_sel:DWORD dst_unused:UNUSED_PAD src0_sel:BYTE_1 src1_sel:DWORD
	s_mov_b32 s24, s12
	v_cmp_ne_u32_e64 s[6:7], s15, v28
	v_pk_mov_b32 v[58:59], s[24:25], s[24:25] op_sel:[0,1]
	s_and_saveexec_b64 s[30:31], s[6:7]
	s_cbranch_execz .LBB251_775
; %bb.774:                              ;   in Loop: Header=BB251_427 Depth=1
	v_mov_b32_e32 v7, 7
	v_and_b32_sdwa v52, v46, v7 dst_sel:DWORD dst_unused:UNUSED_PAD src0_sel:BYTE_1 src1_sel:DWORD
	v_ffbh_u32_e32 v30, v52
	v_min_u32_e32 v32, 32, v30
	v_subrev_u32_e32 v30, 28, v32
	v_lshlrev_b64 v[30:31], v30, v[52:53]
	v_lshrrev_b32_e32 v29, 3, v28
	v_sub_u32_e32 v31, 29, v32
	v_cmp_gt_u32_e64 s[6:7], 8, v28
	v_and_b32_e32 v30, 7, v30
	v_cndmask_b32_e64 v28, v29, v31, s[6:7]
	v_bfrev_b32_e32 v7, 60
	v_cndmask_b32_e64 v29, v52, v30, s[6:7]
	v_lshlrev_b32_e32 v30, 16, v46
	v_lshl_add_u32 v28, v28, 23, v7
	v_and_or_b32 v28, v30, s13, v28
	v_lshlrev_b32_e32 v29, 20, v29
	v_or_b32_e32 v59, v28, v29
	v_mov_b32_e32 v58, v53
.LBB251_775:                            ;   in Loop: Header=BB251_427 Depth=1
	s_or_b64 exec, exec, s[30:31]
.LBB251_776:                            ;   in Loop: Header=BB251_427 Depth=1
	s_or_b64 exec, exec, s[28:29]
.LBB251_777:                            ;   in Loop: Header=BB251_427 Depth=1
	s_or_b64 exec, exec, s[26:27]
	v_lshrrev_b32_e32 v32, 16, v46
	v_pk_mov_b32 v[30:31], 0, 0
	v_cmp_ne_u16_sdwa s[6:7], v32, v53 src0_sel:BYTE_0 src1_sel:DWORD
	v_pk_mov_b32 v[28:29], v[30:31], v[30:31] op_sel:[0,1]
	s_and_saveexec_b64 s[26:27], s[6:7]
	s_cbranch_execz .LBB251_783
; %bb.778:                              ;   in Loop: Header=BB251_427 Depth=1
	v_bfrev_b32_e32 v28, 1
	v_cmp_ne_u16_sdwa s[6:7], v32, s9 src0_sel:BYTE_0 src1_sel:DWORD
	v_mov_b32_e32 v29, 0
	s_and_saveexec_b64 s[28:29], s[6:7]
	s_cbranch_execz .LBB251_782
; %bb.779:                              ;   in Loop: Header=BB251_427 Depth=1
	v_bfe_u32 v33, v46, 16, 7
	v_mov_b32_e32 v28, 0x7f800001
	v_cmp_ne_u32_e64 s[6:7], s15, v33
	v_mov_b32_e32 v29, 0
	s_and_saveexec_b64 s[30:31], s[6:7]
	s_cbranch_execz .LBB251_781
; %bb.780:                              ;   in Loop: Header=BB251_427 Depth=1
	v_and_b32_e32 v38, 7, v32
	v_ffbh_u32_e32 v28, v38
	v_min_u32_e32 v52, 32, v28
	v_subrev_u32_e32 v28, 28, v52
	v_lshlrev_b64 v[28:29], v28, v[32:33]
	v_lshrrev_b32_e32 v39, 3, v33
	v_sub_u32_e32 v29, 29, v52
	v_and_b32_e32 v28, 7, v28
	v_cmp_gt_u32_e64 s[6:7], 8, v33
	v_cndmask_b32_e64 v29, v39, v29, s[6:7]
	v_cndmask_b32_e64 v28, v38, v28, s[6:7]
	v_bfrev_b32_e32 v7, 60
	v_lshlrev_b32_e32 v28, 20, v28
	v_and_b32_sdwa v32, sext(v32), s13 dst_sel:DWORD dst_unused:UNUSED_PAD src0_sel:BYTE_0 src1_sel:DWORD
	v_lshl_add_u32 v29, v29, 23, v7
	v_or3_b32 v52, v32, v29, v28
	v_pk_mov_b32 v[28:29], v[52:53], v[52:53] op_sel:[0,1]
.LBB251_781:                            ;   in Loop: Header=BB251_427 Depth=1
	s_or_b64 exec, exec, s[30:31]
.LBB251_782:                            ;   in Loop: Header=BB251_427 Depth=1
	s_or_b64 exec, exec, s[28:29]
.LBB251_783:                            ;   in Loop: Header=BB251_427 Depth=1
	s_or_b64 exec, exec, s[26:27]
	v_cmp_lt_u32_e64 s[6:7], s34, v46
	s_and_saveexec_b64 s[26:27], s[6:7]
	s_cbranch_execz .LBB251_789
; %bb.784:                              ;   in Loop: Header=BB251_427 Depth=1
	v_cmp_ne_u32_sdwa s[6:7], v46, s9 src0_sel:BYTE_3 src1_sel:DWORD
	v_pk_mov_b32 v[30:31], s[12:13], s[12:13] op_sel:[0,1]
	s_and_saveexec_b64 s[28:29], s[6:7]
	s_cbranch_execz .LBB251_788
; %bb.785:                              ;   in Loop: Header=BB251_427 Depth=1
	v_bfe_u32 v32, v46, 24, 7
	s_mov_b32 s24, s12
	v_cmp_ne_u32_e64 s[6:7], s15, v32
	v_pk_mov_b32 v[30:31], s[24:25], s[24:25] op_sel:[0,1]
	s_and_saveexec_b64 s[30:31], s[6:7]
	s_cbranch_execz .LBB251_787
; %bb.786:                              ;   in Loop: Header=BB251_427 Depth=1
	v_mov_b32_e32 v7, 7
	v_and_b32_sdwa v52, v46, v7 dst_sel:DWORD dst_unused:UNUSED_PAD src0_sel:BYTE_3 src1_sel:DWORD
	v_ffbh_u32_e32 v30, v52
	v_min_u32_e32 v38, 32, v30
	v_subrev_u32_e32 v30, 28, v38
	v_lshlrev_b64 v[30:31], v30, v[52:53]
	v_lshrrev_b32_e32 v33, 3, v32
	v_sub_u32_e32 v31, 29, v38
	v_cmp_gt_u32_e64 s[6:7], 8, v32
	v_mov_b32_e32 v7, 24
	v_and_b32_e32 v30, 7, v30
	v_cndmask_b32_e64 v31, v33, v31, s[6:7]
	v_lshlrev_b32_sdwa v32, v7, v46 dst_sel:DWORD dst_unused:UNUSED_PAD src0_sel:DWORD src1_sel:BYTE_3
	v_bfrev_b32_e32 v7, 60
	v_cndmask_b32_e64 v30, v52, v30, s[6:7]
	v_lshl_add_u32 v31, v31, 23, v7
	v_and_or_b32 v31, v32, s13, v31
	v_lshlrev_b32_e32 v30, 20, v30
	v_or_b32_e32 v31, v31, v30
	v_mov_b32_e32 v30, v53
.LBB251_787:                            ;   in Loop: Header=BB251_427 Depth=1
	s_or_b64 exec, exec, s[30:31]
.LBB251_788:                            ;   in Loop: Header=BB251_427 Depth=1
	s_or_b64 exec, exec, s[28:29]
.LBB251_789:                            ;   in Loop: Header=BB251_427 Depth=1
	s_or_b64 exec, exec, s[26:27]
	v_or_b32_e32 v33, v59, v57
	v_or_b32_e32 v32, v58, v56
	;; [unrolled: 1-line block ×4, first 2 shown]
	v_pk_mul_f32 v[46:47], v[26:27], v[32:33]
	v_pk_mul_f32 v[56:57], v[26:27], v[28:29]
	s_and_saveexec_b64 s[26:27], vcc
; %bb.790:                              ;   in Loop: Header=BB251_427 Depth=1
	v_accvgpr_read_b32 v7, a10
	v_cmp_lt_i32_e64 s[6:7], v7, v62
	v_accvgpr_read_b32 v7, a19
	v_cndmask_b32_e64 v46, 0, v46, s[6:7]
	v_cmp_lt_i32_e64 s[6:7], v7, v62
	v_accvgpr_read_b32 v7, a13
	v_cndmask_b32_e64 v47, 0, v47, s[6:7]
	v_cmp_lt_i32_e64 s[6:7], v7, v62
	v_cndmask_b32_e64 v56, 0, v56, s[6:7]
	v_cmp_lt_i32_e64 s[6:7], v6, v62
	v_cndmask_b32_e64 v57, 0, v57, s[6:7]
; %bb.791:                              ;   in Loop: Header=BB251_427 Depth=1
	s_or_b64 exec, exec, s[26:27]
	flat_load_dword v50, v[50:51] offset:3584
	v_pk_mov_b32 v[60:61], 0, 0
	v_pk_mov_b32 v[58:59], v[60:61], v[60:61] op_sel:[0,1]
	s_waitcnt vmcnt(0) lgkmcnt(0)
	v_cmp_ne_u16_sdwa s[6:7], v50, v53 src0_sel:BYTE_0 src1_sel:DWORD
	s_and_saveexec_b64 s[26:27], s[6:7]
	s_cbranch_execz .LBB251_797
; %bb.792:                              ;   in Loop: Header=BB251_427 Depth=1
	v_bfrev_b32_e32 v58, 1
	v_cmp_ne_u16_sdwa s[6:7], v50, s9 src0_sel:BYTE_0 src1_sel:DWORD
	v_mov_b32_e32 v59, 0
	s_and_saveexec_b64 s[28:29], s[6:7]
	s_cbranch_execz .LBB251_796
; %bb.793:                              ;   in Loop: Header=BB251_427 Depth=1
	v_and_b32_e32 v28, 0x7f, v50
	v_mov_b32_e32 v58, 0x7f800001
	v_cmp_ne_u32_e64 s[6:7], s15, v28
	v_mov_b32_e32 v59, 0
	s_and_saveexec_b64 s[30:31], s[6:7]
	s_cbranch_execz .LBB251_795
; %bb.794:                              ;   in Loop: Header=BB251_427 Depth=1
	v_and_b32_e32 v29, 7, v50
	v_ffbh_u32_e32 v30, v29
	v_min_u32_e32 v33, 32, v30
	v_subrev_u32_e32 v30, 28, v33
	v_lshlrev_b64 v[30:31], v30, v[50:51]
	v_lshrrev_b32_e32 v32, 3, v28
	v_sub_u32_e32 v31, 29, v33
	v_and_b32_e32 v30, 7, v30
	v_cmp_gt_u32_e64 s[6:7], 8, v28
	v_cndmask_b32_e64 v28, v32, v31, s[6:7]
	v_cndmask_b32_e64 v29, v29, v30, s[6:7]
	v_bfrev_b32_e32 v7, 60
	v_lshlrev_b32_e32 v29, 20, v29
	v_and_b32_sdwa v30, sext(v50), s13 dst_sel:DWORD dst_unused:UNUSED_PAD src0_sel:BYTE_0 src1_sel:DWORD
	v_lshl_add_u32 v28, v28, 23, v7
	v_or3_b32 v52, v30, v28, v29
	v_pk_mov_b32 v[58:59], v[52:53], v[52:53] op_sel:[0,1]
.LBB251_795:                            ;   in Loop: Header=BB251_427 Depth=1
	s_or_b64 exec, exec, s[30:31]
.LBB251_796:                            ;   in Loop: Header=BB251_427 Depth=1
	s_or_b64 exec, exec, s[28:29]
.LBB251_797:                            ;   in Loop: Header=BB251_427 Depth=1
	s_or_b64 exec, exec, s[26:27]
	v_cmp_ne_u16_sdwa s[6:7], v50, v53 src0_sel:BYTE_1 src1_sel:DWORD
	s_and_saveexec_b64 s[26:27], s[6:7]
	s_cbranch_execz .LBB251_803
; %bb.798:                              ;   in Loop: Header=BB251_427 Depth=1
	v_cmp_ne_u16_sdwa s[6:7], v50, s9 src0_sel:BYTE_1 src1_sel:DWORD
	v_pk_mov_b32 v[60:61], s[12:13], s[12:13] op_sel:[0,1]
	s_and_saveexec_b64 s[28:29], s[6:7]
	s_cbranch_execz .LBB251_802
; %bb.799:                              ;   in Loop: Header=BB251_427 Depth=1
	v_and_b32_sdwa v28, v50, s15 dst_sel:DWORD dst_unused:UNUSED_PAD src0_sel:BYTE_1 src1_sel:DWORD
	s_mov_b32 s24, s12
	v_cmp_ne_u32_e64 s[6:7], s15, v28
	v_pk_mov_b32 v[60:61], s[24:25], s[24:25] op_sel:[0,1]
	s_and_saveexec_b64 s[30:31], s[6:7]
	s_cbranch_execz .LBB251_801
; %bb.800:                              ;   in Loop: Header=BB251_427 Depth=1
	v_mov_b32_e32 v7, 7
	v_and_b32_sdwa v52, v50, v7 dst_sel:DWORD dst_unused:UNUSED_PAD src0_sel:BYTE_1 src1_sel:DWORD
	v_ffbh_u32_e32 v30, v52
	v_min_u32_e32 v32, 32, v30
	v_subrev_u32_e32 v30, 28, v32
	v_lshlrev_b64 v[30:31], v30, v[52:53]
	v_lshrrev_b32_e32 v29, 3, v28
	v_sub_u32_e32 v31, 29, v32
	v_cmp_gt_u32_e64 s[6:7], 8, v28
	v_and_b32_e32 v30, 7, v30
	v_cndmask_b32_e64 v28, v29, v31, s[6:7]
	v_bfrev_b32_e32 v7, 60
	v_cndmask_b32_e64 v29, v52, v30, s[6:7]
	v_lshlrev_b32_e32 v30, 16, v50
	v_lshl_add_u32 v28, v28, 23, v7
	v_and_or_b32 v28, v30, s13, v28
	v_lshlrev_b32_e32 v29, 20, v29
	v_or_b32_e32 v61, v28, v29
	v_mov_b32_e32 v60, v53
.LBB251_801:                            ;   in Loop: Header=BB251_427 Depth=1
	s_or_b64 exec, exec, s[30:31]
.LBB251_802:                            ;   in Loop: Header=BB251_427 Depth=1
	s_or_b64 exec, exec, s[28:29]
.LBB251_803:                            ;   in Loop: Header=BB251_427 Depth=1
	s_or_b64 exec, exec, s[26:27]
	v_lshrrev_b32_e32 v32, 16, v50
	v_pk_mov_b32 v[30:31], 0, 0
	v_cmp_ne_u16_sdwa s[6:7], v32, v53 src0_sel:BYTE_0 src1_sel:DWORD
	v_pk_mov_b32 v[28:29], v[30:31], v[30:31] op_sel:[0,1]
	s_and_saveexec_b64 s[26:27], s[6:7]
	s_cbranch_execz .LBB251_809
; %bb.804:                              ;   in Loop: Header=BB251_427 Depth=1
	v_bfrev_b32_e32 v28, 1
	v_cmp_ne_u16_sdwa s[6:7], v32, s9 src0_sel:BYTE_0 src1_sel:DWORD
	v_mov_b32_e32 v29, 0
	s_and_saveexec_b64 s[28:29], s[6:7]
	s_cbranch_execz .LBB251_808
; %bb.805:                              ;   in Loop: Header=BB251_427 Depth=1
	v_bfe_u32 v33, v50, 16, 7
	v_mov_b32_e32 v28, 0x7f800001
	v_cmp_ne_u32_e64 s[6:7], s15, v33
	v_mov_b32_e32 v29, 0
	s_and_saveexec_b64 s[30:31], s[6:7]
	s_cbranch_execz .LBB251_807
; %bb.806:                              ;   in Loop: Header=BB251_427 Depth=1
	v_and_b32_e32 v38, 7, v32
	v_ffbh_u32_e32 v28, v38
	v_min_u32_e32 v51, 32, v28
	v_subrev_u32_e32 v28, 28, v51
	v_lshlrev_b64 v[28:29], v28, v[32:33]
	v_lshrrev_b32_e32 v39, 3, v33
	v_sub_u32_e32 v29, 29, v51
	v_and_b32_e32 v28, 7, v28
	v_cmp_gt_u32_e64 s[6:7], 8, v33
	v_cndmask_b32_e64 v29, v39, v29, s[6:7]
	v_cndmask_b32_e64 v28, v38, v28, s[6:7]
	v_bfrev_b32_e32 v7, 60
	v_lshlrev_b32_e32 v28, 20, v28
	v_and_b32_sdwa v32, sext(v32), s13 dst_sel:DWORD dst_unused:UNUSED_PAD src0_sel:BYTE_0 src1_sel:DWORD
	v_lshl_add_u32 v29, v29, 23, v7
	v_or3_b32 v52, v32, v29, v28
	v_pk_mov_b32 v[28:29], v[52:53], v[52:53] op_sel:[0,1]
.LBB251_807:                            ;   in Loop: Header=BB251_427 Depth=1
	s_or_b64 exec, exec, s[30:31]
.LBB251_808:                            ;   in Loop: Header=BB251_427 Depth=1
	s_or_b64 exec, exec, s[28:29]
.LBB251_809:                            ;   in Loop: Header=BB251_427 Depth=1
	s_or_b64 exec, exec, s[26:27]
	v_cmp_lt_u32_e64 s[6:7], s34, v50
	s_and_saveexec_b64 s[26:27], s[6:7]
	s_cbranch_execz .LBB251_815
; %bb.810:                              ;   in Loop: Header=BB251_427 Depth=1
	v_cmp_ne_u32_sdwa s[6:7], v50, s9 src0_sel:BYTE_3 src1_sel:DWORD
	v_pk_mov_b32 v[30:31], s[12:13], s[12:13] op_sel:[0,1]
	s_and_saveexec_b64 s[28:29], s[6:7]
	s_cbranch_execz .LBB251_814
; %bb.811:                              ;   in Loop: Header=BB251_427 Depth=1
	v_bfe_u32 v32, v50, 24, 7
	s_mov_b32 s24, s12
	v_cmp_ne_u32_e64 s[6:7], s15, v32
	v_pk_mov_b32 v[30:31], s[24:25], s[24:25] op_sel:[0,1]
	s_and_saveexec_b64 s[30:31], s[6:7]
	s_cbranch_execz .LBB251_813
; %bb.812:                              ;   in Loop: Header=BB251_427 Depth=1
	v_mov_b32_e32 v7, 7
	v_and_b32_sdwa v52, v50, v7 dst_sel:DWORD dst_unused:UNUSED_PAD src0_sel:BYTE_3 src1_sel:DWORD
	v_ffbh_u32_e32 v30, v52
	v_min_u32_e32 v38, 32, v30
	v_subrev_u32_e32 v30, 28, v38
	v_lshlrev_b64 v[30:31], v30, v[52:53]
	v_lshrrev_b32_e32 v33, 3, v32
	v_sub_u32_e32 v31, 29, v38
	v_cmp_gt_u32_e64 s[6:7], 8, v32
	v_mov_b32_e32 v7, 24
	v_and_b32_e32 v30, 7, v30
	v_cndmask_b32_e64 v31, v33, v31, s[6:7]
	v_lshlrev_b32_sdwa v32, v7, v50 dst_sel:DWORD dst_unused:UNUSED_PAD src0_sel:DWORD src1_sel:BYTE_3
	v_bfrev_b32_e32 v7, 60
	v_cndmask_b32_e64 v30, v52, v30, s[6:7]
	v_lshl_add_u32 v31, v31, 23, v7
	v_and_or_b32 v31, v32, s13, v31
	v_lshlrev_b32_e32 v30, 20, v30
	v_or_b32_e32 v31, v31, v30
	v_mov_b32_e32 v30, v53
.LBB251_813:                            ;   in Loop: Header=BB251_427 Depth=1
	s_or_b64 exec, exec, s[30:31]
.LBB251_814:                            ;   in Loop: Header=BB251_427 Depth=1
	s_or_b64 exec, exec, s[28:29]
.LBB251_815:                            ;   in Loop: Header=BB251_427 Depth=1
	s_or_b64 exec, exec, s[26:27]
	v_or_b32_e32 v33, v61, v59
	v_or_b32_e32 v32, v60, v58
	;; [unrolled: 1-line block ×4, first 2 shown]
	v_pk_mul_f32 v[50:51], v[26:27], v[32:33]
	v_pk_mul_f32 v[58:59], v[26:27], v[28:29]
	s_and_saveexec_b64 s[26:27], vcc
; %bb.816:                              ;   in Loop: Header=BB251_427 Depth=1
	v_accvgpr_read_b32 v7, a10
	v_cmp_lt_i32_e64 s[6:7], v7, v62
	v_accvgpr_read_b32 v7, a19
	v_cndmask_b32_e64 v50, 0, v50, s[6:7]
	v_cmp_lt_i32_e64 s[6:7], v7, v62
	v_accvgpr_read_b32 v7, a13
	v_cndmask_b32_e64 v51, 0, v51, s[6:7]
	v_cmp_lt_i32_e64 s[6:7], v7, v62
	v_cndmask_b32_e64 v58, 0, v58, s[6:7]
	v_cmp_lt_i32_e64 s[6:7], v6, v62
	v_cndmask_b32_e64 v59, 0, v59, s[6:7]
; %bb.817:                              ;   in Loop: Header=BB251_427 Depth=1
	s_or_b64 exec, exec, s[26:27]
	v_accvgpr_read_b32 v31, a21
	v_accvgpr_read_b32 v28, a22
	;; [unrolled: 1-line block ×3, first 2 shown]
	v_add_co_u32_e64 v28, s[6:7], v30, v28
	v_addc_co_u32_e64 v29, s[6:7], 0, v31, s[6:7]
	flat_load_dword v60, v[28:29]
	v_pk_mov_b32 v[28:29], 0, 0
	v_pk_mov_b32 v[32:33], v[28:29], v[28:29] op_sel:[0,1]
	s_waitcnt vmcnt(0) lgkmcnt(0)
	v_cmp_ne_u16_sdwa s[6:7], v60, v53 src0_sel:BYTE_0 src1_sel:DWORD
	s_and_saveexec_b64 s[26:27], s[6:7]
	s_cbranch_execz .LBB251_823
; %bb.818:                              ;   in Loop: Header=BB251_427 Depth=1
	v_bfrev_b32_e32 v32, 1
	v_cmp_ne_u16_sdwa s[6:7], v60, s9 src0_sel:BYTE_0 src1_sel:DWORD
	v_mov_b32_e32 v33, 0
	s_and_saveexec_b64 s[28:29], s[6:7]
	s_cbranch_execz .LBB251_822
; %bb.819:                              ;   in Loop: Header=BB251_427 Depth=1
	v_and_b32_e32 v30, 0x7f, v60
	v_mov_b32_e32 v32, 0x7f800001
	v_cmp_ne_u32_e64 s[6:7], s15, v30
	v_mov_b32_e32 v33, 0
	s_and_saveexec_b64 s[30:31], s[6:7]
	s_cbranch_execz .LBB251_821
; %bb.820:                              ;   in Loop: Header=BB251_427 Depth=1
	v_and_b32_e32 v31, 7, v60
	v_ffbh_u32_e32 v32, v31
	v_min_u32_e32 v39, 32, v32
	v_subrev_u32_e32 v32, 28, v39
	v_lshlrev_b64 v[32:33], v32, v[60:61]
	v_lshrrev_b32_e32 v38, 3, v30
	v_sub_u32_e32 v33, 29, v39
	v_and_b32_e32 v32, 7, v32
	v_cmp_gt_u32_e64 s[6:7], 8, v30
	v_cndmask_b32_e64 v30, v38, v33, s[6:7]
	v_cndmask_b32_e64 v31, v31, v32, s[6:7]
	v_bfrev_b32_e32 v7, 60
	v_lshlrev_b32_e32 v31, 20, v31
	v_and_b32_sdwa v32, sext(v60), s13 dst_sel:DWORD dst_unused:UNUSED_PAD src0_sel:BYTE_0 src1_sel:DWORD
	v_lshl_add_u32 v30, v30, 23, v7
	v_or3_b32 v52, v32, v30, v31
	v_pk_mov_b32 v[32:33], v[52:53], v[52:53] op_sel:[0,1]
.LBB251_821:                            ;   in Loop: Header=BB251_427 Depth=1
	s_or_b64 exec, exec, s[30:31]
.LBB251_822:                            ;   in Loop: Header=BB251_427 Depth=1
	s_or_b64 exec, exec, s[28:29]
.LBB251_823:                            ;   in Loop: Header=BB251_427 Depth=1
	s_or_b64 exec, exec, s[26:27]
	v_cmp_ne_u16_sdwa s[6:7], v60, v53 src0_sel:BYTE_1 src1_sel:DWORD
	s_and_saveexec_b64 s[26:27], s[6:7]
	s_cbranch_execz .LBB251_829
; %bb.824:                              ;   in Loop: Header=BB251_427 Depth=1
	v_cmp_ne_u16_sdwa s[6:7], v60, s9 src0_sel:BYTE_1 src1_sel:DWORD
	v_pk_mov_b32 v[28:29], s[12:13], s[12:13] op_sel:[0,1]
	s_and_saveexec_b64 s[28:29], s[6:7]
	s_cbranch_execz .LBB251_828
; %bb.825:                              ;   in Loop: Header=BB251_427 Depth=1
	v_and_b32_sdwa v30, v60, s15 dst_sel:DWORD dst_unused:UNUSED_PAD src0_sel:BYTE_1 src1_sel:DWORD
	s_mov_b32 s24, s12
	v_cmp_ne_u32_e64 s[6:7], s15, v30
	v_pk_mov_b32 v[28:29], s[24:25], s[24:25] op_sel:[0,1]
	s_and_saveexec_b64 s[30:31], s[6:7]
	s_cbranch_execz .LBB251_827
; %bb.826:                              ;   in Loop: Header=BB251_427 Depth=1
	v_mov_b32_e32 v7, 7
	v_and_b32_sdwa v52, v60, v7 dst_sel:DWORD dst_unused:UNUSED_PAD src0_sel:BYTE_1 src1_sel:DWORD
	v_ffbh_u32_e32 v28, v52
	v_min_u32_e32 v38, 32, v28
	v_subrev_u32_e32 v28, 28, v38
	v_lshlrev_b64 v[28:29], v28, v[52:53]
	v_lshrrev_b32_e32 v31, 3, v30
	v_sub_u32_e32 v29, 29, v38
	v_cmp_gt_u32_e64 s[6:7], 8, v30
	v_and_b32_e32 v28, 7, v28
	v_cndmask_b32_e64 v29, v31, v29, s[6:7]
	v_bfrev_b32_e32 v7, 60
	v_cndmask_b32_e64 v28, v52, v28, s[6:7]
	v_lshlrev_b32_e32 v30, 16, v60
	v_lshl_add_u32 v29, v29, 23, v7
	v_and_or_b32 v29, v30, s13, v29
	v_lshlrev_b32_e32 v28, 20, v28
	v_or_b32_e32 v29, v29, v28
	v_mov_b32_e32 v28, v53
.LBB251_827:                            ;   in Loop: Header=BB251_427 Depth=1
	s_or_b64 exec, exec, s[30:31]
.LBB251_828:                            ;   in Loop: Header=BB251_427 Depth=1
	s_or_b64 exec, exec, s[28:29]
.LBB251_829:                            ;   in Loop: Header=BB251_427 Depth=1
	s_or_b64 exec, exec, s[26:27]
	v_lshrrev_b32_e32 v52, 16, v60
	v_pk_mov_b32 v[30:31], 0, 0
	v_cmp_ne_u16_sdwa s[6:7], v52, v53 src0_sel:BYTE_0 src1_sel:DWORD
	v_pk_mov_b32 v[38:39], v[30:31], v[30:31] op_sel:[0,1]
	s_and_saveexec_b64 s[26:27], s[6:7]
	s_cbranch_execz .LBB251_835
; %bb.830:                              ;   in Loop: Header=BB251_427 Depth=1
	v_bfrev_b32_e32 v38, 1
	v_cmp_ne_u16_sdwa s[6:7], v52, s9 src0_sel:BYTE_0 src1_sel:DWORD
	v_mov_b32_e32 v39, 0
	s_and_saveexec_b64 s[28:29], s[6:7]
	s_cbranch_execz .LBB251_834
; %bb.831:                              ;   in Loop: Header=BB251_427 Depth=1
	v_bfe_u32 v61, v60, 16, 7
	v_mov_b32_e32 v38, 0x7f800001
	v_cmp_ne_u32_e64 s[6:7], s15, v61
	v_mov_b32_e32 v39, 0
	s_and_saveexec_b64 s[30:31], s[6:7]
	s_cbranch_execz .LBB251_833
; %bb.832:                              ;   in Loop: Header=BB251_427 Depth=1
	v_and_b32_e32 v7, 7, v52
	v_accvgpr_write_b32 a20, v34
	v_accvgpr_write_b32 a21, v35
	v_ffbh_u32_e32 v35, v7
	v_min_u32_e32 v35, 32, v35
	v_subrev_u32_e32 v38, 28, v35
	v_lshlrev_b64 v[38:39], v38, v[52:53]
	v_lshrrev_b32_e32 v34, 3, v61
	v_sub_u32_e32 v35, 29, v35
	v_and_b32_e32 v38, 7, v38
	v_cmp_gt_u32_e64 s[6:7], 8, v61
	v_cndmask_b32_e64 v34, v34, v35, s[6:7]
	v_cndmask_b32_e64 v7, v7, v38, s[6:7]
	v_bfrev_b32_e32 v38, 60
	v_lshlrev_b32_e32 v7, 20, v7
	v_and_b32_sdwa v35, sext(v52), s13 dst_sel:DWORD dst_unused:UNUSED_PAD src0_sel:BYTE_0 src1_sel:DWORD
	v_lshl_add_u32 v34, v34, 23, v38
	v_or3_b32 v52, v35, v34, v7
	v_accvgpr_read_b32 v35, a21
	v_accvgpr_read_b32 v34, a20
	v_pk_mov_b32 v[38:39], v[52:53], v[52:53] op_sel:[0,1]
.LBB251_833:                            ;   in Loop: Header=BB251_427 Depth=1
	s_or_b64 exec, exec, s[30:31]
.LBB251_834:                            ;   in Loop: Header=BB251_427 Depth=1
	s_or_b64 exec, exec, s[28:29]
.LBB251_835:                            ;   in Loop: Header=BB251_427 Depth=1
	s_or_b64 exec, exec, s[26:27]
	v_cmp_lt_u32_e64 s[6:7], s34, v60
	s_and_saveexec_b64 s[26:27], s[6:7]
	s_cbranch_execz .LBB251_841
; %bb.836:                              ;   in Loop: Header=BB251_427 Depth=1
	v_cmp_ne_u32_sdwa s[6:7], v60, s9 src0_sel:BYTE_3 src1_sel:DWORD
	v_pk_mov_b32 v[30:31], s[12:13], s[12:13] op_sel:[0,1]
	s_and_saveexec_b64 s[28:29], s[6:7]
	s_cbranch_execz .LBB251_840
; %bb.837:                              ;   in Loop: Header=BB251_427 Depth=1
	v_bfe_u32 v61, v60, 24, 7
	s_mov_b32 s24, s12
	v_cmp_ne_u32_e64 s[6:7], s15, v61
	v_pk_mov_b32 v[30:31], s[24:25], s[24:25] op_sel:[0,1]
	s_and_saveexec_b64 s[30:31], s[6:7]
	s_cbranch_execz .LBB251_839
; %bb.838:                              ;   in Loop: Header=BB251_427 Depth=1
	v_mov_b32_e32 v7, 7
	v_and_b32_sdwa v52, v60, v7 dst_sel:DWORD dst_unused:UNUSED_PAD src0_sel:BYTE_3 src1_sel:DWORD
	v_ffbh_u32_e32 v30, v52
	v_accvgpr_write_b32 a20, v34
	v_accvgpr_write_b32 a21, v35
	v_min_u32_e32 v34, 32, v30
	v_subrev_u32_e32 v30, 28, v34
	v_lshlrev_b64 v[30:31], v30, v[52:53]
	v_lshrrev_b32_e32 v7, 3, v61
	v_sub_u32_e32 v31, 29, v34
	v_cmp_gt_u32_e64 s[6:7], 8, v61
	v_and_b32_e32 v30, 7, v30
	v_cndmask_b32_e64 v7, v7, v31, s[6:7]
	v_mov_b32_e32 v31, 24
	v_bfrev_b32_e32 v34, 60
	v_cndmask_b32_e64 v30, v52, v30, s[6:7]
	v_lshlrev_b32_sdwa v31, v31, v60 dst_sel:DWORD dst_unused:UNUSED_PAD src0_sel:DWORD src1_sel:BYTE_3
	v_lshl_add_u32 v7, v7, 23, v34
	v_accvgpr_read_b32 v35, a21
	v_and_or_b32 v7, v31, s13, v7
	v_lshlrev_b32_e32 v30, 20, v30
	v_accvgpr_read_b32 v34, a20
	v_or_b32_e32 v31, v7, v30
	v_mov_b32_e32 v30, v53
.LBB251_839:                            ;   in Loop: Header=BB251_427 Depth=1
	s_or_b64 exec, exec, s[30:31]
.LBB251_840:                            ;   in Loop: Header=BB251_427 Depth=1
	s_or_b64 exec, exec, s[28:29]
.LBB251_841:                            ;   in Loop: Header=BB251_427 Depth=1
	s_or_b64 exec, exec, s[26:27]
	v_accvgpr_write_b32 a20, v34
	v_or_b32_e32 v29, v29, v33
	v_or_b32_e32 v28, v28, v32
	;; [unrolled: 1-line block ×4, first 2 shown]
	v_accvgpr_write_b32 a21, v35
	v_pk_mul_f32 v[28:29], v[26:27], v[28:29]
	v_pk_mul_f32 v[32:33], v[26:27], v[30:31]
	s_and_saveexec_b64 s[6:7], vcc
	s_cbranch_execz .LBB251_426
; %bb.842:                              ;   in Loop: Header=BB251_427 Depth=1
	v_accvgpr_read_b32 v7, a10
	v_cmp_lt_i32_e32 vcc, v7, v62
	v_accvgpr_read_b32 v7, a19
	v_cndmask_b32_e32 v28, 0, v28, vcc
	v_cmp_lt_i32_e32 vcc, v7, v62
	v_accvgpr_read_b32 v7, a13
	v_cndmask_b32_e32 v29, 0, v29, vcc
	v_cmp_lt_i32_e32 vcc, v7, v62
	v_cndmask_b32_e32 v32, 0, v32, vcc
	v_cmp_lt_i32_e32 vcc, v6, v62
	v_cndmask_b32_e32 v33, 0, v33, vcc
	s_branch .LBB251_426
.LBB251_843:
	s_or_b64 exec, exec, s[16:17]
	v_accvgpr_read_b32 v30, a0
	v_accvgpr_read_b32 v29, a1
	;; [unrolled: 1-line block ×4, first 2 shown]
.LBB251_844:
	s_or_b64 exec, exec, s[10:11]
	ds_bpermute_b32 v2, v26, v22
	ds_bpermute_b32 v3, v26, v23
	;; [unrolled: 1-line block ×6, first 2 shown]
	s_waitcnt lgkmcnt(0)
	v_pk_add_f32 v[2:3], v[22:23], v[2:3]
	ds_bpermute_b32 v6, v29, v2
	ds_bpermute_b32 v7, v29, v3
	v_pk_add_f32 v[0:1], v[24:25], v[0:1]
	ds_bpermute_b32 v4, v29, v0
	ds_bpermute_b32 v5, v29, v1
	s_waitcnt lgkmcnt(0)
	v_pk_add_f32 v[2:3], v[2:3], v[6:7]
	v_pk_add_f32 v[6:7], v[20:21], v[10:11]
	ds_bpermute_b32 v10, v29, v6
	ds_bpermute_b32 v11, v29, v7
	;; [unrolled: 1-line block ×4, first 2 shown]
	v_pk_add_f32 v[0:1], v[0:1], v[4:5]
	ds_bpermute_b32 v4, v31, v0
	s_waitcnt lgkmcnt(0)
	v_pk_add_f32 v[6:7], v[6:7], v[10:11]
	ds_bpermute_b32 v5, v31, v1
	v_pk_add_f32 v[18:19], v[18:19], v[20:21]
	ds_bpermute_b32 v10, v31, v6
	ds_bpermute_b32 v11, v31, v7
	ds_bpermute_b32 v20, v29, v18
	ds_bpermute_b32 v21, v29, v19
	s_waitcnt lgkmcnt(0)
	v_pk_add_f32 v[4:5], v[0:1], v[4:5]
	s_barrier
	v_pk_add_f32 v[0:1], v[6:7], v[10:11]
	v_pk_add_f32 v[10:11], v[18:19], v[20:21]
	ds_bpermute_b32 v18, v26, v12
	ds_bpermute_b32 v19, v26, v13
	;; [unrolled: 1-line block ×6, first 2 shown]
	s_waitcnt lgkmcnt(0)
	v_pk_add_f32 v[12:13], v[12:13], v[18:19]
	ds_bpermute_b32 v18, v29, v12
	ds_bpermute_b32 v19, v29, v13
	v_pk_add_f32 v[8:9], v[8:9], v[20:21]
	v_pk_add_f32 v[6:7], v[16:17], v[6:7]
	ds_bpermute_b32 v22, v26, v36
	ds_bpermute_b32 v23, v26, v37
	s_waitcnt lgkmcnt(0)
	v_pk_add_f32 v[18:19], v[12:13], v[18:19]
	ds_bpermute_b32 v12, v29, v8
	ds_bpermute_b32 v13, v29, v9
	;; [unrolled: 1-line block ×6, first 2 shown]
	s_waitcnt lgkmcnt(0)
	v_pk_add_f32 v[24:25], v[8:9], v[12:13]
	ds_bpermute_b32 v16, v29, v6
	v_pk_add_f32 v[8:9], v[18:19], v[20:21]
	buffer_load_dword v19, off, s[0:3], s32 offset:644 ; 4-byte Folded Reload
	ds_bpermute_b32 v17, v29, v7
	v_pk_add_f32 v[22:23], v[36:37], v[22:23]
	v_pk_add_f32 v[2:3], v[2:3], v[14:15]
	ds_bpermute_b32 v14, v31, v10
	ds_bpermute_b32 v15, v31, v11
	s_waitcnt lgkmcnt(0)
	v_pk_add_f32 v[6:7], v[6:7], v[16:17]
	ds_bpermute_b32 v28, v29, v22
	ds_bpermute_b32 v29, v29, v23
	ds_bpermute_b32 v16, v31, v6
	ds_bpermute_b32 v17, v31, v7
	ds_bpermute_b32 v26, v31, v24
	ds_bpermute_b32 v27, v31, v25
	v_pk_add_f32 v[12:13], v[10:11], v[14:15]
	s_waitcnt lgkmcnt(0)
	v_pk_add_f32 v[14:15], v[22:23], v[28:29]
	v_pk_add_f32 v[10:11], v[6:7], v[16:17]
	ds_bpermute_b32 v16, v31, v14
	ds_bpermute_b32 v17, v31, v15
	v_pk_add_f32 v[6:7], v[24:25], v[26:27]
	s_waitcnt vmcnt(0)
	v_and_b32_e32 v18, 0x3c7, v19
	v_cmp_ne_u32_e32 vcc, 64, v18
	s_and_saveexec_b64 s[6:7], vcc
	s_xor_b64 s[6:7], exec, s[6:7]
; %bb.845:
                                        ; implicit-def: $vgpr30
; %bb.846:
	s_or_saveexec_b64 s[6:7], s[6:7]
	s_waitcnt lgkmcnt(0)
	v_pk_add_f32 v[14:15], v[14:15], v[16:17]
	s_xor_b64 exec, exec, s[6:7]
	s_cbranch_execz .LBB251_848
; %bb.847:
	s_ashr_i32 s21, s20, 31
	s_lshl_b64 s[10:11], s[20:21], 2
	s_getpc_b64 s[12:13]
	s_add_u32 s12, s12, llvm.amdgcn.dynlds.offset.table@rel32@lo+4
	s_addc_u32 s13, s13, llvm.amdgcn.dynlds.offset.table@rel32@hi+12
	s_add_u32 s10, s10, s12
	s_addc_u32 s11, s11, s13
	s_load_dword s9, s[10:11], 0x0
	v_lshrrev_b32_e32 v16, 1, v30
	s_waitcnt lgkmcnt(0)
	v_add_u32_e32 v16, s9, v16
	ds_write2_b32 v16, v4, v5 offset1:8
	ds_write2_b32 v16, v2, v3 offset0:16 offset1:24
	ds_write2_b32 v16, v0, v1 offset0:32 offset1:40
	;; [unrolled: 1-line block ×7, first 2 shown]
.LBB251_848:
	s_or_b64 exec, exec, s[6:7]
	s_waitcnt lgkmcnt(0)
	s_barrier
	s_and_saveexec_b64 s[6:7], s[4:5]
	s_cbranch_execz .LBB251_867
; %bb.849:
	v_accvgpr_read_b32 v16, a4
	v_cmp_eq_u32_e32 vcc, 0, v16
	v_lshrrev_b32_e32 v16, 3, v19
	s_and_saveexec_b64 s[4:5], vcc
	s_cbranch_execnz .LBB251_870
; %bb.850:
	s_or_b64 exec, exec, s[4:5]
	s_and_saveexec_b64 s[4:5], vcc
	s_cbranch_execnz .LBB251_871
.LBB251_851:
	s_or_b64 exec, exec, s[4:5]
	s_and_saveexec_b64 s[4:5], vcc
	s_cbranch_execnz .LBB251_872
.LBB251_852:
	s_or_b64 exec, exec, s[4:5]
	s_and_saveexec_b64 s[4:5], vcc
	s_cbranch_execnz .LBB251_873
.LBB251_853:
	s_or_b64 exec, exec, s[4:5]
	s_and_saveexec_b64 s[4:5], vcc
	s_cbranch_execnz .LBB251_874
.LBB251_854:
	s_or_b64 exec, exec, s[4:5]
	s_and_saveexec_b64 s[4:5], vcc
	s_cbranch_execnz .LBB251_875
.LBB251_855:
	s_or_b64 exec, exec, s[4:5]
	s_and_saveexec_b64 s[4:5], vcc
	s_cbranch_execnz .LBB251_876
.LBB251_856:
	s_or_b64 exec, exec, s[4:5]
	s_and_saveexec_b64 s[4:5], vcc
	s_cbranch_execnz .LBB251_877
.LBB251_857:
	s_or_b64 exec, exec, s[4:5]
	s_and_saveexec_b64 s[4:5], vcc
	s_cbranch_execnz .LBB251_878
.LBB251_858:
	s_or_b64 exec, exec, s[4:5]
	s_and_saveexec_b64 s[4:5], vcc
	s_cbranch_execnz .LBB251_879
.LBB251_859:
	s_or_b64 exec, exec, s[4:5]
	s_and_saveexec_b64 s[4:5], vcc
	s_cbranch_execnz .LBB251_880
.LBB251_860:
	s_or_b64 exec, exec, s[4:5]
	s_and_saveexec_b64 s[4:5], vcc
	s_cbranch_execnz .LBB251_881
.LBB251_861:
	s_or_b64 exec, exec, s[4:5]
	s_and_saveexec_b64 s[4:5], vcc
	s_cbranch_execnz .LBB251_882
.LBB251_862:
	s_or_b64 exec, exec, s[4:5]
	s_and_saveexec_b64 s[4:5], vcc
	s_cbranch_execnz .LBB251_883
.LBB251_863:
	s_or_b64 exec, exec, s[4:5]
	s_and_saveexec_b64 s[4:5], vcc
	s_cbranch_execnz .LBB251_884
.LBB251_864:
	s_or_b64 exec, exec, s[4:5]
	s_and_saveexec_b64 s[4:5], vcc
	s_cbranch_execz .LBB251_866
.LBB251_865:
	s_ashr_i32 s21, s20, 31
	s_lshl_b64 s[10:11], s[20:21], 2
	s_getpc_b64 s[12:13]
	s_add_u32 s12, s12, llvm.amdgcn.dynlds.offset.table@rel32@lo+4
	s_addc_u32 s13, s13, llvm.amdgcn.dynlds.offset.table@rel32@hi+12
	s_add_u32 s10, s10, s12
	s_addc_u32 s11, s11, s13
	s_load_dword s9, s[10:11], 0x0
	s_waitcnt lgkmcnt(0)
	v_lshl_add_u32 v16, v16, 2, s9
	ds_read_b32 v16, v16 offset:480
	s_waitcnt lgkmcnt(0)
	v_add_f32_e32 v15, v16, v15
.LBB251_866:
	s_or_b64 exec, exec, s[4:5]
.LBB251_867:
	s_or_b64 exec, exec, s[6:7]
	v_cmp_eq_u32_e32 vcc, 0, v18
	s_barrier
	s_and_b64 exec, exec, vcc
	s_cbranch_execz .LBB251_869
; %bb.868:
	buffer_load_dword v17, off, s[0:3], s32 offset:648 ; 4-byte Folded Reload
	buffer_load_dword v18, off, s[0:3], s32 offset:652 ; 4-byte Folded Reload
	s_lshl_b32 s4, s8, 7
	s_mul_i32 s6, s22, s23
	s_lshl_b32 s8, s14, 7
	s_ashr_i32 s5, s4, 31
	s_ashr_i32 s7, s6, 31
	;; [unrolled: 1-line block ×3, first 2 shown]
	s_lshl_b64 s[4:5], s[4:5], 2
	s_lshl_b64 s[6:7], s[6:7], 2
	;; [unrolled: 1-line block ×3, first 2 shown]
	s_add_u32 s6, s8, s6
	s_addc_u32 s7, s9, s7
	s_add_u32 s4, s6, s4
	s_addc_u32 s5, s7, s5
	v_mov_b32_e32 v16, s5
	s_waitcnt vmcnt(1)
	v_add_co_u32_e32 v17, vcc, s4, v17
	s_waitcnt vmcnt(0)
	v_addc_co_u32_e32 v18, vcc, v16, v18, vcc
	v_lshrrev_b32_e32 v16, 1, v19
	v_add_co_u32_e32 v16, vcc, v17, v16
	v_addc_co_u32_e32 v17, vcc, 0, v18, vcc
	flat_store_dword v[16:17], v4
	flat_store_dword v[16:17], v5 offset:32
	flat_store_dword v[16:17], v2 offset:64
	flat_store_dword v[16:17], v3 offset:96
	flat_store_dword v[16:17], v0 offset:128
	flat_store_dword v[16:17], v1 offset:160
	flat_store_dword v[16:17], v12 offset:192
	flat_store_dword v[16:17], v13 offset:224
	flat_store_dword v[16:17], v10 offset:256
	flat_store_dword v[16:17], v11 offset:288
	flat_store_dword v[16:17], v8 offset:320
	flat_store_dword v[16:17], v9 offset:352
	flat_store_dword v[16:17], v6 offset:384
	flat_store_dword v[16:17], v7 offset:416
	flat_store_dword v[16:17], v14 offset:448
	flat_store_dword v[16:17], v15 offset:480
.LBB251_869:
	s_or_b64 exec, exec, s[18:19]
	buffer_load_dword a63, off, s[0:3], s32 ; 4-byte Folded Reload
	buffer_load_dword a62, off, s[0:3], s32 offset:4 ; 4-byte Folded Reload
	buffer_load_dword a61, off, s[0:3], s32 offset:8 ; 4-byte Folded Reload
	buffer_load_dword a60, off, s[0:3], s32 offset:12 ; 4-byte Folded Reload
	buffer_load_dword a59, off, s[0:3], s32 offset:16 ; 4-byte Folded Reload
	buffer_load_dword a58, off, s[0:3], s32 offset:20 ; 4-byte Folded Reload
	buffer_load_dword a57, off, s[0:3], s32 offset:24 ; 4-byte Folded Reload
	buffer_load_dword a56, off, s[0:3], s32 offset:28 ; 4-byte Folded Reload
	buffer_load_dword a55, off, s[0:3], s32 offset:32 ; 4-byte Folded Reload
	buffer_load_dword a54, off, s[0:3], s32 offset:36 ; 4-byte Folded Reload
	buffer_load_dword a53, off, s[0:3], s32 offset:40 ; 4-byte Folded Reload
	buffer_load_dword a52, off, s[0:3], s32 offset:44 ; 4-byte Folded Reload
	buffer_load_dword a51, off, s[0:3], s32 offset:48 ; 4-byte Folded Reload
	buffer_load_dword a50, off, s[0:3], s32 offset:52 ; 4-byte Folded Reload
	buffer_load_dword a49, off, s[0:3], s32 offset:56 ; 4-byte Folded Reload
	buffer_load_dword a48, off, s[0:3], s32 offset:60 ; 4-byte Folded Reload
	buffer_load_dword a47, off, s[0:3], s32 offset:64 ; 4-byte Folded Reload
	buffer_load_dword a46, off, s[0:3], s32 offset:68 ; 4-byte Folded Reload
	buffer_load_dword a45, off, s[0:3], s32 offset:72 ; 4-byte Folded Reload
	buffer_load_dword a44, off, s[0:3], s32 offset:76 ; 4-byte Folded Reload
	buffer_load_dword a43, off, s[0:3], s32 offset:80 ; 4-byte Folded Reload
	buffer_load_dword a42, off, s[0:3], s32 offset:84 ; 4-byte Folded Reload
	buffer_load_dword a41, off, s[0:3], s32 offset:88 ; 4-byte Folded Reload
	buffer_load_dword a40, off, s[0:3], s32 offset:92 ; 4-byte Folded Reload
	buffer_load_dword a39, off, s[0:3], s32 offset:96 ; 4-byte Folded Reload
	buffer_load_dword a38, off, s[0:3], s32 offset:100 ; 4-byte Folded Reload
	buffer_load_dword a37, off, s[0:3], s32 offset:104 ; 4-byte Folded Reload
	buffer_load_dword a36, off, s[0:3], s32 offset:108 ; 4-byte Folded Reload
	buffer_load_dword a35, off, s[0:3], s32 offset:112 ; 4-byte Folded Reload
	buffer_load_dword a34, off, s[0:3], s32 offset:116 ; 4-byte Folded Reload
	buffer_load_dword a33, off, s[0:3], s32 offset:120 ; 4-byte Folded Reload
	buffer_load_dword a32, off, s[0:3], s32 offset:124 ; 4-byte Folded Reload
	buffer_load_dword v62, off, s[0:3], s32 offset:128 ; 4-byte Folded Reload
	buffer_load_dword v61, off, s[0:3], s32 offset:132 ; 4-byte Folded Reload
	buffer_load_dword v60, off, s[0:3], s32 offset:136 ; 4-byte Folded Reload
	buffer_load_dword v59, off, s[0:3], s32 offset:140 ; 4-byte Folded Reload
	buffer_load_dword v58, off, s[0:3], s32 offset:144 ; 4-byte Folded Reload
	buffer_load_dword v57, off, s[0:3], s32 offset:148 ; 4-byte Folded Reload
	buffer_load_dword v56, off, s[0:3], s32 offset:152 ; 4-byte Folded Reload
	buffer_load_dword v47, off, s[0:3], s32 offset:156 ; 4-byte Folded Reload
	buffer_load_dword v46, off, s[0:3], s32 offset:160 ; 4-byte Folded Reload
	buffer_load_dword v45, off, s[0:3], s32 offset:164 ; 4-byte Folded Reload
	buffer_load_dword v44, off, s[0:3], s32 offset:168 ; 4-byte Folded Reload
	buffer_load_dword v43, off, s[0:3], s32 offset:172 ; 4-byte Folded Reload
	buffer_load_dword v42, off, s[0:3], s32 offset:176 ; 4-byte Folded Reload
	buffer_load_dword v41, off, s[0:3], s32 offset:180 ; 4-byte Folded Reload
	buffer_load_dword v40, off, s[0:3], s32 offset:184 ; 4-byte Folded Reload
	v_readlane_b32 s30, v63, 10
	v_readlane_b32 s31, v63, 11
	;; [unrolled: 1-line block ×12, first 2 shown]
	s_or_saveexec_b64 s[4:5], -1
	buffer_load_dword v63, off, s[0:3], s32 offset:712 ; 4-byte Folded Reload
	s_mov_b64 exec, s[4:5]
	s_waitcnt vmcnt(0) lgkmcnt(0)
	s_setpc_b64 s[30:31]
.LBB251_870:
	s_ashr_i32 s21, s20, 31
	s_lshl_b64 s[10:11], s[20:21], 2
	s_getpc_b64 s[12:13]
	s_add_u32 s12, s12, llvm.amdgcn.dynlds.offset.table@rel32@lo+4
	s_addc_u32 s13, s13, llvm.amdgcn.dynlds.offset.table@rel32@hi+12
	s_add_u32 s10, s10, s12
	s_addc_u32 s11, s11, s13
	s_load_dword s9, s[10:11], 0x0
	s_waitcnt lgkmcnt(0)
	v_lshl_add_u32 v17, v16, 2, s9
	ds_read_b32 v17, v17
	s_waitcnt lgkmcnt(0)
	v_add_f32_e32 v4, v17, v4
	s_or_b64 exec, exec, s[4:5]
	s_and_saveexec_b64 s[4:5], vcc
	s_cbranch_execz .LBB251_851
.LBB251_871:
	s_ashr_i32 s21, s20, 31
	s_lshl_b64 s[10:11], s[20:21], 2
	s_getpc_b64 s[12:13]
	s_add_u32 s12, s12, llvm.amdgcn.dynlds.offset.table@rel32@lo+4
	s_addc_u32 s13, s13, llvm.amdgcn.dynlds.offset.table@rel32@hi+12
	s_add_u32 s10, s10, s12
	s_addc_u32 s11, s11, s13
	s_load_dword s9, s[10:11], 0x0
	s_waitcnt lgkmcnt(0)
	v_lshl_add_u32 v17, v16, 2, s9
	ds_read_b32 v17, v17 offset:32
	s_waitcnt lgkmcnt(0)
	v_add_f32_e32 v5, v17, v5
	s_or_b64 exec, exec, s[4:5]
	s_and_saveexec_b64 s[4:5], vcc
	s_cbranch_execz .LBB251_852
.LBB251_872:
	s_ashr_i32 s21, s20, 31
	s_lshl_b64 s[10:11], s[20:21], 2
	s_getpc_b64 s[12:13]
	s_add_u32 s12, s12, llvm.amdgcn.dynlds.offset.table@rel32@lo+4
	s_addc_u32 s13, s13, llvm.amdgcn.dynlds.offset.table@rel32@hi+12
	s_add_u32 s10, s10, s12
	s_addc_u32 s11, s11, s13
	s_load_dword s9, s[10:11], 0x0
	s_waitcnt lgkmcnt(0)
	v_lshl_add_u32 v17, v16, 2, s9
	ds_read_b32 v17, v17 offset:64
	s_waitcnt lgkmcnt(0)
	v_add_f32_e32 v2, v17, v2
	s_or_b64 exec, exec, s[4:5]
	s_and_saveexec_b64 s[4:5], vcc
	s_cbranch_execz .LBB251_853
.LBB251_873:
	s_ashr_i32 s21, s20, 31
	s_lshl_b64 s[10:11], s[20:21], 2
	s_getpc_b64 s[12:13]
	s_add_u32 s12, s12, llvm.amdgcn.dynlds.offset.table@rel32@lo+4
	s_addc_u32 s13, s13, llvm.amdgcn.dynlds.offset.table@rel32@hi+12
	s_add_u32 s10, s10, s12
	s_addc_u32 s11, s11, s13
	s_load_dword s9, s[10:11], 0x0
	s_waitcnt lgkmcnt(0)
	v_lshl_add_u32 v17, v16, 2, s9
	ds_read_b32 v17, v17 offset:96
	s_waitcnt lgkmcnt(0)
	v_add_f32_e32 v3, v17, v3
	s_or_b64 exec, exec, s[4:5]
	s_and_saveexec_b64 s[4:5], vcc
	s_cbranch_execz .LBB251_854
.LBB251_874:
	s_ashr_i32 s21, s20, 31
	s_lshl_b64 s[10:11], s[20:21], 2
	s_getpc_b64 s[12:13]
	s_add_u32 s12, s12, llvm.amdgcn.dynlds.offset.table@rel32@lo+4
	s_addc_u32 s13, s13, llvm.amdgcn.dynlds.offset.table@rel32@hi+12
	s_add_u32 s10, s10, s12
	s_addc_u32 s11, s11, s13
	s_load_dword s9, s[10:11], 0x0
	s_waitcnt lgkmcnt(0)
	v_lshl_add_u32 v17, v16, 2, s9
	ds_read_b32 v17, v17 offset:128
	s_waitcnt lgkmcnt(0)
	v_add_f32_e32 v0, v17, v0
	s_or_b64 exec, exec, s[4:5]
	s_and_saveexec_b64 s[4:5], vcc
	s_cbranch_execz .LBB251_855
.LBB251_875:
	s_ashr_i32 s21, s20, 31
	s_lshl_b64 s[10:11], s[20:21], 2
	s_getpc_b64 s[12:13]
	s_add_u32 s12, s12, llvm.amdgcn.dynlds.offset.table@rel32@lo+4
	s_addc_u32 s13, s13, llvm.amdgcn.dynlds.offset.table@rel32@hi+12
	s_add_u32 s10, s10, s12
	s_addc_u32 s11, s11, s13
	s_load_dword s9, s[10:11], 0x0
	s_waitcnt lgkmcnt(0)
	v_lshl_add_u32 v17, v16, 2, s9
	ds_read_b32 v17, v17 offset:160
	s_waitcnt lgkmcnt(0)
	v_add_f32_e32 v1, v17, v1
	s_or_b64 exec, exec, s[4:5]
	s_and_saveexec_b64 s[4:5], vcc
	s_cbranch_execz .LBB251_856
.LBB251_876:
	s_ashr_i32 s21, s20, 31
	s_lshl_b64 s[10:11], s[20:21], 2
	s_getpc_b64 s[12:13]
	s_add_u32 s12, s12, llvm.amdgcn.dynlds.offset.table@rel32@lo+4
	s_addc_u32 s13, s13, llvm.amdgcn.dynlds.offset.table@rel32@hi+12
	s_add_u32 s10, s10, s12
	s_addc_u32 s11, s11, s13
	s_load_dword s9, s[10:11], 0x0
	s_waitcnt lgkmcnt(0)
	v_lshl_add_u32 v17, v16, 2, s9
	ds_read_b32 v17, v17 offset:192
	s_waitcnt lgkmcnt(0)
	v_add_f32_e32 v12, v17, v12
	s_or_b64 exec, exec, s[4:5]
	s_and_saveexec_b64 s[4:5], vcc
	s_cbranch_execz .LBB251_857
.LBB251_877:
	s_ashr_i32 s21, s20, 31
	s_lshl_b64 s[10:11], s[20:21], 2
	s_getpc_b64 s[12:13]
	s_add_u32 s12, s12, llvm.amdgcn.dynlds.offset.table@rel32@lo+4
	s_addc_u32 s13, s13, llvm.amdgcn.dynlds.offset.table@rel32@hi+12
	s_add_u32 s10, s10, s12
	s_addc_u32 s11, s11, s13
	s_load_dword s9, s[10:11], 0x0
	s_waitcnt lgkmcnt(0)
	v_lshl_add_u32 v17, v16, 2, s9
	ds_read_b32 v17, v17 offset:224
	s_waitcnt lgkmcnt(0)
	v_add_f32_e32 v13, v17, v13
	s_or_b64 exec, exec, s[4:5]
	s_and_saveexec_b64 s[4:5], vcc
	s_cbranch_execz .LBB251_858
.LBB251_878:
	s_ashr_i32 s21, s20, 31
	s_lshl_b64 s[10:11], s[20:21], 2
	s_getpc_b64 s[12:13]
	s_add_u32 s12, s12, llvm.amdgcn.dynlds.offset.table@rel32@lo+4
	s_addc_u32 s13, s13, llvm.amdgcn.dynlds.offset.table@rel32@hi+12
	s_add_u32 s10, s10, s12
	s_addc_u32 s11, s11, s13
	s_load_dword s9, s[10:11], 0x0
	s_waitcnt lgkmcnt(0)
	v_lshl_add_u32 v17, v16, 2, s9
	ds_read_b32 v17, v17 offset:256
	s_waitcnt lgkmcnt(0)
	v_add_f32_e32 v10, v17, v10
	s_or_b64 exec, exec, s[4:5]
	s_and_saveexec_b64 s[4:5], vcc
	s_cbranch_execz .LBB251_859
.LBB251_879:
	s_ashr_i32 s21, s20, 31
	s_lshl_b64 s[10:11], s[20:21], 2
	s_getpc_b64 s[12:13]
	s_add_u32 s12, s12, llvm.amdgcn.dynlds.offset.table@rel32@lo+4
	s_addc_u32 s13, s13, llvm.amdgcn.dynlds.offset.table@rel32@hi+12
	s_add_u32 s10, s10, s12
	s_addc_u32 s11, s11, s13
	s_load_dword s9, s[10:11], 0x0
	s_waitcnt lgkmcnt(0)
	v_lshl_add_u32 v17, v16, 2, s9
	ds_read_b32 v17, v17 offset:288
	s_waitcnt lgkmcnt(0)
	v_add_f32_e32 v11, v17, v11
	s_or_b64 exec, exec, s[4:5]
	s_and_saveexec_b64 s[4:5], vcc
	s_cbranch_execz .LBB251_860
.LBB251_880:
	s_ashr_i32 s21, s20, 31
	s_lshl_b64 s[10:11], s[20:21], 2
	s_getpc_b64 s[12:13]
	s_add_u32 s12, s12, llvm.amdgcn.dynlds.offset.table@rel32@lo+4
	s_addc_u32 s13, s13, llvm.amdgcn.dynlds.offset.table@rel32@hi+12
	s_add_u32 s10, s10, s12
	s_addc_u32 s11, s11, s13
	s_load_dword s9, s[10:11], 0x0
	s_waitcnt lgkmcnt(0)
	v_lshl_add_u32 v17, v16, 2, s9
	ds_read_b32 v17, v17 offset:320
	s_waitcnt lgkmcnt(0)
	v_add_f32_e32 v8, v17, v8
	s_or_b64 exec, exec, s[4:5]
	s_and_saveexec_b64 s[4:5], vcc
	s_cbranch_execz .LBB251_861
.LBB251_881:
	s_ashr_i32 s21, s20, 31
	s_lshl_b64 s[10:11], s[20:21], 2
	s_getpc_b64 s[12:13]
	s_add_u32 s12, s12, llvm.amdgcn.dynlds.offset.table@rel32@lo+4
	s_addc_u32 s13, s13, llvm.amdgcn.dynlds.offset.table@rel32@hi+12
	s_add_u32 s10, s10, s12
	s_addc_u32 s11, s11, s13
	s_load_dword s9, s[10:11], 0x0
	s_waitcnt lgkmcnt(0)
	v_lshl_add_u32 v17, v16, 2, s9
	ds_read_b32 v17, v17 offset:352
	s_waitcnt lgkmcnt(0)
	v_add_f32_e32 v9, v17, v9
	s_or_b64 exec, exec, s[4:5]
	s_and_saveexec_b64 s[4:5], vcc
	s_cbranch_execz .LBB251_862
.LBB251_882:
	s_ashr_i32 s21, s20, 31
	s_lshl_b64 s[10:11], s[20:21], 2
	s_getpc_b64 s[12:13]
	s_add_u32 s12, s12, llvm.amdgcn.dynlds.offset.table@rel32@lo+4
	s_addc_u32 s13, s13, llvm.amdgcn.dynlds.offset.table@rel32@hi+12
	s_add_u32 s10, s10, s12
	s_addc_u32 s11, s11, s13
	s_load_dword s9, s[10:11], 0x0
	s_waitcnt lgkmcnt(0)
	v_lshl_add_u32 v17, v16, 2, s9
	ds_read_b32 v17, v17 offset:384
	s_waitcnt lgkmcnt(0)
	v_add_f32_e32 v6, v17, v6
	s_or_b64 exec, exec, s[4:5]
	s_and_saveexec_b64 s[4:5], vcc
	s_cbranch_execz .LBB251_863
.LBB251_883:
	s_ashr_i32 s21, s20, 31
	s_lshl_b64 s[10:11], s[20:21], 2
	s_getpc_b64 s[12:13]
	s_add_u32 s12, s12, llvm.amdgcn.dynlds.offset.table@rel32@lo+4
	s_addc_u32 s13, s13, llvm.amdgcn.dynlds.offset.table@rel32@hi+12
	s_add_u32 s10, s10, s12
	s_addc_u32 s11, s11, s13
	s_load_dword s9, s[10:11], 0x0
	s_waitcnt lgkmcnt(0)
	v_lshl_add_u32 v17, v16, 2, s9
	ds_read_b32 v17, v17 offset:416
	s_waitcnt lgkmcnt(0)
	v_add_f32_e32 v7, v17, v7
	s_or_b64 exec, exec, s[4:5]
	s_and_saveexec_b64 s[4:5], vcc
	s_cbranch_execz .LBB251_864
.LBB251_884:
	s_ashr_i32 s21, s20, 31
	s_lshl_b64 s[10:11], s[20:21], 2
	s_getpc_b64 s[12:13]
	s_add_u32 s12, s12, llvm.amdgcn.dynlds.offset.table@rel32@lo+4
	s_addc_u32 s13, s13, llvm.amdgcn.dynlds.offset.table@rel32@hi+12
	s_add_u32 s10, s10, s12
	s_addc_u32 s11, s11, s13
	s_load_dword s9, s[10:11], 0x0
	s_waitcnt lgkmcnt(0)
	v_lshl_add_u32 v17, v16, 2, s9
	ds_read_b32 v17, v17 offset:448
	s_waitcnt lgkmcnt(0)
	v_add_f32_e32 v14, v17, v14
	s_or_b64 exec, exec, s[4:5]
	s_and_saveexec_b64 s[4:5], vcc
	s_cbranch_execnz .LBB251_865
	s_branch .LBB251_866
.Lfunc_end251:
	.size	_ZN4vllm22paged_attention_kernelIfhLi128ELi32ELi128ELNS_18Fp8KVCacheDataTypeE1ELb0ELi512EEEvPfS2_PT_PKS3_PKT0_S9_ifPKiSB_iPKfiiiSD_SD_iiiii, .Lfunc_end251-_ZN4vllm22paged_attention_kernelIfhLi128ELi32ELi128ELNS_18Fp8KVCacheDataTypeE1ELb0ELi512EEEvPfS2_PT_PKS3_PKT0_S9_ifPKiSB_iPKfiiiSD_SD_iiiii
                                        ; -- End function
	.section	.AMDGPU.csdata,"",@progbits
; Function info:
; codeLenInByte = 43008
; NumSgprs: 48
; NumVgprs: 64
; NumAgprs: 64
; TotalNumVgprs: 128
; ScratchSize: 720
; MemoryBound: 0
	.section	.text._ZN4vllm25paged_attention_v2_kernelIfhLi128ELi32ELi128ELNS_18Fp8KVCacheDataTypeE1ELb0ELi512EEEvPfS2_PT_PKS3_PKT0_S9_ifPKiSB_iPKfiiiSD_SD_iiiii,"axG",@progbits,_ZN4vllm25paged_attention_v2_kernelIfhLi128ELi32ELi128ELNS_18Fp8KVCacheDataTypeE1ELb0ELi512EEEvPfS2_PT_PKS3_PKT0_S9_ifPKiSB_iPKfiiiSD_SD_iiiii,comdat
	.protected	_ZN4vllm25paged_attention_v2_kernelIfhLi128ELi32ELi128ELNS_18Fp8KVCacheDataTypeE1ELb0ELi512EEEvPfS2_PT_PKS3_PKT0_S9_ifPKiSB_iPKfiiiSD_SD_iiiii ; -- Begin function _ZN4vllm25paged_attention_v2_kernelIfhLi128ELi32ELi128ELNS_18Fp8KVCacheDataTypeE1ELb0ELi512EEEvPfS2_PT_PKS3_PKT0_S9_ifPKiSB_iPKfiiiSD_SD_iiiii
	.globl	_ZN4vllm25paged_attention_v2_kernelIfhLi128ELi32ELi128ELNS_18Fp8KVCacheDataTypeE1ELb0ELi512EEEvPfS2_PT_PKS3_PKT0_S9_ifPKiSB_iPKfiiiSD_SD_iiiii
	.p2align	8
	.type	_ZN4vllm25paged_attention_v2_kernelIfhLi128ELi32ELi128ELNS_18Fp8KVCacheDataTypeE1ELb0ELi512EEEvPfS2_PT_PKS3_PKT0_S9_ifPKiSB_iPKfiiiSD_SD_iiiii,@function
_ZN4vllm25paged_attention_v2_kernelIfhLi128ELi32ELi128ELNS_18Fp8KVCacheDataTypeE1ELb0ELi512EEEvPfS2_PT_PKS3_PKT0_S9_ifPKiSB_iPKfiiiSD_SD_iiiii: ; @_ZN4vllm25paged_attention_v2_kernelIfhLi128ELi32ELi128ELNS_18Fp8KVCacheDataTypeE1ELb0ELi512EEEvPfS2_PT_PKS3_PKT0_S9_ifPKiSB_iPKfiiiSD_SD_iiiii
; %bb.0:
	s_add_u32 flat_scratch_lo, s6, s11
	s_addc_u32 flat_scratch_hi, s7, 0
	s_add_u32 s0, s0, s11
	s_load_dwordx8 s[24:31], s[4:5], 0x0
	s_load_dwordx8 s[16:23], s[4:5], 0x20
	s_load_dwordx2 s[6:7], s[4:5], 0x40
	s_load_dwordx2 s[34:35], s[4:5], 0x50
	s_load_dword s11, s[4:5], 0x48
	s_load_dwordx8 s[36:43], s[4:5], 0x58
	s_addc_u32 s1, s1, 0
	s_mov_b32 s12, s8
	s_add_u32 s8, s4, 0x90
	s_mov_b32 s13, s9
	s_addc_u32 s9, s5, 0
	s_mov_b32 s14, s10
	s_mov_b32 s15, 32
	v_mov_b32_e32 v31, v0
	s_waitcnt lgkmcnt(0)
	v_mov_b32_e32 v0, s24
	v_mov_b32_e32 v1, s25
	v_mov_b32_e32 v2, s26
	v_mov_b32_e32 v3, s27
	v_mov_b32_e32 v4, s28
	v_mov_b32_e32 v5, s29
	v_mov_b32_e32 v6, s30
	v_mov_b32_e32 v7, s31
	v_mov_b32_e32 v8, s16
	v_mov_b32_e32 v9, s17
	v_mov_b32_e32 v10, s18
	v_mov_b32_e32 v11, s19
	v_mov_b32_e32 v12, s20
	v_mov_b32_e32 v13, s21
	v_mov_b32_e32 v14, s22
	v_mov_b32_e32 v15, s23
	v_mov_b32_e32 v16, s6
	v_mov_b32_e32 v17, s7
	v_mov_b32_e32 v18, s11
	v_mov_b32_e32 v19, s34
	v_mov_b32_e32 v20, s35
	v_mov_b32_e32 v21, s36
	v_mov_b32_e32 v22, s37
	v_mov_b32_e32 v23, s38
	v_mov_b32_e32 v24, s40
	v_mov_b32_e32 v25, s41
	v_mov_b32_e32 v26, s42
	v_mov_b32_e32 v27, s43
	s_mov_b32 s32, 0
	s_getpc_b64 s[4:5]
	s_add_u32 s4, s4, _ZN4vllm22paged_attention_kernelIfhLi128ELi32ELi128ELNS_18Fp8KVCacheDataTypeE1ELb0ELi512EEEvPfS2_PT_PKS3_PKT0_S9_ifPKiSB_iPKfiiiSD_SD_iiiii@rel32@lo+4
	s_addc_u32 s5, s5, _ZN4vllm22paged_attention_kernelIfhLi128ELi32ELi128ELNS_18Fp8KVCacheDataTypeE1ELb0ELi512EEEvPfS2_PT_PKS3_PKT0_S9_ifPKiSB_iPKfiiiSD_SD_iiiii@rel32@hi+12
	s_swappc_b64 s[30:31], s[4:5]
	s_endpgm
	.section	.rodata,"a",@progbits
	.p2align	6, 0x0
	.amdhsa_kernel _ZN4vllm25paged_attention_v2_kernelIfhLi128ELi32ELi128ELNS_18Fp8KVCacheDataTypeE1ELb0ELi512EEEvPfS2_PT_PKS3_PKT0_S9_ifPKiSB_iPKfiiiSD_SD_iiiii
		.amdhsa_group_segment_fixed_size 528
		.amdhsa_private_segment_fixed_size 720
		.amdhsa_kernarg_size 400
		.amdhsa_user_sgpr_count 8
		.amdhsa_user_sgpr_private_segment_buffer 1
		.amdhsa_user_sgpr_dispatch_ptr 0
		.amdhsa_user_sgpr_queue_ptr 0
		.amdhsa_user_sgpr_kernarg_segment_ptr 1
		.amdhsa_user_sgpr_dispatch_id 0
		.amdhsa_user_sgpr_flat_scratch_init 1
		.amdhsa_user_sgpr_kernarg_preload_length 0
		.amdhsa_user_sgpr_kernarg_preload_offset 0
		.amdhsa_user_sgpr_private_segment_size 0
		.amdhsa_uses_dynamic_stack 0
		.amdhsa_system_sgpr_private_segment_wavefront_offset 1
		.amdhsa_system_sgpr_workgroup_id_x 1
		.amdhsa_system_sgpr_workgroup_id_y 1
		.amdhsa_system_sgpr_workgroup_id_z 1
		.amdhsa_system_sgpr_workgroup_info 0
		.amdhsa_system_vgpr_workitem_id 0
		.amdhsa_next_free_vgpr 128
		.amdhsa_next_free_sgpr 44
		.amdhsa_accum_offset 64
		.amdhsa_reserve_vcc 1
		.amdhsa_reserve_flat_scratch 1
		.amdhsa_float_round_mode_32 0
		.amdhsa_float_round_mode_16_64 0
		.amdhsa_float_denorm_mode_32 3
		.amdhsa_float_denorm_mode_16_64 3
		.amdhsa_dx10_clamp 1
		.amdhsa_ieee_mode 1
		.amdhsa_fp16_overflow 0
		.amdhsa_tg_split 0
		.amdhsa_exception_fp_ieee_invalid_op 0
		.amdhsa_exception_fp_denorm_src 0
		.amdhsa_exception_fp_ieee_div_zero 0
		.amdhsa_exception_fp_ieee_overflow 0
		.amdhsa_exception_fp_ieee_underflow 0
		.amdhsa_exception_fp_ieee_inexact 0
		.amdhsa_exception_int_div_zero 0
	.end_amdhsa_kernel
	.section	.text._ZN4vllm25paged_attention_v2_kernelIfhLi128ELi32ELi128ELNS_18Fp8KVCacheDataTypeE1ELb0ELi512EEEvPfS2_PT_PKS3_PKT0_S9_ifPKiSB_iPKfiiiSD_SD_iiiii,"axG",@progbits,_ZN4vllm25paged_attention_v2_kernelIfhLi128ELi32ELi128ELNS_18Fp8KVCacheDataTypeE1ELb0ELi512EEEvPfS2_PT_PKS3_PKT0_S9_ifPKiSB_iPKfiiiSD_SD_iiiii,comdat
.Lfunc_end252:
	.size	_ZN4vllm25paged_attention_v2_kernelIfhLi128ELi32ELi128ELNS_18Fp8KVCacheDataTypeE1ELb0ELi512EEEvPfS2_PT_PKS3_PKT0_S9_ifPKiSB_iPKfiiiSD_SD_iiiii, .Lfunc_end252-_ZN4vllm25paged_attention_v2_kernelIfhLi128ELi32ELi128ELNS_18Fp8KVCacheDataTypeE1ELb0ELi512EEEvPfS2_PT_PKS3_PKT0_S9_ifPKiSB_iPKfiiiSD_SD_iiiii
                                        ; -- End function
	.section	.AMDGPU.csdata,"",@progbits
; Kernel info:
; codeLenInByte = 244
; NumSgprs: 50
; NumVgprs: 64
; NumAgprs: 64
; TotalNumVgprs: 128
; ScratchSize: 720
; MemoryBound: 0
; FloatMode: 240
; IeeeMode: 1
; LDSByteSize: 528 bytes/workgroup (compile time only)
; SGPRBlocks: 6
; VGPRBlocks: 15
; NumSGPRsForWavesPerEU: 50
; NumVGPRsForWavesPerEU: 128
; AccumOffset: 64
; Occupancy: 4
; WaveLimiterHint : 1
; COMPUTE_PGM_RSRC2:SCRATCH_EN: 1
; COMPUTE_PGM_RSRC2:USER_SGPR: 8
; COMPUTE_PGM_RSRC2:TRAP_HANDLER: 0
; COMPUTE_PGM_RSRC2:TGID_X_EN: 1
; COMPUTE_PGM_RSRC2:TGID_Y_EN: 1
; COMPUTE_PGM_RSRC2:TGID_Z_EN: 1
; COMPUTE_PGM_RSRC2:TIDIG_COMP_CNT: 0
; COMPUTE_PGM_RSRC3_GFX90A:ACCUM_OFFSET: 15
; COMPUTE_PGM_RSRC3_GFX90A:TG_SPLIT: 0
	.text
	.p2align	2                               ; -- Begin function _ZN4vllm22paged_attention_kernelIfhLi192ELi32ELi128ELNS_18Fp8KVCacheDataTypeE1ELb0ELi512EEEvPfS2_PT_PKS3_PKT0_S9_ifPKiSB_iPKfiiiSD_SD_iiiii
	.type	_ZN4vllm22paged_attention_kernelIfhLi192ELi32ELi128ELNS_18Fp8KVCacheDataTypeE1ELb0ELi512EEEvPfS2_PT_PKS3_PKT0_S9_ifPKiSB_iPKfiiiSD_SD_iiiii,@function
_ZN4vllm22paged_attention_kernelIfhLi192ELi32ELi128ELNS_18Fp8KVCacheDataTypeE1ELb0ELi512EEEvPfS2_PT_PKS3_PKT0_S9_ifPKiSB_iPKfiiiSD_SD_iiiii: ; @_ZN4vllm22paged_attention_kernelIfhLi192ELi32ELi128ELNS_18Fp8KVCacheDataTypeE1ELb0ELi512EEEvPfS2_PT_PKS3_PKT0_S9_ifPKiSB_iPKfiiiSD_SD_iiiii
; %bb.0:
	s_waitcnt vmcnt(0) expcnt(0) lgkmcnt(0)
	s_or_saveexec_b64 s[4:5], -1
	buffer_store_dword v63, off, s[0:3], s32 offset:1168 ; 4-byte Folded Spill
	s_mov_b64 exec, s[4:5]
	buffer_store_dword v40, off, s[0:3], s32 offset:184 ; 4-byte Folded Spill
	buffer_store_dword v41, off, s[0:3], s32 offset:180 ; 4-byte Folded Spill
	;; [unrolled: 1-line block ×46, first 2 shown]
	buffer_store_dword a63, off, s[0:3], s32 ; 4-byte Folded Spill
	v_writelane_b32 v63, s34, 0
	v_writelane_b32 v63, s35, 1
	;; [unrolled: 1-line block ×10, first 2 shown]
	s_mov_b32 s22, s13
	s_ashr_i32 s23, s13, 31
	s_lshl_b64 s[4:5], s[22:23], 2
	buffer_store_dword v26, off, s[0:3], s32 offset:1112 ; 4-byte Folded Spill
	s_nop 0
	buffer_store_dword v27, off, s[0:3], s32 offset:1116 ; 4-byte Folded Spill
	buffer_store_dword v24, off, s[0:3], s32 offset:656 ; 4-byte Folded Spill
	s_nop 0
	buffer_store_dword v25, off, s[0:3], s32 offset:660 ; 4-byte Folded Spill
	;; [unrolled: 3-line block ×3, first 2 shown]
	buffer_store_dword v15, off, s[0:3], s32 offset:1088 ; 4-byte Folded Spill
	buffer_store_dword v14, off, s[0:3], s32 offset:1092 ; 4-byte Folded Spill
	;; [unrolled: 1-line block ×5, first 2 shown]
	v_mov_b32_e32 v5, s5
	v_add_co_u32_e32 v4, vcc, s4, v16
	v_addc_co_u32_e32 v5, vcc, v17, v5, vcc
	flat_load_dword v62, v[4:5]
	s_lshl_b32 s23, s14, 9
	v_mov_b32_e32 v25, v20
	v_mov_b32_e32 v24, v19
	s_waitcnt vmcnt(0) lgkmcnt(0)
	v_cmp_lt_i32_e32 vcc, s23, v62
	s_and_saveexec_b64 s[16:17], vcc
	s_cbranch_execz .LBB253_1277
; %bb.1:
	v_sub_u32_e32 v4, 0, v12
	v_max_i32_e32 v4, v12, v4
	v_cvt_f32_u32_e32 v5, v4
	s_load_dword s4, s[8:9], 0x10
	s_load_dword s6, s[8:9], 0x0
	v_sub_u32_e32 v14, 0, v4
	s_mov_b32 s18, s15
	v_rcp_iflag_f32_e32 v5, v5
	s_waitcnt lgkmcnt(0)
	s_lshr_b32 s4, s4, 16
	s_cmp_lg_u32 s4, 0
	s_cselect_b64 s[4:5], -1, 0
	v_mul_f32_e32 v5, 0x4f7ffffe, v5
	v_cvt_u32_f32_e32 v5, v5
	s_cmp_lg_u64 s[4:5], 0
	s_addc_u32 s15, s6, 0
	s_abs_i32 s4, s15
	v_mul_lo_u32 v14, v14, v5
	v_mul_hi_u32 v14, v5, v14
	v_add_u32_e32 v5, v5, v14
	v_mul_hi_u32 v5, s4, v5
	v_mul_lo_u32 v14, v5, v4
	v_sub_u32_e32 v15, s4, v14
	v_add_u32_e32 v14, 1, v5
	v_cmp_ge_u32_e32 vcc, v15, v4
	v_cndmask_b32_e32 v5, v5, v14, vcc
	v_sub_u32_e32 v14, v15, v4
	v_cndmask_b32_e32 v15, v15, v14, vcc
	v_xor_b32_e32 v12, s15, v12
	v_add_u32_e32 v14, 1, v5
	v_cmp_ge_u32_e32 vcc, v15, v4
	v_ashrrev_i32_e32 v12, 31, v12
	v_cndmask_b32_e32 v4, v5, v14, vcc
	v_xor_b32_e32 v4, v4, v12
	v_sub_u32_e32 v12, v4, v12
	v_sub_u32_e32 v4, 0, v12
	v_max_i32_e32 v17, v12, v4
	v_cvt_f32_u32_e32 v4, v17
	v_sub_u32_e32 v5, 0, v17
	s_abs_i32 s6, s12
	v_cmp_ne_u64_e32 vcc, 0, v[24:25]
	v_rcp_iflag_f32_e32 v4, v4
	v_mul_f32_e32 v4, 0x4f7ffffe, v4
	v_cvt_u32_f32_e32 v4, v4
	v_mul_lo_u32 v5, v5, v4
	v_mul_hi_u32 v5, v4, v5
	v_add_u32_e32 v4, v4, v5
	v_mad_u64_u32 v[4:5], s[4:5], s6, v4, 0
	v_mov_b32_e32 v4, 0
	buffer_store_dword v4, off, s[0:3], s32 offset:1072 ; 4-byte Folded Spill
	s_and_saveexec_b64 s[4:5], vcc
	s_cbranch_execz .LBB253_3
; %bb.2:
	s_ashr_i32 s13, s12, 31
	s_lshl_b64 s[10:11], s[12:13], 2
	v_mov_b32_e32 v4, s11
	v_add_co_u32_e32 v14, vcc, s10, v24
	v_addc_co_u32_e32 v15, vcc, v25, v4, vcc
	flat_load_dword v4, v[14:15]
	s_waitcnt vmcnt(0) lgkmcnt(0)
	buffer_store_dword v4, off, s[0:3], s32 offset:1072 ; 4-byte Folded Spill
.LBB253_3:
	s_or_b64 exec, exec, s[4:5]
	v_and_b32_e32 v16, 0x3ff, v31
	s_movk_i32 s4, 0x60
	s_ashr_i32 s7, s12, 31
	v_ashrrev_i32_e32 v4, 31, v12
	v_and_b32_e32 v12, 1, v16
	s_mul_i32 s20, s12, 0xc0
	v_cmp_gt_u32_e32 vcc, s4, v16
	v_lshlrev_b32_e32 v13, 2, v16
	buffer_store_dword v13, off, s[0:3], s32 offset:1136 ; 4-byte Folded Spill
	s_and_saveexec_b64 s[4:5], vcc
	s_cbranch_execz .LBB253_5
; %bb.4:
	v_mul_lo_u32 v14, s22, v21
	v_ashrrev_i32_e32 v15, 31, v14
	v_lshlrev_b64 v[14:15], 2, v[14:15]
	v_add_co_u32_e32 v6, vcc, v6, v14
	s_ashr_i32 s21, s20, 31
	v_addc_co_u32_e32 v7, vcc, v7, v15, vcc
	s_lshl_b64 s[10:11], s[20:21], 2
	v_mov_b32_e32 v14, s11
	v_add_co_u32_e32 v6, vcc, s10, v6
	v_addc_co_u32_e32 v7, vcc, v7, v14, vcc
	v_lshlrev_b32_e32 v14, 3, v16
	v_add_co_u32_e32 v6, vcc, v6, v14
	v_addc_co_u32_e32 v7, vcc, 0, v7, vcc
	flat_load_dwordx2 v[6:7], v[6:7]
	v_lshlrev_b32_e32 v13, 2, v16
	v_and_b32_e32 v14, 0xff8, v13
	s_movk_i32 s10, 0x180
	v_mad_u32_u24 v14, v12, s10, v14
	s_waitcnt vmcnt(0) lgkmcnt(0)
	ds_write_b64 v14, v[6:7]
.LBB253_5:
	s_or_b64 exec, exec, s[4:5]
	v_add_u32_e32 v6, 31, v62
	v_ashrrev_i32_e32 v7, 31, v6
	v_lshrrev_b32_e32 v7, 27, v7
	v_add_u32_e32 v6, v6, v7
	s_lshl_b32 s21, s14, 4
	v_ashrrev_i32_e32 v6, 5, v6
	s_add_i32 s4, s21, 16
	buffer_store_dword v6, off, s[0:3], s32 offset:1140 ; 4-byte Folded Spill
	v_min_i32_e32 v14, s4, v6
	v_mul_lo_u32 v6, v5, v17
	v_sub_u32_e32 v6, s6, v6
	v_add_u32_e32 v7, 1, v5
	v_cmp_ge_u32_e32 vcc, v6, v17
	v_cndmask_b32_e32 v5, v5, v7, vcc
	v_sub_u32_e32 v7, v6, v17
	v_cndmask_b32_e32 v6, v6, v7, vcc
	v_add_u32_e32 v7, 1, v5
	v_cmp_ge_u32_e32 vcc, v6, v17
	v_xor_b32_e32 v4, s7, v4
	v_cndmask_b32_e32 v5, v5, v7, vcc
	v_lshrrev_b32_e32 v15, 6, v16
	v_xor_b32_e32 v5, v5, v4
	v_sub_u32_e32 v7, v5, v4
	v_mul_lo_u32 v4, s22, v18
	v_or_b32_e32 v6, s21, v15
	buffer_store_dword v16, off, s[0:3], s32 offset:1080 ; 4-byte Folded Spill
	v_ashrrev_i32_e32 v5, 31, v4
	v_cmp_lt_i32_e64 s[4:5], v6, v14
	v_mov_b32_e32 v16, v6
	v_cmp_ge_i32_e32 vcc, v6, v14
	v_mbcnt_lo_u32_b32 v6, -1, 0
                                        ; implicit-def: $vgpr13
	s_waitcnt lgkmcnt(0)
	s_barrier
	buffer_store_dword v15, off, s[0:3], s32 offset:1084 ; 4-byte Folded Spill
	buffer_store_dword v14, off, s[0:3], s32 offset:636 ; 4-byte Folded Spill
                                        ; implicit-def: $sgpr19
                                        ; kill: killed $vgpr13
                                        ; implicit-def: $vgpr13
                                        ; kill: killed $vgpr13
	s_and_saveexec_b64 s[6:7], vcc
	s_xor_b64 s[6:7], exec, s[6:7]
	s_cbranch_execz .LBB253_7
; %bb.6:
	v_mbcnt_hi_u32_b32 v6, -1, v6
	buffer_store_dword v6, off, s[0:3], s32 offset:1096 ; 4-byte Folded Spill
	v_and_b32_e32 v6, 64, v6
	v_add_u32_e32 v6, 64, v6
	buffer_store_dword v6, off, s[0:3], s32 offset:1100 ; 4-byte Folded Spill
                                        ; implicit-def: $vgpr6
                                        ; kill: killed $vgpr6
                                        ; implicit-def: $vgpr6
                                        ; kill: killed $vgpr6
                                        ; implicit-def: $vgpr6
	s_mov_b32 s19, 0xff7fffff
	buffer_store_dword v6, off, s[0:3], s32 offset:656 ; 4-byte Folded Spill
	s_nop 0
	buffer_store_dword v7, off, s[0:3], s32 offset:660 ; 4-byte Folded Spill
                                        ; implicit-def: $vgpr8
                                        ; implicit-def: $vgpr9
                                        ; implicit-def: $vgpr12
                                        ; implicit-def: $vgpr6
.LBB253_7:
	s_or_saveexec_b64 s[10:11], s[6:7]
	s_load_dword s40, s[8:9], 0x14
	s_load_dword s13, s[8:9], 0x8
	v_mul_lo_u32 v7, v7, v23
	v_ashrrev_i32_e32 v17, 31, v16
	v_mov_b32_e32 v14, s19
	buffer_store_dword v16, off, s[0:3], s32 offset:188 ; 4-byte Folded Spill
	s_nop 0
	buffer_store_dword v17, off, s[0:3], s32 offset:192 ; 4-byte Folded Spill
	buffer_store_dword v7, off, s[0:3], s32 offset:1132 ; 4-byte Folded Spill
	v_ashrrev_i32_e32 v7, 31, v7
	v_lshlrev_b64 v[4:5], 2, v[4:5]
	buffer_store_dword v7, off, s[0:3], s32 offset:1128 ; 4-byte Folded Spill
	buffer_store_dword v4, off, s[0:3], s32 offset:1120 ; 4-byte Folded Spill
	s_nop 0
	buffer_store_dword v5, off, s[0:3], s32 offset:1124 ; 4-byte Folded Spill
	s_xor_b64 exec, exec, s[10:11]
	s_cbranch_execz .LBB253_589
; %bb.8:
	buffer_store_dword v2, off, s[0:3], s32 offset:1144 ; 4-byte Folded Spill
	buffer_store_dword v3, off, s[0:3], s32 offset:1152 ; 4-byte Folded Spill
	;; [unrolled: 1-line block ×6, first 2 shown]
	buffer_load_dword v0, off, s[0:3], s32 offset:1080 ; 4-byte Folded Reload
	v_mbcnt_hi_u32_b32 v4, -1, v6
	buffer_load_dword v1, off, s[0:3], s32 offset:1128 ; 4-byte Folded Reload
	s_ashr_i32 s19, s18, 31
	s_lshl_b64 s[26:27], s[18:19], 2
	s_getpc_b64 s[28:29]
	s_add_u32 s28, s28, llvm.amdgcn.dynlds.offset.table@rel32@lo+4
	s_addc_u32 s29, s29, llvm.amdgcn.dynlds.offset.table@rel32@hi+12
	s_mov_b32 s24, 0
	s_add_u32 s26, s26, s28
	s_brev_b32 s25, 1
	v_mov_b32_e32 v31, 0
	v_cmp_eq_u32_e64 s[6:7], 0, v12
	s_addc_u32 s27, s27, s29
	s_mov_b64 s[28:29], 0
	s_movk_i32 s19, 0x80
	s_movk_i32 s41, 0x7f
	s_mov_b32 s31, 0x7f800001
	s_waitcnt vmcnt(1)
	v_bfe_u32 v2, v0, 1, 5
	buffer_load_dword v0, off, s[0:3], s32 offset:1132 ; 4-byte Folded Reload
	v_lshlrev_b32_e32 v3, 4, v2
	s_waitcnt vmcnt(0)
	v_add_co_u32_e32 v0, vcc, v8, v0
	v_addc_co_u32_e32 v1, vcc, v9, v1, vcc
	v_add_co_u32_e32 v0, vcc, v0, v3
	v_addc_co_u32_e32 v1, vcc, 0, v1, vcc
	buffer_store_dword v0, off, s[0:3], s32 offset:832 ; 4-byte Folded Spill
	s_nop 0
	buffer_store_dword v1, off, s[0:3], s32 offset:836 ; 4-byte Folded Spill
	v_lshlrev_b32_e32 v0, 1, v12
	v_and_b32_e32 v3, 64, v4
	v_add_u32_e32 v3, 64, v3
	buffer_store_dword v0, off, s[0:3], s32 offset:840 ; 4-byte Folded Spill
	s_nop 0
	buffer_store_dword v1, off, s[0:3], s32 offset:844 ; 4-byte Folded Spill
	v_mul_u32_u24_e32 v0, 0x180, v12
	ds_read_b128 v[8:11], v0
	s_waitcnt lgkmcnt(0)
	buffer_store_dword v8, off, s[0:3], s32 offset:672 ; 4-byte Folded Spill
	s_nop 0
	buffer_store_dword v9, off, s[0:3], s32 offset:676 ; 4-byte Folded Spill
	buffer_store_dword v10, off, s[0:3], s32 offset:680 ; 4-byte Folded Spill
	buffer_store_dword v11, off, s[0:3], s32 offset:684 ; 4-byte Folded Spill
	ds_read_b128 v[8:11], v0 offset:16
	s_waitcnt lgkmcnt(0)
	buffer_store_dword v8, off, s[0:3], s32 offset:688 ; 4-byte Folded Spill
	s_nop 0
	buffer_store_dword v9, off, s[0:3], s32 offset:692 ; 4-byte Folded Spill
	buffer_store_dword v10, off, s[0:3], s32 offset:696 ; 4-byte Folded Spill
	buffer_store_dword v11, off, s[0:3], s32 offset:700 ; 4-byte Folded Spill
	ds_read_b128 v[8:11], v0 offset:32
	;; [unrolled: 7-line block ×12, first 2 shown]
	v_xor_b32_e32 v1, 1, v4
	s_waitcnt lgkmcnt(0)
	buffer_store_dword v8, off, s[0:3], s32 offset:880 ; 4-byte Folded Spill
	s_nop 0
	buffer_store_dword v9, off, s[0:3], s32 offset:884 ; 4-byte Folded Spill
	buffer_store_dword v10, off, s[0:3], s32 offset:888 ; 4-byte Folded Spill
	;; [unrolled: 1-line block ×3, first 2 shown]
	v_cmp_lt_i32_e32 vcc, v1, v3
	buffer_store_dword v4, off, s[0:3], s32 offset:1096 ; 4-byte Folded Spill
	v_cndmask_b32_e32 v1, v4, v1, vcc
	ds_read_b128 v[4:7], v0 offset:208
	v_lshlrev_b32_e32 v1, 2, v1
	buffer_store_dword v3, off, s[0:3], s32 offset:1100 ; 4-byte Folded Spill
	buffer_store_dword v1, off, s[0:3], s32 offset:668 ; 4-byte Folded Spill
	buffer_load_dword v1, off, s[0:3], s32 offset:1072 ; 4-byte Folded Reload
	s_waitcnt lgkmcnt(0)
	buffer_store_dword v4, off, s[0:3], s32 offset:896 ; 4-byte Folded Spill
	s_nop 0
	buffer_store_dword v5, off, s[0:3], s32 offset:900 ; 4-byte Folded Spill
	buffer_store_dword v6, off, s[0:3], s32 offset:904 ; 4-byte Folded Spill
	buffer_store_dword v7, off, s[0:3], s32 offset:908 ; 4-byte Folded Spill
	ds_read_b128 v[4:7], v0 offset:224
	s_waitcnt lgkmcnt(0)
	buffer_store_dword v4, off, s[0:3], s32 offset:912 ; 4-byte Folded Spill
	s_nop 0
	buffer_store_dword v5, off, s[0:3], s32 offset:916 ; 4-byte Folded Spill
	buffer_store_dword v6, off, s[0:3], s32 offset:920 ; 4-byte Folded Spill
	buffer_store_dword v7, off, s[0:3], s32 offset:924 ; 4-byte Folded Spill
	ds_read_b128 v[4:7], v0 offset:240
	;; [unrolled: 7-line block ×10, first 2 shown]
	s_waitcnt lgkmcnt(0)
	buffer_store_dword v4, off, s[0:3], s32 offset:1056 ; 4-byte Folded Spill
	s_nop 0
	buffer_store_dword v5, off, s[0:3], s32 offset:1060 ; 4-byte Folded Spill
	buffer_store_dword v6, off, s[0:3], s32 offset:1064 ; 4-byte Folded Spill
	;; [unrolled: 1-line block ×3, first 2 shown]
	buffer_load_dword v4, off, s[0:3], s32 offset:188 ; 4-byte Folded Reload
	s_nop 0
	buffer_load_dword v5, off, s[0:3], s32 offset:192 ; 4-byte Folded Reload
	buffer_load_dword v6, off, s[0:3], s32 offset:1120 ; 4-byte Folded Reload
	;; [unrolled: 1-line block ×4, first 2 shown]
	s_waitcnt vmcnt(49)
	v_cmp_neq_f32_e64 s[8:9], 0, v1
	s_waitcnt vmcnt(3)
	v_lshlrev_b64 v[0:1], 2, v[4:5]
	s_waitcnt vmcnt(2)
	v_add_co_u32_e32 v0, vcc, v6, v0
	s_waitcnt vmcnt(1)
	v_addc_co_u32_e32 v1, vcc, v7, v1, vcc
	s_waitcnt vmcnt(0)
	v_add_co_u32_e32 v6, vcc, v3, v0
	buffer_load_dword v0, off, s[0:3], s32 offset:1088 ; 4-byte Folded Reload
	v_mov_b32_e32 v30, v4
	s_waitcnt vmcnt(0)
	v_addc_co_u32_e32 v7, vcc, v0, v1, vcc
	buffer_load_dword v1, off, s[0:3], s32 offset:1084 ; 4-byte Folded Reload
	s_waitcnt vmcnt(0)
	v_lshlrev_b32_e32 v0, 5, v1
	v_add3_u32 v0, s23, v0, v2
	buffer_store_dword v0, off, s[0:3], s32 offset:620 ; 4-byte Folded Spill
	v_lshlrev_b32_e32 v0, 2, v2
	v_lshl_or_b32 v0, v1, 7, v0
	buffer_store_dword v0, off, s[0:3], s32 offset:624 ; 4-byte Folded Spill
	v_mov_b32_e32 v0, 0xff7fffff
	buffer_store_dword v0, off, s[0:3], s32 offset:664 ; 4-byte Folded Spill
	s_branch .LBB253_10
.LBB253_9:                              ;   in Loop: Header=BB253_10 Depth=1
	s_or_b64 exec, exec, s[34:35]
	buffer_load_dword v6, off, s[0:3], s32 offset:640 ; 4-byte Folded Reload
	buffer_load_dword v7, off, s[0:3], s32 offset:644 ; 4-byte Folded Reload
	;; [unrolled: 1-line block ×3, first 2 shown]
	v_add_u32_e32 v30, 2, v30
	s_waitcnt vmcnt(2)
	v_add_co_u32_e32 v6, vcc, 8, v6
	s_waitcnt vmcnt(0)
	v_add_u32_e32 v0, 64, v0
	buffer_store_dword v0, off, s[0:3], s32 offset:620 ; 4-byte Folded Spill
	buffer_load_dword v0, off, s[0:3], s32 offset:636 ; 4-byte Folded Reload
	v_addc_co_u32_e32 v7, vcc, 0, v7, vcc
	s_waitcnt vmcnt(0)
	v_cmp_ge_i32_e32 vcc, v30, v0
	buffer_load_dword v0, off, s[0:3], s32 offset:624 ; 4-byte Folded Reload
	s_or_b64 s[28:29], vcc, s[28:29]
	s_waitcnt vmcnt(0)
	v_add_u32_e32 v0, 0x100, v0
	buffer_store_dword v0, off, s[0:3], s32 offset:624 ; 4-byte Folded Spill
	s_andn2_b64 exec, exec, s[28:29]
	s_cbranch_execz .LBB253_588
.LBB253_10:                             ; =>This Inner Loop Header: Depth=1
	buffer_store_dword v6, off, s[0:3], s32 offset:640 ; 4-byte Folded Spill
	s_nop 0
	buffer_store_dword v7, off, s[0:3], s32 offset:644 ; 4-byte Folded Spill
	flat_load_dword v0, v[6:7]
	buffer_load_dword v2, off, s[0:3], s32 offset:628 ; 4-byte Folded Reload
	buffer_load_dword v3, off, s[0:3], s32 offset:632 ; 4-byte Folded Reload
	;; [unrolled: 1-line block ×4, first 2 shown]
	s_waitcnt vmcnt(0) lgkmcnt(0)
	v_mad_i64_i32 v[0:1], vcc, v0, v2, v[4:5]
	buffer_load_dword v2, off, s[0:3], s32 offset:840 ; 4-byte Folded Reload
	buffer_load_dword v3, off, s[0:3], s32 offset:844 ; 4-byte Folded Reload
	s_waitcnt vmcnt(1)
	v_add_co_u32_e32 v10, vcc, v0, v2
	v_addc_co_u32_e32 v11, vcc, 0, v1, vcc
	flat_load_ushort v1, v[10:11]
	buffer_load_dword v2, off, s[0:3], s32 offset:656 ; 4-byte Folded Reload
	buffer_load_dword v3, off, s[0:3], s32 offset:660 ; 4-byte Folded Reload
	s_waitcnt vmcnt(0)
	flat_load_dword v0, v[2:3]
	v_pk_mov_b32 v[2:3], 0, 0
	s_waitcnt vmcnt(0) lgkmcnt(0)
	buffer_store_dword v0, off, s[0:3], s32 offset:648 ; 4-byte Folded Spill
	s_nop 0
	buffer_store_dword v1, off, s[0:3], s32 offset:652 ; 4-byte Folded Spill
	buffer_store_dword v2, off, s[0:3], s32 offset:204 ; 4-byte Folded Spill
	s_nop 0
	buffer_store_dword v3, off, s[0:3], s32 offset:208 ; 4-byte Folded Spill
	;; [unrolled: 3-line block ×3, first 2 shown]
	v_and_b32_e32 v0, 0xffff, v1
	v_cmp_ne_u16_sdwa vcc, v1, v31 src0_sel:BYTE_0 src1_sel:DWORD
	s_mov_b64 s[34:35], exec
	s_and_b64 vcc, s[34:35], vcc
	v_mov_b32_e32 v41, v30
	s_mov_b64 exec, vcc
	s_cbranch_execz .LBB253_16
; %bb.11:                               ;   in Loop: Header=BB253_10 Depth=1
	v_bfrev_b32_e32 v2, 1
	v_cmp_ne_u16_sdwa vcc, v0, s19 src0_sel:BYTE_0 src1_sel:DWORD
	v_mov_b32_e32 v3, 0
	buffer_store_dword v2, off, s[0:3], s32 offset:196 ; 4-byte Folded Spill
	s_nop 0
	buffer_store_dword v3, off, s[0:3], s32 offset:200 ; 4-byte Folded Spill
	s_and_saveexec_b64 s[36:37], vcc
	s_cbranch_execz .LBB253_15
; %bb.12:                               ;   in Loop: Header=BB253_10 Depth=1
	v_and_b32_e32 v1, 0x7f, v0
	v_mov_b32_e32 v2, 0x7f800001
	v_cmp_ne_u32_e32 vcc, s41, v1
	v_mov_b32_e32 v3, 0
	buffer_store_dword v2, off, s[0:3], s32 offset:196 ; 4-byte Folded Spill
	s_nop 0
	buffer_store_dword v3, off, s[0:3], s32 offset:200 ; 4-byte Folded Spill
	s_and_saveexec_b64 s[38:39], vcc
	s_cbranch_execz .LBB253_14
; %bb.13:                               ;   in Loop: Header=BB253_10 Depth=1
	v_and_b32_e32 v4, 7, v0
	v_lshrrev_b32_e32 v5, 3, v1
	v_cmp_gt_u32_e32 vcc, 8, v1
	v_ffbh_u32_e32 v1, v4
	v_min_u32_e32 v1, 32, v1
	v_subrev_u32_e32 v2, 28, v1
	v_lshlrev_b64 v[2:3], v2, v[0:1]
	v_sub_u32_e32 v1, 29, v1
	v_and_b32_e32 v2, 7, v2
	v_cndmask_b32_e32 v1, v5, v1, vcc
	v_cndmask_b32_e32 v2, v4, v2, vcc
	v_bfrev_b32_e32 v4, 60
	v_lshlrev_b32_e32 v2, 20, v2
	v_and_b32_sdwa v3, sext(v0), s25 dst_sel:DWORD dst_unused:UNUSED_PAD src0_sel:BYTE_0 src1_sel:DWORD
	v_lshl_add_u32 v1, v1, 23, v4
	v_or3_b32 v30, v3, v1, v2
	buffer_store_dword v30, off, s[0:3], s32 offset:196 ; 4-byte Folded Spill
	s_nop 0
	buffer_store_dword v31, off, s[0:3], s32 offset:200 ; 4-byte Folded Spill
	v_mov_b32_e32 v30, v41
.LBB253_14:                             ;   in Loop: Header=BB253_10 Depth=1
	s_or_b64 exec, exec, s[38:39]
.LBB253_15:                             ;   in Loop: Header=BB253_10 Depth=1
	s_or_b64 exec, exec, s[36:37]
.LBB253_16:                             ;   in Loop: Header=BB253_10 Depth=1
	s_or_b64 exec, exec, s[34:35]
	v_cmp_ne_u16_sdwa vcc, v0, v31 src0_sel:BYTE_1 src1_sel:DWORD
	s_and_saveexec_b64 s[34:35], vcc
	s_cbranch_execz .LBB253_22
; %bb.17:                               ;   in Loop: Header=BB253_10 Depth=1
	v_cmp_ne_u16_sdwa vcc, v0, s19 src0_sel:BYTE_1 src1_sel:DWORD
	v_pk_mov_b32 v[2:3], s[24:25], s[24:25] op_sel:[0,1]
	buffer_store_dword v2, off, s[0:3], s32 offset:204 ; 4-byte Folded Spill
	s_nop 0
	buffer_store_dword v3, off, s[0:3], s32 offset:208 ; 4-byte Folded Spill
	s_and_saveexec_b64 s[36:37], vcc
	s_cbranch_execz .LBB253_21
; %bb.18:                               ;   in Loop: Header=BB253_10 Depth=1
	v_and_b32_sdwa v1, v0, s41 dst_sel:DWORD dst_unused:UNUSED_PAD src0_sel:BYTE_1 src1_sel:DWORD
	s_mov_b32 s30, s24
	v_cmp_ne_u32_e32 vcc, s41, v1
	v_pk_mov_b32 v[2:3], s[30:31], s[30:31] op_sel:[0,1]
	buffer_store_dword v2, off, s[0:3], s32 offset:204 ; 4-byte Folded Spill
	s_nop 0
	buffer_store_dword v3, off, s[0:3], s32 offset:208 ; 4-byte Folded Spill
	s_and_saveexec_b64 s[38:39], vcc
	s_cbranch_execz .LBB253_20
; %bb.19:                               ;   in Loop: Header=BB253_10 Depth=1
	v_mov_b32_e32 v2, 7
	v_and_b32_sdwa v30, v0, v2 dst_sel:DWORD dst_unused:UNUSED_PAD src0_sel:BYTE_1 src1_sel:DWORD
	v_lshrrev_b32_e32 v4, 3, v1
	v_cmp_gt_u32_e32 vcc, 8, v1
	v_ffbh_u32_e32 v1, v30
	v_min_u32_e32 v1, 32, v1
	v_subrev_u32_e32 v2, 28, v1
	v_lshlrev_b64 v[2:3], v2, v[30:31]
	v_sub_u32_e32 v1, 29, v1
	v_and_b32_e32 v2, 7, v2
	v_cndmask_b32_e32 v1, v4, v1, vcc
	v_bfrev_b32_e32 v3, 60
	v_cndmask_b32_e32 v2, v30, v2, vcc
	v_lshlrev_b32_e32 v0, 16, v0
	v_lshl_add_u32 v1, v1, 23, v3
	v_and_or_b32 v0, v0, s25, v1
	v_lshlrev_b32_e32 v1, 20, v2
	v_mov_b32_e32 v30, v41
	v_or_b32_e32 v1, v0, v1
	v_mov_b32_e32 v0, v31
	buffer_store_dword v0, off, s[0:3], s32 offset:204 ; 4-byte Folded Spill
	s_nop 0
	buffer_store_dword v1, off, s[0:3], s32 offset:208 ; 4-byte Folded Spill
.LBB253_20:                             ;   in Loop: Header=BB253_10 Depth=1
	s_or_b64 exec, exec, s[38:39]
.LBB253_21:                             ;   in Loop: Header=BB253_10 Depth=1
	s_or_b64 exec, exec, s[36:37]
.LBB253_22:                             ;   in Loop: Header=BB253_10 Depth=1
	s_or_b64 exec, exec, s[34:35]
	flat_load_ushort v1, v[10:11] offset:4
	v_pk_mov_b32 v[2:3], 0, 0
	buffer_store_dword v2, off, s[0:3], s32 offset:220 ; 4-byte Folded Spill
	s_nop 0
	buffer_store_dword v3, off, s[0:3], s32 offset:224 ; 4-byte Folded Spill
	buffer_store_dword v2, off, s[0:3], s32 offset:212 ; 4-byte Folded Spill
	s_nop 0
	buffer_store_dword v3, off, s[0:3], s32 offset:216 ; 4-byte Folded Spill
	s_waitcnt vmcnt(0) lgkmcnt(0)
	v_and_b32_e32 v0, 0xffff, v1
	v_cmp_ne_u16_sdwa vcc, v1, v31 src0_sel:BYTE_0 src1_sel:DWORD
	s_and_saveexec_b64 s[34:35], vcc
	s_cbranch_execz .LBB253_28
; %bb.23:                               ;   in Loop: Header=BB253_10 Depth=1
	v_bfrev_b32_e32 v2, 1
	v_cmp_ne_u16_sdwa vcc, v0, s19 src0_sel:BYTE_0 src1_sel:DWORD
	v_mov_b32_e32 v3, 0
	buffer_store_dword v2, off, s[0:3], s32 offset:212 ; 4-byte Folded Spill
	s_nop 0
	buffer_store_dword v3, off, s[0:3], s32 offset:216 ; 4-byte Folded Spill
	s_and_saveexec_b64 s[36:37], vcc
	s_cbranch_execz .LBB253_27
; %bb.24:                               ;   in Loop: Header=BB253_10 Depth=1
	v_and_b32_e32 v1, 0x7f, v0
	v_mov_b32_e32 v2, 0x7f800001
	v_cmp_ne_u32_e32 vcc, s41, v1
	v_mov_b32_e32 v3, 0
	buffer_store_dword v2, off, s[0:3], s32 offset:212 ; 4-byte Folded Spill
	s_nop 0
	buffer_store_dword v3, off, s[0:3], s32 offset:216 ; 4-byte Folded Spill
	s_and_saveexec_b64 s[38:39], vcc
	s_cbranch_execz .LBB253_26
; %bb.25:                               ;   in Loop: Header=BB253_10 Depth=1
	v_and_b32_e32 v4, 7, v0
	v_lshrrev_b32_e32 v5, 3, v1
	v_cmp_gt_u32_e32 vcc, 8, v1
	v_ffbh_u32_e32 v1, v4
	v_min_u32_e32 v1, 32, v1
	v_subrev_u32_e32 v2, 28, v1
	v_lshlrev_b64 v[2:3], v2, v[0:1]
	v_sub_u32_e32 v1, 29, v1
	v_and_b32_e32 v2, 7, v2
	v_cndmask_b32_e32 v1, v5, v1, vcc
	v_cndmask_b32_e32 v2, v4, v2, vcc
	v_bfrev_b32_e32 v4, 60
	v_lshlrev_b32_e32 v2, 20, v2
	v_and_b32_sdwa v3, sext(v0), s25 dst_sel:DWORD dst_unused:UNUSED_PAD src0_sel:BYTE_0 src1_sel:DWORD
	v_lshl_add_u32 v1, v1, 23, v4
	v_or3_b32 v30, v3, v1, v2
	buffer_store_dword v30, off, s[0:3], s32 offset:212 ; 4-byte Folded Spill
	s_nop 0
	buffer_store_dword v31, off, s[0:3], s32 offset:216 ; 4-byte Folded Spill
	v_mov_b32_e32 v30, v41
.LBB253_26:                             ;   in Loop: Header=BB253_10 Depth=1
	s_or_b64 exec, exec, s[38:39]
.LBB253_27:                             ;   in Loop: Header=BB253_10 Depth=1
	s_or_b64 exec, exec, s[36:37]
.LBB253_28:                             ;   in Loop: Header=BB253_10 Depth=1
	s_or_b64 exec, exec, s[34:35]
	v_cmp_ne_u16_sdwa vcc, v0, v31 src0_sel:BYTE_1 src1_sel:DWORD
	s_and_saveexec_b64 s[34:35], vcc
	s_cbranch_execz .LBB253_34
; %bb.29:                               ;   in Loop: Header=BB253_10 Depth=1
	v_cmp_ne_u16_sdwa vcc, v0, s19 src0_sel:BYTE_1 src1_sel:DWORD
	v_pk_mov_b32 v[2:3], s[24:25], s[24:25] op_sel:[0,1]
	buffer_store_dword v2, off, s[0:3], s32 offset:220 ; 4-byte Folded Spill
	s_nop 0
	buffer_store_dword v3, off, s[0:3], s32 offset:224 ; 4-byte Folded Spill
	s_and_saveexec_b64 s[36:37], vcc
	s_cbranch_execz .LBB253_33
; %bb.30:                               ;   in Loop: Header=BB253_10 Depth=1
	v_and_b32_sdwa v1, v0, s41 dst_sel:DWORD dst_unused:UNUSED_PAD src0_sel:BYTE_1 src1_sel:DWORD
	s_mov_b32 s30, s24
	v_cmp_ne_u32_e32 vcc, s41, v1
	v_pk_mov_b32 v[2:3], s[30:31], s[30:31] op_sel:[0,1]
	buffer_store_dword v2, off, s[0:3], s32 offset:220 ; 4-byte Folded Spill
	s_nop 0
	buffer_store_dword v3, off, s[0:3], s32 offset:224 ; 4-byte Folded Spill
	s_and_saveexec_b64 s[38:39], vcc
	s_cbranch_execz .LBB253_32
; %bb.31:                               ;   in Loop: Header=BB253_10 Depth=1
	v_mov_b32_e32 v2, 7
	v_and_b32_sdwa v30, v0, v2 dst_sel:DWORD dst_unused:UNUSED_PAD src0_sel:BYTE_1 src1_sel:DWORD
	v_lshrrev_b32_e32 v4, 3, v1
	v_cmp_gt_u32_e32 vcc, 8, v1
	v_ffbh_u32_e32 v1, v30
	v_min_u32_e32 v1, 32, v1
	v_subrev_u32_e32 v2, 28, v1
	v_lshlrev_b64 v[2:3], v2, v[30:31]
	v_sub_u32_e32 v1, 29, v1
	v_and_b32_e32 v2, 7, v2
	v_cndmask_b32_e32 v1, v4, v1, vcc
	v_bfrev_b32_e32 v3, 60
	v_cndmask_b32_e32 v2, v30, v2, vcc
	v_lshlrev_b32_e32 v0, 16, v0
	v_lshl_add_u32 v1, v1, 23, v3
	v_and_or_b32 v0, v0, s25, v1
	v_lshlrev_b32_e32 v1, 20, v2
	v_mov_b32_e32 v30, v41
	v_or_b32_e32 v1, v0, v1
	v_mov_b32_e32 v0, v31
	buffer_store_dword v0, off, s[0:3], s32 offset:220 ; 4-byte Folded Spill
	s_nop 0
	buffer_store_dword v1, off, s[0:3], s32 offset:224 ; 4-byte Folded Spill
.LBB253_32:                             ;   in Loop: Header=BB253_10 Depth=1
	s_or_b64 exec, exec, s[38:39]
.LBB253_33:                             ;   in Loop: Header=BB253_10 Depth=1
	s_or_b64 exec, exec, s[36:37]
.LBB253_34:                             ;   in Loop: Header=BB253_10 Depth=1
	s_or_b64 exec, exec, s[34:35]
	flat_load_ushort v1, v[10:11] offset:8
	v_pk_mov_b32 v[2:3], 0, 0
	buffer_store_dword v2, off, s[0:3], s32 offset:236 ; 4-byte Folded Spill
	s_nop 0
	buffer_store_dword v3, off, s[0:3], s32 offset:240 ; 4-byte Folded Spill
	buffer_store_dword v2, off, s[0:3], s32 offset:228 ; 4-byte Folded Spill
	s_nop 0
	buffer_store_dword v3, off, s[0:3], s32 offset:232 ; 4-byte Folded Spill
	s_waitcnt vmcnt(0) lgkmcnt(0)
	v_and_b32_e32 v0, 0xffff, v1
	v_cmp_ne_u16_sdwa vcc, v1, v31 src0_sel:BYTE_0 src1_sel:DWORD
	s_and_saveexec_b64 s[34:35], vcc
	s_cbranch_execz .LBB253_40
; %bb.35:                               ;   in Loop: Header=BB253_10 Depth=1
	v_bfrev_b32_e32 v2, 1
	v_cmp_ne_u16_sdwa vcc, v0, s19 src0_sel:BYTE_0 src1_sel:DWORD
	v_mov_b32_e32 v3, 0
	buffer_store_dword v2, off, s[0:3], s32 offset:228 ; 4-byte Folded Spill
	s_nop 0
	buffer_store_dword v3, off, s[0:3], s32 offset:232 ; 4-byte Folded Spill
	s_and_saveexec_b64 s[36:37], vcc
	s_cbranch_execz .LBB253_39
; %bb.36:                               ;   in Loop: Header=BB253_10 Depth=1
	v_and_b32_e32 v1, 0x7f, v0
	v_mov_b32_e32 v2, 0x7f800001
	v_cmp_ne_u32_e32 vcc, s41, v1
	v_mov_b32_e32 v3, 0
	buffer_store_dword v2, off, s[0:3], s32 offset:228 ; 4-byte Folded Spill
	s_nop 0
	buffer_store_dword v3, off, s[0:3], s32 offset:232 ; 4-byte Folded Spill
	s_and_saveexec_b64 s[38:39], vcc
	s_cbranch_execz .LBB253_38
; %bb.37:                               ;   in Loop: Header=BB253_10 Depth=1
	v_and_b32_e32 v4, 7, v0
	v_lshrrev_b32_e32 v5, 3, v1
	v_cmp_gt_u32_e32 vcc, 8, v1
	v_ffbh_u32_e32 v1, v4
	v_min_u32_e32 v1, 32, v1
	v_subrev_u32_e32 v2, 28, v1
	v_lshlrev_b64 v[2:3], v2, v[0:1]
	v_sub_u32_e32 v1, 29, v1
	v_and_b32_e32 v2, 7, v2
	v_cndmask_b32_e32 v1, v5, v1, vcc
	v_cndmask_b32_e32 v2, v4, v2, vcc
	v_bfrev_b32_e32 v4, 60
	v_lshlrev_b32_e32 v2, 20, v2
	v_and_b32_sdwa v3, sext(v0), s25 dst_sel:DWORD dst_unused:UNUSED_PAD src0_sel:BYTE_0 src1_sel:DWORD
	v_lshl_add_u32 v1, v1, 23, v4
	v_or3_b32 v30, v3, v1, v2
	buffer_store_dword v30, off, s[0:3], s32 offset:228 ; 4-byte Folded Spill
	s_nop 0
	buffer_store_dword v31, off, s[0:3], s32 offset:232 ; 4-byte Folded Spill
	v_mov_b32_e32 v30, v41
.LBB253_38:                             ;   in Loop: Header=BB253_10 Depth=1
	s_or_b64 exec, exec, s[38:39]
.LBB253_39:                             ;   in Loop: Header=BB253_10 Depth=1
	s_or_b64 exec, exec, s[36:37]
.LBB253_40:                             ;   in Loop: Header=BB253_10 Depth=1
	s_or_b64 exec, exec, s[34:35]
	v_cmp_ne_u16_sdwa vcc, v0, v31 src0_sel:BYTE_1 src1_sel:DWORD
	s_and_saveexec_b64 s[34:35], vcc
	s_cbranch_execz .LBB253_46
; %bb.41:                               ;   in Loop: Header=BB253_10 Depth=1
	v_cmp_ne_u16_sdwa vcc, v0, s19 src0_sel:BYTE_1 src1_sel:DWORD
	v_pk_mov_b32 v[2:3], s[24:25], s[24:25] op_sel:[0,1]
	buffer_store_dword v2, off, s[0:3], s32 offset:236 ; 4-byte Folded Spill
	s_nop 0
	buffer_store_dword v3, off, s[0:3], s32 offset:240 ; 4-byte Folded Spill
	s_and_saveexec_b64 s[36:37], vcc
	s_cbranch_execz .LBB253_45
; %bb.42:                               ;   in Loop: Header=BB253_10 Depth=1
	v_and_b32_sdwa v1, v0, s41 dst_sel:DWORD dst_unused:UNUSED_PAD src0_sel:BYTE_1 src1_sel:DWORD
	s_mov_b32 s30, s24
	v_cmp_ne_u32_e32 vcc, s41, v1
	v_pk_mov_b32 v[2:3], s[30:31], s[30:31] op_sel:[0,1]
	buffer_store_dword v2, off, s[0:3], s32 offset:236 ; 4-byte Folded Spill
	s_nop 0
	buffer_store_dword v3, off, s[0:3], s32 offset:240 ; 4-byte Folded Spill
	s_and_saveexec_b64 s[38:39], vcc
	s_cbranch_execz .LBB253_44
; %bb.43:                               ;   in Loop: Header=BB253_10 Depth=1
	v_mov_b32_e32 v2, 7
	v_and_b32_sdwa v30, v0, v2 dst_sel:DWORD dst_unused:UNUSED_PAD src0_sel:BYTE_1 src1_sel:DWORD
	v_lshrrev_b32_e32 v4, 3, v1
	v_cmp_gt_u32_e32 vcc, 8, v1
	v_ffbh_u32_e32 v1, v30
	v_min_u32_e32 v1, 32, v1
	v_subrev_u32_e32 v2, 28, v1
	v_lshlrev_b64 v[2:3], v2, v[30:31]
	v_sub_u32_e32 v1, 29, v1
	v_and_b32_e32 v2, 7, v2
	v_cndmask_b32_e32 v1, v4, v1, vcc
	v_bfrev_b32_e32 v3, 60
	v_cndmask_b32_e32 v2, v30, v2, vcc
	v_lshlrev_b32_e32 v0, 16, v0
	v_lshl_add_u32 v1, v1, 23, v3
	v_and_or_b32 v0, v0, s25, v1
	v_lshlrev_b32_e32 v1, 20, v2
	v_mov_b32_e32 v30, v41
	v_or_b32_e32 v1, v0, v1
	v_mov_b32_e32 v0, v31
	buffer_store_dword v0, off, s[0:3], s32 offset:236 ; 4-byte Folded Spill
	s_nop 0
	buffer_store_dword v1, off, s[0:3], s32 offset:240 ; 4-byte Folded Spill
.LBB253_44:                             ;   in Loop: Header=BB253_10 Depth=1
	s_or_b64 exec, exec, s[38:39]
.LBB253_45:                             ;   in Loop: Header=BB253_10 Depth=1
	s_or_b64 exec, exec, s[36:37]
.LBB253_46:                             ;   in Loop: Header=BB253_10 Depth=1
	s_or_b64 exec, exec, s[34:35]
	flat_load_ushort v1, v[10:11] offset:12
	v_pk_mov_b32 v[2:3], 0, 0
	buffer_store_dword v2, off, s[0:3], s32 offset:252 ; 4-byte Folded Spill
	s_nop 0
	buffer_store_dword v3, off, s[0:3], s32 offset:256 ; 4-byte Folded Spill
	buffer_store_dword v2, off, s[0:3], s32 offset:244 ; 4-byte Folded Spill
	s_nop 0
	buffer_store_dword v3, off, s[0:3], s32 offset:248 ; 4-byte Folded Spill
	s_waitcnt vmcnt(0) lgkmcnt(0)
	v_and_b32_e32 v0, 0xffff, v1
	v_cmp_ne_u16_sdwa vcc, v1, v31 src0_sel:BYTE_0 src1_sel:DWORD
	s_and_saveexec_b64 s[34:35], vcc
	s_cbranch_execz .LBB253_52
; %bb.47:                               ;   in Loop: Header=BB253_10 Depth=1
	v_bfrev_b32_e32 v2, 1
	v_cmp_ne_u16_sdwa vcc, v0, s19 src0_sel:BYTE_0 src1_sel:DWORD
	v_mov_b32_e32 v3, 0
	buffer_store_dword v2, off, s[0:3], s32 offset:244 ; 4-byte Folded Spill
	s_nop 0
	buffer_store_dword v3, off, s[0:3], s32 offset:248 ; 4-byte Folded Spill
	s_and_saveexec_b64 s[36:37], vcc
	s_cbranch_execz .LBB253_51
; %bb.48:                               ;   in Loop: Header=BB253_10 Depth=1
	v_and_b32_e32 v1, 0x7f, v0
	v_mov_b32_e32 v2, 0x7f800001
	v_cmp_ne_u32_e32 vcc, s41, v1
	v_mov_b32_e32 v3, 0
	buffer_store_dword v2, off, s[0:3], s32 offset:244 ; 4-byte Folded Spill
	s_nop 0
	buffer_store_dword v3, off, s[0:3], s32 offset:248 ; 4-byte Folded Spill
	s_and_saveexec_b64 s[38:39], vcc
	s_cbranch_execz .LBB253_50
; %bb.49:                               ;   in Loop: Header=BB253_10 Depth=1
	v_and_b32_e32 v4, 7, v0
	v_lshrrev_b32_e32 v5, 3, v1
	v_cmp_gt_u32_e32 vcc, 8, v1
	v_ffbh_u32_e32 v1, v4
	v_min_u32_e32 v1, 32, v1
	v_subrev_u32_e32 v2, 28, v1
	v_lshlrev_b64 v[2:3], v2, v[0:1]
	v_sub_u32_e32 v1, 29, v1
	v_and_b32_e32 v2, 7, v2
	v_cndmask_b32_e32 v1, v5, v1, vcc
	v_cndmask_b32_e32 v2, v4, v2, vcc
	v_bfrev_b32_e32 v4, 60
	v_lshlrev_b32_e32 v2, 20, v2
	v_and_b32_sdwa v3, sext(v0), s25 dst_sel:DWORD dst_unused:UNUSED_PAD src0_sel:BYTE_0 src1_sel:DWORD
	v_lshl_add_u32 v1, v1, 23, v4
	v_or3_b32 v30, v3, v1, v2
	buffer_store_dword v30, off, s[0:3], s32 offset:244 ; 4-byte Folded Spill
	s_nop 0
	buffer_store_dword v31, off, s[0:3], s32 offset:248 ; 4-byte Folded Spill
	v_mov_b32_e32 v30, v41
.LBB253_50:                             ;   in Loop: Header=BB253_10 Depth=1
	s_or_b64 exec, exec, s[38:39]
.LBB253_51:                             ;   in Loop: Header=BB253_10 Depth=1
	s_or_b64 exec, exec, s[36:37]
.LBB253_52:                             ;   in Loop: Header=BB253_10 Depth=1
	s_or_b64 exec, exec, s[34:35]
	v_cmp_ne_u16_sdwa vcc, v0, v31 src0_sel:BYTE_1 src1_sel:DWORD
	s_and_saveexec_b64 s[34:35], vcc
	s_cbranch_execz .LBB253_58
; %bb.53:                               ;   in Loop: Header=BB253_10 Depth=1
	v_cmp_ne_u16_sdwa vcc, v0, s19 src0_sel:BYTE_1 src1_sel:DWORD
	v_pk_mov_b32 v[2:3], s[24:25], s[24:25] op_sel:[0,1]
	buffer_store_dword v2, off, s[0:3], s32 offset:252 ; 4-byte Folded Spill
	s_nop 0
	buffer_store_dword v3, off, s[0:3], s32 offset:256 ; 4-byte Folded Spill
	s_and_saveexec_b64 s[36:37], vcc
	s_cbranch_execz .LBB253_57
; %bb.54:                               ;   in Loop: Header=BB253_10 Depth=1
	v_and_b32_sdwa v1, v0, s41 dst_sel:DWORD dst_unused:UNUSED_PAD src0_sel:BYTE_1 src1_sel:DWORD
	s_mov_b32 s30, s24
	v_cmp_ne_u32_e32 vcc, s41, v1
	v_pk_mov_b32 v[2:3], s[30:31], s[30:31] op_sel:[0,1]
	buffer_store_dword v2, off, s[0:3], s32 offset:252 ; 4-byte Folded Spill
	s_nop 0
	buffer_store_dword v3, off, s[0:3], s32 offset:256 ; 4-byte Folded Spill
	s_and_saveexec_b64 s[38:39], vcc
	s_cbranch_execz .LBB253_56
; %bb.55:                               ;   in Loop: Header=BB253_10 Depth=1
	v_mov_b32_e32 v2, 7
	v_and_b32_sdwa v30, v0, v2 dst_sel:DWORD dst_unused:UNUSED_PAD src0_sel:BYTE_1 src1_sel:DWORD
	v_lshrrev_b32_e32 v4, 3, v1
	v_cmp_gt_u32_e32 vcc, 8, v1
	v_ffbh_u32_e32 v1, v30
	v_min_u32_e32 v1, 32, v1
	v_subrev_u32_e32 v2, 28, v1
	v_lshlrev_b64 v[2:3], v2, v[30:31]
	v_sub_u32_e32 v1, 29, v1
	v_and_b32_e32 v2, 7, v2
	v_cndmask_b32_e32 v1, v4, v1, vcc
	v_bfrev_b32_e32 v3, 60
	v_cndmask_b32_e32 v2, v30, v2, vcc
	v_lshlrev_b32_e32 v0, 16, v0
	v_lshl_add_u32 v1, v1, 23, v3
	v_and_or_b32 v0, v0, s25, v1
	v_lshlrev_b32_e32 v1, 20, v2
	v_mov_b32_e32 v30, v41
	v_or_b32_e32 v1, v0, v1
	v_mov_b32_e32 v0, v31
	buffer_store_dword v0, off, s[0:3], s32 offset:252 ; 4-byte Folded Spill
	s_nop 0
	buffer_store_dword v1, off, s[0:3], s32 offset:256 ; 4-byte Folded Spill
.LBB253_56:                             ;   in Loop: Header=BB253_10 Depth=1
	s_or_b64 exec, exec, s[38:39]
.LBB253_57:                             ;   in Loop: Header=BB253_10 Depth=1
	s_or_b64 exec, exec, s[36:37]
.LBB253_58:                             ;   in Loop: Header=BB253_10 Depth=1
	s_or_b64 exec, exec, s[34:35]
	flat_load_ushort v1, v[10:11] offset:512
	v_pk_mov_b32 v[2:3], 0, 0
	buffer_store_dword v2, off, s[0:3], s32 offset:268 ; 4-byte Folded Spill
	s_nop 0
	buffer_store_dword v3, off, s[0:3], s32 offset:272 ; 4-byte Folded Spill
	buffer_store_dword v2, off, s[0:3], s32 offset:260 ; 4-byte Folded Spill
	s_nop 0
	buffer_store_dword v3, off, s[0:3], s32 offset:264 ; 4-byte Folded Spill
	s_waitcnt vmcnt(0) lgkmcnt(0)
	v_and_b32_e32 v0, 0xffff, v1
	v_cmp_ne_u16_sdwa vcc, v1, v31 src0_sel:BYTE_0 src1_sel:DWORD
	s_and_saveexec_b64 s[34:35], vcc
	s_cbranch_execz .LBB253_64
; %bb.59:                               ;   in Loop: Header=BB253_10 Depth=1
	v_bfrev_b32_e32 v2, 1
	v_cmp_ne_u16_sdwa vcc, v0, s19 src0_sel:BYTE_0 src1_sel:DWORD
	v_mov_b32_e32 v3, 0
	buffer_store_dword v2, off, s[0:3], s32 offset:260 ; 4-byte Folded Spill
	s_nop 0
	buffer_store_dword v3, off, s[0:3], s32 offset:264 ; 4-byte Folded Spill
	s_and_saveexec_b64 s[36:37], vcc
	s_cbranch_execz .LBB253_63
; %bb.60:                               ;   in Loop: Header=BB253_10 Depth=1
	v_and_b32_e32 v1, 0x7f, v0
	v_mov_b32_e32 v2, 0x7f800001
	v_cmp_ne_u32_e32 vcc, s41, v1
	v_mov_b32_e32 v3, 0
	buffer_store_dword v2, off, s[0:3], s32 offset:260 ; 4-byte Folded Spill
	s_nop 0
	buffer_store_dword v3, off, s[0:3], s32 offset:264 ; 4-byte Folded Spill
	s_and_saveexec_b64 s[38:39], vcc
	s_cbranch_execz .LBB253_62
; %bb.61:                               ;   in Loop: Header=BB253_10 Depth=1
	v_and_b32_e32 v4, 7, v0
	v_lshrrev_b32_e32 v5, 3, v1
	v_cmp_gt_u32_e32 vcc, 8, v1
	v_ffbh_u32_e32 v1, v4
	v_min_u32_e32 v1, 32, v1
	v_subrev_u32_e32 v2, 28, v1
	v_lshlrev_b64 v[2:3], v2, v[0:1]
	v_sub_u32_e32 v1, 29, v1
	v_and_b32_e32 v2, 7, v2
	v_cndmask_b32_e32 v1, v5, v1, vcc
	v_cndmask_b32_e32 v2, v4, v2, vcc
	v_bfrev_b32_e32 v4, 60
	v_lshlrev_b32_e32 v2, 20, v2
	v_and_b32_sdwa v3, sext(v0), s25 dst_sel:DWORD dst_unused:UNUSED_PAD src0_sel:BYTE_0 src1_sel:DWORD
	v_lshl_add_u32 v1, v1, 23, v4
	v_or3_b32 v30, v3, v1, v2
	buffer_store_dword v30, off, s[0:3], s32 offset:260 ; 4-byte Folded Spill
	s_nop 0
	buffer_store_dword v31, off, s[0:3], s32 offset:264 ; 4-byte Folded Spill
	v_mov_b32_e32 v30, v41
.LBB253_62:                             ;   in Loop: Header=BB253_10 Depth=1
	s_or_b64 exec, exec, s[38:39]
.LBB253_63:                             ;   in Loop: Header=BB253_10 Depth=1
	s_or_b64 exec, exec, s[36:37]
.LBB253_64:                             ;   in Loop: Header=BB253_10 Depth=1
	s_or_b64 exec, exec, s[34:35]
	v_cmp_ne_u16_sdwa vcc, v0, v31 src0_sel:BYTE_1 src1_sel:DWORD
	s_and_saveexec_b64 s[34:35], vcc
	s_cbranch_execz .LBB253_70
; %bb.65:                               ;   in Loop: Header=BB253_10 Depth=1
	v_cmp_ne_u16_sdwa vcc, v0, s19 src0_sel:BYTE_1 src1_sel:DWORD
	v_pk_mov_b32 v[2:3], s[24:25], s[24:25] op_sel:[0,1]
	buffer_store_dword v2, off, s[0:3], s32 offset:268 ; 4-byte Folded Spill
	s_nop 0
	buffer_store_dword v3, off, s[0:3], s32 offset:272 ; 4-byte Folded Spill
	s_and_saveexec_b64 s[36:37], vcc
	s_cbranch_execz .LBB253_69
; %bb.66:                               ;   in Loop: Header=BB253_10 Depth=1
	v_and_b32_sdwa v1, v0, s41 dst_sel:DWORD dst_unused:UNUSED_PAD src0_sel:BYTE_1 src1_sel:DWORD
	s_mov_b32 s30, s24
	v_cmp_ne_u32_e32 vcc, s41, v1
	v_pk_mov_b32 v[2:3], s[30:31], s[30:31] op_sel:[0,1]
	buffer_store_dword v2, off, s[0:3], s32 offset:268 ; 4-byte Folded Spill
	s_nop 0
	buffer_store_dword v3, off, s[0:3], s32 offset:272 ; 4-byte Folded Spill
	s_and_saveexec_b64 s[38:39], vcc
	s_cbranch_execz .LBB253_68
; %bb.67:                               ;   in Loop: Header=BB253_10 Depth=1
	v_mov_b32_e32 v2, 7
	v_and_b32_sdwa v30, v0, v2 dst_sel:DWORD dst_unused:UNUSED_PAD src0_sel:BYTE_1 src1_sel:DWORD
	v_lshrrev_b32_e32 v4, 3, v1
	v_cmp_gt_u32_e32 vcc, 8, v1
	v_ffbh_u32_e32 v1, v30
	v_min_u32_e32 v1, 32, v1
	v_subrev_u32_e32 v2, 28, v1
	v_lshlrev_b64 v[2:3], v2, v[30:31]
	v_sub_u32_e32 v1, 29, v1
	v_and_b32_e32 v2, 7, v2
	v_cndmask_b32_e32 v1, v4, v1, vcc
	v_bfrev_b32_e32 v3, 60
	v_cndmask_b32_e32 v2, v30, v2, vcc
	v_lshlrev_b32_e32 v0, 16, v0
	v_lshl_add_u32 v1, v1, 23, v3
	v_and_or_b32 v0, v0, s25, v1
	v_lshlrev_b32_e32 v1, 20, v2
	v_mov_b32_e32 v30, v41
	v_or_b32_e32 v1, v0, v1
	v_mov_b32_e32 v0, v31
	buffer_store_dword v0, off, s[0:3], s32 offset:268 ; 4-byte Folded Spill
	s_nop 0
	buffer_store_dword v1, off, s[0:3], s32 offset:272 ; 4-byte Folded Spill
.LBB253_68:                             ;   in Loop: Header=BB253_10 Depth=1
	s_or_b64 exec, exec, s[38:39]
.LBB253_69:                             ;   in Loop: Header=BB253_10 Depth=1
	s_or_b64 exec, exec, s[36:37]
.LBB253_70:                             ;   in Loop: Header=BB253_10 Depth=1
	s_or_b64 exec, exec, s[34:35]
	flat_load_ushort v1, v[10:11] offset:516
	v_pk_mov_b32 v[2:3], 0, 0
	buffer_store_dword v2, off, s[0:3], s32 offset:284 ; 4-byte Folded Spill
	s_nop 0
	buffer_store_dword v3, off, s[0:3], s32 offset:288 ; 4-byte Folded Spill
	buffer_store_dword v2, off, s[0:3], s32 offset:276 ; 4-byte Folded Spill
	s_nop 0
	buffer_store_dword v3, off, s[0:3], s32 offset:280 ; 4-byte Folded Spill
	s_waitcnt vmcnt(0) lgkmcnt(0)
	v_and_b32_e32 v0, 0xffff, v1
	v_cmp_ne_u16_sdwa vcc, v1, v31 src0_sel:BYTE_0 src1_sel:DWORD
	s_and_saveexec_b64 s[34:35], vcc
	s_cbranch_execz .LBB253_76
; %bb.71:                               ;   in Loop: Header=BB253_10 Depth=1
	v_bfrev_b32_e32 v2, 1
	v_cmp_ne_u16_sdwa vcc, v0, s19 src0_sel:BYTE_0 src1_sel:DWORD
	v_mov_b32_e32 v3, 0
	buffer_store_dword v2, off, s[0:3], s32 offset:276 ; 4-byte Folded Spill
	s_nop 0
	buffer_store_dword v3, off, s[0:3], s32 offset:280 ; 4-byte Folded Spill
	s_and_saveexec_b64 s[36:37], vcc
	s_cbranch_execz .LBB253_75
; %bb.72:                               ;   in Loop: Header=BB253_10 Depth=1
	v_and_b32_e32 v1, 0x7f, v0
	v_mov_b32_e32 v2, 0x7f800001
	v_cmp_ne_u32_e32 vcc, s41, v1
	v_mov_b32_e32 v3, 0
	buffer_store_dword v2, off, s[0:3], s32 offset:276 ; 4-byte Folded Spill
	s_nop 0
	buffer_store_dword v3, off, s[0:3], s32 offset:280 ; 4-byte Folded Spill
	s_and_saveexec_b64 s[38:39], vcc
	s_cbranch_execz .LBB253_74
; %bb.73:                               ;   in Loop: Header=BB253_10 Depth=1
	v_and_b32_e32 v4, 7, v0
	v_lshrrev_b32_e32 v5, 3, v1
	v_cmp_gt_u32_e32 vcc, 8, v1
	v_ffbh_u32_e32 v1, v4
	v_min_u32_e32 v1, 32, v1
	v_subrev_u32_e32 v2, 28, v1
	v_lshlrev_b64 v[2:3], v2, v[0:1]
	v_sub_u32_e32 v1, 29, v1
	v_and_b32_e32 v2, 7, v2
	v_cndmask_b32_e32 v1, v5, v1, vcc
	v_cndmask_b32_e32 v2, v4, v2, vcc
	v_bfrev_b32_e32 v4, 60
	v_lshlrev_b32_e32 v2, 20, v2
	v_and_b32_sdwa v3, sext(v0), s25 dst_sel:DWORD dst_unused:UNUSED_PAD src0_sel:BYTE_0 src1_sel:DWORD
	v_lshl_add_u32 v1, v1, 23, v4
	v_or3_b32 v30, v3, v1, v2
	buffer_store_dword v30, off, s[0:3], s32 offset:276 ; 4-byte Folded Spill
	s_nop 0
	buffer_store_dword v31, off, s[0:3], s32 offset:280 ; 4-byte Folded Spill
	v_mov_b32_e32 v30, v41
.LBB253_74:                             ;   in Loop: Header=BB253_10 Depth=1
	s_or_b64 exec, exec, s[38:39]
.LBB253_75:                             ;   in Loop: Header=BB253_10 Depth=1
	s_or_b64 exec, exec, s[36:37]
.LBB253_76:                             ;   in Loop: Header=BB253_10 Depth=1
	s_or_b64 exec, exec, s[34:35]
	v_cmp_ne_u16_sdwa vcc, v0, v31 src0_sel:BYTE_1 src1_sel:DWORD
	s_and_saveexec_b64 s[34:35], vcc
	s_cbranch_execz .LBB253_82
; %bb.77:                               ;   in Loop: Header=BB253_10 Depth=1
	v_cmp_ne_u16_sdwa vcc, v0, s19 src0_sel:BYTE_1 src1_sel:DWORD
	v_pk_mov_b32 v[2:3], s[24:25], s[24:25] op_sel:[0,1]
	buffer_store_dword v2, off, s[0:3], s32 offset:284 ; 4-byte Folded Spill
	s_nop 0
	buffer_store_dword v3, off, s[0:3], s32 offset:288 ; 4-byte Folded Spill
	s_and_saveexec_b64 s[36:37], vcc
	s_cbranch_execz .LBB253_81
; %bb.78:                               ;   in Loop: Header=BB253_10 Depth=1
	v_and_b32_sdwa v1, v0, s41 dst_sel:DWORD dst_unused:UNUSED_PAD src0_sel:BYTE_1 src1_sel:DWORD
	s_mov_b32 s30, s24
	v_cmp_ne_u32_e32 vcc, s41, v1
	v_pk_mov_b32 v[2:3], s[30:31], s[30:31] op_sel:[0,1]
	buffer_store_dword v2, off, s[0:3], s32 offset:284 ; 4-byte Folded Spill
	s_nop 0
	buffer_store_dword v3, off, s[0:3], s32 offset:288 ; 4-byte Folded Spill
	s_and_saveexec_b64 s[38:39], vcc
	s_cbranch_execz .LBB253_80
; %bb.79:                               ;   in Loop: Header=BB253_10 Depth=1
	v_mov_b32_e32 v2, 7
	v_and_b32_sdwa v30, v0, v2 dst_sel:DWORD dst_unused:UNUSED_PAD src0_sel:BYTE_1 src1_sel:DWORD
	v_lshrrev_b32_e32 v4, 3, v1
	v_cmp_gt_u32_e32 vcc, 8, v1
	v_ffbh_u32_e32 v1, v30
	v_min_u32_e32 v1, 32, v1
	v_subrev_u32_e32 v2, 28, v1
	v_lshlrev_b64 v[2:3], v2, v[30:31]
	v_sub_u32_e32 v1, 29, v1
	v_and_b32_e32 v2, 7, v2
	v_cndmask_b32_e32 v1, v4, v1, vcc
	v_bfrev_b32_e32 v3, 60
	v_cndmask_b32_e32 v2, v30, v2, vcc
	v_lshlrev_b32_e32 v0, 16, v0
	v_lshl_add_u32 v1, v1, 23, v3
	v_and_or_b32 v0, v0, s25, v1
	v_lshlrev_b32_e32 v1, 20, v2
	v_mov_b32_e32 v30, v41
	v_or_b32_e32 v1, v0, v1
	v_mov_b32_e32 v0, v31
	buffer_store_dword v0, off, s[0:3], s32 offset:284 ; 4-byte Folded Spill
	s_nop 0
	buffer_store_dword v1, off, s[0:3], s32 offset:288 ; 4-byte Folded Spill
.LBB253_80:                             ;   in Loop: Header=BB253_10 Depth=1
	s_or_b64 exec, exec, s[38:39]
.LBB253_81:                             ;   in Loop: Header=BB253_10 Depth=1
	s_or_b64 exec, exec, s[36:37]
.LBB253_82:                             ;   in Loop: Header=BB253_10 Depth=1
	s_or_b64 exec, exec, s[34:35]
	v_add_co_u32_e32 v0, vcc, 0x200, v10
	v_addc_co_u32_e32 v1, vcc, 0, v11, vcc
	flat_load_ushort v3, v[0:1] offset:8
	v_pk_mov_b32 v[4:5], 0, 0
	buffer_store_dword v4, off, s[0:3], s32 offset:300 ; 4-byte Folded Spill
	s_nop 0
	buffer_store_dword v5, off, s[0:3], s32 offset:304 ; 4-byte Folded Spill
	buffer_store_dword v4, off, s[0:3], s32 offset:292 ; 4-byte Folded Spill
	s_nop 0
	buffer_store_dword v5, off, s[0:3], s32 offset:296 ; 4-byte Folded Spill
	s_waitcnt vmcnt(0) lgkmcnt(0)
	v_and_b32_e32 v2, 0xffff, v3
	v_cmp_ne_u16_sdwa vcc, v3, v31 src0_sel:BYTE_0 src1_sel:DWORD
	s_and_saveexec_b64 s[34:35], vcc
	s_cbranch_execz .LBB253_88
; %bb.83:                               ;   in Loop: Header=BB253_10 Depth=1
	v_bfrev_b32_e32 v4, 1
	v_cmp_ne_u16_sdwa vcc, v2, s19 src0_sel:BYTE_0 src1_sel:DWORD
	v_mov_b32_e32 v5, 0
	buffer_store_dword v4, off, s[0:3], s32 offset:292 ; 4-byte Folded Spill
	s_nop 0
	buffer_store_dword v5, off, s[0:3], s32 offset:296 ; 4-byte Folded Spill
	s_and_saveexec_b64 s[36:37], vcc
	s_cbranch_execz .LBB253_87
; %bb.84:                               ;   in Loop: Header=BB253_10 Depth=1
	v_and_b32_e32 v3, 0x7f, v2
	v_mov_b32_e32 v4, 0x7f800001
	v_cmp_ne_u32_e32 vcc, s41, v3
	v_mov_b32_e32 v5, 0
	buffer_store_dword v4, off, s[0:3], s32 offset:292 ; 4-byte Folded Spill
	s_nop 0
	buffer_store_dword v5, off, s[0:3], s32 offset:296 ; 4-byte Folded Spill
	s_and_saveexec_b64 s[38:39], vcc
	s_cbranch_execz .LBB253_86
; %bb.85:                               ;   in Loop: Header=BB253_10 Depth=1
	v_and_b32_e32 v6, 7, v2
	v_lshrrev_b32_e32 v7, 3, v3
	v_cmp_gt_u32_e32 vcc, 8, v3
	v_ffbh_u32_e32 v3, v6
	v_min_u32_e32 v3, 32, v3
	v_subrev_u32_e32 v4, 28, v3
	v_lshlrev_b64 v[4:5], v4, v[2:3]
	v_sub_u32_e32 v3, 29, v3
	v_and_b32_e32 v4, 7, v4
	v_cndmask_b32_e32 v3, v7, v3, vcc
	v_cndmask_b32_e32 v4, v6, v4, vcc
	v_bfrev_b32_e32 v6, 60
	v_lshlrev_b32_e32 v4, 20, v4
	v_and_b32_sdwa v5, sext(v2), s25 dst_sel:DWORD dst_unused:UNUSED_PAD src0_sel:BYTE_0 src1_sel:DWORD
	v_lshl_add_u32 v3, v3, 23, v6
	v_or3_b32 v30, v5, v3, v4
	buffer_store_dword v30, off, s[0:3], s32 offset:292 ; 4-byte Folded Spill
	s_nop 0
	buffer_store_dword v31, off, s[0:3], s32 offset:296 ; 4-byte Folded Spill
	v_mov_b32_e32 v30, v41
.LBB253_86:                             ;   in Loop: Header=BB253_10 Depth=1
	s_or_b64 exec, exec, s[38:39]
.LBB253_87:                             ;   in Loop: Header=BB253_10 Depth=1
	s_or_b64 exec, exec, s[36:37]
.LBB253_88:                             ;   in Loop: Header=BB253_10 Depth=1
	s_or_b64 exec, exec, s[34:35]
	v_cmp_ne_u16_sdwa vcc, v2, v31 src0_sel:BYTE_1 src1_sel:DWORD
	s_and_saveexec_b64 s[34:35], vcc
	s_cbranch_execz .LBB253_94
; %bb.89:                               ;   in Loop: Header=BB253_10 Depth=1
	v_cmp_ne_u16_sdwa vcc, v2, s19 src0_sel:BYTE_1 src1_sel:DWORD
	v_pk_mov_b32 v[4:5], s[24:25], s[24:25] op_sel:[0,1]
	buffer_store_dword v4, off, s[0:3], s32 offset:300 ; 4-byte Folded Spill
	s_nop 0
	buffer_store_dword v5, off, s[0:3], s32 offset:304 ; 4-byte Folded Spill
	s_and_saveexec_b64 s[36:37], vcc
	s_cbranch_execz .LBB253_93
; %bb.90:                               ;   in Loop: Header=BB253_10 Depth=1
	v_and_b32_sdwa v3, v2, s41 dst_sel:DWORD dst_unused:UNUSED_PAD src0_sel:BYTE_1 src1_sel:DWORD
	s_mov_b32 s30, s24
	v_cmp_ne_u32_e32 vcc, s41, v3
	v_pk_mov_b32 v[4:5], s[30:31], s[30:31] op_sel:[0,1]
	buffer_store_dword v4, off, s[0:3], s32 offset:300 ; 4-byte Folded Spill
	s_nop 0
	buffer_store_dword v5, off, s[0:3], s32 offset:304 ; 4-byte Folded Spill
	s_and_saveexec_b64 s[38:39], vcc
	s_cbranch_execz .LBB253_92
; %bb.91:                               ;   in Loop: Header=BB253_10 Depth=1
	v_mov_b32_e32 v4, 7
	v_and_b32_sdwa v30, v2, v4 dst_sel:DWORD dst_unused:UNUSED_PAD src0_sel:BYTE_1 src1_sel:DWORD
	v_lshrrev_b32_e32 v6, 3, v3
	v_cmp_gt_u32_e32 vcc, 8, v3
	v_ffbh_u32_e32 v3, v30
	v_min_u32_e32 v3, 32, v3
	v_subrev_u32_e32 v4, 28, v3
	v_lshlrev_b64 v[4:5], v4, v[30:31]
	v_sub_u32_e32 v3, 29, v3
	v_and_b32_e32 v4, 7, v4
	v_cndmask_b32_e32 v3, v6, v3, vcc
	v_bfrev_b32_e32 v5, 60
	v_cndmask_b32_e32 v4, v30, v4, vcc
	v_lshlrev_b32_e32 v2, 16, v2
	v_lshl_add_u32 v3, v3, 23, v5
	v_and_or_b32 v2, v2, s25, v3
	v_lshlrev_b32_e32 v3, 20, v4
	v_mov_b32_e32 v30, v41
	v_or_b32_e32 v3, v2, v3
	v_mov_b32_e32 v2, v31
	buffer_store_dword v2, off, s[0:3], s32 offset:300 ; 4-byte Folded Spill
	s_nop 0
	buffer_store_dword v3, off, s[0:3], s32 offset:304 ; 4-byte Folded Spill
.LBB253_92:                             ;   in Loop: Header=BB253_10 Depth=1
	s_or_b64 exec, exec, s[38:39]
.LBB253_93:                             ;   in Loop: Header=BB253_10 Depth=1
	s_or_b64 exec, exec, s[36:37]
.LBB253_94:                             ;   in Loop: Header=BB253_10 Depth=1
	s_or_b64 exec, exec, s[34:35]
	flat_load_ushort v1, v[0:1] offset:12
	v_pk_mov_b32 v[2:3], 0, 0
	buffer_store_dword v2, off, s[0:3], s32 offset:316 ; 4-byte Folded Spill
	s_nop 0
	buffer_store_dword v3, off, s[0:3], s32 offset:320 ; 4-byte Folded Spill
	buffer_store_dword v2, off, s[0:3], s32 offset:308 ; 4-byte Folded Spill
	s_nop 0
	buffer_store_dword v3, off, s[0:3], s32 offset:312 ; 4-byte Folded Spill
	s_waitcnt vmcnt(0) lgkmcnt(0)
	v_and_b32_e32 v0, 0xffff, v1
	v_cmp_ne_u16_sdwa vcc, v1, v31 src0_sel:BYTE_0 src1_sel:DWORD
	s_and_saveexec_b64 s[34:35], vcc
	s_cbranch_execz .LBB253_100
; %bb.95:                               ;   in Loop: Header=BB253_10 Depth=1
	v_bfrev_b32_e32 v2, 1
	v_cmp_ne_u16_sdwa vcc, v0, s19 src0_sel:BYTE_0 src1_sel:DWORD
	v_mov_b32_e32 v3, 0
	buffer_store_dword v2, off, s[0:3], s32 offset:308 ; 4-byte Folded Spill
	s_nop 0
	buffer_store_dword v3, off, s[0:3], s32 offset:312 ; 4-byte Folded Spill
	s_and_saveexec_b64 s[36:37], vcc
	s_cbranch_execz .LBB253_99
; %bb.96:                               ;   in Loop: Header=BB253_10 Depth=1
	v_and_b32_e32 v1, 0x7f, v0
	v_mov_b32_e32 v2, 0x7f800001
	v_cmp_ne_u32_e32 vcc, s41, v1
	v_mov_b32_e32 v3, 0
	buffer_store_dword v2, off, s[0:3], s32 offset:308 ; 4-byte Folded Spill
	s_nop 0
	buffer_store_dword v3, off, s[0:3], s32 offset:312 ; 4-byte Folded Spill
	s_and_saveexec_b64 s[38:39], vcc
	s_cbranch_execz .LBB253_98
; %bb.97:                               ;   in Loop: Header=BB253_10 Depth=1
	v_and_b32_e32 v4, 7, v0
	v_lshrrev_b32_e32 v5, 3, v1
	v_cmp_gt_u32_e32 vcc, 8, v1
	v_ffbh_u32_e32 v1, v4
	v_min_u32_e32 v1, 32, v1
	v_subrev_u32_e32 v2, 28, v1
	v_lshlrev_b64 v[2:3], v2, v[0:1]
	v_sub_u32_e32 v1, 29, v1
	v_and_b32_e32 v2, 7, v2
	v_cndmask_b32_e32 v1, v5, v1, vcc
	v_cndmask_b32_e32 v2, v4, v2, vcc
	v_bfrev_b32_e32 v4, 60
	v_lshlrev_b32_e32 v2, 20, v2
	v_and_b32_sdwa v3, sext(v0), s25 dst_sel:DWORD dst_unused:UNUSED_PAD src0_sel:BYTE_0 src1_sel:DWORD
	v_lshl_add_u32 v1, v1, 23, v4
	v_or3_b32 v30, v3, v1, v2
	buffer_store_dword v30, off, s[0:3], s32 offset:308 ; 4-byte Folded Spill
	s_nop 0
	buffer_store_dword v31, off, s[0:3], s32 offset:312 ; 4-byte Folded Spill
	v_mov_b32_e32 v30, v41
.LBB253_98:                             ;   in Loop: Header=BB253_10 Depth=1
	s_or_b64 exec, exec, s[38:39]
.LBB253_99:                             ;   in Loop: Header=BB253_10 Depth=1
	s_or_b64 exec, exec, s[36:37]
.LBB253_100:                            ;   in Loop: Header=BB253_10 Depth=1
	s_or_b64 exec, exec, s[34:35]
	v_cmp_ne_u16_sdwa vcc, v0, v31 src0_sel:BYTE_1 src1_sel:DWORD
	s_and_saveexec_b64 s[34:35], vcc
	s_cbranch_execz .LBB253_106
; %bb.101:                              ;   in Loop: Header=BB253_10 Depth=1
	v_cmp_ne_u16_sdwa vcc, v0, s19 src0_sel:BYTE_1 src1_sel:DWORD
	v_pk_mov_b32 v[2:3], s[24:25], s[24:25] op_sel:[0,1]
	buffer_store_dword v2, off, s[0:3], s32 offset:316 ; 4-byte Folded Spill
	s_nop 0
	buffer_store_dword v3, off, s[0:3], s32 offset:320 ; 4-byte Folded Spill
	s_and_saveexec_b64 s[36:37], vcc
	s_cbranch_execz .LBB253_105
; %bb.102:                              ;   in Loop: Header=BB253_10 Depth=1
	v_and_b32_sdwa v1, v0, s41 dst_sel:DWORD dst_unused:UNUSED_PAD src0_sel:BYTE_1 src1_sel:DWORD
	s_mov_b32 s30, s24
	v_cmp_ne_u32_e32 vcc, s41, v1
	v_pk_mov_b32 v[2:3], s[30:31], s[30:31] op_sel:[0,1]
	buffer_store_dword v2, off, s[0:3], s32 offset:316 ; 4-byte Folded Spill
	s_nop 0
	buffer_store_dword v3, off, s[0:3], s32 offset:320 ; 4-byte Folded Spill
	s_and_saveexec_b64 s[38:39], vcc
	s_cbranch_execz .LBB253_104
; %bb.103:                              ;   in Loop: Header=BB253_10 Depth=1
	v_mov_b32_e32 v2, 7
	v_and_b32_sdwa v30, v0, v2 dst_sel:DWORD dst_unused:UNUSED_PAD src0_sel:BYTE_1 src1_sel:DWORD
	v_lshrrev_b32_e32 v4, 3, v1
	v_cmp_gt_u32_e32 vcc, 8, v1
	v_ffbh_u32_e32 v1, v30
	v_min_u32_e32 v1, 32, v1
	v_subrev_u32_e32 v2, 28, v1
	v_lshlrev_b64 v[2:3], v2, v[30:31]
	v_sub_u32_e32 v1, 29, v1
	v_and_b32_e32 v2, 7, v2
	v_cndmask_b32_e32 v1, v4, v1, vcc
	v_bfrev_b32_e32 v3, 60
	v_cndmask_b32_e32 v2, v30, v2, vcc
	v_lshlrev_b32_e32 v0, 16, v0
	v_lshl_add_u32 v1, v1, 23, v3
	v_and_or_b32 v0, v0, s25, v1
	v_lshlrev_b32_e32 v1, 20, v2
	v_mov_b32_e32 v30, v41
	v_or_b32_e32 v1, v0, v1
	v_mov_b32_e32 v0, v31
	buffer_store_dword v0, off, s[0:3], s32 offset:316 ; 4-byte Folded Spill
	s_nop 0
	buffer_store_dword v1, off, s[0:3], s32 offset:320 ; 4-byte Folded Spill
.LBB253_104:                            ;   in Loop: Header=BB253_10 Depth=1
	s_or_b64 exec, exec, s[38:39]
.LBB253_105:                            ;   in Loop: Header=BB253_10 Depth=1
	s_or_b64 exec, exec, s[36:37]
.LBB253_106:                            ;   in Loop: Header=BB253_10 Depth=1
	s_or_b64 exec, exec, s[34:35]
	flat_load_ushort v1, v[10:11] offset:1024
	v_pk_mov_b32 v[2:3], 0, 0
	buffer_store_dword v2, off, s[0:3], s32 offset:332 ; 4-byte Folded Spill
	s_nop 0
	buffer_store_dword v3, off, s[0:3], s32 offset:336 ; 4-byte Folded Spill
	buffer_store_dword v2, off, s[0:3], s32 offset:324 ; 4-byte Folded Spill
	s_nop 0
	buffer_store_dword v3, off, s[0:3], s32 offset:328 ; 4-byte Folded Spill
	s_waitcnt vmcnt(0) lgkmcnt(0)
	v_and_b32_e32 v0, 0xffff, v1
	v_cmp_ne_u16_sdwa vcc, v1, v31 src0_sel:BYTE_0 src1_sel:DWORD
	s_and_saveexec_b64 s[34:35], vcc
	s_cbranch_execz .LBB253_112
; %bb.107:                              ;   in Loop: Header=BB253_10 Depth=1
	v_bfrev_b32_e32 v2, 1
	v_cmp_ne_u16_sdwa vcc, v0, s19 src0_sel:BYTE_0 src1_sel:DWORD
	v_mov_b32_e32 v3, 0
	buffer_store_dword v2, off, s[0:3], s32 offset:324 ; 4-byte Folded Spill
	s_nop 0
	buffer_store_dword v3, off, s[0:3], s32 offset:328 ; 4-byte Folded Spill
	s_and_saveexec_b64 s[36:37], vcc
	s_cbranch_execz .LBB253_111
; %bb.108:                              ;   in Loop: Header=BB253_10 Depth=1
	v_and_b32_e32 v1, 0x7f, v0
	v_mov_b32_e32 v2, 0x7f800001
	v_cmp_ne_u32_e32 vcc, s41, v1
	v_mov_b32_e32 v3, 0
	buffer_store_dword v2, off, s[0:3], s32 offset:324 ; 4-byte Folded Spill
	s_nop 0
	buffer_store_dword v3, off, s[0:3], s32 offset:328 ; 4-byte Folded Spill
	s_and_saveexec_b64 s[38:39], vcc
	s_cbranch_execz .LBB253_110
; %bb.109:                              ;   in Loop: Header=BB253_10 Depth=1
	v_and_b32_e32 v4, 7, v0
	v_lshrrev_b32_e32 v5, 3, v1
	v_cmp_gt_u32_e32 vcc, 8, v1
	v_ffbh_u32_e32 v1, v4
	v_min_u32_e32 v1, 32, v1
	v_subrev_u32_e32 v2, 28, v1
	v_lshlrev_b64 v[2:3], v2, v[0:1]
	v_sub_u32_e32 v1, 29, v1
	v_and_b32_e32 v2, 7, v2
	v_cndmask_b32_e32 v1, v5, v1, vcc
	v_cndmask_b32_e32 v2, v4, v2, vcc
	v_bfrev_b32_e32 v4, 60
	v_lshlrev_b32_e32 v2, 20, v2
	v_and_b32_sdwa v3, sext(v0), s25 dst_sel:DWORD dst_unused:UNUSED_PAD src0_sel:BYTE_0 src1_sel:DWORD
	v_lshl_add_u32 v1, v1, 23, v4
	v_or3_b32 v30, v3, v1, v2
	buffer_store_dword v30, off, s[0:3], s32 offset:324 ; 4-byte Folded Spill
	s_nop 0
	buffer_store_dword v31, off, s[0:3], s32 offset:328 ; 4-byte Folded Spill
	v_mov_b32_e32 v30, v41
.LBB253_110:                            ;   in Loop: Header=BB253_10 Depth=1
	s_or_b64 exec, exec, s[38:39]
.LBB253_111:                            ;   in Loop: Header=BB253_10 Depth=1
	s_or_b64 exec, exec, s[36:37]
.LBB253_112:                            ;   in Loop: Header=BB253_10 Depth=1
	s_or_b64 exec, exec, s[34:35]
	v_cmp_ne_u16_sdwa vcc, v0, v31 src0_sel:BYTE_1 src1_sel:DWORD
	s_and_saveexec_b64 s[34:35], vcc
	s_cbranch_execz .LBB253_118
; %bb.113:                              ;   in Loop: Header=BB253_10 Depth=1
	v_cmp_ne_u16_sdwa vcc, v0, s19 src0_sel:BYTE_1 src1_sel:DWORD
	v_pk_mov_b32 v[2:3], s[24:25], s[24:25] op_sel:[0,1]
	buffer_store_dword v2, off, s[0:3], s32 offset:332 ; 4-byte Folded Spill
	s_nop 0
	buffer_store_dword v3, off, s[0:3], s32 offset:336 ; 4-byte Folded Spill
	s_and_saveexec_b64 s[36:37], vcc
	s_cbranch_execz .LBB253_117
; %bb.114:                              ;   in Loop: Header=BB253_10 Depth=1
	v_and_b32_sdwa v1, v0, s41 dst_sel:DWORD dst_unused:UNUSED_PAD src0_sel:BYTE_1 src1_sel:DWORD
	s_mov_b32 s30, s24
	v_cmp_ne_u32_e32 vcc, s41, v1
	v_pk_mov_b32 v[2:3], s[30:31], s[30:31] op_sel:[0,1]
	buffer_store_dword v2, off, s[0:3], s32 offset:332 ; 4-byte Folded Spill
	s_nop 0
	buffer_store_dword v3, off, s[0:3], s32 offset:336 ; 4-byte Folded Spill
	s_and_saveexec_b64 s[38:39], vcc
	s_cbranch_execz .LBB253_116
; %bb.115:                              ;   in Loop: Header=BB253_10 Depth=1
	v_mov_b32_e32 v2, 7
	v_and_b32_sdwa v30, v0, v2 dst_sel:DWORD dst_unused:UNUSED_PAD src0_sel:BYTE_1 src1_sel:DWORD
	v_lshrrev_b32_e32 v4, 3, v1
	v_cmp_gt_u32_e32 vcc, 8, v1
	v_ffbh_u32_e32 v1, v30
	v_min_u32_e32 v1, 32, v1
	v_subrev_u32_e32 v2, 28, v1
	v_lshlrev_b64 v[2:3], v2, v[30:31]
	v_sub_u32_e32 v1, 29, v1
	v_and_b32_e32 v2, 7, v2
	v_cndmask_b32_e32 v1, v4, v1, vcc
	v_bfrev_b32_e32 v3, 60
	v_cndmask_b32_e32 v2, v30, v2, vcc
	v_lshlrev_b32_e32 v0, 16, v0
	v_lshl_add_u32 v1, v1, 23, v3
	v_and_or_b32 v0, v0, s25, v1
	v_lshlrev_b32_e32 v1, 20, v2
	v_mov_b32_e32 v30, v41
	v_or_b32_e32 v1, v0, v1
	v_mov_b32_e32 v0, v31
	buffer_store_dword v0, off, s[0:3], s32 offset:332 ; 4-byte Folded Spill
	s_nop 0
	buffer_store_dword v1, off, s[0:3], s32 offset:336 ; 4-byte Folded Spill
.LBB253_116:                            ;   in Loop: Header=BB253_10 Depth=1
	s_or_b64 exec, exec, s[38:39]
.LBB253_117:                            ;   in Loop: Header=BB253_10 Depth=1
	s_or_b64 exec, exec, s[36:37]
.LBB253_118:                            ;   in Loop: Header=BB253_10 Depth=1
	s_or_b64 exec, exec, s[34:35]
	flat_load_ushort v1, v[10:11] offset:1028
	v_pk_mov_b32 v[2:3], 0, 0
	buffer_store_dword v2, off, s[0:3], s32 offset:348 ; 4-byte Folded Spill
	s_nop 0
	buffer_store_dword v3, off, s[0:3], s32 offset:352 ; 4-byte Folded Spill
	buffer_store_dword v2, off, s[0:3], s32 offset:340 ; 4-byte Folded Spill
	s_nop 0
	buffer_store_dword v3, off, s[0:3], s32 offset:344 ; 4-byte Folded Spill
	s_waitcnt vmcnt(0) lgkmcnt(0)
	v_and_b32_e32 v0, 0xffff, v1
	v_cmp_ne_u16_sdwa vcc, v1, v31 src0_sel:BYTE_0 src1_sel:DWORD
	s_and_saveexec_b64 s[34:35], vcc
	s_cbranch_execz .LBB253_124
; %bb.119:                              ;   in Loop: Header=BB253_10 Depth=1
	v_bfrev_b32_e32 v2, 1
	v_cmp_ne_u16_sdwa vcc, v0, s19 src0_sel:BYTE_0 src1_sel:DWORD
	v_mov_b32_e32 v3, 0
	buffer_store_dword v2, off, s[0:3], s32 offset:340 ; 4-byte Folded Spill
	s_nop 0
	buffer_store_dword v3, off, s[0:3], s32 offset:344 ; 4-byte Folded Spill
	s_and_saveexec_b64 s[36:37], vcc
	s_cbranch_execz .LBB253_123
; %bb.120:                              ;   in Loop: Header=BB253_10 Depth=1
	v_and_b32_e32 v1, 0x7f, v0
	v_mov_b32_e32 v2, 0x7f800001
	v_cmp_ne_u32_e32 vcc, s41, v1
	v_mov_b32_e32 v3, 0
	buffer_store_dword v2, off, s[0:3], s32 offset:340 ; 4-byte Folded Spill
	s_nop 0
	buffer_store_dword v3, off, s[0:3], s32 offset:344 ; 4-byte Folded Spill
	s_and_saveexec_b64 s[38:39], vcc
	s_cbranch_execz .LBB253_122
; %bb.121:                              ;   in Loop: Header=BB253_10 Depth=1
	v_and_b32_e32 v4, 7, v0
	v_lshrrev_b32_e32 v5, 3, v1
	v_cmp_gt_u32_e32 vcc, 8, v1
	v_ffbh_u32_e32 v1, v4
	v_min_u32_e32 v1, 32, v1
	v_subrev_u32_e32 v2, 28, v1
	v_lshlrev_b64 v[2:3], v2, v[0:1]
	v_sub_u32_e32 v1, 29, v1
	v_and_b32_e32 v2, 7, v2
	v_cndmask_b32_e32 v1, v5, v1, vcc
	v_cndmask_b32_e32 v2, v4, v2, vcc
	v_bfrev_b32_e32 v4, 60
	v_lshlrev_b32_e32 v2, 20, v2
	v_and_b32_sdwa v3, sext(v0), s25 dst_sel:DWORD dst_unused:UNUSED_PAD src0_sel:BYTE_0 src1_sel:DWORD
	v_lshl_add_u32 v1, v1, 23, v4
	v_or3_b32 v30, v3, v1, v2
	buffer_store_dword v30, off, s[0:3], s32 offset:340 ; 4-byte Folded Spill
	s_nop 0
	buffer_store_dword v31, off, s[0:3], s32 offset:344 ; 4-byte Folded Spill
	v_mov_b32_e32 v30, v41
.LBB253_122:                            ;   in Loop: Header=BB253_10 Depth=1
	s_or_b64 exec, exec, s[38:39]
.LBB253_123:                            ;   in Loop: Header=BB253_10 Depth=1
	s_or_b64 exec, exec, s[36:37]
.LBB253_124:                            ;   in Loop: Header=BB253_10 Depth=1
	s_or_b64 exec, exec, s[34:35]
	v_cmp_ne_u16_sdwa vcc, v0, v31 src0_sel:BYTE_1 src1_sel:DWORD
	s_and_saveexec_b64 s[34:35], vcc
	s_cbranch_execz .LBB253_130
; %bb.125:                              ;   in Loop: Header=BB253_10 Depth=1
	v_cmp_ne_u16_sdwa vcc, v0, s19 src0_sel:BYTE_1 src1_sel:DWORD
	v_pk_mov_b32 v[2:3], s[24:25], s[24:25] op_sel:[0,1]
	buffer_store_dword v2, off, s[0:3], s32 offset:348 ; 4-byte Folded Spill
	s_nop 0
	buffer_store_dword v3, off, s[0:3], s32 offset:352 ; 4-byte Folded Spill
	s_and_saveexec_b64 s[36:37], vcc
	s_cbranch_execz .LBB253_129
; %bb.126:                              ;   in Loop: Header=BB253_10 Depth=1
	v_and_b32_sdwa v1, v0, s41 dst_sel:DWORD dst_unused:UNUSED_PAD src0_sel:BYTE_1 src1_sel:DWORD
	s_mov_b32 s30, s24
	v_cmp_ne_u32_e32 vcc, s41, v1
	v_pk_mov_b32 v[2:3], s[30:31], s[30:31] op_sel:[0,1]
	buffer_store_dword v2, off, s[0:3], s32 offset:348 ; 4-byte Folded Spill
	s_nop 0
	buffer_store_dword v3, off, s[0:3], s32 offset:352 ; 4-byte Folded Spill
	s_and_saveexec_b64 s[38:39], vcc
	s_cbranch_execz .LBB253_128
; %bb.127:                              ;   in Loop: Header=BB253_10 Depth=1
	v_mov_b32_e32 v2, 7
	v_and_b32_sdwa v30, v0, v2 dst_sel:DWORD dst_unused:UNUSED_PAD src0_sel:BYTE_1 src1_sel:DWORD
	v_lshrrev_b32_e32 v4, 3, v1
	v_cmp_gt_u32_e32 vcc, 8, v1
	v_ffbh_u32_e32 v1, v30
	v_min_u32_e32 v1, 32, v1
	v_subrev_u32_e32 v2, 28, v1
	v_lshlrev_b64 v[2:3], v2, v[30:31]
	v_sub_u32_e32 v1, 29, v1
	v_and_b32_e32 v2, 7, v2
	v_cndmask_b32_e32 v1, v4, v1, vcc
	v_bfrev_b32_e32 v3, 60
	v_cndmask_b32_e32 v2, v30, v2, vcc
	v_lshlrev_b32_e32 v0, 16, v0
	v_lshl_add_u32 v1, v1, 23, v3
	v_and_or_b32 v0, v0, s25, v1
	v_lshlrev_b32_e32 v1, 20, v2
	v_mov_b32_e32 v30, v41
	v_or_b32_e32 v1, v0, v1
	v_mov_b32_e32 v0, v31
	buffer_store_dword v0, off, s[0:3], s32 offset:348 ; 4-byte Folded Spill
	s_nop 0
	buffer_store_dword v1, off, s[0:3], s32 offset:352 ; 4-byte Folded Spill
.LBB253_128:                            ;   in Loop: Header=BB253_10 Depth=1
	s_or_b64 exec, exec, s[38:39]
.LBB253_129:                            ;   in Loop: Header=BB253_10 Depth=1
	s_or_b64 exec, exec, s[36:37]
.LBB253_130:                            ;   in Loop: Header=BB253_10 Depth=1
	s_or_b64 exec, exec, s[34:35]
	v_add_co_u32_e32 v0, vcc, 0x400, v10
	v_addc_co_u32_e32 v1, vcc, 0, v11, vcc
	flat_load_ushort v3, v[0:1] offset:8
	v_pk_mov_b32 v[4:5], 0, 0
	buffer_store_dword v4, off, s[0:3], s32 offset:364 ; 4-byte Folded Spill
	s_nop 0
	buffer_store_dword v5, off, s[0:3], s32 offset:368 ; 4-byte Folded Spill
	buffer_store_dword v4, off, s[0:3], s32 offset:356 ; 4-byte Folded Spill
	s_nop 0
	buffer_store_dword v5, off, s[0:3], s32 offset:360 ; 4-byte Folded Spill
	s_waitcnt vmcnt(0) lgkmcnt(0)
	v_and_b32_e32 v2, 0xffff, v3
	v_cmp_ne_u16_sdwa vcc, v3, v31 src0_sel:BYTE_0 src1_sel:DWORD
	s_and_saveexec_b64 s[34:35], vcc
	s_cbranch_execz .LBB253_136
; %bb.131:                              ;   in Loop: Header=BB253_10 Depth=1
	v_bfrev_b32_e32 v4, 1
	v_cmp_ne_u16_sdwa vcc, v2, s19 src0_sel:BYTE_0 src1_sel:DWORD
	v_mov_b32_e32 v5, 0
	buffer_store_dword v4, off, s[0:3], s32 offset:356 ; 4-byte Folded Spill
	s_nop 0
	buffer_store_dword v5, off, s[0:3], s32 offset:360 ; 4-byte Folded Spill
	s_and_saveexec_b64 s[36:37], vcc
	s_cbranch_execz .LBB253_135
; %bb.132:                              ;   in Loop: Header=BB253_10 Depth=1
	v_and_b32_e32 v3, 0x7f, v2
	v_mov_b32_e32 v4, 0x7f800001
	v_cmp_ne_u32_e32 vcc, s41, v3
	v_mov_b32_e32 v5, 0
	buffer_store_dword v4, off, s[0:3], s32 offset:356 ; 4-byte Folded Spill
	s_nop 0
	buffer_store_dword v5, off, s[0:3], s32 offset:360 ; 4-byte Folded Spill
	s_and_saveexec_b64 s[38:39], vcc
	s_cbranch_execz .LBB253_134
; %bb.133:                              ;   in Loop: Header=BB253_10 Depth=1
	v_and_b32_e32 v6, 7, v2
	v_lshrrev_b32_e32 v7, 3, v3
	v_cmp_gt_u32_e32 vcc, 8, v3
	v_ffbh_u32_e32 v3, v6
	v_min_u32_e32 v3, 32, v3
	v_subrev_u32_e32 v4, 28, v3
	v_lshlrev_b64 v[4:5], v4, v[2:3]
	v_sub_u32_e32 v3, 29, v3
	v_and_b32_e32 v4, 7, v4
	v_cndmask_b32_e32 v3, v7, v3, vcc
	v_cndmask_b32_e32 v4, v6, v4, vcc
	v_bfrev_b32_e32 v6, 60
	v_lshlrev_b32_e32 v4, 20, v4
	v_and_b32_sdwa v5, sext(v2), s25 dst_sel:DWORD dst_unused:UNUSED_PAD src0_sel:BYTE_0 src1_sel:DWORD
	v_lshl_add_u32 v3, v3, 23, v6
	v_or3_b32 v30, v5, v3, v4
	buffer_store_dword v30, off, s[0:3], s32 offset:356 ; 4-byte Folded Spill
	s_nop 0
	buffer_store_dword v31, off, s[0:3], s32 offset:360 ; 4-byte Folded Spill
	v_mov_b32_e32 v30, v41
.LBB253_134:                            ;   in Loop: Header=BB253_10 Depth=1
	s_or_b64 exec, exec, s[38:39]
.LBB253_135:                            ;   in Loop: Header=BB253_10 Depth=1
	s_or_b64 exec, exec, s[36:37]
.LBB253_136:                            ;   in Loop: Header=BB253_10 Depth=1
	s_or_b64 exec, exec, s[34:35]
	v_cmp_ne_u16_sdwa vcc, v2, v31 src0_sel:BYTE_1 src1_sel:DWORD
	s_and_saveexec_b64 s[34:35], vcc
	s_cbranch_execz .LBB253_142
; %bb.137:                              ;   in Loop: Header=BB253_10 Depth=1
	v_cmp_ne_u16_sdwa vcc, v2, s19 src0_sel:BYTE_1 src1_sel:DWORD
	v_pk_mov_b32 v[4:5], s[24:25], s[24:25] op_sel:[0,1]
	buffer_store_dword v4, off, s[0:3], s32 offset:364 ; 4-byte Folded Spill
	s_nop 0
	buffer_store_dword v5, off, s[0:3], s32 offset:368 ; 4-byte Folded Spill
	s_and_saveexec_b64 s[36:37], vcc
	s_cbranch_execz .LBB253_141
; %bb.138:                              ;   in Loop: Header=BB253_10 Depth=1
	v_and_b32_sdwa v3, v2, s41 dst_sel:DWORD dst_unused:UNUSED_PAD src0_sel:BYTE_1 src1_sel:DWORD
	s_mov_b32 s30, s24
	v_cmp_ne_u32_e32 vcc, s41, v3
	v_pk_mov_b32 v[4:5], s[30:31], s[30:31] op_sel:[0,1]
	buffer_store_dword v4, off, s[0:3], s32 offset:364 ; 4-byte Folded Spill
	s_nop 0
	buffer_store_dword v5, off, s[0:3], s32 offset:368 ; 4-byte Folded Spill
	s_and_saveexec_b64 s[38:39], vcc
	s_cbranch_execz .LBB253_140
; %bb.139:                              ;   in Loop: Header=BB253_10 Depth=1
	v_mov_b32_e32 v4, 7
	v_and_b32_sdwa v30, v2, v4 dst_sel:DWORD dst_unused:UNUSED_PAD src0_sel:BYTE_1 src1_sel:DWORD
	v_lshrrev_b32_e32 v6, 3, v3
	v_cmp_gt_u32_e32 vcc, 8, v3
	v_ffbh_u32_e32 v3, v30
	v_min_u32_e32 v3, 32, v3
	v_subrev_u32_e32 v4, 28, v3
	v_lshlrev_b64 v[4:5], v4, v[30:31]
	v_sub_u32_e32 v3, 29, v3
	v_and_b32_e32 v4, 7, v4
	v_cndmask_b32_e32 v3, v6, v3, vcc
	v_bfrev_b32_e32 v5, 60
	v_cndmask_b32_e32 v4, v30, v4, vcc
	v_lshlrev_b32_e32 v2, 16, v2
	v_lshl_add_u32 v3, v3, 23, v5
	v_and_or_b32 v2, v2, s25, v3
	v_lshlrev_b32_e32 v3, 20, v4
	v_mov_b32_e32 v30, v41
	v_or_b32_e32 v3, v2, v3
	v_mov_b32_e32 v2, v31
	buffer_store_dword v2, off, s[0:3], s32 offset:364 ; 4-byte Folded Spill
	s_nop 0
	buffer_store_dword v3, off, s[0:3], s32 offset:368 ; 4-byte Folded Spill
.LBB253_140:                            ;   in Loop: Header=BB253_10 Depth=1
	s_or_b64 exec, exec, s[38:39]
.LBB253_141:                            ;   in Loop: Header=BB253_10 Depth=1
	s_or_b64 exec, exec, s[36:37]
.LBB253_142:                            ;   in Loop: Header=BB253_10 Depth=1
	s_or_b64 exec, exec, s[34:35]
	flat_load_ushort v1, v[0:1] offset:12
	v_pk_mov_b32 v[2:3], 0, 0
	buffer_store_dword v2, off, s[0:3], s32 offset:380 ; 4-byte Folded Spill
	s_nop 0
	buffer_store_dword v3, off, s[0:3], s32 offset:384 ; 4-byte Folded Spill
	buffer_store_dword v2, off, s[0:3], s32 offset:372 ; 4-byte Folded Spill
	s_nop 0
	buffer_store_dword v3, off, s[0:3], s32 offset:376 ; 4-byte Folded Spill
	s_waitcnt vmcnt(0) lgkmcnt(0)
	v_and_b32_e32 v0, 0xffff, v1
	v_cmp_ne_u16_sdwa vcc, v1, v31 src0_sel:BYTE_0 src1_sel:DWORD
	s_and_saveexec_b64 s[34:35], vcc
	s_cbranch_execz .LBB253_148
; %bb.143:                              ;   in Loop: Header=BB253_10 Depth=1
	v_bfrev_b32_e32 v2, 1
	v_cmp_ne_u16_sdwa vcc, v0, s19 src0_sel:BYTE_0 src1_sel:DWORD
	v_mov_b32_e32 v3, 0
	buffer_store_dword v2, off, s[0:3], s32 offset:372 ; 4-byte Folded Spill
	s_nop 0
	buffer_store_dword v3, off, s[0:3], s32 offset:376 ; 4-byte Folded Spill
	s_and_saveexec_b64 s[36:37], vcc
	s_cbranch_execz .LBB253_147
; %bb.144:                              ;   in Loop: Header=BB253_10 Depth=1
	v_and_b32_e32 v1, 0x7f, v0
	v_mov_b32_e32 v2, 0x7f800001
	v_cmp_ne_u32_e32 vcc, s41, v1
	v_mov_b32_e32 v3, 0
	buffer_store_dword v2, off, s[0:3], s32 offset:372 ; 4-byte Folded Spill
	s_nop 0
	buffer_store_dword v3, off, s[0:3], s32 offset:376 ; 4-byte Folded Spill
	s_and_saveexec_b64 s[38:39], vcc
	s_cbranch_execz .LBB253_146
; %bb.145:                              ;   in Loop: Header=BB253_10 Depth=1
	v_and_b32_e32 v4, 7, v0
	v_lshrrev_b32_e32 v5, 3, v1
	v_cmp_gt_u32_e32 vcc, 8, v1
	v_ffbh_u32_e32 v1, v4
	v_min_u32_e32 v1, 32, v1
	v_subrev_u32_e32 v2, 28, v1
	v_lshlrev_b64 v[2:3], v2, v[0:1]
	v_sub_u32_e32 v1, 29, v1
	v_and_b32_e32 v2, 7, v2
	v_cndmask_b32_e32 v1, v5, v1, vcc
	v_cndmask_b32_e32 v2, v4, v2, vcc
	v_bfrev_b32_e32 v4, 60
	v_lshlrev_b32_e32 v2, 20, v2
	v_and_b32_sdwa v3, sext(v0), s25 dst_sel:DWORD dst_unused:UNUSED_PAD src0_sel:BYTE_0 src1_sel:DWORD
	v_lshl_add_u32 v1, v1, 23, v4
	v_or3_b32 v30, v3, v1, v2
	buffer_store_dword v30, off, s[0:3], s32 offset:372 ; 4-byte Folded Spill
	s_nop 0
	buffer_store_dword v31, off, s[0:3], s32 offset:376 ; 4-byte Folded Spill
	v_mov_b32_e32 v30, v41
.LBB253_146:                            ;   in Loop: Header=BB253_10 Depth=1
	s_or_b64 exec, exec, s[38:39]
.LBB253_147:                            ;   in Loop: Header=BB253_10 Depth=1
	s_or_b64 exec, exec, s[36:37]
.LBB253_148:                            ;   in Loop: Header=BB253_10 Depth=1
	s_or_b64 exec, exec, s[34:35]
	v_cmp_ne_u16_sdwa vcc, v0, v31 src0_sel:BYTE_1 src1_sel:DWORD
	s_and_saveexec_b64 s[34:35], vcc
	s_cbranch_execz .LBB253_154
; %bb.149:                              ;   in Loop: Header=BB253_10 Depth=1
	v_cmp_ne_u16_sdwa vcc, v0, s19 src0_sel:BYTE_1 src1_sel:DWORD
	v_pk_mov_b32 v[2:3], s[24:25], s[24:25] op_sel:[0,1]
	buffer_store_dword v2, off, s[0:3], s32 offset:380 ; 4-byte Folded Spill
	s_nop 0
	buffer_store_dword v3, off, s[0:3], s32 offset:384 ; 4-byte Folded Spill
	s_and_saveexec_b64 s[36:37], vcc
	s_cbranch_execz .LBB253_153
; %bb.150:                              ;   in Loop: Header=BB253_10 Depth=1
	v_and_b32_sdwa v1, v0, s41 dst_sel:DWORD dst_unused:UNUSED_PAD src0_sel:BYTE_1 src1_sel:DWORD
	s_mov_b32 s30, s24
	v_cmp_ne_u32_e32 vcc, s41, v1
	v_pk_mov_b32 v[2:3], s[30:31], s[30:31] op_sel:[0,1]
	buffer_store_dword v2, off, s[0:3], s32 offset:380 ; 4-byte Folded Spill
	s_nop 0
	buffer_store_dword v3, off, s[0:3], s32 offset:384 ; 4-byte Folded Spill
	s_and_saveexec_b64 s[38:39], vcc
	s_cbranch_execz .LBB253_152
; %bb.151:                              ;   in Loop: Header=BB253_10 Depth=1
	v_mov_b32_e32 v2, 7
	v_and_b32_sdwa v30, v0, v2 dst_sel:DWORD dst_unused:UNUSED_PAD src0_sel:BYTE_1 src1_sel:DWORD
	v_lshrrev_b32_e32 v4, 3, v1
	v_cmp_gt_u32_e32 vcc, 8, v1
	v_ffbh_u32_e32 v1, v30
	v_min_u32_e32 v1, 32, v1
	v_subrev_u32_e32 v2, 28, v1
	v_lshlrev_b64 v[2:3], v2, v[30:31]
	v_sub_u32_e32 v1, 29, v1
	v_and_b32_e32 v2, 7, v2
	v_cndmask_b32_e32 v1, v4, v1, vcc
	v_bfrev_b32_e32 v3, 60
	v_cndmask_b32_e32 v2, v30, v2, vcc
	v_lshlrev_b32_e32 v0, 16, v0
	v_lshl_add_u32 v1, v1, 23, v3
	v_and_or_b32 v0, v0, s25, v1
	v_lshlrev_b32_e32 v1, 20, v2
	v_mov_b32_e32 v30, v41
	v_or_b32_e32 v1, v0, v1
	v_mov_b32_e32 v0, v31
	buffer_store_dword v0, off, s[0:3], s32 offset:380 ; 4-byte Folded Spill
	s_nop 0
	buffer_store_dword v1, off, s[0:3], s32 offset:384 ; 4-byte Folded Spill
.LBB253_152:                            ;   in Loop: Header=BB253_10 Depth=1
	s_or_b64 exec, exec, s[38:39]
.LBB253_153:                            ;   in Loop: Header=BB253_10 Depth=1
	s_or_b64 exec, exec, s[36:37]
.LBB253_154:                            ;   in Loop: Header=BB253_10 Depth=1
	s_or_b64 exec, exec, s[34:35]
	flat_load_ushort v1, v[10:11] offset:1536
	v_pk_mov_b32 v[2:3], 0, 0
	buffer_store_dword v2, off, s[0:3], s32 offset:396 ; 4-byte Folded Spill
	s_nop 0
	buffer_store_dword v3, off, s[0:3], s32 offset:400 ; 4-byte Folded Spill
	buffer_store_dword v2, off, s[0:3], s32 offset:388 ; 4-byte Folded Spill
	s_nop 0
	buffer_store_dword v3, off, s[0:3], s32 offset:392 ; 4-byte Folded Spill
	s_waitcnt vmcnt(0) lgkmcnt(0)
	v_and_b32_e32 v0, 0xffff, v1
	v_cmp_ne_u16_sdwa vcc, v1, v31 src0_sel:BYTE_0 src1_sel:DWORD
	s_and_saveexec_b64 s[34:35], vcc
	s_cbranch_execz .LBB253_160
; %bb.155:                              ;   in Loop: Header=BB253_10 Depth=1
	v_bfrev_b32_e32 v2, 1
	v_cmp_ne_u16_sdwa vcc, v0, s19 src0_sel:BYTE_0 src1_sel:DWORD
	v_mov_b32_e32 v3, 0
	buffer_store_dword v2, off, s[0:3], s32 offset:388 ; 4-byte Folded Spill
	s_nop 0
	buffer_store_dword v3, off, s[0:3], s32 offset:392 ; 4-byte Folded Spill
	s_and_saveexec_b64 s[36:37], vcc
	s_cbranch_execz .LBB253_159
; %bb.156:                              ;   in Loop: Header=BB253_10 Depth=1
	v_and_b32_e32 v1, 0x7f, v0
	v_mov_b32_e32 v2, 0x7f800001
	v_cmp_ne_u32_e32 vcc, s41, v1
	v_mov_b32_e32 v3, 0
	buffer_store_dword v2, off, s[0:3], s32 offset:388 ; 4-byte Folded Spill
	s_nop 0
	buffer_store_dword v3, off, s[0:3], s32 offset:392 ; 4-byte Folded Spill
	s_and_saveexec_b64 s[38:39], vcc
	s_cbranch_execz .LBB253_158
; %bb.157:                              ;   in Loop: Header=BB253_10 Depth=1
	v_and_b32_e32 v4, 7, v0
	v_lshrrev_b32_e32 v5, 3, v1
	v_cmp_gt_u32_e32 vcc, 8, v1
	v_ffbh_u32_e32 v1, v4
	v_min_u32_e32 v1, 32, v1
	v_subrev_u32_e32 v2, 28, v1
	v_lshlrev_b64 v[2:3], v2, v[0:1]
	v_sub_u32_e32 v1, 29, v1
	v_and_b32_e32 v2, 7, v2
	v_cndmask_b32_e32 v1, v5, v1, vcc
	v_cndmask_b32_e32 v2, v4, v2, vcc
	v_bfrev_b32_e32 v4, 60
	v_lshlrev_b32_e32 v2, 20, v2
	v_and_b32_sdwa v3, sext(v0), s25 dst_sel:DWORD dst_unused:UNUSED_PAD src0_sel:BYTE_0 src1_sel:DWORD
	v_lshl_add_u32 v1, v1, 23, v4
	v_or3_b32 v30, v3, v1, v2
	buffer_store_dword v30, off, s[0:3], s32 offset:388 ; 4-byte Folded Spill
	s_nop 0
	buffer_store_dword v31, off, s[0:3], s32 offset:392 ; 4-byte Folded Spill
	v_mov_b32_e32 v30, v41
.LBB253_158:                            ;   in Loop: Header=BB253_10 Depth=1
	s_or_b64 exec, exec, s[38:39]
.LBB253_159:                            ;   in Loop: Header=BB253_10 Depth=1
	s_or_b64 exec, exec, s[36:37]
.LBB253_160:                            ;   in Loop: Header=BB253_10 Depth=1
	s_or_b64 exec, exec, s[34:35]
	v_cmp_ne_u16_sdwa vcc, v0, v31 src0_sel:BYTE_1 src1_sel:DWORD
	s_and_saveexec_b64 s[34:35], vcc
	s_cbranch_execz .LBB253_166
; %bb.161:                              ;   in Loop: Header=BB253_10 Depth=1
	v_cmp_ne_u16_sdwa vcc, v0, s19 src0_sel:BYTE_1 src1_sel:DWORD
	v_pk_mov_b32 v[2:3], s[24:25], s[24:25] op_sel:[0,1]
	buffer_store_dword v2, off, s[0:3], s32 offset:396 ; 4-byte Folded Spill
	s_nop 0
	buffer_store_dword v3, off, s[0:3], s32 offset:400 ; 4-byte Folded Spill
	s_and_saveexec_b64 s[36:37], vcc
	s_cbranch_execz .LBB253_165
; %bb.162:                              ;   in Loop: Header=BB253_10 Depth=1
	v_and_b32_sdwa v1, v0, s41 dst_sel:DWORD dst_unused:UNUSED_PAD src0_sel:BYTE_1 src1_sel:DWORD
	s_mov_b32 s30, s24
	v_cmp_ne_u32_e32 vcc, s41, v1
	v_pk_mov_b32 v[2:3], s[30:31], s[30:31] op_sel:[0,1]
	buffer_store_dword v2, off, s[0:3], s32 offset:396 ; 4-byte Folded Spill
	s_nop 0
	buffer_store_dword v3, off, s[0:3], s32 offset:400 ; 4-byte Folded Spill
	s_and_saveexec_b64 s[38:39], vcc
	s_cbranch_execz .LBB253_164
; %bb.163:                              ;   in Loop: Header=BB253_10 Depth=1
	v_mov_b32_e32 v2, 7
	v_and_b32_sdwa v30, v0, v2 dst_sel:DWORD dst_unused:UNUSED_PAD src0_sel:BYTE_1 src1_sel:DWORD
	v_lshrrev_b32_e32 v4, 3, v1
	v_cmp_gt_u32_e32 vcc, 8, v1
	v_ffbh_u32_e32 v1, v30
	v_min_u32_e32 v1, 32, v1
	v_subrev_u32_e32 v2, 28, v1
	v_lshlrev_b64 v[2:3], v2, v[30:31]
	v_sub_u32_e32 v1, 29, v1
	v_and_b32_e32 v2, 7, v2
	v_cndmask_b32_e32 v1, v4, v1, vcc
	v_bfrev_b32_e32 v3, 60
	v_cndmask_b32_e32 v2, v30, v2, vcc
	v_lshlrev_b32_e32 v0, 16, v0
	v_lshl_add_u32 v1, v1, 23, v3
	v_and_or_b32 v0, v0, s25, v1
	v_lshlrev_b32_e32 v1, 20, v2
	v_mov_b32_e32 v30, v41
	v_or_b32_e32 v1, v0, v1
	v_mov_b32_e32 v0, v31
	buffer_store_dword v0, off, s[0:3], s32 offset:396 ; 4-byte Folded Spill
	s_nop 0
	buffer_store_dword v1, off, s[0:3], s32 offset:400 ; 4-byte Folded Spill
.LBB253_164:                            ;   in Loop: Header=BB253_10 Depth=1
	s_or_b64 exec, exec, s[38:39]
.LBB253_165:                            ;   in Loop: Header=BB253_10 Depth=1
	s_or_b64 exec, exec, s[36:37]
.LBB253_166:                            ;   in Loop: Header=BB253_10 Depth=1
	s_or_b64 exec, exec, s[34:35]
	flat_load_ushort v1, v[10:11] offset:1540
	v_pk_mov_b32 v[2:3], 0, 0
	buffer_store_dword v2, off, s[0:3], s32 offset:412 ; 4-byte Folded Spill
	s_nop 0
	buffer_store_dword v3, off, s[0:3], s32 offset:416 ; 4-byte Folded Spill
	buffer_store_dword v2, off, s[0:3], s32 offset:404 ; 4-byte Folded Spill
	s_nop 0
	buffer_store_dword v3, off, s[0:3], s32 offset:408 ; 4-byte Folded Spill
	s_waitcnt vmcnt(0) lgkmcnt(0)
	v_and_b32_e32 v0, 0xffff, v1
	v_cmp_ne_u16_sdwa vcc, v1, v31 src0_sel:BYTE_0 src1_sel:DWORD
	s_and_saveexec_b64 s[34:35], vcc
	s_cbranch_execz .LBB253_172
; %bb.167:                              ;   in Loop: Header=BB253_10 Depth=1
	v_bfrev_b32_e32 v2, 1
	v_cmp_ne_u16_sdwa vcc, v0, s19 src0_sel:BYTE_0 src1_sel:DWORD
	v_mov_b32_e32 v3, 0
	buffer_store_dword v2, off, s[0:3], s32 offset:404 ; 4-byte Folded Spill
	s_nop 0
	buffer_store_dword v3, off, s[0:3], s32 offset:408 ; 4-byte Folded Spill
	s_and_saveexec_b64 s[36:37], vcc
	s_cbranch_execz .LBB253_171
; %bb.168:                              ;   in Loop: Header=BB253_10 Depth=1
	v_and_b32_e32 v1, 0x7f, v0
	v_mov_b32_e32 v2, 0x7f800001
	v_cmp_ne_u32_e32 vcc, s41, v1
	v_mov_b32_e32 v3, 0
	buffer_store_dword v2, off, s[0:3], s32 offset:404 ; 4-byte Folded Spill
	s_nop 0
	buffer_store_dword v3, off, s[0:3], s32 offset:408 ; 4-byte Folded Spill
	s_and_saveexec_b64 s[38:39], vcc
	s_cbranch_execz .LBB253_170
; %bb.169:                              ;   in Loop: Header=BB253_10 Depth=1
	v_and_b32_e32 v4, 7, v0
	v_lshrrev_b32_e32 v5, 3, v1
	v_cmp_gt_u32_e32 vcc, 8, v1
	v_ffbh_u32_e32 v1, v4
	v_min_u32_e32 v1, 32, v1
	v_subrev_u32_e32 v2, 28, v1
	v_lshlrev_b64 v[2:3], v2, v[0:1]
	v_sub_u32_e32 v1, 29, v1
	v_and_b32_e32 v2, 7, v2
	v_cndmask_b32_e32 v1, v5, v1, vcc
	v_cndmask_b32_e32 v2, v4, v2, vcc
	v_bfrev_b32_e32 v4, 60
	v_lshlrev_b32_e32 v2, 20, v2
	v_and_b32_sdwa v3, sext(v0), s25 dst_sel:DWORD dst_unused:UNUSED_PAD src0_sel:BYTE_0 src1_sel:DWORD
	v_lshl_add_u32 v1, v1, 23, v4
	v_or3_b32 v30, v3, v1, v2
	buffer_store_dword v30, off, s[0:3], s32 offset:404 ; 4-byte Folded Spill
	s_nop 0
	buffer_store_dword v31, off, s[0:3], s32 offset:408 ; 4-byte Folded Spill
	v_mov_b32_e32 v30, v41
.LBB253_170:                            ;   in Loop: Header=BB253_10 Depth=1
	s_or_b64 exec, exec, s[38:39]
.LBB253_171:                            ;   in Loop: Header=BB253_10 Depth=1
	s_or_b64 exec, exec, s[36:37]
.LBB253_172:                            ;   in Loop: Header=BB253_10 Depth=1
	s_or_b64 exec, exec, s[34:35]
	v_cmp_ne_u16_sdwa vcc, v0, v31 src0_sel:BYTE_1 src1_sel:DWORD
	s_and_saveexec_b64 s[34:35], vcc
	s_cbranch_execz .LBB253_178
; %bb.173:                              ;   in Loop: Header=BB253_10 Depth=1
	v_cmp_ne_u16_sdwa vcc, v0, s19 src0_sel:BYTE_1 src1_sel:DWORD
	v_pk_mov_b32 v[2:3], s[24:25], s[24:25] op_sel:[0,1]
	buffer_store_dword v2, off, s[0:3], s32 offset:412 ; 4-byte Folded Spill
	s_nop 0
	buffer_store_dword v3, off, s[0:3], s32 offset:416 ; 4-byte Folded Spill
	s_and_saveexec_b64 s[36:37], vcc
	s_cbranch_execz .LBB253_177
; %bb.174:                              ;   in Loop: Header=BB253_10 Depth=1
	v_and_b32_sdwa v1, v0, s41 dst_sel:DWORD dst_unused:UNUSED_PAD src0_sel:BYTE_1 src1_sel:DWORD
	s_mov_b32 s30, s24
	v_cmp_ne_u32_e32 vcc, s41, v1
	v_pk_mov_b32 v[2:3], s[30:31], s[30:31] op_sel:[0,1]
	buffer_store_dword v2, off, s[0:3], s32 offset:412 ; 4-byte Folded Spill
	s_nop 0
	buffer_store_dword v3, off, s[0:3], s32 offset:416 ; 4-byte Folded Spill
	s_and_saveexec_b64 s[38:39], vcc
	s_cbranch_execz .LBB253_176
; %bb.175:                              ;   in Loop: Header=BB253_10 Depth=1
	v_mov_b32_e32 v2, 7
	v_and_b32_sdwa v30, v0, v2 dst_sel:DWORD dst_unused:UNUSED_PAD src0_sel:BYTE_1 src1_sel:DWORD
	v_lshrrev_b32_e32 v4, 3, v1
	v_cmp_gt_u32_e32 vcc, 8, v1
	v_ffbh_u32_e32 v1, v30
	v_min_u32_e32 v1, 32, v1
	v_subrev_u32_e32 v2, 28, v1
	v_lshlrev_b64 v[2:3], v2, v[30:31]
	v_sub_u32_e32 v1, 29, v1
	v_and_b32_e32 v2, 7, v2
	v_cndmask_b32_e32 v1, v4, v1, vcc
	v_bfrev_b32_e32 v3, 60
	v_cndmask_b32_e32 v2, v30, v2, vcc
	v_lshlrev_b32_e32 v0, 16, v0
	v_lshl_add_u32 v1, v1, 23, v3
	v_and_or_b32 v0, v0, s25, v1
	v_lshlrev_b32_e32 v1, 20, v2
	v_mov_b32_e32 v30, v41
	v_or_b32_e32 v1, v0, v1
	v_mov_b32_e32 v0, v31
	buffer_store_dword v0, off, s[0:3], s32 offset:412 ; 4-byte Folded Spill
	s_nop 0
	buffer_store_dword v1, off, s[0:3], s32 offset:416 ; 4-byte Folded Spill
.LBB253_176:                            ;   in Loop: Header=BB253_10 Depth=1
	s_or_b64 exec, exec, s[38:39]
.LBB253_177:                            ;   in Loop: Header=BB253_10 Depth=1
	s_or_b64 exec, exec, s[36:37]
.LBB253_178:                            ;   in Loop: Header=BB253_10 Depth=1
	s_or_b64 exec, exec, s[34:35]
	v_add_co_u32_e32 v0, vcc, 0x600, v10
	v_addc_co_u32_e32 v1, vcc, 0, v11, vcc
	flat_load_ushort v3, v[0:1] offset:8
	v_pk_mov_b32 v[4:5], 0, 0
	buffer_store_dword v4, off, s[0:3], s32 offset:428 ; 4-byte Folded Spill
	s_nop 0
	buffer_store_dword v5, off, s[0:3], s32 offset:432 ; 4-byte Folded Spill
	buffer_store_dword v4, off, s[0:3], s32 offset:420 ; 4-byte Folded Spill
	s_nop 0
	buffer_store_dword v5, off, s[0:3], s32 offset:424 ; 4-byte Folded Spill
	s_waitcnt vmcnt(0) lgkmcnt(0)
	v_and_b32_e32 v2, 0xffff, v3
	v_cmp_ne_u16_sdwa vcc, v3, v31 src0_sel:BYTE_0 src1_sel:DWORD
	s_and_saveexec_b64 s[34:35], vcc
	s_cbranch_execz .LBB253_184
; %bb.179:                              ;   in Loop: Header=BB253_10 Depth=1
	v_bfrev_b32_e32 v4, 1
	v_cmp_ne_u16_sdwa vcc, v2, s19 src0_sel:BYTE_0 src1_sel:DWORD
	v_mov_b32_e32 v5, 0
	buffer_store_dword v4, off, s[0:3], s32 offset:420 ; 4-byte Folded Spill
	s_nop 0
	buffer_store_dword v5, off, s[0:3], s32 offset:424 ; 4-byte Folded Spill
	s_and_saveexec_b64 s[36:37], vcc
	s_cbranch_execz .LBB253_183
; %bb.180:                              ;   in Loop: Header=BB253_10 Depth=1
	v_and_b32_e32 v3, 0x7f, v2
	v_mov_b32_e32 v4, 0x7f800001
	v_cmp_ne_u32_e32 vcc, s41, v3
	v_mov_b32_e32 v5, 0
	buffer_store_dword v4, off, s[0:3], s32 offset:420 ; 4-byte Folded Spill
	s_nop 0
	buffer_store_dword v5, off, s[0:3], s32 offset:424 ; 4-byte Folded Spill
	s_and_saveexec_b64 s[38:39], vcc
	s_cbranch_execz .LBB253_182
; %bb.181:                              ;   in Loop: Header=BB253_10 Depth=1
	v_and_b32_e32 v6, 7, v2
	v_lshrrev_b32_e32 v7, 3, v3
	v_cmp_gt_u32_e32 vcc, 8, v3
	v_ffbh_u32_e32 v3, v6
	v_min_u32_e32 v3, 32, v3
	v_subrev_u32_e32 v4, 28, v3
	v_lshlrev_b64 v[4:5], v4, v[2:3]
	v_sub_u32_e32 v3, 29, v3
	v_and_b32_e32 v4, 7, v4
	v_cndmask_b32_e32 v3, v7, v3, vcc
	v_cndmask_b32_e32 v4, v6, v4, vcc
	v_bfrev_b32_e32 v6, 60
	v_lshlrev_b32_e32 v4, 20, v4
	v_and_b32_sdwa v5, sext(v2), s25 dst_sel:DWORD dst_unused:UNUSED_PAD src0_sel:BYTE_0 src1_sel:DWORD
	v_lshl_add_u32 v3, v3, 23, v6
	v_or3_b32 v30, v5, v3, v4
	buffer_store_dword v30, off, s[0:3], s32 offset:420 ; 4-byte Folded Spill
	s_nop 0
	buffer_store_dword v31, off, s[0:3], s32 offset:424 ; 4-byte Folded Spill
	v_mov_b32_e32 v30, v41
.LBB253_182:                            ;   in Loop: Header=BB253_10 Depth=1
	s_or_b64 exec, exec, s[38:39]
.LBB253_183:                            ;   in Loop: Header=BB253_10 Depth=1
	s_or_b64 exec, exec, s[36:37]
.LBB253_184:                            ;   in Loop: Header=BB253_10 Depth=1
	s_or_b64 exec, exec, s[34:35]
	v_cmp_ne_u16_sdwa vcc, v2, v31 src0_sel:BYTE_1 src1_sel:DWORD
	s_and_saveexec_b64 s[34:35], vcc
	s_cbranch_execz .LBB253_190
; %bb.185:                              ;   in Loop: Header=BB253_10 Depth=1
	v_cmp_ne_u16_sdwa vcc, v2, s19 src0_sel:BYTE_1 src1_sel:DWORD
	v_pk_mov_b32 v[4:5], s[24:25], s[24:25] op_sel:[0,1]
	buffer_store_dword v4, off, s[0:3], s32 offset:428 ; 4-byte Folded Spill
	s_nop 0
	buffer_store_dword v5, off, s[0:3], s32 offset:432 ; 4-byte Folded Spill
	s_and_saveexec_b64 s[36:37], vcc
	s_cbranch_execz .LBB253_189
; %bb.186:                              ;   in Loop: Header=BB253_10 Depth=1
	v_and_b32_sdwa v3, v2, s41 dst_sel:DWORD dst_unused:UNUSED_PAD src0_sel:BYTE_1 src1_sel:DWORD
	s_mov_b32 s30, s24
	v_cmp_ne_u32_e32 vcc, s41, v3
	v_pk_mov_b32 v[4:5], s[30:31], s[30:31] op_sel:[0,1]
	buffer_store_dword v4, off, s[0:3], s32 offset:428 ; 4-byte Folded Spill
	s_nop 0
	buffer_store_dword v5, off, s[0:3], s32 offset:432 ; 4-byte Folded Spill
	s_and_saveexec_b64 s[38:39], vcc
	s_cbranch_execz .LBB253_188
; %bb.187:                              ;   in Loop: Header=BB253_10 Depth=1
	v_mov_b32_e32 v4, 7
	v_and_b32_sdwa v30, v2, v4 dst_sel:DWORD dst_unused:UNUSED_PAD src0_sel:BYTE_1 src1_sel:DWORD
	v_lshrrev_b32_e32 v6, 3, v3
	v_cmp_gt_u32_e32 vcc, 8, v3
	v_ffbh_u32_e32 v3, v30
	v_min_u32_e32 v3, 32, v3
	v_subrev_u32_e32 v4, 28, v3
	v_lshlrev_b64 v[4:5], v4, v[30:31]
	v_sub_u32_e32 v3, 29, v3
	v_and_b32_e32 v4, 7, v4
	v_cndmask_b32_e32 v3, v6, v3, vcc
	v_bfrev_b32_e32 v5, 60
	v_cndmask_b32_e32 v4, v30, v4, vcc
	v_lshlrev_b32_e32 v2, 16, v2
	v_lshl_add_u32 v3, v3, 23, v5
	v_and_or_b32 v2, v2, s25, v3
	v_lshlrev_b32_e32 v3, 20, v4
	v_mov_b32_e32 v30, v41
	v_or_b32_e32 v3, v2, v3
	v_mov_b32_e32 v2, v31
	buffer_store_dword v2, off, s[0:3], s32 offset:428 ; 4-byte Folded Spill
	s_nop 0
	buffer_store_dword v3, off, s[0:3], s32 offset:432 ; 4-byte Folded Spill
.LBB253_188:                            ;   in Loop: Header=BB253_10 Depth=1
	s_or_b64 exec, exec, s[38:39]
.LBB253_189:                            ;   in Loop: Header=BB253_10 Depth=1
	s_or_b64 exec, exec, s[36:37]
.LBB253_190:                            ;   in Loop: Header=BB253_10 Depth=1
	s_or_b64 exec, exec, s[34:35]
	flat_load_ushort v1, v[0:1] offset:12
	v_pk_mov_b32 v[2:3], 0, 0
	buffer_store_dword v2, off, s[0:3], s32 offset:444 ; 4-byte Folded Spill
	s_nop 0
	buffer_store_dword v3, off, s[0:3], s32 offset:448 ; 4-byte Folded Spill
	buffer_store_dword v2, off, s[0:3], s32 offset:436 ; 4-byte Folded Spill
	s_nop 0
	buffer_store_dword v3, off, s[0:3], s32 offset:440 ; 4-byte Folded Spill
	s_waitcnt vmcnt(0) lgkmcnt(0)
	v_and_b32_e32 v0, 0xffff, v1
	v_cmp_ne_u16_sdwa vcc, v1, v31 src0_sel:BYTE_0 src1_sel:DWORD
	s_and_saveexec_b64 s[34:35], vcc
	s_cbranch_execz .LBB253_196
; %bb.191:                              ;   in Loop: Header=BB253_10 Depth=1
	v_bfrev_b32_e32 v2, 1
	v_cmp_ne_u16_sdwa vcc, v0, s19 src0_sel:BYTE_0 src1_sel:DWORD
	v_mov_b32_e32 v3, 0
	buffer_store_dword v2, off, s[0:3], s32 offset:436 ; 4-byte Folded Spill
	s_nop 0
	buffer_store_dword v3, off, s[0:3], s32 offset:440 ; 4-byte Folded Spill
	s_and_saveexec_b64 s[36:37], vcc
	s_cbranch_execz .LBB253_195
; %bb.192:                              ;   in Loop: Header=BB253_10 Depth=1
	v_and_b32_e32 v1, 0x7f, v0
	v_mov_b32_e32 v2, 0x7f800001
	v_cmp_ne_u32_e32 vcc, s41, v1
	v_mov_b32_e32 v3, 0
	buffer_store_dword v2, off, s[0:3], s32 offset:436 ; 4-byte Folded Spill
	s_nop 0
	buffer_store_dword v3, off, s[0:3], s32 offset:440 ; 4-byte Folded Spill
	s_and_saveexec_b64 s[38:39], vcc
	s_cbranch_execz .LBB253_194
; %bb.193:                              ;   in Loop: Header=BB253_10 Depth=1
	v_and_b32_e32 v4, 7, v0
	v_lshrrev_b32_e32 v5, 3, v1
	v_cmp_gt_u32_e32 vcc, 8, v1
	v_ffbh_u32_e32 v1, v4
	v_min_u32_e32 v1, 32, v1
	v_subrev_u32_e32 v2, 28, v1
	v_lshlrev_b64 v[2:3], v2, v[0:1]
	v_sub_u32_e32 v1, 29, v1
	v_and_b32_e32 v2, 7, v2
	v_cndmask_b32_e32 v1, v5, v1, vcc
	v_cndmask_b32_e32 v2, v4, v2, vcc
	v_bfrev_b32_e32 v4, 60
	v_lshlrev_b32_e32 v2, 20, v2
	v_and_b32_sdwa v3, sext(v0), s25 dst_sel:DWORD dst_unused:UNUSED_PAD src0_sel:BYTE_0 src1_sel:DWORD
	v_lshl_add_u32 v1, v1, 23, v4
	v_or3_b32 v30, v3, v1, v2
	buffer_store_dword v30, off, s[0:3], s32 offset:436 ; 4-byte Folded Spill
	s_nop 0
	buffer_store_dword v31, off, s[0:3], s32 offset:440 ; 4-byte Folded Spill
	v_mov_b32_e32 v30, v41
.LBB253_194:                            ;   in Loop: Header=BB253_10 Depth=1
	s_or_b64 exec, exec, s[38:39]
.LBB253_195:                            ;   in Loop: Header=BB253_10 Depth=1
	s_or_b64 exec, exec, s[36:37]
.LBB253_196:                            ;   in Loop: Header=BB253_10 Depth=1
	s_or_b64 exec, exec, s[34:35]
	v_cmp_ne_u16_sdwa vcc, v0, v31 src0_sel:BYTE_1 src1_sel:DWORD
	s_and_saveexec_b64 s[34:35], vcc
	s_cbranch_execz .LBB253_202
; %bb.197:                              ;   in Loop: Header=BB253_10 Depth=1
	v_cmp_ne_u16_sdwa vcc, v0, s19 src0_sel:BYTE_1 src1_sel:DWORD
	v_pk_mov_b32 v[2:3], s[24:25], s[24:25] op_sel:[0,1]
	buffer_store_dword v2, off, s[0:3], s32 offset:444 ; 4-byte Folded Spill
	s_nop 0
	buffer_store_dword v3, off, s[0:3], s32 offset:448 ; 4-byte Folded Spill
	s_and_saveexec_b64 s[36:37], vcc
	s_cbranch_execz .LBB253_201
; %bb.198:                              ;   in Loop: Header=BB253_10 Depth=1
	v_and_b32_sdwa v1, v0, s41 dst_sel:DWORD dst_unused:UNUSED_PAD src0_sel:BYTE_1 src1_sel:DWORD
	s_mov_b32 s30, s24
	v_cmp_ne_u32_e32 vcc, s41, v1
	v_pk_mov_b32 v[2:3], s[30:31], s[30:31] op_sel:[0,1]
	buffer_store_dword v2, off, s[0:3], s32 offset:444 ; 4-byte Folded Spill
	s_nop 0
	buffer_store_dword v3, off, s[0:3], s32 offset:448 ; 4-byte Folded Spill
	s_and_saveexec_b64 s[38:39], vcc
	s_cbranch_execz .LBB253_200
; %bb.199:                              ;   in Loop: Header=BB253_10 Depth=1
	v_mov_b32_e32 v2, 7
	v_and_b32_sdwa v30, v0, v2 dst_sel:DWORD dst_unused:UNUSED_PAD src0_sel:BYTE_1 src1_sel:DWORD
	v_lshrrev_b32_e32 v4, 3, v1
	v_cmp_gt_u32_e32 vcc, 8, v1
	v_ffbh_u32_e32 v1, v30
	v_min_u32_e32 v1, 32, v1
	v_subrev_u32_e32 v2, 28, v1
	v_lshlrev_b64 v[2:3], v2, v[30:31]
	v_sub_u32_e32 v1, 29, v1
	v_and_b32_e32 v2, 7, v2
	v_cndmask_b32_e32 v1, v4, v1, vcc
	v_bfrev_b32_e32 v3, 60
	v_cndmask_b32_e32 v2, v30, v2, vcc
	v_lshlrev_b32_e32 v0, 16, v0
	v_lshl_add_u32 v1, v1, 23, v3
	v_and_or_b32 v0, v0, s25, v1
	v_lshlrev_b32_e32 v1, 20, v2
	v_mov_b32_e32 v30, v41
	v_or_b32_e32 v1, v0, v1
	v_mov_b32_e32 v0, v31
	buffer_store_dword v0, off, s[0:3], s32 offset:444 ; 4-byte Folded Spill
	s_nop 0
	buffer_store_dword v1, off, s[0:3], s32 offset:448 ; 4-byte Folded Spill
.LBB253_200:                            ;   in Loop: Header=BB253_10 Depth=1
	s_or_b64 exec, exec, s[38:39]
.LBB253_201:                            ;   in Loop: Header=BB253_10 Depth=1
	s_or_b64 exec, exec, s[36:37]
.LBB253_202:                            ;   in Loop: Header=BB253_10 Depth=1
	s_or_b64 exec, exec, s[34:35]
	flat_load_ushort v1, v[10:11] offset:2048
	v_pk_mov_b32 v[2:3], 0, 0
	buffer_store_dword v2, off, s[0:3], s32 offset:460 ; 4-byte Folded Spill
	s_nop 0
	buffer_store_dword v3, off, s[0:3], s32 offset:464 ; 4-byte Folded Spill
	buffer_store_dword v2, off, s[0:3], s32 offset:452 ; 4-byte Folded Spill
	s_nop 0
	buffer_store_dword v3, off, s[0:3], s32 offset:456 ; 4-byte Folded Spill
	s_waitcnt vmcnt(0) lgkmcnt(0)
	v_and_b32_e32 v0, 0xffff, v1
	v_cmp_ne_u16_sdwa vcc, v1, v31 src0_sel:BYTE_0 src1_sel:DWORD
	s_and_saveexec_b64 s[34:35], vcc
	s_cbranch_execz .LBB253_208
; %bb.203:                              ;   in Loop: Header=BB253_10 Depth=1
	v_bfrev_b32_e32 v2, 1
	v_cmp_ne_u16_sdwa vcc, v0, s19 src0_sel:BYTE_0 src1_sel:DWORD
	v_mov_b32_e32 v3, 0
	buffer_store_dword v2, off, s[0:3], s32 offset:452 ; 4-byte Folded Spill
	s_nop 0
	buffer_store_dword v3, off, s[0:3], s32 offset:456 ; 4-byte Folded Spill
	s_and_saveexec_b64 s[36:37], vcc
	s_cbranch_execz .LBB253_207
; %bb.204:                              ;   in Loop: Header=BB253_10 Depth=1
	v_and_b32_e32 v1, 0x7f, v0
	v_mov_b32_e32 v2, 0x7f800001
	v_cmp_ne_u32_e32 vcc, s41, v1
	v_mov_b32_e32 v3, 0
	buffer_store_dword v2, off, s[0:3], s32 offset:452 ; 4-byte Folded Spill
	s_nop 0
	buffer_store_dword v3, off, s[0:3], s32 offset:456 ; 4-byte Folded Spill
	s_and_saveexec_b64 s[38:39], vcc
	s_cbranch_execz .LBB253_206
; %bb.205:                              ;   in Loop: Header=BB253_10 Depth=1
	v_and_b32_e32 v4, 7, v0
	v_lshrrev_b32_e32 v5, 3, v1
	v_cmp_gt_u32_e32 vcc, 8, v1
	v_ffbh_u32_e32 v1, v4
	v_min_u32_e32 v1, 32, v1
	v_subrev_u32_e32 v2, 28, v1
	v_lshlrev_b64 v[2:3], v2, v[0:1]
	v_sub_u32_e32 v1, 29, v1
	v_and_b32_e32 v2, 7, v2
	v_cndmask_b32_e32 v1, v5, v1, vcc
	v_cndmask_b32_e32 v2, v4, v2, vcc
	v_bfrev_b32_e32 v4, 60
	v_lshlrev_b32_e32 v2, 20, v2
	v_and_b32_sdwa v3, sext(v0), s25 dst_sel:DWORD dst_unused:UNUSED_PAD src0_sel:BYTE_0 src1_sel:DWORD
	v_lshl_add_u32 v1, v1, 23, v4
	v_or3_b32 v30, v3, v1, v2
	buffer_store_dword v30, off, s[0:3], s32 offset:452 ; 4-byte Folded Spill
	s_nop 0
	buffer_store_dword v31, off, s[0:3], s32 offset:456 ; 4-byte Folded Spill
	v_mov_b32_e32 v30, v41
.LBB253_206:                            ;   in Loop: Header=BB253_10 Depth=1
	s_or_b64 exec, exec, s[38:39]
.LBB253_207:                            ;   in Loop: Header=BB253_10 Depth=1
	s_or_b64 exec, exec, s[36:37]
.LBB253_208:                            ;   in Loop: Header=BB253_10 Depth=1
	s_or_b64 exec, exec, s[34:35]
	v_cmp_ne_u16_sdwa vcc, v0, v31 src0_sel:BYTE_1 src1_sel:DWORD
	s_and_saveexec_b64 s[34:35], vcc
	s_cbranch_execz .LBB253_214
; %bb.209:                              ;   in Loop: Header=BB253_10 Depth=1
	v_cmp_ne_u16_sdwa vcc, v0, s19 src0_sel:BYTE_1 src1_sel:DWORD
	v_pk_mov_b32 v[2:3], s[24:25], s[24:25] op_sel:[0,1]
	buffer_store_dword v2, off, s[0:3], s32 offset:460 ; 4-byte Folded Spill
	s_nop 0
	buffer_store_dword v3, off, s[0:3], s32 offset:464 ; 4-byte Folded Spill
	s_and_saveexec_b64 s[36:37], vcc
	s_cbranch_execz .LBB253_213
; %bb.210:                              ;   in Loop: Header=BB253_10 Depth=1
	v_and_b32_sdwa v1, v0, s41 dst_sel:DWORD dst_unused:UNUSED_PAD src0_sel:BYTE_1 src1_sel:DWORD
	s_mov_b32 s30, s24
	v_cmp_ne_u32_e32 vcc, s41, v1
	v_pk_mov_b32 v[2:3], s[30:31], s[30:31] op_sel:[0,1]
	buffer_store_dword v2, off, s[0:3], s32 offset:460 ; 4-byte Folded Spill
	s_nop 0
	buffer_store_dword v3, off, s[0:3], s32 offset:464 ; 4-byte Folded Spill
	s_and_saveexec_b64 s[38:39], vcc
	s_cbranch_execz .LBB253_212
; %bb.211:                              ;   in Loop: Header=BB253_10 Depth=1
	v_mov_b32_e32 v2, 7
	v_and_b32_sdwa v30, v0, v2 dst_sel:DWORD dst_unused:UNUSED_PAD src0_sel:BYTE_1 src1_sel:DWORD
	v_lshrrev_b32_e32 v4, 3, v1
	v_cmp_gt_u32_e32 vcc, 8, v1
	v_ffbh_u32_e32 v1, v30
	v_min_u32_e32 v1, 32, v1
	v_subrev_u32_e32 v2, 28, v1
	v_lshlrev_b64 v[2:3], v2, v[30:31]
	v_sub_u32_e32 v1, 29, v1
	v_and_b32_e32 v2, 7, v2
	v_cndmask_b32_e32 v1, v4, v1, vcc
	v_bfrev_b32_e32 v3, 60
	v_cndmask_b32_e32 v2, v30, v2, vcc
	v_lshlrev_b32_e32 v0, 16, v0
	v_lshl_add_u32 v1, v1, 23, v3
	v_and_or_b32 v0, v0, s25, v1
	v_lshlrev_b32_e32 v1, 20, v2
	v_mov_b32_e32 v30, v41
	v_or_b32_e32 v1, v0, v1
	v_mov_b32_e32 v0, v31
	buffer_store_dword v0, off, s[0:3], s32 offset:460 ; 4-byte Folded Spill
	s_nop 0
	buffer_store_dword v1, off, s[0:3], s32 offset:464 ; 4-byte Folded Spill
.LBB253_212:                            ;   in Loop: Header=BB253_10 Depth=1
	s_or_b64 exec, exec, s[38:39]
.LBB253_213:                            ;   in Loop: Header=BB253_10 Depth=1
	s_or_b64 exec, exec, s[36:37]
.LBB253_214:                            ;   in Loop: Header=BB253_10 Depth=1
	s_or_b64 exec, exec, s[34:35]
	flat_load_ushort v1, v[10:11] offset:2052
	v_pk_mov_b32 v[2:3], 0, 0
	buffer_store_dword v2, off, s[0:3], s32 offset:476 ; 4-byte Folded Spill
	s_nop 0
	buffer_store_dword v3, off, s[0:3], s32 offset:480 ; 4-byte Folded Spill
	buffer_store_dword v2, off, s[0:3], s32 offset:468 ; 4-byte Folded Spill
	s_nop 0
	buffer_store_dword v3, off, s[0:3], s32 offset:472 ; 4-byte Folded Spill
	s_waitcnt vmcnt(0) lgkmcnt(0)
	v_and_b32_e32 v0, 0xffff, v1
	v_cmp_ne_u16_sdwa vcc, v1, v31 src0_sel:BYTE_0 src1_sel:DWORD
	s_and_saveexec_b64 s[34:35], vcc
	s_cbranch_execz .LBB253_220
; %bb.215:                              ;   in Loop: Header=BB253_10 Depth=1
	v_bfrev_b32_e32 v2, 1
	v_cmp_ne_u16_sdwa vcc, v0, s19 src0_sel:BYTE_0 src1_sel:DWORD
	v_mov_b32_e32 v3, 0
	buffer_store_dword v2, off, s[0:3], s32 offset:468 ; 4-byte Folded Spill
	s_nop 0
	buffer_store_dword v3, off, s[0:3], s32 offset:472 ; 4-byte Folded Spill
	s_and_saveexec_b64 s[36:37], vcc
	s_cbranch_execz .LBB253_219
; %bb.216:                              ;   in Loop: Header=BB253_10 Depth=1
	v_and_b32_e32 v1, 0x7f, v0
	v_mov_b32_e32 v2, 0x7f800001
	v_cmp_ne_u32_e32 vcc, s41, v1
	v_mov_b32_e32 v3, 0
	buffer_store_dword v2, off, s[0:3], s32 offset:468 ; 4-byte Folded Spill
	s_nop 0
	buffer_store_dword v3, off, s[0:3], s32 offset:472 ; 4-byte Folded Spill
	s_and_saveexec_b64 s[38:39], vcc
	s_cbranch_execz .LBB253_218
; %bb.217:                              ;   in Loop: Header=BB253_10 Depth=1
	v_and_b32_e32 v4, 7, v0
	v_lshrrev_b32_e32 v5, 3, v1
	v_cmp_gt_u32_e32 vcc, 8, v1
	v_ffbh_u32_e32 v1, v4
	v_min_u32_e32 v1, 32, v1
	v_subrev_u32_e32 v2, 28, v1
	v_lshlrev_b64 v[2:3], v2, v[0:1]
	v_sub_u32_e32 v1, 29, v1
	v_and_b32_e32 v2, 7, v2
	v_cndmask_b32_e32 v1, v5, v1, vcc
	v_cndmask_b32_e32 v2, v4, v2, vcc
	v_bfrev_b32_e32 v4, 60
	v_lshlrev_b32_e32 v2, 20, v2
	v_and_b32_sdwa v3, sext(v0), s25 dst_sel:DWORD dst_unused:UNUSED_PAD src0_sel:BYTE_0 src1_sel:DWORD
	v_lshl_add_u32 v1, v1, 23, v4
	v_or3_b32 v30, v3, v1, v2
	buffer_store_dword v30, off, s[0:3], s32 offset:468 ; 4-byte Folded Spill
	s_nop 0
	buffer_store_dword v31, off, s[0:3], s32 offset:472 ; 4-byte Folded Spill
	v_mov_b32_e32 v30, v41
.LBB253_218:                            ;   in Loop: Header=BB253_10 Depth=1
	s_or_b64 exec, exec, s[38:39]
.LBB253_219:                            ;   in Loop: Header=BB253_10 Depth=1
	s_or_b64 exec, exec, s[36:37]
.LBB253_220:                            ;   in Loop: Header=BB253_10 Depth=1
	s_or_b64 exec, exec, s[34:35]
	v_cmp_ne_u16_sdwa vcc, v0, v31 src0_sel:BYTE_1 src1_sel:DWORD
	s_and_saveexec_b64 s[34:35], vcc
	s_cbranch_execz .LBB253_226
; %bb.221:                              ;   in Loop: Header=BB253_10 Depth=1
	v_cmp_ne_u16_sdwa vcc, v0, s19 src0_sel:BYTE_1 src1_sel:DWORD
	v_pk_mov_b32 v[2:3], s[24:25], s[24:25] op_sel:[0,1]
	buffer_store_dword v2, off, s[0:3], s32 offset:476 ; 4-byte Folded Spill
	s_nop 0
	buffer_store_dword v3, off, s[0:3], s32 offset:480 ; 4-byte Folded Spill
	s_and_saveexec_b64 s[36:37], vcc
	s_cbranch_execz .LBB253_225
; %bb.222:                              ;   in Loop: Header=BB253_10 Depth=1
	v_and_b32_sdwa v1, v0, s41 dst_sel:DWORD dst_unused:UNUSED_PAD src0_sel:BYTE_1 src1_sel:DWORD
	s_mov_b32 s30, s24
	v_cmp_ne_u32_e32 vcc, s41, v1
	v_pk_mov_b32 v[2:3], s[30:31], s[30:31] op_sel:[0,1]
	buffer_store_dword v2, off, s[0:3], s32 offset:476 ; 4-byte Folded Spill
	s_nop 0
	buffer_store_dword v3, off, s[0:3], s32 offset:480 ; 4-byte Folded Spill
	s_and_saveexec_b64 s[38:39], vcc
	s_cbranch_execz .LBB253_224
; %bb.223:                              ;   in Loop: Header=BB253_10 Depth=1
	v_mov_b32_e32 v2, 7
	v_and_b32_sdwa v30, v0, v2 dst_sel:DWORD dst_unused:UNUSED_PAD src0_sel:BYTE_1 src1_sel:DWORD
	v_lshrrev_b32_e32 v4, 3, v1
	v_cmp_gt_u32_e32 vcc, 8, v1
	v_ffbh_u32_e32 v1, v30
	v_min_u32_e32 v1, 32, v1
	v_subrev_u32_e32 v2, 28, v1
	v_lshlrev_b64 v[2:3], v2, v[30:31]
	v_sub_u32_e32 v1, 29, v1
	v_and_b32_e32 v2, 7, v2
	v_cndmask_b32_e32 v1, v4, v1, vcc
	v_bfrev_b32_e32 v3, 60
	v_cndmask_b32_e32 v2, v30, v2, vcc
	v_lshlrev_b32_e32 v0, 16, v0
	v_lshl_add_u32 v1, v1, 23, v3
	v_and_or_b32 v0, v0, s25, v1
	v_lshlrev_b32_e32 v1, 20, v2
	v_mov_b32_e32 v30, v41
	v_or_b32_e32 v1, v0, v1
	v_mov_b32_e32 v0, v31
	buffer_store_dword v0, off, s[0:3], s32 offset:476 ; 4-byte Folded Spill
	s_nop 0
	buffer_store_dword v1, off, s[0:3], s32 offset:480 ; 4-byte Folded Spill
.LBB253_224:                            ;   in Loop: Header=BB253_10 Depth=1
	s_or_b64 exec, exec, s[38:39]
.LBB253_225:                            ;   in Loop: Header=BB253_10 Depth=1
	s_or_b64 exec, exec, s[36:37]
.LBB253_226:                            ;   in Loop: Header=BB253_10 Depth=1
	s_or_b64 exec, exec, s[34:35]
	v_add_co_u32_e32 v0, vcc, 0x800, v10
	v_addc_co_u32_e32 v1, vcc, 0, v11, vcc
	flat_load_ushort v3, v[0:1] offset:8
	v_pk_mov_b32 v[4:5], 0, 0
	buffer_store_dword v4, off, s[0:3], s32 offset:492 ; 4-byte Folded Spill
	s_nop 0
	buffer_store_dword v5, off, s[0:3], s32 offset:496 ; 4-byte Folded Spill
	buffer_store_dword v4, off, s[0:3], s32 offset:484 ; 4-byte Folded Spill
	s_nop 0
	buffer_store_dword v5, off, s[0:3], s32 offset:488 ; 4-byte Folded Spill
	s_waitcnt vmcnt(0) lgkmcnt(0)
	v_and_b32_e32 v2, 0xffff, v3
	v_cmp_ne_u16_sdwa vcc, v3, v31 src0_sel:BYTE_0 src1_sel:DWORD
	s_and_saveexec_b64 s[34:35], vcc
	s_cbranch_execz .LBB253_232
; %bb.227:                              ;   in Loop: Header=BB253_10 Depth=1
	v_bfrev_b32_e32 v4, 1
	v_cmp_ne_u16_sdwa vcc, v2, s19 src0_sel:BYTE_0 src1_sel:DWORD
	v_mov_b32_e32 v5, 0
	buffer_store_dword v4, off, s[0:3], s32 offset:484 ; 4-byte Folded Spill
	s_nop 0
	buffer_store_dword v5, off, s[0:3], s32 offset:488 ; 4-byte Folded Spill
	s_and_saveexec_b64 s[36:37], vcc
	s_cbranch_execz .LBB253_231
; %bb.228:                              ;   in Loop: Header=BB253_10 Depth=1
	v_and_b32_e32 v3, 0x7f, v2
	v_mov_b32_e32 v4, 0x7f800001
	v_cmp_ne_u32_e32 vcc, s41, v3
	v_mov_b32_e32 v5, 0
	buffer_store_dword v4, off, s[0:3], s32 offset:484 ; 4-byte Folded Spill
	s_nop 0
	buffer_store_dword v5, off, s[0:3], s32 offset:488 ; 4-byte Folded Spill
	s_and_saveexec_b64 s[38:39], vcc
	s_cbranch_execz .LBB253_230
; %bb.229:                              ;   in Loop: Header=BB253_10 Depth=1
	v_and_b32_e32 v6, 7, v2
	v_lshrrev_b32_e32 v7, 3, v3
	v_cmp_gt_u32_e32 vcc, 8, v3
	v_ffbh_u32_e32 v3, v6
	v_min_u32_e32 v3, 32, v3
	v_subrev_u32_e32 v4, 28, v3
	v_lshlrev_b64 v[4:5], v4, v[2:3]
	v_sub_u32_e32 v3, 29, v3
	v_and_b32_e32 v4, 7, v4
	v_cndmask_b32_e32 v3, v7, v3, vcc
	v_cndmask_b32_e32 v4, v6, v4, vcc
	v_bfrev_b32_e32 v6, 60
	v_lshlrev_b32_e32 v4, 20, v4
	v_and_b32_sdwa v5, sext(v2), s25 dst_sel:DWORD dst_unused:UNUSED_PAD src0_sel:BYTE_0 src1_sel:DWORD
	v_lshl_add_u32 v3, v3, 23, v6
	v_or3_b32 v30, v5, v3, v4
	buffer_store_dword v30, off, s[0:3], s32 offset:484 ; 4-byte Folded Spill
	s_nop 0
	buffer_store_dword v31, off, s[0:3], s32 offset:488 ; 4-byte Folded Spill
	v_mov_b32_e32 v30, v41
.LBB253_230:                            ;   in Loop: Header=BB253_10 Depth=1
	s_or_b64 exec, exec, s[38:39]
.LBB253_231:                            ;   in Loop: Header=BB253_10 Depth=1
	s_or_b64 exec, exec, s[36:37]
.LBB253_232:                            ;   in Loop: Header=BB253_10 Depth=1
	s_or_b64 exec, exec, s[34:35]
	v_cmp_ne_u16_sdwa vcc, v2, v31 src0_sel:BYTE_1 src1_sel:DWORD
	s_and_saveexec_b64 s[34:35], vcc
	s_cbranch_execz .LBB253_238
; %bb.233:                              ;   in Loop: Header=BB253_10 Depth=1
	v_cmp_ne_u16_sdwa vcc, v2, s19 src0_sel:BYTE_1 src1_sel:DWORD
	v_pk_mov_b32 v[4:5], s[24:25], s[24:25] op_sel:[0,1]
	buffer_store_dword v4, off, s[0:3], s32 offset:492 ; 4-byte Folded Spill
	s_nop 0
	buffer_store_dword v5, off, s[0:3], s32 offset:496 ; 4-byte Folded Spill
	s_and_saveexec_b64 s[36:37], vcc
	s_cbranch_execz .LBB253_237
; %bb.234:                              ;   in Loop: Header=BB253_10 Depth=1
	v_and_b32_sdwa v3, v2, s41 dst_sel:DWORD dst_unused:UNUSED_PAD src0_sel:BYTE_1 src1_sel:DWORD
	s_mov_b32 s30, s24
	v_cmp_ne_u32_e32 vcc, s41, v3
	v_pk_mov_b32 v[4:5], s[30:31], s[30:31] op_sel:[0,1]
	buffer_store_dword v4, off, s[0:3], s32 offset:492 ; 4-byte Folded Spill
	s_nop 0
	buffer_store_dword v5, off, s[0:3], s32 offset:496 ; 4-byte Folded Spill
	s_and_saveexec_b64 s[38:39], vcc
	s_cbranch_execz .LBB253_236
; %bb.235:                              ;   in Loop: Header=BB253_10 Depth=1
	v_mov_b32_e32 v4, 7
	v_and_b32_sdwa v30, v2, v4 dst_sel:DWORD dst_unused:UNUSED_PAD src0_sel:BYTE_1 src1_sel:DWORD
	v_lshrrev_b32_e32 v6, 3, v3
	v_cmp_gt_u32_e32 vcc, 8, v3
	v_ffbh_u32_e32 v3, v30
	v_min_u32_e32 v3, 32, v3
	v_subrev_u32_e32 v4, 28, v3
	v_lshlrev_b64 v[4:5], v4, v[30:31]
	v_sub_u32_e32 v3, 29, v3
	v_and_b32_e32 v4, 7, v4
	v_cndmask_b32_e32 v3, v6, v3, vcc
	v_bfrev_b32_e32 v5, 60
	v_cndmask_b32_e32 v4, v30, v4, vcc
	v_lshlrev_b32_e32 v2, 16, v2
	v_lshl_add_u32 v3, v3, 23, v5
	v_and_or_b32 v2, v2, s25, v3
	v_lshlrev_b32_e32 v3, 20, v4
	v_mov_b32_e32 v30, v41
	v_or_b32_e32 v3, v2, v3
	v_mov_b32_e32 v2, v31
	buffer_store_dword v2, off, s[0:3], s32 offset:492 ; 4-byte Folded Spill
	s_nop 0
	buffer_store_dword v3, off, s[0:3], s32 offset:496 ; 4-byte Folded Spill
.LBB253_236:                            ;   in Loop: Header=BB253_10 Depth=1
	s_or_b64 exec, exec, s[38:39]
.LBB253_237:                            ;   in Loop: Header=BB253_10 Depth=1
	s_or_b64 exec, exec, s[36:37]
.LBB253_238:                            ;   in Loop: Header=BB253_10 Depth=1
	s_or_b64 exec, exec, s[34:35]
	flat_load_ushort v1, v[0:1] offset:12
	v_pk_mov_b32 v[2:3], 0, 0
	buffer_store_dword v2, off, s[0:3], s32 offset:508 ; 4-byte Folded Spill
	s_nop 0
	buffer_store_dword v3, off, s[0:3], s32 offset:512 ; 4-byte Folded Spill
	buffer_store_dword v2, off, s[0:3], s32 offset:500 ; 4-byte Folded Spill
	s_nop 0
	buffer_store_dword v3, off, s[0:3], s32 offset:504 ; 4-byte Folded Spill
	s_waitcnt vmcnt(0) lgkmcnt(0)
	v_and_b32_e32 v0, 0xffff, v1
	v_cmp_ne_u16_sdwa vcc, v1, v31 src0_sel:BYTE_0 src1_sel:DWORD
	s_and_saveexec_b64 s[34:35], vcc
	s_cbranch_execz .LBB253_244
; %bb.239:                              ;   in Loop: Header=BB253_10 Depth=1
	v_bfrev_b32_e32 v2, 1
	v_cmp_ne_u16_sdwa vcc, v0, s19 src0_sel:BYTE_0 src1_sel:DWORD
	v_mov_b32_e32 v3, 0
	buffer_store_dword v2, off, s[0:3], s32 offset:500 ; 4-byte Folded Spill
	s_nop 0
	buffer_store_dword v3, off, s[0:3], s32 offset:504 ; 4-byte Folded Spill
	s_and_saveexec_b64 s[36:37], vcc
	s_cbranch_execz .LBB253_243
; %bb.240:                              ;   in Loop: Header=BB253_10 Depth=1
	v_and_b32_e32 v1, 0x7f, v0
	v_mov_b32_e32 v2, 0x7f800001
	v_cmp_ne_u32_e32 vcc, s41, v1
	v_mov_b32_e32 v3, 0
	buffer_store_dword v2, off, s[0:3], s32 offset:500 ; 4-byte Folded Spill
	s_nop 0
	buffer_store_dword v3, off, s[0:3], s32 offset:504 ; 4-byte Folded Spill
	s_and_saveexec_b64 s[38:39], vcc
	s_cbranch_execz .LBB253_242
; %bb.241:                              ;   in Loop: Header=BB253_10 Depth=1
	v_and_b32_e32 v4, 7, v0
	v_lshrrev_b32_e32 v5, 3, v1
	v_cmp_gt_u32_e32 vcc, 8, v1
	v_ffbh_u32_e32 v1, v4
	v_min_u32_e32 v1, 32, v1
	v_subrev_u32_e32 v2, 28, v1
	v_lshlrev_b64 v[2:3], v2, v[0:1]
	v_sub_u32_e32 v1, 29, v1
	v_and_b32_e32 v2, 7, v2
	v_cndmask_b32_e32 v1, v5, v1, vcc
	v_cndmask_b32_e32 v2, v4, v2, vcc
	v_bfrev_b32_e32 v4, 60
	v_lshlrev_b32_e32 v2, 20, v2
	v_and_b32_sdwa v3, sext(v0), s25 dst_sel:DWORD dst_unused:UNUSED_PAD src0_sel:BYTE_0 src1_sel:DWORD
	v_lshl_add_u32 v1, v1, 23, v4
	v_or3_b32 v30, v3, v1, v2
	buffer_store_dword v30, off, s[0:3], s32 offset:500 ; 4-byte Folded Spill
	s_nop 0
	buffer_store_dword v31, off, s[0:3], s32 offset:504 ; 4-byte Folded Spill
	v_mov_b32_e32 v30, v41
.LBB253_242:                            ;   in Loop: Header=BB253_10 Depth=1
	s_or_b64 exec, exec, s[38:39]
.LBB253_243:                            ;   in Loop: Header=BB253_10 Depth=1
	s_or_b64 exec, exec, s[36:37]
.LBB253_244:                            ;   in Loop: Header=BB253_10 Depth=1
	s_or_b64 exec, exec, s[34:35]
	v_cmp_ne_u16_sdwa vcc, v0, v31 src0_sel:BYTE_1 src1_sel:DWORD
	s_and_saveexec_b64 s[34:35], vcc
	s_cbranch_execz .LBB253_250
; %bb.245:                              ;   in Loop: Header=BB253_10 Depth=1
	v_cmp_ne_u16_sdwa vcc, v0, s19 src0_sel:BYTE_1 src1_sel:DWORD
	v_pk_mov_b32 v[2:3], s[24:25], s[24:25] op_sel:[0,1]
	buffer_store_dword v2, off, s[0:3], s32 offset:508 ; 4-byte Folded Spill
	s_nop 0
	buffer_store_dword v3, off, s[0:3], s32 offset:512 ; 4-byte Folded Spill
	s_and_saveexec_b64 s[36:37], vcc
	s_cbranch_execz .LBB253_249
; %bb.246:                              ;   in Loop: Header=BB253_10 Depth=1
	v_and_b32_sdwa v1, v0, s41 dst_sel:DWORD dst_unused:UNUSED_PAD src0_sel:BYTE_1 src1_sel:DWORD
	s_mov_b32 s30, s24
	v_cmp_ne_u32_e32 vcc, s41, v1
	v_pk_mov_b32 v[2:3], s[30:31], s[30:31] op_sel:[0,1]
	buffer_store_dword v2, off, s[0:3], s32 offset:508 ; 4-byte Folded Spill
	s_nop 0
	buffer_store_dword v3, off, s[0:3], s32 offset:512 ; 4-byte Folded Spill
	s_and_saveexec_b64 s[38:39], vcc
	s_cbranch_execz .LBB253_248
; %bb.247:                              ;   in Loop: Header=BB253_10 Depth=1
	v_mov_b32_e32 v2, 7
	v_and_b32_sdwa v30, v0, v2 dst_sel:DWORD dst_unused:UNUSED_PAD src0_sel:BYTE_1 src1_sel:DWORD
	v_lshrrev_b32_e32 v4, 3, v1
	v_cmp_gt_u32_e32 vcc, 8, v1
	v_ffbh_u32_e32 v1, v30
	v_min_u32_e32 v1, 32, v1
	v_subrev_u32_e32 v2, 28, v1
	v_lshlrev_b64 v[2:3], v2, v[30:31]
	v_sub_u32_e32 v1, 29, v1
	v_and_b32_e32 v2, 7, v2
	v_cndmask_b32_e32 v1, v4, v1, vcc
	v_bfrev_b32_e32 v3, 60
	v_cndmask_b32_e32 v2, v30, v2, vcc
	v_lshlrev_b32_e32 v0, 16, v0
	v_lshl_add_u32 v1, v1, 23, v3
	v_and_or_b32 v0, v0, s25, v1
	v_lshlrev_b32_e32 v1, 20, v2
	v_mov_b32_e32 v30, v41
	v_or_b32_e32 v1, v0, v1
	v_mov_b32_e32 v0, v31
	buffer_store_dword v0, off, s[0:3], s32 offset:508 ; 4-byte Folded Spill
	s_nop 0
	buffer_store_dword v1, off, s[0:3], s32 offset:512 ; 4-byte Folded Spill
.LBB253_248:                            ;   in Loop: Header=BB253_10 Depth=1
	s_or_b64 exec, exec, s[38:39]
.LBB253_249:                            ;   in Loop: Header=BB253_10 Depth=1
	s_or_b64 exec, exec, s[36:37]
.LBB253_250:                            ;   in Loop: Header=BB253_10 Depth=1
	s_or_b64 exec, exec, s[34:35]
	flat_load_ushort v1, v[10:11] offset:2560
	v_pk_mov_b32 v[2:3], 0, 0
	buffer_store_dword v2, off, s[0:3], s32 offset:524 ; 4-byte Folded Spill
	s_nop 0
	buffer_store_dword v3, off, s[0:3], s32 offset:528 ; 4-byte Folded Spill
	buffer_store_dword v2, off, s[0:3], s32 offset:516 ; 4-byte Folded Spill
	s_nop 0
	buffer_store_dword v3, off, s[0:3], s32 offset:520 ; 4-byte Folded Spill
	s_waitcnt vmcnt(0) lgkmcnt(0)
	v_and_b32_e32 v0, 0xffff, v1
	v_cmp_ne_u16_sdwa vcc, v1, v31 src0_sel:BYTE_0 src1_sel:DWORD
	s_and_saveexec_b64 s[34:35], vcc
	s_cbranch_execz .LBB253_256
; %bb.251:                              ;   in Loop: Header=BB253_10 Depth=1
	v_bfrev_b32_e32 v2, 1
	v_cmp_ne_u16_sdwa vcc, v0, s19 src0_sel:BYTE_0 src1_sel:DWORD
	v_mov_b32_e32 v3, 0
	buffer_store_dword v2, off, s[0:3], s32 offset:516 ; 4-byte Folded Spill
	s_nop 0
	buffer_store_dword v3, off, s[0:3], s32 offset:520 ; 4-byte Folded Spill
	s_and_saveexec_b64 s[36:37], vcc
	s_cbranch_execz .LBB253_255
; %bb.252:                              ;   in Loop: Header=BB253_10 Depth=1
	v_and_b32_e32 v1, 0x7f, v0
	v_mov_b32_e32 v2, 0x7f800001
	v_cmp_ne_u32_e32 vcc, s41, v1
	v_mov_b32_e32 v3, 0
	buffer_store_dword v2, off, s[0:3], s32 offset:516 ; 4-byte Folded Spill
	s_nop 0
	buffer_store_dword v3, off, s[0:3], s32 offset:520 ; 4-byte Folded Spill
	s_and_saveexec_b64 s[38:39], vcc
	s_cbranch_execz .LBB253_254
; %bb.253:                              ;   in Loop: Header=BB253_10 Depth=1
	v_and_b32_e32 v4, 7, v0
	v_lshrrev_b32_e32 v5, 3, v1
	v_cmp_gt_u32_e32 vcc, 8, v1
	v_ffbh_u32_e32 v1, v4
	v_min_u32_e32 v1, 32, v1
	v_subrev_u32_e32 v2, 28, v1
	v_lshlrev_b64 v[2:3], v2, v[0:1]
	v_sub_u32_e32 v1, 29, v1
	v_and_b32_e32 v2, 7, v2
	v_cndmask_b32_e32 v1, v5, v1, vcc
	v_cndmask_b32_e32 v2, v4, v2, vcc
	v_bfrev_b32_e32 v4, 60
	v_lshlrev_b32_e32 v2, 20, v2
	v_and_b32_sdwa v3, sext(v0), s25 dst_sel:DWORD dst_unused:UNUSED_PAD src0_sel:BYTE_0 src1_sel:DWORD
	v_lshl_add_u32 v1, v1, 23, v4
	v_or3_b32 v30, v3, v1, v2
	buffer_store_dword v30, off, s[0:3], s32 offset:516 ; 4-byte Folded Spill
	s_nop 0
	buffer_store_dword v31, off, s[0:3], s32 offset:520 ; 4-byte Folded Spill
	v_mov_b32_e32 v30, v41
.LBB253_254:                            ;   in Loop: Header=BB253_10 Depth=1
	s_or_b64 exec, exec, s[38:39]
.LBB253_255:                            ;   in Loop: Header=BB253_10 Depth=1
	s_or_b64 exec, exec, s[36:37]
.LBB253_256:                            ;   in Loop: Header=BB253_10 Depth=1
	s_or_b64 exec, exec, s[34:35]
	v_cmp_ne_u16_sdwa vcc, v0, v31 src0_sel:BYTE_1 src1_sel:DWORD
	s_and_saveexec_b64 s[34:35], vcc
	s_cbranch_execz .LBB253_262
; %bb.257:                              ;   in Loop: Header=BB253_10 Depth=1
	v_cmp_ne_u16_sdwa vcc, v0, s19 src0_sel:BYTE_1 src1_sel:DWORD
	v_pk_mov_b32 v[2:3], s[24:25], s[24:25] op_sel:[0,1]
	buffer_store_dword v2, off, s[0:3], s32 offset:524 ; 4-byte Folded Spill
	s_nop 0
	buffer_store_dword v3, off, s[0:3], s32 offset:528 ; 4-byte Folded Spill
	s_and_saveexec_b64 s[36:37], vcc
	s_cbranch_execz .LBB253_261
; %bb.258:                              ;   in Loop: Header=BB253_10 Depth=1
	v_and_b32_sdwa v1, v0, s41 dst_sel:DWORD dst_unused:UNUSED_PAD src0_sel:BYTE_1 src1_sel:DWORD
	s_mov_b32 s30, s24
	v_cmp_ne_u32_e32 vcc, s41, v1
	v_pk_mov_b32 v[2:3], s[30:31], s[30:31] op_sel:[0,1]
	buffer_store_dword v2, off, s[0:3], s32 offset:524 ; 4-byte Folded Spill
	s_nop 0
	buffer_store_dword v3, off, s[0:3], s32 offset:528 ; 4-byte Folded Spill
	s_and_saveexec_b64 s[38:39], vcc
	s_cbranch_execz .LBB253_260
; %bb.259:                              ;   in Loop: Header=BB253_10 Depth=1
	v_mov_b32_e32 v2, 7
	v_and_b32_sdwa v30, v0, v2 dst_sel:DWORD dst_unused:UNUSED_PAD src0_sel:BYTE_1 src1_sel:DWORD
	v_lshrrev_b32_e32 v4, 3, v1
	v_cmp_gt_u32_e32 vcc, 8, v1
	v_ffbh_u32_e32 v1, v30
	v_min_u32_e32 v1, 32, v1
	v_subrev_u32_e32 v2, 28, v1
	v_lshlrev_b64 v[2:3], v2, v[30:31]
	v_sub_u32_e32 v1, 29, v1
	v_and_b32_e32 v2, 7, v2
	v_cndmask_b32_e32 v1, v4, v1, vcc
	v_bfrev_b32_e32 v3, 60
	v_cndmask_b32_e32 v2, v30, v2, vcc
	v_lshlrev_b32_e32 v0, 16, v0
	v_lshl_add_u32 v1, v1, 23, v3
	v_and_or_b32 v0, v0, s25, v1
	v_lshlrev_b32_e32 v1, 20, v2
	v_mov_b32_e32 v30, v41
	v_or_b32_e32 v1, v0, v1
	v_mov_b32_e32 v0, v31
	buffer_store_dword v0, off, s[0:3], s32 offset:524 ; 4-byte Folded Spill
	s_nop 0
	buffer_store_dword v1, off, s[0:3], s32 offset:528 ; 4-byte Folded Spill
.LBB253_260:                            ;   in Loop: Header=BB253_10 Depth=1
	s_or_b64 exec, exec, s[38:39]
.LBB253_261:                            ;   in Loop: Header=BB253_10 Depth=1
	s_or_b64 exec, exec, s[36:37]
.LBB253_262:                            ;   in Loop: Header=BB253_10 Depth=1
	s_or_b64 exec, exec, s[34:35]
	flat_load_ushort v1, v[10:11] offset:2564
	v_pk_mov_b32 v[2:3], 0, 0
	buffer_store_dword v2, off, s[0:3], s32 offset:540 ; 4-byte Folded Spill
	s_nop 0
	buffer_store_dword v3, off, s[0:3], s32 offset:544 ; 4-byte Folded Spill
	buffer_store_dword v2, off, s[0:3], s32 offset:532 ; 4-byte Folded Spill
	s_nop 0
	buffer_store_dword v3, off, s[0:3], s32 offset:536 ; 4-byte Folded Spill
	s_waitcnt vmcnt(0) lgkmcnt(0)
	v_and_b32_e32 v0, 0xffff, v1
	v_cmp_ne_u16_sdwa vcc, v1, v31 src0_sel:BYTE_0 src1_sel:DWORD
	s_and_saveexec_b64 s[34:35], vcc
	s_cbranch_execz .LBB253_268
; %bb.263:                              ;   in Loop: Header=BB253_10 Depth=1
	v_bfrev_b32_e32 v2, 1
	v_cmp_ne_u16_sdwa vcc, v0, s19 src0_sel:BYTE_0 src1_sel:DWORD
	v_mov_b32_e32 v3, 0
	buffer_store_dword v2, off, s[0:3], s32 offset:532 ; 4-byte Folded Spill
	s_nop 0
	buffer_store_dword v3, off, s[0:3], s32 offset:536 ; 4-byte Folded Spill
	s_and_saveexec_b64 s[36:37], vcc
	s_cbranch_execz .LBB253_267
; %bb.264:                              ;   in Loop: Header=BB253_10 Depth=1
	v_and_b32_e32 v1, 0x7f, v0
	v_mov_b32_e32 v2, 0x7f800001
	v_cmp_ne_u32_e32 vcc, s41, v1
	v_mov_b32_e32 v3, 0
	buffer_store_dword v2, off, s[0:3], s32 offset:532 ; 4-byte Folded Spill
	s_nop 0
	buffer_store_dword v3, off, s[0:3], s32 offset:536 ; 4-byte Folded Spill
	s_and_saveexec_b64 s[38:39], vcc
	s_cbranch_execz .LBB253_266
; %bb.265:                              ;   in Loop: Header=BB253_10 Depth=1
	v_and_b32_e32 v4, 7, v0
	v_lshrrev_b32_e32 v5, 3, v1
	v_cmp_gt_u32_e32 vcc, 8, v1
	v_ffbh_u32_e32 v1, v4
	v_min_u32_e32 v1, 32, v1
	v_subrev_u32_e32 v2, 28, v1
	v_lshlrev_b64 v[2:3], v2, v[0:1]
	v_sub_u32_e32 v1, 29, v1
	v_and_b32_e32 v2, 7, v2
	v_cndmask_b32_e32 v1, v5, v1, vcc
	v_cndmask_b32_e32 v2, v4, v2, vcc
	v_bfrev_b32_e32 v4, 60
	v_lshlrev_b32_e32 v2, 20, v2
	v_and_b32_sdwa v3, sext(v0), s25 dst_sel:DWORD dst_unused:UNUSED_PAD src0_sel:BYTE_0 src1_sel:DWORD
	v_lshl_add_u32 v1, v1, 23, v4
	v_or3_b32 v30, v3, v1, v2
	buffer_store_dword v30, off, s[0:3], s32 offset:532 ; 4-byte Folded Spill
	s_nop 0
	buffer_store_dword v31, off, s[0:3], s32 offset:536 ; 4-byte Folded Spill
	v_mov_b32_e32 v30, v41
.LBB253_266:                            ;   in Loop: Header=BB253_10 Depth=1
	s_or_b64 exec, exec, s[38:39]
.LBB253_267:                            ;   in Loop: Header=BB253_10 Depth=1
	s_or_b64 exec, exec, s[36:37]
.LBB253_268:                            ;   in Loop: Header=BB253_10 Depth=1
	s_or_b64 exec, exec, s[34:35]
	v_cmp_ne_u16_sdwa vcc, v0, v31 src0_sel:BYTE_1 src1_sel:DWORD
	s_and_saveexec_b64 s[34:35], vcc
	s_cbranch_execz .LBB253_274
; %bb.269:                              ;   in Loop: Header=BB253_10 Depth=1
	v_cmp_ne_u16_sdwa vcc, v0, s19 src0_sel:BYTE_1 src1_sel:DWORD
	v_pk_mov_b32 v[2:3], s[24:25], s[24:25] op_sel:[0,1]
	buffer_store_dword v2, off, s[0:3], s32 offset:540 ; 4-byte Folded Spill
	s_nop 0
	buffer_store_dword v3, off, s[0:3], s32 offset:544 ; 4-byte Folded Spill
	s_and_saveexec_b64 s[36:37], vcc
	s_cbranch_execz .LBB253_273
; %bb.270:                              ;   in Loop: Header=BB253_10 Depth=1
	v_and_b32_sdwa v1, v0, s41 dst_sel:DWORD dst_unused:UNUSED_PAD src0_sel:BYTE_1 src1_sel:DWORD
	s_mov_b32 s30, s24
	v_cmp_ne_u32_e32 vcc, s41, v1
	v_pk_mov_b32 v[2:3], s[30:31], s[30:31] op_sel:[0,1]
	buffer_store_dword v2, off, s[0:3], s32 offset:540 ; 4-byte Folded Spill
	s_nop 0
	buffer_store_dword v3, off, s[0:3], s32 offset:544 ; 4-byte Folded Spill
	s_and_saveexec_b64 s[38:39], vcc
	s_cbranch_execz .LBB253_272
; %bb.271:                              ;   in Loop: Header=BB253_10 Depth=1
	v_mov_b32_e32 v2, 7
	v_and_b32_sdwa v30, v0, v2 dst_sel:DWORD dst_unused:UNUSED_PAD src0_sel:BYTE_1 src1_sel:DWORD
	v_lshrrev_b32_e32 v4, 3, v1
	v_cmp_gt_u32_e32 vcc, 8, v1
	v_ffbh_u32_e32 v1, v30
	v_min_u32_e32 v1, 32, v1
	v_subrev_u32_e32 v2, 28, v1
	v_lshlrev_b64 v[2:3], v2, v[30:31]
	v_sub_u32_e32 v1, 29, v1
	v_and_b32_e32 v2, 7, v2
	v_cndmask_b32_e32 v1, v4, v1, vcc
	v_bfrev_b32_e32 v3, 60
	v_cndmask_b32_e32 v2, v30, v2, vcc
	v_lshlrev_b32_e32 v0, 16, v0
	v_lshl_add_u32 v1, v1, 23, v3
	v_and_or_b32 v0, v0, s25, v1
	v_lshlrev_b32_e32 v1, 20, v2
	v_mov_b32_e32 v30, v41
	v_or_b32_e32 v1, v0, v1
	v_mov_b32_e32 v0, v31
	buffer_store_dword v0, off, s[0:3], s32 offset:540 ; 4-byte Folded Spill
	s_nop 0
	buffer_store_dword v1, off, s[0:3], s32 offset:544 ; 4-byte Folded Spill
.LBB253_272:                            ;   in Loop: Header=BB253_10 Depth=1
	s_or_b64 exec, exec, s[38:39]
.LBB253_273:                            ;   in Loop: Header=BB253_10 Depth=1
	s_or_b64 exec, exec, s[36:37]
.LBB253_274:                            ;   in Loop: Header=BB253_10 Depth=1
	s_or_b64 exec, exec, s[34:35]
	v_add_co_u32_e32 v0, vcc, 0xa00, v10
	v_addc_co_u32_e32 v1, vcc, 0, v11, vcc
	flat_load_ushort v3, v[0:1] offset:8
	v_pk_mov_b32 v[4:5], 0, 0
	buffer_store_dword v4, off, s[0:3], s32 offset:556 ; 4-byte Folded Spill
	s_nop 0
	buffer_store_dword v5, off, s[0:3], s32 offset:560 ; 4-byte Folded Spill
	buffer_store_dword v4, off, s[0:3], s32 offset:548 ; 4-byte Folded Spill
	s_nop 0
	buffer_store_dword v5, off, s[0:3], s32 offset:552 ; 4-byte Folded Spill
	s_waitcnt vmcnt(0) lgkmcnt(0)
	v_and_b32_e32 v2, 0xffff, v3
	v_cmp_ne_u16_sdwa vcc, v3, v31 src0_sel:BYTE_0 src1_sel:DWORD
	s_and_saveexec_b64 s[34:35], vcc
	s_cbranch_execz .LBB253_280
; %bb.275:                              ;   in Loop: Header=BB253_10 Depth=1
	v_bfrev_b32_e32 v4, 1
	v_cmp_ne_u16_sdwa vcc, v2, s19 src0_sel:BYTE_0 src1_sel:DWORD
	v_mov_b32_e32 v5, 0
	buffer_store_dword v4, off, s[0:3], s32 offset:548 ; 4-byte Folded Spill
	s_nop 0
	buffer_store_dword v5, off, s[0:3], s32 offset:552 ; 4-byte Folded Spill
	s_and_saveexec_b64 s[36:37], vcc
	s_cbranch_execz .LBB253_279
; %bb.276:                              ;   in Loop: Header=BB253_10 Depth=1
	v_and_b32_e32 v3, 0x7f, v2
	v_mov_b32_e32 v4, 0x7f800001
	v_cmp_ne_u32_e32 vcc, s41, v3
	v_mov_b32_e32 v5, 0
	buffer_store_dword v4, off, s[0:3], s32 offset:548 ; 4-byte Folded Spill
	s_nop 0
	buffer_store_dword v5, off, s[0:3], s32 offset:552 ; 4-byte Folded Spill
	s_and_saveexec_b64 s[38:39], vcc
	s_cbranch_execz .LBB253_278
; %bb.277:                              ;   in Loop: Header=BB253_10 Depth=1
	v_and_b32_e32 v6, 7, v2
	v_lshrrev_b32_e32 v7, 3, v3
	v_cmp_gt_u32_e32 vcc, 8, v3
	v_ffbh_u32_e32 v3, v6
	v_min_u32_e32 v3, 32, v3
	v_subrev_u32_e32 v4, 28, v3
	v_lshlrev_b64 v[4:5], v4, v[2:3]
	v_sub_u32_e32 v3, 29, v3
	v_and_b32_e32 v4, 7, v4
	v_cndmask_b32_e32 v3, v7, v3, vcc
	v_cndmask_b32_e32 v4, v6, v4, vcc
	v_bfrev_b32_e32 v6, 60
	v_lshlrev_b32_e32 v4, 20, v4
	v_and_b32_sdwa v5, sext(v2), s25 dst_sel:DWORD dst_unused:UNUSED_PAD src0_sel:BYTE_0 src1_sel:DWORD
	v_lshl_add_u32 v3, v3, 23, v6
	v_or3_b32 v30, v5, v3, v4
	buffer_store_dword v30, off, s[0:3], s32 offset:548 ; 4-byte Folded Spill
	s_nop 0
	buffer_store_dword v31, off, s[0:3], s32 offset:552 ; 4-byte Folded Spill
	v_mov_b32_e32 v30, v41
.LBB253_278:                            ;   in Loop: Header=BB253_10 Depth=1
	s_or_b64 exec, exec, s[38:39]
.LBB253_279:                            ;   in Loop: Header=BB253_10 Depth=1
	s_or_b64 exec, exec, s[36:37]
.LBB253_280:                            ;   in Loop: Header=BB253_10 Depth=1
	s_or_b64 exec, exec, s[34:35]
	v_cmp_ne_u16_sdwa vcc, v2, v31 src0_sel:BYTE_1 src1_sel:DWORD
	s_and_saveexec_b64 s[34:35], vcc
	s_cbranch_execz .LBB253_286
; %bb.281:                              ;   in Loop: Header=BB253_10 Depth=1
	v_cmp_ne_u16_sdwa vcc, v2, s19 src0_sel:BYTE_1 src1_sel:DWORD
	v_pk_mov_b32 v[4:5], s[24:25], s[24:25] op_sel:[0,1]
	buffer_store_dword v4, off, s[0:3], s32 offset:556 ; 4-byte Folded Spill
	s_nop 0
	buffer_store_dword v5, off, s[0:3], s32 offset:560 ; 4-byte Folded Spill
	s_and_saveexec_b64 s[36:37], vcc
	s_cbranch_execz .LBB253_285
; %bb.282:                              ;   in Loop: Header=BB253_10 Depth=1
	v_and_b32_sdwa v3, v2, s41 dst_sel:DWORD dst_unused:UNUSED_PAD src0_sel:BYTE_1 src1_sel:DWORD
	s_mov_b32 s30, s24
	v_cmp_ne_u32_e32 vcc, s41, v3
	v_pk_mov_b32 v[4:5], s[30:31], s[30:31] op_sel:[0,1]
	buffer_store_dword v4, off, s[0:3], s32 offset:556 ; 4-byte Folded Spill
	s_nop 0
	buffer_store_dword v5, off, s[0:3], s32 offset:560 ; 4-byte Folded Spill
	s_and_saveexec_b64 s[38:39], vcc
	s_cbranch_execz .LBB253_284
; %bb.283:                              ;   in Loop: Header=BB253_10 Depth=1
	v_mov_b32_e32 v4, 7
	v_and_b32_sdwa v30, v2, v4 dst_sel:DWORD dst_unused:UNUSED_PAD src0_sel:BYTE_1 src1_sel:DWORD
	v_lshrrev_b32_e32 v6, 3, v3
	v_cmp_gt_u32_e32 vcc, 8, v3
	v_ffbh_u32_e32 v3, v30
	v_min_u32_e32 v3, 32, v3
	v_subrev_u32_e32 v4, 28, v3
	v_lshlrev_b64 v[4:5], v4, v[30:31]
	v_sub_u32_e32 v3, 29, v3
	v_and_b32_e32 v4, 7, v4
	v_cndmask_b32_e32 v3, v6, v3, vcc
	v_bfrev_b32_e32 v5, 60
	v_cndmask_b32_e32 v4, v30, v4, vcc
	v_lshlrev_b32_e32 v2, 16, v2
	v_lshl_add_u32 v3, v3, 23, v5
	v_and_or_b32 v2, v2, s25, v3
	v_lshlrev_b32_e32 v3, 20, v4
	v_mov_b32_e32 v30, v41
	v_or_b32_e32 v3, v2, v3
	v_mov_b32_e32 v2, v31
	buffer_store_dword v2, off, s[0:3], s32 offset:556 ; 4-byte Folded Spill
	s_nop 0
	buffer_store_dword v3, off, s[0:3], s32 offset:560 ; 4-byte Folded Spill
.LBB253_284:                            ;   in Loop: Header=BB253_10 Depth=1
	s_or_b64 exec, exec, s[38:39]
.LBB253_285:                            ;   in Loop: Header=BB253_10 Depth=1
	s_or_b64 exec, exec, s[36:37]
.LBB253_286:                            ;   in Loop: Header=BB253_10 Depth=1
	s_or_b64 exec, exec, s[34:35]
	flat_load_ushort v1, v[0:1] offset:12
	v_pk_mov_b32 v[2:3], 0, 0
	buffer_store_dword v2, off, s[0:3], s32 offset:572 ; 4-byte Folded Spill
	s_nop 0
	buffer_store_dword v3, off, s[0:3], s32 offset:576 ; 4-byte Folded Spill
	buffer_store_dword v2, off, s[0:3], s32 offset:564 ; 4-byte Folded Spill
	s_nop 0
	buffer_store_dword v3, off, s[0:3], s32 offset:568 ; 4-byte Folded Spill
	s_waitcnt vmcnt(0) lgkmcnt(0)
	v_and_b32_e32 v0, 0xffff, v1
	v_cmp_ne_u16_sdwa vcc, v1, v31 src0_sel:BYTE_0 src1_sel:DWORD
	s_and_saveexec_b64 s[34:35], vcc
	s_cbranch_execz .LBB253_292
; %bb.287:                              ;   in Loop: Header=BB253_10 Depth=1
	v_bfrev_b32_e32 v2, 1
	v_cmp_ne_u16_sdwa vcc, v0, s19 src0_sel:BYTE_0 src1_sel:DWORD
	v_mov_b32_e32 v3, 0
	buffer_store_dword v2, off, s[0:3], s32 offset:564 ; 4-byte Folded Spill
	s_nop 0
	buffer_store_dword v3, off, s[0:3], s32 offset:568 ; 4-byte Folded Spill
	s_and_saveexec_b64 s[36:37], vcc
	s_cbranch_execz .LBB253_291
; %bb.288:                              ;   in Loop: Header=BB253_10 Depth=1
	v_and_b32_e32 v1, 0x7f, v0
	v_mov_b32_e32 v2, 0x7f800001
	v_cmp_ne_u32_e32 vcc, s41, v1
	v_mov_b32_e32 v3, 0
	buffer_store_dword v2, off, s[0:3], s32 offset:564 ; 4-byte Folded Spill
	s_nop 0
	buffer_store_dword v3, off, s[0:3], s32 offset:568 ; 4-byte Folded Spill
	s_and_saveexec_b64 s[38:39], vcc
	s_cbranch_execz .LBB253_290
; %bb.289:                              ;   in Loop: Header=BB253_10 Depth=1
	v_and_b32_e32 v4, 7, v0
	v_lshrrev_b32_e32 v5, 3, v1
	v_cmp_gt_u32_e32 vcc, 8, v1
	v_ffbh_u32_e32 v1, v4
	v_min_u32_e32 v1, 32, v1
	v_subrev_u32_e32 v2, 28, v1
	v_lshlrev_b64 v[2:3], v2, v[0:1]
	v_sub_u32_e32 v1, 29, v1
	v_and_b32_e32 v2, 7, v2
	v_cndmask_b32_e32 v1, v5, v1, vcc
	v_cndmask_b32_e32 v2, v4, v2, vcc
	v_bfrev_b32_e32 v4, 60
	v_lshlrev_b32_e32 v2, 20, v2
	v_and_b32_sdwa v3, sext(v0), s25 dst_sel:DWORD dst_unused:UNUSED_PAD src0_sel:BYTE_0 src1_sel:DWORD
	v_lshl_add_u32 v1, v1, 23, v4
	v_or3_b32 v30, v3, v1, v2
	buffer_store_dword v30, off, s[0:3], s32 offset:564 ; 4-byte Folded Spill
	s_nop 0
	buffer_store_dword v31, off, s[0:3], s32 offset:568 ; 4-byte Folded Spill
	v_mov_b32_e32 v30, v41
.LBB253_290:                            ;   in Loop: Header=BB253_10 Depth=1
	s_or_b64 exec, exec, s[38:39]
.LBB253_291:                            ;   in Loop: Header=BB253_10 Depth=1
	s_or_b64 exec, exec, s[36:37]
.LBB253_292:                            ;   in Loop: Header=BB253_10 Depth=1
	s_or_b64 exec, exec, s[34:35]
	v_cmp_ne_u16_sdwa vcc, v0, v31 src0_sel:BYTE_1 src1_sel:DWORD
	s_and_saveexec_b64 s[34:35], vcc
	s_cbranch_execz .LBB253_298
; %bb.293:                              ;   in Loop: Header=BB253_10 Depth=1
	v_cmp_ne_u16_sdwa vcc, v0, s19 src0_sel:BYTE_1 src1_sel:DWORD
	v_pk_mov_b32 v[2:3], s[24:25], s[24:25] op_sel:[0,1]
	buffer_store_dword v2, off, s[0:3], s32 offset:572 ; 4-byte Folded Spill
	s_nop 0
	buffer_store_dword v3, off, s[0:3], s32 offset:576 ; 4-byte Folded Spill
	s_and_saveexec_b64 s[36:37], vcc
	s_cbranch_execz .LBB253_297
; %bb.294:                              ;   in Loop: Header=BB253_10 Depth=1
	v_and_b32_sdwa v1, v0, s41 dst_sel:DWORD dst_unused:UNUSED_PAD src0_sel:BYTE_1 src1_sel:DWORD
	s_mov_b32 s30, s24
	v_cmp_ne_u32_e32 vcc, s41, v1
	v_pk_mov_b32 v[2:3], s[30:31], s[30:31] op_sel:[0,1]
	buffer_store_dword v2, off, s[0:3], s32 offset:572 ; 4-byte Folded Spill
	s_nop 0
	buffer_store_dword v3, off, s[0:3], s32 offset:576 ; 4-byte Folded Spill
	s_and_saveexec_b64 s[38:39], vcc
	s_cbranch_execz .LBB253_296
; %bb.295:                              ;   in Loop: Header=BB253_10 Depth=1
	v_mov_b32_e32 v2, 7
	v_and_b32_sdwa v30, v0, v2 dst_sel:DWORD dst_unused:UNUSED_PAD src0_sel:BYTE_1 src1_sel:DWORD
	v_lshrrev_b32_e32 v4, 3, v1
	v_cmp_gt_u32_e32 vcc, 8, v1
	v_ffbh_u32_e32 v1, v30
	v_min_u32_e32 v1, 32, v1
	v_subrev_u32_e32 v2, 28, v1
	v_lshlrev_b64 v[2:3], v2, v[30:31]
	v_sub_u32_e32 v1, 29, v1
	v_and_b32_e32 v2, 7, v2
	v_cndmask_b32_e32 v1, v4, v1, vcc
	v_bfrev_b32_e32 v3, 60
	v_cndmask_b32_e32 v2, v30, v2, vcc
	v_lshlrev_b32_e32 v0, 16, v0
	v_lshl_add_u32 v1, v1, 23, v3
	v_and_or_b32 v0, v0, s25, v1
	v_lshlrev_b32_e32 v1, 20, v2
	v_mov_b32_e32 v30, v41
	v_or_b32_e32 v1, v0, v1
	v_mov_b32_e32 v0, v31
	buffer_store_dword v0, off, s[0:3], s32 offset:572 ; 4-byte Folded Spill
	s_nop 0
	buffer_store_dword v1, off, s[0:3], s32 offset:576 ; 4-byte Folded Spill
.LBB253_296:                            ;   in Loop: Header=BB253_10 Depth=1
	s_or_b64 exec, exec, s[38:39]
.LBB253_297:                            ;   in Loop: Header=BB253_10 Depth=1
	s_or_b64 exec, exec, s[36:37]
.LBB253_298:                            ;   in Loop: Header=BB253_10 Depth=1
	s_or_b64 exec, exec, s[34:35]
	flat_load_ushort v1, v[10:11] offset:3072
	v_pk_mov_b32 v[2:3], 0, 0
	buffer_store_dword v2, off, s[0:3], s32 offset:588 ; 4-byte Folded Spill
	s_nop 0
	buffer_store_dword v3, off, s[0:3], s32 offset:592 ; 4-byte Folded Spill
	buffer_store_dword v2, off, s[0:3], s32 offset:580 ; 4-byte Folded Spill
	s_nop 0
	buffer_store_dword v3, off, s[0:3], s32 offset:584 ; 4-byte Folded Spill
	s_waitcnt vmcnt(0) lgkmcnt(0)
	v_and_b32_e32 v0, 0xffff, v1
	v_cmp_ne_u16_sdwa vcc, v1, v31 src0_sel:BYTE_0 src1_sel:DWORD
	s_and_saveexec_b64 s[34:35], vcc
	s_cbranch_execz .LBB253_304
; %bb.299:                              ;   in Loop: Header=BB253_10 Depth=1
	v_bfrev_b32_e32 v2, 1
	v_cmp_ne_u16_sdwa vcc, v0, s19 src0_sel:BYTE_0 src1_sel:DWORD
	v_mov_b32_e32 v3, 0
	buffer_store_dword v2, off, s[0:3], s32 offset:580 ; 4-byte Folded Spill
	s_nop 0
	buffer_store_dword v3, off, s[0:3], s32 offset:584 ; 4-byte Folded Spill
	s_and_saveexec_b64 s[36:37], vcc
	s_cbranch_execz .LBB253_303
; %bb.300:                              ;   in Loop: Header=BB253_10 Depth=1
	v_and_b32_e32 v1, 0x7f, v0
	v_mov_b32_e32 v2, 0x7f800001
	v_cmp_ne_u32_e32 vcc, s41, v1
	v_mov_b32_e32 v3, 0
	buffer_store_dword v2, off, s[0:3], s32 offset:580 ; 4-byte Folded Spill
	s_nop 0
	buffer_store_dword v3, off, s[0:3], s32 offset:584 ; 4-byte Folded Spill
	s_and_saveexec_b64 s[38:39], vcc
	s_cbranch_execz .LBB253_302
; %bb.301:                              ;   in Loop: Header=BB253_10 Depth=1
	v_and_b32_e32 v4, 7, v0
	v_lshrrev_b32_e32 v5, 3, v1
	v_cmp_gt_u32_e32 vcc, 8, v1
	v_ffbh_u32_e32 v1, v4
	v_min_u32_e32 v1, 32, v1
	v_subrev_u32_e32 v2, 28, v1
	v_lshlrev_b64 v[2:3], v2, v[0:1]
	v_sub_u32_e32 v1, 29, v1
	v_and_b32_e32 v2, 7, v2
	v_cndmask_b32_e32 v1, v5, v1, vcc
	v_cndmask_b32_e32 v2, v4, v2, vcc
	v_bfrev_b32_e32 v4, 60
	v_lshlrev_b32_e32 v2, 20, v2
	v_and_b32_sdwa v3, sext(v0), s25 dst_sel:DWORD dst_unused:UNUSED_PAD src0_sel:BYTE_0 src1_sel:DWORD
	v_lshl_add_u32 v1, v1, 23, v4
	v_or3_b32 v30, v3, v1, v2
	buffer_store_dword v30, off, s[0:3], s32 offset:580 ; 4-byte Folded Spill
	s_nop 0
	buffer_store_dword v31, off, s[0:3], s32 offset:584 ; 4-byte Folded Spill
	v_mov_b32_e32 v30, v41
.LBB253_302:                            ;   in Loop: Header=BB253_10 Depth=1
	s_or_b64 exec, exec, s[38:39]
.LBB253_303:                            ;   in Loop: Header=BB253_10 Depth=1
	s_or_b64 exec, exec, s[36:37]
.LBB253_304:                            ;   in Loop: Header=BB253_10 Depth=1
	s_or_b64 exec, exec, s[34:35]
	v_cmp_ne_u16_sdwa vcc, v0, v31 src0_sel:BYTE_1 src1_sel:DWORD
	s_and_saveexec_b64 s[34:35], vcc
	s_cbranch_execz .LBB253_310
; %bb.305:                              ;   in Loop: Header=BB253_10 Depth=1
	v_cmp_ne_u16_sdwa vcc, v0, s19 src0_sel:BYTE_1 src1_sel:DWORD
	v_pk_mov_b32 v[2:3], s[24:25], s[24:25] op_sel:[0,1]
	buffer_store_dword v2, off, s[0:3], s32 offset:588 ; 4-byte Folded Spill
	s_nop 0
	buffer_store_dword v3, off, s[0:3], s32 offset:592 ; 4-byte Folded Spill
	s_and_saveexec_b64 s[36:37], vcc
	s_cbranch_execz .LBB253_309
; %bb.306:                              ;   in Loop: Header=BB253_10 Depth=1
	v_and_b32_sdwa v1, v0, s41 dst_sel:DWORD dst_unused:UNUSED_PAD src0_sel:BYTE_1 src1_sel:DWORD
	s_mov_b32 s30, s24
	v_cmp_ne_u32_e32 vcc, s41, v1
	v_pk_mov_b32 v[2:3], s[30:31], s[30:31] op_sel:[0,1]
	buffer_store_dword v2, off, s[0:3], s32 offset:588 ; 4-byte Folded Spill
	s_nop 0
	buffer_store_dword v3, off, s[0:3], s32 offset:592 ; 4-byte Folded Spill
	s_and_saveexec_b64 s[38:39], vcc
	s_cbranch_execz .LBB253_308
; %bb.307:                              ;   in Loop: Header=BB253_10 Depth=1
	v_mov_b32_e32 v2, 7
	v_and_b32_sdwa v30, v0, v2 dst_sel:DWORD dst_unused:UNUSED_PAD src0_sel:BYTE_1 src1_sel:DWORD
	v_lshrrev_b32_e32 v4, 3, v1
	v_cmp_gt_u32_e32 vcc, 8, v1
	v_ffbh_u32_e32 v1, v30
	v_min_u32_e32 v1, 32, v1
	v_subrev_u32_e32 v2, 28, v1
	v_lshlrev_b64 v[2:3], v2, v[30:31]
	v_sub_u32_e32 v1, 29, v1
	v_and_b32_e32 v2, 7, v2
	v_cndmask_b32_e32 v1, v4, v1, vcc
	v_bfrev_b32_e32 v3, 60
	v_cndmask_b32_e32 v2, v30, v2, vcc
	v_lshlrev_b32_e32 v0, 16, v0
	v_lshl_add_u32 v1, v1, 23, v3
	v_and_or_b32 v0, v0, s25, v1
	v_lshlrev_b32_e32 v1, 20, v2
	v_mov_b32_e32 v30, v41
	v_or_b32_e32 v1, v0, v1
	v_mov_b32_e32 v0, v31
	buffer_store_dword v0, off, s[0:3], s32 offset:588 ; 4-byte Folded Spill
	s_nop 0
	buffer_store_dword v1, off, s[0:3], s32 offset:592 ; 4-byte Folded Spill
.LBB253_308:                            ;   in Loop: Header=BB253_10 Depth=1
	s_or_b64 exec, exec, s[38:39]
.LBB253_309:                            ;   in Loop: Header=BB253_10 Depth=1
	s_or_b64 exec, exec, s[36:37]
.LBB253_310:                            ;   in Loop: Header=BB253_10 Depth=1
	s_or_b64 exec, exec, s[34:35]
	flat_load_ushort v1, v[10:11] offset:3076
	v_pk_mov_b32 v[2:3], 0, 0
	buffer_store_dword v2, off, s[0:3], s32 offset:604 ; 4-byte Folded Spill
	s_nop 0
	buffer_store_dword v3, off, s[0:3], s32 offset:608 ; 4-byte Folded Spill
	buffer_store_dword v2, off, s[0:3], s32 offset:596 ; 4-byte Folded Spill
	s_nop 0
	buffer_store_dword v3, off, s[0:3], s32 offset:600 ; 4-byte Folded Spill
	s_waitcnt vmcnt(0) lgkmcnt(0)
	v_and_b32_e32 v0, 0xffff, v1
	v_cmp_ne_u16_sdwa vcc, v1, v31 src0_sel:BYTE_0 src1_sel:DWORD
	s_and_saveexec_b64 s[34:35], vcc
	s_cbranch_execz .LBB253_316
; %bb.311:                              ;   in Loop: Header=BB253_10 Depth=1
	v_bfrev_b32_e32 v2, 1
	v_cmp_ne_u16_sdwa vcc, v0, s19 src0_sel:BYTE_0 src1_sel:DWORD
	v_mov_b32_e32 v3, 0
	buffer_store_dword v2, off, s[0:3], s32 offset:596 ; 4-byte Folded Spill
	s_nop 0
	buffer_store_dword v3, off, s[0:3], s32 offset:600 ; 4-byte Folded Spill
	s_and_saveexec_b64 s[36:37], vcc
	s_cbranch_execz .LBB253_315
; %bb.312:                              ;   in Loop: Header=BB253_10 Depth=1
	v_and_b32_e32 v1, 0x7f, v0
	v_mov_b32_e32 v2, 0x7f800001
	v_cmp_ne_u32_e32 vcc, s41, v1
	v_mov_b32_e32 v3, 0
	buffer_store_dword v2, off, s[0:3], s32 offset:596 ; 4-byte Folded Spill
	s_nop 0
	buffer_store_dword v3, off, s[0:3], s32 offset:600 ; 4-byte Folded Spill
	s_and_saveexec_b64 s[38:39], vcc
	s_cbranch_execz .LBB253_314
; %bb.313:                              ;   in Loop: Header=BB253_10 Depth=1
	v_and_b32_e32 v4, 7, v0
	v_lshrrev_b32_e32 v5, 3, v1
	v_cmp_gt_u32_e32 vcc, 8, v1
	v_ffbh_u32_e32 v1, v4
	v_min_u32_e32 v1, 32, v1
	v_subrev_u32_e32 v2, 28, v1
	v_lshlrev_b64 v[2:3], v2, v[0:1]
	v_sub_u32_e32 v1, 29, v1
	v_and_b32_e32 v2, 7, v2
	v_cndmask_b32_e32 v1, v5, v1, vcc
	v_cndmask_b32_e32 v2, v4, v2, vcc
	v_bfrev_b32_e32 v4, 60
	v_lshlrev_b32_e32 v2, 20, v2
	v_and_b32_sdwa v3, sext(v0), s25 dst_sel:DWORD dst_unused:UNUSED_PAD src0_sel:BYTE_0 src1_sel:DWORD
	v_lshl_add_u32 v1, v1, 23, v4
	v_or3_b32 v30, v3, v1, v2
	buffer_store_dword v30, off, s[0:3], s32 offset:596 ; 4-byte Folded Spill
	s_nop 0
	buffer_store_dword v31, off, s[0:3], s32 offset:600 ; 4-byte Folded Spill
	v_mov_b32_e32 v30, v41
.LBB253_314:                            ;   in Loop: Header=BB253_10 Depth=1
	s_or_b64 exec, exec, s[38:39]
.LBB253_315:                            ;   in Loop: Header=BB253_10 Depth=1
	s_or_b64 exec, exec, s[36:37]
.LBB253_316:                            ;   in Loop: Header=BB253_10 Depth=1
	s_or_b64 exec, exec, s[34:35]
	v_cmp_ne_u16_sdwa vcc, v0, v31 src0_sel:BYTE_1 src1_sel:DWORD
	s_and_saveexec_b64 s[34:35], vcc
	s_cbranch_execz .LBB253_322
; %bb.317:                              ;   in Loop: Header=BB253_10 Depth=1
	v_cmp_ne_u16_sdwa vcc, v0, s19 src0_sel:BYTE_1 src1_sel:DWORD
	v_pk_mov_b32 v[2:3], s[24:25], s[24:25] op_sel:[0,1]
	buffer_store_dword v2, off, s[0:3], s32 offset:604 ; 4-byte Folded Spill
	s_nop 0
	buffer_store_dword v3, off, s[0:3], s32 offset:608 ; 4-byte Folded Spill
	s_and_saveexec_b64 s[36:37], vcc
	s_cbranch_execz .LBB253_321
; %bb.318:                              ;   in Loop: Header=BB253_10 Depth=1
	v_and_b32_sdwa v1, v0, s41 dst_sel:DWORD dst_unused:UNUSED_PAD src0_sel:BYTE_1 src1_sel:DWORD
	s_mov_b32 s30, s24
	v_cmp_ne_u32_e32 vcc, s41, v1
	v_pk_mov_b32 v[2:3], s[30:31], s[30:31] op_sel:[0,1]
	buffer_store_dword v2, off, s[0:3], s32 offset:604 ; 4-byte Folded Spill
	s_nop 0
	buffer_store_dword v3, off, s[0:3], s32 offset:608 ; 4-byte Folded Spill
	s_and_saveexec_b64 s[38:39], vcc
	s_cbranch_execz .LBB253_320
; %bb.319:                              ;   in Loop: Header=BB253_10 Depth=1
	v_mov_b32_e32 v2, 7
	v_and_b32_sdwa v30, v0, v2 dst_sel:DWORD dst_unused:UNUSED_PAD src0_sel:BYTE_1 src1_sel:DWORD
	v_lshrrev_b32_e32 v4, 3, v1
	v_cmp_gt_u32_e32 vcc, 8, v1
	v_ffbh_u32_e32 v1, v30
	v_min_u32_e32 v1, 32, v1
	v_subrev_u32_e32 v2, 28, v1
	v_lshlrev_b64 v[2:3], v2, v[30:31]
	v_sub_u32_e32 v1, 29, v1
	v_and_b32_e32 v2, 7, v2
	v_cndmask_b32_e32 v1, v4, v1, vcc
	v_bfrev_b32_e32 v3, 60
	v_cndmask_b32_e32 v2, v30, v2, vcc
	v_lshlrev_b32_e32 v0, 16, v0
	v_lshl_add_u32 v1, v1, 23, v3
	v_and_or_b32 v0, v0, s25, v1
	v_lshlrev_b32_e32 v1, 20, v2
	v_mov_b32_e32 v30, v41
	v_or_b32_e32 v1, v0, v1
	v_mov_b32_e32 v0, v31
	buffer_store_dword v0, off, s[0:3], s32 offset:604 ; 4-byte Folded Spill
	s_nop 0
	buffer_store_dword v1, off, s[0:3], s32 offset:608 ; 4-byte Folded Spill
.LBB253_320:                            ;   in Loop: Header=BB253_10 Depth=1
	s_or_b64 exec, exec, s[38:39]
.LBB253_321:                            ;   in Loop: Header=BB253_10 Depth=1
	s_or_b64 exec, exec, s[36:37]
.LBB253_322:                            ;   in Loop: Header=BB253_10 Depth=1
	s_or_b64 exec, exec, s[34:35]
	v_add_co_u32_e32 v0, vcc, 0xc00, v10
	v_addc_co_u32_e32 v1, vcc, 0, v11, vcc
	flat_load_ushort v3, v[0:1] offset:8
	v_pk_mov_b32 v[4:5], 0, 0
	v_accvgpr_write_b32 a21, v5
	v_accvgpr_write_b32 a20, v4
	buffer_store_dword v4, off, s[0:3], s32 offset:612 ; 4-byte Folded Spill
	s_nop 0
	buffer_store_dword v5, off, s[0:3], s32 offset:616 ; 4-byte Folded Spill
	s_waitcnt vmcnt(0) lgkmcnt(0)
	v_and_b32_e32 v2, 0xffff, v3
	v_cmp_ne_u16_sdwa vcc, v3, v31 src0_sel:BYTE_0 src1_sel:DWORD
	s_and_saveexec_b64 s[34:35], vcc
	s_cbranch_execz .LBB253_328
; %bb.323:                              ;   in Loop: Header=BB253_10 Depth=1
	v_bfrev_b32_e32 v4, 1
	v_cmp_ne_u16_sdwa vcc, v2, s19 src0_sel:BYTE_0 src1_sel:DWORD
	v_mov_b32_e32 v5, 0
	buffer_store_dword v4, off, s[0:3], s32 offset:612 ; 4-byte Folded Spill
	s_nop 0
	buffer_store_dword v5, off, s[0:3], s32 offset:616 ; 4-byte Folded Spill
	s_and_saveexec_b64 s[36:37], vcc
	s_cbranch_execz .LBB253_327
; %bb.324:                              ;   in Loop: Header=BB253_10 Depth=1
	v_and_b32_e32 v3, 0x7f, v2
	v_mov_b32_e32 v4, 0x7f800001
	v_cmp_ne_u32_e32 vcc, s41, v3
	v_mov_b32_e32 v5, 0
	buffer_store_dword v4, off, s[0:3], s32 offset:612 ; 4-byte Folded Spill
	s_nop 0
	buffer_store_dword v5, off, s[0:3], s32 offset:616 ; 4-byte Folded Spill
	s_and_saveexec_b64 s[38:39], vcc
	s_cbranch_execz .LBB253_326
; %bb.325:                              ;   in Loop: Header=BB253_10 Depth=1
	v_and_b32_e32 v6, 7, v2
	v_lshrrev_b32_e32 v7, 3, v3
	v_cmp_gt_u32_e32 vcc, 8, v3
	v_ffbh_u32_e32 v3, v6
	v_min_u32_e32 v3, 32, v3
	v_subrev_u32_e32 v4, 28, v3
	v_lshlrev_b64 v[4:5], v4, v[2:3]
	v_sub_u32_e32 v3, 29, v3
	v_and_b32_e32 v4, 7, v4
	v_cndmask_b32_e32 v3, v7, v3, vcc
	v_cndmask_b32_e32 v4, v6, v4, vcc
	v_bfrev_b32_e32 v6, 60
	v_lshlrev_b32_e32 v4, 20, v4
	v_and_b32_sdwa v5, sext(v2), s25 dst_sel:DWORD dst_unused:UNUSED_PAD src0_sel:BYTE_0 src1_sel:DWORD
	v_lshl_add_u32 v3, v3, 23, v6
	v_or3_b32 v30, v5, v3, v4
	buffer_store_dword v30, off, s[0:3], s32 offset:612 ; 4-byte Folded Spill
	s_nop 0
	buffer_store_dword v31, off, s[0:3], s32 offset:616 ; 4-byte Folded Spill
	v_mov_b32_e32 v30, v41
.LBB253_326:                            ;   in Loop: Header=BB253_10 Depth=1
	s_or_b64 exec, exec, s[38:39]
.LBB253_327:                            ;   in Loop: Header=BB253_10 Depth=1
	s_or_b64 exec, exec, s[36:37]
.LBB253_328:                            ;   in Loop: Header=BB253_10 Depth=1
	s_or_b64 exec, exec, s[34:35]
	v_cmp_ne_u16_sdwa vcc, v2, v31 src0_sel:BYTE_1 src1_sel:DWORD
	s_and_saveexec_b64 s[34:35], vcc
	s_cbranch_execz .LBB253_334
; %bb.329:                              ;   in Loop: Header=BB253_10 Depth=1
	v_accvgpr_write_b32 a20, s24
	v_cmp_ne_u16_sdwa vcc, v2, s19 src0_sel:BYTE_1 src1_sel:DWORD
	v_accvgpr_write_b32 a21, s25
	s_and_saveexec_b64 s[36:37], vcc
	s_cbranch_execz .LBB253_333
; %bb.330:                              ;   in Loop: Header=BB253_10 Depth=1
	s_mov_b32 s30, s24
	v_and_b32_sdwa v3, v2, s41 dst_sel:DWORD dst_unused:UNUSED_PAD src0_sel:BYTE_1 src1_sel:DWORD
	v_accvgpr_write_b32 a20, s30
	v_cmp_ne_u32_e32 vcc, s41, v3
	v_accvgpr_write_b32 a21, s31
	s_and_saveexec_b64 s[38:39], vcc
	s_cbranch_execz .LBB253_332
; %bb.331:                              ;   in Loop: Header=BB253_10 Depth=1
	v_mov_b32_e32 v4, 7
	v_and_b32_sdwa v30, v2, v4 dst_sel:DWORD dst_unused:UNUSED_PAD src0_sel:BYTE_1 src1_sel:DWORD
	v_lshrrev_b32_e32 v6, 3, v3
	v_cmp_gt_u32_e32 vcc, 8, v3
	v_ffbh_u32_e32 v3, v30
	v_min_u32_e32 v3, 32, v3
	v_subrev_u32_e32 v4, 28, v3
	v_lshlrev_b64 v[4:5], v4, v[30:31]
	v_sub_u32_e32 v3, 29, v3
	v_and_b32_e32 v4, 7, v4
	v_cndmask_b32_e32 v3, v6, v3, vcc
	v_bfrev_b32_e32 v5, 60
	v_cndmask_b32_e32 v4, v30, v4, vcc
	v_lshlrev_b32_e32 v2, 16, v2
	v_lshl_add_u32 v3, v3, 23, v5
	v_and_or_b32 v2, v2, s25, v3
	v_lshlrev_b32_e32 v3, 20, v4
	v_or_b32_e32 v3, v2, v3
	v_mov_b32_e32 v2, v31
	v_accvgpr_write_b32 a21, v3
	v_mov_b32_e32 v30, v41
	v_accvgpr_write_b32 a20, v2
.LBB253_332:                            ;   in Loop: Header=BB253_10 Depth=1
	s_or_b64 exec, exec, s[38:39]
.LBB253_333:                            ;   in Loop: Header=BB253_10 Depth=1
	s_or_b64 exec, exec, s[36:37]
.LBB253_334:                            ;   in Loop: Header=BB253_10 Depth=1
	s_or_b64 exec, exec, s[34:35]
	flat_load_ushort v1, v[0:1] offset:12
	v_pk_mov_b32 v[2:3], 0, 0
	v_accvgpr_write_b32 a23, v3
	v_accvgpr_write_b32 a5, v3
	;; [unrolled: 1-line block ×4, first 2 shown]
	s_waitcnt vmcnt(0) lgkmcnt(0)
	v_and_b32_e32 v0, 0xffff, v1
	v_cmp_ne_u16_sdwa vcc, v1, v31 src0_sel:BYTE_0 src1_sel:DWORD
	s_and_saveexec_b64 s[34:35], vcc
	s_cbranch_execz .LBB253_340
; %bb.335:                              ;   in Loop: Header=BB253_10 Depth=1
	v_bfrev_b32_e32 v2, 1
	v_mov_b32_e32 v3, 0
	v_accvgpr_write_b32 a5, v3
	v_cmp_ne_u16_sdwa vcc, v0, s19 src0_sel:BYTE_0 src1_sel:DWORD
	v_accvgpr_write_b32 a4, v2
	s_and_saveexec_b64 s[36:37], vcc
	s_cbranch_execz .LBB253_339
; %bb.336:                              ;   in Loop: Header=BB253_10 Depth=1
	v_mov_b32_e32 v2, 0x7f800001
	v_mov_b32_e32 v3, 0
	v_and_b32_e32 v1, 0x7f, v0
	v_accvgpr_write_b32 a5, v3
	v_cmp_ne_u32_e32 vcc, s41, v1
	v_accvgpr_write_b32 a4, v2
	s_and_saveexec_b64 s[38:39], vcc
	s_cbranch_execz .LBB253_338
; %bb.337:                              ;   in Loop: Header=BB253_10 Depth=1
	v_and_b32_e32 v4, 7, v0
	v_lshrrev_b32_e32 v5, 3, v1
	v_cmp_gt_u32_e32 vcc, 8, v1
	v_ffbh_u32_e32 v1, v4
	v_min_u32_e32 v1, 32, v1
	v_subrev_u32_e32 v2, 28, v1
	v_lshlrev_b64 v[2:3], v2, v[0:1]
	v_sub_u32_e32 v1, 29, v1
	v_and_b32_e32 v2, 7, v2
	v_cndmask_b32_e32 v1, v5, v1, vcc
	v_cndmask_b32_e32 v2, v4, v2, vcc
	v_bfrev_b32_e32 v4, 60
	v_lshlrev_b32_e32 v2, 20, v2
	v_and_b32_sdwa v3, sext(v0), s25 dst_sel:DWORD dst_unused:UNUSED_PAD src0_sel:BYTE_0 src1_sel:DWORD
	v_lshl_add_u32 v1, v1, 23, v4
	v_or3_b32 v30, v3, v1, v2
	v_accvgpr_write_b32 a4, v30
	v_accvgpr_write_b32 a5, v31
	v_mov_b32_e32 v30, v41
.LBB253_338:                            ;   in Loop: Header=BB253_10 Depth=1
	s_or_b64 exec, exec, s[38:39]
.LBB253_339:                            ;   in Loop: Header=BB253_10 Depth=1
	s_or_b64 exec, exec, s[36:37]
.LBB253_340:                            ;   in Loop: Header=BB253_10 Depth=1
	s_or_b64 exec, exec, s[34:35]
	v_cmp_ne_u16_sdwa vcc, v0, v31 src0_sel:BYTE_1 src1_sel:DWORD
	s_and_saveexec_b64 s[34:35], vcc
	s_cbranch_execz .LBB253_346
; %bb.341:                              ;   in Loop: Header=BB253_10 Depth=1
	v_accvgpr_write_b32 a22, s24
	v_cmp_ne_u16_sdwa vcc, v0, s19 src0_sel:BYTE_1 src1_sel:DWORD
	v_accvgpr_write_b32 a23, s25
	s_and_saveexec_b64 s[36:37], vcc
	s_cbranch_execz .LBB253_345
; %bb.342:                              ;   in Loop: Header=BB253_10 Depth=1
	s_mov_b32 s30, s24
	v_and_b32_sdwa v1, v0, s41 dst_sel:DWORD dst_unused:UNUSED_PAD src0_sel:BYTE_1 src1_sel:DWORD
	v_accvgpr_write_b32 a22, s30
	v_cmp_ne_u32_e32 vcc, s41, v1
	v_accvgpr_write_b32 a23, s31
	s_and_saveexec_b64 s[38:39], vcc
	s_cbranch_execz .LBB253_344
; %bb.343:                              ;   in Loop: Header=BB253_10 Depth=1
	v_mov_b32_e32 v2, 7
	v_and_b32_sdwa v30, v0, v2 dst_sel:DWORD dst_unused:UNUSED_PAD src0_sel:BYTE_1 src1_sel:DWORD
	v_lshrrev_b32_e32 v4, 3, v1
	v_cmp_gt_u32_e32 vcc, 8, v1
	v_ffbh_u32_e32 v1, v30
	v_min_u32_e32 v1, 32, v1
	v_subrev_u32_e32 v2, 28, v1
	v_lshlrev_b64 v[2:3], v2, v[30:31]
	v_sub_u32_e32 v1, 29, v1
	v_and_b32_e32 v2, 7, v2
	v_cndmask_b32_e32 v1, v4, v1, vcc
	v_bfrev_b32_e32 v3, 60
	v_cndmask_b32_e32 v2, v30, v2, vcc
	v_lshlrev_b32_e32 v0, 16, v0
	v_lshl_add_u32 v1, v1, 23, v3
	v_and_or_b32 v0, v0, s25, v1
	v_lshlrev_b32_e32 v1, 20, v2
	v_or_b32_e32 v1, v0, v1
	v_mov_b32_e32 v0, v31
	v_accvgpr_write_b32 a23, v1
	v_mov_b32_e32 v30, v41
	v_accvgpr_write_b32 a22, v0
.LBB253_344:                            ;   in Loop: Header=BB253_10 Depth=1
	s_or_b64 exec, exec, s[38:39]
.LBB253_345:                            ;   in Loop: Header=BB253_10 Depth=1
	s_or_b64 exec, exec, s[36:37]
.LBB253_346:                            ;   in Loop: Header=BB253_10 Depth=1
	s_or_b64 exec, exec, s[34:35]
	flat_load_ushort v1, v[10:11] offset:3584
	v_pk_mov_b32 v[2:3], 0, 0
	v_accvgpr_write_b32 a2, v2
	v_accvgpr_write_b32 a25, v3
	;; [unrolled: 1-line block ×4, first 2 shown]
	s_waitcnt vmcnt(0) lgkmcnt(0)
	v_and_b32_e32 v0, 0xffff, v1
	v_cmp_ne_u16_sdwa vcc, v1, v31 src0_sel:BYTE_0 src1_sel:DWORD
	s_and_saveexec_b64 s[34:35], vcc
	s_cbranch_execz .LBB253_352
; %bb.347:                              ;   in Loop: Header=BB253_10 Depth=1
	v_bfrev_b32_e32 v2, 1
	v_mov_b32_e32 v3, 0
	v_accvgpr_write_b32 a25, v3
	v_cmp_ne_u16_sdwa vcc, v0, s19 src0_sel:BYTE_0 src1_sel:DWORD
	v_accvgpr_write_b32 a24, v2
	s_and_saveexec_b64 s[36:37], vcc
	s_cbranch_execz .LBB253_351
; %bb.348:                              ;   in Loop: Header=BB253_10 Depth=1
	v_mov_b32_e32 v2, 0x7f800001
	v_mov_b32_e32 v3, 0
	v_and_b32_e32 v1, 0x7f, v0
	v_accvgpr_write_b32 a25, v3
	v_cmp_ne_u32_e32 vcc, s41, v1
	v_accvgpr_write_b32 a24, v2
	s_and_saveexec_b64 s[38:39], vcc
	s_cbranch_execz .LBB253_350
; %bb.349:                              ;   in Loop: Header=BB253_10 Depth=1
	v_and_b32_e32 v4, 7, v0
	v_lshrrev_b32_e32 v5, 3, v1
	v_cmp_gt_u32_e32 vcc, 8, v1
	v_ffbh_u32_e32 v1, v4
	v_min_u32_e32 v1, 32, v1
	v_subrev_u32_e32 v2, 28, v1
	v_lshlrev_b64 v[2:3], v2, v[0:1]
	v_sub_u32_e32 v1, 29, v1
	v_and_b32_e32 v2, 7, v2
	v_cndmask_b32_e32 v1, v5, v1, vcc
	v_cndmask_b32_e32 v2, v4, v2, vcc
	v_bfrev_b32_e32 v4, 60
	v_lshlrev_b32_e32 v2, 20, v2
	v_and_b32_sdwa v3, sext(v0), s25 dst_sel:DWORD dst_unused:UNUSED_PAD src0_sel:BYTE_0 src1_sel:DWORD
	v_lshl_add_u32 v1, v1, 23, v4
	v_or3_b32 v30, v3, v1, v2
	v_accvgpr_write_b32 a24, v30
	v_accvgpr_write_b32 a25, v31
	v_mov_b32_e32 v30, v41
.LBB253_350:                            ;   in Loop: Header=BB253_10 Depth=1
	s_or_b64 exec, exec, s[38:39]
.LBB253_351:                            ;   in Loop: Header=BB253_10 Depth=1
	s_or_b64 exec, exec, s[36:37]
.LBB253_352:                            ;   in Loop: Header=BB253_10 Depth=1
	s_or_b64 exec, exec, s[34:35]
	v_cmp_ne_u16_sdwa vcc, v0, v31 src0_sel:BYTE_1 src1_sel:DWORD
	s_and_saveexec_b64 s[34:35], vcc
	s_cbranch_execz .LBB253_358
; %bb.353:                              ;   in Loop: Header=BB253_10 Depth=1
	v_accvgpr_write_b32 a2, s24
	v_cmp_ne_u16_sdwa vcc, v0, s19 src0_sel:BYTE_1 src1_sel:DWORD
	v_accvgpr_write_b32 a3, s25
	s_and_saveexec_b64 s[36:37], vcc
	s_cbranch_execz .LBB253_357
; %bb.354:                              ;   in Loop: Header=BB253_10 Depth=1
	s_mov_b32 s30, s24
	v_and_b32_sdwa v1, v0, s41 dst_sel:DWORD dst_unused:UNUSED_PAD src0_sel:BYTE_1 src1_sel:DWORD
	v_accvgpr_write_b32 a2, s30
	v_cmp_ne_u32_e32 vcc, s41, v1
	v_accvgpr_write_b32 a3, s31
	s_and_saveexec_b64 s[38:39], vcc
	s_cbranch_execz .LBB253_356
; %bb.355:                              ;   in Loop: Header=BB253_10 Depth=1
	v_mov_b32_e32 v2, 7
	v_and_b32_sdwa v30, v0, v2 dst_sel:DWORD dst_unused:UNUSED_PAD src0_sel:BYTE_1 src1_sel:DWORD
	v_lshrrev_b32_e32 v4, 3, v1
	v_cmp_gt_u32_e32 vcc, 8, v1
	v_ffbh_u32_e32 v1, v30
	v_min_u32_e32 v1, 32, v1
	v_subrev_u32_e32 v2, 28, v1
	v_lshlrev_b64 v[2:3], v2, v[30:31]
	v_sub_u32_e32 v1, 29, v1
	v_and_b32_e32 v2, 7, v2
	v_cndmask_b32_e32 v1, v4, v1, vcc
	v_bfrev_b32_e32 v3, 60
	v_cndmask_b32_e32 v2, v30, v2, vcc
	v_lshlrev_b32_e32 v0, 16, v0
	v_lshl_add_u32 v1, v1, 23, v3
	v_and_or_b32 v0, v0, s25, v1
	v_lshlrev_b32_e32 v1, 20, v2
	v_or_b32_e32 v1, v0, v1
	v_mov_b32_e32 v0, v31
	v_accvgpr_write_b32 a3, v1
	v_mov_b32_e32 v30, v41
	v_accvgpr_write_b32 a2, v0
.LBB253_356:                            ;   in Loop: Header=BB253_10 Depth=1
	s_or_b64 exec, exec, s[38:39]
.LBB253_357:                            ;   in Loop: Header=BB253_10 Depth=1
	s_or_b64 exec, exec, s[36:37]
.LBB253_358:                            ;   in Loop: Header=BB253_10 Depth=1
	s_or_b64 exec, exec, s[34:35]
	flat_load_ushort v1, v[10:11] offset:3588
	v_pk_mov_b32 v[2:3], 0, 0
	v_accvgpr_write_b32 a7, v3
	v_accvgpr_write_b32 a13, v3
	;; [unrolled: 1-line block ×4, first 2 shown]
	s_waitcnt vmcnt(0) lgkmcnt(0)
	v_and_b32_e32 v0, 0xffff, v1
	v_cmp_ne_u16_sdwa vcc, v1, v31 src0_sel:BYTE_0 src1_sel:DWORD
	s_and_saveexec_b64 s[34:35], vcc
	s_cbranch_execz .LBB253_364
; %bb.359:                              ;   in Loop: Header=BB253_10 Depth=1
	v_bfrev_b32_e32 v2, 1
	v_mov_b32_e32 v3, 0
	v_accvgpr_write_b32 a13, v3
	v_cmp_ne_u16_sdwa vcc, v0, s19 src0_sel:BYTE_0 src1_sel:DWORD
	v_accvgpr_write_b32 a12, v2
	s_and_saveexec_b64 s[36:37], vcc
	s_cbranch_execz .LBB253_363
; %bb.360:                              ;   in Loop: Header=BB253_10 Depth=1
	v_mov_b32_e32 v2, 0x7f800001
	v_mov_b32_e32 v3, 0
	v_and_b32_e32 v1, 0x7f, v0
	v_accvgpr_write_b32 a13, v3
	v_cmp_ne_u32_e32 vcc, s41, v1
	v_accvgpr_write_b32 a12, v2
	s_and_saveexec_b64 s[38:39], vcc
	s_cbranch_execz .LBB253_362
; %bb.361:                              ;   in Loop: Header=BB253_10 Depth=1
	v_and_b32_e32 v4, 7, v0
	v_lshrrev_b32_e32 v5, 3, v1
	v_cmp_gt_u32_e32 vcc, 8, v1
	v_ffbh_u32_e32 v1, v4
	v_min_u32_e32 v1, 32, v1
	v_subrev_u32_e32 v2, 28, v1
	v_lshlrev_b64 v[2:3], v2, v[0:1]
	v_sub_u32_e32 v1, 29, v1
	v_and_b32_e32 v2, 7, v2
	v_cndmask_b32_e32 v1, v5, v1, vcc
	v_cndmask_b32_e32 v2, v4, v2, vcc
	v_bfrev_b32_e32 v4, 60
	v_lshlrev_b32_e32 v2, 20, v2
	v_and_b32_sdwa v3, sext(v0), s25 dst_sel:DWORD dst_unused:UNUSED_PAD src0_sel:BYTE_0 src1_sel:DWORD
	v_lshl_add_u32 v1, v1, 23, v4
	v_or3_b32 v30, v3, v1, v2
	v_accvgpr_write_b32 a12, v30
	v_accvgpr_write_b32 a13, v31
	v_mov_b32_e32 v30, v41
.LBB253_362:                            ;   in Loop: Header=BB253_10 Depth=1
	s_or_b64 exec, exec, s[38:39]
.LBB253_363:                            ;   in Loop: Header=BB253_10 Depth=1
	s_or_b64 exec, exec, s[36:37]
.LBB253_364:                            ;   in Loop: Header=BB253_10 Depth=1
	s_or_b64 exec, exec, s[34:35]
	v_cmp_ne_u16_sdwa vcc, v0, v31 src0_sel:BYTE_1 src1_sel:DWORD
	s_and_saveexec_b64 s[34:35], vcc
	s_cbranch_execz .LBB253_370
; %bb.365:                              ;   in Loop: Header=BB253_10 Depth=1
	v_accvgpr_write_b32 a6, s24
	v_cmp_ne_u16_sdwa vcc, v0, s19 src0_sel:BYTE_1 src1_sel:DWORD
	v_accvgpr_write_b32 a7, s25
	s_and_saveexec_b64 s[36:37], vcc
	s_cbranch_execz .LBB253_369
; %bb.366:                              ;   in Loop: Header=BB253_10 Depth=1
	s_mov_b32 s30, s24
	v_and_b32_sdwa v1, v0, s41 dst_sel:DWORD dst_unused:UNUSED_PAD src0_sel:BYTE_1 src1_sel:DWORD
	v_accvgpr_write_b32 a6, s30
	v_cmp_ne_u32_e32 vcc, s41, v1
	v_accvgpr_write_b32 a7, s31
	s_and_saveexec_b64 s[38:39], vcc
	s_cbranch_execz .LBB253_368
; %bb.367:                              ;   in Loop: Header=BB253_10 Depth=1
	v_mov_b32_e32 v2, 7
	v_and_b32_sdwa v30, v0, v2 dst_sel:DWORD dst_unused:UNUSED_PAD src0_sel:BYTE_1 src1_sel:DWORD
	v_lshrrev_b32_e32 v4, 3, v1
	v_cmp_gt_u32_e32 vcc, 8, v1
	v_ffbh_u32_e32 v1, v30
	v_min_u32_e32 v1, 32, v1
	v_subrev_u32_e32 v2, 28, v1
	v_lshlrev_b64 v[2:3], v2, v[30:31]
	v_sub_u32_e32 v1, 29, v1
	v_and_b32_e32 v2, 7, v2
	v_cndmask_b32_e32 v1, v4, v1, vcc
	v_bfrev_b32_e32 v3, 60
	v_cndmask_b32_e32 v2, v30, v2, vcc
	v_lshlrev_b32_e32 v0, 16, v0
	v_lshl_add_u32 v1, v1, 23, v3
	v_and_or_b32 v0, v0, s25, v1
	v_lshlrev_b32_e32 v1, 20, v2
	v_or_b32_e32 v1, v0, v1
	v_mov_b32_e32 v0, v31
	v_accvgpr_write_b32 a7, v1
	v_mov_b32_e32 v30, v41
	v_accvgpr_write_b32 a6, v0
.LBB253_368:                            ;   in Loop: Header=BB253_10 Depth=1
	s_or_b64 exec, exec, s[38:39]
.LBB253_369:                            ;   in Loop: Header=BB253_10 Depth=1
	s_or_b64 exec, exec, s[36:37]
.LBB253_370:                            ;   in Loop: Header=BB253_10 Depth=1
	s_or_b64 exec, exec, s[34:35]
	v_add_co_u32_e32 v0, vcc, 0xe00, v10
	v_addc_co_u32_e32 v1, vcc, 0, v11, vcc
	flat_load_ushort v3, v[0:1] offset:8
	v_pk_mov_b32 v[4:5], 0, 0
	v_accvgpr_write_b32 a15, v5
	v_accvgpr_write_b32 a17, v5
	;; [unrolled: 1-line block ×4, first 2 shown]
	s_waitcnt vmcnt(0) lgkmcnt(0)
	v_and_b32_e32 v2, 0xffff, v3
	v_cmp_ne_u16_sdwa vcc, v3, v31 src0_sel:BYTE_0 src1_sel:DWORD
	s_and_saveexec_b64 s[34:35], vcc
	s_cbranch_execz .LBB253_376
; %bb.371:                              ;   in Loop: Header=BB253_10 Depth=1
	v_bfrev_b32_e32 v4, 1
	v_mov_b32_e32 v5, 0
	v_accvgpr_write_b32 a17, v5
	v_cmp_ne_u16_sdwa vcc, v2, s19 src0_sel:BYTE_0 src1_sel:DWORD
	v_accvgpr_write_b32 a16, v4
	s_and_saveexec_b64 s[36:37], vcc
	s_cbranch_execz .LBB253_375
; %bb.372:                              ;   in Loop: Header=BB253_10 Depth=1
	v_mov_b32_e32 v4, 0x7f800001
	v_mov_b32_e32 v5, 0
	v_and_b32_e32 v3, 0x7f, v2
	v_accvgpr_write_b32 a17, v5
	v_cmp_ne_u32_e32 vcc, s41, v3
	v_accvgpr_write_b32 a16, v4
	s_and_saveexec_b64 s[38:39], vcc
	s_cbranch_execz .LBB253_374
; %bb.373:                              ;   in Loop: Header=BB253_10 Depth=1
	v_and_b32_e32 v6, 7, v2
	v_lshrrev_b32_e32 v7, 3, v3
	v_cmp_gt_u32_e32 vcc, 8, v3
	v_ffbh_u32_e32 v3, v6
	v_min_u32_e32 v3, 32, v3
	v_subrev_u32_e32 v4, 28, v3
	v_lshlrev_b64 v[4:5], v4, v[2:3]
	v_sub_u32_e32 v3, 29, v3
	v_and_b32_e32 v4, 7, v4
	v_cndmask_b32_e32 v3, v7, v3, vcc
	v_cndmask_b32_e32 v4, v6, v4, vcc
	v_bfrev_b32_e32 v6, 60
	v_lshlrev_b32_e32 v4, 20, v4
	v_and_b32_sdwa v5, sext(v2), s25 dst_sel:DWORD dst_unused:UNUSED_PAD src0_sel:BYTE_0 src1_sel:DWORD
	v_lshl_add_u32 v3, v3, 23, v6
	v_or3_b32 v30, v5, v3, v4
	v_accvgpr_write_b32 a16, v30
	v_accvgpr_write_b32 a17, v31
	v_mov_b32_e32 v30, v41
.LBB253_374:                            ;   in Loop: Header=BB253_10 Depth=1
	s_or_b64 exec, exec, s[38:39]
.LBB253_375:                            ;   in Loop: Header=BB253_10 Depth=1
	s_or_b64 exec, exec, s[36:37]
.LBB253_376:                            ;   in Loop: Header=BB253_10 Depth=1
	s_or_b64 exec, exec, s[34:35]
	v_cmp_ne_u16_sdwa vcc, v2, v31 src0_sel:BYTE_1 src1_sel:DWORD
	s_and_saveexec_b64 s[34:35], vcc
	s_cbranch_execz .LBB253_382
; %bb.377:                              ;   in Loop: Header=BB253_10 Depth=1
	v_accvgpr_write_b32 a14, s24
	v_cmp_ne_u16_sdwa vcc, v2, s19 src0_sel:BYTE_1 src1_sel:DWORD
	v_accvgpr_write_b32 a15, s25
	s_and_saveexec_b64 s[36:37], vcc
	s_cbranch_execz .LBB253_381
; %bb.378:                              ;   in Loop: Header=BB253_10 Depth=1
	s_mov_b32 s30, s24
	v_and_b32_sdwa v3, v2, s41 dst_sel:DWORD dst_unused:UNUSED_PAD src0_sel:BYTE_1 src1_sel:DWORD
	v_accvgpr_write_b32 a14, s30
	v_cmp_ne_u32_e32 vcc, s41, v3
	v_accvgpr_write_b32 a15, s31
	s_and_saveexec_b64 s[38:39], vcc
	s_cbranch_execz .LBB253_380
; %bb.379:                              ;   in Loop: Header=BB253_10 Depth=1
	v_mov_b32_e32 v4, 7
	v_and_b32_sdwa v30, v2, v4 dst_sel:DWORD dst_unused:UNUSED_PAD src0_sel:BYTE_1 src1_sel:DWORD
	v_lshrrev_b32_e32 v6, 3, v3
	v_cmp_gt_u32_e32 vcc, 8, v3
	v_ffbh_u32_e32 v3, v30
	v_min_u32_e32 v3, 32, v3
	v_subrev_u32_e32 v4, 28, v3
	v_lshlrev_b64 v[4:5], v4, v[30:31]
	v_sub_u32_e32 v3, 29, v3
	v_and_b32_e32 v4, 7, v4
	v_cndmask_b32_e32 v3, v6, v3, vcc
	v_bfrev_b32_e32 v5, 60
	v_cndmask_b32_e32 v4, v30, v4, vcc
	v_lshlrev_b32_e32 v2, 16, v2
	v_lshl_add_u32 v3, v3, 23, v5
	v_and_or_b32 v2, v2, s25, v3
	v_lshlrev_b32_e32 v3, 20, v4
	v_or_b32_e32 v3, v2, v3
	v_mov_b32_e32 v2, v31
	v_accvgpr_write_b32 a15, v3
	v_mov_b32_e32 v30, v41
	v_accvgpr_write_b32 a14, v2
.LBB253_380:                            ;   in Loop: Header=BB253_10 Depth=1
	s_or_b64 exec, exec, s[38:39]
.LBB253_381:                            ;   in Loop: Header=BB253_10 Depth=1
	s_or_b64 exec, exec, s[36:37]
.LBB253_382:                            ;   in Loop: Header=BB253_10 Depth=1
	s_or_b64 exec, exec, s[34:35]
	flat_load_ushort v1, v[0:1] offset:12
	v_pk_mov_b32 v[2:3], 0, 0
	v_accvgpr_write_b32 a27, v3
	v_accvgpr_write_b32 a63, v3
	;; [unrolled: 1-line block ×4, first 2 shown]
	s_waitcnt vmcnt(0) lgkmcnt(0)
	v_and_b32_e32 v0, 0xffff, v1
	v_cmp_ne_u16_sdwa vcc, v1, v31 src0_sel:BYTE_0 src1_sel:DWORD
	s_and_saveexec_b64 s[34:35], vcc
	s_cbranch_execz .LBB253_388
; %bb.383:                              ;   in Loop: Header=BB253_10 Depth=1
	v_bfrev_b32_e32 v2, 1
	v_mov_b32_e32 v3, 0
	v_accvgpr_write_b32 a63, v3
	v_cmp_ne_u16_sdwa vcc, v0, s19 src0_sel:BYTE_0 src1_sel:DWORD
	v_accvgpr_write_b32 a62, v2
	s_and_saveexec_b64 s[36:37], vcc
	s_cbranch_execz .LBB253_387
; %bb.384:                              ;   in Loop: Header=BB253_10 Depth=1
	v_mov_b32_e32 v2, 0x7f800001
	v_mov_b32_e32 v3, 0
	v_and_b32_e32 v1, 0x7f, v0
	v_accvgpr_write_b32 a63, v3
	v_cmp_ne_u32_e32 vcc, s41, v1
	v_accvgpr_write_b32 a62, v2
	s_and_saveexec_b64 s[38:39], vcc
	s_cbranch_execz .LBB253_386
; %bb.385:                              ;   in Loop: Header=BB253_10 Depth=1
	v_and_b32_e32 v4, 7, v0
	v_lshrrev_b32_e32 v5, 3, v1
	v_cmp_gt_u32_e32 vcc, 8, v1
	v_ffbh_u32_e32 v1, v4
	v_min_u32_e32 v1, 32, v1
	v_subrev_u32_e32 v2, 28, v1
	v_lshlrev_b64 v[2:3], v2, v[0:1]
	v_sub_u32_e32 v1, 29, v1
	v_and_b32_e32 v2, 7, v2
	v_cndmask_b32_e32 v1, v5, v1, vcc
	v_cndmask_b32_e32 v2, v4, v2, vcc
	v_bfrev_b32_e32 v4, 60
	v_lshlrev_b32_e32 v2, 20, v2
	v_and_b32_sdwa v3, sext(v0), s25 dst_sel:DWORD dst_unused:UNUSED_PAD src0_sel:BYTE_0 src1_sel:DWORD
	v_lshl_add_u32 v1, v1, 23, v4
	v_or3_b32 v30, v3, v1, v2
	v_accvgpr_write_b32 a63, v31
	v_accvgpr_write_b32 a62, v30
	v_mov_b32_e32 v30, v41
.LBB253_386:                            ;   in Loop: Header=BB253_10 Depth=1
	s_or_b64 exec, exec, s[38:39]
.LBB253_387:                            ;   in Loop: Header=BB253_10 Depth=1
	s_or_b64 exec, exec, s[36:37]
.LBB253_388:                            ;   in Loop: Header=BB253_10 Depth=1
	s_or_b64 exec, exec, s[34:35]
	v_cmp_ne_u16_sdwa vcc, v0, v31 src0_sel:BYTE_1 src1_sel:DWORD
	s_and_saveexec_b64 s[34:35], vcc
	s_cbranch_execz .LBB253_394
; %bb.389:                              ;   in Loop: Header=BB253_10 Depth=1
	v_accvgpr_write_b32 a27, s25
	v_cmp_ne_u16_sdwa vcc, v0, s19 src0_sel:BYTE_1 src1_sel:DWORD
	v_accvgpr_write_b32 a26, s24
	s_and_saveexec_b64 s[36:37], vcc
	s_cbranch_execz .LBB253_393
; %bb.390:                              ;   in Loop: Header=BB253_10 Depth=1
	s_mov_b32 s30, s24
	v_and_b32_sdwa v1, v0, s41 dst_sel:DWORD dst_unused:UNUSED_PAD src0_sel:BYTE_1 src1_sel:DWORD
	v_accvgpr_write_b32 a26, s30
	v_cmp_ne_u32_e32 vcc, s41, v1
	v_accvgpr_write_b32 a27, s31
	s_and_saveexec_b64 s[38:39], vcc
	s_cbranch_execz .LBB253_392
; %bb.391:                              ;   in Loop: Header=BB253_10 Depth=1
	v_mov_b32_e32 v2, 7
	v_and_b32_sdwa v30, v0, v2 dst_sel:DWORD dst_unused:UNUSED_PAD src0_sel:BYTE_1 src1_sel:DWORD
	v_lshrrev_b32_e32 v4, 3, v1
	v_cmp_gt_u32_e32 vcc, 8, v1
	v_ffbh_u32_e32 v1, v30
	v_min_u32_e32 v1, 32, v1
	v_subrev_u32_e32 v2, 28, v1
	v_lshlrev_b64 v[2:3], v2, v[30:31]
	v_sub_u32_e32 v1, 29, v1
	v_and_b32_e32 v2, 7, v2
	v_cndmask_b32_e32 v1, v4, v1, vcc
	v_bfrev_b32_e32 v3, 60
	v_cndmask_b32_e32 v2, v30, v2, vcc
	v_lshlrev_b32_e32 v0, 16, v0
	v_lshl_add_u32 v1, v1, 23, v3
	v_and_or_b32 v0, v0, s25, v1
	v_lshlrev_b32_e32 v1, 20, v2
	v_or_b32_e32 v1, v0, v1
	v_mov_b32_e32 v0, v31
	v_accvgpr_write_b32 a27, v1
	v_mov_b32_e32 v30, v41
	v_accvgpr_write_b32 a26, v0
.LBB253_392:                            ;   in Loop: Header=BB253_10 Depth=1
	s_or_b64 exec, exec, s[38:39]
.LBB253_393:                            ;   in Loop: Header=BB253_10 Depth=1
	s_or_b64 exec, exec, s[36:37]
.LBB253_394:                            ;   in Loop: Header=BB253_10 Depth=1
	s_or_b64 exec, exec, s[34:35]
	v_add_co_u32_e32 v0, vcc, 0x1000, v10
	v_addc_co_u32_e32 v1, vcc, 0, v11, vcc
	flat_load_ushort v1, v[0:1]
	v_pk_mov_b32 v[2:3], 0, 0
	v_accvgpr_write_b32 a9, v3
	v_accvgpr_write_b32 a19, v3
	;; [unrolled: 1-line block ×4, first 2 shown]
	s_waitcnt vmcnt(0) lgkmcnt(0)
	v_and_b32_e32 v0, 0xffff, v1
	v_cmp_ne_u16_sdwa vcc, v1, v31 src0_sel:BYTE_0 src1_sel:DWORD
	s_and_saveexec_b64 s[34:35], vcc
	s_cbranch_execz .LBB253_400
; %bb.395:                              ;   in Loop: Header=BB253_10 Depth=1
	v_bfrev_b32_e32 v2, 1
	v_mov_b32_e32 v3, 0
	v_accvgpr_write_b32 a19, v3
	v_cmp_ne_u16_sdwa vcc, v0, s19 src0_sel:BYTE_0 src1_sel:DWORD
	v_accvgpr_write_b32 a18, v2
	s_and_saveexec_b64 s[36:37], vcc
	s_cbranch_execz .LBB253_399
; %bb.396:                              ;   in Loop: Header=BB253_10 Depth=1
	v_mov_b32_e32 v2, 0x7f800001
	v_mov_b32_e32 v3, 0
	v_and_b32_e32 v1, 0x7f, v0
	v_accvgpr_write_b32 a19, v3
	v_cmp_ne_u32_e32 vcc, s41, v1
	v_accvgpr_write_b32 a18, v2
	s_and_saveexec_b64 s[38:39], vcc
	s_cbranch_execz .LBB253_398
; %bb.397:                              ;   in Loop: Header=BB253_10 Depth=1
	v_and_b32_e32 v4, 7, v0
	v_lshrrev_b32_e32 v5, 3, v1
	v_cmp_gt_u32_e32 vcc, 8, v1
	v_ffbh_u32_e32 v1, v4
	v_min_u32_e32 v1, 32, v1
	v_subrev_u32_e32 v2, 28, v1
	v_lshlrev_b64 v[2:3], v2, v[0:1]
	v_sub_u32_e32 v1, 29, v1
	v_and_b32_e32 v2, 7, v2
	v_cndmask_b32_e32 v1, v5, v1, vcc
	v_cndmask_b32_e32 v2, v4, v2, vcc
	v_bfrev_b32_e32 v4, 60
	v_lshlrev_b32_e32 v2, 20, v2
	v_and_b32_sdwa v3, sext(v0), s25 dst_sel:DWORD dst_unused:UNUSED_PAD src0_sel:BYTE_0 src1_sel:DWORD
	v_lshl_add_u32 v1, v1, 23, v4
	v_or3_b32 v30, v3, v1, v2
	v_accvgpr_write_b32 a18, v30
	v_accvgpr_write_b32 a19, v31
	v_mov_b32_e32 v30, v41
.LBB253_398:                            ;   in Loop: Header=BB253_10 Depth=1
	s_or_b64 exec, exec, s[38:39]
.LBB253_399:                            ;   in Loop: Header=BB253_10 Depth=1
	s_or_b64 exec, exec, s[36:37]
.LBB253_400:                            ;   in Loop: Header=BB253_10 Depth=1
	s_or_b64 exec, exec, s[34:35]
	v_cmp_ne_u16_sdwa vcc, v0, v31 src0_sel:BYTE_1 src1_sel:DWORD
	s_and_saveexec_b64 s[34:35], vcc
	s_cbranch_execz .LBB253_406
; %bb.401:                              ;   in Loop: Header=BB253_10 Depth=1
	v_accvgpr_write_b32 a8, s24
	v_cmp_ne_u16_sdwa vcc, v0, s19 src0_sel:BYTE_1 src1_sel:DWORD
	v_accvgpr_write_b32 a9, s25
	s_and_saveexec_b64 s[36:37], vcc
	s_cbranch_execz .LBB253_405
; %bb.402:                              ;   in Loop: Header=BB253_10 Depth=1
	s_mov_b32 s30, s24
	v_and_b32_sdwa v1, v0, s41 dst_sel:DWORD dst_unused:UNUSED_PAD src0_sel:BYTE_1 src1_sel:DWORD
	v_accvgpr_write_b32 a8, s30
	v_cmp_ne_u32_e32 vcc, s41, v1
	v_accvgpr_write_b32 a9, s31
	s_and_saveexec_b64 s[38:39], vcc
	s_cbranch_execz .LBB253_404
; %bb.403:                              ;   in Loop: Header=BB253_10 Depth=1
	v_mov_b32_e32 v2, 7
	v_and_b32_sdwa v30, v0, v2 dst_sel:DWORD dst_unused:UNUSED_PAD src0_sel:BYTE_1 src1_sel:DWORD
	v_lshrrev_b32_e32 v4, 3, v1
	v_cmp_gt_u32_e32 vcc, 8, v1
	v_ffbh_u32_e32 v1, v30
	v_min_u32_e32 v1, 32, v1
	v_subrev_u32_e32 v2, 28, v1
	v_lshlrev_b64 v[2:3], v2, v[30:31]
	v_sub_u32_e32 v1, 29, v1
	v_and_b32_e32 v2, 7, v2
	v_cndmask_b32_e32 v1, v4, v1, vcc
	v_bfrev_b32_e32 v3, 60
	v_cndmask_b32_e32 v2, v30, v2, vcc
	v_lshlrev_b32_e32 v0, 16, v0
	v_lshl_add_u32 v1, v1, 23, v3
	v_and_or_b32 v0, v0, s25, v1
	v_lshlrev_b32_e32 v1, 20, v2
	v_or_b32_e32 v1, v0, v1
	v_mov_b32_e32 v0, v31
	v_accvgpr_write_b32 a9, v1
	v_mov_b32_e32 v30, v41
	v_accvgpr_write_b32 a8, v0
.LBB253_404:                            ;   in Loop: Header=BB253_10 Depth=1
	s_or_b64 exec, exec, s[38:39]
.LBB253_405:                            ;   in Loop: Header=BB253_10 Depth=1
	s_or_b64 exec, exec, s[36:37]
.LBB253_406:                            ;   in Loop: Header=BB253_10 Depth=1
	s_or_b64 exec, exec, s[34:35]
	v_add_co_u32_e32 v0, vcc, 0x1000, v10
	v_addc_co_u32_e32 v1, vcc, 0, v11, vcc
	flat_load_ushort v3, v[0:1] offset:4
	v_pk_mov_b32 v[60:61], 0, 0
	v_accvgpr_write_b32 a30, v60
	v_accvgpr_write_b32 a31, v61
	s_waitcnt vmcnt(0) lgkmcnt(0)
	v_and_b32_e32 v2, 0xffff, v3
	v_cmp_ne_u16_sdwa vcc, v3, v31 src0_sel:BYTE_0 src1_sel:DWORD
	s_and_saveexec_b64 s[34:35], vcc
	s_cbranch_execz .LBB253_412
; %bb.407:                              ;   in Loop: Header=BB253_10 Depth=1
	v_bfrev_b32_e32 v4, 1
	v_mov_b32_e32 v5, 0
	v_accvgpr_write_b32 a31, v5
	v_cmp_ne_u16_sdwa vcc, v2, s19 src0_sel:BYTE_0 src1_sel:DWORD
	v_accvgpr_write_b32 a30, v4
	s_and_saveexec_b64 s[36:37], vcc
	s_cbranch_execz .LBB253_411
; %bb.408:                              ;   in Loop: Header=BB253_10 Depth=1
	v_mov_b32_e32 v4, 0x7f800001
	v_mov_b32_e32 v5, 0
	v_and_b32_e32 v3, 0x7f, v2
	v_accvgpr_write_b32 a31, v5
	v_cmp_ne_u32_e32 vcc, s41, v3
	v_accvgpr_write_b32 a30, v4
	s_and_saveexec_b64 s[38:39], vcc
	s_cbranch_execz .LBB253_410
; %bb.409:                              ;   in Loop: Header=BB253_10 Depth=1
	v_and_b32_e32 v6, 7, v2
	v_lshrrev_b32_e32 v7, 3, v3
	v_cmp_gt_u32_e32 vcc, 8, v3
	v_ffbh_u32_e32 v3, v6
	v_min_u32_e32 v3, 32, v3
	v_subrev_u32_e32 v4, 28, v3
	v_lshlrev_b64 v[4:5], v4, v[2:3]
	v_sub_u32_e32 v3, 29, v3
	v_and_b32_e32 v4, 7, v4
	v_cndmask_b32_e32 v3, v7, v3, vcc
	v_cndmask_b32_e32 v4, v6, v4, vcc
	v_bfrev_b32_e32 v6, 60
	v_lshlrev_b32_e32 v4, 20, v4
	v_and_b32_sdwa v5, sext(v2), s25 dst_sel:DWORD dst_unused:UNUSED_PAD src0_sel:BYTE_0 src1_sel:DWORD
	v_lshl_add_u32 v3, v3, 23, v6
	v_or3_b32 v30, v5, v3, v4
	v_accvgpr_write_b32 a30, v30
	v_accvgpr_write_b32 a31, v31
	v_mov_b32_e32 v30, v41
.LBB253_410:                            ;   in Loop: Header=BB253_10 Depth=1
	s_or_b64 exec, exec, s[38:39]
.LBB253_411:                            ;   in Loop: Header=BB253_10 Depth=1
	s_or_b64 exec, exec, s[36:37]
.LBB253_412:                            ;   in Loop: Header=BB253_10 Depth=1
	s_or_b64 exec, exec, s[34:35]
	v_cmp_ne_u16_sdwa vcc, v2, v31 src0_sel:BYTE_1 src1_sel:DWORD
	s_and_saveexec_b64 s[34:35], vcc
	s_cbranch_execz .LBB253_418
; %bb.413:                              ;   in Loop: Header=BB253_10 Depth=1
	v_cmp_ne_u16_sdwa vcc, v2, s19 src0_sel:BYTE_1 src1_sel:DWORD
	v_pk_mov_b32 v[60:61], s[24:25], s[24:25] op_sel:[0,1]
	s_and_saveexec_b64 s[36:37], vcc
	s_cbranch_execz .LBB253_417
; %bb.414:                              ;   in Loop: Header=BB253_10 Depth=1
	v_and_b32_sdwa v3, v2, s41 dst_sel:DWORD dst_unused:UNUSED_PAD src0_sel:BYTE_1 src1_sel:DWORD
	s_mov_b32 s30, s24
	v_cmp_ne_u32_e32 vcc, s41, v3
	v_pk_mov_b32 v[60:61], s[30:31], s[30:31] op_sel:[0,1]
	s_and_saveexec_b64 s[38:39], vcc
	s_cbranch_execz .LBB253_416
; %bb.415:                              ;   in Loop: Header=BB253_10 Depth=1
	v_mov_b32_e32 v4, 7
	v_and_b32_sdwa v30, v2, v4 dst_sel:DWORD dst_unused:UNUSED_PAD src0_sel:BYTE_1 src1_sel:DWORD
	v_lshrrev_b32_e32 v6, 3, v3
	v_cmp_gt_u32_e32 vcc, 8, v3
	v_ffbh_u32_e32 v3, v30
	v_min_u32_e32 v3, 32, v3
	v_subrev_u32_e32 v4, 28, v3
	v_lshlrev_b64 v[4:5], v4, v[30:31]
	v_sub_u32_e32 v3, 29, v3
	v_and_b32_e32 v4, 7, v4
	v_cndmask_b32_e32 v3, v6, v3, vcc
	v_bfrev_b32_e32 v5, 60
	v_cndmask_b32_e32 v4, v30, v4, vcc
	v_lshlrev_b32_e32 v2, 16, v2
	v_lshl_add_u32 v3, v3, 23, v5
	v_and_or_b32 v2, v2, s25, v3
	v_lshlrev_b32_e32 v3, 20, v4
	v_mov_b32_e32 v30, v41
	v_or_b32_e32 v61, v2, v3
	v_mov_b32_e32 v60, v31
.LBB253_416:                            ;   in Loop: Header=BB253_10 Depth=1
	s_or_b64 exec, exec, s[38:39]
.LBB253_417:                            ;   in Loop: Header=BB253_10 Depth=1
	s_or_b64 exec, exec, s[36:37]
.LBB253_418:                            ;   in Loop: Header=BB253_10 Depth=1
	s_or_b64 exec, exec, s[34:35]
	flat_load_ushort v3, v[0:1] offset:8
	v_pk_mov_b32 v[32:33], 0, 0
	v_accvgpr_write_b32 a28, v32
	v_accvgpr_write_b32 a29, v33
	s_waitcnt vmcnt(0) lgkmcnt(0)
	v_and_b32_e32 v2, 0xffff, v3
	v_cmp_ne_u16_sdwa vcc, v3, v31 src0_sel:BYTE_0 src1_sel:DWORD
	s_and_saveexec_b64 s[34:35], vcc
	s_cbranch_execz .LBB253_424
; %bb.419:                              ;   in Loop: Header=BB253_10 Depth=1
	v_bfrev_b32_e32 v4, 1
	v_mov_b32_e32 v5, 0
	v_accvgpr_write_b32 a29, v5
	v_cmp_ne_u16_sdwa vcc, v2, s19 src0_sel:BYTE_0 src1_sel:DWORD
	v_accvgpr_write_b32 a28, v4
	s_and_saveexec_b64 s[36:37], vcc
	s_cbranch_execz .LBB253_423
; %bb.420:                              ;   in Loop: Header=BB253_10 Depth=1
	v_mov_b32_e32 v4, 0x7f800001
	v_mov_b32_e32 v5, 0
	v_and_b32_e32 v3, 0x7f, v2
	v_accvgpr_write_b32 a29, v5
	v_cmp_ne_u32_e32 vcc, s41, v3
	v_accvgpr_write_b32 a28, v4
	s_and_saveexec_b64 s[38:39], vcc
	s_cbranch_execz .LBB253_422
; %bb.421:                              ;   in Loop: Header=BB253_10 Depth=1
	v_and_b32_e32 v6, 7, v2
	v_lshrrev_b32_e32 v7, 3, v3
	v_cmp_gt_u32_e32 vcc, 8, v3
	v_ffbh_u32_e32 v3, v6
	v_min_u32_e32 v3, 32, v3
	v_subrev_u32_e32 v4, 28, v3
	v_lshlrev_b64 v[4:5], v4, v[2:3]
	v_sub_u32_e32 v3, 29, v3
	v_and_b32_e32 v4, 7, v4
	v_cndmask_b32_e32 v3, v7, v3, vcc
	v_cndmask_b32_e32 v4, v6, v4, vcc
	v_bfrev_b32_e32 v6, 60
	v_lshlrev_b32_e32 v4, 20, v4
	v_and_b32_sdwa v5, sext(v2), s25 dst_sel:DWORD dst_unused:UNUSED_PAD src0_sel:BYTE_0 src1_sel:DWORD
	v_lshl_add_u32 v3, v3, 23, v6
	v_or3_b32 v30, v5, v3, v4
	v_accvgpr_write_b32 a28, v30
	v_accvgpr_write_b32 a29, v31
	v_mov_b32_e32 v30, v41
.LBB253_422:                            ;   in Loop: Header=BB253_10 Depth=1
	s_or_b64 exec, exec, s[38:39]
.LBB253_423:                            ;   in Loop: Header=BB253_10 Depth=1
	s_or_b64 exec, exec, s[36:37]
.LBB253_424:                            ;   in Loop: Header=BB253_10 Depth=1
	s_or_b64 exec, exec, s[34:35]
	v_cmp_ne_u16_sdwa vcc, v2, v31 src0_sel:BYTE_1 src1_sel:DWORD
	s_and_saveexec_b64 s[34:35], vcc
	s_cbranch_execz .LBB253_430
; %bb.425:                              ;   in Loop: Header=BB253_10 Depth=1
	v_cmp_ne_u16_sdwa vcc, v2, s19 src0_sel:BYTE_1 src1_sel:DWORD
	v_pk_mov_b32 v[32:33], s[24:25], s[24:25] op_sel:[0,1]
	s_and_saveexec_b64 s[36:37], vcc
	s_cbranch_execz .LBB253_429
; %bb.426:                              ;   in Loop: Header=BB253_10 Depth=1
	v_and_b32_sdwa v3, v2, s41 dst_sel:DWORD dst_unused:UNUSED_PAD src0_sel:BYTE_1 src1_sel:DWORD
	s_mov_b32 s30, s24
	v_cmp_ne_u32_e32 vcc, s41, v3
	v_pk_mov_b32 v[32:33], s[30:31], s[30:31] op_sel:[0,1]
	s_and_saveexec_b64 s[38:39], vcc
	s_cbranch_execz .LBB253_428
; %bb.427:                              ;   in Loop: Header=BB253_10 Depth=1
	v_mov_b32_e32 v4, 7
	v_and_b32_sdwa v30, v2, v4 dst_sel:DWORD dst_unused:UNUSED_PAD src0_sel:BYTE_1 src1_sel:DWORD
	v_lshrrev_b32_e32 v6, 3, v3
	v_cmp_gt_u32_e32 vcc, 8, v3
	v_ffbh_u32_e32 v3, v30
	v_min_u32_e32 v3, 32, v3
	v_subrev_u32_e32 v4, 28, v3
	v_lshlrev_b64 v[4:5], v4, v[30:31]
	v_sub_u32_e32 v3, 29, v3
	v_and_b32_e32 v4, 7, v4
	v_cndmask_b32_e32 v3, v6, v3, vcc
	v_bfrev_b32_e32 v5, 60
	v_cndmask_b32_e32 v4, v30, v4, vcc
	v_lshlrev_b32_e32 v2, 16, v2
	v_lshl_add_u32 v3, v3, 23, v5
	v_and_or_b32 v2, v2, s25, v3
	v_lshlrev_b32_e32 v3, 20, v4
	v_mov_b32_e32 v30, v41
	v_or_b32_e32 v33, v2, v3
	v_mov_b32_e32 v32, v31
.LBB253_428:                            ;   in Loop: Header=BB253_10 Depth=1
	s_or_b64 exec, exec, s[38:39]
.LBB253_429:                            ;   in Loop: Header=BB253_10 Depth=1
	s_or_b64 exec, exec, s[36:37]
.LBB253_430:                            ;   in Loop: Header=BB253_10 Depth=1
	s_or_b64 exec, exec, s[34:35]
	flat_load_ushort v1, v[0:1] offset:12
	v_pk_mov_b32 v[38:39], 0, 0
	v_accvgpr_write_b32 a34, v38
	v_accvgpr_write_b32 a35, v39
	s_waitcnt vmcnt(0) lgkmcnt(0)
	v_and_b32_e32 v0, 0xffff, v1
	v_cmp_ne_u16_sdwa vcc, v1, v31 src0_sel:BYTE_0 src1_sel:DWORD
	s_and_saveexec_b64 s[34:35], vcc
	s_cbranch_execz .LBB253_436
; %bb.431:                              ;   in Loop: Header=BB253_10 Depth=1
	v_bfrev_b32_e32 v2, 1
	v_mov_b32_e32 v3, 0
	v_accvgpr_write_b32 a35, v3
	v_cmp_ne_u16_sdwa vcc, v0, s19 src0_sel:BYTE_0 src1_sel:DWORD
	v_accvgpr_write_b32 a34, v2
	s_and_saveexec_b64 s[36:37], vcc
	s_cbranch_execz .LBB253_435
; %bb.432:                              ;   in Loop: Header=BB253_10 Depth=1
	v_mov_b32_e32 v2, 0x7f800001
	v_mov_b32_e32 v3, 0
	v_and_b32_e32 v1, 0x7f, v0
	v_accvgpr_write_b32 a35, v3
	v_cmp_ne_u32_e32 vcc, s41, v1
	v_accvgpr_write_b32 a34, v2
	s_and_saveexec_b64 s[38:39], vcc
	s_cbranch_execz .LBB253_434
; %bb.433:                              ;   in Loop: Header=BB253_10 Depth=1
	v_and_b32_e32 v4, 7, v0
	v_lshrrev_b32_e32 v5, 3, v1
	v_cmp_gt_u32_e32 vcc, 8, v1
	v_ffbh_u32_e32 v1, v4
	v_min_u32_e32 v1, 32, v1
	v_subrev_u32_e32 v2, 28, v1
	v_lshlrev_b64 v[2:3], v2, v[0:1]
	v_sub_u32_e32 v1, 29, v1
	v_and_b32_e32 v2, 7, v2
	v_cndmask_b32_e32 v1, v5, v1, vcc
	v_cndmask_b32_e32 v2, v4, v2, vcc
	v_bfrev_b32_e32 v4, 60
	v_lshlrev_b32_e32 v2, 20, v2
	v_and_b32_sdwa v3, sext(v0), s25 dst_sel:DWORD dst_unused:UNUSED_PAD src0_sel:BYTE_0 src1_sel:DWORD
	v_lshl_add_u32 v1, v1, 23, v4
	v_or3_b32 v30, v3, v1, v2
	v_accvgpr_write_b32 a35, v31
	v_accvgpr_write_b32 a34, v30
	v_mov_b32_e32 v30, v41
.LBB253_434:                            ;   in Loop: Header=BB253_10 Depth=1
	s_or_b64 exec, exec, s[38:39]
.LBB253_435:                            ;   in Loop: Header=BB253_10 Depth=1
	s_or_b64 exec, exec, s[36:37]
.LBB253_436:                            ;   in Loop: Header=BB253_10 Depth=1
	s_or_b64 exec, exec, s[34:35]
	v_cmp_ne_u16_sdwa vcc, v0, v31 src0_sel:BYTE_1 src1_sel:DWORD
	s_and_saveexec_b64 s[34:35], vcc
	s_cbranch_execz .LBB253_442
; %bb.437:                              ;   in Loop: Header=BB253_10 Depth=1
	v_cmp_ne_u16_sdwa vcc, v0, s19 src0_sel:BYTE_1 src1_sel:DWORD
	v_pk_mov_b32 v[38:39], s[24:25], s[24:25] op_sel:[0,1]
	s_and_saveexec_b64 s[36:37], vcc
	s_cbranch_execz .LBB253_441
; %bb.438:                              ;   in Loop: Header=BB253_10 Depth=1
	v_and_b32_sdwa v1, v0, s41 dst_sel:DWORD dst_unused:UNUSED_PAD src0_sel:BYTE_1 src1_sel:DWORD
	s_mov_b32 s30, s24
	v_cmp_ne_u32_e32 vcc, s41, v1
	v_pk_mov_b32 v[38:39], s[30:31], s[30:31] op_sel:[0,1]
	s_and_saveexec_b64 s[38:39], vcc
	s_cbranch_execz .LBB253_440
; %bb.439:                              ;   in Loop: Header=BB253_10 Depth=1
	v_mov_b32_e32 v2, 7
	v_and_b32_sdwa v30, v0, v2 dst_sel:DWORD dst_unused:UNUSED_PAD src0_sel:BYTE_1 src1_sel:DWORD
	v_lshrrev_b32_e32 v4, 3, v1
	v_cmp_gt_u32_e32 vcc, 8, v1
	v_ffbh_u32_e32 v1, v30
	v_min_u32_e32 v1, 32, v1
	v_subrev_u32_e32 v2, 28, v1
	v_lshlrev_b64 v[2:3], v2, v[30:31]
	v_sub_u32_e32 v1, 29, v1
	v_and_b32_e32 v2, 7, v2
	v_cndmask_b32_e32 v1, v4, v1, vcc
	v_bfrev_b32_e32 v3, 60
	v_cndmask_b32_e32 v2, v30, v2, vcc
	v_lshlrev_b32_e32 v0, 16, v0
	v_lshl_add_u32 v1, v1, 23, v3
	v_and_or_b32 v0, v0, s25, v1
	v_lshlrev_b32_e32 v1, 20, v2
	v_mov_b32_e32 v30, v41
	v_or_b32_e32 v39, v0, v1
	v_mov_b32_e32 v38, v31
.LBB253_440:                            ;   in Loop: Header=BB253_10 Depth=1
	s_or_b64 exec, exec, s[38:39]
.LBB253_441:                            ;   in Loop: Header=BB253_10 Depth=1
	s_or_b64 exec, exec, s[36:37]
.LBB253_442:                            ;   in Loop: Header=BB253_10 Depth=1
	s_or_b64 exec, exec, s[34:35]
	v_add_co_u32_e32 v0, vcc, 0x1000, v10
	v_addc_co_u32_e32 v1, vcc, 0, v11, vcc
	flat_load_ushort v1, v[0:1] offset:512
	v_pk_mov_b32 v[44:45], 0, 0
	v_pk_mov_b32 v[4:5], v[44:45], v[44:45] op_sel:[0,1]
	s_waitcnt vmcnt(0) lgkmcnt(0)
	v_and_b32_e32 v0, 0xffff, v1
	v_cmp_ne_u16_sdwa vcc, v1, v31 src0_sel:BYTE_0 src1_sel:DWORD
	s_and_saveexec_b64 s[34:35], vcc
	s_cbranch_execz .LBB253_448
; %bb.443:                              ;   in Loop: Header=BB253_10 Depth=1
	v_bfrev_b32_e32 v4, 1
	v_cmp_ne_u16_sdwa vcc, v0, s19 src0_sel:BYTE_0 src1_sel:DWORD
	v_mov_b32_e32 v5, 0
	s_and_saveexec_b64 s[36:37], vcc
	s_cbranch_execz .LBB253_447
; %bb.444:                              ;   in Loop: Header=BB253_10 Depth=1
	v_and_b32_e32 v1, 0x7f, v0
	v_mov_b32_e32 v4, 0x7f800001
	v_cmp_ne_u32_e32 vcc, s41, v1
	v_mov_b32_e32 v5, 0
	s_and_saveexec_b64 s[38:39], vcc
	s_cbranch_execz .LBB253_446
; %bb.445:                              ;   in Loop: Header=BB253_10 Depth=1
	v_and_b32_e32 v4, 7, v0
	v_lshrrev_b32_e32 v5, 3, v1
	v_cmp_gt_u32_e32 vcc, 8, v1
	v_ffbh_u32_e32 v1, v4
	v_min_u32_e32 v1, 32, v1
	v_subrev_u32_e32 v2, 28, v1
	v_lshlrev_b64 v[2:3], v2, v[0:1]
	v_sub_u32_e32 v1, 29, v1
	v_and_b32_e32 v2, 7, v2
	v_cndmask_b32_e32 v1, v5, v1, vcc
	v_cndmask_b32_e32 v2, v4, v2, vcc
	v_bfrev_b32_e32 v4, 60
	v_lshlrev_b32_e32 v2, 20, v2
	v_and_b32_sdwa v3, sext(v0), s25 dst_sel:DWORD dst_unused:UNUSED_PAD src0_sel:BYTE_0 src1_sel:DWORD
	v_lshl_add_u32 v1, v1, 23, v4
	v_or3_b32 v30, v3, v1, v2
	v_pk_mov_b32 v[4:5], v[30:31], v[30:31] op_sel:[0,1]
	v_mov_b32_e32 v30, v41
.LBB253_446:                            ;   in Loop: Header=BB253_10 Depth=1
	s_or_b64 exec, exec, s[38:39]
.LBB253_447:                            ;   in Loop: Header=BB253_10 Depth=1
	s_or_b64 exec, exec, s[36:37]
.LBB253_448:                            ;   in Loop: Header=BB253_10 Depth=1
	s_or_b64 exec, exec, s[34:35]
	v_cmp_ne_u16_sdwa vcc, v0, v31 src0_sel:BYTE_1 src1_sel:DWORD
	s_and_saveexec_b64 s[34:35], vcc
	s_cbranch_execz .LBB253_454
; %bb.449:                              ;   in Loop: Header=BB253_10 Depth=1
	v_cmp_ne_u16_sdwa vcc, v0, s19 src0_sel:BYTE_1 src1_sel:DWORD
	v_pk_mov_b32 v[44:45], s[24:25], s[24:25] op_sel:[0,1]
	s_and_saveexec_b64 s[36:37], vcc
	s_cbranch_execz .LBB253_453
; %bb.450:                              ;   in Loop: Header=BB253_10 Depth=1
	v_and_b32_sdwa v1, v0, s41 dst_sel:DWORD dst_unused:UNUSED_PAD src0_sel:BYTE_1 src1_sel:DWORD
	s_mov_b32 s30, s24
	v_cmp_ne_u32_e32 vcc, s41, v1
	v_pk_mov_b32 v[44:45], s[30:31], s[30:31] op_sel:[0,1]
	s_and_saveexec_b64 s[38:39], vcc
	s_cbranch_execz .LBB253_452
; %bb.451:                              ;   in Loop: Header=BB253_10 Depth=1
	v_mov_b32_e32 v2, 7
	v_and_b32_sdwa v30, v0, v2 dst_sel:DWORD dst_unused:UNUSED_PAD src0_sel:BYTE_1 src1_sel:DWORD
	v_lshrrev_b32_e32 v6, 3, v1
	v_cmp_gt_u32_e32 vcc, 8, v1
	v_ffbh_u32_e32 v1, v30
	v_min_u32_e32 v1, 32, v1
	v_subrev_u32_e32 v2, 28, v1
	v_lshlrev_b64 v[2:3], v2, v[30:31]
	v_sub_u32_e32 v1, 29, v1
	v_and_b32_e32 v2, 7, v2
	v_cndmask_b32_e32 v1, v6, v1, vcc
	v_bfrev_b32_e32 v3, 60
	v_cndmask_b32_e32 v2, v30, v2, vcc
	v_lshlrev_b32_e32 v0, 16, v0
	v_lshl_add_u32 v1, v1, 23, v3
	v_and_or_b32 v0, v0, s25, v1
	v_lshlrev_b32_e32 v1, 20, v2
	v_mov_b32_e32 v30, v41
	v_or_b32_e32 v45, v0, v1
	v_mov_b32_e32 v44, v31
.LBB253_452:                            ;   in Loop: Header=BB253_10 Depth=1
	s_or_b64 exec, exec, s[38:39]
.LBB253_453:                            ;   in Loop: Header=BB253_10 Depth=1
	s_or_b64 exec, exec, s[36:37]
.LBB253_454:                            ;   in Loop: Header=BB253_10 Depth=1
	s_or_b64 exec, exec, s[34:35]
	v_add_co_u32_e32 v0, vcc, 0x1200, v10
	v_addc_co_u32_e32 v1, vcc, 0, v11, vcc
	flat_load_ushort v3, v[0:1] offset:4
	v_pk_mov_b32 v[56:57], 0, 0
	v_pk_mov_b32 v[58:59], v[56:57], v[56:57] op_sel:[0,1]
	s_waitcnt vmcnt(0) lgkmcnt(0)
	v_and_b32_e32 v2, 0xffff, v3
	v_cmp_ne_u16_sdwa vcc, v3, v31 src0_sel:BYTE_0 src1_sel:DWORD
	s_and_saveexec_b64 s[34:35], vcc
	s_cbranch_execz .LBB253_460
; %bb.455:                              ;   in Loop: Header=BB253_10 Depth=1
	v_bfrev_b32_e32 v58, 1
	v_cmp_ne_u16_sdwa vcc, v2, s19 src0_sel:BYTE_0 src1_sel:DWORD
	v_mov_b32_e32 v59, 0
	s_and_saveexec_b64 s[36:37], vcc
	s_cbranch_execz .LBB253_459
; %bb.456:                              ;   in Loop: Header=BB253_10 Depth=1
	v_and_b32_e32 v3, 0x7f, v2
	v_mov_b32_e32 v58, 0x7f800001
	v_cmp_ne_u32_e32 vcc, s41, v3
	v_mov_b32_e32 v59, 0
	s_and_saveexec_b64 s[38:39], vcc
	s_cbranch_execz .LBB253_458
; %bb.457:                              ;   in Loop: Header=BB253_10 Depth=1
	v_and_b32_e32 v8, 7, v2
	v_lshrrev_b32_e32 v9, 3, v3
	v_cmp_gt_u32_e32 vcc, 8, v3
	v_ffbh_u32_e32 v3, v8
	v_min_u32_e32 v3, 32, v3
	v_subrev_u32_e32 v6, 28, v3
	v_lshlrev_b64 v[6:7], v6, v[2:3]
	v_sub_u32_e32 v3, 29, v3
	v_and_b32_e32 v6, 7, v6
	v_cndmask_b32_e32 v3, v9, v3, vcc
	v_cndmask_b32_e32 v6, v8, v6, vcc
	v_bfrev_b32_e32 v8, 60
	v_lshlrev_b32_e32 v6, 20, v6
	v_and_b32_sdwa v7, sext(v2), s25 dst_sel:DWORD dst_unused:UNUSED_PAD src0_sel:BYTE_0 src1_sel:DWORD
	v_lshl_add_u32 v3, v3, 23, v8
	v_or3_b32 v30, v7, v3, v6
	v_pk_mov_b32 v[58:59], v[30:31], v[30:31] op_sel:[0,1]
	v_mov_b32_e32 v30, v41
.LBB253_458:                            ;   in Loop: Header=BB253_10 Depth=1
	s_or_b64 exec, exec, s[38:39]
.LBB253_459:                            ;   in Loop: Header=BB253_10 Depth=1
	s_or_b64 exec, exec, s[36:37]
.LBB253_460:                            ;   in Loop: Header=BB253_10 Depth=1
	s_or_b64 exec, exec, s[34:35]
	v_cmp_ne_u16_sdwa vcc, v2, v31 src0_sel:BYTE_1 src1_sel:DWORD
	s_and_saveexec_b64 s[34:35], vcc
	s_cbranch_execz .LBB253_466
; %bb.461:                              ;   in Loop: Header=BB253_10 Depth=1
	v_cmp_ne_u16_sdwa vcc, v2, s19 src0_sel:BYTE_1 src1_sel:DWORD
	v_pk_mov_b32 v[56:57], s[24:25], s[24:25] op_sel:[0,1]
	s_and_saveexec_b64 s[36:37], vcc
	s_cbranch_execz .LBB253_465
; %bb.462:                              ;   in Loop: Header=BB253_10 Depth=1
	v_and_b32_sdwa v3, v2, s41 dst_sel:DWORD dst_unused:UNUSED_PAD src0_sel:BYTE_1 src1_sel:DWORD
	s_mov_b32 s30, s24
	v_cmp_ne_u32_e32 vcc, s41, v3
	v_pk_mov_b32 v[56:57], s[30:31], s[30:31] op_sel:[0,1]
	s_and_saveexec_b64 s[38:39], vcc
	s_cbranch_execz .LBB253_464
; %bb.463:                              ;   in Loop: Header=BB253_10 Depth=1
	v_mov_b32_e32 v6, 7
	v_and_b32_sdwa v30, v2, v6 dst_sel:DWORD dst_unused:UNUSED_PAD src0_sel:BYTE_1 src1_sel:DWORD
	v_lshrrev_b32_e32 v8, 3, v3
	v_cmp_gt_u32_e32 vcc, 8, v3
	v_ffbh_u32_e32 v3, v30
	v_min_u32_e32 v3, 32, v3
	v_subrev_u32_e32 v6, 28, v3
	v_lshlrev_b64 v[6:7], v6, v[30:31]
	v_sub_u32_e32 v3, 29, v3
	v_and_b32_e32 v6, 7, v6
	v_cndmask_b32_e32 v3, v8, v3, vcc
	v_bfrev_b32_e32 v7, 60
	v_cndmask_b32_e32 v6, v30, v6, vcc
	v_lshlrev_b32_e32 v2, 16, v2
	v_lshl_add_u32 v3, v3, 23, v7
	v_and_or_b32 v2, v2, s25, v3
	v_lshlrev_b32_e32 v3, 20, v6
	v_mov_b32_e32 v30, v41
	v_or_b32_e32 v57, v2, v3
	v_mov_b32_e32 v56, v31
.LBB253_464:                            ;   in Loop: Header=BB253_10 Depth=1
	s_or_b64 exec, exec, s[38:39]
.LBB253_465:                            ;   in Loop: Header=BB253_10 Depth=1
	s_or_b64 exec, exec, s[36:37]
.LBB253_466:                            ;   in Loop: Header=BB253_10 Depth=1
	s_or_b64 exec, exec, s[34:35]
	flat_load_ushort v7, v[0:1] offset:8
	v_pk_mov_b32 v[2:3], 0, 0
	v_pk_mov_b32 v[48:49], v[2:3], v[2:3] op_sel:[0,1]
	s_waitcnt vmcnt(0) lgkmcnt(0)
	v_and_b32_e32 v6, 0xffff, v7
	v_cmp_ne_u16_sdwa vcc, v7, v31 src0_sel:BYTE_0 src1_sel:DWORD
	s_and_saveexec_b64 s[34:35], vcc
	s_cbranch_execz .LBB253_472
; %bb.467:                              ;   in Loop: Header=BB253_10 Depth=1
	v_bfrev_b32_e32 v48, 1
	v_cmp_ne_u16_sdwa vcc, v6, s19 src0_sel:BYTE_0 src1_sel:DWORD
	v_mov_b32_e32 v49, 0
	s_and_saveexec_b64 s[36:37], vcc
	s_cbranch_execz .LBB253_471
; %bb.468:                              ;   in Loop: Header=BB253_10 Depth=1
	v_and_b32_e32 v7, 0x7f, v6
	v_mov_b32_e32 v48, 0x7f800001
	v_cmp_ne_u32_e32 vcc, s41, v7
	v_mov_b32_e32 v49, 0
	s_and_saveexec_b64 s[38:39], vcc
	s_cbranch_execz .LBB253_470
; %bb.469:                              ;   in Loop: Header=BB253_10 Depth=1
	v_and_b32_e32 v12, 7, v6
	v_lshrrev_b32_e32 v14, 3, v7
	v_cmp_gt_u32_e32 vcc, 8, v7
	v_ffbh_u32_e32 v7, v12
	v_min_u32_e32 v7, 32, v7
	v_subrev_u32_e32 v8, 28, v7
	v_lshlrev_b64 v[8:9], v8, v[6:7]
	v_sub_u32_e32 v7, 29, v7
	v_and_b32_e32 v8, 7, v8
	v_cndmask_b32_e32 v7, v14, v7, vcc
	v_cndmask_b32_e32 v8, v12, v8, vcc
	v_bfrev_b32_e32 v12, 60
	v_lshlrev_b32_e32 v8, 20, v8
	v_and_b32_sdwa v9, sext(v6), s25 dst_sel:DWORD dst_unused:UNUSED_PAD src0_sel:BYTE_0 src1_sel:DWORD
	v_lshl_add_u32 v7, v7, 23, v12
	v_or3_b32 v30, v9, v7, v8
	v_pk_mov_b32 v[48:49], v[30:31], v[30:31] op_sel:[0,1]
	v_mov_b32_e32 v30, v41
.LBB253_470:                            ;   in Loop: Header=BB253_10 Depth=1
	s_or_b64 exec, exec, s[38:39]
.LBB253_471:                            ;   in Loop: Header=BB253_10 Depth=1
	s_or_b64 exec, exec, s[36:37]
.LBB253_472:                            ;   in Loop: Header=BB253_10 Depth=1
	s_or_b64 exec, exec, s[34:35]
	v_cmp_ne_u16_sdwa vcc, v6, v31 src0_sel:BYTE_1 src1_sel:DWORD
	s_and_saveexec_b64 s[34:35], vcc
	s_cbranch_execz .LBB253_478
; %bb.473:                              ;   in Loop: Header=BB253_10 Depth=1
	v_cmp_ne_u16_sdwa vcc, v6, s19 src0_sel:BYTE_1 src1_sel:DWORD
	v_pk_mov_b32 v[2:3], s[24:25], s[24:25] op_sel:[0,1]
	s_and_saveexec_b64 s[36:37], vcc
	s_cbranch_execz .LBB253_477
; %bb.474:                              ;   in Loop: Header=BB253_10 Depth=1
	v_and_b32_sdwa v7, v6, s41 dst_sel:DWORD dst_unused:UNUSED_PAD src0_sel:BYTE_1 src1_sel:DWORD
	s_mov_b32 s30, s24
	v_cmp_ne_u32_e32 vcc, s41, v7
	v_pk_mov_b32 v[2:3], s[30:31], s[30:31] op_sel:[0,1]
	s_and_saveexec_b64 s[38:39], vcc
	s_cbranch_execz .LBB253_476
; %bb.475:                              ;   in Loop: Header=BB253_10 Depth=1
	v_mov_b32_e32 v2, 7
	v_and_b32_sdwa v30, v6, v2 dst_sel:DWORD dst_unused:UNUSED_PAD src0_sel:BYTE_1 src1_sel:DWORD
	v_ffbh_u32_e32 v2, v30
	v_lshrrev_b32_e32 v8, 3, v7
	v_cmp_gt_u32_e32 vcc, 8, v7
	v_min_u32_e32 v7, 32, v2
	v_subrev_u32_e32 v2, 28, v7
	v_lshlrev_b64 v[2:3], v2, v[30:31]
	v_sub_u32_e32 v3, 29, v7
	v_and_b32_e32 v2, 7, v2
	v_cndmask_b32_e32 v3, v8, v3, vcc
	v_bfrev_b32_e32 v7, 60
	v_cndmask_b32_e32 v2, v30, v2, vcc
	v_lshlrev_b32_e32 v6, 16, v6
	v_lshl_add_u32 v3, v3, 23, v7
	v_and_or_b32 v3, v6, s25, v3
	v_lshlrev_b32_e32 v2, 20, v2
	v_mov_b32_e32 v30, v41
	v_or_b32_e32 v3, v3, v2
	v_mov_b32_e32 v2, v31
.LBB253_476:                            ;   in Loop: Header=BB253_10 Depth=1
	s_or_b64 exec, exec, s[38:39]
.LBB253_477:                            ;   in Loop: Header=BB253_10 Depth=1
	s_or_b64 exec, exec, s[36:37]
.LBB253_478:                            ;   in Loop: Header=BB253_10 Depth=1
	s_or_b64 exec, exec, s[34:35]
	flat_load_ushort v7, v[0:1] offset:12
	v_pk_mov_b32 v[0:1], 0, 0
	v_pk_mov_b32 v[50:51], v[0:1], v[0:1] op_sel:[0,1]
	s_waitcnt vmcnt(0) lgkmcnt(0)
	v_and_b32_e32 v6, 0xffff, v7
	v_cmp_ne_u16_sdwa vcc, v7, v31 src0_sel:BYTE_0 src1_sel:DWORD
	s_and_saveexec_b64 s[34:35], vcc
	s_cbranch_execz .LBB253_484
; %bb.479:                              ;   in Loop: Header=BB253_10 Depth=1
	v_bfrev_b32_e32 v50, 1
	v_cmp_ne_u16_sdwa vcc, v6, s19 src0_sel:BYTE_0 src1_sel:DWORD
	v_mov_b32_e32 v51, 0
	s_and_saveexec_b64 s[36:37], vcc
	s_cbranch_execz .LBB253_483
; %bb.480:                              ;   in Loop: Header=BB253_10 Depth=1
	v_and_b32_e32 v7, 0x7f, v6
	v_mov_b32_e32 v50, 0x7f800001
	v_cmp_ne_u32_e32 vcc, s41, v7
	v_mov_b32_e32 v51, 0
	s_and_saveexec_b64 s[38:39], vcc
	s_cbranch_execz .LBB253_482
; %bb.481:                              ;   in Loop: Header=BB253_10 Depth=1
	v_and_b32_e32 v12, 7, v6
	v_lshrrev_b32_e32 v14, 3, v7
	v_cmp_gt_u32_e32 vcc, 8, v7
	v_ffbh_u32_e32 v7, v12
	v_min_u32_e32 v7, 32, v7
	v_subrev_u32_e32 v8, 28, v7
	v_lshlrev_b64 v[8:9], v8, v[6:7]
	v_sub_u32_e32 v7, 29, v7
	v_and_b32_e32 v8, 7, v8
	v_cndmask_b32_e32 v7, v14, v7, vcc
	v_cndmask_b32_e32 v8, v12, v8, vcc
	v_bfrev_b32_e32 v12, 60
	v_lshlrev_b32_e32 v8, 20, v8
	v_and_b32_sdwa v9, sext(v6), s25 dst_sel:DWORD dst_unused:UNUSED_PAD src0_sel:BYTE_0 src1_sel:DWORD
	v_lshl_add_u32 v7, v7, 23, v12
	v_or3_b32 v30, v9, v7, v8
	v_pk_mov_b32 v[50:51], v[30:31], v[30:31] op_sel:[0,1]
	v_mov_b32_e32 v30, v41
.LBB253_482:                            ;   in Loop: Header=BB253_10 Depth=1
	s_or_b64 exec, exec, s[38:39]
.LBB253_483:                            ;   in Loop: Header=BB253_10 Depth=1
	s_or_b64 exec, exec, s[36:37]
.LBB253_484:                            ;   in Loop: Header=BB253_10 Depth=1
	s_or_b64 exec, exec, s[34:35]
	v_cmp_ne_u16_sdwa vcc, v6, v31 src0_sel:BYTE_1 src1_sel:DWORD
	s_and_saveexec_b64 s[34:35], vcc
	s_cbranch_execz .LBB253_490
; %bb.485:                              ;   in Loop: Header=BB253_10 Depth=1
	v_cmp_ne_u16_sdwa vcc, v6, s19 src0_sel:BYTE_1 src1_sel:DWORD
	v_pk_mov_b32 v[0:1], s[24:25], s[24:25] op_sel:[0,1]
	s_and_saveexec_b64 s[36:37], vcc
	s_cbranch_execz .LBB253_489
; %bb.486:                              ;   in Loop: Header=BB253_10 Depth=1
	v_and_b32_sdwa v7, v6, s41 dst_sel:DWORD dst_unused:UNUSED_PAD src0_sel:BYTE_1 src1_sel:DWORD
	s_mov_b32 s30, s24
	v_cmp_ne_u32_e32 vcc, s41, v7
	v_pk_mov_b32 v[0:1], s[30:31], s[30:31] op_sel:[0,1]
	s_and_saveexec_b64 s[38:39], vcc
	s_cbranch_execz .LBB253_488
; %bb.487:                              ;   in Loop: Header=BB253_10 Depth=1
	v_mov_b32_e32 v0, 7
	v_and_b32_sdwa v30, v6, v0 dst_sel:DWORD dst_unused:UNUSED_PAD src0_sel:BYTE_1 src1_sel:DWORD
	v_ffbh_u32_e32 v0, v30
	v_lshrrev_b32_e32 v8, 3, v7
	v_cmp_gt_u32_e32 vcc, 8, v7
	v_min_u32_e32 v7, 32, v0
	v_subrev_u32_e32 v0, 28, v7
	v_lshlrev_b64 v[0:1], v0, v[30:31]
	v_sub_u32_e32 v1, 29, v7
	v_and_b32_e32 v0, 7, v0
	v_cndmask_b32_e32 v1, v8, v1, vcc
	v_bfrev_b32_e32 v7, 60
	v_cndmask_b32_e32 v0, v30, v0, vcc
	v_lshlrev_b32_e32 v6, 16, v6
	v_lshl_add_u32 v1, v1, 23, v7
	v_and_or_b32 v1, v6, s25, v1
	v_lshlrev_b32_e32 v0, 20, v0
	v_mov_b32_e32 v30, v41
	v_or_b32_e32 v1, v1, v0
	v_mov_b32_e32 v0, v31
.LBB253_488:                            ;   in Loop: Header=BB253_10 Depth=1
	s_or_b64 exec, exec, s[38:39]
.LBB253_489:                            ;   in Loop: Header=BB253_10 Depth=1
	s_or_b64 exec, exec, s[36:37]
.LBB253_490:                            ;   in Loop: Header=BB253_10 Depth=1
	s_or_b64 exec, exec, s[34:35]
	v_add_co_u32_e32 v6, vcc, 0x1000, v10
	v_addc_co_u32_e32 v7, vcc, 0, v11, vcc
	flat_load_ushort v7, v[6:7] offset:1024
	v_pk_mov_b32 v[24:25], 0, 0
	v_pk_mov_b32 v[42:43], v[24:25], v[24:25] op_sel:[0,1]
	s_waitcnt vmcnt(0) lgkmcnt(0)
	v_and_b32_e32 v6, 0xffff, v7
	v_cmp_ne_u16_sdwa vcc, v7, v31 src0_sel:BYTE_0 src1_sel:DWORD
	s_and_saveexec_b64 s[34:35], vcc
	s_cbranch_execz .LBB253_496
; %bb.491:                              ;   in Loop: Header=BB253_10 Depth=1
	v_bfrev_b32_e32 v42, 1
	v_cmp_ne_u16_sdwa vcc, v6, s19 src0_sel:BYTE_0 src1_sel:DWORD
	v_mov_b32_e32 v43, 0
	s_and_saveexec_b64 s[36:37], vcc
	s_cbranch_execz .LBB253_495
; %bb.492:                              ;   in Loop: Header=BB253_10 Depth=1
	v_and_b32_e32 v7, 0x7f, v6
	v_mov_b32_e32 v42, 0x7f800001
	v_cmp_ne_u32_e32 vcc, s41, v7
	v_mov_b32_e32 v43, 0
	s_and_saveexec_b64 s[38:39], vcc
	s_cbranch_execz .LBB253_494
; %bb.493:                              ;   in Loop: Header=BB253_10 Depth=1
	v_and_b32_e32 v12, 7, v6
	v_lshrrev_b32_e32 v14, 3, v7
	v_cmp_gt_u32_e32 vcc, 8, v7
	v_ffbh_u32_e32 v7, v12
	v_min_u32_e32 v7, 32, v7
	v_subrev_u32_e32 v8, 28, v7
	v_lshlrev_b64 v[8:9], v8, v[6:7]
	v_sub_u32_e32 v7, 29, v7
	v_and_b32_e32 v8, 7, v8
	v_cndmask_b32_e32 v7, v14, v7, vcc
	v_cndmask_b32_e32 v8, v12, v8, vcc
	v_bfrev_b32_e32 v12, 60
	v_lshlrev_b32_e32 v8, 20, v8
	v_and_b32_sdwa v9, sext(v6), s25 dst_sel:DWORD dst_unused:UNUSED_PAD src0_sel:BYTE_0 src1_sel:DWORD
	v_lshl_add_u32 v7, v7, 23, v12
	v_or3_b32 v30, v9, v7, v8
	v_pk_mov_b32 v[42:43], v[30:31], v[30:31] op_sel:[0,1]
	v_mov_b32_e32 v30, v41
.LBB253_494:                            ;   in Loop: Header=BB253_10 Depth=1
	s_or_b64 exec, exec, s[38:39]
.LBB253_495:                            ;   in Loop: Header=BB253_10 Depth=1
	s_or_b64 exec, exec, s[36:37]
.LBB253_496:                            ;   in Loop: Header=BB253_10 Depth=1
	s_or_b64 exec, exec, s[34:35]
	v_cmp_ne_u16_sdwa vcc, v6, v31 src0_sel:BYTE_1 src1_sel:DWORD
	s_and_saveexec_b64 s[34:35], vcc
	s_cbranch_execz .LBB253_502
; %bb.497:                              ;   in Loop: Header=BB253_10 Depth=1
	v_cmp_ne_u16_sdwa vcc, v6, s19 src0_sel:BYTE_1 src1_sel:DWORD
	v_pk_mov_b32 v[24:25], s[24:25], s[24:25] op_sel:[0,1]
	s_and_saveexec_b64 s[36:37], vcc
	s_cbranch_execz .LBB253_501
; %bb.498:                              ;   in Loop: Header=BB253_10 Depth=1
	v_and_b32_sdwa v7, v6, s41 dst_sel:DWORD dst_unused:UNUSED_PAD src0_sel:BYTE_1 src1_sel:DWORD
	s_mov_b32 s30, s24
	v_cmp_ne_u32_e32 vcc, s41, v7
	v_pk_mov_b32 v[24:25], s[30:31], s[30:31] op_sel:[0,1]
	s_and_saveexec_b64 s[38:39], vcc
	s_cbranch_execz .LBB253_500
; %bb.499:                              ;   in Loop: Header=BB253_10 Depth=1
	v_mov_b32_e32 v8, 7
	v_and_b32_sdwa v30, v6, v8 dst_sel:DWORD dst_unused:UNUSED_PAD src0_sel:BYTE_1 src1_sel:DWORD
	v_lshrrev_b32_e32 v14, 3, v7
	v_cmp_gt_u32_e32 vcc, 8, v7
	v_ffbh_u32_e32 v7, v30
	v_min_u32_e32 v7, 32, v7
	v_subrev_u32_e32 v8, 28, v7
	v_lshlrev_b64 v[8:9], v8, v[30:31]
	v_sub_u32_e32 v7, 29, v7
	v_and_b32_e32 v8, 7, v8
	v_cndmask_b32_e32 v7, v14, v7, vcc
	v_bfrev_b32_e32 v9, 60
	v_cndmask_b32_e32 v8, v30, v8, vcc
	v_lshlrev_b32_e32 v6, 16, v6
	v_lshl_add_u32 v7, v7, 23, v9
	v_and_or_b32 v6, v6, s25, v7
	v_lshlrev_b32_e32 v7, 20, v8
	v_mov_b32_e32 v30, v41
	v_or_b32_e32 v25, v6, v7
	v_mov_b32_e32 v24, v31
.LBB253_500:                            ;   in Loop: Header=BB253_10 Depth=1
	s_or_b64 exec, exec, s[38:39]
.LBB253_501:                            ;   in Loop: Header=BB253_10 Depth=1
	s_or_b64 exec, exec, s[36:37]
.LBB253_502:                            ;   in Loop: Header=BB253_10 Depth=1
	s_or_b64 exec, exec, s[34:35]
	v_add_co_u32_e32 v6, vcc, 0x1400, v10
	v_addc_co_u32_e32 v7, vcc, 0, v11, vcc
	flat_load_ushort v9, v[6:7] offset:4
	v_pk_mov_b32 v[16:17], 0, 0
	v_pk_mov_b32 v[22:23], v[16:17], v[16:17] op_sel:[0,1]
	s_waitcnt vmcnt(0) lgkmcnt(0)
	v_and_b32_e32 v8, 0xffff, v9
	v_cmp_ne_u16_sdwa vcc, v9, v31 src0_sel:BYTE_0 src1_sel:DWORD
	s_and_saveexec_b64 s[34:35], vcc
	s_cbranch_execz .LBB253_508
; %bb.503:                              ;   in Loop: Header=BB253_10 Depth=1
	v_bfrev_b32_e32 v22, 1
	v_cmp_ne_u16_sdwa vcc, v8, s19 src0_sel:BYTE_0 src1_sel:DWORD
	v_mov_b32_e32 v23, 0
	s_and_saveexec_b64 s[36:37], vcc
	s_cbranch_execz .LBB253_507
; %bb.504:                              ;   in Loop: Header=BB253_10 Depth=1
	v_and_b32_e32 v9, 0x7f, v8
	v_mov_b32_e32 v22, 0x7f800001
	v_cmp_ne_u32_e32 vcc, s41, v9
	v_mov_b32_e32 v23, 0
	s_and_saveexec_b64 s[38:39], vcc
	s_cbranch_execz .LBB253_506
; %bb.505:                              ;   in Loop: Header=BB253_10 Depth=1
	v_and_b32_e32 v12, 7, v8
	v_lshrrev_b32_e32 v18, 3, v9
	v_cmp_gt_u32_e32 vcc, 8, v9
	v_ffbh_u32_e32 v9, v12
	v_min_u32_e32 v9, 32, v9
	v_subrev_u32_e32 v14, 28, v9
	v_lshlrev_b64 v[14:15], v14, v[8:9]
	v_sub_u32_e32 v9, 29, v9
	v_and_b32_e32 v14, 7, v14
	v_cndmask_b32_e32 v9, v18, v9, vcc
	v_cndmask_b32_e32 v12, v12, v14, vcc
	v_bfrev_b32_e32 v13, 60
	v_lshlrev_b32_e32 v12, 20, v12
	v_and_b32_sdwa v14, sext(v8), s25 dst_sel:DWORD dst_unused:UNUSED_PAD src0_sel:BYTE_0 src1_sel:DWORD
	v_lshl_add_u32 v9, v9, 23, v13
	v_or3_b32 v30, v14, v9, v12
	v_pk_mov_b32 v[22:23], v[30:31], v[30:31] op_sel:[0,1]
	v_mov_b32_e32 v30, v41
.LBB253_506:                            ;   in Loop: Header=BB253_10 Depth=1
	s_or_b64 exec, exec, s[38:39]
.LBB253_507:                            ;   in Loop: Header=BB253_10 Depth=1
	s_or_b64 exec, exec, s[36:37]
.LBB253_508:                            ;   in Loop: Header=BB253_10 Depth=1
	s_or_b64 exec, exec, s[34:35]
	v_cmp_ne_u16_sdwa vcc, v8, v31 src0_sel:BYTE_1 src1_sel:DWORD
	s_and_saveexec_b64 s[34:35], vcc
	s_cbranch_execz .LBB253_514
; %bb.509:                              ;   in Loop: Header=BB253_10 Depth=1
	v_cmp_ne_u16_sdwa vcc, v8, s19 src0_sel:BYTE_1 src1_sel:DWORD
	v_pk_mov_b32 v[16:17], s[24:25], s[24:25] op_sel:[0,1]
	s_and_saveexec_b64 s[36:37], vcc
	s_cbranch_execz .LBB253_513
; %bb.510:                              ;   in Loop: Header=BB253_10 Depth=1
	v_and_b32_sdwa v9, v8, s41 dst_sel:DWORD dst_unused:UNUSED_PAD src0_sel:BYTE_1 src1_sel:DWORD
	s_mov_b32 s30, s24
	v_cmp_ne_u32_e32 vcc, s41, v9
	v_pk_mov_b32 v[16:17], s[30:31], s[30:31] op_sel:[0,1]
	s_and_saveexec_b64 s[38:39], vcc
	s_cbranch_execz .LBB253_512
; %bb.511:                              ;   in Loop: Header=BB253_10 Depth=1
	v_mov_b32_e32 v12, 7
	v_and_b32_sdwa v30, v8, v12 dst_sel:DWORD dst_unused:UNUSED_PAD src0_sel:BYTE_1 src1_sel:DWORD
	v_lshrrev_b32_e32 v16, 3, v9
	v_cmp_gt_u32_e32 vcc, 8, v9
	v_ffbh_u32_e32 v9, v30
	v_min_u32_e32 v9, 32, v9
	v_subrev_u32_e32 v14, 28, v9
	v_lshlrev_b64 v[14:15], v14, v[30:31]
	v_sub_u32_e32 v9, 29, v9
	v_and_b32_e32 v14, 7, v14
	v_cndmask_b32_e32 v9, v16, v9, vcc
	v_bfrev_b32_e32 v13, 60
	v_cndmask_b32_e32 v12, v30, v14, vcc
	v_lshlrev_b32_e32 v8, 16, v8
	v_lshl_add_u32 v9, v9, 23, v13
	v_and_or_b32 v8, v8, s25, v9
	v_lshlrev_b32_e32 v9, 20, v12
	v_mov_b32_e32 v30, v41
	v_or_b32_e32 v17, v8, v9
	v_mov_b32_e32 v16, v31
.LBB253_512:                            ;   in Loop: Header=BB253_10 Depth=1
	s_or_b64 exec, exec, s[38:39]
.LBB253_513:                            ;   in Loop: Header=BB253_10 Depth=1
	s_or_b64 exec, exec, s[36:37]
.LBB253_514:                            ;   in Loop: Header=BB253_10 Depth=1
	s_or_b64 exec, exec, s[34:35]
	flat_load_ushort v9, v[6:7] offset:8
	v_pk_mov_b32 v[18:19], 0, 0
	v_pk_mov_b32 v[34:35], v[18:19], v[18:19] op_sel:[0,1]
	s_waitcnt vmcnt(0) lgkmcnt(0)
	v_and_b32_e32 v8, 0xffff, v9
	v_cmp_ne_u16_sdwa vcc, v9, v31 src0_sel:BYTE_0 src1_sel:DWORD
	s_and_saveexec_b64 s[34:35], vcc
	s_cbranch_execz .LBB253_520
; %bb.515:                              ;   in Loop: Header=BB253_10 Depth=1
	v_bfrev_b32_e32 v34, 1
	v_cmp_ne_u16_sdwa vcc, v8, s19 src0_sel:BYTE_0 src1_sel:DWORD
	v_mov_b32_e32 v35, 0
	s_and_saveexec_b64 s[36:37], vcc
	s_cbranch_execz .LBB253_519
; %bb.516:                              ;   in Loop: Header=BB253_10 Depth=1
	v_and_b32_e32 v9, 0x7f, v8
	v_mov_b32_e32 v34, 0x7f800001
	v_cmp_ne_u32_e32 vcc, s41, v9
	v_mov_b32_e32 v35, 0
	s_and_saveexec_b64 s[38:39], vcc
	s_cbranch_execz .LBB253_518
; %bb.517:                              ;   in Loop: Header=BB253_10 Depth=1
	v_and_b32_e32 v12, 7, v8
	v_lshrrev_b32_e32 v20, 3, v9
	v_cmp_gt_u32_e32 vcc, 8, v9
	v_ffbh_u32_e32 v9, v12
	v_min_u32_e32 v9, 32, v9
	v_subrev_u32_e32 v14, 28, v9
	v_lshlrev_b64 v[14:15], v14, v[8:9]
	v_sub_u32_e32 v9, 29, v9
	v_and_b32_e32 v14, 7, v14
	v_cndmask_b32_e32 v9, v20, v9, vcc
	v_cndmask_b32_e32 v12, v12, v14, vcc
	v_bfrev_b32_e32 v13, 60
	v_lshlrev_b32_e32 v12, 20, v12
	v_and_b32_sdwa v14, sext(v8), s25 dst_sel:DWORD dst_unused:UNUSED_PAD src0_sel:BYTE_0 src1_sel:DWORD
	v_lshl_add_u32 v9, v9, 23, v13
	v_or3_b32 v30, v14, v9, v12
	v_pk_mov_b32 v[34:35], v[30:31], v[30:31] op_sel:[0,1]
	v_mov_b32_e32 v30, v41
.LBB253_518:                            ;   in Loop: Header=BB253_10 Depth=1
	s_or_b64 exec, exec, s[38:39]
.LBB253_519:                            ;   in Loop: Header=BB253_10 Depth=1
	s_or_b64 exec, exec, s[36:37]
.LBB253_520:                            ;   in Loop: Header=BB253_10 Depth=1
	s_or_b64 exec, exec, s[34:35]
	v_cmp_ne_u16_sdwa vcc, v8, v31 src0_sel:BYTE_1 src1_sel:DWORD
	s_and_saveexec_b64 s[34:35], vcc
	s_cbranch_execz .LBB253_526
; %bb.521:                              ;   in Loop: Header=BB253_10 Depth=1
	v_cmp_ne_u16_sdwa vcc, v8, s19 src0_sel:BYTE_1 src1_sel:DWORD
	v_pk_mov_b32 v[18:19], s[24:25], s[24:25] op_sel:[0,1]
	s_and_saveexec_b64 s[36:37], vcc
	s_cbranch_execz .LBB253_525
; %bb.522:                              ;   in Loop: Header=BB253_10 Depth=1
	v_and_b32_sdwa v9, v8, s41 dst_sel:DWORD dst_unused:UNUSED_PAD src0_sel:BYTE_1 src1_sel:DWORD
	s_mov_b32 s30, s24
	v_cmp_ne_u32_e32 vcc, s41, v9
	v_pk_mov_b32 v[18:19], s[30:31], s[30:31] op_sel:[0,1]
	s_and_saveexec_b64 s[38:39], vcc
	s_cbranch_execz .LBB253_524
; %bb.523:                              ;   in Loop: Header=BB253_10 Depth=1
	v_mov_b32_e32 v12, 7
	v_and_b32_sdwa v30, v8, v12 dst_sel:DWORD dst_unused:UNUSED_PAD src0_sel:BYTE_1 src1_sel:DWORD
	v_lshrrev_b32_e32 v18, 3, v9
	v_cmp_gt_u32_e32 vcc, 8, v9
	v_ffbh_u32_e32 v9, v30
	v_min_u32_e32 v9, 32, v9
	v_subrev_u32_e32 v14, 28, v9
	v_lshlrev_b64 v[14:15], v14, v[30:31]
	v_sub_u32_e32 v9, 29, v9
	v_and_b32_e32 v14, 7, v14
	v_cndmask_b32_e32 v9, v18, v9, vcc
	v_bfrev_b32_e32 v13, 60
	v_cndmask_b32_e32 v12, v30, v14, vcc
	v_lshlrev_b32_e32 v8, 16, v8
	v_lshl_add_u32 v9, v9, 23, v13
	v_and_or_b32 v8, v8, s25, v9
	v_lshlrev_b32_e32 v9, 20, v12
	v_mov_b32_e32 v30, v41
	v_or_b32_e32 v19, v8, v9
	v_mov_b32_e32 v18, v31
.LBB253_524:                            ;   in Loop: Header=BB253_10 Depth=1
	s_or_b64 exec, exec, s[38:39]
.LBB253_525:                            ;   in Loop: Header=BB253_10 Depth=1
	s_or_b64 exec, exec, s[36:37]
.LBB253_526:                            ;   in Loop: Header=BB253_10 Depth=1
	s_or_b64 exec, exec, s[34:35]
	flat_load_ushort v7, v[6:7] offset:12
	v_pk_mov_b32 v[26:27], 0, 0
	v_pk_mov_b32 v[54:55], v[26:27], v[26:27] op_sel:[0,1]
	s_waitcnt vmcnt(0) lgkmcnt(0)
	v_and_b32_e32 v6, 0xffff, v7
	v_cmp_ne_u16_sdwa vcc, v7, v31 src0_sel:BYTE_0 src1_sel:DWORD
	s_and_saveexec_b64 s[34:35], vcc
	s_cbranch_execz .LBB253_532
; %bb.527:                              ;   in Loop: Header=BB253_10 Depth=1
	v_bfrev_b32_e32 v54, 1
	v_cmp_ne_u16_sdwa vcc, v6, s19 src0_sel:BYTE_0 src1_sel:DWORD
	v_mov_b32_e32 v55, 0
	s_and_saveexec_b64 s[36:37], vcc
	s_cbranch_execz .LBB253_531
; %bb.528:                              ;   in Loop: Header=BB253_10 Depth=1
	v_and_b32_e32 v7, 0x7f, v6
	v_mov_b32_e32 v54, 0x7f800001
	v_cmp_ne_u32_e32 vcc, s41, v7
	v_mov_b32_e32 v55, 0
	s_and_saveexec_b64 s[38:39], vcc
	s_cbranch_execz .LBB253_530
; %bb.529:                              ;   in Loop: Header=BB253_10 Depth=1
	v_and_b32_e32 v12, 7, v6
	v_lshrrev_b32_e32 v14, 3, v7
	v_cmp_gt_u32_e32 vcc, 8, v7
	v_ffbh_u32_e32 v7, v12
	v_min_u32_e32 v7, 32, v7
	v_subrev_u32_e32 v8, 28, v7
	v_lshlrev_b64 v[8:9], v8, v[6:7]
	v_sub_u32_e32 v7, 29, v7
	v_and_b32_e32 v8, 7, v8
	v_cndmask_b32_e32 v7, v14, v7, vcc
	v_cndmask_b32_e32 v8, v12, v8, vcc
	v_bfrev_b32_e32 v12, 60
	v_lshlrev_b32_e32 v8, 20, v8
	v_and_b32_sdwa v9, sext(v6), s25 dst_sel:DWORD dst_unused:UNUSED_PAD src0_sel:BYTE_0 src1_sel:DWORD
	v_lshl_add_u32 v7, v7, 23, v12
	v_or3_b32 v30, v9, v7, v8
	v_pk_mov_b32 v[54:55], v[30:31], v[30:31] op_sel:[0,1]
	v_mov_b32_e32 v30, v41
.LBB253_530:                            ;   in Loop: Header=BB253_10 Depth=1
	s_or_b64 exec, exec, s[38:39]
.LBB253_531:                            ;   in Loop: Header=BB253_10 Depth=1
	s_or_b64 exec, exec, s[36:37]
.LBB253_532:                            ;   in Loop: Header=BB253_10 Depth=1
	s_or_b64 exec, exec, s[34:35]
	v_cmp_ne_u16_sdwa vcc, v6, v31 src0_sel:BYTE_1 src1_sel:DWORD
	s_and_saveexec_b64 s[34:35], vcc
	s_cbranch_execz .LBB253_538
; %bb.533:                              ;   in Loop: Header=BB253_10 Depth=1
	v_cmp_ne_u16_sdwa vcc, v6, s19 src0_sel:BYTE_1 src1_sel:DWORD
	v_pk_mov_b32 v[26:27], s[24:25], s[24:25] op_sel:[0,1]
	s_and_saveexec_b64 s[36:37], vcc
	s_cbranch_execz .LBB253_537
; %bb.534:                              ;   in Loop: Header=BB253_10 Depth=1
	v_and_b32_sdwa v7, v6, s41 dst_sel:DWORD dst_unused:UNUSED_PAD src0_sel:BYTE_1 src1_sel:DWORD
	s_mov_b32 s30, s24
	v_cmp_ne_u32_e32 vcc, s41, v7
	v_pk_mov_b32 v[26:27], s[30:31], s[30:31] op_sel:[0,1]
	s_and_saveexec_b64 s[38:39], vcc
	s_cbranch_execz .LBB253_536
; %bb.535:                              ;   in Loop: Header=BB253_10 Depth=1
	v_mov_b32_e32 v8, 7
	v_and_b32_sdwa v30, v6, v8 dst_sel:DWORD dst_unused:UNUSED_PAD src0_sel:BYTE_1 src1_sel:DWORD
	v_lshrrev_b32_e32 v14, 3, v7
	v_cmp_gt_u32_e32 vcc, 8, v7
	v_ffbh_u32_e32 v7, v30
	v_min_u32_e32 v7, 32, v7
	v_subrev_u32_e32 v8, 28, v7
	v_lshlrev_b64 v[8:9], v8, v[30:31]
	v_sub_u32_e32 v7, 29, v7
	v_and_b32_e32 v8, 7, v8
	v_cndmask_b32_e32 v7, v14, v7, vcc
	v_bfrev_b32_e32 v9, 60
	v_cndmask_b32_e32 v8, v30, v8, vcc
	v_lshlrev_b32_e32 v6, 16, v6
	v_lshl_add_u32 v7, v7, 23, v9
	v_and_or_b32 v6, v6, s25, v7
	v_lshlrev_b32_e32 v7, 20, v8
	v_mov_b32_e32 v30, v41
	v_or_b32_e32 v27, v6, v7
	v_mov_b32_e32 v26, v31
.LBB253_536:                            ;   in Loop: Header=BB253_10 Depth=1
	s_or_b64 exec, exec, s[38:39]
.LBB253_537:                            ;   in Loop: Header=BB253_10 Depth=1
	s_or_b64 exec, exec, s[36:37]
.LBB253_538:                            ;   in Loop: Header=BB253_10 Depth=1
	s_or_b64 exec, exec, s[34:35]
	v_add_co_u32_e32 v6, vcc, 0x1000, v10
	v_addc_co_u32_e32 v7, vcc, 0, v11, vcc
	flat_load_ushort v6, v[6:7] offset:1536
	v_pk_mov_b32 v[14:15], 0, 0
	s_waitcnt vmcnt(0) lgkmcnt(0)
	v_and_b32_e32 v8, 0xffff, v6
	v_cmp_ne_u16_sdwa vcc, v6, v31 src0_sel:BYTE_0 src1_sel:DWORD
	v_pk_mov_b32 v[6:7], v[14:15], v[14:15] op_sel:[0,1]
	s_and_saveexec_b64 s[34:35], vcc
	s_cbranch_execz .LBB253_544
; %bb.539:                              ;   in Loop: Header=BB253_10 Depth=1
	v_bfrev_b32_e32 v6, 1
	v_cmp_ne_u16_sdwa vcc, v8, s19 src0_sel:BYTE_0 src1_sel:DWORD
	v_mov_b32_e32 v7, 0
	s_and_saveexec_b64 s[36:37], vcc
	s_cbranch_execz .LBB253_543
; %bb.540:                              ;   in Loop: Header=BB253_10 Depth=1
	v_and_b32_e32 v9, 0x7f, v8
	v_mov_b32_e32 v6, 0x7f800001
	v_cmp_ne_u32_e32 vcc, s41, v9
	v_mov_b32_e32 v7, 0
	s_and_saveexec_b64 s[38:39], vcc
	s_cbranch_execz .LBB253_542
; %bb.541:                              ;   in Loop: Header=BB253_10 Depth=1
	v_and_b32_e32 v12, 7, v8
	v_ffbh_u32_e32 v6, v12
	v_lshrrev_b32_e32 v20, 3, v9
	v_cmp_gt_u32_e32 vcc, 8, v9
	v_min_u32_e32 v9, 32, v6
	v_subrev_u32_e32 v6, 28, v9
	v_lshlrev_b64 v[6:7], v6, v[8:9]
	v_sub_u32_e32 v7, 29, v9
	v_and_b32_e32 v6, 7, v6
	v_cndmask_b32_e32 v7, v20, v7, vcc
	v_cndmask_b32_e32 v6, v12, v6, vcc
	v_bfrev_b32_e32 v12, 60
	v_lshlrev_b32_e32 v6, 20, v6
	v_and_b32_sdwa v9, sext(v8), s25 dst_sel:DWORD dst_unused:UNUSED_PAD src0_sel:BYTE_0 src1_sel:DWORD
	v_lshl_add_u32 v7, v7, 23, v12
	v_or3_b32 v30, v9, v7, v6
	v_pk_mov_b32 v[6:7], v[30:31], v[30:31] op_sel:[0,1]
	v_mov_b32_e32 v30, v41
.LBB253_542:                            ;   in Loop: Header=BB253_10 Depth=1
	s_or_b64 exec, exec, s[38:39]
.LBB253_543:                            ;   in Loop: Header=BB253_10 Depth=1
	s_or_b64 exec, exec, s[36:37]
.LBB253_544:                            ;   in Loop: Header=BB253_10 Depth=1
	s_or_b64 exec, exec, s[34:35]
	v_cmp_ne_u16_sdwa vcc, v8, v31 src0_sel:BYTE_1 src1_sel:DWORD
	s_and_saveexec_b64 s[34:35], vcc
	s_cbranch_execz .LBB253_550
; %bb.545:                              ;   in Loop: Header=BB253_10 Depth=1
	v_cmp_ne_u16_sdwa vcc, v8, s19 src0_sel:BYTE_1 src1_sel:DWORD
	v_pk_mov_b32 v[14:15], s[24:25], s[24:25] op_sel:[0,1]
	s_and_saveexec_b64 s[36:37], vcc
	s_cbranch_execz .LBB253_549
; %bb.546:                              ;   in Loop: Header=BB253_10 Depth=1
	v_and_b32_sdwa v9, v8, s41 dst_sel:DWORD dst_unused:UNUSED_PAD src0_sel:BYTE_1 src1_sel:DWORD
	s_mov_b32 s30, s24
	v_cmp_ne_u32_e32 vcc, s41, v9
	v_pk_mov_b32 v[14:15], s[30:31], s[30:31] op_sel:[0,1]
	s_and_saveexec_b64 s[38:39], vcc
	s_cbranch_execz .LBB253_548
; %bb.547:                              ;   in Loop: Header=BB253_10 Depth=1
	v_mov_b32_e32 v12, 7
	v_and_b32_sdwa v30, v8, v12 dst_sel:DWORD dst_unused:UNUSED_PAD src0_sel:BYTE_1 src1_sel:DWORD
	v_lshrrev_b32_e32 v20, 3, v9
	v_cmp_gt_u32_e32 vcc, 8, v9
	v_ffbh_u32_e32 v9, v30
	v_min_u32_e32 v9, 32, v9
	v_subrev_u32_e32 v14, 28, v9
	v_lshlrev_b64 v[14:15], v14, v[30:31]
	v_sub_u32_e32 v9, 29, v9
	v_and_b32_e32 v14, 7, v14
	v_cndmask_b32_e32 v9, v20, v9, vcc
	v_bfrev_b32_e32 v13, 60
	v_cndmask_b32_e32 v12, v30, v14, vcc
	v_lshlrev_b32_e32 v8, 16, v8
	v_lshl_add_u32 v9, v9, 23, v13
	v_and_or_b32 v8, v8, s25, v9
	v_lshlrev_b32_e32 v9, 20, v12
	v_mov_b32_e32 v30, v41
	v_or_b32_e32 v15, v8, v9
	v_mov_b32_e32 v14, v31
.LBB253_548:                            ;   in Loop: Header=BB253_10 Depth=1
	s_or_b64 exec, exec, s[38:39]
.LBB253_549:                            ;   in Loop: Header=BB253_10 Depth=1
	s_or_b64 exec, exec, s[36:37]
.LBB253_550:                            ;   in Loop: Header=BB253_10 Depth=1
	s_or_b64 exec, exec, s[34:35]
	v_add_co_u32_e32 v20, vcc, 0x1600, v10
	v_addc_co_u32_e32 v21, vcc, 0, v11, vcc
	flat_load_ushort v9, v[20:21] offset:4
	v_pk_mov_b32 v[10:11], 0, 0
	v_pk_mov_b32 v[28:29], v[10:11], v[10:11] op_sel:[0,1]
	s_waitcnt vmcnt(0) lgkmcnt(0)
	v_and_b32_e32 v8, 0xffff, v9
	v_cmp_ne_u16_sdwa vcc, v9, v31 src0_sel:BYTE_0 src1_sel:DWORD
	s_and_saveexec_b64 s[34:35], vcc
	s_cbranch_execz .LBB253_556
; %bb.551:                              ;   in Loop: Header=BB253_10 Depth=1
	v_bfrev_b32_e32 v28, 1
	v_cmp_ne_u16_sdwa vcc, v8, s19 src0_sel:BYTE_0 src1_sel:DWORD
	v_mov_b32_e32 v29, 0
	s_and_saveexec_b64 s[36:37], vcc
	s_cbranch_execz .LBB253_555
; %bb.552:                              ;   in Loop: Header=BB253_10 Depth=1
	v_and_b32_e32 v9, 0x7f, v8
	v_mov_b32_e32 v28, 0x7f800001
	v_cmp_ne_u32_e32 vcc, s41, v9
	v_mov_b32_e32 v29, 0
	s_and_saveexec_b64 s[38:39], vcc
	s_cbranch_execz .LBB253_554
; %bb.553:                              ;   in Loop: Header=BB253_10 Depth=1
	v_and_b32_e32 v12, 7, v8
	v_lshrrev_b32_e32 v36, 3, v9
	v_cmp_gt_u32_e32 vcc, 8, v9
	v_ffbh_u32_e32 v9, v12
	v_min_u32_e32 v9, 32, v9
	v_subrev_u32_e32 v28, 28, v9
	v_lshlrev_b64 v[28:29], v28, v[8:9]
	v_sub_u32_e32 v9, 29, v9
	v_and_b32_e32 v28, 7, v28
	v_cndmask_b32_e32 v9, v36, v9, vcc
	v_cndmask_b32_e32 v12, v12, v28, vcc
	v_bfrev_b32_e32 v13, 60
	v_lshlrev_b32_e32 v12, 20, v12
	v_and_b32_sdwa v28, sext(v8), s25 dst_sel:DWORD dst_unused:UNUSED_PAD src0_sel:BYTE_0 src1_sel:DWORD
	v_lshl_add_u32 v9, v9, 23, v13
	v_or3_b32 v30, v28, v9, v12
	v_pk_mov_b32 v[28:29], v[30:31], v[30:31] op_sel:[0,1]
	v_mov_b32_e32 v30, v41
.LBB253_554:                            ;   in Loop: Header=BB253_10 Depth=1
	s_or_b64 exec, exec, s[38:39]
.LBB253_555:                            ;   in Loop: Header=BB253_10 Depth=1
	s_or_b64 exec, exec, s[36:37]
.LBB253_556:                            ;   in Loop: Header=BB253_10 Depth=1
	s_or_b64 exec, exec, s[34:35]
	v_cmp_ne_u16_sdwa vcc, v8, v31 src0_sel:BYTE_1 src1_sel:DWORD
	s_and_saveexec_b64 s[34:35], vcc
	s_cbranch_execz .LBB253_562
; %bb.557:                              ;   in Loop: Header=BB253_10 Depth=1
	v_cmp_ne_u16_sdwa vcc, v8, s19 src0_sel:BYTE_1 src1_sel:DWORD
	v_pk_mov_b32 v[10:11], s[24:25], s[24:25] op_sel:[0,1]
	s_and_saveexec_b64 s[36:37], vcc
	s_cbranch_execz .LBB253_561
; %bb.558:                              ;   in Loop: Header=BB253_10 Depth=1
	v_and_b32_sdwa v9, v8, s41 dst_sel:DWORD dst_unused:UNUSED_PAD src0_sel:BYTE_1 src1_sel:DWORD
	s_mov_b32 s30, s24
	v_cmp_ne_u32_e32 vcc, s41, v9
	v_pk_mov_b32 v[10:11], s[30:31], s[30:31] op_sel:[0,1]
	s_and_saveexec_b64 s[38:39], vcc
	s_cbranch_execz .LBB253_560
; %bb.559:                              ;   in Loop: Header=BB253_10 Depth=1
	v_mov_b32_e32 v10, 7
	v_and_b32_sdwa v30, v8, v10 dst_sel:DWORD dst_unused:UNUSED_PAD src0_sel:BYTE_1 src1_sel:DWORD
	v_lshrrev_b32_e32 v36, 3, v9
	v_cmp_gt_u32_e32 vcc, 8, v9
	v_ffbh_u32_e32 v9, v30
	v_min_u32_e32 v9, 32, v9
	v_subrev_u32_e32 v10, 28, v9
	v_lshlrev_b64 v[10:11], v10, v[30:31]
	v_sub_u32_e32 v9, 29, v9
	v_and_b32_e32 v10, 7, v10
	v_cndmask_b32_e32 v9, v36, v9, vcc
	v_bfrev_b32_e32 v11, 60
	v_cndmask_b32_e32 v10, v30, v10, vcc
	v_lshlrev_b32_e32 v8, 16, v8
	v_lshl_add_u32 v9, v9, 23, v11
	v_and_or_b32 v8, v8, s25, v9
	v_lshlrev_b32_e32 v9, 20, v10
	v_mov_b32_e32 v30, v41
	v_or_b32_e32 v11, v8, v9
	v_mov_b32_e32 v10, v31
.LBB253_560:                            ;   in Loop: Header=BB253_10 Depth=1
	s_or_b64 exec, exec, s[38:39]
.LBB253_561:                            ;   in Loop: Header=BB253_10 Depth=1
	s_or_b64 exec, exec, s[36:37]
.LBB253_562:                            ;   in Loop: Header=BB253_10 Depth=1
	s_or_b64 exec, exec, s[34:35]
	flat_load_ushort v9, v[20:21] offset:8
	v_pk_mov_b32 v[46:47], 0, 0
	v_pk_mov_b32 v[52:53], v[46:47], v[46:47] op_sel:[0,1]
	s_waitcnt vmcnt(0) lgkmcnt(0)
	v_and_b32_e32 v8, 0xffff, v9
	v_cmp_ne_u16_sdwa vcc, v9, v31 src0_sel:BYTE_0 src1_sel:DWORD
	s_and_saveexec_b64 s[34:35], vcc
	s_cbranch_execz .LBB253_568
; %bb.563:                              ;   in Loop: Header=BB253_10 Depth=1
	v_bfrev_b32_e32 v52, 1
	v_cmp_ne_u16_sdwa vcc, v8, s19 src0_sel:BYTE_0 src1_sel:DWORD
	v_mov_b32_e32 v53, 0
	s_and_saveexec_b64 s[36:37], vcc
	s_cbranch_execz .LBB253_567
; %bb.564:                              ;   in Loop: Header=BB253_10 Depth=1
	v_and_b32_e32 v9, 0x7f, v8
	v_mov_b32_e32 v52, 0x7f800001
	v_cmp_ne_u32_e32 vcc, s41, v9
	v_mov_b32_e32 v53, 0
	s_and_saveexec_b64 s[38:39], vcc
	s_cbranch_execz .LBB253_566
; %bb.565:                              ;   in Loop: Header=BB253_10 Depth=1
	v_and_b32_e32 v12, 7, v8
	v_lshrrev_b32_e32 v52, 3, v9
	v_cmp_gt_u32_e32 vcc, 8, v9
	v_ffbh_u32_e32 v9, v12
	v_min_u32_e32 v9, 32, v9
	v_subrev_u32_e32 v36, 28, v9
	v_lshlrev_b64 v[36:37], v36, v[8:9]
	v_sub_u32_e32 v9, 29, v9
	v_and_b32_e32 v36, 7, v36
	v_cndmask_b32_e32 v9, v52, v9, vcc
	v_cndmask_b32_e32 v12, v12, v36, vcc
	v_bfrev_b32_e32 v13, 60
	v_lshlrev_b32_e32 v12, 20, v12
	v_and_b32_sdwa v36, sext(v8), s25 dst_sel:DWORD dst_unused:UNUSED_PAD src0_sel:BYTE_0 src1_sel:DWORD
	v_lshl_add_u32 v9, v9, 23, v13
	v_or3_b32 v30, v36, v9, v12
	v_pk_mov_b32 v[52:53], v[30:31], v[30:31] op_sel:[0,1]
	v_mov_b32_e32 v30, v41
.LBB253_566:                            ;   in Loop: Header=BB253_10 Depth=1
	s_or_b64 exec, exec, s[38:39]
.LBB253_567:                            ;   in Loop: Header=BB253_10 Depth=1
	s_or_b64 exec, exec, s[36:37]
.LBB253_568:                            ;   in Loop: Header=BB253_10 Depth=1
	s_or_b64 exec, exec, s[34:35]
	v_cmp_ne_u16_sdwa vcc, v8, v31 src0_sel:BYTE_1 src1_sel:DWORD
	s_and_saveexec_b64 s[34:35], vcc
	s_cbranch_execz .LBB253_574
; %bb.569:                              ;   in Loop: Header=BB253_10 Depth=1
	v_cmp_ne_u16_sdwa vcc, v8, s19 src0_sel:BYTE_1 src1_sel:DWORD
	v_pk_mov_b32 v[46:47], s[24:25], s[24:25] op_sel:[0,1]
	s_and_saveexec_b64 s[36:37], vcc
	s_cbranch_execz .LBB253_573
; %bb.570:                              ;   in Loop: Header=BB253_10 Depth=1
	v_and_b32_sdwa v9, v8, s41 dst_sel:DWORD dst_unused:UNUSED_PAD src0_sel:BYTE_1 src1_sel:DWORD
	s_mov_b32 s30, s24
	v_cmp_ne_u32_e32 vcc, s41, v9
	v_pk_mov_b32 v[46:47], s[30:31], s[30:31] op_sel:[0,1]
	s_and_saveexec_b64 s[38:39], vcc
	s_cbranch_execz .LBB253_572
; %bb.571:                              ;   in Loop: Header=BB253_10 Depth=1
	v_mov_b32_e32 v12, 7
	v_and_b32_sdwa v30, v8, v12 dst_sel:DWORD dst_unused:UNUSED_PAD src0_sel:BYTE_1 src1_sel:DWORD
	v_lshrrev_b32_e32 v40, 3, v9
	v_cmp_gt_u32_e32 vcc, 8, v9
	v_ffbh_u32_e32 v9, v30
	v_min_u32_e32 v9, 32, v9
	v_subrev_u32_e32 v36, 28, v9
	v_lshlrev_b64 v[36:37], v36, v[30:31]
	v_sub_u32_e32 v9, 29, v9
	v_and_b32_e32 v36, 7, v36
	v_cndmask_b32_e32 v9, v40, v9, vcc
	v_bfrev_b32_e32 v13, 60
	v_cndmask_b32_e32 v12, v30, v36, vcc
	v_lshlrev_b32_e32 v8, 16, v8
	v_lshl_add_u32 v9, v9, 23, v13
	v_and_or_b32 v8, v8, s25, v9
	v_lshlrev_b32_e32 v9, 20, v12
	v_mov_b32_e32 v30, v41
	v_or_b32_e32 v47, v8, v9
	v_mov_b32_e32 v46, v31
.LBB253_572:                            ;   in Loop: Header=BB253_10 Depth=1
	s_or_b64 exec, exec, s[38:39]
.LBB253_573:                            ;   in Loop: Header=BB253_10 Depth=1
	s_or_b64 exec, exec, s[36:37]
.LBB253_574:                            ;   in Loop: Header=BB253_10 Depth=1
	s_or_b64 exec, exec, s[34:35]
	flat_load_ushort v9, v[20:21] offset:12
	v_pk_mov_b32 v[36:37], 0, 0
	v_pk_mov_b32 v[12:13], v[36:37], v[36:37] op_sel:[0,1]
	s_waitcnt vmcnt(0) lgkmcnt(0)
	v_and_b32_e32 v8, 0xffff, v9
	v_cmp_ne_u16_sdwa vcc, v9, v31 src0_sel:BYTE_0 src1_sel:DWORD
	s_and_saveexec_b64 s[34:35], vcc
	s_cbranch_execz .LBB253_580
; %bb.575:                              ;   in Loop: Header=BB253_10 Depth=1
	v_bfrev_b32_e32 v12, 1
	v_cmp_ne_u16_sdwa vcc, v8, s19 src0_sel:BYTE_0 src1_sel:DWORD
	v_mov_b32_e32 v13, 0
	s_and_saveexec_b64 s[36:37], vcc
	s_cbranch_execz .LBB253_579
; %bb.576:                              ;   in Loop: Header=BB253_10 Depth=1
	v_and_b32_e32 v9, 0x7f, v8
	v_mov_b32_e32 v12, 0x7f800001
	v_cmp_ne_u32_e32 vcc, s41, v9
	v_mov_b32_e32 v13, 0
	s_and_saveexec_b64 s[38:39], vcc
	s_cbranch_execz .LBB253_578
; %bb.577:                              ;   in Loop: Header=BB253_10 Depth=1
	v_and_b32_e32 v12, 7, v8
	v_lshrrev_b32_e32 v40, 3, v9
	v_cmp_gt_u32_e32 vcc, 8, v9
	v_ffbh_u32_e32 v9, v12
	v_min_u32_e32 v9, 32, v9
	v_subrev_u32_e32 v20, 28, v9
	v_lshlrev_b64 v[20:21], v20, v[8:9]
	v_sub_u32_e32 v9, 29, v9
	v_and_b32_e32 v20, 7, v20
	v_cndmask_b32_e32 v9, v40, v9, vcc
	v_cndmask_b32_e32 v12, v12, v20, vcc
	v_bfrev_b32_e32 v13, 60
	v_lshlrev_b32_e32 v12, 20, v12
	v_and_b32_sdwa v20, sext(v8), s25 dst_sel:DWORD dst_unused:UNUSED_PAD src0_sel:BYTE_0 src1_sel:DWORD
	v_lshl_add_u32 v9, v9, 23, v13
	v_or3_b32 v30, v20, v9, v12
	v_pk_mov_b32 v[12:13], v[30:31], v[30:31] op_sel:[0,1]
	v_mov_b32_e32 v30, v41
.LBB253_578:                            ;   in Loop: Header=BB253_10 Depth=1
	s_or_b64 exec, exec, s[38:39]
.LBB253_579:                            ;   in Loop: Header=BB253_10 Depth=1
	s_or_b64 exec, exec, s[36:37]
.LBB253_580:                            ;   in Loop: Header=BB253_10 Depth=1
	s_or_b64 exec, exec, s[34:35]
	v_accvgpr_write_b32 a10, v12
	v_accvgpr_write_b32 a11, v13
	v_cmp_ne_u16_sdwa vcc, v8, v31 src0_sel:BYTE_1 src1_sel:DWORD
	s_and_saveexec_b64 s[34:35], vcc
	s_cbranch_execz .LBB253_586
; %bb.581:                              ;   in Loop: Header=BB253_10 Depth=1
	v_cmp_ne_u16_sdwa vcc, v8, s19 src0_sel:BYTE_1 src1_sel:DWORD
	v_pk_mov_b32 v[36:37], s[24:25], s[24:25] op_sel:[0,1]
	s_and_saveexec_b64 s[36:37], vcc
	s_cbranch_execz .LBB253_585
; %bb.582:                              ;   in Loop: Header=BB253_10 Depth=1
	v_and_b32_sdwa v9, v8, s41 dst_sel:DWORD dst_unused:UNUSED_PAD src0_sel:BYTE_1 src1_sel:DWORD
	s_mov_b32 s30, s24
	v_cmp_ne_u32_e32 vcc, s41, v9
	v_pk_mov_b32 v[36:37], s[30:31], s[30:31] op_sel:[0,1]
	s_and_saveexec_b64 s[38:39], vcc
	s_cbranch_execz .LBB253_584
; %bb.583:                              ;   in Loop: Header=BB253_10 Depth=1
	v_mov_b32_e32 v12, 7
	v_and_b32_sdwa v30, v8, v12 dst_sel:DWORD dst_unused:UNUSED_PAD src0_sel:BYTE_1 src1_sel:DWORD
	v_lshrrev_b32_e32 v36, 3, v9
	v_cmp_gt_u32_e32 vcc, 8, v9
	v_ffbh_u32_e32 v9, v30
	v_min_u32_e32 v9, 32, v9
	v_subrev_u32_e32 v20, 28, v9
	v_lshlrev_b64 v[20:21], v20, v[30:31]
	v_sub_u32_e32 v9, 29, v9
	v_and_b32_e32 v20, 7, v20
	v_cndmask_b32_e32 v9, v36, v9, vcc
	v_bfrev_b32_e32 v13, 60
	v_cndmask_b32_e32 v12, v30, v20, vcc
	v_lshlrev_b32_e32 v8, 16, v8
	v_lshl_add_u32 v9, v9, 23, v13
	v_and_or_b32 v8, v8, s25, v9
	v_lshlrev_b32_e32 v9, 20, v12
	v_mov_b32_e32 v30, v41
	v_or_b32_e32 v37, v8, v9
	v_mov_b32_e32 v36, v31
.LBB253_584:                            ;   in Loop: Header=BB253_10 Depth=1
	s_or_b64 exec, exec, s[38:39]
.LBB253_585:                            ;   in Loop: Header=BB253_10 Depth=1
	s_or_b64 exec, exec, s[36:37]
.LBB253_586:                            ;   in Loop: Header=BB253_10 Depth=1
	s_or_b64 exec, exec, s[34:35]
	v_or_b32_e32 v1, v1, v51
	v_or_b32_e32 v0, v0, v50
	v_accvgpr_write_b32 a45, v1
	v_accvgpr_write_b32 a44, v0
	v_or_b32_e32 v1, v3, v49
	v_or_b32_e32 v0, v2, v48
	v_accvgpr_write_b32 a55, v1
	v_accvgpr_write_b32 a54, v0
	v_or_b32_e32 v1, v57, v59
	v_or_b32_e32 v0, v56, v58
	v_accvgpr_write_b32 a49, v1
	v_accvgpr_write_b32 a48, v0
	v_or_b32_e32 v1, v45, v5
	v_or_b32_e32 v0, v44, v4
	v_accvgpr_write_b32 a59, v1
	v_accvgpr_write_b32 a58, v0
	v_accvgpr_read_b32 v0, a34
	v_accvgpr_read_b32 v1, a35
	v_or_b32_e32 v1, v39, v1
	v_or_b32_e32 v0, v38, v0
	v_accvgpr_write_b32 a35, v1
	v_accvgpr_write_b32 a34, v0
	v_accvgpr_read_b32 v0, a28
	v_accvgpr_read_b32 v1, a29
	v_or_b32_e32 v1, v33, v1
	v_or_b32_e32 v0, v32, v0
	v_accvgpr_write_b32 a29, v1
	v_accvgpr_write_b32 a28, v0
	;; [unrolled: 6-line block ×3, first 2 shown]
	v_accvgpr_read_b32 v0, a8
	v_accvgpr_read_b32 v2, a18
	v_accvgpr_read_b32 v1, a9
	v_accvgpr_read_b32 v3, a19
	v_or_b32_e32 v1, v1, v3
	v_or_b32_e32 v0, v0, v2
	v_accvgpr_write_b32 a53, v1
	v_accvgpr_write_b32 a52, v0
	v_accvgpr_read_b32 v0, a26
	v_accvgpr_read_b32 v2, a62
	v_accvgpr_read_b32 v1, a27
	v_accvgpr_read_b32 v3, a63
	v_or_b32_e32 v1, v1, v3
	v_or_b32_e32 v0, v0, v2
	v_accvgpr_write_b32 a27, v1
	v_accvgpr_write_b32 a26, v0
	;; [unrolled: 8-line block ×5, first 2 shown]
	v_accvgpr_read_b32 v0, a22
	v_accvgpr_read_b32 v2, a4
	;; [unrolled: 1-line block ×4, first 2 shown]
	v_or_b32_e32 v1, v1, v3
	v_or_b32_e32 v0, v0, v2
	buffer_load_dword v2, off, s[0:3], s32 offset:612 ; 4-byte Folded Reload
	buffer_load_dword v3, off, s[0:3], s32 offset:616 ; 4-byte Folded Reload
	v_accvgpr_write_b32 a0, v0
	v_accvgpr_write_b32 a1, v1
	v_accvgpr_read_b32 v0, a20
	v_accvgpr_read_b32 v1, a21
	v_or_b32_e32 v9, v47, v53
	v_or_b32_e32 v8, v46, v52
	;; [unrolled: 1-line block ×4, first 2 shown]
	v_accvgpr_write_b32 a43, v7
	v_accvgpr_write_b32 a42, v6
	v_or_b32_e32 v7, v27, v55
	v_or_b32_e32 v6, v26, v54
	v_accvgpr_write_b32 a37, v7
	v_accvgpr_write_b32 a36, v6
	v_or_b32_e32 v7, v19, v35
	v_or_b32_e32 v6, v18, v34
	;; [unrolled: 4-line block ×5, first 2 shown]
	v_accvgpr_write_b32 a33, v9
	v_accvgpr_write_b32 a32, v8
	;; [unrolled: 1-line block ×4, first 2 shown]
	s_waitcnt vmcnt(0)
	v_or_b32_e32 v47, v1, v3
	v_or_b32_e32 v46, v0, v2
	buffer_load_dword v0, off, s[0:3], s32 offset:604 ; 4-byte Folded Reload
	buffer_load_dword v1, off, s[0:3], s32 offset:608 ; 4-byte Folded Reload
	buffer_load_dword v2, off, s[0:3], s32 offset:596 ; 4-byte Folded Reload
	buffer_load_dword v3, off, s[0:3], s32 offset:600 ; 4-byte Folded Reload
	s_waitcnt vmcnt(0)
	v_or_b32_e32 v45, v1, v3
	v_or_b32_e32 v44, v0, v2
	buffer_load_dword v0, off, s[0:3], s32 offset:588 ; 4-byte Folded Reload
	buffer_load_dword v1, off, s[0:3], s32 offset:592 ; 4-byte Folded Reload
	buffer_load_dword v2, off, s[0:3], s32 offset:580 ; 4-byte Folded Reload
	buffer_load_dword v3, off, s[0:3], s32 offset:584 ; 4-byte Folded Reload
	s_waitcnt vmcnt(0)
	v_or_b32_e32 v57, v1, v3
	v_or_b32_e32 v56, v0, v2
	buffer_load_dword v0, off, s[0:3], s32 offset:572 ; 4-byte Folded Reload
	buffer_load_dword v1, off, s[0:3], s32 offset:576 ; 4-byte Folded Reload
	buffer_load_dword v2, off, s[0:3], s32 offset:564 ; 4-byte Folded Reload
	buffer_load_dword v3, off, s[0:3], s32 offset:568 ; 4-byte Folded Reload
	s_waitcnt vmcnt(0)
	v_or_b32_e32 v41, v1, v3
	v_or_b32_e32 v40, v0, v2
	buffer_load_dword v0, off, s[0:3], s32 offset:556 ; 4-byte Folded Reload
	buffer_load_dword v1, off, s[0:3], s32 offset:560 ; 4-byte Folded Reload
	buffer_load_dword v2, off, s[0:3], s32 offset:548 ; 4-byte Folded Reload
	buffer_load_dword v3, off, s[0:3], s32 offset:552 ; 4-byte Folded Reload
	s_waitcnt vmcnt(0)
	v_or_b32_e32 v55, v1, v3
	v_or_b32_e32 v54, v0, v2
	buffer_load_dword v0, off, s[0:3], s32 offset:540 ; 4-byte Folded Reload
	buffer_load_dword v1, off, s[0:3], s32 offset:544 ; 4-byte Folded Reload
	buffer_load_dword v2, off, s[0:3], s32 offset:532 ; 4-byte Folded Reload
	buffer_load_dword v3, off, s[0:3], s32 offset:536 ; 4-byte Folded Reload
	s_waitcnt vmcnt(0)
	v_or_b32_e32 v61, v1, v3
	v_or_b32_e32 v60, v0, v2
	buffer_load_dword v0, off, s[0:3], s32 offset:524 ; 4-byte Folded Reload
	buffer_load_dword v1, off, s[0:3], s32 offset:528 ; 4-byte Folded Reload
	buffer_load_dword v2, off, s[0:3], s32 offset:516 ; 4-byte Folded Reload
	buffer_load_dword v3, off, s[0:3], s32 offset:520 ; 4-byte Folded Reload
	s_waitcnt vmcnt(0)
	v_or_b32_e32 v53, v1, v3
	v_or_b32_e32 v52, v0, v2
	buffer_load_dword v0, off, s[0:3], s32 offset:508 ; 4-byte Folded Reload
	buffer_load_dword v1, off, s[0:3], s32 offset:512 ; 4-byte Folded Reload
	buffer_load_dword v2, off, s[0:3], s32 offset:500 ; 4-byte Folded Reload
	buffer_load_dword v3, off, s[0:3], s32 offset:504 ; 4-byte Folded Reload
	s_waitcnt vmcnt(0)
	v_or_b32_e32 v39, v1, v3
	v_or_b32_e32 v38, v0, v2
	buffer_load_dword v0, off, s[0:3], s32 offset:492 ; 4-byte Folded Reload
	buffer_load_dword v1, off, s[0:3], s32 offset:496 ; 4-byte Folded Reload
	buffer_load_dword v2, off, s[0:3], s32 offset:484 ; 4-byte Folded Reload
	buffer_load_dword v3, off, s[0:3], s32 offset:488 ; 4-byte Folded Reload
	s_waitcnt vmcnt(0)
	v_or_b32_e32 v35, v1, v3
	v_or_b32_e32 v34, v0, v2
	buffer_load_dword v0, off, s[0:3], s32 offset:476 ; 4-byte Folded Reload
	buffer_load_dword v1, off, s[0:3], s32 offset:480 ; 4-byte Folded Reload
	buffer_load_dword v2, off, s[0:3], s32 offset:468 ; 4-byte Folded Reload
	buffer_load_dword v3, off, s[0:3], s32 offset:472 ; 4-byte Folded Reload
	s_waitcnt vmcnt(0)
	v_or_b32_e32 v33, v1, v3
	v_or_b32_e32 v32, v0, v2
	buffer_load_dword v0, off, s[0:3], s32 offset:460 ; 4-byte Folded Reload
	buffer_load_dword v1, off, s[0:3], s32 offset:464 ; 4-byte Folded Reload
	buffer_load_dword v2, off, s[0:3], s32 offset:452 ; 4-byte Folded Reload
	buffer_load_dword v3, off, s[0:3], s32 offset:456 ; 4-byte Folded Reload
	s_waitcnt vmcnt(0)
	v_or_b32_e32 v29, v1, v3
	v_or_b32_e32 v28, v0, v2
	buffer_load_dword v0, off, s[0:3], s32 offset:444 ; 4-byte Folded Reload
	buffer_load_dword v1, off, s[0:3], s32 offset:448 ; 4-byte Folded Reload
	buffer_load_dword v2, off, s[0:3], s32 offset:436 ; 4-byte Folded Reload
	buffer_load_dword v3, off, s[0:3], s32 offset:440 ; 4-byte Folded Reload
	s_waitcnt vmcnt(0)
	v_or_b32_e32 v27, v1, v3
	v_or_b32_e32 v26, v0, v2
	buffer_load_dword v0, off, s[0:3], s32 offset:428 ; 4-byte Folded Reload
	buffer_load_dword v1, off, s[0:3], s32 offset:432 ; 4-byte Folded Reload
	buffer_load_dword v2, off, s[0:3], s32 offset:420 ; 4-byte Folded Reload
	buffer_load_dword v3, off, s[0:3], s32 offset:424 ; 4-byte Folded Reload
	s_waitcnt vmcnt(0)
	v_or_b32_e32 v25, v1, v3
	v_or_b32_e32 v24, v0, v2
	buffer_load_dword v0, off, s[0:3], s32 offset:412 ; 4-byte Folded Reload
	buffer_load_dword v1, off, s[0:3], s32 offset:416 ; 4-byte Folded Reload
	buffer_load_dword v2, off, s[0:3], s32 offset:404 ; 4-byte Folded Reload
	buffer_load_dword v3, off, s[0:3], s32 offset:408 ; 4-byte Folded Reload
	s_waitcnt vmcnt(0)
	v_or_b32_e32 v23, v1, v3
	v_or_b32_e32 v22, v0, v2
	buffer_load_dword v0, off, s[0:3], s32 offset:396 ; 4-byte Folded Reload
	buffer_load_dword v1, off, s[0:3], s32 offset:400 ; 4-byte Folded Reload
	buffer_load_dword v2, off, s[0:3], s32 offset:388 ; 4-byte Folded Reload
	buffer_load_dword v3, off, s[0:3], s32 offset:392 ; 4-byte Folded Reload
	s_waitcnt vmcnt(0)
	v_or_b32_e32 v19, v1, v3
	v_or_b32_e32 v18, v0, v2
	buffer_load_dword v0, off, s[0:3], s32 offset:380 ; 4-byte Folded Reload
	buffer_load_dword v1, off, s[0:3], s32 offset:384 ; 4-byte Folded Reload
	buffer_load_dword v2, off, s[0:3], s32 offset:372 ; 4-byte Folded Reload
	buffer_load_dword v3, off, s[0:3], s32 offset:376 ; 4-byte Folded Reload
	s_waitcnt vmcnt(0)
	v_or_b32_e32 v21, v1, v3
	v_or_b32_e32 v20, v0, v2
	buffer_load_dword v0, off, s[0:3], s32 offset:364 ; 4-byte Folded Reload
	buffer_load_dword v1, off, s[0:3], s32 offset:368 ; 4-byte Folded Reload
	buffer_load_dword v2, off, s[0:3], s32 offset:356 ; 4-byte Folded Reload
	buffer_load_dword v3, off, s[0:3], s32 offset:360 ; 4-byte Folded Reload
	s_waitcnt vmcnt(0)
	v_or_b32_e32 v17, v1, v3
	v_or_b32_e32 v16, v0, v2
	buffer_load_dword v0, off, s[0:3], s32 offset:348 ; 4-byte Folded Reload
	buffer_load_dword v1, off, s[0:3], s32 offset:352 ; 4-byte Folded Reload
	buffer_load_dword v2, off, s[0:3], s32 offset:340 ; 4-byte Folded Reload
	buffer_load_dword v3, off, s[0:3], s32 offset:344 ; 4-byte Folded Reload
	s_waitcnt vmcnt(0)
	v_or_b32_e32 v15, v1, v3
	v_or_b32_e32 v14, v0, v2
	buffer_load_dword v0, off, s[0:3], s32 offset:332 ; 4-byte Folded Reload
	buffer_load_dword v1, off, s[0:3], s32 offset:336 ; 4-byte Folded Reload
	buffer_load_dword v2, off, s[0:3], s32 offset:324 ; 4-byte Folded Reload
	buffer_load_dword v3, off, s[0:3], s32 offset:328 ; 4-byte Folded Reload
	s_waitcnt vmcnt(0)
	v_or_b32_e32 v11, v1, v3
	v_or_b32_e32 v10, v0, v2
	buffer_load_dword v0, off, s[0:3], s32 offset:316 ; 4-byte Folded Reload
	buffer_load_dword v1, off, s[0:3], s32 offset:320 ; 4-byte Folded Reload
	buffer_load_dword v2, off, s[0:3], s32 offset:308 ; 4-byte Folded Reload
	buffer_load_dword v3, off, s[0:3], s32 offset:312 ; 4-byte Folded Reload
	s_waitcnt vmcnt(0)
	v_or_b32_e32 v9, v1, v3
	v_or_b32_e32 v8, v0, v2
	buffer_load_dword v0, off, s[0:3], s32 offset:300 ; 4-byte Folded Reload
	buffer_load_dword v1, off, s[0:3], s32 offset:304 ; 4-byte Folded Reload
	buffer_load_dword v2, off, s[0:3], s32 offset:292 ; 4-byte Folded Reload
	buffer_load_dword v3, off, s[0:3], s32 offset:296 ; 4-byte Folded Reload
	s_waitcnt vmcnt(0)
	v_or_b32_e32 v7, v1, v3
	v_or_b32_e32 v6, v0, v2
	buffer_load_dword v0, off, s[0:3], s32 offset:284 ; 4-byte Folded Reload
	buffer_load_dword v1, off, s[0:3], s32 offset:288 ; 4-byte Folded Reload
	buffer_load_dword v2, off, s[0:3], s32 offset:276 ; 4-byte Folded Reload
	buffer_load_dword v3, off, s[0:3], s32 offset:280 ; 4-byte Folded Reload
	s_waitcnt vmcnt(0)
	v_or_b32_e32 v13, v1, v3
	v_or_b32_e32 v12, v0, v2
	buffer_load_dword v0, off, s[0:3], s32 offset:268 ; 4-byte Folded Reload
	buffer_load_dword v1, off, s[0:3], s32 offset:272 ; 4-byte Folded Reload
	buffer_load_dword v2, off, s[0:3], s32 offset:260 ; 4-byte Folded Reload
	buffer_load_dword v3, off, s[0:3], s32 offset:264 ; 4-byte Folded Reload
	s_waitcnt vmcnt(0)
	v_or_b32_e32 v1, v1, v3
	v_or_b32_e32 v0, v0, v2
	buffer_load_dword v2, off, s[0:3], s32 offset:252 ; 4-byte Folded Reload
	buffer_load_dword v3, off, s[0:3], s32 offset:256 ; 4-byte Folded Reload
	buffer_load_dword v4, off, s[0:3], s32 offset:244 ; 4-byte Folded Reload
	buffer_load_dword v5, off, s[0:3], s32 offset:248 ; 4-byte Folded Reload
	s_waitcnt vmcnt(0)
	v_or_b32_e32 v5, v3, v5
	v_or_b32_e32 v4, v2, v4
	buffer_load_dword v2, off, s[0:3], s32 offset:236 ; 4-byte Folded Reload
	buffer_load_dword v3, off, s[0:3], s32 offset:240 ; 4-byte Folded Reload
	buffer_load_dword v48, off, s[0:3], s32 offset:228 ; 4-byte Folded Reload
	buffer_load_dword v49, off, s[0:3], s32 offset:232 ; 4-byte Folded Reload
	s_waitcnt vmcnt(0)
	v_or_b32_e32 v59, v3, v49
	v_or_b32_e32 v58, v2, v48
	buffer_load_dword v2, off, s[0:3], s32 offset:220 ; 4-byte Folded Reload
	buffer_load_dword v3, off, s[0:3], s32 offset:224 ; 4-byte Folded Reload
	buffer_load_dword v48, off, s[0:3], s32 offset:212 ; 4-byte Folded Reload
	buffer_load_dword v49, off, s[0:3], s32 offset:216 ; 4-byte Folded Reload
	s_waitcnt vmcnt(0)
	v_or_b32_e32 v49, v3, v49
	v_or_b32_e32 v48, v2, v48
	buffer_load_dword v2, off, s[0:3], s32 offset:204 ; 4-byte Folded Reload
	buffer_load_dword v3, off, s[0:3], s32 offset:208 ; 4-byte Folded Reload
	buffer_load_dword v50, off, s[0:3], s32 offset:196 ; 4-byte Folded Reload
	buffer_load_dword v51, off, s[0:3], s32 offset:200 ; 4-byte Folded Reload
	s_waitcnt vmcnt(0)
	v_or_b32_e32 v51, v3, v51
	v_or_b32_e32 v50, v2, v50
	v_accvgpr_read_b32 v2, a10
	v_accvgpr_read_b32 v3, a11
	v_or_b32_e32 v43, v37, v3
	v_or_b32_e32 v42, v36, v2
	buffer_load_dword v2, off, s[0:3], s32 offset:648 ; 4-byte Folded Reload
	buffer_load_dword v3, off, s[0:3], s32 offset:652 ; 4-byte Folded Reload
	v_accvgpr_read_b32 v36, a38
	v_accvgpr_read_b32 v37, a39
	s_waitcnt vmcnt(0)
	v_pk_mul_f32 v[36:37], v[2:3], v[36:37] op_sel_hi:[0,1]
	v_accvgpr_write_b32 a39, v37
	v_accvgpr_write_b32 a38, v36
	v_accvgpr_read_b32 v37, a33
	v_accvgpr_read_b32 v36, a32
	v_pk_mul_f32 v[36:37], v[2:3], v[36:37] op_sel_hi:[0,1]
	v_accvgpr_write_b32 a2, v36
	v_accvgpr_write_b32 a3, v37
	v_accvgpr_read_b32 v36, a42
	v_accvgpr_read_b32 v37, a43
	;; [unrolled: 5-line block ×19, first 2 shown]
	v_pk_mul_f32 v[36:37], v[2:3], v[36:37] op_sel_hi:[0,1]
	v_accvgpr_write_b32 a0, v36
	v_accvgpr_write_b32 a1, v37
	v_pk_mul_f32 v[36:37], v[2:3], v[46:47] op_sel_hi:[0,1]
	v_accvgpr_write_b32 a41, v37
	v_accvgpr_write_b32 a40, v36
	v_pk_mul_f32 v[46:47], v[2:3], v[44:45] op_sel_hi:[0,1]
	v_pk_mul_f32 v[36:37], v[2:3], v[56:57] op_sel_hi:[0,1]
	;; [unrolled: 1-line block ×27, first 2 shown]
	buffer_load_dword v2, off, s[0:3], s32 offset:672 ; 4-byte Folded Reload
	buffer_load_dword v3, off, s[0:3], s32 offset:676 ; 4-byte Folded Reload
	;; [unrolled: 1-line block ×4, first 2 shown]
	s_waitcnt vmcnt(1)
	v_mul_f32_e32 v0, v4, v0
	s_waitcnt vmcnt(0)
	v_mul_f32_e32 v1, v5, v1
	v_fmac_f32_e32 v0, v2, v48
	v_fmac_f32_e32 v1, v3, v49
	buffer_load_dword v2, off, s[0:3], s32 offset:688 ; 4-byte Folded Reload
	buffer_load_dword v3, off, s[0:3], s32 offset:692 ; 4-byte Folded Reload
	buffer_load_dword v4, off, s[0:3], s32 offset:696 ; 4-byte Folded Reload
	buffer_load_dword v5, off, s[0:3], s32 offset:700 ; 4-byte Folded Reload
	s_waitcnt vmcnt(3)
	v_fmac_f32_e32 v0, v2, v58
	s_waitcnt vmcnt(2)
	v_fmac_f32_e32 v1, v3, v59
	s_waitcnt vmcnt(1)
	v_fmac_f32_e32 v0, v4, v22
	s_waitcnt vmcnt(0)
	v_fmac_f32_e32 v1, v5, v23
	buffer_load_dword v2, off, s[0:3], s32 offset:704 ; 4-byte Folded Reload
	buffer_load_dword v3, off, s[0:3], s32 offset:708 ; 4-byte Folded Reload
	buffer_load_dword v4, off, s[0:3], s32 offset:712 ; 4-byte Folded Reload
	buffer_load_dword v5, off, s[0:3], s32 offset:716 ; 4-byte Folded Reload
	s_waitcnt vmcnt(3)
	v_fmac_f32_e32 v0, v2, v60
	s_waitcnt vmcnt(2)
	v_fmac_f32_e32 v1, v3, v61
	s_waitcnt vmcnt(1)
	v_fmac_f32_e32 v0, v4, v12
	s_waitcnt vmcnt(0)
	;; [unrolled: 12-line block ×3, first 2 shown]
	v_fmac_f32_e32 v1, v5, v9
	buffer_load_dword v2, off, s[0:3], s32 offset:736 ; 4-byte Folded Reload
	buffer_load_dword v3, off, s[0:3], s32 offset:740 ; 4-byte Folded Reload
	;; [unrolled: 1-line block ×4, first 2 shown]
	v_accvgpr_read_b32 v6, a40
	v_accvgpr_read_b32 v7, a41
	s_waitcnt vmcnt(3)
	v_fmac_f32_e32 v0, v2, v10
	s_waitcnt vmcnt(2)
	v_fmac_f32_e32 v1, v3, v11
	s_waitcnt vmcnt(1)
	v_fmac_f32_e32 v0, v4, v14
	s_waitcnt vmcnt(0)
	v_fmac_f32_e32 v1, v5, v15
	buffer_load_dword v2, off, s[0:3], s32 offset:752 ; 4-byte Folded Reload
	buffer_load_dword v3, off, s[0:3], s32 offset:756 ; 4-byte Folded Reload
	buffer_load_dword v4, off, s[0:3], s32 offset:760 ; 4-byte Folded Reload
	buffer_load_dword v5, off, s[0:3], s32 offset:764 ; 4-byte Folded Reload
	s_waitcnt vmcnt(3)
	v_fmac_f32_e32 v0, v2, v16
	s_waitcnt vmcnt(2)
	v_fmac_f32_e32 v1, v3, v17
	s_waitcnt vmcnt(1)
	v_fmac_f32_e32 v0, v4, v20
	s_waitcnt vmcnt(0)
	v_fmac_f32_e32 v1, v5, v21
	buffer_load_dword v2, off, s[0:3], s32 offset:768 ; 4-byte Folded Reload
	buffer_load_dword v3, off, s[0:3], s32 offset:772 ; 4-byte Folded Reload
	buffer_load_dword v4, off, s[0:3], s32 offset:776 ; 4-byte Folded Reload
	buffer_load_dword v5, off, s[0:3], s32 offset:780 ; 4-byte Folded Reload
	;; [unrolled: 12-line block ×9, first 2 shown]
	s_waitcnt vmcnt(3)
	v_fmac_f32_e32 v0, v2, v6
	s_waitcnt vmcnt(2)
	v_fmac_f32_e32 v1, v3, v7
	v_accvgpr_read_b32 v3, a1
	v_accvgpr_read_b32 v2, a0
	s_waitcnt vmcnt(1)
	v_fmac_f32_e32 v0, v4, v2
	s_waitcnt vmcnt(0)
	v_fmac_f32_e32 v1, v5, v3
	buffer_load_dword v2, off, s[0:3], s32 offset:912 ; 4-byte Folded Reload
	buffer_load_dword v3, off, s[0:3], s32 offset:916 ; 4-byte Folded Reload
	buffer_load_dword v4, off, s[0:3], s32 offset:920 ; 4-byte Folded Reload
	buffer_load_dword v5, off, s[0:3], s32 offset:924 ; 4-byte Folded Reload
	v_accvgpr_read_b32 v6, a36
	v_accvgpr_read_b32 v7, a37
	s_waitcnt vmcnt(3)
	v_fmac_f32_e32 v0, v2, v6
	s_waitcnt vmcnt(2)
	v_fmac_f32_e32 v1, v3, v7
	v_accvgpr_read_b32 v2, a34
	v_accvgpr_read_b32 v3, a35
	s_waitcnt vmcnt(1)
	v_fmac_f32_e32 v0, v4, v2
	s_waitcnt vmcnt(0)
	v_fmac_f32_e32 v1, v5, v3
	buffer_load_dword v2, off, s[0:3], s32 offset:928 ; 4-byte Folded Reload
	buffer_load_dword v3, off, s[0:3], s32 offset:932 ; 4-byte Folded Reload
	buffer_load_dword v4, off, s[0:3], s32 offset:936 ; 4-byte Folded Reload
	buffer_load_dword v5, off, s[0:3], s32 offset:940 ; 4-byte Folded Reload
	v_accvgpr_read_b32 v6, a32
	v_accvgpr_read_b32 v7, a33
	;; [unrolled: 16-line block ×10, first 2 shown]
	s_waitcnt vmcnt(3)
	v_fmac_f32_e32 v0, v2, v6
	s_waitcnt vmcnt(2)
	v_fmac_f32_e32 v1, v3, v7
	;; [unrolled: 2-line block ×4, first 2 shown]
	v_add_f32_e32 v0, v0, v1
	buffer_load_dword v1, off, s[0:3], s32 offset:668 ; 4-byte Folded Reload
	s_waitcnt vmcnt(0)
	ds_bpermute_b32 v1, v1, v0
	s_and_saveexec_b64 s[34:35], s[6:7]
	s_cbranch_execz .LBB253_9
; %bb.587:                              ;   in Loop: Header=BB253_10 Depth=1
	buffer_load_dword v4, off, s[0:3], s32 offset:620 ; 4-byte Folded Reload
	s_waitcnt lgkmcnt(0)
	v_add_f32_e32 v0, v0, v1
	buffer_load_dword v1, off, s[0:3], s32 offset:1072 ; 4-byte Folded Reload
	v_sub_u32_e32 v2, 1, v62
	s_load_dword vcc_lo, s[26:27], 0x0
	buffer_load_dword v3, off, s[0:3], s32 offset:1076 ; 4-byte Folded Reload
	s_waitcnt vmcnt(2)
	v_add_u32_e32 v2, v2, v4
	v_cvt_f32_i32_e32 v2, v2
	s_waitcnt vmcnt(1)
	v_mul_f32_e32 v1, v1, v2
	buffer_load_dword v2, off, s[0:3], s32 offset:624 ; 4-byte Folded Reload
	v_cndmask_b32_e64 v1, 0, v1, s[8:9]
	s_waitcnt vmcnt(1)
	v_fmac_f32_e32 v1, v0, v3
	s_waitcnt vmcnt(0) lgkmcnt(0)
	v_add_u32_e32 v2, vcc_lo, v2
	v_cmp_lt_i32_e32 vcc, v4, v62
	v_cndmask_b32_e32 v0, 0, v1, vcc
	ds_write_b32 v2, v0
	buffer_load_dword v2, off, s[0:3], s32 offset:664 ; 4-byte Folded Reload
	s_waitcnt vmcnt(0)
	v_max_f32_e32 v0, v2, v2
	v_max_f32_e32 v0, v0, v1
	v_cndmask_b32_e32 v2, v2, v0, vcc
	buffer_store_dword v2, off, s[0:3], s32 offset:664 ; 4-byte Folded Spill
	s_branch .LBB253_9
.LBB253_588:
	s_or_b64 exec, exec, s[28:29]
	buffer_load_dword v11, off, s[0:3], s32 offset:1164 ; 4-byte Folded Reload
	buffer_load_dword v10, off, s[0:3], s32 offset:1156 ; 4-byte Folded Reload
	s_waitcnt lgkmcnt(0)
	buffer_load_dword v1, off, s[0:3], s32 offset:1148 ; 4-byte Folded Reload
	buffer_load_dword v0, off, s[0:3], s32 offset:1160 ; 4-byte Folded Reload
	;; [unrolled: 1-line block ×5, first 2 shown]
.LBB253_589:
	s_or_b64 exec, exec, s[10:11]
	buffer_load_dword v12, off, s[0:3], s32 offset:1096 ; 4-byte Folded Reload
	buffer_load_dword v13, off, s[0:3], s32 offset:1100 ; 4-byte Folded Reload
	s_waitcnt vmcnt(2)
	v_max_f32_e32 v6, v14, v14
	s_waitcnt lgkmcnt(0)
	s_lshr_b32 s28, s40, 16
	s_waitcnt vmcnt(1)
	v_xor_b32_e32 v4, 32, v12
	s_waitcnt vmcnt(0)
	v_cmp_lt_i32_e32 vcc, v4, v13
	v_cndmask_b32_e32 v4, v12, v4, vcc
	v_lshlrev_b32_e32 v4, 2, v4
	ds_bpermute_b32 v5, v4, v14
	v_xor_b32_e32 v7, 16, v12
	v_cmp_lt_i32_e32 vcc, v7, v13
	v_xor_b32_e32 v8, 8, v12
	v_xor_b32_e32 v9, 4, v12
	s_waitcnt lgkmcnt(0)
	v_max_f32_e32 v5, v5, v5
	v_max_f32_e32 v6, v6, v5
	v_cndmask_b32_e32 v5, v12, v7, vcc
	v_lshlrev_b32_e32 v5, 2, v5
	ds_bpermute_b32 v7, v5, v6
	v_cmp_lt_i32_e32 vcc, v8, v13
	s_waitcnt lgkmcnt(0)
	v_max_f32_e32 v7, v7, v7
	v_max_f32_e32 v6, v6, v7
	v_cndmask_b32_e32 v7, v12, v8, vcc
	v_lshlrev_b32_e32 v8, 2, v7
	ds_bpermute_b32 v7, v8, v6
	v_cmp_lt_i32_e32 vcc, v9, v13
	s_waitcnt lgkmcnt(0)
	v_max_f32_e32 v7, v7, v7
	v_max_f32_e32 v6, v6, v7
	v_cndmask_b32_e32 v7, v12, v9, vcc
	v_lshlrev_b32_e32 v34, 2, v7
	ds_bpermute_b32 v7, v34, v6
	v_xor_b32_e32 v9, 2, v12
	v_cmp_lt_i32_e32 vcc, v9, v13
	s_waitcnt lgkmcnt(0)
	v_max_f32_e32 v7, v7, v7
	v_max_f32_e32 v6, v6, v7
	v_cndmask_b32_e32 v7, v12, v9, vcc
	buffer_load_dword v9, off, s[0:3], s32 offset:1080 ; 4-byte Folded Reload
	v_lshlrev_b32_e32 v31, 2, v7
	ds_bpermute_b32 v7, v31, v6
	s_waitcnt vmcnt(0)
	v_and_b32_e32 v12, 63, v9
	buffer_load_dword v9, off, s[0:3], s32 offset:1084 ; 4-byte Folded Reload
	v_cmp_eq_u32_e32 vcc, 0, v12
	s_waitcnt vmcnt(0)
	v_lshlrev_b32_e32 v9, 2, v9
	s_and_saveexec_b64 s[6:7], vcc
	s_cbranch_execz .LBB253_591
; %bb.590:
	s_waitcnt lgkmcnt(0)
	v_max_f32_e32 v7, v7, v7
	v_max_f32_e32 v6, v6, v6
	;; [unrolled: 1-line block ×3, first 2 shown]
	ds_write_b32 v9, v6 offset:768
.LBB253_591:
	s_or_b64 exec, exec, s[6:7]
	s_waitcnt lgkmcnt(0)
	s_barrier
	v_cmp_gt_u32_e64 s[6:7], 2, v12
	v_mov_b32_e32 v6, 0xff7fffff
	buffer_store_dword v12, off, s[0:3], s32 offset:364 ; 4-byte Folded Spill
	v_lshlrev_b32_e32 v12, 2, v12
	s_and_saveexec_b64 s[8:9], s[6:7]
	s_cbranch_execz .LBB253_593
; %bb.592:
	ds_read_b32 v6, v12 offset:768
.LBB253_593:
	s_or_b64 exec, exec, s[8:9]
	buffer_load_dword v14, off, s[0:3], s32 offset:1096 ; 4-byte Folded Reload
	buffer_load_dword v13, off, s[0:3], s32 offset:1100 ; 4-byte Folded Reload
	;; [unrolled: 1-line block ×3, first 2 shown]
	s_waitcnt vmcnt(2)
	v_xor_b32_e32 v7, 1, v14
	s_waitcnt vmcnt(1)
	v_cmp_lt_i32_e64 s[8:9], v7, v13
	buffer_load_dword v13, off, s[0:3], s32 offset:636 ; 4-byte Folded Reload
	v_cndmask_b32_e64 v7, v14, v7, s[8:9]
	v_lshlrev_b32_e32 v26, 2, v7
	s_waitcnt lgkmcnt(0)
	ds_bpermute_b32 v7, v26, v6
	v_max_f32_e32 v6, v6, v6
	s_waitcnt lgkmcnt(0)
	v_max_f32_e32 v7, v7, v7
	v_max_f32_e32 v6, v6, v7
	v_lshlrev_b32_e32 v7, 2, v14
	v_and_b32_e32 v14, 0xffffff00, v7
	ds_bpermute_b32 v6, v14, v6
	s_waitcnt vmcnt(0)
	v_subrev_u32_e32 v13, s21, v13
	v_lshl_add_u32 v13, v13, 5, s23
	v_min_i32_e32 v13, v13, v62
	v_subrev_u32_e32 v7, s23, v13
	v_cmp_lt_i32_e64 s[8:9], v15, v7
	v_mov_b32_e32 v15, 0
	s_and_saveexec_b64 s[24:25], s[8:9]
	s_cbranch_execz .LBB253_597
; %bb.594:
	buffer_load_dword v17, off, s[0:3], s32 offset:1080 ; 4-byte Folded Reload
	s_ashr_i32 s19, s18, 31
	s_lshl_b64 s[10:11], s[18:19], 2
	s_getpc_b64 s[26:27]
	s_add_u32 s26, s26, llvm.amdgcn.dynlds.offset.table@rel32@lo+4
	s_addc_u32 s27, s27, llvm.amdgcn.dynlds.offset.table@rel32@hi+12
	s_add_u32 s10, s10, s26
	s_addc_u32 s11, s11, s27
	s_load_dword s10, s[10:11], 0x0
	s_mov_b64 s[26:27], 0
	v_mov_b32_e32 v15, 0
	s_waitcnt vmcnt(0) lgkmcnt(0)
	v_lshl_add_u32 v16, v17, 2, s10
.LBB253_595:                            ; =>This Inner Loop Header: Depth=1
	ds_read_b32 v18, v16
	v_add_u32_e32 v17, 0x80, v17
	v_cmp_ge_i32_e64 s[10:11], v17, v7
	s_or_b64 s[26:27], s[10:11], s[26:27]
	s_waitcnt lgkmcnt(0)
	v_sub_f32_e32 v18, v18, v6
	v_mul_f32_e32 v18, 0x3fb8aa3b, v18
	v_exp_f32_e32 v18, v18
	ds_write_b32 v16, v18
	v_add_f32_e32 v15, v15, v18
	v_add_u32_e32 v16, 0x200, v16
	s_andn2_b64 exec, exec, s[26:27]
	s_cbranch_execnz .LBB253_595
; %bb.596:
	s_or_b64 exec, exec, s[26:27]
.LBB253_597:
	s_or_b64 exec, exec, s[24:25]
	ds_bpermute_b32 v4, v4, v15
	s_waitcnt lgkmcnt(0)
	v_add_f32_e32 v4, v15, v4
	ds_bpermute_b32 v5, v5, v4
	s_waitcnt lgkmcnt(0)
	v_add_f32_e32 v4, v4, v5
	;; [unrolled: 3-line block ×6, first 2 shown]
	s_and_saveexec_b64 s[10:11], vcc
	s_cbranch_execz .LBB253_599
; %bb.598:
	ds_write_b32 v9, v4 offset:776
.LBB253_599:
	s_or_b64 exec, exec, s[10:11]
	s_waitcnt lgkmcnt(0)
	s_barrier
	s_and_saveexec_b64 s[10:11], s[6:7]
	s_cbranch_execz .LBB253_601
; %bb.600:
	ds_read_b32 v4, v12 offset:776
.LBB253_601:
	s_or_b64 exec, exec, s[10:11]
	s_waitcnt lgkmcnt(0)
	ds_bpermute_b32 v5, v26, v4
	s_waitcnt lgkmcnt(0)
	v_add_f32_e32 v4, v4, v5
	ds_bpermute_b32 v8, v14, v4
	s_and_saveexec_b64 s[6:7], s[8:9]
	s_cbranch_execz .LBB253_614
; %bb.602:
	s_waitcnt lgkmcnt(0)
	v_add_f32_e32 v4, 0x358637bd, v8
	v_div_scale_f32 v5, s[8:9], v4, v4, 1.0
	v_rcp_f32_e32 v9, v5
	v_div_scale_f32 v12, vcc, 1.0, v4, 1.0
	s_movk_i32 s8, 0x7f
	v_fma_f32 v14, -v5, v9, 1.0
	v_fmac_f32_e32 v9, v14, v9
	v_mul_f32_e32 v14, v12, v9
	v_fma_f32 v15, -v5, v14, v12
	v_fmac_f32_e32 v14, v15, v9
	v_fma_f32 v5, -v5, v14, v12
	buffer_load_dword v12, off, s[0:3], s32 offset:1080 ; 4-byte Folded Reload
	v_div_fmas_f32 v5, v5, v9, v14
	v_div_fixup_f32 v4, v5, v4, 1.0
	s_mov_b64 s[10:11], -1
	s_waitcnt vmcnt(0)
	v_xad_u32 v5, v12, -1, v13
	v_subrev_u32_e32 v9, s23, v5
	v_cmp_lt_u32_e32 vcc, s8, v9
	v_mov_b32_e32 v5, v12
	s_and_saveexec_b64 s[8:9], vcc
	s_cbranch_execz .LBB253_611
; %bb.603:
	v_lshrrev_b32_e32 v9, 7, v9
	v_add_u32_e32 v13, -1, v9
	v_lshrrev_b32_e32 v12, 1, v13
	v_mov_b32_e32 v5, v4
	v_add_u32_e32 v12, 1, v12
	v_cmp_lt_u32_e32 vcc, 13, v13
	v_mov_b32_e32 v15, 0
	s_and_saveexec_b64 s[10:11], vcc
	s_cbranch_execz .LBB253_607
; %bb.604:
	buffer_load_dword v14, off, s[0:3], s32 offset:1080 ; 4-byte Folded Reload
	s_ashr_i32 s19, s18, 31
	s_lshl_b64 s[24:25], s[18:19], 2
	s_getpc_b64 s[26:27]
	s_add_u32 s26, s26, llvm.amdgcn.dynlds.offset.table@rel32@lo+4
	s_addc_u32 s27, s27, llvm.amdgcn.dynlds.offset.table@rel32@hi+12
	s_add_u32 s24, s24, s26
	s_addc_u32 s25, s25, s27
	s_load_dword s21, s[24:25], 0x0
	v_and_b32_e32 v13, -8, v12
	s_mov_b32 s19, 0
	s_mov_b64 s[24:25], 0
	s_waitcnt vmcnt(0) lgkmcnt(0)
	v_lshl_add_u32 v14, v14, 2, s21
.LBB253_605:                            ; =>This Inner Loop Header: Depth=1
	ds_read2st64_b32 v[16:17], v14 offset1:2
	ds_read2st64_b32 v[18:19], v14 offset0:4 offset1:6
	ds_read2st64_b32 v[20:21], v14 offset0:8 offset1:10
	;; [unrolled: 1-line block ×3, first 2 shown]
	v_add_u32_e32 v13, -8, v13
	s_waitcnt lgkmcnt(3)
	v_pk_mul_f32 v[16:17], v[4:5], v[16:17]
	s_waitcnt lgkmcnt(2)
	v_pk_mul_f32 v[18:19], v[4:5], v[18:19]
	ds_write2st64_b32 v14, v16, v17 offset1:2
	ds_write2st64_b32 v14, v18, v19 offset0:4 offset1:6
	ds_read2st64_b32 v[18:19], v14 offset0:16 offset1:18
	s_waitcnt lgkmcnt(4)
	v_pk_mul_f32 v[16:17], v[4:5], v[20:21]
	ds_write2st64_b32 v14, v16, v17 offset0:8 offset1:10
	s_waitcnt lgkmcnt(4)
	v_pk_mul_f32 v[16:17], v[4:5], v[22:23]
	ds_write2st64_b32 v14, v16, v17 offset0:12 offset1:14
	ds_read2st64_b32 v[16:17], v14 offset0:20 offset1:22
	s_waitcnt lgkmcnt(3)
	v_pk_mul_f32 v[18:19], v[4:5], v[18:19]
	ds_read2st64_b32 v[20:21], v14 offset0:24 offset1:26
	ds_write2st64_b32 v14, v18, v19 offset0:16 offset1:18
	ds_read2st64_b32 v[18:19], v14 offset0:28 offset1:30
	s_waitcnt lgkmcnt(3)
	v_pk_mul_f32 v[16:17], v[4:5], v[16:17]
	ds_write2st64_b32 v14, v16, v17 offset0:20 offset1:22
	s_waitcnt lgkmcnt(3)
	v_pk_mul_f32 v[16:17], v[4:5], v[20:21]
	ds_write2st64_b32 v14, v16, v17 offset0:24 offset1:26
	s_waitcnt lgkmcnt(2)
	v_pk_mul_f32 v[16:17], v[4:5], v[18:19]
	s_add_i32 s19, s19, 16
	v_cmp_eq_u32_e32 vcc, 0, v13
	ds_write2st64_b32 v14, v16, v17 offset0:28 offset1:30
	v_add_u32_e32 v14, 0x2000, v14
	s_or_b64 s[24:25], vcc, s[24:25]
	v_mov_b32_e32 v15, s19
	s_andn2_b64 exec, exec, s[24:25]
	s_cbranch_execnz .LBB253_605
; %bb.606:
	s_or_b64 exec, exec, s[24:25]
.LBB253_607:
	s_or_b64 exec, exec, s[10:11]
	v_and_b32_e32 v12, 7, v12
	v_cmp_ne_u32_e32 vcc, 0, v12
	s_and_saveexec_b64 s[10:11], vcc
	s_cbranch_execz .LBB253_610
; %bb.608:
	buffer_load_dword v14, off, s[0:3], s32 offset:1136 ; 4-byte Folded Reload
	s_ashr_i32 s19, s18, 31
	s_lshl_b64 s[24:25], s[18:19], 2
	s_getpc_b64 s[26:27]
	s_add_u32 s26, s26, llvm.amdgcn.dynlds.offset.table@rel32@lo+4
	s_addc_u32 s27, s27, llvm.amdgcn.dynlds.offset.table@rel32@hi+12
	s_add_u32 s24, s24, s26
	s_addc_u32 s25, s25, s27
	s_load_dword s19, s[24:25], 0x0
	v_lshlrev_b32_e32 v13, 9, v15
	s_mov_b64 s[24:25], 0
	s_waitcnt vmcnt(0) lgkmcnt(0)
	v_add3_u32 v13, v13, v14, s19
.LBB253_609:                            ; =>This Inner Loop Header: Depth=1
	ds_read2st64_b32 v[14:15], v13 offset1:2
	v_add_u32_e32 v12, -1, v12
	v_cmp_eq_u32_e32 vcc, 0, v12
	s_or_b64 s[24:25], vcc, s[24:25]
	s_waitcnt lgkmcnt(0)
	v_pk_mul_f32 v[14:15], v[4:5], v[14:15]
	ds_write2st64_b32 v13, v14, v15 offset1:2
	v_add_u32_e32 v13, 0x400, v13
	s_andn2_b64 exec, exec, s[24:25]
	s_cbranch_execnz .LBB253_609
.LBB253_610:
	s_or_b64 exec, exec, s[10:11]
	buffer_load_dword v5, off, s[0:3], s32 offset:1080 ; 4-byte Folded Reload
	v_add_u32_e32 v9, 1, v9
	v_and_b32_e32 v12, 0x3fffffe, v9
	v_cmp_ne_u32_e32 vcc, v9, v12
	s_orn2_b64 s[10:11], vcc, exec
	s_waitcnt vmcnt(0)
	v_lshl_add_u32 v5, v12, 7, v5
.LBB253_611:
	s_or_b64 exec, exec, s[8:9]
	s_and_b64 exec, exec, s[10:11]
	s_cbranch_execz .LBB253_614
; %bb.612:
	s_ashr_i32 s19, s18, 31
	s_lshl_b64 s[8:9], s[18:19], 2
	s_getpc_b64 s[10:11]
	s_add_u32 s10, s10, llvm.amdgcn.dynlds.offset.table@rel32@lo+4
	s_addc_u32 s11, s11, llvm.amdgcn.dynlds.offset.table@rel32@hi+12
	s_add_u32 s8, s8, s10
	s_addc_u32 s9, s9, s11
	s_load_dword s8, s[8:9], 0x0
	s_waitcnt lgkmcnt(0)
	v_lshl_add_u32 v9, v5, 2, s8
	s_mov_b64 s[8:9], 0
.LBB253_613:                            ; =>This Inner Loop Header: Depth=1
	ds_read_b32 v12, v9
	v_add_u32_e32 v5, 0x80, v5
	v_cmp_ge_i32_e32 vcc, v5, v7
	s_or_b64 s[8:9], vcc, s[8:9]
	s_waitcnt lgkmcnt(0)
	v_mul_f32_e32 v12, v4, v12
	ds_write_b32 v9, v12
	v_add_u32_e32 v9, 0x200, v9
	s_andn2_b64 exec, exec, s[8:9]
	s_cbranch_execnz .LBB253_613
.LBB253_614:
	s_or_b64 exec, exec, s[6:7]
	s_waitcnt lgkmcnt(0)
	s_barrier
	buffer_load_dword v4, off, s[0:3], s32 offset:1080 ; 4-byte Folded Reload
	v_cmp_ne_u16_e64 s[6:7], s28, 0
	s_cmp_lg_u64 s[6:7], 0
	s_addc_u32 s21, s13, 0
	s_mul_i32 s6, s21, s22
	s_mul_i32 s6, s6, s15
	s_waitcnt vmcnt(0)
	v_cmp_eq_u32_e32 vcc, 0, v4
	s_and_saveexec_b64 s[8:9], vcc
	s_cbranch_execz .LBB253_616
; %bb.615:
	s_mul_i32 s12, s21, s12
	s_ashr_i32 s7, s6, 31
	s_ashr_i32 s13, s12, 31
	;; [unrolled: 1-line block ×3, first 2 shown]
	s_lshl_b64 s[10:11], s[6:7], 2
	s_lshl_b64 s[12:13], s[12:13], 2
	s_lshl_b64 s[24:25], s[14:15], 2
	s_add_u32 s7, s24, s12
	s_addc_u32 s12, s25, s13
	s_add_u32 s7, s7, s10
	s_addc_u32 s10, s12, s11
	v_mov_b32_e32 v4, s10
	v_add_co_u32_e32 v2, vcc, s7, v2
	v_addc_co_u32_e32 v3, vcc, v4, v3, vcc
	flat_store_dword v[2:3], v6
	v_mov_b32_e32 v2, s10
	v_add_co_u32_e32 v0, vcc, s7, v0
	v_addc_co_u32_e32 v1, vcc, v2, v1, vcc
	flat_store_dword v[0:1], v8
.LBB253_616:
	s_or_b64 exec, exec, s[8:9]
	buffer_load_dword v0, off, s[0:3], s32 offset:1080 ; 4-byte Folded Reload
	v_mov_b32_e32 v1, 0
	s_mov_b32 s10, 0
	v_mov_b32_e32 v32, 0
	v_mov_b32_e32 v33, 0
	;; [unrolled: 1-line block ×22, first 2 shown]
	s_waitcnt vmcnt(0)
	v_and_b32_e32 v0, 7, v0
	buffer_store_dword v0, off, s[0:3], s32 offset:356 ; 4-byte Folded Spill
	v_mov_b32_e32 v0, 0
	v_accvgpr_write_b32 a5, v1
	v_accvgpr_write_b32 a4, v0
	s_and_saveexec_b64 s[8:9], s[4:5]
	s_cbranch_execz .LBB253_1244
; %bb.617:
	buffer_store_dword v26, off, s[0:3], s32 offset:372 ; 4-byte Folded Spill
	buffer_store_dword v34, off, s[0:3], s32 offset:380 ; 4-byte Folded Spill
	buffer_load_dword v0, off, s[0:3], s32 offset:1112 ; 4-byte Folded Reload
	buffer_load_dword v1, off, s[0:3], s32 offset:1116 ; 4-byte Folded Reload
	v_mov_b32_e32 v6, 0
	v_mov_b32_e32 v7, 0
	v_accvgpr_write_b32 a4, v6
	v_accvgpr_write_b32 a5, v7
	v_mov_b32_e32 v7, 0
	v_mov_b32_e32 v6, 0
	v_accvgpr_write_b32 a17, v7
	v_accvgpr_write_b32 a16, v6
	;; [unrolled: 4-line block ×10, first 2 shown]
	s_ashr_i32 s19, s18, 31
	s_getpc_b64 s[4:5]
	s_add_u32 s4, s4, llvm.amdgcn.dynlds.offset.table@rel32@lo+4
	s_addc_u32 s5, s5, llvm.amdgcn.dynlds.offset.table@rel32@hi+12
	s_lshl_b64 s[24:25], s[18:19], 2
	s_add_u32 s4, s24, s4
	s_addc_u32 s5, s25, s5
	v_mov_b32_e32 v27, 0
	s_mov_b64 s[12:13], 0
	s_movk_i32 s7, 0x80
	s_movk_i32 s15, 0x7f
	s_brev_b32 s11, 1
	s_mov_b32 s30, 0xffffff
	v_bfrev_b32_e32 v30, 60
	v_mov_b32_e32 v51, 0
	v_mov_b32_e32 v50, 0
	;; [unrolled: 1-line block ×4, first 2 shown]
	s_waitcnt vmcnt(0)
	flat_load_dword v34, v[0:1]
	s_nop 0
	buffer_load_dword v1, off, s[0:3], s32 offset:1132 ; 4-byte Folded Reload
	buffer_load_dword v0, off, s[0:3], s32 offset:1136 ; 4-byte Folded Reload
	s_waitcnt vmcnt(0) lgkmcnt(0)
	v_mov_b32_e32 v35, v34
	v_add_co_u32_e32 v4, vcc, v10, v1
	buffer_load_dword v1, off, s[0:3], s32 offset:1128 ; 4-byte Folded Reload
	v_and_b32_e32 v10, 0xfc, v0
	v_and_b32_e32 v2, 28, v0
	v_or_b32_e32 v0, 0xf00, v0
	v_or_b32_e32 v6, 0x1000, v10
	v_accvgpr_write_b32 a38, v0
	v_accvgpr_write_b32 a20, v10
	s_waitcnt vmcnt(0)
	v_addc_co_u32_e32 v5, vcc, v11, v1, vcc
	buffer_store_dword v4, off, s[0:3], s32 offset:276 ; 4-byte Folded Spill
	s_nop 0
	buffer_store_dword v5, off, s[0:3], s32 offset:280 ; 4-byte Folded Spill
	buffer_load_dword v1, off, s[0:3], s32 offset:1140 ; 4-byte Folded Reload
	s_waitcnt vmcnt(0)
	v_add_u32_e32 v29, -1, v1
	buffer_load_dword v0, off, s[0:3], s32 offset:188 ; 4-byte Folded Reload
	buffer_load_dword v1, off, s[0:3], s32 offset:192 ; 4-byte Folded Reload
	;; [unrolled: 1-line block ×4, first 2 shown]
	s_nop 0
	buffer_store_dword v6, off, s[0:3], s32 offset:284 ; 4-byte Folded Spill
	s_nop 0
	buffer_store_dword v7, off, s[0:3], s32 offset:288 ; 4-byte Folded Spill
	v_or_b32_e32 v6, 0x1100, v10
	buffer_store_dword v6, off, s[0:3], s32 offset:292 ; 4-byte Folded Spill
	s_nop 0
	buffer_store_dword v7, off, s[0:3], s32 offset:296 ; 4-byte Folded Spill
	v_or_b32_e32 v6, 0x1200, v10
	s_waitcnt vmcnt(6)
	v_lshlrev_b64 v[0:1], 2, v[0:1]
	s_waitcnt vmcnt(5)
	v_lshl_add_u32 v3, v5, 5, s23
	s_waitcnt vmcnt(4)
	v_lshlrev_b32_e32 v4, 4, v4
	v_add3_u32 v28, v3, v2, 3
	v_lshl_or_b32 v2, v5, 7, v4
	v_or_b32_e32 v4, 0x1600, v10
	s_mov_b32 s23, 0x7f800001
	buffer_store_dword v6, off, s[0:3], s32 offset:300 ; 4-byte Folded Spill
	s_nop 0
	buffer_store_dword v7, off, s[0:3], s32 offset:304 ; 4-byte Folded Spill
	v_or_b32_e32 v6, 0x1300, v10
	buffer_store_dword v6, off, s[0:3], s32 offset:308 ; 4-byte Folded Spill
	s_nop 0
	buffer_store_dword v7, off, s[0:3], s32 offset:312 ; 4-byte Folded Spill
	buffer_load_dword v6, off, s[0:3], s32 offset:1120 ; 4-byte Folded Reload
	s_nop 0
	buffer_load_dword v7, off, s[0:3], s32 offset:1124 ; 4-byte Folded Reload
	s_waitcnt vmcnt(1)
	v_add_co_u32_e32 v0, vcc, v6, v0
	v_or_b32_e32 v6, 0x1400, v10
	s_waitcnt vmcnt(0)
	v_addc_co_u32_e32 v1, vcc, v7, v1, vcc
	buffer_store_dword v6, off, s[0:3], s32 offset:316 ; 4-byte Folded Spill
	s_nop 0
	buffer_store_dword v7, off, s[0:3], s32 offset:320 ; 4-byte Folded Spill
	v_or_b32_e32 v6, 0x1500, v10
	buffer_store_dword v6, off, s[0:3], s32 offset:324 ; 4-byte Folded Spill
	s_nop 0
	buffer_store_dword v7, off, s[0:3], s32 offset:328 ; 4-byte Folded Spill
	buffer_store_dword v4, off, s[0:3], s32 offset:332 ; 4-byte Folded Spill
	s_nop 0
	buffer_store_dword v5, off, s[0:3], s32 offset:336 ; 4-byte Folded Spill
	buffer_load_dword v3, off, s[0:3], s32 offset:1092 ; 4-byte Folded Reload
	s_load_dword s4, s[4:5], 0x0
	s_waitcnt vmcnt(0)
	v_add_co_u32_e32 v14, vcc, v3, v0
	buffer_load_dword v0, off, s[0:3], s32 offset:1088 ; 4-byte Folded Reload
	s_waitcnt vmcnt(0)
	v_addc_co_u32_e32 v15, vcc, v0, v1, vcc
	v_or_b32_e32 v0, 0x1700, v10
	buffer_store_dword v0, off, s[0:3], s32 offset:340 ; 4-byte Folded Spill
	s_nop 0
	buffer_store_dword v1, off, s[0:3], s32 offset:344 ; 4-byte Folded Spill
	s_waitcnt lgkmcnt(0)
	v_add_u32_e32 v1, s4, v2
	buffer_store_dword v29, off, s[0:3], s32 offset:348 ; 4-byte Folded Spill
	s_branch .LBB253_619
.LBB253_618:                            ;   in Loop: Header=BB253_619 Depth=1
	s_or_b64 exec, exec, s[4:5]
	v_mul_f32_e32 v9, v1, v9
	v_fmac_f32_e32 v9, v0, v8
	v_mul_f32_e32 v8, v1, v51
	v_fmac_f32_e32 v8, v0, v50
	buffer_load_dword v50, off, s[0:3], s32 offset:268 ; 4-byte Folded Reload
	buffer_load_dword v51, off, s[0:3], s32 offset:272 ; 4-byte Folded Reload
	v_fmac_f32_e32 v8, v2, v6
	v_fmac_f32_e32 v8, v3, v7
	v_mul_f32_e32 v7, v1, v37
	v_fmac_f32_e32 v7, v0, v36
	v_fmac_f32_e32 v7, v2, v10
	;; [unrolled: 1-line block ×3, first 2 shown]
	v_mul_f32_e32 v10, v1, v45
	v_mul_f32_e32 v11, v1, v41
	v_fmac_f32_e32 v10, v0, v44
	v_fmac_f32_e32 v11, v0, v40
	v_fmac_f32_e32 v10, v2, v46
	v_fmac_f32_e32 v11, v2, v42
	v_fmac_f32_e32 v10, v3, v47
	v_fmac_f32_e32 v11, v3, v43
	v_mul_f32_e32 v17, v1, v17
	v_fmac_f32_e32 v17, v0, v16
	v_fmac_f32_e32 v17, v2, v18
	;; [unrolled: 1-line block ×3, first 2 shown]
	v_mul_f32_e32 v5, v1, v5
	v_accvgpr_read_b32 v19, a1
	v_fmac_f32_e32 v5, v0, v4
	v_accvgpr_read_b32 v18, a0
	v_mul_f32_e32 v4, v1, v19
	v_fmac_f32_e32 v4, v0, v18
	v_accvgpr_read_b32 v18, a36
	v_accvgpr_read_b32 v19, a37
	v_fmac_f32_e32 v4, v2, v18
	v_fmac_f32_e32 v4, v3, v19
	v_accvgpr_read_b32 v18, a62
	v_fmac_f32_e32 v9, v2, v12
	v_accvgpr_read_b32 v19, a63
	v_fmac_f32_e32 v9, v3, v13
	v_mul_f32_e32 v13, v1, v19
	v_fmac_f32_e32 v13, v0, v18
	v_accvgpr_read_b32 v19, a3
	v_accvgpr_read_b32 v18, a2
	v_fmac_f32_e32 v13, v2, v18
	v_fmac_f32_e32 v13, v3, v19
	v_accvgpr_read_b32 v18, a58
	v_accvgpr_read_b32 v19, a59
	v_mul_f32_e32 v16, v1, v19
	v_mul_f32_e32 v6, v1, v57
	v_fmac_f32_e32 v16, v0, v18
	v_accvgpr_read_b32 v18, a60
	v_accvgpr_read_b32 v23, a9
	;; [unrolled: 1-line block ×3, first 2 shown]
	v_fmac_f32_e32 v6, v0, v56
	v_fmac_f32_e32 v16, v2, v18
	v_accvgpr_read_b32 v22, a8
	v_mul_f32_e32 v18, v1, v23
	v_accvgpr_read_b32 v38, a16
	v_fmac_f32_e32 v6, v2, v58
	v_mul_f32_e32 v12, v1, v61
	v_fmac_f32_e32 v18, v0, v22
	v_accvgpr_read_b32 v22, a56
	v_add_f32_e32 v39, v39, v9
	v_add_f32_e32 v38, v38, v8
	v_accvgpr_read_b32 v8, a18
	v_fmac_f32_e32 v6, v3, v59
	v_fmac_f32_e32 v12, v0, v60
	v_accvgpr_read_b32 v23, a57
	v_fmac_f32_e32 v18, v2, v22
	v_accvgpr_read_b32 v9, a19
	;; [unrolled: 2-line block ×4, first 2 shown]
	v_add_f32_e32 v9, v9, v6
	v_add_f32_e32 v8, v8, v7
	v_accvgpr_read_b32 v6, a22
	v_fmac_f32_e32 v12, v3, v55
	v_fmac_f32_e32 v5, v2, v52
	;; [unrolled: 1-line block ×3, first 2 shown]
	v_accvgpr_read_b32 v22, a14
	v_mul_f32_e32 v19, v1, v23
	v_accvgpr_read_b32 v7, a23
	v_fmac_f32_e32 v5, v3, v53
	v_fmac_f32_e32 v19, v0, v22
	v_accvgpr_read_b32 v23, a7
	s_waitcnt vmcnt(0)
	v_add_f32_e32 v51, v51, v10
	v_add_f32_e32 v50, v50, v11
	buffer_load_dword v10, off, s[0:3], s32 offset:260 ; 4-byte Folded Reload
	buffer_load_dword v11, off, s[0:3], s32 offset:264 ; 4-byte Folded Reload
	v_accvgpr_read_b32 v24, a54
	v_add_f32_e32 v7, v7, v12
	v_accvgpr_read_b32 v22, a6
	v_accvgpr_read_b32 v25, a55
	v_add_f32_e32 v6, v6, v5
	v_accvgpr_write_b32 a23, v7
	v_fmac_f32_e32 v19, v2, v22
	v_mul_f32_e32 v22, v1, v25
	v_accvgpr_write_b32 a22, v6
	v_accvgpr_read_b32 v6, a24
	v_fmac_f32_e32 v22, v0, v24
	v_accvgpr_read_b32 v25, a13
	v_accvgpr_read_b32 v7, a25
	;; [unrolled: 1-line block ×3, first 2 shown]
	v_add_f32_e32 v7, v7, v4
	v_accvgpr_read_b32 v4, a26
	v_fmac_f32_e32 v22, v2, v24
	v_accvgpr_read_b32 v5, a27
	v_fmac_f32_e32 v22, v3, v25
	v_accvgpr_read_b32 v24, a50
	v_add_f32_e32 v5, v5, v16
	v_accvgpr_read_b32 v25, a51
	v_add_f32_e32 v4, v4, v18
	v_accvgpr_write_b32 a27, v5
	v_fmac_f32_e32 v19, v3, v23
	v_mul_f32_e32 v23, v1, v25
	v_accvgpr_read_b32 v36, a46
	v_accvgpr_write_b32 a26, v4
	v_accvgpr_read_b32 v4, a28
	v_fmac_f32_e32 v23, v0, v24
	v_accvgpr_read_b32 v24, a52
	v_accvgpr_read_b32 v37, a47
	v_accvgpr_read_b32 v5, a29
	v_fmac_f32_e32 v23, v2, v24
	v_mul_f32_e32 v24, v1, v37
	v_add_f32_e32 v5, v5, v19
	v_fmac_f32_e32 v24, v0, v36
	v_accvgpr_read_b32 v36, a48
	v_add_f32_e32 v4, v4, v22
	v_accvgpr_write_b32 a29, v5
	v_accvgpr_read_b32 v25, a53
	v_accvgpr_read_b32 v37, a49
	v_fmac_f32_e32 v24, v2, v36
	v_accvgpr_write_b32 a28, v4
	v_accvgpr_read_b32 v4, a30
	v_fmac_f32_e32 v23, v3, v25
	v_fmac_f32_e32 v24, v3, v37
	v_accvgpr_read_b32 v36, a42
	v_accvgpr_read_b32 v5, a31
	;; [unrolled: 1-line block ×3, first 2 shown]
	v_add_f32_e32 v5, v5, v23
	v_mul_f32_e32 v25, v1, v37
	v_add_f32_e32 v4, v4, v24
	v_accvgpr_write_b32 a31, v5
	v_fmac_f32_e32 v25, v0, v36
	v_accvgpr_read_b32 v36, a44
	v_add_f32_e32 v6, v6, v13
	v_accvgpr_write_b32 a25, v7
	v_accvgpr_write_b32 a30, v4
	v_accvgpr_read_b32 v37, a45
	v_fmac_f32_e32 v25, v2, v36
	v_accvgpr_write_b32 a24, v6
	v_accvgpr_read_b32 v6, a32
	v_fmac_f32_e32 v25, v3, v37
	v_accvgpr_read_b32 v7, a33
	v_add_f32_e32 v7, v7, v25
	v_accvgpr_read_b32 v37, a5
	v_accvgpr_read_b32 v36, a4
	v_add_co_u32_e32 v14, vcc, 8, v14
	v_add_f32_e32 v36, v36, v17
	v_addc_co_u32_e32 v15, vcc, 0, v15, vcc
	v_accvgpr_write_b32 a16, v38
	v_accvgpr_write_b32 a19, v9
	;; [unrolled: 1-line block ×4, first 2 shown]
	v_add_u32_e32 v28, 64, v28
	s_waitcnt vmcnt(0)
	v_mul_f32_e32 v4, v1, v11
	v_fmac_f32_e32 v4, v0, v10
	v_accvgpr_read_b32 v10, a40
	v_accvgpr_read_b32 v11, a41
	v_fmac_f32_e32 v4, v2, v10
	v_fmac_f32_e32 v4, v3, v11
	v_add_f32_e32 v6, v6, v4
	v_accvgpr_write_b32 a33, v7
	v_accvgpr_write_b32 a32, v6
	buffer_load_dword v6, off, s[0:3], s32 offset:244 ; 4-byte Folded Reload
	buffer_load_dword v7, off, s[0:3], s32 offset:248 ; 4-byte Folded Reload
	s_waitcnt vmcnt(0)
	v_mul_f32_e32 v4, v1, v7
	v_fmac_f32_e32 v4, v0, v6
	buffer_load_dword v6, off, s[0:3], s32 offset:252 ; 4-byte Folded Reload
	buffer_load_dword v7, off, s[0:3], s32 offset:256 ; 4-byte Folded Reload
	;; [unrolled: 1-line block ×4, first 2 shown]
	s_waitcnt vmcnt(3)
	v_fmac_f32_e32 v4, v2, v6
	s_waitcnt vmcnt(2)
	v_fmac_f32_e32 v4, v3, v7
	v_accvgpr_read_b32 v6, a34
	v_accvgpr_read_b32 v7, a35
	v_add_f32_e32 v7, v7, v4
	s_waitcnt vmcnt(0)
	v_mul_f32_e32 v4, v1, v11
	v_fmac_f32_e32 v4, v0, v10
	buffer_load_dword v10, off, s[0:3], s32 offset:236 ; 4-byte Folded Reload
	buffer_load_dword v11, off, s[0:3], s32 offset:240 ; 4-byte Folded Reload
	s_waitcnt vmcnt(1)
	v_fmac_f32_e32 v4, v2, v10
	s_waitcnt vmcnt(0)
	v_fmac_f32_e32 v4, v3, v11
	v_add_f32_e32 v6, v6, v4
	v_accvgpr_write_b32 a35, v7
	v_accvgpr_write_b32 a34, v6
	buffer_load_dword v6, off, s[0:3], s32 offset:212 ; 4-byte Folded Reload
	buffer_load_dword v7, off, s[0:3], s32 offset:216 ; 4-byte Folded Reload
	s_waitcnt vmcnt(0)
	v_mul_f32_e32 v4, v1, v7
	v_fmac_f32_e32 v4, v0, v6
	buffer_load_dword v6, off, s[0:3], s32 offset:220 ; 4-byte Folded Reload
	buffer_load_dword v7, off, s[0:3], s32 offset:224 ; 4-byte Folded Reload
	s_waitcnt vmcnt(1)
	v_fmac_f32_e32 v4, v2, v6
	s_waitcnt vmcnt(0)
	v_fmac_f32_e32 v4, v3, v7
	buffer_load_dword v6, off, s[0:3], s32 offset:196 ; 4-byte Folded Reload
	buffer_load_dword v7, off, s[0:3], s32 offset:200 ; 4-byte Folded Reload
	v_add_f32_e32 v33, v33, v4
	s_waitcnt vmcnt(0)
	v_mul_f32_e32 v4, v1, v7
	v_fmac_f32_e32 v4, v0, v6
	buffer_load_dword v6, off, s[0:3], s32 offset:204 ; 4-byte Folded Reload
	buffer_load_dword v7, off, s[0:3], s32 offset:208 ; 4-byte Folded Reload
	v_mul_f32_e32 v1, v1, v49
	v_fmac_f32_e32 v1, v0, v48
	v_fmac_f32_e32 v1, v2, v20
	;; [unrolled: 1-line block ×3, first 2 shown]
	v_add_f32_e32 v37, v37, v1
	v_accvgpr_write_b32 a4, v36
	v_accvgpr_write_b32 a5, v37
	s_waitcnt vmcnt(1)
	v_fmac_f32_e32 v4, v2, v6
	s_waitcnt vmcnt(0)
	v_fmac_f32_e32 v4, v3, v7
	buffer_load_dword v2, off, s[0:3], s32 offset:188 ; 4-byte Folded Reload
	buffer_load_dword v3, off, s[0:3], s32 offset:192 ; 4-byte Folded Reload
	v_add_f32_e32 v32, v32, v4
	s_waitcnt vmcnt(1)
	v_add_u32_e32 v2, 2, v2
	v_mov_b32_e32 v0, v2
	buffer_store_dword v0, off, s[0:3], s32 offset:188 ; 4-byte Folded Spill
	s_nop 0
	buffer_store_dword v1, off, s[0:3], s32 offset:192 ; 4-byte Folded Spill
	buffer_load_dword v0, off, s[0:3], s32 offset:636 ; 4-byte Folded Reload
	v_accvgpr_read_b32 v1, a11
	v_add_u32_e32 v1, 0x100, v1
	s_waitcnt vmcnt(0)
	v_cmp_ge_i32_e32 vcc, v2, v0
	s_or_b64 s[12:13], vcc, s[12:13]
	s_andn2_b64 exec, exec, s[12:13]
	s_cbranch_execz .LBB253_1243
.LBB253_619:                            ; =>This Inner Loop Header: Depth=1
	buffer_store_dword v50, off, s[0:3], s32 offset:268 ; 4-byte Folded Spill
	s_nop 0
	buffer_store_dword v51, off, s[0:3], s32 offset:272 ; 4-byte Folded Spill
	flat_load_dword v0, v[14:15]
	buffer_load_dword v2, off, s[0:3], s32 offset:628 ; 4-byte Folded Reload
	buffer_load_dword v3, off, s[0:3], s32 offset:632 ; 4-byte Folded Reload
	;; [unrolled: 1-line block ×4, first 2 shown]
	v_accvgpr_write_b32 a11, v1
	v_pk_mov_b32 v[10:11], 0, 0
	v_pk_mov_b32 v[8:9], v[10:11], v[10:11] op_sel:[0,1]
	s_waitcnt vmcnt(0) lgkmcnt(0)
	v_mad_i64_i32 v[48:49], s[4:5], v0, v2, v[4:5]
	v_accvgpr_read_b32 v0, a20
	v_add_co_u32_e32 v4, vcc, v48, v0
	v_addc_co_u32_e32 v5, vcc, 0, v49, vcc
	flat_load_dword v6, v[4:5]
	ds_read_b128 v[0:3], v1
	s_waitcnt vmcnt(0) lgkmcnt(0)
	v_cmp_ne_u16_sdwa s[24:25], v6, v27 src0_sel:BYTE_0 src1_sel:DWORD
	s_and_saveexec_b64 s[4:5], s[24:25]
	s_cbranch_execz .LBB253_625
; %bb.620:                              ;   in Loop: Header=BB253_619 Depth=1
	v_bfrev_b32_e32 v8, 1
	v_cmp_ne_u16_sdwa s[26:27], v6, s7 src0_sel:BYTE_0 src1_sel:DWORD
	v_mov_b32_e32 v9, 0
	s_and_saveexec_b64 s[24:25], s[26:27]
	s_cbranch_execz .LBB253_624
; %bb.621:                              ;   in Loop: Header=BB253_619 Depth=1
	v_and_b32_e32 v7, 0x7f, v6
	v_mov_b32_e32 v8, 0x7f800001
	v_cmp_ne_u32_e32 vcc, s15, v7
	v_mov_b32_e32 v9, 0
	s_and_saveexec_b64 s[26:27], vcc
	s_cbranch_execz .LBB253_623
; %bb.622:                              ;   in Loop: Header=BB253_619 Depth=1
	v_and_b32_e32 v12, 7, v6
	v_ffbh_u32_e32 v8, v12
	v_min_u32_e32 v16, 32, v8
	v_subrev_u32_e32 v8, 28, v16
	v_lshlrev_b64 v[8:9], v8, v[6:7]
	v_lshrrev_b32_e32 v13, 3, v7
	v_sub_u32_e32 v9, 29, v16
	v_and_b32_e32 v8, 7, v8
	v_cmp_gt_u32_e32 vcc, 8, v7
	v_cndmask_b32_e32 v7, v13, v9, vcc
	v_cndmask_b32_e32 v8, v12, v8, vcc
	v_lshlrev_b32_e32 v8, 20, v8
	v_and_b32_sdwa v9, sext(v6), s11 dst_sel:DWORD dst_unused:UNUSED_PAD src0_sel:BYTE_0 src1_sel:DWORD
	v_lshl_add_u32 v7, v7, 23, v30
	v_or3_b32 v26, v9, v7, v8
	v_pk_mov_b32 v[8:9], v[26:27], v[26:27] op_sel:[0,1]
.LBB253_623:                            ;   in Loop: Header=BB253_619 Depth=1
	s_or_b64 exec, exec, s[26:27]
.LBB253_624:                            ;   in Loop: Header=BB253_619 Depth=1
	s_or_b64 exec, exec, s[24:25]
.LBB253_625:                            ;   in Loop: Header=BB253_619 Depth=1
	s_or_b64 exec, exec, s[4:5]
	v_cmp_ne_u16_sdwa s[24:25], v6, v27 src0_sel:BYTE_1 src1_sel:DWORD
	s_and_saveexec_b64 s[4:5], s[24:25]
	s_cbranch_execz .LBB253_631
; %bb.626:                              ;   in Loop: Header=BB253_619 Depth=1
	v_cmp_ne_u16_sdwa s[26:27], v6, s7 src0_sel:BYTE_1 src1_sel:DWORD
	v_pk_mov_b32 v[10:11], s[10:11], s[10:11] op_sel:[0,1]
	s_and_saveexec_b64 s[24:25], s[26:27]
	s_cbranch_execz .LBB253_630
; %bb.627:                              ;   in Loop: Header=BB253_619 Depth=1
	v_and_b32_sdwa v7, v6, s15 dst_sel:DWORD dst_unused:UNUSED_PAD src0_sel:BYTE_1 src1_sel:DWORD
	s_mov_b32 s22, s10
	v_cmp_ne_u32_e32 vcc, s15, v7
	v_pk_mov_b32 v[10:11], s[22:23], s[22:23] op_sel:[0,1]
	s_and_saveexec_b64 s[26:27], vcc
	s_cbranch_execz .LBB253_629
; %bb.628:                              ;   in Loop: Header=BB253_619 Depth=1
	v_mov_b32_e32 v10, 7
	v_and_b32_sdwa v26, v6, v10 dst_sel:DWORD dst_unused:UNUSED_PAD src0_sel:BYTE_1 src1_sel:DWORD
	v_ffbh_u32_e32 v10, v26
	v_min_u32_e32 v13, 32, v10
	v_subrev_u32_e32 v10, 28, v13
	v_lshlrev_b64 v[10:11], v10, v[26:27]
	v_lshrrev_b32_e32 v12, 3, v7
	v_sub_u32_e32 v11, 29, v13
	v_cmp_gt_u32_e32 vcc, 8, v7
	v_and_b32_e32 v10, 7, v10
	v_cndmask_b32_e32 v7, v12, v11, vcc
	v_cndmask_b32_e32 v10, v26, v10, vcc
	v_lshlrev_b32_e32 v11, 16, v6
	v_lshl_add_u32 v7, v7, 23, v30
	v_and_or_b32 v7, v11, s11, v7
	v_lshlrev_b32_e32 v10, 20, v10
	v_or_b32_e32 v11, v7, v10
	v_mov_b32_e32 v10, v27
.LBB253_629:                            ;   in Loop: Header=BB253_619 Depth=1
	s_or_b64 exec, exec, s[26:27]
.LBB253_630:                            ;   in Loop: Header=BB253_619 Depth=1
	s_or_b64 exec, exec, s[24:25]
.LBB253_631:                            ;   in Loop: Header=BB253_619 Depth=1
	s_or_b64 exec, exec, s[4:5]
	v_lshrrev_b32_e32 v18, 16, v6
	v_pk_mov_b32 v[16:17], 0, 0
	v_cmp_ne_u16_sdwa s[24:25], v18, v27 src0_sel:BYTE_0 src1_sel:DWORD
	v_pk_mov_b32 v[12:13], v[16:17], v[16:17] op_sel:[0,1]
	s_and_saveexec_b64 s[4:5], s[24:25]
	s_cbranch_execz .LBB253_637
; %bb.632:                              ;   in Loop: Header=BB253_619 Depth=1
	v_bfrev_b32_e32 v12, 1
	v_cmp_ne_u16_sdwa s[26:27], v18, s7 src0_sel:BYTE_0 src1_sel:DWORD
	v_mov_b32_e32 v13, 0
	s_and_saveexec_b64 s[24:25], s[26:27]
	s_cbranch_execz .LBB253_636
; %bb.633:                              ;   in Loop: Header=BB253_619 Depth=1
	v_bfe_u32 v7, v6, 16, 7
	v_mov_b32_e32 v12, 0x7f800001
	v_cmp_ne_u32_e32 vcc, s15, v7
	v_mov_b32_e32 v13, 0
	s_and_saveexec_b64 s[26:27], vcc
	s_cbranch_execz .LBB253_635
; %bb.634:                              ;   in Loop: Header=BB253_619 Depth=1
	v_and_b32_e32 v19, 7, v18
	v_ffbh_u32_e32 v12, v19
	v_min_u32_e32 v21, 32, v12
	v_subrev_u32_e32 v12, 28, v21
	v_lshlrev_b64 v[12:13], v12, v[18:19]
	v_lshrrev_b32_e32 v20, 3, v7
	v_sub_u32_e32 v13, 29, v21
	v_and_b32_e32 v12, 7, v12
	v_cmp_gt_u32_e32 vcc, 8, v7
	v_cndmask_b32_e32 v7, v20, v13, vcc
	v_cndmask_b32_e32 v12, v19, v12, vcc
	v_lshlrev_b32_e32 v12, 20, v12
	v_and_b32_sdwa v13, sext(v18), s11 dst_sel:DWORD dst_unused:UNUSED_PAD src0_sel:BYTE_0 src1_sel:DWORD
	v_lshl_add_u32 v7, v7, 23, v30
	v_or3_b32 v26, v13, v7, v12
	v_pk_mov_b32 v[12:13], v[26:27], v[26:27] op_sel:[0,1]
.LBB253_635:                            ;   in Loop: Header=BB253_619 Depth=1
	s_or_b64 exec, exec, s[26:27]
.LBB253_636:                            ;   in Loop: Header=BB253_619 Depth=1
	s_or_b64 exec, exec, s[24:25]
.LBB253_637:                            ;   in Loop: Header=BB253_619 Depth=1
	s_or_b64 exec, exec, s[4:5]
	v_cmp_lt_u32_e32 vcc, s30, v6
	s_and_saveexec_b64 s[4:5], vcc
	s_cbranch_execz .LBB253_643
; %bb.638:                              ;   in Loop: Header=BB253_619 Depth=1
	v_cmp_ne_u32_sdwa s[26:27], v6, s7 src0_sel:BYTE_3 src1_sel:DWORD
	v_pk_mov_b32 v[16:17], s[10:11], s[10:11] op_sel:[0,1]
	s_and_saveexec_b64 s[24:25], s[26:27]
	s_cbranch_execz .LBB253_642
; %bb.639:                              ;   in Loop: Header=BB253_619 Depth=1
	v_bfe_u32 v7, v6, 24, 7
	s_mov_b32 s22, s10
	v_cmp_ne_u32_e32 vcc, s15, v7
	v_pk_mov_b32 v[16:17], s[22:23], s[22:23] op_sel:[0,1]
	s_and_saveexec_b64 s[26:27], vcc
	s_cbranch_execz .LBB253_641
; %bb.640:                              ;   in Loop: Header=BB253_619 Depth=1
	v_mov_b32_e32 v16, 7
	v_and_b32_sdwa v26, v6, v16 dst_sel:DWORD dst_unused:UNUSED_PAD src0_sel:BYTE_3 src1_sel:DWORD
	v_ffbh_u32_e32 v16, v26
	v_min_u32_e32 v19, 32, v16
	v_subrev_u32_e32 v16, 28, v19
	v_lshlrev_b64 v[16:17], v16, v[26:27]
	v_lshrrev_b32_e32 v18, 3, v7
	v_sub_u32_e32 v17, 29, v19
	v_cmp_gt_u32_e32 vcc, 8, v7
	v_and_b32_e32 v16, 7, v16
	v_cndmask_b32_e32 v7, v18, v17, vcc
	v_mov_b32_e32 v17, 24
	v_cndmask_b32_e32 v16, v26, v16, vcc
	v_lshlrev_b32_sdwa v6, v17, v6 dst_sel:DWORD dst_unused:UNUSED_PAD src0_sel:DWORD src1_sel:BYTE_3
	v_lshl_add_u32 v7, v7, 23, v30
	v_and_or_b32 v6, v6, s11, v7
	v_lshlrev_b32_e32 v7, 20, v16
	v_or_b32_e32 v17, v6, v7
	v_mov_b32_e32 v16, v27
.LBB253_641:                            ;   in Loop: Header=BB253_619 Depth=1
	s_or_b64 exec, exec, s[26:27]
.LBB253_642:                            ;   in Loop: Header=BB253_619 Depth=1
	s_or_b64 exec, exec, s[24:25]
.LBB253_643:                            ;   in Loop: Header=BB253_619 Depth=1
	s_or_b64 exec, exec, s[4:5]
	v_add_u32_e32 v6, -3, v28
	v_accvgpr_write_b32 a10, v6
	buffer_load_dword v6, off, s[0:3], s32 offset:188 ; 4-byte Folded Reload
	buffer_load_dword v7, off, s[0:3], s32 offset:192 ; 4-byte Folded Reload
	s_waitcnt vmcnt(0)
	v_or_b32_e32 v7, v11, v9
	v_cmp_eq_u32_e32 vcc, v29, v6
	v_or_b32_e32 v6, v10, v8
	v_pk_mul_f32 v[6:7], v[34:35], v[6:7]
	buffer_store_dword v6, off, s[0:3], s32 offset:196 ; 4-byte Folded Spill
	s_nop 0
	buffer_store_dword v7, off, s[0:3], s32 offset:200 ; 4-byte Folded Spill
	v_or_b32_e32 v7, v17, v13
	v_or_b32_e32 v6, v16, v12
	v_pk_mul_f32 v[6:7], v[34:35], v[6:7]
	buffer_store_dword v6, off, s[0:3], s32 offset:204 ; 4-byte Folded Spill
	s_nop 0
	buffer_store_dword v7, off, s[0:3], s32 offset:208 ; 4-byte Folded Spill
	v_add_u32_e32 v6, -2, v28
	v_accvgpr_write_b32 a39, v6
	v_add_u32_e32 v6, -1, v28
	v_accvgpr_write_b32 a21, v6
	s_and_saveexec_b64 s[24:25], vcc
	s_cbranch_execz .LBB253_645
; %bb.644:                              ;   in Loop: Header=BB253_619 Depth=1
	v_accvgpr_read_b32 v6, a10
	v_cmp_lt_i32_e64 s[4:5], v6, v62
	buffer_load_dword v6, off, s[0:3], s32 offset:196 ; 4-byte Folded Reload
	buffer_load_dword v7, off, s[0:3], s32 offset:200 ; 4-byte Folded Reload
	v_accvgpr_read_b32 v8, a39
	s_waitcnt vmcnt(1)
	v_cndmask_b32_e64 v6, 0, v6, s[4:5]
	v_cmp_lt_i32_e64 s[4:5], v8, v62
	s_waitcnt vmcnt(0)
	v_cndmask_b32_e64 v7, 0, v7, s[4:5]
	buffer_store_dword v6, off, s[0:3], s32 offset:196 ; 4-byte Folded Spill
	s_nop 0
	buffer_store_dword v7, off, s[0:3], s32 offset:200 ; 4-byte Folded Spill
	v_accvgpr_read_b32 v6, a21
	v_cmp_lt_i32_e64 s[4:5], v6, v62
	buffer_load_dword v6, off, s[0:3], s32 offset:204 ; 4-byte Folded Reload
	buffer_load_dword v7, off, s[0:3], s32 offset:208 ; 4-byte Folded Reload
	s_waitcnt vmcnt(1)
	v_cndmask_b32_e64 v6, 0, v6, s[4:5]
	v_cmp_lt_i32_e64 s[4:5], v28, v62
	s_waitcnt vmcnt(0)
	v_cndmask_b32_e64 v7, 0, v7, s[4:5]
	buffer_store_dword v6, off, s[0:3], s32 offset:204 ; 4-byte Folded Spill
	s_nop 0
	buffer_store_dword v7, off, s[0:3], s32 offset:208 ; 4-byte Folded Spill
.LBB253_645:                            ;   in Loop: Header=BB253_619 Depth=1
	s_or_b64 exec, exec, s[24:25]
	flat_load_dword v6, v[4:5] offset:256
	v_pk_mov_b32 v[10:11], 0, 0
	v_pk_mov_b32 v[8:9], v[10:11], v[10:11] op_sel:[0,1]
	s_waitcnt vmcnt(0) lgkmcnt(0)
	v_cmp_ne_u16_sdwa s[4:5], v6, v27 src0_sel:BYTE_0 src1_sel:DWORD
	s_and_saveexec_b64 s[24:25], s[4:5]
	s_cbranch_execz .LBB253_651
; %bb.646:                              ;   in Loop: Header=BB253_619 Depth=1
	v_bfrev_b32_e32 v8, 1
	v_cmp_ne_u16_sdwa s[4:5], v6, s7 src0_sel:BYTE_0 src1_sel:DWORD
	v_mov_b32_e32 v9, 0
	s_and_saveexec_b64 s[26:27], s[4:5]
	s_cbranch_execz .LBB253_650
; %bb.647:                              ;   in Loop: Header=BB253_619 Depth=1
	v_and_b32_e32 v7, 0x7f, v6
	v_mov_b32_e32 v8, 0x7f800001
	v_cmp_ne_u32_e64 s[4:5], s15, v7
	v_mov_b32_e32 v9, 0
	s_and_saveexec_b64 s[28:29], s[4:5]
	s_cbranch_execz .LBB253_649
; %bb.648:                              ;   in Loop: Header=BB253_619 Depth=1
	v_and_b32_e32 v12, 7, v6
	v_ffbh_u32_e32 v8, v12
	v_min_u32_e32 v16, 32, v8
	v_subrev_u32_e32 v8, 28, v16
	v_lshlrev_b64 v[8:9], v8, v[6:7]
	v_lshrrev_b32_e32 v13, 3, v7
	v_sub_u32_e32 v9, 29, v16
	v_and_b32_e32 v8, 7, v8
	v_cmp_gt_u32_e64 s[4:5], 8, v7
	v_cndmask_b32_e64 v7, v13, v9, s[4:5]
	v_cndmask_b32_e64 v8, v12, v8, s[4:5]
	v_lshlrev_b32_e32 v8, 20, v8
	v_and_b32_sdwa v9, sext(v6), s11 dst_sel:DWORD dst_unused:UNUSED_PAD src0_sel:BYTE_0 src1_sel:DWORD
	v_lshl_add_u32 v7, v7, 23, v30
	v_or3_b32 v26, v9, v7, v8
	v_pk_mov_b32 v[8:9], v[26:27], v[26:27] op_sel:[0,1]
.LBB253_649:                            ;   in Loop: Header=BB253_619 Depth=1
	s_or_b64 exec, exec, s[28:29]
.LBB253_650:                            ;   in Loop: Header=BB253_619 Depth=1
	s_or_b64 exec, exec, s[26:27]
.LBB253_651:                            ;   in Loop: Header=BB253_619 Depth=1
	s_or_b64 exec, exec, s[24:25]
	v_cmp_ne_u16_sdwa s[4:5], v6, v27 src0_sel:BYTE_1 src1_sel:DWORD
	s_and_saveexec_b64 s[24:25], s[4:5]
	s_cbranch_execz .LBB253_657
; %bb.652:                              ;   in Loop: Header=BB253_619 Depth=1
	v_cmp_ne_u16_sdwa s[4:5], v6, s7 src0_sel:BYTE_1 src1_sel:DWORD
	v_pk_mov_b32 v[10:11], s[10:11], s[10:11] op_sel:[0,1]
	s_and_saveexec_b64 s[26:27], s[4:5]
	s_cbranch_execz .LBB253_656
; %bb.653:                              ;   in Loop: Header=BB253_619 Depth=1
	v_and_b32_sdwa v7, v6, s15 dst_sel:DWORD dst_unused:UNUSED_PAD src0_sel:BYTE_1 src1_sel:DWORD
	s_mov_b32 s22, s10
	v_cmp_ne_u32_e64 s[4:5], s15, v7
	v_pk_mov_b32 v[10:11], s[22:23], s[22:23] op_sel:[0,1]
	s_and_saveexec_b64 s[28:29], s[4:5]
	s_cbranch_execz .LBB253_655
; %bb.654:                              ;   in Loop: Header=BB253_619 Depth=1
	v_mov_b32_e32 v10, 7
	v_and_b32_sdwa v26, v6, v10 dst_sel:DWORD dst_unused:UNUSED_PAD src0_sel:BYTE_1 src1_sel:DWORD
	v_ffbh_u32_e32 v10, v26
	v_min_u32_e32 v13, 32, v10
	v_subrev_u32_e32 v10, 28, v13
	v_lshlrev_b64 v[10:11], v10, v[26:27]
	v_lshrrev_b32_e32 v12, 3, v7
	v_sub_u32_e32 v11, 29, v13
	v_cmp_gt_u32_e64 s[4:5], 8, v7
	v_and_b32_e32 v10, 7, v10
	v_cndmask_b32_e64 v7, v12, v11, s[4:5]
	v_cndmask_b32_e64 v10, v26, v10, s[4:5]
	v_lshlrev_b32_e32 v11, 16, v6
	v_lshl_add_u32 v7, v7, 23, v30
	v_and_or_b32 v7, v11, s11, v7
	v_lshlrev_b32_e32 v10, 20, v10
	v_or_b32_e32 v11, v7, v10
	v_mov_b32_e32 v10, v27
.LBB253_655:                            ;   in Loop: Header=BB253_619 Depth=1
	s_or_b64 exec, exec, s[28:29]
.LBB253_656:                            ;   in Loop: Header=BB253_619 Depth=1
	s_or_b64 exec, exec, s[26:27]
.LBB253_657:                            ;   in Loop: Header=BB253_619 Depth=1
	s_or_b64 exec, exec, s[24:25]
	v_lshrrev_b32_e32 v18, 16, v6
	v_pk_mov_b32 v[16:17], 0, 0
	v_cmp_ne_u16_sdwa s[4:5], v18, v27 src0_sel:BYTE_0 src1_sel:DWORD
	v_pk_mov_b32 v[12:13], v[16:17], v[16:17] op_sel:[0,1]
	s_and_saveexec_b64 s[24:25], s[4:5]
	s_cbranch_execz .LBB253_663
; %bb.658:                              ;   in Loop: Header=BB253_619 Depth=1
	v_bfrev_b32_e32 v12, 1
	v_cmp_ne_u16_sdwa s[4:5], v18, s7 src0_sel:BYTE_0 src1_sel:DWORD
	v_mov_b32_e32 v13, 0
	s_and_saveexec_b64 s[26:27], s[4:5]
	s_cbranch_execz .LBB253_662
; %bb.659:                              ;   in Loop: Header=BB253_619 Depth=1
	v_bfe_u32 v7, v6, 16, 7
	v_mov_b32_e32 v12, 0x7f800001
	v_cmp_ne_u32_e64 s[4:5], s15, v7
	v_mov_b32_e32 v13, 0
	s_and_saveexec_b64 s[28:29], s[4:5]
	s_cbranch_execz .LBB253_661
; %bb.660:                              ;   in Loop: Header=BB253_619 Depth=1
	v_and_b32_e32 v19, 7, v18
	v_ffbh_u32_e32 v12, v19
	v_min_u32_e32 v21, 32, v12
	v_subrev_u32_e32 v12, 28, v21
	v_lshlrev_b64 v[12:13], v12, v[18:19]
	v_lshrrev_b32_e32 v20, 3, v7
	v_sub_u32_e32 v13, 29, v21
	v_and_b32_e32 v12, 7, v12
	v_cmp_gt_u32_e64 s[4:5], 8, v7
	v_cndmask_b32_e64 v7, v20, v13, s[4:5]
	v_cndmask_b32_e64 v12, v19, v12, s[4:5]
	v_lshlrev_b32_e32 v12, 20, v12
	v_and_b32_sdwa v13, sext(v18), s11 dst_sel:DWORD dst_unused:UNUSED_PAD src0_sel:BYTE_0 src1_sel:DWORD
	v_lshl_add_u32 v7, v7, 23, v30
	v_or3_b32 v26, v13, v7, v12
	v_pk_mov_b32 v[12:13], v[26:27], v[26:27] op_sel:[0,1]
.LBB253_661:                            ;   in Loop: Header=BB253_619 Depth=1
	s_or_b64 exec, exec, s[28:29]
.LBB253_662:                            ;   in Loop: Header=BB253_619 Depth=1
	s_or_b64 exec, exec, s[26:27]
.LBB253_663:                            ;   in Loop: Header=BB253_619 Depth=1
	s_or_b64 exec, exec, s[24:25]
	v_cmp_lt_u32_e64 s[4:5], s30, v6
	s_and_saveexec_b64 s[24:25], s[4:5]
	s_cbranch_execz .LBB253_669
; %bb.664:                              ;   in Loop: Header=BB253_619 Depth=1
	v_cmp_ne_u32_sdwa s[4:5], v6, s7 src0_sel:BYTE_3 src1_sel:DWORD
	v_pk_mov_b32 v[16:17], s[10:11], s[10:11] op_sel:[0,1]
	s_and_saveexec_b64 s[26:27], s[4:5]
	s_cbranch_execz .LBB253_668
; %bb.665:                              ;   in Loop: Header=BB253_619 Depth=1
	v_bfe_u32 v7, v6, 24, 7
	s_mov_b32 s22, s10
	v_cmp_ne_u32_e64 s[4:5], s15, v7
	v_pk_mov_b32 v[16:17], s[22:23], s[22:23] op_sel:[0,1]
	s_and_saveexec_b64 s[28:29], s[4:5]
	s_cbranch_execz .LBB253_667
; %bb.666:                              ;   in Loop: Header=BB253_619 Depth=1
	v_mov_b32_e32 v16, 7
	v_and_b32_sdwa v26, v6, v16 dst_sel:DWORD dst_unused:UNUSED_PAD src0_sel:BYTE_3 src1_sel:DWORD
	v_ffbh_u32_e32 v16, v26
	v_min_u32_e32 v19, 32, v16
	v_subrev_u32_e32 v16, 28, v19
	v_lshlrev_b64 v[16:17], v16, v[26:27]
	v_lshrrev_b32_e32 v18, 3, v7
	v_sub_u32_e32 v17, 29, v19
	v_cmp_gt_u32_e64 s[4:5], 8, v7
	v_and_b32_e32 v16, 7, v16
	v_cndmask_b32_e64 v7, v18, v17, s[4:5]
	v_mov_b32_e32 v17, 24
	v_cndmask_b32_e64 v16, v26, v16, s[4:5]
	v_lshlrev_b32_sdwa v6, v17, v6 dst_sel:DWORD dst_unused:UNUSED_PAD src0_sel:DWORD src1_sel:BYTE_3
	v_lshl_add_u32 v7, v7, 23, v30
	v_and_or_b32 v6, v6, s11, v7
	v_lshlrev_b32_e32 v7, 20, v16
	v_or_b32_e32 v17, v6, v7
	v_mov_b32_e32 v16, v27
.LBB253_667:                            ;   in Loop: Header=BB253_619 Depth=1
	s_or_b64 exec, exec, s[28:29]
.LBB253_668:                            ;   in Loop: Header=BB253_619 Depth=1
	s_or_b64 exec, exec, s[26:27]
.LBB253_669:                            ;   in Loop: Header=BB253_619 Depth=1
	s_or_b64 exec, exec, s[24:25]
	v_or_b32_e32 v7, v11, v9
	v_or_b32_e32 v6, v10, v8
	v_pk_mul_f32 v[6:7], v[34:35], v[6:7]
	buffer_store_dword v6, off, s[0:3], s32 offset:212 ; 4-byte Folded Spill
	s_nop 0
	buffer_store_dword v7, off, s[0:3], s32 offset:216 ; 4-byte Folded Spill
	v_or_b32_e32 v7, v17, v13
	v_or_b32_e32 v6, v16, v12
	v_pk_mul_f32 v[6:7], v[34:35], v[6:7]
	buffer_store_dword v6, off, s[0:3], s32 offset:220 ; 4-byte Folded Spill
	s_nop 0
	buffer_store_dword v7, off, s[0:3], s32 offset:224 ; 4-byte Folded Spill
	s_and_saveexec_b64 s[24:25], vcc
	s_cbranch_execz .LBB253_671
; %bb.670:                              ;   in Loop: Header=BB253_619 Depth=1
	buffer_load_dword v8, off, s[0:3], s32 offset:212 ; 4-byte Folded Reload
	buffer_load_dword v9, off, s[0:3], s32 offset:216 ; 4-byte Folded Reload
	v_accvgpr_read_b32 v6, a10
	v_cmp_lt_i32_e64 s[4:5], v6, v62
	v_accvgpr_read_b32 v6, a39
	s_waitcnt vmcnt(1)
	v_cndmask_b32_e64 v8, 0, v8, s[4:5]
	v_cmp_lt_i32_e64 s[4:5], v6, v62
	s_waitcnt vmcnt(0)
	v_cndmask_b32_e64 v9, 0, v9, s[4:5]
	buffer_store_dword v8, off, s[0:3], s32 offset:212 ; 4-byte Folded Spill
	s_nop 0
	buffer_store_dword v9, off, s[0:3], s32 offset:216 ; 4-byte Folded Spill
	v_accvgpr_read_b32 v6, a21
	v_cmp_lt_i32_e64 s[4:5], v6, v62
	buffer_load_dword v6, off, s[0:3], s32 offset:220 ; 4-byte Folded Reload
	buffer_load_dword v7, off, s[0:3], s32 offset:224 ; 4-byte Folded Reload
	s_waitcnt vmcnt(1)
	v_cndmask_b32_e64 v6, 0, v6, s[4:5]
	v_cmp_lt_i32_e64 s[4:5], v28, v62
	s_waitcnt vmcnt(0)
	v_cndmask_b32_e64 v7, 0, v7, s[4:5]
	buffer_store_dword v6, off, s[0:3], s32 offset:220 ; 4-byte Folded Spill
	s_nop 0
	buffer_store_dword v7, off, s[0:3], s32 offset:224 ; 4-byte Folded Spill
.LBB253_671:                            ;   in Loop: Header=BB253_619 Depth=1
	s_or_b64 exec, exec, s[24:25]
	flat_load_dword v6, v[4:5] offset:512
	v_pk_mov_b32 v[10:11], 0, 0
	v_pk_mov_b32 v[8:9], v[10:11], v[10:11] op_sel:[0,1]
	s_waitcnt vmcnt(0) lgkmcnt(0)
	v_cmp_ne_u16_sdwa s[4:5], v6, v27 src0_sel:BYTE_0 src1_sel:DWORD
	s_and_saveexec_b64 s[24:25], s[4:5]
	s_cbranch_execz .LBB253_677
; %bb.672:                              ;   in Loop: Header=BB253_619 Depth=1
	v_bfrev_b32_e32 v8, 1
	v_cmp_ne_u16_sdwa s[4:5], v6, s7 src0_sel:BYTE_0 src1_sel:DWORD
	v_mov_b32_e32 v9, 0
	s_and_saveexec_b64 s[26:27], s[4:5]
	s_cbranch_execz .LBB253_676
; %bb.673:                              ;   in Loop: Header=BB253_619 Depth=1
	v_and_b32_e32 v7, 0x7f, v6
	v_mov_b32_e32 v8, 0x7f800001
	v_cmp_ne_u32_e64 s[4:5], s15, v7
	v_mov_b32_e32 v9, 0
	s_and_saveexec_b64 s[28:29], s[4:5]
	s_cbranch_execz .LBB253_675
; %bb.674:                              ;   in Loop: Header=BB253_619 Depth=1
	v_and_b32_e32 v12, 7, v6
	v_ffbh_u32_e32 v8, v12
	v_min_u32_e32 v16, 32, v8
	v_subrev_u32_e32 v8, 28, v16
	v_lshlrev_b64 v[8:9], v8, v[6:7]
	v_lshrrev_b32_e32 v13, 3, v7
	v_sub_u32_e32 v9, 29, v16
	v_and_b32_e32 v8, 7, v8
	v_cmp_gt_u32_e64 s[4:5], 8, v7
	v_cndmask_b32_e64 v7, v13, v9, s[4:5]
	v_cndmask_b32_e64 v8, v12, v8, s[4:5]
	v_lshlrev_b32_e32 v8, 20, v8
	v_and_b32_sdwa v9, sext(v6), s11 dst_sel:DWORD dst_unused:UNUSED_PAD src0_sel:BYTE_0 src1_sel:DWORD
	v_lshl_add_u32 v7, v7, 23, v30
	v_or3_b32 v26, v9, v7, v8
	v_pk_mov_b32 v[8:9], v[26:27], v[26:27] op_sel:[0,1]
.LBB253_675:                            ;   in Loop: Header=BB253_619 Depth=1
	s_or_b64 exec, exec, s[28:29]
.LBB253_676:                            ;   in Loop: Header=BB253_619 Depth=1
	s_or_b64 exec, exec, s[26:27]
.LBB253_677:                            ;   in Loop: Header=BB253_619 Depth=1
	s_or_b64 exec, exec, s[24:25]
	v_cmp_ne_u16_sdwa s[4:5], v6, v27 src0_sel:BYTE_1 src1_sel:DWORD
	s_and_saveexec_b64 s[24:25], s[4:5]
	s_cbranch_execz .LBB253_683
; %bb.678:                              ;   in Loop: Header=BB253_619 Depth=1
	v_cmp_ne_u16_sdwa s[4:5], v6, s7 src0_sel:BYTE_1 src1_sel:DWORD
	v_pk_mov_b32 v[10:11], s[10:11], s[10:11] op_sel:[0,1]
	s_and_saveexec_b64 s[26:27], s[4:5]
	s_cbranch_execz .LBB253_682
; %bb.679:                              ;   in Loop: Header=BB253_619 Depth=1
	v_and_b32_sdwa v7, v6, s15 dst_sel:DWORD dst_unused:UNUSED_PAD src0_sel:BYTE_1 src1_sel:DWORD
	s_mov_b32 s22, s10
	v_cmp_ne_u32_e64 s[4:5], s15, v7
	v_pk_mov_b32 v[10:11], s[22:23], s[22:23] op_sel:[0,1]
	s_and_saveexec_b64 s[28:29], s[4:5]
	s_cbranch_execz .LBB253_681
; %bb.680:                              ;   in Loop: Header=BB253_619 Depth=1
	v_mov_b32_e32 v10, 7
	v_and_b32_sdwa v26, v6, v10 dst_sel:DWORD dst_unused:UNUSED_PAD src0_sel:BYTE_1 src1_sel:DWORD
	v_ffbh_u32_e32 v10, v26
	v_min_u32_e32 v13, 32, v10
	v_subrev_u32_e32 v10, 28, v13
	v_lshlrev_b64 v[10:11], v10, v[26:27]
	v_lshrrev_b32_e32 v12, 3, v7
	v_sub_u32_e32 v11, 29, v13
	v_cmp_gt_u32_e64 s[4:5], 8, v7
	v_and_b32_e32 v10, 7, v10
	v_cndmask_b32_e64 v7, v12, v11, s[4:5]
	v_cndmask_b32_e64 v10, v26, v10, s[4:5]
	v_lshlrev_b32_e32 v11, 16, v6
	v_lshl_add_u32 v7, v7, 23, v30
	v_and_or_b32 v7, v11, s11, v7
	v_lshlrev_b32_e32 v10, 20, v10
	v_or_b32_e32 v11, v7, v10
	v_mov_b32_e32 v10, v27
.LBB253_681:                            ;   in Loop: Header=BB253_619 Depth=1
	s_or_b64 exec, exec, s[28:29]
.LBB253_682:                            ;   in Loop: Header=BB253_619 Depth=1
	s_or_b64 exec, exec, s[26:27]
.LBB253_683:                            ;   in Loop: Header=BB253_619 Depth=1
	s_or_b64 exec, exec, s[24:25]
	v_lshrrev_b32_e32 v18, 16, v6
	v_pk_mov_b32 v[16:17], 0, 0
	v_cmp_ne_u16_sdwa s[4:5], v18, v27 src0_sel:BYTE_0 src1_sel:DWORD
	v_pk_mov_b32 v[12:13], v[16:17], v[16:17] op_sel:[0,1]
	s_and_saveexec_b64 s[24:25], s[4:5]
	s_cbranch_execz .LBB253_689
; %bb.684:                              ;   in Loop: Header=BB253_619 Depth=1
	v_bfrev_b32_e32 v12, 1
	v_cmp_ne_u16_sdwa s[4:5], v18, s7 src0_sel:BYTE_0 src1_sel:DWORD
	v_mov_b32_e32 v13, 0
	s_and_saveexec_b64 s[26:27], s[4:5]
	s_cbranch_execz .LBB253_688
; %bb.685:                              ;   in Loop: Header=BB253_619 Depth=1
	v_bfe_u32 v7, v6, 16, 7
	v_mov_b32_e32 v12, 0x7f800001
	v_cmp_ne_u32_e64 s[4:5], s15, v7
	v_mov_b32_e32 v13, 0
	s_and_saveexec_b64 s[28:29], s[4:5]
	s_cbranch_execz .LBB253_687
; %bb.686:                              ;   in Loop: Header=BB253_619 Depth=1
	v_and_b32_e32 v19, 7, v18
	v_ffbh_u32_e32 v12, v19
	v_min_u32_e32 v21, 32, v12
	v_subrev_u32_e32 v12, 28, v21
	v_lshlrev_b64 v[12:13], v12, v[18:19]
	v_lshrrev_b32_e32 v20, 3, v7
	v_sub_u32_e32 v13, 29, v21
	v_and_b32_e32 v12, 7, v12
	v_cmp_gt_u32_e64 s[4:5], 8, v7
	v_cndmask_b32_e64 v7, v20, v13, s[4:5]
	v_cndmask_b32_e64 v12, v19, v12, s[4:5]
	v_lshlrev_b32_e32 v12, 20, v12
	v_and_b32_sdwa v13, sext(v18), s11 dst_sel:DWORD dst_unused:UNUSED_PAD src0_sel:BYTE_0 src1_sel:DWORD
	v_lshl_add_u32 v7, v7, 23, v30
	v_or3_b32 v26, v13, v7, v12
	v_pk_mov_b32 v[12:13], v[26:27], v[26:27] op_sel:[0,1]
.LBB253_687:                            ;   in Loop: Header=BB253_619 Depth=1
	s_or_b64 exec, exec, s[28:29]
.LBB253_688:                            ;   in Loop: Header=BB253_619 Depth=1
	s_or_b64 exec, exec, s[26:27]
.LBB253_689:                            ;   in Loop: Header=BB253_619 Depth=1
	s_or_b64 exec, exec, s[24:25]
	v_cmp_lt_u32_e64 s[4:5], s30, v6
	s_and_saveexec_b64 s[24:25], s[4:5]
	s_cbranch_execz .LBB253_695
; %bb.690:                              ;   in Loop: Header=BB253_619 Depth=1
	v_cmp_ne_u32_sdwa s[4:5], v6, s7 src0_sel:BYTE_3 src1_sel:DWORD
	v_pk_mov_b32 v[16:17], s[10:11], s[10:11] op_sel:[0,1]
	s_and_saveexec_b64 s[26:27], s[4:5]
	s_cbranch_execz .LBB253_694
; %bb.691:                              ;   in Loop: Header=BB253_619 Depth=1
	v_bfe_u32 v7, v6, 24, 7
	s_mov_b32 s22, s10
	v_cmp_ne_u32_e64 s[4:5], s15, v7
	v_pk_mov_b32 v[16:17], s[22:23], s[22:23] op_sel:[0,1]
	s_and_saveexec_b64 s[28:29], s[4:5]
	s_cbranch_execz .LBB253_693
; %bb.692:                              ;   in Loop: Header=BB253_619 Depth=1
	v_mov_b32_e32 v16, 7
	v_and_b32_sdwa v26, v6, v16 dst_sel:DWORD dst_unused:UNUSED_PAD src0_sel:BYTE_3 src1_sel:DWORD
	v_ffbh_u32_e32 v16, v26
	v_min_u32_e32 v19, 32, v16
	v_subrev_u32_e32 v16, 28, v19
	v_lshlrev_b64 v[16:17], v16, v[26:27]
	v_lshrrev_b32_e32 v18, 3, v7
	v_sub_u32_e32 v17, 29, v19
	v_cmp_gt_u32_e64 s[4:5], 8, v7
	v_and_b32_e32 v16, 7, v16
	v_cndmask_b32_e64 v7, v18, v17, s[4:5]
	v_mov_b32_e32 v17, 24
	v_cndmask_b32_e64 v16, v26, v16, s[4:5]
	v_lshlrev_b32_sdwa v6, v17, v6 dst_sel:DWORD dst_unused:UNUSED_PAD src0_sel:DWORD src1_sel:BYTE_3
	v_lshl_add_u32 v7, v7, 23, v30
	v_and_or_b32 v6, v6, s11, v7
	v_lshlrev_b32_e32 v7, 20, v16
	v_or_b32_e32 v17, v6, v7
	v_mov_b32_e32 v16, v27
.LBB253_693:                            ;   in Loop: Header=BB253_619 Depth=1
	s_or_b64 exec, exec, s[28:29]
.LBB253_694:                            ;   in Loop: Header=BB253_619 Depth=1
	s_or_b64 exec, exec, s[26:27]
.LBB253_695:                            ;   in Loop: Header=BB253_619 Depth=1
	s_or_b64 exec, exec, s[24:25]
	v_or_b32_e32 v7, v11, v9
	v_or_b32_e32 v6, v10, v8
	v_pk_mul_f32 v[6:7], v[34:35], v[6:7]
	buffer_store_dword v6, off, s[0:3], s32 offset:228 ; 4-byte Folded Spill
	s_nop 0
	buffer_store_dword v7, off, s[0:3], s32 offset:232 ; 4-byte Folded Spill
	v_or_b32_e32 v7, v17, v13
	v_or_b32_e32 v6, v16, v12
	v_pk_mul_f32 v[6:7], v[34:35], v[6:7]
	buffer_store_dword v6, off, s[0:3], s32 offset:236 ; 4-byte Folded Spill
	s_nop 0
	buffer_store_dword v7, off, s[0:3], s32 offset:240 ; 4-byte Folded Spill
	s_and_saveexec_b64 s[24:25], vcc
	s_cbranch_execz .LBB253_697
; %bb.696:                              ;   in Loop: Header=BB253_619 Depth=1
	buffer_load_dword v8, off, s[0:3], s32 offset:228 ; 4-byte Folded Reload
	buffer_load_dword v9, off, s[0:3], s32 offset:232 ; 4-byte Folded Reload
	v_accvgpr_read_b32 v6, a10
	v_cmp_lt_i32_e64 s[4:5], v6, v62
	v_accvgpr_read_b32 v6, a39
	s_waitcnt vmcnt(1)
	v_cndmask_b32_e64 v8, 0, v8, s[4:5]
	v_cmp_lt_i32_e64 s[4:5], v6, v62
	s_waitcnt vmcnt(0)
	v_cndmask_b32_e64 v9, 0, v9, s[4:5]
	buffer_store_dword v8, off, s[0:3], s32 offset:228 ; 4-byte Folded Spill
	s_nop 0
	buffer_store_dword v9, off, s[0:3], s32 offset:232 ; 4-byte Folded Spill
	v_accvgpr_read_b32 v6, a21
	v_cmp_lt_i32_e64 s[4:5], v6, v62
	buffer_load_dword v6, off, s[0:3], s32 offset:236 ; 4-byte Folded Reload
	buffer_load_dword v7, off, s[0:3], s32 offset:240 ; 4-byte Folded Reload
	s_waitcnt vmcnt(1)
	v_cndmask_b32_e64 v6, 0, v6, s[4:5]
	v_cmp_lt_i32_e64 s[4:5], v28, v62
	s_waitcnt vmcnt(0)
	v_cndmask_b32_e64 v7, 0, v7, s[4:5]
	buffer_store_dword v6, off, s[0:3], s32 offset:236 ; 4-byte Folded Spill
	s_nop 0
	buffer_store_dword v7, off, s[0:3], s32 offset:240 ; 4-byte Folded Spill
.LBB253_697:                            ;   in Loop: Header=BB253_619 Depth=1
	s_or_b64 exec, exec, s[24:25]
	flat_load_dword v6, v[4:5] offset:768
	v_pk_mov_b32 v[10:11], 0, 0
	v_pk_mov_b32 v[8:9], v[10:11], v[10:11] op_sel:[0,1]
	s_waitcnt vmcnt(0) lgkmcnt(0)
	v_cmp_ne_u16_sdwa s[4:5], v6, v27 src0_sel:BYTE_0 src1_sel:DWORD
	s_and_saveexec_b64 s[24:25], s[4:5]
	s_cbranch_execz .LBB253_703
; %bb.698:                              ;   in Loop: Header=BB253_619 Depth=1
	v_bfrev_b32_e32 v8, 1
	v_cmp_ne_u16_sdwa s[4:5], v6, s7 src0_sel:BYTE_0 src1_sel:DWORD
	v_mov_b32_e32 v9, 0
	s_and_saveexec_b64 s[26:27], s[4:5]
	s_cbranch_execz .LBB253_702
; %bb.699:                              ;   in Loop: Header=BB253_619 Depth=1
	v_and_b32_e32 v7, 0x7f, v6
	v_mov_b32_e32 v8, 0x7f800001
	v_cmp_ne_u32_e64 s[4:5], s15, v7
	v_mov_b32_e32 v9, 0
	s_and_saveexec_b64 s[28:29], s[4:5]
	s_cbranch_execz .LBB253_701
; %bb.700:                              ;   in Loop: Header=BB253_619 Depth=1
	v_and_b32_e32 v12, 7, v6
	v_ffbh_u32_e32 v8, v12
	v_min_u32_e32 v16, 32, v8
	v_subrev_u32_e32 v8, 28, v16
	v_lshlrev_b64 v[8:9], v8, v[6:7]
	v_lshrrev_b32_e32 v13, 3, v7
	v_sub_u32_e32 v9, 29, v16
	v_and_b32_e32 v8, 7, v8
	v_cmp_gt_u32_e64 s[4:5], 8, v7
	v_cndmask_b32_e64 v7, v13, v9, s[4:5]
	v_cndmask_b32_e64 v8, v12, v8, s[4:5]
	v_lshlrev_b32_e32 v8, 20, v8
	v_and_b32_sdwa v9, sext(v6), s11 dst_sel:DWORD dst_unused:UNUSED_PAD src0_sel:BYTE_0 src1_sel:DWORD
	v_lshl_add_u32 v7, v7, 23, v30
	v_or3_b32 v26, v9, v7, v8
	v_pk_mov_b32 v[8:9], v[26:27], v[26:27] op_sel:[0,1]
.LBB253_701:                            ;   in Loop: Header=BB253_619 Depth=1
	s_or_b64 exec, exec, s[28:29]
.LBB253_702:                            ;   in Loop: Header=BB253_619 Depth=1
	s_or_b64 exec, exec, s[26:27]
.LBB253_703:                            ;   in Loop: Header=BB253_619 Depth=1
	s_or_b64 exec, exec, s[24:25]
	v_cmp_ne_u16_sdwa s[4:5], v6, v27 src0_sel:BYTE_1 src1_sel:DWORD
	s_and_saveexec_b64 s[24:25], s[4:5]
	s_cbranch_execz .LBB253_709
; %bb.704:                              ;   in Loop: Header=BB253_619 Depth=1
	v_cmp_ne_u16_sdwa s[4:5], v6, s7 src0_sel:BYTE_1 src1_sel:DWORD
	v_pk_mov_b32 v[10:11], s[10:11], s[10:11] op_sel:[0,1]
	s_and_saveexec_b64 s[26:27], s[4:5]
	s_cbranch_execz .LBB253_708
; %bb.705:                              ;   in Loop: Header=BB253_619 Depth=1
	v_and_b32_sdwa v7, v6, s15 dst_sel:DWORD dst_unused:UNUSED_PAD src0_sel:BYTE_1 src1_sel:DWORD
	s_mov_b32 s22, s10
	v_cmp_ne_u32_e64 s[4:5], s15, v7
	v_pk_mov_b32 v[10:11], s[22:23], s[22:23] op_sel:[0,1]
	s_and_saveexec_b64 s[28:29], s[4:5]
	s_cbranch_execz .LBB253_707
; %bb.706:                              ;   in Loop: Header=BB253_619 Depth=1
	v_mov_b32_e32 v10, 7
	v_and_b32_sdwa v26, v6, v10 dst_sel:DWORD dst_unused:UNUSED_PAD src0_sel:BYTE_1 src1_sel:DWORD
	v_ffbh_u32_e32 v10, v26
	v_min_u32_e32 v13, 32, v10
	v_subrev_u32_e32 v10, 28, v13
	v_lshlrev_b64 v[10:11], v10, v[26:27]
	v_lshrrev_b32_e32 v12, 3, v7
	v_sub_u32_e32 v11, 29, v13
	v_cmp_gt_u32_e64 s[4:5], 8, v7
	v_and_b32_e32 v10, 7, v10
	v_cndmask_b32_e64 v7, v12, v11, s[4:5]
	v_cndmask_b32_e64 v10, v26, v10, s[4:5]
	v_lshlrev_b32_e32 v11, 16, v6
	v_lshl_add_u32 v7, v7, 23, v30
	v_and_or_b32 v7, v11, s11, v7
	v_lshlrev_b32_e32 v10, 20, v10
	v_or_b32_e32 v11, v7, v10
	v_mov_b32_e32 v10, v27
.LBB253_707:                            ;   in Loop: Header=BB253_619 Depth=1
	s_or_b64 exec, exec, s[28:29]
.LBB253_708:                            ;   in Loop: Header=BB253_619 Depth=1
	s_or_b64 exec, exec, s[26:27]
.LBB253_709:                            ;   in Loop: Header=BB253_619 Depth=1
	s_or_b64 exec, exec, s[24:25]
	v_lshrrev_b32_e32 v18, 16, v6
	v_pk_mov_b32 v[16:17], 0, 0
	v_cmp_ne_u16_sdwa s[4:5], v18, v27 src0_sel:BYTE_0 src1_sel:DWORD
	v_pk_mov_b32 v[12:13], v[16:17], v[16:17] op_sel:[0,1]
	s_and_saveexec_b64 s[24:25], s[4:5]
	s_cbranch_execz .LBB253_715
; %bb.710:                              ;   in Loop: Header=BB253_619 Depth=1
	v_bfrev_b32_e32 v12, 1
	v_cmp_ne_u16_sdwa s[4:5], v18, s7 src0_sel:BYTE_0 src1_sel:DWORD
	v_mov_b32_e32 v13, 0
	s_and_saveexec_b64 s[26:27], s[4:5]
	s_cbranch_execz .LBB253_714
; %bb.711:                              ;   in Loop: Header=BB253_619 Depth=1
	v_bfe_u32 v7, v6, 16, 7
	v_mov_b32_e32 v12, 0x7f800001
	v_cmp_ne_u32_e64 s[4:5], s15, v7
	v_mov_b32_e32 v13, 0
	s_and_saveexec_b64 s[28:29], s[4:5]
	s_cbranch_execz .LBB253_713
; %bb.712:                              ;   in Loop: Header=BB253_619 Depth=1
	v_and_b32_e32 v19, 7, v18
	v_ffbh_u32_e32 v12, v19
	v_min_u32_e32 v21, 32, v12
	v_subrev_u32_e32 v12, 28, v21
	v_lshlrev_b64 v[12:13], v12, v[18:19]
	v_lshrrev_b32_e32 v20, 3, v7
	v_sub_u32_e32 v13, 29, v21
	v_and_b32_e32 v12, 7, v12
	v_cmp_gt_u32_e64 s[4:5], 8, v7
	v_cndmask_b32_e64 v7, v20, v13, s[4:5]
	v_cndmask_b32_e64 v12, v19, v12, s[4:5]
	v_lshlrev_b32_e32 v12, 20, v12
	v_and_b32_sdwa v13, sext(v18), s11 dst_sel:DWORD dst_unused:UNUSED_PAD src0_sel:BYTE_0 src1_sel:DWORD
	v_lshl_add_u32 v7, v7, 23, v30
	v_or3_b32 v26, v13, v7, v12
	v_pk_mov_b32 v[12:13], v[26:27], v[26:27] op_sel:[0,1]
.LBB253_713:                            ;   in Loop: Header=BB253_619 Depth=1
	s_or_b64 exec, exec, s[28:29]
.LBB253_714:                            ;   in Loop: Header=BB253_619 Depth=1
	s_or_b64 exec, exec, s[26:27]
.LBB253_715:                            ;   in Loop: Header=BB253_619 Depth=1
	s_or_b64 exec, exec, s[24:25]
	v_cmp_lt_u32_e64 s[4:5], s30, v6
	s_and_saveexec_b64 s[24:25], s[4:5]
	s_cbranch_execz .LBB253_721
; %bb.716:                              ;   in Loop: Header=BB253_619 Depth=1
	v_cmp_ne_u32_sdwa s[4:5], v6, s7 src0_sel:BYTE_3 src1_sel:DWORD
	v_pk_mov_b32 v[16:17], s[10:11], s[10:11] op_sel:[0,1]
	s_and_saveexec_b64 s[26:27], s[4:5]
	s_cbranch_execz .LBB253_720
; %bb.717:                              ;   in Loop: Header=BB253_619 Depth=1
	v_bfe_u32 v7, v6, 24, 7
	s_mov_b32 s22, s10
	v_cmp_ne_u32_e64 s[4:5], s15, v7
	v_pk_mov_b32 v[16:17], s[22:23], s[22:23] op_sel:[0,1]
	s_and_saveexec_b64 s[28:29], s[4:5]
	s_cbranch_execz .LBB253_719
; %bb.718:                              ;   in Loop: Header=BB253_619 Depth=1
	v_mov_b32_e32 v16, 7
	v_and_b32_sdwa v26, v6, v16 dst_sel:DWORD dst_unused:UNUSED_PAD src0_sel:BYTE_3 src1_sel:DWORD
	v_ffbh_u32_e32 v16, v26
	v_min_u32_e32 v19, 32, v16
	v_subrev_u32_e32 v16, 28, v19
	v_lshlrev_b64 v[16:17], v16, v[26:27]
	v_lshrrev_b32_e32 v18, 3, v7
	v_sub_u32_e32 v17, 29, v19
	v_cmp_gt_u32_e64 s[4:5], 8, v7
	v_and_b32_e32 v16, 7, v16
	v_cndmask_b32_e64 v7, v18, v17, s[4:5]
	v_mov_b32_e32 v17, 24
	v_cndmask_b32_e64 v16, v26, v16, s[4:5]
	v_lshlrev_b32_sdwa v6, v17, v6 dst_sel:DWORD dst_unused:UNUSED_PAD src0_sel:DWORD src1_sel:BYTE_3
	v_lshl_add_u32 v7, v7, 23, v30
	v_and_or_b32 v6, v6, s11, v7
	v_lshlrev_b32_e32 v7, 20, v16
	v_or_b32_e32 v17, v6, v7
	v_mov_b32_e32 v16, v27
.LBB253_719:                            ;   in Loop: Header=BB253_619 Depth=1
	s_or_b64 exec, exec, s[28:29]
.LBB253_720:                            ;   in Loop: Header=BB253_619 Depth=1
	s_or_b64 exec, exec, s[26:27]
.LBB253_721:                            ;   in Loop: Header=BB253_619 Depth=1
	s_or_b64 exec, exec, s[24:25]
	v_or_b32_e32 v7, v11, v9
	v_or_b32_e32 v6, v10, v8
	v_pk_mul_f32 v[6:7], v[34:35], v[6:7]
	buffer_store_dword v6, off, s[0:3], s32 offset:244 ; 4-byte Folded Spill
	s_nop 0
	buffer_store_dword v7, off, s[0:3], s32 offset:248 ; 4-byte Folded Spill
	v_or_b32_e32 v7, v17, v13
	v_or_b32_e32 v6, v16, v12
	v_pk_mul_f32 v[6:7], v[34:35], v[6:7]
	buffer_store_dword v6, off, s[0:3], s32 offset:252 ; 4-byte Folded Spill
	s_nop 0
	buffer_store_dword v7, off, s[0:3], s32 offset:256 ; 4-byte Folded Spill
	s_and_saveexec_b64 s[24:25], vcc
	s_cbranch_execz .LBB253_723
; %bb.722:                              ;   in Loop: Header=BB253_619 Depth=1
	buffer_load_dword v8, off, s[0:3], s32 offset:244 ; 4-byte Folded Reload
	buffer_load_dword v9, off, s[0:3], s32 offset:248 ; 4-byte Folded Reload
	v_accvgpr_read_b32 v6, a10
	v_cmp_lt_i32_e64 s[4:5], v6, v62
	v_accvgpr_read_b32 v6, a39
	s_waitcnt vmcnt(1)
	v_cndmask_b32_e64 v8, 0, v8, s[4:5]
	v_cmp_lt_i32_e64 s[4:5], v6, v62
	s_waitcnt vmcnt(0)
	v_cndmask_b32_e64 v9, 0, v9, s[4:5]
	buffer_store_dword v8, off, s[0:3], s32 offset:244 ; 4-byte Folded Spill
	s_nop 0
	buffer_store_dword v9, off, s[0:3], s32 offset:248 ; 4-byte Folded Spill
	v_accvgpr_read_b32 v6, a21
	v_cmp_lt_i32_e64 s[4:5], v6, v62
	buffer_load_dword v6, off, s[0:3], s32 offset:252 ; 4-byte Folded Reload
	buffer_load_dword v7, off, s[0:3], s32 offset:256 ; 4-byte Folded Reload
	s_waitcnt vmcnt(1)
	v_cndmask_b32_e64 v6, 0, v6, s[4:5]
	v_cmp_lt_i32_e64 s[4:5], v28, v62
	s_waitcnt vmcnt(0)
	v_cndmask_b32_e64 v7, 0, v7, s[4:5]
	buffer_store_dword v6, off, s[0:3], s32 offset:252 ; 4-byte Folded Spill
	s_nop 0
	buffer_store_dword v7, off, s[0:3], s32 offset:256 ; 4-byte Folded Spill
.LBB253_723:                            ;   in Loop: Header=BB253_619 Depth=1
	s_or_b64 exec, exec, s[24:25]
	flat_load_dword v6, v[4:5] offset:1024
	v_pk_mov_b32 v[10:11], 0, 0
	v_pk_mov_b32 v[8:9], v[10:11], v[10:11] op_sel:[0,1]
	s_waitcnt vmcnt(0) lgkmcnt(0)
	v_cmp_ne_u16_sdwa s[4:5], v6, v27 src0_sel:BYTE_0 src1_sel:DWORD
	s_and_saveexec_b64 s[24:25], s[4:5]
	s_cbranch_execz .LBB253_729
; %bb.724:                              ;   in Loop: Header=BB253_619 Depth=1
	v_bfrev_b32_e32 v8, 1
	v_cmp_ne_u16_sdwa s[4:5], v6, s7 src0_sel:BYTE_0 src1_sel:DWORD
	v_mov_b32_e32 v9, 0
	s_and_saveexec_b64 s[26:27], s[4:5]
	s_cbranch_execz .LBB253_728
; %bb.725:                              ;   in Loop: Header=BB253_619 Depth=1
	v_and_b32_e32 v7, 0x7f, v6
	v_mov_b32_e32 v8, 0x7f800001
	v_cmp_ne_u32_e64 s[4:5], s15, v7
	v_mov_b32_e32 v9, 0
	s_and_saveexec_b64 s[28:29], s[4:5]
	s_cbranch_execz .LBB253_727
; %bb.726:                              ;   in Loop: Header=BB253_619 Depth=1
	v_and_b32_e32 v12, 7, v6
	v_ffbh_u32_e32 v8, v12
	v_min_u32_e32 v16, 32, v8
	v_subrev_u32_e32 v8, 28, v16
	v_lshlrev_b64 v[8:9], v8, v[6:7]
	v_lshrrev_b32_e32 v13, 3, v7
	v_sub_u32_e32 v9, 29, v16
	v_and_b32_e32 v8, 7, v8
	v_cmp_gt_u32_e64 s[4:5], 8, v7
	v_cndmask_b32_e64 v7, v13, v9, s[4:5]
	v_cndmask_b32_e64 v8, v12, v8, s[4:5]
	v_lshlrev_b32_e32 v8, 20, v8
	v_and_b32_sdwa v9, sext(v6), s11 dst_sel:DWORD dst_unused:UNUSED_PAD src0_sel:BYTE_0 src1_sel:DWORD
	v_lshl_add_u32 v7, v7, 23, v30
	v_or3_b32 v26, v9, v7, v8
	v_pk_mov_b32 v[8:9], v[26:27], v[26:27] op_sel:[0,1]
.LBB253_727:                            ;   in Loop: Header=BB253_619 Depth=1
	s_or_b64 exec, exec, s[28:29]
.LBB253_728:                            ;   in Loop: Header=BB253_619 Depth=1
	s_or_b64 exec, exec, s[26:27]
.LBB253_729:                            ;   in Loop: Header=BB253_619 Depth=1
	s_or_b64 exec, exec, s[24:25]
	v_cmp_ne_u16_sdwa s[4:5], v6, v27 src0_sel:BYTE_1 src1_sel:DWORD
	s_and_saveexec_b64 s[24:25], s[4:5]
	s_cbranch_execz .LBB253_735
; %bb.730:                              ;   in Loop: Header=BB253_619 Depth=1
	v_cmp_ne_u16_sdwa s[4:5], v6, s7 src0_sel:BYTE_1 src1_sel:DWORD
	v_pk_mov_b32 v[10:11], s[10:11], s[10:11] op_sel:[0,1]
	s_and_saveexec_b64 s[26:27], s[4:5]
	s_cbranch_execz .LBB253_734
; %bb.731:                              ;   in Loop: Header=BB253_619 Depth=1
	v_and_b32_sdwa v7, v6, s15 dst_sel:DWORD dst_unused:UNUSED_PAD src0_sel:BYTE_1 src1_sel:DWORD
	s_mov_b32 s22, s10
	v_cmp_ne_u32_e64 s[4:5], s15, v7
	v_pk_mov_b32 v[10:11], s[22:23], s[22:23] op_sel:[0,1]
	s_and_saveexec_b64 s[28:29], s[4:5]
	s_cbranch_execz .LBB253_733
; %bb.732:                              ;   in Loop: Header=BB253_619 Depth=1
	v_mov_b32_e32 v10, 7
	v_and_b32_sdwa v26, v6, v10 dst_sel:DWORD dst_unused:UNUSED_PAD src0_sel:BYTE_1 src1_sel:DWORD
	v_ffbh_u32_e32 v10, v26
	v_min_u32_e32 v13, 32, v10
	v_subrev_u32_e32 v10, 28, v13
	v_lshlrev_b64 v[10:11], v10, v[26:27]
	v_lshrrev_b32_e32 v12, 3, v7
	v_sub_u32_e32 v11, 29, v13
	v_cmp_gt_u32_e64 s[4:5], 8, v7
	v_and_b32_e32 v10, 7, v10
	v_cndmask_b32_e64 v7, v12, v11, s[4:5]
	v_cndmask_b32_e64 v10, v26, v10, s[4:5]
	v_lshlrev_b32_e32 v11, 16, v6
	v_lshl_add_u32 v7, v7, 23, v30
	v_and_or_b32 v7, v11, s11, v7
	v_lshlrev_b32_e32 v10, 20, v10
	v_or_b32_e32 v11, v7, v10
	v_mov_b32_e32 v10, v27
.LBB253_733:                            ;   in Loop: Header=BB253_619 Depth=1
	s_or_b64 exec, exec, s[28:29]
.LBB253_734:                            ;   in Loop: Header=BB253_619 Depth=1
	s_or_b64 exec, exec, s[26:27]
.LBB253_735:                            ;   in Loop: Header=BB253_619 Depth=1
	s_or_b64 exec, exec, s[24:25]
	v_lshrrev_b32_e32 v18, 16, v6
	v_pk_mov_b32 v[16:17], 0, 0
	v_cmp_ne_u16_sdwa s[4:5], v18, v27 src0_sel:BYTE_0 src1_sel:DWORD
	v_pk_mov_b32 v[12:13], v[16:17], v[16:17] op_sel:[0,1]
	s_and_saveexec_b64 s[24:25], s[4:5]
	s_cbranch_execz .LBB253_741
; %bb.736:                              ;   in Loop: Header=BB253_619 Depth=1
	v_bfrev_b32_e32 v12, 1
	v_cmp_ne_u16_sdwa s[4:5], v18, s7 src0_sel:BYTE_0 src1_sel:DWORD
	v_mov_b32_e32 v13, 0
	s_and_saveexec_b64 s[26:27], s[4:5]
	s_cbranch_execz .LBB253_740
; %bb.737:                              ;   in Loop: Header=BB253_619 Depth=1
	v_bfe_u32 v7, v6, 16, 7
	v_mov_b32_e32 v12, 0x7f800001
	v_cmp_ne_u32_e64 s[4:5], s15, v7
	v_mov_b32_e32 v13, 0
	s_and_saveexec_b64 s[28:29], s[4:5]
	s_cbranch_execz .LBB253_739
; %bb.738:                              ;   in Loop: Header=BB253_619 Depth=1
	v_and_b32_e32 v19, 7, v18
	v_ffbh_u32_e32 v12, v19
	v_min_u32_e32 v21, 32, v12
	v_subrev_u32_e32 v12, 28, v21
	v_lshlrev_b64 v[12:13], v12, v[18:19]
	v_lshrrev_b32_e32 v20, 3, v7
	v_sub_u32_e32 v13, 29, v21
	v_and_b32_e32 v12, 7, v12
	v_cmp_gt_u32_e64 s[4:5], 8, v7
	v_cndmask_b32_e64 v7, v20, v13, s[4:5]
	v_cndmask_b32_e64 v12, v19, v12, s[4:5]
	v_lshlrev_b32_e32 v12, 20, v12
	v_and_b32_sdwa v13, sext(v18), s11 dst_sel:DWORD dst_unused:UNUSED_PAD src0_sel:BYTE_0 src1_sel:DWORD
	v_lshl_add_u32 v7, v7, 23, v30
	v_or3_b32 v26, v13, v7, v12
	v_pk_mov_b32 v[12:13], v[26:27], v[26:27] op_sel:[0,1]
.LBB253_739:                            ;   in Loop: Header=BB253_619 Depth=1
	s_or_b64 exec, exec, s[28:29]
.LBB253_740:                            ;   in Loop: Header=BB253_619 Depth=1
	s_or_b64 exec, exec, s[26:27]
.LBB253_741:                            ;   in Loop: Header=BB253_619 Depth=1
	s_or_b64 exec, exec, s[24:25]
	v_cmp_lt_u32_e64 s[4:5], s30, v6
	s_and_saveexec_b64 s[24:25], s[4:5]
	s_cbranch_execz .LBB253_747
; %bb.742:                              ;   in Loop: Header=BB253_619 Depth=1
	v_cmp_ne_u32_sdwa s[4:5], v6, s7 src0_sel:BYTE_3 src1_sel:DWORD
	v_pk_mov_b32 v[16:17], s[10:11], s[10:11] op_sel:[0,1]
	s_and_saveexec_b64 s[26:27], s[4:5]
	s_cbranch_execz .LBB253_746
; %bb.743:                              ;   in Loop: Header=BB253_619 Depth=1
	v_bfe_u32 v7, v6, 24, 7
	s_mov_b32 s22, s10
	v_cmp_ne_u32_e64 s[4:5], s15, v7
	v_pk_mov_b32 v[16:17], s[22:23], s[22:23] op_sel:[0,1]
	s_and_saveexec_b64 s[28:29], s[4:5]
	s_cbranch_execz .LBB253_745
; %bb.744:                              ;   in Loop: Header=BB253_619 Depth=1
	v_mov_b32_e32 v16, 7
	v_and_b32_sdwa v26, v6, v16 dst_sel:DWORD dst_unused:UNUSED_PAD src0_sel:BYTE_3 src1_sel:DWORD
	v_ffbh_u32_e32 v16, v26
	v_min_u32_e32 v19, 32, v16
	v_subrev_u32_e32 v16, 28, v19
	v_lshlrev_b64 v[16:17], v16, v[26:27]
	v_lshrrev_b32_e32 v18, 3, v7
	v_sub_u32_e32 v17, 29, v19
	v_cmp_gt_u32_e64 s[4:5], 8, v7
	v_and_b32_e32 v16, 7, v16
	v_cndmask_b32_e64 v7, v18, v17, s[4:5]
	v_mov_b32_e32 v17, 24
	v_cndmask_b32_e64 v16, v26, v16, s[4:5]
	v_lshlrev_b32_sdwa v6, v17, v6 dst_sel:DWORD dst_unused:UNUSED_PAD src0_sel:DWORD src1_sel:BYTE_3
	v_lshl_add_u32 v7, v7, 23, v30
	v_and_or_b32 v6, v6, s11, v7
	v_lshlrev_b32_e32 v7, 20, v16
	v_or_b32_e32 v17, v6, v7
	v_mov_b32_e32 v16, v27
.LBB253_745:                            ;   in Loop: Header=BB253_619 Depth=1
	s_or_b64 exec, exec, s[28:29]
.LBB253_746:                            ;   in Loop: Header=BB253_619 Depth=1
	s_or_b64 exec, exec, s[26:27]
.LBB253_747:                            ;   in Loop: Header=BB253_619 Depth=1
	s_or_b64 exec, exec, s[24:25]
	v_or_b32_e32 v7, v11, v9
	v_or_b32_e32 v6, v10, v8
	v_pk_mul_f32 v[6:7], v[34:35], v[6:7]
	buffer_store_dword v6, off, s[0:3], s32 offset:260 ; 4-byte Folded Spill
	s_nop 0
	buffer_store_dword v7, off, s[0:3], s32 offset:264 ; 4-byte Folded Spill
	v_or_b32_e32 v7, v17, v13
	v_or_b32_e32 v6, v16, v12
	v_pk_mul_f32 v[6:7], v[34:35], v[6:7]
	v_accvgpr_write_b32 a41, v7
	v_accvgpr_write_b32 a40, v6
	s_and_saveexec_b64 s[24:25], vcc
	s_cbranch_execz .LBB253_749
; %bb.748:                              ;   in Loop: Header=BB253_619 Depth=1
	buffer_load_dword v8, off, s[0:3], s32 offset:260 ; 4-byte Folded Reload
	buffer_load_dword v9, off, s[0:3], s32 offset:264 ; 4-byte Folded Reload
	v_accvgpr_read_b32 v6, a10
	v_cmp_lt_i32_e64 s[4:5], v6, v62
	v_accvgpr_read_b32 v6, a39
	s_waitcnt vmcnt(1)
	v_cndmask_b32_e64 v8, 0, v8, s[4:5]
	v_cmp_lt_i32_e64 s[4:5], v6, v62
	v_accvgpr_read_b32 v6, a21
	s_waitcnt vmcnt(0)
	v_cndmask_b32_e64 v9, 0, v9, s[4:5]
	v_cmp_lt_i32_e64 s[4:5], v6, v62
	v_accvgpr_read_b32 v6, a40
	v_accvgpr_read_b32 v7, a41
	v_cndmask_b32_e64 v6, 0, v6, s[4:5]
	v_cmp_lt_i32_e64 s[4:5], v28, v62
	v_cndmask_b32_e64 v7, 0, v7, s[4:5]
	v_accvgpr_write_b32 a41, v7
	v_accvgpr_write_b32 a40, v6
	buffer_store_dword v8, off, s[0:3], s32 offset:260 ; 4-byte Folded Spill
	s_nop 0
	buffer_store_dword v9, off, s[0:3], s32 offset:264 ; 4-byte Folded Spill
.LBB253_749:                            ;   in Loop: Header=BB253_619 Depth=1
	s_or_b64 exec, exec, s[24:25]
	flat_load_dword v6, v[4:5] offset:1280
	v_pk_mov_b32 v[10:11], 0, 0
	v_pk_mov_b32 v[8:9], v[10:11], v[10:11] op_sel:[0,1]
	s_waitcnt vmcnt(0) lgkmcnt(0)
	v_cmp_ne_u16_sdwa s[4:5], v6, v27 src0_sel:BYTE_0 src1_sel:DWORD
	s_and_saveexec_b64 s[24:25], s[4:5]
	s_cbranch_execz .LBB253_755
; %bb.750:                              ;   in Loop: Header=BB253_619 Depth=1
	v_bfrev_b32_e32 v8, 1
	v_cmp_ne_u16_sdwa s[4:5], v6, s7 src0_sel:BYTE_0 src1_sel:DWORD
	v_mov_b32_e32 v9, 0
	s_and_saveexec_b64 s[26:27], s[4:5]
	s_cbranch_execz .LBB253_754
; %bb.751:                              ;   in Loop: Header=BB253_619 Depth=1
	v_and_b32_e32 v7, 0x7f, v6
	v_mov_b32_e32 v8, 0x7f800001
	v_cmp_ne_u32_e64 s[4:5], s15, v7
	v_mov_b32_e32 v9, 0
	s_and_saveexec_b64 s[28:29], s[4:5]
	s_cbranch_execz .LBB253_753
; %bb.752:                              ;   in Loop: Header=BB253_619 Depth=1
	v_and_b32_e32 v12, 7, v6
	v_ffbh_u32_e32 v8, v12
	v_min_u32_e32 v16, 32, v8
	v_subrev_u32_e32 v8, 28, v16
	v_lshlrev_b64 v[8:9], v8, v[6:7]
	v_lshrrev_b32_e32 v13, 3, v7
	v_sub_u32_e32 v9, 29, v16
	v_and_b32_e32 v8, 7, v8
	v_cmp_gt_u32_e64 s[4:5], 8, v7
	v_cndmask_b32_e64 v7, v13, v9, s[4:5]
	v_cndmask_b32_e64 v8, v12, v8, s[4:5]
	v_lshlrev_b32_e32 v8, 20, v8
	v_and_b32_sdwa v9, sext(v6), s11 dst_sel:DWORD dst_unused:UNUSED_PAD src0_sel:BYTE_0 src1_sel:DWORD
	v_lshl_add_u32 v7, v7, 23, v30
	v_or3_b32 v26, v9, v7, v8
	v_pk_mov_b32 v[8:9], v[26:27], v[26:27] op_sel:[0,1]
.LBB253_753:                            ;   in Loop: Header=BB253_619 Depth=1
	s_or_b64 exec, exec, s[28:29]
.LBB253_754:                            ;   in Loop: Header=BB253_619 Depth=1
	s_or_b64 exec, exec, s[26:27]
.LBB253_755:                            ;   in Loop: Header=BB253_619 Depth=1
	s_or_b64 exec, exec, s[24:25]
	v_cmp_ne_u16_sdwa s[4:5], v6, v27 src0_sel:BYTE_1 src1_sel:DWORD
	s_and_saveexec_b64 s[24:25], s[4:5]
	s_cbranch_execz .LBB253_761
; %bb.756:                              ;   in Loop: Header=BB253_619 Depth=1
	v_cmp_ne_u16_sdwa s[4:5], v6, s7 src0_sel:BYTE_1 src1_sel:DWORD
	v_pk_mov_b32 v[10:11], s[10:11], s[10:11] op_sel:[0,1]
	s_and_saveexec_b64 s[26:27], s[4:5]
	s_cbranch_execz .LBB253_760
; %bb.757:                              ;   in Loop: Header=BB253_619 Depth=1
	v_and_b32_sdwa v7, v6, s15 dst_sel:DWORD dst_unused:UNUSED_PAD src0_sel:BYTE_1 src1_sel:DWORD
	s_mov_b32 s22, s10
	v_cmp_ne_u32_e64 s[4:5], s15, v7
	v_pk_mov_b32 v[10:11], s[22:23], s[22:23] op_sel:[0,1]
	s_and_saveexec_b64 s[28:29], s[4:5]
	s_cbranch_execz .LBB253_759
; %bb.758:                              ;   in Loop: Header=BB253_619 Depth=1
	v_mov_b32_e32 v10, 7
	v_and_b32_sdwa v26, v6, v10 dst_sel:DWORD dst_unused:UNUSED_PAD src0_sel:BYTE_1 src1_sel:DWORD
	v_ffbh_u32_e32 v10, v26
	v_min_u32_e32 v13, 32, v10
	v_subrev_u32_e32 v10, 28, v13
	v_lshlrev_b64 v[10:11], v10, v[26:27]
	v_lshrrev_b32_e32 v12, 3, v7
	v_sub_u32_e32 v11, 29, v13
	v_cmp_gt_u32_e64 s[4:5], 8, v7
	v_and_b32_e32 v10, 7, v10
	v_cndmask_b32_e64 v7, v12, v11, s[4:5]
	v_cndmask_b32_e64 v10, v26, v10, s[4:5]
	v_lshlrev_b32_e32 v11, 16, v6
	v_lshl_add_u32 v7, v7, 23, v30
	v_and_or_b32 v7, v11, s11, v7
	v_lshlrev_b32_e32 v10, 20, v10
	v_or_b32_e32 v11, v7, v10
	v_mov_b32_e32 v10, v27
.LBB253_759:                            ;   in Loop: Header=BB253_619 Depth=1
	s_or_b64 exec, exec, s[28:29]
.LBB253_760:                            ;   in Loop: Header=BB253_619 Depth=1
	s_or_b64 exec, exec, s[26:27]
.LBB253_761:                            ;   in Loop: Header=BB253_619 Depth=1
	s_or_b64 exec, exec, s[24:25]
	v_lshrrev_b32_e32 v18, 16, v6
	v_pk_mov_b32 v[16:17], 0, 0
	v_cmp_ne_u16_sdwa s[4:5], v18, v27 src0_sel:BYTE_0 src1_sel:DWORD
	v_pk_mov_b32 v[12:13], v[16:17], v[16:17] op_sel:[0,1]
	s_and_saveexec_b64 s[24:25], s[4:5]
	s_cbranch_execz .LBB253_767
; %bb.762:                              ;   in Loop: Header=BB253_619 Depth=1
	v_bfrev_b32_e32 v12, 1
	v_cmp_ne_u16_sdwa s[4:5], v18, s7 src0_sel:BYTE_0 src1_sel:DWORD
	v_mov_b32_e32 v13, 0
	s_and_saveexec_b64 s[26:27], s[4:5]
	s_cbranch_execz .LBB253_766
; %bb.763:                              ;   in Loop: Header=BB253_619 Depth=1
	v_bfe_u32 v7, v6, 16, 7
	v_mov_b32_e32 v12, 0x7f800001
	v_cmp_ne_u32_e64 s[4:5], s15, v7
	v_mov_b32_e32 v13, 0
	s_and_saveexec_b64 s[28:29], s[4:5]
	s_cbranch_execz .LBB253_765
; %bb.764:                              ;   in Loop: Header=BB253_619 Depth=1
	v_and_b32_e32 v19, 7, v18
	v_ffbh_u32_e32 v12, v19
	v_min_u32_e32 v21, 32, v12
	v_subrev_u32_e32 v12, 28, v21
	v_lshlrev_b64 v[12:13], v12, v[18:19]
	v_lshrrev_b32_e32 v20, 3, v7
	v_sub_u32_e32 v13, 29, v21
	v_and_b32_e32 v12, 7, v12
	v_cmp_gt_u32_e64 s[4:5], 8, v7
	v_cndmask_b32_e64 v7, v20, v13, s[4:5]
	v_cndmask_b32_e64 v12, v19, v12, s[4:5]
	v_lshlrev_b32_e32 v12, 20, v12
	v_and_b32_sdwa v13, sext(v18), s11 dst_sel:DWORD dst_unused:UNUSED_PAD src0_sel:BYTE_0 src1_sel:DWORD
	v_lshl_add_u32 v7, v7, 23, v30
	v_or3_b32 v26, v13, v7, v12
	v_pk_mov_b32 v[12:13], v[26:27], v[26:27] op_sel:[0,1]
.LBB253_765:                            ;   in Loop: Header=BB253_619 Depth=1
	s_or_b64 exec, exec, s[28:29]
.LBB253_766:                            ;   in Loop: Header=BB253_619 Depth=1
	s_or_b64 exec, exec, s[26:27]
.LBB253_767:                            ;   in Loop: Header=BB253_619 Depth=1
	s_or_b64 exec, exec, s[24:25]
	v_cmp_lt_u32_e64 s[4:5], s30, v6
	s_and_saveexec_b64 s[24:25], s[4:5]
	s_cbranch_execz .LBB253_773
; %bb.768:                              ;   in Loop: Header=BB253_619 Depth=1
	v_cmp_ne_u32_sdwa s[4:5], v6, s7 src0_sel:BYTE_3 src1_sel:DWORD
	v_pk_mov_b32 v[16:17], s[10:11], s[10:11] op_sel:[0,1]
	s_and_saveexec_b64 s[26:27], s[4:5]
	s_cbranch_execz .LBB253_772
; %bb.769:                              ;   in Loop: Header=BB253_619 Depth=1
	v_bfe_u32 v7, v6, 24, 7
	s_mov_b32 s22, s10
	v_cmp_ne_u32_e64 s[4:5], s15, v7
	v_pk_mov_b32 v[16:17], s[22:23], s[22:23] op_sel:[0,1]
	s_and_saveexec_b64 s[28:29], s[4:5]
	s_cbranch_execz .LBB253_771
; %bb.770:                              ;   in Loop: Header=BB253_619 Depth=1
	v_mov_b32_e32 v16, 7
	v_and_b32_sdwa v26, v6, v16 dst_sel:DWORD dst_unused:UNUSED_PAD src0_sel:BYTE_3 src1_sel:DWORD
	v_ffbh_u32_e32 v16, v26
	v_min_u32_e32 v19, 32, v16
	v_subrev_u32_e32 v16, 28, v19
	v_lshlrev_b64 v[16:17], v16, v[26:27]
	v_lshrrev_b32_e32 v18, 3, v7
	v_sub_u32_e32 v17, 29, v19
	v_cmp_gt_u32_e64 s[4:5], 8, v7
	v_and_b32_e32 v16, 7, v16
	v_cndmask_b32_e64 v7, v18, v17, s[4:5]
	v_mov_b32_e32 v17, 24
	v_cndmask_b32_e64 v16, v26, v16, s[4:5]
	v_lshlrev_b32_sdwa v6, v17, v6 dst_sel:DWORD dst_unused:UNUSED_PAD src0_sel:DWORD src1_sel:BYTE_3
	v_lshl_add_u32 v7, v7, 23, v30
	v_and_or_b32 v6, v6, s11, v7
	v_lshlrev_b32_e32 v7, 20, v16
	v_or_b32_e32 v17, v6, v7
	v_mov_b32_e32 v16, v27
.LBB253_771:                            ;   in Loop: Header=BB253_619 Depth=1
	s_or_b64 exec, exec, s[28:29]
.LBB253_772:                            ;   in Loop: Header=BB253_619 Depth=1
	s_or_b64 exec, exec, s[26:27]
.LBB253_773:                            ;   in Loop: Header=BB253_619 Depth=1
	s_or_b64 exec, exec, s[24:25]
	v_or_b32_e32 v7, v11, v9
	v_or_b32_e32 v6, v10, v8
	v_pk_mul_f32 v[6:7], v[34:35], v[6:7]
	v_accvgpr_write_b32 a43, v7
	v_accvgpr_write_b32 a42, v6
	v_or_b32_e32 v7, v17, v13
	v_or_b32_e32 v6, v16, v12
	v_pk_mul_f32 v[6:7], v[34:35], v[6:7]
	v_accvgpr_write_b32 a45, v7
	v_accvgpr_write_b32 a44, v6
	s_and_saveexec_b64 s[24:25], vcc
	s_cbranch_execz .LBB253_775
; %bb.774:                              ;   in Loop: Header=BB253_619 Depth=1
	v_accvgpr_read_b32 v6, a10
	v_cmp_lt_i32_e64 s[4:5], v6, v62
	v_accvgpr_read_b32 v8, a42
	v_accvgpr_read_b32 v6, a39
	;; [unrolled: 1-line block ×3, first 2 shown]
	v_cndmask_b32_e64 v8, 0, v8, s[4:5]
	v_cmp_lt_i32_e64 s[4:5], v6, v62
	v_accvgpr_read_b32 v6, a21
	v_cndmask_b32_e64 v9, 0, v9, s[4:5]
	v_cmp_lt_i32_e64 s[4:5], v6, v62
	v_accvgpr_read_b32 v6, a44
	v_accvgpr_read_b32 v7, a45
	v_cndmask_b32_e64 v6, 0, v6, s[4:5]
	v_cmp_lt_i32_e64 s[4:5], v28, v62
	v_cndmask_b32_e64 v7, 0, v7, s[4:5]
	v_accvgpr_write_b32 a43, v9
	v_accvgpr_write_b32 a45, v7
	;; [unrolled: 1-line block ×4, first 2 shown]
.LBB253_775:                            ;   in Loop: Header=BB253_619 Depth=1
	s_or_b64 exec, exec, s[24:25]
	flat_load_dword v6, v[4:5] offset:1536
	v_pk_mov_b32 v[10:11], 0, 0
	v_pk_mov_b32 v[8:9], v[10:11], v[10:11] op_sel:[0,1]
	s_waitcnt vmcnt(0) lgkmcnt(0)
	v_cmp_ne_u16_sdwa s[4:5], v6, v27 src0_sel:BYTE_0 src1_sel:DWORD
	s_and_saveexec_b64 s[24:25], s[4:5]
	s_cbranch_execz .LBB253_781
; %bb.776:                              ;   in Loop: Header=BB253_619 Depth=1
	v_bfrev_b32_e32 v8, 1
	v_cmp_ne_u16_sdwa s[4:5], v6, s7 src0_sel:BYTE_0 src1_sel:DWORD
	v_mov_b32_e32 v9, 0
	s_and_saveexec_b64 s[26:27], s[4:5]
	s_cbranch_execz .LBB253_780
; %bb.777:                              ;   in Loop: Header=BB253_619 Depth=1
	v_and_b32_e32 v7, 0x7f, v6
	v_mov_b32_e32 v8, 0x7f800001
	v_cmp_ne_u32_e64 s[4:5], s15, v7
	v_mov_b32_e32 v9, 0
	s_and_saveexec_b64 s[28:29], s[4:5]
	s_cbranch_execz .LBB253_779
; %bb.778:                              ;   in Loop: Header=BB253_619 Depth=1
	v_and_b32_e32 v12, 7, v6
	v_ffbh_u32_e32 v8, v12
	v_min_u32_e32 v16, 32, v8
	v_subrev_u32_e32 v8, 28, v16
	v_lshlrev_b64 v[8:9], v8, v[6:7]
	v_lshrrev_b32_e32 v13, 3, v7
	v_sub_u32_e32 v9, 29, v16
	v_and_b32_e32 v8, 7, v8
	v_cmp_gt_u32_e64 s[4:5], 8, v7
	v_cndmask_b32_e64 v7, v13, v9, s[4:5]
	v_cndmask_b32_e64 v8, v12, v8, s[4:5]
	v_lshlrev_b32_e32 v8, 20, v8
	v_and_b32_sdwa v9, sext(v6), s11 dst_sel:DWORD dst_unused:UNUSED_PAD src0_sel:BYTE_0 src1_sel:DWORD
	v_lshl_add_u32 v7, v7, 23, v30
	v_or3_b32 v26, v9, v7, v8
	v_pk_mov_b32 v[8:9], v[26:27], v[26:27] op_sel:[0,1]
.LBB253_779:                            ;   in Loop: Header=BB253_619 Depth=1
	s_or_b64 exec, exec, s[28:29]
.LBB253_780:                            ;   in Loop: Header=BB253_619 Depth=1
	s_or_b64 exec, exec, s[26:27]
.LBB253_781:                            ;   in Loop: Header=BB253_619 Depth=1
	s_or_b64 exec, exec, s[24:25]
	v_cmp_ne_u16_sdwa s[4:5], v6, v27 src0_sel:BYTE_1 src1_sel:DWORD
	s_and_saveexec_b64 s[24:25], s[4:5]
	s_cbranch_execz .LBB253_787
; %bb.782:                              ;   in Loop: Header=BB253_619 Depth=1
	v_cmp_ne_u16_sdwa s[4:5], v6, s7 src0_sel:BYTE_1 src1_sel:DWORD
	v_pk_mov_b32 v[10:11], s[10:11], s[10:11] op_sel:[0,1]
	s_and_saveexec_b64 s[26:27], s[4:5]
	s_cbranch_execz .LBB253_786
; %bb.783:                              ;   in Loop: Header=BB253_619 Depth=1
	v_and_b32_sdwa v7, v6, s15 dst_sel:DWORD dst_unused:UNUSED_PAD src0_sel:BYTE_1 src1_sel:DWORD
	s_mov_b32 s22, s10
	v_cmp_ne_u32_e64 s[4:5], s15, v7
	v_pk_mov_b32 v[10:11], s[22:23], s[22:23] op_sel:[0,1]
	s_and_saveexec_b64 s[28:29], s[4:5]
	s_cbranch_execz .LBB253_785
; %bb.784:                              ;   in Loop: Header=BB253_619 Depth=1
	v_mov_b32_e32 v10, 7
	v_and_b32_sdwa v26, v6, v10 dst_sel:DWORD dst_unused:UNUSED_PAD src0_sel:BYTE_1 src1_sel:DWORD
	v_ffbh_u32_e32 v10, v26
	v_min_u32_e32 v13, 32, v10
	v_subrev_u32_e32 v10, 28, v13
	v_lshlrev_b64 v[10:11], v10, v[26:27]
	v_lshrrev_b32_e32 v12, 3, v7
	v_sub_u32_e32 v11, 29, v13
	v_cmp_gt_u32_e64 s[4:5], 8, v7
	v_and_b32_e32 v10, 7, v10
	v_cndmask_b32_e64 v7, v12, v11, s[4:5]
	v_cndmask_b32_e64 v10, v26, v10, s[4:5]
	v_lshlrev_b32_e32 v11, 16, v6
	v_lshl_add_u32 v7, v7, 23, v30
	v_and_or_b32 v7, v11, s11, v7
	v_lshlrev_b32_e32 v10, 20, v10
	v_or_b32_e32 v11, v7, v10
	v_mov_b32_e32 v10, v27
.LBB253_785:                            ;   in Loop: Header=BB253_619 Depth=1
	s_or_b64 exec, exec, s[28:29]
.LBB253_786:                            ;   in Loop: Header=BB253_619 Depth=1
	s_or_b64 exec, exec, s[26:27]
.LBB253_787:                            ;   in Loop: Header=BB253_619 Depth=1
	s_or_b64 exec, exec, s[24:25]
	v_lshrrev_b32_e32 v18, 16, v6
	v_pk_mov_b32 v[16:17], 0, 0
	v_cmp_ne_u16_sdwa s[4:5], v18, v27 src0_sel:BYTE_0 src1_sel:DWORD
	v_pk_mov_b32 v[12:13], v[16:17], v[16:17] op_sel:[0,1]
	s_and_saveexec_b64 s[24:25], s[4:5]
	s_cbranch_execz .LBB253_793
; %bb.788:                              ;   in Loop: Header=BB253_619 Depth=1
	v_bfrev_b32_e32 v12, 1
	v_cmp_ne_u16_sdwa s[4:5], v18, s7 src0_sel:BYTE_0 src1_sel:DWORD
	v_mov_b32_e32 v13, 0
	s_and_saveexec_b64 s[26:27], s[4:5]
	s_cbranch_execz .LBB253_792
; %bb.789:                              ;   in Loop: Header=BB253_619 Depth=1
	v_bfe_u32 v7, v6, 16, 7
	v_mov_b32_e32 v12, 0x7f800001
	v_cmp_ne_u32_e64 s[4:5], s15, v7
	v_mov_b32_e32 v13, 0
	s_and_saveexec_b64 s[28:29], s[4:5]
	s_cbranch_execz .LBB253_791
; %bb.790:                              ;   in Loop: Header=BB253_619 Depth=1
	v_and_b32_e32 v19, 7, v18
	v_ffbh_u32_e32 v12, v19
	v_min_u32_e32 v21, 32, v12
	v_subrev_u32_e32 v12, 28, v21
	v_lshlrev_b64 v[12:13], v12, v[18:19]
	v_lshrrev_b32_e32 v20, 3, v7
	v_sub_u32_e32 v13, 29, v21
	v_and_b32_e32 v12, 7, v12
	v_cmp_gt_u32_e64 s[4:5], 8, v7
	v_cndmask_b32_e64 v7, v20, v13, s[4:5]
	v_cndmask_b32_e64 v12, v19, v12, s[4:5]
	v_lshlrev_b32_e32 v12, 20, v12
	v_and_b32_sdwa v13, sext(v18), s11 dst_sel:DWORD dst_unused:UNUSED_PAD src0_sel:BYTE_0 src1_sel:DWORD
	v_lshl_add_u32 v7, v7, 23, v30
	v_or3_b32 v26, v13, v7, v12
	v_pk_mov_b32 v[12:13], v[26:27], v[26:27] op_sel:[0,1]
.LBB253_791:                            ;   in Loop: Header=BB253_619 Depth=1
	s_or_b64 exec, exec, s[28:29]
.LBB253_792:                            ;   in Loop: Header=BB253_619 Depth=1
	s_or_b64 exec, exec, s[26:27]
.LBB253_793:                            ;   in Loop: Header=BB253_619 Depth=1
	s_or_b64 exec, exec, s[24:25]
	v_cmp_lt_u32_e64 s[4:5], s30, v6
	s_and_saveexec_b64 s[24:25], s[4:5]
	s_cbranch_execz .LBB253_799
; %bb.794:                              ;   in Loop: Header=BB253_619 Depth=1
	v_cmp_ne_u32_sdwa s[4:5], v6, s7 src0_sel:BYTE_3 src1_sel:DWORD
	v_pk_mov_b32 v[16:17], s[10:11], s[10:11] op_sel:[0,1]
	s_and_saveexec_b64 s[26:27], s[4:5]
	s_cbranch_execz .LBB253_798
; %bb.795:                              ;   in Loop: Header=BB253_619 Depth=1
	v_bfe_u32 v7, v6, 24, 7
	s_mov_b32 s22, s10
	v_cmp_ne_u32_e64 s[4:5], s15, v7
	v_pk_mov_b32 v[16:17], s[22:23], s[22:23] op_sel:[0,1]
	s_and_saveexec_b64 s[28:29], s[4:5]
	s_cbranch_execz .LBB253_797
; %bb.796:                              ;   in Loop: Header=BB253_619 Depth=1
	v_mov_b32_e32 v16, 7
	v_and_b32_sdwa v26, v6, v16 dst_sel:DWORD dst_unused:UNUSED_PAD src0_sel:BYTE_3 src1_sel:DWORD
	v_ffbh_u32_e32 v16, v26
	v_min_u32_e32 v19, 32, v16
	v_subrev_u32_e32 v16, 28, v19
	v_lshlrev_b64 v[16:17], v16, v[26:27]
	v_lshrrev_b32_e32 v18, 3, v7
	v_sub_u32_e32 v17, 29, v19
	v_cmp_gt_u32_e64 s[4:5], 8, v7
	v_and_b32_e32 v16, 7, v16
	v_cndmask_b32_e64 v7, v18, v17, s[4:5]
	v_mov_b32_e32 v17, 24
	v_cndmask_b32_e64 v16, v26, v16, s[4:5]
	v_lshlrev_b32_sdwa v6, v17, v6 dst_sel:DWORD dst_unused:UNUSED_PAD src0_sel:DWORD src1_sel:BYTE_3
	v_lshl_add_u32 v7, v7, 23, v30
	v_and_or_b32 v6, v6, s11, v7
	v_lshlrev_b32_e32 v7, 20, v16
	v_or_b32_e32 v17, v6, v7
	v_mov_b32_e32 v16, v27
.LBB253_797:                            ;   in Loop: Header=BB253_619 Depth=1
	s_or_b64 exec, exec, s[28:29]
.LBB253_798:                            ;   in Loop: Header=BB253_619 Depth=1
	s_or_b64 exec, exec, s[26:27]
.LBB253_799:                            ;   in Loop: Header=BB253_619 Depth=1
	s_or_b64 exec, exec, s[24:25]
	v_or_b32_e32 v7, v11, v9
	v_or_b32_e32 v6, v10, v8
	v_pk_mul_f32 v[6:7], v[34:35], v[6:7]
	v_accvgpr_write_b32 a47, v7
	v_accvgpr_write_b32 a46, v6
	v_or_b32_e32 v7, v17, v13
	v_or_b32_e32 v6, v16, v12
	v_pk_mul_f32 v[6:7], v[34:35], v[6:7]
	v_accvgpr_write_b32 a49, v7
	v_accvgpr_write_b32 a48, v6
	s_and_saveexec_b64 s[24:25], vcc
	s_cbranch_execz .LBB253_801
; %bb.800:                              ;   in Loop: Header=BB253_619 Depth=1
	v_accvgpr_read_b32 v6, a10
	v_cmp_lt_i32_e64 s[4:5], v6, v62
	v_accvgpr_read_b32 v8, a46
	v_accvgpr_read_b32 v6, a39
	v_accvgpr_read_b32 v9, a47
	v_cndmask_b32_e64 v8, 0, v8, s[4:5]
	v_cmp_lt_i32_e64 s[4:5], v6, v62
	v_accvgpr_read_b32 v6, a21
	v_cndmask_b32_e64 v9, 0, v9, s[4:5]
	v_cmp_lt_i32_e64 s[4:5], v6, v62
	v_accvgpr_read_b32 v6, a48
	v_accvgpr_read_b32 v7, a49
	v_cndmask_b32_e64 v6, 0, v6, s[4:5]
	v_cmp_lt_i32_e64 s[4:5], v28, v62
	v_cndmask_b32_e64 v7, 0, v7, s[4:5]
	v_accvgpr_write_b32 a47, v9
	v_accvgpr_write_b32 a49, v7
	;; [unrolled: 1-line block ×4, first 2 shown]
.LBB253_801:                            ;   in Loop: Header=BB253_619 Depth=1
	s_or_b64 exec, exec, s[24:25]
	flat_load_dword v6, v[4:5] offset:1792
	v_pk_mov_b32 v[10:11], 0, 0
	v_pk_mov_b32 v[8:9], v[10:11], v[10:11] op_sel:[0,1]
	s_waitcnt vmcnt(0) lgkmcnt(0)
	v_cmp_ne_u16_sdwa s[4:5], v6, v27 src0_sel:BYTE_0 src1_sel:DWORD
	s_and_saveexec_b64 s[24:25], s[4:5]
	s_cbranch_execz .LBB253_807
; %bb.802:                              ;   in Loop: Header=BB253_619 Depth=1
	v_bfrev_b32_e32 v8, 1
	v_cmp_ne_u16_sdwa s[4:5], v6, s7 src0_sel:BYTE_0 src1_sel:DWORD
	v_mov_b32_e32 v9, 0
	s_and_saveexec_b64 s[26:27], s[4:5]
	s_cbranch_execz .LBB253_806
; %bb.803:                              ;   in Loop: Header=BB253_619 Depth=1
	v_and_b32_e32 v7, 0x7f, v6
	v_mov_b32_e32 v8, 0x7f800001
	v_cmp_ne_u32_e64 s[4:5], s15, v7
	v_mov_b32_e32 v9, 0
	s_and_saveexec_b64 s[28:29], s[4:5]
	s_cbranch_execz .LBB253_805
; %bb.804:                              ;   in Loop: Header=BB253_619 Depth=1
	v_and_b32_e32 v12, 7, v6
	v_ffbh_u32_e32 v8, v12
	v_min_u32_e32 v16, 32, v8
	v_subrev_u32_e32 v8, 28, v16
	v_lshlrev_b64 v[8:9], v8, v[6:7]
	v_lshrrev_b32_e32 v13, 3, v7
	v_sub_u32_e32 v9, 29, v16
	v_and_b32_e32 v8, 7, v8
	v_cmp_gt_u32_e64 s[4:5], 8, v7
	v_cndmask_b32_e64 v7, v13, v9, s[4:5]
	v_cndmask_b32_e64 v8, v12, v8, s[4:5]
	v_lshlrev_b32_e32 v8, 20, v8
	v_and_b32_sdwa v9, sext(v6), s11 dst_sel:DWORD dst_unused:UNUSED_PAD src0_sel:BYTE_0 src1_sel:DWORD
	v_lshl_add_u32 v7, v7, 23, v30
	v_or3_b32 v26, v9, v7, v8
	v_pk_mov_b32 v[8:9], v[26:27], v[26:27] op_sel:[0,1]
.LBB253_805:                            ;   in Loop: Header=BB253_619 Depth=1
	s_or_b64 exec, exec, s[28:29]
.LBB253_806:                            ;   in Loop: Header=BB253_619 Depth=1
	s_or_b64 exec, exec, s[26:27]
.LBB253_807:                            ;   in Loop: Header=BB253_619 Depth=1
	s_or_b64 exec, exec, s[24:25]
	v_cmp_ne_u16_sdwa s[4:5], v6, v27 src0_sel:BYTE_1 src1_sel:DWORD
	s_and_saveexec_b64 s[24:25], s[4:5]
	s_cbranch_execz .LBB253_813
; %bb.808:                              ;   in Loop: Header=BB253_619 Depth=1
	v_cmp_ne_u16_sdwa s[4:5], v6, s7 src0_sel:BYTE_1 src1_sel:DWORD
	v_pk_mov_b32 v[10:11], s[10:11], s[10:11] op_sel:[0,1]
	s_and_saveexec_b64 s[26:27], s[4:5]
	s_cbranch_execz .LBB253_812
; %bb.809:                              ;   in Loop: Header=BB253_619 Depth=1
	v_and_b32_sdwa v7, v6, s15 dst_sel:DWORD dst_unused:UNUSED_PAD src0_sel:BYTE_1 src1_sel:DWORD
	s_mov_b32 s22, s10
	v_cmp_ne_u32_e64 s[4:5], s15, v7
	v_pk_mov_b32 v[10:11], s[22:23], s[22:23] op_sel:[0,1]
	s_and_saveexec_b64 s[28:29], s[4:5]
	s_cbranch_execz .LBB253_811
; %bb.810:                              ;   in Loop: Header=BB253_619 Depth=1
	v_mov_b32_e32 v10, 7
	v_and_b32_sdwa v26, v6, v10 dst_sel:DWORD dst_unused:UNUSED_PAD src0_sel:BYTE_1 src1_sel:DWORD
	v_ffbh_u32_e32 v10, v26
	v_min_u32_e32 v13, 32, v10
	v_subrev_u32_e32 v10, 28, v13
	v_lshlrev_b64 v[10:11], v10, v[26:27]
	v_lshrrev_b32_e32 v12, 3, v7
	v_sub_u32_e32 v11, 29, v13
	v_cmp_gt_u32_e64 s[4:5], 8, v7
	v_and_b32_e32 v10, 7, v10
	v_cndmask_b32_e64 v7, v12, v11, s[4:5]
	v_cndmask_b32_e64 v10, v26, v10, s[4:5]
	v_lshlrev_b32_e32 v11, 16, v6
	v_lshl_add_u32 v7, v7, 23, v30
	v_and_or_b32 v7, v11, s11, v7
	v_lshlrev_b32_e32 v10, 20, v10
	v_or_b32_e32 v11, v7, v10
	v_mov_b32_e32 v10, v27
.LBB253_811:                            ;   in Loop: Header=BB253_619 Depth=1
	s_or_b64 exec, exec, s[28:29]
.LBB253_812:                            ;   in Loop: Header=BB253_619 Depth=1
	s_or_b64 exec, exec, s[26:27]
.LBB253_813:                            ;   in Loop: Header=BB253_619 Depth=1
	s_or_b64 exec, exec, s[24:25]
	v_lshrrev_b32_e32 v18, 16, v6
	v_pk_mov_b32 v[16:17], 0, 0
	v_cmp_ne_u16_sdwa s[4:5], v18, v27 src0_sel:BYTE_0 src1_sel:DWORD
	v_pk_mov_b32 v[12:13], v[16:17], v[16:17] op_sel:[0,1]
	s_and_saveexec_b64 s[24:25], s[4:5]
	s_cbranch_execz .LBB253_819
; %bb.814:                              ;   in Loop: Header=BB253_619 Depth=1
	v_bfrev_b32_e32 v12, 1
	v_cmp_ne_u16_sdwa s[4:5], v18, s7 src0_sel:BYTE_0 src1_sel:DWORD
	v_mov_b32_e32 v13, 0
	s_and_saveexec_b64 s[26:27], s[4:5]
	s_cbranch_execz .LBB253_818
; %bb.815:                              ;   in Loop: Header=BB253_619 Depth=1
	v_bfe_u32 v7, v6, 16, 7
	v_mov_b32_e32 v12, 0x7f800001
	v_cmp_ne_u32_e64 s[4:5], s15, v7
	v_mov_b32_e32 v13, 0
	s_and_saveexec_b64 s[28:29], s[4:5]
	s_cbranch_execz .LBB253_817
; %bb.816:                              ;   in Loop: Header=BB253_619 Depth=1
	v_and_b32_e32 v19, 7, v18
	v_ffbh_u32_e32 v12, v19
	v_min_u32_e32 v21, 32, v12
	v_subrev_u32_e32 v12, 28, v21
	v_lshlrev_b64 v[12:13], v12, v[18:19]
	v_lshrrev_b32_e32 v20, 3, v7
	v_sub_u32_e32 v13, 29, v21
	v_and_b32_e32 v12, 7, v12
	v_cmp_gt_u32_e64 s[4:5], 8, v7
	v_cndmask_b32_e64 v7, v20, v13, s[4:5]
	v_cndmask_b32_e64 v12, v19, v12, s[4:5]
	v_lshlrev_b32_e32 v12, 20, v12
	v_and_b32_sdwa v13, sext(v18), s11 dst_sel:DWORD dst_unused:UNUSED_PAD src0_sel:BYTE_0 src1_sel:DWORD
	v_lshl_add_u32 v7, v7, 23, v30
	v_or3_b32 v26, v13, v7, v12
	v_pk_mov_b32 v[12:13], v[26:27], v[26:27] op_sel:[0,1]
.LBB253_817:                            ;   in Loop: Header=BB253_619 Depth=1
	s_or_b64 exec, exec, s[28:29]
.LBB253_818:                            ;   in Loop: Header=BB253_619 Depth=1
	s_or_b64 exec, exec, s[26:27]
.LBB253_819:                            ;   in Loop: Header=BB253_619 Depth=1
	s_or_b64 exec, exec, s[24:25]
	v_cmp_lt_u32_e64 s[4:5], s30, v6
	s_and_saveexec_b64 s[24:25], s[4:5]
	s_cbranch_execz .LBB253_825
; %bb.820:                              ;   in Loop: Header=BB253_619 Depth=1
	v_cmp_ne_u32_sdwa s[4:5], v6, s7 src0_sel:BYTE_3 src1_sel:DWORD
	v_pk_mov_b32 v[16:17], s[10:11], s[10:11] op_sel:[0,1]
	s_and_saveexec_b64 s[26:27], s[4:5]
	s_cbranch_execz .LBB253_824
; %bb.821:                              ;   in Loop: Header=BB253_619 Depth=1
	v_bfe_u32 v7, v6, 24, 7
	s_mov_b32 s22, s10
	v_cmp_ne_u32_e64 s[4:5], s15, v7
	v_pk_mov_b32 v[16:17], s[22:23], s[22:23] op_sel:[0,1]
	s_and_saveexec_b64 s[28:29], s[4:5]
	s_cbranch_execz .LBB253_823
; %bb.822:                              ;   in Loop: Header=BB253_619 Depth=1
	v_mov_b32_e32 v16, 7
	v_and_b32_sdwa v26, v6, v16 dst_sel:DWORD dst_unused:UNUSED_PAD src0_sel:BYTE_3 src1_sel:DWORD
	v_ffbh_u32_e32 v16, v26
	v_min_u32_e32 v19, 32, v16
	v_subrev_u32_e32 v16, 28, v19
	v_lshlrev_b64 v[16:17], v16, v[26:27]
	v_lshrrev_b32_e32 v18, 3, v7
	v_sub_u32_e32 v17, 29, v19
	v_cmp_gt_u32_e64 s[4:5], 8, v7
	v_and_b32_e32 v16, 7, v16
	v_cndmask_b32_e64 v7, v18, v17, s[4:5]
	v_mov_b32_e32 v17, 24
	v_cndmask_b32_e64 v16, v26, v16, s[4:5]
	v_lshlrev_b32_sdwa v6, v17, v6 dst_sel:DWORD dst_unused:UNUSED_PAD src0_sel:DWORD src1_sel:BYTE_3
	v_lshl_add_u32 v7, v7, 23, v30
	v_and_or_b32 v6, v6, s11, v7
	v_lshlrev_b32_e32 v7, 20, v16
	v_or_b32_e32 v17, v6, v7
	v_mov_b32_e32 v16, v27
.LBB253_823:                            ;   in Loop: Header=BB253_619 Depth=1
	s_or_b64 exec, exec, s[28:29]
.LBB253_824:                            ;   in Loop: Header=BB253_619 Depth=1
	s_or_b64 exec, exec, s[26:27]
.LBB253_825:                            ;   in Loop: Header=BB253_619 Depth=1
	s_or_b64 exec, exec, s[24:25]
	v_or_b32_e32 v7, v11, v9
	v_or_b32_e32 v6, v10, v8
	v_pk_mul_f32 v[6:7], v[34:35], v[6:7]
	v_accvgpr_write_b32 a51, v7
	v_accvgpr_write_b32 a50, v6
	v_or_b32_e32 v7, v17, v13
	v_or_b32_e32 v6, v16, v12
	v_pk_mul_f32 v[6:7], v[34:35], v[6:7]
	v_accvgpr_write_b32 a53, v7
	v_accvgpr_write_b32 a52, v6
	s_and_saveexec_b64 s[24:25], vcc
	s_cbranch_execz .LBB253_827
; %bb.826:                              ;   in Loop: Header=BB253_619 Depth=1
	v_accvgpr_read_b32 v6, a10
	v_cmp_lt_i32_e64 s[4:5], v6, v62
	v_accvgpr_read_b32 v8, a50
	v_accvgpr_read_b32 v6, a39
	v_accvgpr_read_b32 v9, a51
	v_cndmask_b32_e64 v8, 0, v8, s[4:5]
	v_cmp_lt_i32_e64 s[4:5], v6, v62
	v_accvgpr_read_b32 v6, a21
	v_cndmask_b32_e64 v9, 0, v9, s[4:5]
	v_cmp_lt_i32_e64 s[4:5], v6, v62
	v_accvgpr_read_b32 v6, a52
	v_accvgpr_read_b32 v7, a53
	v_cndmask_b32_e64 v6, 0, v6, s[4:5]
	v_cmp_lt_i32_e64 s[4:5], v28, v62
	v_cndmask_b32_e64 v7, 0, v7, s[4:5]
	v_accvgpr_write_b32 a51, v9
	v_accvgpr_write_b32 a53, v7
	;; [unrolled: 1-line block ×4, first 2 shown]
.LBB253_827:                            ;   in Loop: Header=BB253_619 Depth=1
	s_or_b64 exec, exec, s[24:25]
	flat_load_dword v6, v[4:5] offset:2048
	v_pk_mov_b32 v[10:11], 0, 0
	v_pk_mov_b32 v[8:9], v[10:11], v[10:11] op_sel:[0,1]
	s_waitcnt vmcnt(0) lgkmcnt(0)
	v_cmp_ne_u16_sdwa s[4:5], v6, v27 src0_sel:BYTE_0 src1_sel:DWORD
	s_and_saveexec_b64 s[24:25], s[4:5]
	s_cbranch_execz .LBB253_833
; %bb.828:                              ;   in Loop: Header=BB253_619 Depth=1
	v_bfrev_b32_e32 v8, 1
	v_cmp_ne_u16_sdwa s[4:5], v6, s7 src0_sel:BYTE_0 src1_sel:DWORD
	v_mov_b32_e32 v9, 0
	s_and_saveexec_b64 s[26:27], s[4:5]
	s_cbranch_execz .LBB253_832
; %bb.829:                              ;   in Loop: Header=BB253_619 Depth=1
	v_and_b32_e32 v7, 0x7f, v6
	v_mov_b32_e32 v8, 0x7f800001
	v_cmp_ne_u32_e64 s[4:5], s15, v7
	v_mov_b32_e32 v9, 0
	s_and_saveexec_b64 s[28:29], s[4:5]
	s_cbranch_execz .LBB253_831
; %bb.830:                              ;   in Loop: Header=BB253_619 Depth=1
	v_and_b32_e32 v12, 7, v6
	v_ffbh_u32_e32 v8, v12
	v_min_u32_e32 v16, 32, v8
	v_subrev_u32_e32 v8, 28, v16
	v_lshlrev_b64 v[8:9], v8, v[6:7]
	v_lshrrev_b32_e32 v13, 3, v7
	v_sub_u32_e32 v9, 29, v16
	v_and_b32_e32 v8, 7, v8
	v_cmp_gt_u32_e64 s[4:5], 8, v7
	v_cndmask_b32_e64 v7, v13, v9, s[4:5]
	v_cndmask_b32_e64 v8, v12, v8, s[4:5]
	v_lshlrev_b32_e32 v8, 20, v8
	v_and_b32_sdwa v9, sext(v6), s11 dst_sel:DWORD dst_unused:UNUSED_PAD src0_sel:BYTE_0 src1_sel:DWORD
	v_lshl_add_u32 v7, v7, 23, v30
	v_or3_b32 v26, v9, v7, v8
	v_pk_mov_b32 v[8:9], v[26:27], v[26:27] op_sel:[0,1]
.LBB253_831:                            ;   in Loop: Header=BB253_619 Depth=1
	s_or_b64 exec, exec, s[28:29]
.LBB253_832:                            ;   in Loop: Header=BB253_619 Depth=1
	s_or_b64 exec, exec, s[26:27]
.LBB253_833:                            ;   in Loop: Header=BB253_619 Depth=1
	s_or_b64 exec, exec, s[24:25]
	v_cmp_ne_u16_sdwa s[4:5], v6, v27 src0_sel:BYTE_1 src1_sel:DWORD
	s_and_saveexec_b64 s[24:25], s[4:5]
	s_cbranch_execz .LBB253_839
; %bb.834:                              ;   in Loop: Header=BB253_619 Depth=1
	v_cmp_ne_u16_sdwa s[4:5], v6, s7 src0_sel:BYTE_1 src1_sel:DWORD
	v_pk_mov_b32 v[10:11], s[10:11], s[10:11] op_sel:[0,1]
	s_and_saveexec_b64 s[26:27], s[4:5]
	s_cbranch_execz .LBB253_838
; %bb.835:                              ;   in Loop: Header=BB253_619 Depth=1
	v_and_b32_sdwa v7, v6, s15 dst_sel:DWORD dst_unused:UNUSED_PAD src0_sel:BYTE_1 src1_sel:DWORD
	s_mov_b32 s22, s10
	v_cmp_ne_u32_e64 s[4:5], s15, v7
	v_pk_mov_b32 v[10:11], s[22:23], s[22:23] op_sel:[0,1]
	s_and_saveexec_b64 s[28:29], s[4:5]
	s_cbranch_execz .LBB253_837
; %bb.836:                              ;   in Loop: Header=BB253_619 Depth=1
	v_mov_b32_e32 v10, 7
	v_and_b32_sdwa v26, v6, v10 dst_sel:DWORD dst_unused:UNUSED_PAD src0_sel:BYTE_1 src1_sel:DWORD
	v_ffbh_u32_e32 v10, v26
	v_min_u32_e32 v13, 32, v10
	v_subrev_u32_e32 v10, 28, v13
	v_lshlrev_b64 v[10:11], v10, v[26:27]
	v_lshrrev_b32_e32 v12, 3, v7
	v_sub_u32_e32 v11, 29, v13
	v_cmp_gt_u32_e64 s[4:5], 8, v7
	v_and_b32_e32 v10, 7, v10
	v_cndmask_b32_e64 v7, v12, v11, s[4:5]
	v_cndmask_b32_e64 v10, v26, v10, s[4:5]
	v_lshlrev_b32_e32 v11, 16, v6
	v_lshl_add_u32 v7, v7, 23, v30
	v_and_or_b32 v7, v11, s11, v7
	v_lshlrev_b32_e32 v10, 20, v10
	v_or_b32_e32 v11, v7, v10
	v_mov_b32_e32 v10, v27
.LBB253_837:                            ;   in Loop: Header=BB253_619 Depth=1
	s_or_b64 exec, exec, s[28:29]
.LBB253_838:                            ;   in Loop: Header=BB253_619 Depth=1
	s_or_b64 exec, exec, s[26:27]
.LBB253_839:                            ;   in Loop: Header=BB253_619 Depth=1
	s_or_b64 exec, exec, s[24:25]
	v_lshrrev_b32_e32 v18, 16, v6
	v_pk_mov_b32 v[16:17], 0, 0
	v_cmp_ne_u16_sdwa s[4:5], v18, v27 src0_sel:BYTE_0 src1_sel:DWORD
	v_pk_mov_b32 v[12:13], v[16:17], v[16:17] op_sel:[0,1]
	s_and_saveexec_b64 s[24:25], s[4:5]
	s_cbranch_execz .LBB253_845
; %bb.840:                              ;   in Loop: Header=BB253_619 Depth=1
	v_bfrev_b32_e32 v12, 1
	v_cmp_ne_u16_sdwa s[4:5], v18, s7 src0_sel:BYTE_0 src1_sel:DWORD
	v_mov_b32_e32 v13, 0
	s_and_saveexec_b64 s[26:27], s[4:5]
	s_cbranch_execz .LBB253_844
; %bb.841:                              ;   in Loop: Header=BB253_619 Depth=1
	v_bfe_u32 v7, v6, 16, 7
	v_mov_b32_e32 v12, 0x7f800001
	v_cmp_ne_u32_e64 s[4:5], s15, v7
	v_mov_b32_e32 v13, 0
	s_and_saveexec_b64 s[28:29], s[4:5]
	s_cbranch_execz .LBB253_843
; %bb.842:                              ;   in Loop: Header=BB253_619 Depth=1
	v_and_b32_e32 v19, 7, v18
	v_ffbh_u32_e32 v12, v19
	v_min_u32_e32 v21, 32, v12
	v_subrev_u32_e32 v12, 28, v21
	v_lshlrev_b64 v[12:13], v12, v[18:19]
	v_lshrrev_b32_e32 v20, 3, v7
	v_sub_u32_e32 v13, 29, v21
	v_and_b32_e32 v12, 7, v12
	v_cmp_gt_u32_e64 s[4:5], 8, v7
	v_cndmask_b32_e64 v7, v20, v13, s[4:5]
	v_cndmask_b32_e64 v12, v19, v12, s[4:5]
	v_lshlrev_b32_e32 v12, 20, v12
	v_and_b32_sdwa v13, sext(v18), s11 dst_sel:DWORD dst_unused:UNUSED_PAD src0_sel:BYTE_0 src1_sel:DWORD
	v_lshl_add_u32 v7, v7, 23, v30
	v_or3_b32 v26, v13, v7, v12
	v_pk_mov_b32 v[12:13], v[26:27], v[26:27] op_sel:[0,1]
.LBB253_843:                            ;   in Loop: Header=BB253_619 Depth=1
	s_or_b64 exec, exec, s[28:29]
.LBB253_844:                            ;   in Loop: Header=BB253_619 Depth=1
	s_or_b64 exec, exec, s[26:27]
.LBB253_845:                            ;   in Loop: Header=BB253_619 Depth=1
	s_or_b64 exec, exec, s[24:25]
	v_cmp_lt_u32_e64 s[4:5], s30, v6
	s_and_saveexec_b64 s[24:25], s[4:5]
	s_cbranch_execz .LBB253_851
; %bb.846:                              ;   in Loop: Header=BB253_619 Depth=1
	v_cmp_ne_u32_sdwa s[4:5], v6, s7 src0_sel:BYTE_3 src1_sel:DWORD
	v_pk_mov_b32 v[16:17], s[10:11], s[10:11] op_sel:[0,1]
	s_and_saveexec_b64 s[26:27], s[4:5]
	s_cbranch_execz .LBB253_850
; %bb.847:                              ;   in Loop: Header=BB253_619 Depth=1
	v_bfe_u32 v7, v6, 24, 7
	s_mov_b32 s22, s10
	v_cmp_ne_u32_e64 s[4:5], s15, v7
	v_pk_mov_b32 v[16:17], s[22:23], s[22:23] op_sel:[0,1]
	s_and_saveexec_b64 s[28:29], s[4:5]
	s_cbranch_execz .LBB253_849
; %bb.848:                              ;   in Loop: Header=BB253_619 Depth=1
	v_mov_b32_e32 v16, 7
	v_and_b32_sdwa v26, v6, v16 dst_sel:DWORD dst_unused:UNUSED_PAD src0_sel:BYTE_3 src1_sel:DWORD
	v_ffbh_u32_e32 v16, v26
	v_min_u32_e32 v19, 32, v16
	v_subrev_u32_e32 v16, 28, v19
	v_lshlrev_b64 v[16:17], v16, v[26:27]
	v_lshrrev_b32_e32 v18, 3, v7
	v_sub_u32_e32 v17, 29, v19
	v_cmp_gt_u32_e64 s[4:5], 8, v7
	v_and_b32_e32 v16, 7, v16
	v_cndmask_b32_e64 v7, v18, v17, s[4:5]
	v_mov_b32_e32 v17, 24
	v_cndmask_b32_e64 v16, v26, v16, s[4:5]
	v_lshlrev_b32_sdwa v6, v17, v6 dst_sel:DWORD dst_unused:UNUSED_PAD src0_sel:DWORD src1_sel:BYTE_3
	v_lshl_add_u32 v7, v7, 23, v30
	v_and_or_b32 v6, v6, s11, v7
	v_lshlrev_b32_e32 v7, 20, v16
	v_or_b32_e32 v17, v6, v7
	v_mov_b32_e32 v16, v27
.LBB253_849:                            ;   in Loop: Header=BB253_619 Depth=1
	s_or_b64 exec, exec, s[28:29]
.LBB253_850:                            ;   in Loop: Header=BB253_619 Depth=1
	s_or_b64 exec, exec, s[26:27]
.LBB253_851:                            ;   in Loop: Header=BB253_619 Depth=1
	s_or_b64 exec, exec, s[24:25]
	v_or_b32_e32 v7, v11, v9
	v_or_b32_e32 v6, v10, v8
	v_pk_mul_f32 v[6:7], v[34:35], v[6:7]
	v_accvgpr_write_b32 a55, v7
	v_accvgpr_write_b32 a54, v6
	v_or_b32_e32 v7, v17, v13
	v_or_b32_e32 v6, v16, v12
	v_pk_mul_f32 v[6:7], v[34:35], v[6:7]
	v_accvgpr_write_b32 a13, v7
	v_accvgpr_write_b32 a12, v6
	s_and_saveexec_b64 s[24:25], vcc
	s_cbranch_execz .LBB253_853
; %bb.852:                              ;   in Loop: Header=BB253_619 Depth=1
	v_accvgpr_read_b32 v6, a10
	v_cmp_lt_i32_e64 s[4:5], v6, v62
	v_accvgpr_read_b32 v8, a54
	v_accvgpr_read_b32 v6, a39
	v_accvgpr_read_b32 v9, a55
	v_cndmask_b32_e64 v8, 0, v8, s[4:5]
	v_cmp_lt_i32_e64 s[4:5], v6, v62
	v_accvgpr_read_b32 v6, a21
	v_cndmask_b32_e64 v9, 0, v9, s[4:5]
	v_cmp_lt_i32_e64 s[4:5], v6, v62
	v_accvgpr_read_b32 v6, a12
	v_accvgpr_read_b32 v7, a13
	v_cndmask_b32_e64 v6, 0, v6, s[4:5]
	v_cmp_lt_i32_e64 s[4:5], v28, v62
	v_cndmask_b32_e64 v7, 0, v7, s[4:5]
	v_accvgpr_write_b32 a55, v9
	v_accvgpr_write_b32 a13, v7
	;; [unrolled: 1-line block ×4, first 2 shown]
.LBB253_853:                            ;   in Loop: Header=BB253_619 Depth=1
	s_or_b64 exec, exec, s[24:25]
	flat_load_dword v6, v[4:5] offset:2304
	v_pk_mov_b32 v[10:11], 0, 0
	v_pk_mov_b32 v[8:9], v[10:11], v[10:11] op_sel:[0,1]
	s_waitcnt vmcnt(0) lgkmcnt(0)
	v_cmp_ne_u16_sdwa s[4:5], v6, v27 src0_sel:BYTE_0 src1_sel:DWORD
	s_and_saveexec_b64 s[24:25], s[4:5]
	s_cbranch_execz .LBB253_859
; %bb.854:                              ;   in Loop: Header=BB253_619 Depth=1
	v_bfrev_b32_e32 v8, 1
	v_cmp_ne_u16_sdwa s[4:5], v6, s7 src0_sel:BYTE_0 src1_sel:DWORD
	v_mov_b32_e32 v9, 0
	s_and_saveexec_b64 s[26:27], s[4:5]
	s_cbranch_execz .LBB253_858
; %bb.855:                              ;   in Loop: Header=BB253_619 Depth=1
	v_and_b32_e32 v7, 0x7f, v6
	v_mov_b32_e32 v8, 0x7f800001
	v_cmp_ne_u32_e64 s[4:5], s15, v7
	v_mov_b32_e32 v9, 0
	s_and_saveexec_b64 s[28:29], s[4:5]
	s_cbranch_execz .LBB253_857
; %bb.856:                              ;   in Loop: Header=BB253_619 Depth=1
	v_and_b32_e32 v12, 7, v6
	v_ffbh_u32_e32 v8, v12
	v_min_u32_e32 v16, 32, v8
	v_subrev_u32_e32 v8, 28, v16
	v_lshlrev_b64 v[8:9], v8, v[6:7]
	v_lshrrev_b32_e32 v13, 3, v7
	v_sub_u32_e32 v9, 29, v16
	v_and_b32_e32 v8, 7, v8
	v_cmp_gt_u32_e64 s[4:5], 8, v7
	v_cndmask_b32_e64 v7, v13, v9, s[4:5]
	v_cndmask_b32_e64 v8, v12, v8, s[4:5]
	v_lshlrev_b32_e32 v8, 20, v8
	v_and_b32_sdwa v9, sext(v6), s11 dst_sel:DWORD dst_unused:UNUSED_PAD src0_sel:BYTE_0 src1_sel:DWORD
	v_lshl_add_u32 v7, v7, 23, v30
	v_or3_b32 v26, v9, v7, v8
	v_pk_mov_b32 v[8:9], v[26:27], v[26:27] op_sel:[0,1]
.LBB253_857:                            ;   in Loop: Header=BB253_619 Depth=1
	s_or_b64 exec, exec, s[28:29]
.LBB253_858:                            ;   in Loop: Header=BB253_619 Depth=1
	s_or_b64 exec, exec, s[26:27]
.LBB253_859:                            ;   in Loop: Header=BB253_619 Depth=1
	s_or_b64 exec, exec, s[24:25]
	v_cmp_ne_u16_sdwa s[4:5], v6, v27 src0_sel:BYTE_1 src1_sel:DWORD
	s_and_saveexec_b64 s[24:25], s[4:5]
	s_cbranch_execz .LBB253_865
; %bb.860:                              ;   in Loop: Header=BB253_619 Depth=1
	v_cmp_ne_u16_sdwa s[4:5], v6, s7 src0_sel:BYTE_1 src1_sel:DWORD
	v_pk_mov_b32 v[10:11], s[10:11], s[10:11] op_sel:[0,1]
	s_and_saveexec_b64 s[26:27], s[4:5]
	s_cbranch_execz .LBB253_864
; %bb.861:                              ;   in Loop: Header=BB253_619 Depth=1
	v_and_b32_sdwa v7, v6, s15 dst_sel:DWORD dst_unused:UNUSED_PAD src0_sel:BYTE_1 src1_sel:DWORD
	s_mov_b32 s22, s10
	v_cmp_ne_u32_e64 s[4:5], s15, v7
	v_pk_mov_b32 v[10:11], s[22:23], s[22:23] op_sel:[0,1]
	s_and_saveexec_b64 s[28:29], s[4:5]
	s_cbranch_execz .LBB253_863
; %bb.862:                              ;   in Loop: Header=BB253_619 Depth=1
	v_mov_b32_e32 v10, 7
	v_and_b32_sdwa v26, v6, v10 dst_sel:DWORD dst_unused:UNUSED_PAD src0_sel:BYTE_1 src1_sel:DWORD
	v_ffbh_u32_e32 v10, v26
	v_min_u32_e32 v13, 32, v10
	v_subrev_u32_e32 v10, 28, v13
	v_lshlrev_b64 v[10:11], v10, v[26:27]
	v_lshrrev_b32_e32 v12, 3, v7
	v_sub_u32_e32 v11, 29, v13
	v_cmp_gt_u32_e64 s[4:5], 8, v7
	v_and_b32_e32 v10, 7, v10
	v_cndmask_b32_e64 v7, v12, v11, s[4:5]
	v_cndmask_b32_e64 v10, v26, v10, s[4:5]
	v_lshlrev_b32_e32 v11, 16, v6
	v_lshl_add_u32 v7, v7, 23, v30
	v_and_or_b32 v7, v11, s11, v7
	v_lshlrev_b32_e32 v10, 20, v10
	v_or_b32_e32 v11, v7, v10
	v_mov_b32_e32 v10, v27
.LBB253_863:                            ;   in Loop: Header=BB253_619 Depth=1
	s_or_b64 exec, exec, s[28:29]
.LBB253_864:                            ;   in Loop: Header=BB253_619 Depth=1
	s_or_b64 exec, exec, s[26:27]
.LBB253_865:                            ;   in Loop: Header=BB253_619 Depth=1
	s_or_b64 exec, exec, s[24:25]
	v_lshrrev_b32_e32 v18, 16, v6
	v_pk_mov_b32 v[16:17], 0, 0
	v_cmp_ne_u16_sdwa s[4:5], v18, v27 src0_sel:BYTE_0 src1_sel:DWORD
	v_pk_mov_b32 v[12:13], v[16:17], v[16:17] op_sel:[0,1]
	s_and_saveexec_b64 s[24:25], s[4:5]
	s_cbranch_execz .LBB253_871
; %bb.866:                              ;   in Loop: Header=BB253_619 Depth=1
	v_bfrev_b32_e32 v12, 1
	v_cmp_ne_u16_sdwa s[4:5], v18, s7 src0_sel:BYTE_0 src1_sel:DWORD
	v_mov_b32_e32 v13, 0
	s_and_saveexec_b64 s[26:27], s[4:5]
	s_cbranch_execz .LBB253_870
; %bb.867:                              ;   in Loop: Header=BB253_619 Depth=1
	v_bfe_u32 v7, v6, 16, 7
	v_mov_b32_e32 v12, 0x7f800001
	v_cmp_ne_u32_e64 s[4:5], s15, v7
	v_mov_b32_e32 v13, 0
	s_and_saveexec_b64 s[28:29], s[4:5]
	s_cbranch_execz .LBB253_869
; %bb.868:                              ;   in Loop: Header=BB253_619 Depth=1
	v_and_b32_e32 v19, 7, v18
	v_ffbh_u32_e32 v12, v19
	v_min_u32_e32 v21, 32, v12
	v_subrev_u32_e32 v12, 28, v21
	v_lshlrev_b64 v[12:13], v12, v[18:19]
	v_lshrrev_b32_e32 v20, 3, v7
	v_sub_u32_e32 v13, 29, v21
	v_and_b32_e32 v12, 7, v12
	v_cmp_gt_u32_e64 s[4:5], 8, v7
	v_cndmask_b32_e64 v7, v20, v13, s[4:5]
	v_cndmask_b32_e64 v12, v19, v12, s[4:5]
	v_lshlrev_b32_e32 v12, 20, v12
	v_and_b32_sdwa v13, sext(v18), s11 dst_sel:DWORD dst_unused:UNUSED_PAD src0_sel:BYTE_0 src1_sel:DWORD
	v_lshl_add_u32 v7, v7, 23, v30
	v_or3_b32 v26, v13, v7, v12
	v_pk_mov_b32 v[12:13], v[26:27], v[26:27] op_sel:[0,1]
.LBB253_869:                            ;   in Loop: Header=BB253_619 Depth=1
	s_or_b64 exec, exec, s[28:29]
.LBB253_870:                            ;   in Loop: Header=BB253_619 Depth=1
	s_or_b64 exec, exec, s[26:27]
.LBB253_871:                            ;   in Loop: Header=BB253_619 Depth=1
	s_or_b64 exec, exec, s[24:25]
	v_cmp_lt_u32_e64 s[4:5], s30, v6
	s_and_saveexec_b64 s[24:25], s[4:5]
	s_cbranch_execz .LBB253_877
; %bb.872:                              ;   in Loop: Header=BB253_619 Depth=1
	v_cmp_ne_u32_sdwa s[4:5], v6, s7 src0_sel:BYTE_3 src1_sel:DWORD
	v_pk_mov_b32 v[16:17], s[10:11], s[10:11] op_sel:[0,1]
	s_and_saveexec_b64 s[26:27], s[4:5]
	s_cbranch_execz .LBB253_876
; %bb.873:                              ;   in Loop: Header=BB253_619 Depth=1
	v_bfe_u32 v7, v6, 24, 7
	s_mov_b32 s22, s10
	v_cmp_ne_u32_e64 s[4:5], s15, v7
	v_pk_mov_b32 v[16:17], s[22:23], s[22:23] op_sel:[0,1]
	s_and_saveexec_b64 s[28:29], s[4:5]
	s_cbranch_execz .LBB253_875
; %bb.874:                              ;   in Loop: Header=BB253_619 Depth=1
	v_mov_b32_e32 v16, 7
	v_and_b32_sdwa v26, v6, v16 dst_sel:DWORD dst_unused:UNUSED_PAD src0_sel:BYTE_3 src1_sel:DWORD
	v_ffbh_u32_e32 v16, v26
	v_min_u32_e32 v19, 32, v16
	v_subrev_u32_e32 v16, 28, v19
	v_lshlrev_b64 v[16:17], v16, v[26:27]
	v_lshrrev_b32_e32 v18, 3, v7
	v_sub_u32_e32 v17, 29, v19
	v_cmp_gt_u32_e64 s[4:5], 8, v7
	v_and_b32_e32 v16, 7, v16
	v_cndmask_b32_e64 v7, v18, v17, s[4:5]
	v_mov_b32_e32 v17, 24
	v_cndmask_b32_e64 v16, v26, v16, s[4:5]
	v_lshlrev_b32_sdwa v6, v17, v6 dst_sel:DWORD dst_unused:UNUSED_PAD src0_sel:DWORD src1_sel:BYTE_3
	v_lshl_add_u32 v7, v7, 23, v30
	v_and_or_b32 v6, v6, s11, v7
	v_lshlrev_b32_e32 v7, 20, v16
	v_or_b32_e32 v17, v6, v7
	v_mov_b32_e32 v16, v27
.LBB253_875:                            ;   in Loop: Header=BB253_619 Depth=1
	s_or_b64 exec, exec, s[28:29]
.LBB253_876:                            ;   in Loop: Header=BB253_619 Depth=1
	s_or_b64 exec, exec, s[26:27]
.LBB253_877:                            ;   in Loop: Header=BB253_619 Depth=1
	s_or_b64 exec, exec, s[24:25]
	v_or_b32_e32 v7, v11, v9
	v_or_b32_e32 v6, v10, v8
	v_pk_mul_f32 v[6:7], v[34:35], v[6:7]
	v_accvgpr_write_b32 a15, v7
	v_accvgpr_write_b32 a14, v6
	v_or_b32_e32 v7, v17, v13
	v_or_b32_e32 v6, v16, v12
	v_pk_mul_f32 v[6:7], v[34:35], v[6:7]
	v_accvgpr_write_b32 a6, v6
	v_accvgpr_write_b32 a7, v7
	s_and_saveexec_b64 s[24:25], vcc
	s_cbranch_execz .LBB253_879
; %bb.878:                              ;   in Loop: Header=BB253_619 Depth=1
	v_accvgpr_read_b32 v6, a10
	v_cmp_lt_i32_e64 s[4:5], v6, v62
	v_accvgpr_read_b32 v8, a14
	v_accvgpr_read_b32 v6, a39
	;; [unrolled: 1-line block ×3, first 2 shown]
	v_cndmask_b32_e64 v8, 0, v8, s[4:5]
	v_cmp_lt_i32_e64 s[4:5], v6, v62
	v_accvgpr_read_b32 v6, a21
	v_cndmask_b32_e64 v9, 0, v9, s[4:5]
	v_cmp_lt_i32_e64 s[4:5], v6, v62
	v_accvgpr_read_b32 v6, a6
	v_accvgpr_read_b32 v7, a7
	v_cndmask_b32_e64 v6, 0, v6, s[4:5]
	v_cmp_lt_i32_e64 s[4:5], v28, v62
	v_accvgpr_write_b32 a15, v9
	v_cndmask_b32_e64 v7, 0, v7, s[4:5]
	v_accvgpr_write_b32 a6, v6
	v_accvgpr_write_b32 a14, v8
	;; [unrolled: 1-line block ×3, first 2 shown]
.LBB253_879:                            ;   in Loop: Header=BB253_619 Depth=1
	s_or_b64 exec, exec, s[24:25]
	flat_load_dword v6, v[4:5] offset:2560
	v_pk_mov_b32 v[10:11], 0, 0
	v_pk_mov_b32 v[8:9], v[10:11], v[10:11] op_sel:[0,1]
	s_waitcnt vmcnt(0) lgkmcnt(0)
	v_cmp_ne_u16_sdwa s[4:5], v6, v27 src0_sel:BYTE_0 src1_sel:DWORD
	s_and_saveexec_b64 s[24:25], s[4:5]
	s_cbranch_execz .LBB253_885
; %bb.880:                              ;   in Loop: Header=BB253_619 Depth=1
	v_bfrev_b32_e32 v8, 1
	v_cmp_ne_u16_sdwa s[4:5], v6, s7 src0_sel:BYTE_0 src1_sel:DWORD
	v_mov_b32_e32 v9, 0
	s_and_saveexec_b64 s[26:27], s[4:5]
	s_cbranch_execz .LBB253_884
; %bb.881:                              ;   in Loop: Header=BB253_619 Depth=1
	v_and_b32_e32 v7, 0x7f, v6
	v_mov_b32_e32 v8, 0x7f800001
	v_cmp_ne_u32_e64 s[4:5], s15, v7
	v_mov_b32_e32 v9, 0
	s_and_saveexec_b64 s[28:29], s[4:5]
	s_cbranch_execz .LBB253_883
; %bb.882:                              ;   in Loop: Header=BB253_619 Depth=1
	v_and_b32_e32 v12, 7, v6
	v_ffbh_u32_e32 v8, v12
	v_min_u32_e32 v16, 32, v8
	v_subrev_u32_e32 v8, 28, v16
	v_lshlrev_b64 v[8:9], v8, v[6:7]
	v_lshrrev_b32_e32 v13, 3, v7
	v_sub_u32_e32 v9, 29, v16
	v_and_b32_e32 v8, 7, v8
	v_cmp_gt_u32_e64 s[4:5], 8, v7
	v_cndmask_b32_e64 v7, v13, v9, s[4:5]
	v_cndmask_b32_e64 v8, v12, v8, s[4:5]
	v_lshlrev_b32_e32 v8, 20, v8
	v_and_b32_sdwa v9, sext(v6), s11 dst_sel:DWORD dst_unused:UNUSED_PAD src0_sel:BYTE_0 src1_sel:DWORD
	v_lshl_add_u32 v7, v7, 23, v30
	v_or3_b32 v26, v9, v7, v8
	v_pk_mov_b32 v[8:9], v[26:27], v[26:27] op_sel:[0,1]
.LBB253_883:                            ;   in Loop: Header=BB253_619 Depth=1
	s_or_b64 exec, exec, s[28:29]
.LBB253_884:                            ;   in Loop: Header=BB253_619 Depth=1
	s_or_b64 exec, exec, s[26:27]
.LBB253_885:                            ;   in Loop: Header=BB253_619 Depth=1
	s_or_b64 exec, exec, s[24:25]
	v_cmp_ne_u16_sdwa s[4:5], v6, v27 src0_sel:BYTE_1 src1_sel:DWORD
	s_and_saveexec_b64 s[24:25], s[4:5]
	s_cbranch_execz .LBB253_891
; %bb.886:                              ;   in Loop: Header=BB253_619 Depth=1
	v_cmp_ne_u16_sdwa s[4:5], v6, s7 src0_sel:BYTE_1 src1_sel:DWORD
	v_pk_mov_b32 v[10:11], s[10:11], s[10:11] op_sel:[0,1]
	s_and_saveexec_b64 s[26:27], s[4:5]
	s_cbranch_execz .LBB253_890
; %bb.887:                              ;   in Loop: Header=BB253_619 Depth=1
	v_and_b32_sdwa v7, v6, s15 dst_sel:DWORD dst_unused:UNUSED_PAD src0_sel:BYTE_1 src1_sel:DWORD
	s_mov_b32 s22, s10
	v_cmp_ne_u32_e64 s[4:5], s15, v7
	v_pk_mov_b32 v[10:11], s[22:23], s[22:23] op_sel:[0,1]
	s_and_saveexec_b64 s[28:29], s[4:5]
	s_cbranch_execz .LBB253_889
; %bb.888:                              ;   in Loop: Header=BB253_619 Depth=1
	v_mov_b32_e32 v10, 7
	v_and_b32_sdwa v26, v6, v10 dst_sel:DWORD dst_unused:UNUSED_PAD src0_sel:BYTE_1 src1_sel:DWORD
	v_ffbh_u32_e32 v10, v26
	v_min_u32_e32 v13, 32, v10
	v_subrev_u32_e32 v10, 28, v13
	v_lshlrev_b64 v[10:11], v10, v[26:27]
	v_lshrrev_b32_e32 v12, 3, v7
	v_sub_u32_e32 v11, 29, v13
	v_cmp_gt_u32_e64 s[4:5], 8, v7
	v_and_b32_e32 v10, 7, v10
	v_cndmask_b32_e64 v7, v12, v11, s[4:5]
	v_cndmask_b32_e64 v10, v26, v10, s[4:5]
	v_lshlrev_b32_e32 v11, 16, v6
	v_lshl_add_u32 v7, v7, 23, v30
	v_and_or_b32 v7, v11, s11, v7
	v_lshlrev_b32_e32 v10, 20, v10
	v_or_b32_e32 v11, v7, v10
	v_mov_b32_e32 v10, v27
.LBB253_889:                            ;   in Loop: Header=BB253_619 Depth=1
	s_or_b64 exec, exec, s[28:29]
.LBB253_890:                            ;   in Loop: Header=BB253_619 Depth=1
	s_or_b64 exec, exec, s[26:27]
.LBB253_891:                            ;   in Loop: Header=BB253_619 Depth=1
	s_or_b64 exec, exec, s[24:25]
	v_lshrrev_b32_e32 v18, 16, v6
	v_pk_mov_b32 v[16:17], 0, 0
	v_cmp_ne_u16_sdwa s[4:5], v18, v27 src0_sel:BYTE_0 src1_sel:DWORD
	v_pk_mov_b32 v[12:13], v[16:17], v[16:17] op_sel:[0,1]
	s_and_saveexec_b64 s[24:25], s[4:5]
	s_cbranch_execz .LBB253_897
; %bb.892:                              ;   in Loop: Header=BB253_619 Depth=1
	v_bfrev_b32_e32 v12, 1
	v_cmp_ne_u16_sdwa s[4:5], v18, s7 src0_sel:BYTE_0 src1_sel:DWORD
	v_mov_b32_e32 v13, 0
	s_and_saveexec_b64 s[26:27], s[4:5]
	s_cbranch_execz .LBB253_896
; %bb.893:                              ;   in Loop: Header=BB253_619 Depth=1
	v_bfe_u32 v7, v6, 16, 7
	v_mov_b32_e32 v12, 0x7f800001
	v_cmp_ne_u32_e64 s[4:5], s15, v7
	v_mov_b32_e32 v13, 0
	s_and_saveexec_b64 s[28:29], s[4:5]
	s_cbranch_execz .LBB253_895
; %bb.894:                              ;   in Loop: Header=BB253_619 Depth=1
	v_and_b32_e32 v19, 7, v18
	v_ffbh_u32_e32 v12, v19
	v_min_u32_e32 v21, 32, v12
	v_subrev_u32_e32 v12, 28, v21
	v_lshlrev_b64 v[12:13], v12, v[18:19]
	v_lshrrev_b32_e32 v20, 3, v7
	v_sub_u32_e32 v13, 29, v21
	v_and_b32_e32 v12, 7, v12
	v_cmp_gt_u32_e64 s[4:5], 8, v7
	v_cndmask_b32_e64 v7, v20, v13, s[4:5]
	v_cndmask_b32_e64 v12, v19, v12, s[4:5]
	v_lshlrev_b32_e32 v12, 20, v12
	v_and_b32_sdwa v13, sext(v18), s11 dst_sel:DWORD dst_unused:UNUSED_PAD src0_sel:BYTE_0 src1_sel:DWORD
	v_lshl_add_u32 v7, v7, 23, v30
	v_or3_b32 v26, v13, v7, v12
	v_pk_mov_b32 v[12:13], v[26:27], v[26:27] op_sel:[0,1]
.LBB253_895:                            ;   in Loop: Header=BB253_619 Depth=1
	s_or_b64 exec, exec, s[28:29]
.LBB253_896:                            ;   in Loop: Header=BB253_619 Depth=1
	s_or_b64 exec, exec, s[26:27]
.LBB253_897:                            ;   in Loop: Header=BB253_619 Depth=1
	s_or_b64 exec, exec, s[24:25]
	v_cmp_lt_u32_e64 s[4:5], s30, v6
	s_and_saveexec_b64 s[24:25], s[4:5]
	s_cbranch_execz .LBB253_903
; %bb.898:                              ;   in Loop: Header=BB253_619 Depth=1
	v_cmp_ne_u32_sdwa s[4:5], v6, s7 src0_sel:BYTE_3 src1_sel:DWORD
	v_pk_mov_b32 v[16:17], s[10:11], s[10:11] op_sel:[0,1]
	s_and_saveexec_b64 s[26:27], s[4:5]
	s_cbranch_execz .LBB253_902
; %bb.899:                              ;   in Loop: Header=BB253_619 Depth=1
	v_bfe_u32 v7, v6, 24, 7
	s_mov_b32 s22, s10
	v_cmp_ne_u32_e64 s[4:5], s15, v7
	v_pk_mov_b32 v[16:17], s[22:23], s[22:23] op_sel:[0,1]
	s_and_saveexec_b64 s[28:29], s[4:5]
	s_cbranch_execz .LBB253_901
; %bb.900:                              ;   in Loop: Header=BB253_619 Depth=1
	v_mov_b32_e32 v16, 7
	v_and_b32_sdwa v26, v6, v16 dst_sel:DWORD dst_unused:UNUSED_PAD src0_sel:BYTE_3 src1_sel:DWORD
	v_ffbh_u32_e32 v16, v26
	v_min_u32_e32 v19, 32, v16
	v_subrev_u32_e32 v16, 28, v19
	v_lshlrev_b64 v[16:17], v16, v[26:27]
	v_lshrrev_b32_e32 v18, 3, v7
	v_sub_u32_e32 v17, 29, v19
	v_cmp_gt_u32_e64 s[4:5], 8, v7
	v_and_b32_e32 v16, 7, v16
	v_cndmask_b32_e64 v7, v18, v17, s[4:5]
	v_mov_b32_e32 v17, 24
	v_cndmask_b32_e64 v16, v26, v16, s[4:5]
	v_lshlrev_b32_sdwa v6, v17, v6 dst_sel:DWORD dst_unused:UNUSED_PAD src0_sel:DWORD src1_sel:BYTE_3
	v_lshl_add_u32 v7, v7, 23, v30
	v_and_or_b32 v6, v6, s11, v7
	v_lshlrev_b32_e32 v7, 20, v16
	v_or_b32_e32 v17, v6, v7
	v_mov_b32_e32 v16, v27
.LBB253_901:                            ;   in Loop: Header=BB253_619 Depth=1
	s_or_b64 exec, exec, s[28:29]
.LBB253_902:                            ;   in Loop: Header=BB253_619 Depth=1
	s_or_b64 exec, exec, s[26:27]
.LBB253_903:                            ;   in Loop: Header=BB253_619 Depth=1
	s_or_b64 exec, exec, s[24:25]
	v_or_b32_e32 v7, v11, v9
	v_or_b32_e32 v6, v10, v8
	v_pk_mul_f32 v[6:7], v[34:35], v[6:7]
	v_accvgpr_write_b32 a9, v7
	v_accvgpr_write_b32 a8, v6
	v_or_b32_e32 v7, v17, v13
	v_or_b32_e32 v6, v16, v12
	v_pk_mul_f32 v[6:7], v[34:35], v[6:7]
	v_accvgpr_write_b32 a57, v7
	v_accvgpr_write_b32 a56, v6
	s_and_saveexec_b64 s[24:25], vcc
	s_cbranch_execz .LBB253_905
; %bb.904:                              ;   in Loop: Header=BB253_619 Depth=1
	v_accvgpr_read_b32 v6, a10
	v_cmp_lt_i32_e64 s[4:5], v6, v62
	v_accvgpr_read_b32 v8, a8
	v_accvgpr_read_b32 v6, a39
	;; [unrolled: 1-line block ×3, first 2 shown]
	v_cndmask_b32_e64 v8, 0, v8, s[4:5]
	v_cmp_lt_i32_e64 s[4:5], v6, v62
	v_accvgpr_read_b32 v6, a21
	v_cndmask_b32_e64 v9, 0, v9, s[4:5]
	v_cmp_lt_i32_e64 s[4:5], v6, v62
	v_accvgpr_read_b32 v6, a56
	v_accvgpr_read_b32 v7, a57
	v_cndmask_b32_e64 v6, 0, v6, s[4:5]
	v_cmp_lt_i32_e64 s[4:5], v28, v62
	v_cndmask_b32_e64 v7, 0, v7, s[4:5]
	v_accvgpr_write_b32 a8, v8
	v_accvgpr_write_b32 a57, v7
	;; [unrolled: 1-line block ×4, first 2 shown]
.LBB253_905:                            ;   in Loop: Header=BB253_619 Depth=1
	s_or_b64 exec, exec, s[24:25]
	flat_load_dword v6, v[4:5] offset:2816
	v_pk_mov_b32 v[10:11], 0, 0
	v_pk_mov_b32 v[8:9], v[10:11], v[10:11] op_sel:[0,1]
	s_waitcnt vmcnt(0) lgkmcnt(0)
	v_cmp_ne_u16_sdwa s[4:5], v6, v27 src0_sel:BYTE_0 src1_sel:DWORD
	s_and_saveexec_b64 s[24:25], s[4:5]
	s_cbranch_execz .LBB253_911
; %bb.906:                              ;   in Loop: Header=BB253_619 Depth=1
	v_bfrev_b32_e32 v8, 1
	v_cmp_ne_u16_sdwa s[4:5], v6, s7 src0_sel:BYTE_0 src1_sel:DWORD
	v_mov_b32_e32 v9, 0
	s_and_saveexec_b64 s[26:27], s[4:5]
	s_cbranch_execz .LBB253_910
; %bb.907:                              ;   in Loop: Header=BB253_619 Depth=1
	v_and_b32_e32 v7, 0x7f, v6
	v_mov_b32_e32 v8, 0x7f800001
	v_cmp_ne_u32_e64 s[4:5], s15, v7
	v_mov_b32_e32 v9, 0
	s_and_saveexec_b64 s[28:29], s[4:5]
	s_cbranch_execz .LBB253_909
; %bb.908:                              ;   in Loop: Header=BB253_619 Depth=1
	v_and_b32_e32 v12, 7, v6
	v_ffbh_u32_e32 v8, v12
	v_min_u32_e32 v16, 32, v8
	v_subrev_u32_e32 v8, 28, v16
	v_lshlrev_b64 v[8:9], v8, v[6:7]
	v_lshrrev_b32_e32 v13, 3, v7
	v_sub_u32_e32 v9, 29, v16
	v_and_b32_e32 v8, 7, v8
	v_cmp_gt_u32_e64 s[4:5], 8, v7
	v_cndmask_b32_e64 v7, v13, v9, s[4:5]
	v_cndmask_b32_e64 v8, v12, v8, s[4:5]
	v_lshlrev_b32_e32 v8, 20, v8
	v_and_b32_sdwa v9, sext(v6), s11 dst_sel:DWORD dst_unused:UNUSED_PAD src0_sel:BYTE_0 src1_sel:DWORD
	v_lshl_add_u32 v7, v7, 23, v30
	v_or3_b32 v26, v9, v7, v8
	v_pk_mov_b32 v[8:9], v[26:27], v[26:27] op_sel:[0,1]
.LBB253_909:                            ;   in Loop: Header=BB253_619 Depth=1
	s_or_b64 exec, exec, s[28:29]
.LBB253_910:                            ;   in Loop: Header=BB253_619 Depth=1
	s_or_b64 exec, exec, s[26:27]
.LBB253_911:                            ;   in Loop: Header=BB253_619 Depth=1
	s_or_b64 exec, exec, s[24:25]
	v_cmp_ne_u16_sdwa s[4:5], v6, v27 src0_sel:BYTE_1 src1_sel:DWORD
	s_and_saveexec_b64 s[24:25], s[4:5]
	s_cbranch_execz .LBB253_917
; %bb.912:                              ;   in Loop: Header=BB253_619 Depth=1
	v_cmp_ne_u16_sdwa s[4:5], v6, s7 src0_sel:BYTE_1 src1_sel:DWORD
	v_pk_mov_b32 v[10:11], s[10:11], s[10:11] op_sel:[0,1]
	s_and_saveexec_b64 s[26:27], s[4:5]
	s_cbranch_execz .LBB253_916
; %bb.913:                              ;   in Loop: Header=BB253_619 Depth=1
	v_and_b32_sdwa v7, v6, s15 dst_sel:DWORD dst_unused:UNUSED_PAD src0_sel:BYTE_1 src1_sel:DWORD
	s_mov_b32 s22, s10
	v_cmp_ne_u32_e64 s[4:5], s15, v7
	v_pk_mov_b32 v[10:11], s[22:23], s[22:23] op_sel:[0,1]
	s_and_saveexec_b64 s[28:29], s[4:5]
	s_cbranch_execz .LBB253_915
; %bb.914:                              ;   in Loop: Header=BB253_619 Depth=1
	v_mov_b32_e32 v10, 7
	v_and_b32_sdwa v26, v6, v10 dst_sel:DWORD dst_unused:UNUSED_PAD src0_sel:BYTE_1 src1_sel:DWORD
	v_ffbh_u32_e32 v10, v26
	v_min_u32_e32 v13, 32, v10
	v_subrev_u32_e32 v10, 28, v13
	v_lshlrev_b64 v[10:11], v10, v[26:27]
	v_lshrrev_b32_e32 v12, 3, v7
	v_sub_u32_e32 v11, 29, v13
	v_cmp_gt_u32_e64 s[4:5], 8, v7
	v_and_b32_e32 v10, 7, v10
	v_cndmask_b32_e64 v7, v12, v11, s[4:5]
	v_cndmask_b32_e64 v10, v26, v10, s[4:5]
	v_lshlrev_b32_e32 v11, 16, v6
	v_lshl_add_u32 v7, v7, 23, v30
	v_and_or_b32 v7, v11, s11, v7
	v_lshlrev_b32_e32 v10, 20, v10
	v_or_b32_e32 v11, v7, v10
	v_mov_b32_e32 v10, v27
.LBB253_915:                            ;   in Loop: Header=BB253_619 Depth=1
	s_or_b64 exec, exec, s[28:29]
.LBB253_916:                            ;   in Loop: Header=BB253_619 Depth=1
	s_or_b64 exec, exec, s[26:27]
.LBB253_917:                            ;   in Loop: Header=BB253_619 Depth=1
	s_or_b64 exec, exec, s[24:25]
	v_lshrrev_b32_e32 v18, 16, v6
	v_pk_mov_b32 v[12:13], 0, 0
	v_cmp_ne_u16_sdwa s[4:5], v18, v27 src0_sel:BYTE_0 src1_sel:DWORD
	v_pk_mov_b32 v[16:17], v[12:13], v[12:13] op_sel:[0,1]
	s_and_saveexec_b64 s[24:25], s[4:5]
	s_cbranch_execz .LBB253_923
; %bb.918:                              ;   in Loop: Header=BB253_619 Depth=1
	v_bfrev_b32_e32 v16, 1
	v_cmp_ne_u16_sdwa s[4:5], v18, s7 src0_sel:BYTE_0 src1_sel:DWORD
	v_mov_b32_e32 v17, 0
	s_and_saveexec_b64 s[26:27], s[4:5]
	s_cbranch_execz .LBB253_922
; %bb.919:                              ;   in Loop: Header=BB253_619 Depth=1
	v_bfe_u32 v7, v6, 16, 7
	v_mov_b32_e32 v16, 0x7f800001
	v_cmp_ne_u32_e64 s[4:5], s15, v7
	v_mov_b32_e32 v17, 0
	s_and_saveexec_b64 s[28:29], s[4:5]
	s_cbranch_execz .LBB253_921
; %bb.920:                              ;   in Loop: Header=BB253_619 Depth=1
	v_and_b32_e32 v19, 7, v18
	v_lshrrev_b32_e32 v20, 3, v7
	v_cmp_gt_u32_e64 s[4:5], 8, v7
	v_ffbh_u32_e32 v7, v19
	v_min_u32_e32 v7, 32, v7
	v_subrev_u32_e32 v16, 28, v7
	v_lshlrev_b64 v[16:17], v16, v[18:19]
	v_sub_u32_e32 v7, 29, v7
	v_and_b32_e32 v16, 7, v16
	v_cndmask_b32_e64 v7, v20, v7, s[4:5]
	v_cndmask_b32_e64 v16, v19, v16, s[4:5]
	v_lshlrev_b32_e32 v16, 20, v16
	v_and_b32_sdwa v17, sext(v18), s11 dst_sel:DWORD dst_unused:UNUSED_PAD src0_sel:BYTE_0 src1_sel:DWORD
	v_lshl_add_u32 v7, v7, 23, v30
	v_or3_b32 v26, v17, v7, v16
	v_pk_mov_b32 v[16:17], v[26:27], v[26:27] op_sel:[0,1]
.LBB253_921:                            ;   in Loop: Header=BB253_619 Depth=1
	s_or_b64 exec, exec, s[28:29]
.LBB253_922:                            ;   in Loop: Header=BB253_619 Depth=1
	s_or_b64 exec, exec, s[26:27]
.LBB253_923:                            ;   in Loop: Header=BB253_619 Depth=1
	s_or_b64 exec, exec, s[24:25]
	v_cmp_lt_u32_e64 s[4:5], s30, v6
	s_and_saveexec_b64 s[24:25], s[4:5]
	s_cbranch_execz .LBB253_929
; %bb.924:                              ;   in Loop: Header=BB253_619 Depth=1
	v_cmp_ne_u32_sdwa s[4:5], v6, s7 src0_sel:BYTE_3 src1_sel:DWORD
	v_pk_mov_b32 v[12:13], s[10:11], s[10:11] op_sel:[0,1]
	s_and_saveexec_b64 s[26:27], s[4:5]
	s_cbranch_execz .LBB253_928
; %bb.925:                              ;   in Loop: Header=BB253_619 Depth=1
	v_bfe_u32 v7, v6, 24, 7
	s_mov_b32 s22, s10
	v_cmp_ne_u32_e64 s[4:5], s15, v7
	v_pk_mov_b32 v[12:13], s[22:23], s[22:23] op_sel:[0,1]
	s_and_saveexec_b64 s[28:29], s[4:5]
	s_cbranch_execz .LBB253_927
; %bb.926:                              ;   in Loop: Header=BB253_619 Depth=1
	v_mov_b32_e32 v12, 7
	v_and_b32_sdwa v26, v6, v12 dst_sel:DWORD dst_unused:UNUSED_PAD src0_sel:BYTE_3 src1_sel:DWORD
	v_ffbh_u32_e32 v12, v26
	v_min_u32_e32 v19, 32, v12
	v_subrev_u32_e32 v12, 28, v19
	v_lshlrev_b64 v[12:13], v12, v[26:27]
	v_lshrrev_b32_e32 v18, 3, v7
	v_sub_u32_e32 v13, 29, v19
	v_cmp_gt_u32_e64 s[4:5], 8, v7
	v_and_b32_e32 v12, 7, v12
	v_cndmask_b32_e64 v7, v18, v13, s[4:5]
	v_mov_b32_e32 v13, 24
	v_cndmask_b32_e64 v12, v26, v12, s[4:5]
	v_lshlrev_b32_sdwa v6, v13, v6 dst_sel:DWORD dst_unused:UNUSED_PAD src0_sel:DWORD src1_sel:BYTE_3
	v_lshl_add_u32 v7, v7, 23, v30
	v_and_or_b32 v6, v6, s11, v7
	v_lshlrev_b32_e32 v7, 20, v12
	v_or_b32_e32 v13, v6, v7
	v_mov_b32_e32 v12, v27
.LBB253_927:                            ;   in Loop: Header=BB253_619 Depth=1
	s_or_b64 exec, exec, s[28:29]
.LBB253_928:                            ;   in Loop: Header=BB253_619 Depth=1
	s_or_b64 exec, exec, s[26:27]
.LBB253_929:                            ;   in Loop: Header=BB253_619 Depth=1
	s_or_b64 exec, exec, s[24:25]
	v_or_b32_e32 v7, v11, v9
	v_or_b32_e32 v6, v10, v8
	v_pk_mul_f32 v[6:7], v[34:35], v[6:7]
	v_accvgpr_write_b32 a59, v7
	v_accvgpr_write_b32 a58, v6
	v_or_b32_e32 v7, v13, v17
	v_or_b32_e32 v6, v12, v16
	v_pk_mul_f32 v[6:7], v[34:35], v[6:7]
	v_accvgpr_write_b32 a61, v7
	v_accvgpr_write_b32 a60, v6
	s_and_saveexec_b64 s[24:25], vcc
	s_cbranch_execz .LBB253_931
; %bb.930:                              ;   in Loop: Header=BB253_619 Depth=1
	v_accvgpr_read_b32 v6, a10
	v_cmp_lt_i32_e64 s[4:5], v6, v62
	v_accvgpr_read_b32 v8, a58
	v_accvgpr_read_b32 v6, a39
	;; [unrolled: 1-line block ×3, first 2 shown]
	v_cndmask_b32_e64 v8, 0, v8, s[4:5]
	v_cmp_lt_i32_e64 s[4:5], v6, v62
	v_accvgpr_read_b32 v6, a21
	v_cndmask_b32_e64 v9, 0, v9, s[4:5]
	v_cmp_lt_i32_e64 s[4:5], v6, v62
	v_accvgpr_read_b32 v6, a60
	v_accvgpr_read_b32 v7, a61
	v_cndmask_b32_e64 v6, 0, v6, s[4:5]
	v_cmp_lt_i32_e64 s[4:5], v28, v62
	v_cndmask_b32_e64 v7, 0, v7, s[4:5]
	v_accvgpr_write_b32 a59, v9
	v_accvgpr_write_b32 a61, v7
	v_accvgpr_write_b32 a58, v8
	v_accvgpr_write_b32 a60, v6
.LBB253_931:                            ;   in Loop: Header=BB253_619 Depth=1
	s_or_b64 exec, exec, s[24:25]
	flat_load_dword v6, v[4:5] offset:3072
	v_pk_mov_b32 v[10:11], 0, 0
	v_pk_mov_b32 v[8:9], v[10:11], v[10:11] op_sel:[0,1]
	s_waitcnt vmcnt(0) lgkmcnt(0)
	v_cmp_ne_u16_sdwa s[4:5], v6, v27 src0_sel:BYTE_0 src1_sel:DWORD
	s_and_saveexec_b64 s[24:25], s[4:5]
	s_cbranch_execz .LBB253_937
; %bb.932:                              ;   in Loop: Header=BB253_619 Depth=1
	v_bfrev_b32_e32 v8, 1
	v_cmp_ne_u16_sdwa s[4:5], v6, s7 src0_sel:BYTE_0 src1_sel:DWORD
	v_mov_b32_e32 v9, 0
	s_and_saveexec_b64 s[26:27], s[4:5]
	s_cbranch_execz .LBB253_936
; %bb.933:                              ;   in Loop: Header=BB253_619 Depth=1
	v_and_b32_e32 v7, 0x7f, v6
	v_mov_b32_e32 v8, 0x7f800001
	v_cmp_ne_u32_e64 s[4:5], s15, v7
	v_mov_b32_e32 v9, 0
	s_and_saveexec_b64 s[28:29], s[4:5]
	s_cbranch_execz .LBB253_935
; %bb.934:                              ;   in Loop: Header=BB253_619 Depth=1
	v_and_b32_e32 v12, 7, v6
	v_ffbh_u32_e32 v8, v12
	v_min_u32_e32 v16, 32, v8
	v_subrev_u32_e32 v8, 28, v16
	v_lshlrev_b64 v[8:9], v8, v[6:7]
	v_lshrrev_b32_e32 v13, 3, v7
	v_sub_u32_e32 v9, 29, v16
	v_and_b32_e32 v8, 7, v8
	v_cmp_gt_u32_e64 s[4:5], 8, v7
	v_cndmask_b32_e64 v7, v13, v9, s[4:5]
	v_cndmask_b32_e64 v8, v12, v8, s[4:5]
	v_lshlrev_b32_e32 v8, 20, v8
	v_and_b32_sdwa v9, sext(v6), s11 dst_sel:DWORD dst_unused:UNUSED_PAD src0_sel:BYTE_0 src1_sel:DWORD
	v_lshl_add_u32 v7, v7, 23, v30
	v_or3_b32 v26, v9, v7, v8
	v_pk_mov_b32 v[8:9], v[26:27], v[26:27] op_sel:[0,1]
.LBB253_935:                            ;   in Loop: Header=BB253_619 Depth=1
	s_or_b64 exec, exec, s[28:29]
.LBB253_936:                            ;   in Loop: Header=BB253_619 Depth=1
	s_or_b64 exec, exec, s[26:27]
.LBB253_937:                            ;   in Loop: Header=BB253_619 Depth=1
	s_or_b64 exec, exec, s[24:25]
	v_cmp_ne_u16_sdwa s[4:5], v6, v27 src0_sel:BYTE_1 src1_sel:DWORD
	s_and_saveexec_b64 s[24:25], s[4:5]
	s_cbranch_execz .LBB253_943
; %bb.938:                              ;   in Loop: Header=BB253_619 Depth=1
	v_cmp_ne_u16_sdwa s[4:5], v6, s7 src0_sel:BYTE_1 src1_sel:DWORD
	v_pk_mov_b32 v[10:11], s[10:11], s[10:11] op_sel:[0,1]
	s_and_saveexec_b64 s[26:27], s[4:5]
	s_cbranch_execz .LBB253_942
; %bb.939:                              ;   in Loop: Header=BB253_619 Depth=1
	v_and_b32_sdwa v7, v6, s15 dst_sel:DWORD dst_unused:UNUSED_PAD src0_sel:BYTE_1 src1_sel:DWORD
	s_mov_b32 s22, s10
	v_cmp_ne_u32_e64 s[4:5], s15, v7
	v_pk_mov_b32 v[10:11], s[22:23], s[22:23] op_sel:[0,1]
	s_and_saveexec_b64 s[28:29], s[4:5]
	s_cbranch_execz .LBB253_941
; %bb.940:                              ;   in Loop: Header=BB253_619 Depth=1
	v_mov_b32_e32 v10, 7
	v_and_b32_sdwa v26, v6, v10 dst_sel:DWORD dst_unused:UNUSED_PAD src0_sel:BYTE_1 src1_sel:DWORD
	v_ffbh_u32_e32 v10, v26
	v_min_u32_e32 v13, 32, v10
	v_subrev_u32_e32 v10, 28, v13
	v_lshlrev_b64 v[10:11], v10, v[26:27]
	v_lshrrev_b32_e32 v12, 3, v7
	v_sub_u32_e32 v11, 29, v13
	v_cmp_gt_u32_e64 s[4:5], 8, v7
	v_and_b32_e32 v10, 7, v10
	v_cndmask_b32_e64 v7, v12, v11, s[4:5]
	v_cndmask_b32_e64 v10, v26, v10, s[4:5]
	v_lshlrev_b32_e32 v11, 16, v6
	v_lshl_add_u32 v7, v7, 23, v30
	v_and_or_b32 v7, v11, s11, v7
	v_lshlrev_b32_e32 v10, 20, v10
	v_or_b32_e32 v11, v7, v10
	v_mov_b32_e32 v10, v27
.LBB253_941:                            ;   in Loop: Header=BB253_619 Depth=1
	s_or_b64 exec, exec, s[28:29]
.LBB253_942:                            ;   in Loop: Header=BB253_619 Depth=1
	s_or_b64 exec, exec, s[26:27]
.LBB253_943:                            ;   in Loop: Header=BB253_619 Depth=1
	s_or_b64 exec, exec, s[24:25]
	v_lshrrev_b32_e32 v18, 16, v6
	v_pk_mov_b32 v[16:17], 0, 0
	v_cmp_ne_u16_sdwa s[4:5], v18, v27 src0_sel:BYTE_0 src1_sel:DWORD
	v_pk_mov_b32 v[12:13], v[16:17], v[16:17] op_sel:[0,1]
	s_and_saveexec_b64 s[24:25], s[4:5]
	s_cbranch_execz .LBB253_949
; %bb.944:                              ;   in Loop: Header=BB253_619 Depth=1
	v_bfrev_b32_e32 v12, 1
	v_cmp_ne_u16_sdwa s[4:5], v18, s7 src0_sel:BYTE_0 src1_sel:DWORD
	v_mov_b32_e32 v13, 0
	s_and_saveexec_b64 s[26:27], s[4:5]
	s_cbranch_execz .LBB253_948
; %bb.945:                              ;   in Loop: Header=BB253_619 Depth=1
	v_bfe_u32 v7, v6, 16, 7
	v_mov_b32_e32 v12, 0x7f800001
	v_cmp_ne_u32_e64 s[4:5], s15, v7
	v_mov_b32_e32 v13, 0
	s_and_saveexec_b64 s[28:29], s[4:5]
	s_cbranch_execz .LBB253_947
; %bb.946:                              ;   in Loop: Header=BB253_619 Depth=1
	v_and_b32_e32 v19, 7, v18
	v_lshrrev_b32_e32 v20, 3, v7
	v_cmp_gt_u32_e64 s[4:5], 8, v7
	v_ffbh_u32_e32 v7, v19
	v_min_u32_e32 v7, 32, v7
	v_subrev_u32_e32 v12, 28, v7
	v_lshlrev_b64 v[12:13], v12, v[18:19]
	v_sub_u32_e32 v7, 29, v7
	v_and_b32_e32 v12, 7, v12
	v_cndmask_b32_e64 v7, v20, v7, s[4:5]
	v_cndmask_b32_e64 v12, v19, v12, s[4:5]
	v_lshlrev_b32_e32 v12, 20, v12
	v_and_b32_sdwa v13, sext(v18), s11 dst_sel:DWORD dst_unused:UNUSED_PAD src0_sel:BYTE_0 src1_sel:DWORD
	v_lshl_add_u32 v7, v7, 23, v30
	v_or3_b32 v26, v13, v7, v12
	v_pk_mov_b32 v[12:13], v[26:27], v[26:27] op_sel:[0,1]
.LBB253_947:                            ;   in Loop: Header=BB253_619 Depth=1
	s_or_b64 exec, exec, s[28:29]
.LBB253_948:                            ;   in Loop: Header=BB253_619 Depth=1
	s_or_b64 exec, exec, s[26:27]
.LBB253_949:                            ;   in Loop: Header=BB253_619 Depth=1
	s_or_b64 exec, exec, s[24:25]
	v_cmp_lt_u32_e64 s[4:5], s30, v6
	s_and_saveexec_b64 s[24:25], s[4:5]
	s_cbranch_execz .LBB253_955
; %bb.950:                              ;   in Loop: Header=BB253_619 Depth=1
	v_cmp_ne_u32_sdwa s[4:5], v6, s7 src0_sel:BYTE_3 src1_sel:DWORD
	v_pk_mov_b32 v[16:17], s[10:11], s[10:11] op_sel:[0,1]
	s_and_saveexec_b64 s[26:27], s[4:5]
	s_cbranch_execz .LBB253_954
; %bb.951:                              ;   in Loop: Header=BB253_619 Depth=1
	v_bfe_u32 v7, v6, 24, 7
	s_mov_b32 s22, s10
	v_cmp_ne_u32_e64 s[4:5], s15, v7
	v_pk_mov_b32 v[16:17], s[22:23], s[22:23] op_sel:[0,1]
	s_and_saveexec_b64 s[28:29], s[4:5]
	s_cbranch_execz .LBB253_953
; %bb.952:                              ;   in Loop: Header=BB253_619 Depth=1
	v_mov_b32_e32 v16, 7
	v_and_b32_sdwa v26, v6, v16 dst_sel:DWORD dst_unused:UNUSED_PAD src0_sel:BYTE_3 src1_sel:DWORD
	v_lshrrev_b32_e32 v18, 3, v7
	v_cmp_gt_u32_e64 s[4:5], 8, v7
	v_ffbh_u32_e32 v7, v26
	v_min_u32_e32 v7, 32, v7
	v_subrev_u32_e32 v16, 28, v7
	v_lshlrev_b64 v[16:17], v16, v[26:27]
	v_sub_u32_e32 v7, 29, v7
	v_and_b32_e32 v16, 7, v16
	v_cndmask_b32_e64 v7, v18, v7, s[4:5]
	v_mov_b32_e32 v17, 24
	v_cndmask_b32_e64 v16, v26, v16, s[4:5]
	v_lshlrev_b32_sdwa v6, v17, v6 dst_sel:DWORD dst_unused:UNUSED_PAD src0_sel:DWORD src1_sel:BYTE_3
	v_lshl_add_u32 v7, v7, 23, v30
	v_and_or_b32 v6, v6, s11, v7
	v_lshlrev_b32_e32 v7, 20, v16
	v_or_b32_e32 v17, v6, v7
	v_mov_b32_e32 v16, v27
.LBB253_953:                            ;   in Loop: Header=BB253_619 Depth=1
	s_or_b64 exec, exec, s[28:29]
.LBB253_954:                            ;   in Loop: Header=BB253_619 Depth=1
	s_or_b64 exec, exec, s[26:27]
.LBB253_955:                            ;   in Loop: Header=BB253_619 Depth=1
	s_or_b64 exec, exec, s[24:25]
	v_or_b32_e32 v7, v11, v9
	v_or_b32_e32 v6, v10, v8
	v_pk_mul_f32 v[6:7], v[34:35], v[6:7]
	v_accvgpr_write_b32 a63, v7
	v_accvgpr_write_b32 a62, v6
	v_or_b32_e32 v7, v17, v13
	v_or_b32_e32 v6, v16, v12
	v_pk_mul_f32 v[6:7], v[34:35], v[6:7]
	v_accvgpr_write_b32 a2, v6
	v_accvgpr_write_b32 a3, v7
	s_and_saveexec_b64 s[24:25], vcc
	s_cbranch_execz .LBB253_957
; %bb.956:                              ;   in Loop: Header=BB253_619 Depth=1
	v_accvgpr_read_b32 v6, a10
	v_cmp_lt_i32_e64 s[4:5], v6, v62
	v_accvgpr_read_b32 v8, a62
	v_accvgpr_read_b32 v6, a39
	;; [unrolled: 1-line block ×3, first 2 shown]
	v_cndmask_b32_e64 v8, 0, v8, s[4:5]
	v_cmp_lt_i32_e64 s[4:5], v6, v62
	v_accvgpr_read_b32 v6, a21
	v_cndmask_b32_e64 v9, 0, v9, s[4:5]
	v_cmp_lt_i32_e64 s[4:5], v6, v62
	v_accvgpr_read_b32 v7, a3
	v_accvgpr_read_b32 v6, a2
	v_cndmask_b32_e64 v6, 0, v6, s[4:5]
	v_cmp_lt_i32_e64 s[4:5], v28, v62
	v_accvgpr_write_b32 a63, v9
	v_cndmask_b32_e64 v7, 0, v7, s[4:5]
	v_accvgpr_write_b32 a2, v6
	v_accvgpr_write_b32 a62, v8
	;; [unrolled: 1-line block ×3, first 2 shown]
.LBB253_957:                            ;   in Loop: Header=BB253_619 Depth=1
	s_or_b64 exec, exec, s[24:25]
	flat_load_dword v6, v[4:5] offset:3328
	v_pk_mov_b32 v[10:11], 0, 0
	v_pk_mov_b32 v[8:9], v[10:11], v[10:11] op_sel:[0,1]
	s_waitcnt vmcnt(0) lgkmcnt(0)
	v_cmp_ne_u16_sdwa s[4:5], v6, v27 src0_sel:BYTE_0 src1_sel:DWORD
	s_and_saveexec_b64 s[24:25], s[4:5]
	s_cbranch_execz .LBB253_963
; %bb.958:                              ;   in Loop: Header=BB253_619 Depth=1
	v_bfrev_b32_e32 v8, 1
	v_cmp_ne_u16_sdwa s[4:5], v6, s7 src0_sel:BYTE_0 src1_sel:DWORD
	v_mov_b32_e32 v9, 0
	s_and_saveexec_b64 s[26:27], s[4:5]
	s_cbranch_execz .LBB253_962
; %bb.959:                              ;   in Loop: Header=BB253_619 Depth=1
	v_and_b32_e32 v7, 0x7f, v6
	v_mov_b32_e32 v8, 0x7f800001
	v_cmp_ne_u32_e64 s[4:5], s15, v7
	v_mov_b32_e32 v9, 0
	s_and_saveexec_b64 s[28:29], s[4:5]
	s_cbranch_execz .LBB253_961
; %bb.960:                              ;   in Loop: Header=BB253_619 Depth=1
	v_and_b32_e32 v12, 7, v6
	v_lshrrev_b32_e32 v13, 3, v7
	v_cmp_gt_u32_e64 s[4:5], 8, v7
	v_ffbh_u32_e32 v7, v12
	v_min_u32_e32 v7, 32, v7
	v_subrev_u32_e32 v8, 28, v7
	v_lshlrev_b64 v[8:9], v8, v[6:7]
	v_sub_u32_e32 v7, 29, v7
	v_and_b32_e32 v8, 7, v8
	v_cndmask_b32_e64 v7, v13, v7, s[4:5]
	v_cndmask_b32_e64 v8, v12, v8, s[4:5]
	v_lshlrev_b32_e32 v8, 20, v8
	v_and_b32_sdwa v9, sext(v6), s11 dst_sel:DWORD dst_unused:UNUSED_PAD src0_sel:BYTE_0 src1_sel:DWORD
	v_lshl_add_u32 v7, v7, 23, v30
	v_or3_b32 v26, v9, v7, v8
	v_pk_mov_b32 v[8:9], v[26:27], v[26:27] op_sel:[0,1]
.LBB253_961:                            ;   in Loop: Header=BB253_619 Depth=1
	s_or_b64 exec, exec, s[28:29]
.LBB253_962:                            ;   in Loop: Header=BB253_619 Depth=1
	s_or_b64 exec, exec, s[26:27]
.LBB253_963:                            ;   in Loop: Header=BB253_619 Depth=1
	s_or_b64 exec, exec, s[24:25]
	v_cmp_ne_u16_sdwa s[4:5], v6, v27 src0_sel:BYTE_1 src1_sel:DWORD
	s_and_saveexec_b64 s[24:25], s[4:5]
	s_cbranch_execz .LBB253_969
; %bb.964:                              ;   in Loop: Header=BB253_619 Depth=1
	v_cmp_ne_u16_sdwa s[4:5], v6, s7 src0_sel:BYTE_1 src1_sel:DWORD
	v_pk_mov_b32 v[10:11], s[10:11], s[10:11] op_sel:[0,1]
	s_and_saveexec_b64 s[26:27], s[4:5]
	s_cbranch_execz .LBB253_968
; %bb.965:                              ;   in Loop: Header=BB253_619 Depth=1
	v_and_b32_sdwa v7, v6, s15 dst_sel:DWORD dst_unused:UNUSED_PAD src0_sel:BYTE_1 src1_sel:DWORD
	s_mov_b32 s22, s10
	v_cmp_ne_u32_e64 s[4:5], s15, v7
	v_pk_mov_b32 v[10:11], s[22:23], s[22:23] op_sel:[0,1]
	s_and_saveexec_b64 s[28:29], s[4:5]
	s_cbranch_execz .LBB253_967
; %bb.966:                              ;   in Loop: Header=BB253_619 Depth=1
	v_mov_b32_e32 v10, 7
	v_and_b32_sdwa v26, v6, v10 dst_sel:DWORD dst_unused:UNUSED_PAD src0_sel:BYTE_1 src1_sel:DWORD
	v_lshrrev_b32_e32 v12, 3, v7
	v_cmp_gt_u32_e64 s[4:5], 8, v7
	v_ffbh_u32_e32 v7, v26
	v_min_u32_e32 v7, 32, v7
	v_subrev_u32_e32 v10, 28, v7
	v_lshlrev_b64 v[10:11], v10, v[26:27]
	v_sub_u32_e32 v7, 29, v7
	v_and_b32_e32 v10, 7, v10
	v_cndmask_b32_e64 v7, v12, v7, s[4:5]
	v_cndmask_b32_e64 v10, v26, v10, s[4:5]
	v_lshlrev_b32_e32 v11, 16, v6
	v_lshl_add_u32 v7, v7, 23, v30
	v_and_or_b32 v7, v11, s11, v7
	v_lshlrev_b32_e32 v10, 20, v10
	v_or_b32_e32 v11, v7, v10
	v_mov_b32_e32 v10, v27
.LBB253_967:                            ;   in Loop: Header=BB253_619 Depth=1
	s_or_b64 exec, exec, s[28:29]
.LBB253_968:                            ;   in Loop: Header=BB253_619 Depth=1
	s_or_b64 exec, exec, s[26:27]
.LBB253_969:                            ;   in Loop: Header=BB253_619 Depth=1
	s_or_b64 exec, exec, s[24:25]
	v_lshrrev_b32_e32 v18, 16, v6
	v_pk_mov_b32 v[16:17], 0, 0
	v_cmp_ne_u16_sdwa s[4:5], v18, v27 src0_sel:BYTE_0 src1_sel:DWORD
	v_pk_mov_b32 v[12:13], v[16:17], v[16:17] op_sel:[0,1]
	s_and_saveexec_b64 s[24:25], s[4:5]
	s_cbranch_execz .LBB253_975
; %bb.970:                              ;   in Loop: Header=BB253_619 Depth=1
	v_bfrev_b32_e32 v12, 1
	v_cmp_ne_u16_sdwa s[4:5], v18, s7 src0_sel:BYTE_0 src1_sel:DWORD
	v_mov_b32_e32 v13, 0
	s_and_saveexec_b64 s[26:27], s[4:5]
	s_cbranch_execz .LBB253_974
; %bb.971:                              ;   in Loop: Header=BB253_619 Depth=1
	v_bfe_u32 v7, v6, 16, 7
	v_mov_b32_e32 v12, 0x7f800001
	v_cmp_ne_u32_e64 s[4:5], s15, v7
	v_mov_b32_e32 v13, 0
	s_and_saveexec_b64 s[28:29], s[4:5]
	s_cbranch_execz .LBB253_973
; %bb.972:                              ;   in Loop: Header=BB253_619 Depth=1
	v_and_b32_e32 v19, 7, v18
	v_lshrrev_b32_e32 v20, 3, v7
	v_cmp_gt_u32_e64 s[4:5], 8, v7
	v_ffbh_u32_e32 v7, v19
	v_min_u32_e32 v7, 32, v7
	v_subrev_u32_e32 v12, 28, v7
	v_lshlrev_b64 v[12:13], v12, v[18:19]
	v_sub_u32_e32 v7, 29, v7
	v_and_b32_e32 v12, 7, v12
	v_cndmask_b32_e64 v7, v20, v7, s[4:5]
	v_cndmask_b32_e64 v12, v19, v12, s[4:5]
	v_lshlrev_b32_e32 v12, 20, v12
	v_and_b32_sdwa v13, sext(v18), s11 dst_sel:DWORD dst_unused:UNUSED_PAD src0_sel:BYTE_0 src1_sel:DWORD
	v_lshl_add_u32 v7, v7, 23, v30
	v_or3_b32 v26, v13, v7, v12
	v_pk_mov_b32 v[12:13], v[26:27], v[26:27] op_sel:[0,1]
.LBB253_973:                            ;   in Loop: Header=BB253_619 Depth=1
	s_or_b64 exec, exec, s[28:29]
.LBB253_974:                            ;   in Loop: Header=BB253_619 Depth=1
	s_or_b64 exec, exec, s[26:27]
.LBB253_975:                            ;   in Loop: Header=BB253_619 Depth=1
	s_or_b64 exec, exec, s[24:25]
	v_cmp_lt_u32_e64 s[4:5], s30, v6
	s_and_saveexec_b64 s[24:25], s[4:5]
	s_cbranch_execz .LBB253_981
; %bb.976:                              ;   in Loop: Header=BB253_619 Depth=1
	v_cmp_ne_u32_sdwa s[4:5], v6, s7 src0_sel:BYTE_3 src1_sel:DWORD
	v_pk_mov_b32 v[16:17], s[10:11], s[10:11] op_sel:[0,1]
	s_and_saveexec_b64 s[26:27], s[4:5]
	s_cbranch_execz .LBB253_980
; %bb.977:                              ;   in Loop: Header=BB253_619 Depth=1
	v_bfe_u32 v7, v6, 24, 7
	s_mov_b32 s22, s10
	v_cmp_ne_u32_e64 s[4:5], s15, v7
	v_pk_mov_b32 v[16:17], s[22:23], s[22:23] op_sel:[0,1]
	s_and_saveexec_b64 s[28:29], s[4:5]
	s_cbranch_execz .LBB253_979
; %bb.978:                              ;   in Loop: Header=BB253_619 Depth=1
	v_mov_b32_e32 v16, 7
	v_and_b32_sdwa v26, v6, v16 dst_sel:DWORD dst_unused:UNUSED_PAD src0_sel:BYTE_3 src1_sel:DWORD
	v_lshrrev_b32_e32 v18, 3, v7
	v_cmp_gt_u32_e64 s[4:5], 8, v7
	v_ffbh_u32_e32 v7, v26
	v_min_u32_e32 v7, 32, v7
	v_subrev_u32_e32 v16, 28, v7
	v_lshlrev_b64 v[16:17], v16, v[26:27]
	v_sub_u32_e32 v7, 29, v7
	v_and_b32_e32 v16, 7, v16
	v_cndmask_b32_e64 v7, v18, v7, s[4:5]
	v_mov_b32_e32 v17, 24
	v_cndmask_b32_e64 v16, v26, v16, s[4:5]
	v_lshlrev_b32_sdwa v6, v17, v6 dst_sel:DWORD dst_unused:UNUSED_PAD src0_sel:DWORD src1_sel:BYTE_3
	v_lshl_add_u32 v7, v7, 23, v30
	v_and_or_b32 v6, v6, s11, v7
	v_lshlrev_b32_e32 v7, 20, v16
	v_or_b32_e32 v17, v6, v7
	v_mov_b32_e32 v16, v27
.LBB253_979:                            ;   in Loop: Header=BB253_619 Depth=1
	s_or_b64 exec, exec, s[28:29]
.LBB253_980:                            ;   in Loop: Header=BB253_619 Depth=1
	s_or_b64 exec, exec, s[26:27]
.LBB253_981:                            ;   in Loop: Header=BB253_619 Depth=1
	s_or_b64 exec, exec, s[24:25]
	v_or_b32_e32 v7, v11, v9
	v_or_b32_e32 v6, v10, v8
	v_pk_mul_f32 v[6:7], v[34:35], v[6:7]
	v_accvgpr_write_b32 a0, v6
	v_accvgpr_write_b32 a1, v7
	v_or_b32_e32 v7, v17, v13
	v_or_b32_e32 v6, v16, v12
	v_pk_mul_f32 v[6:7], v[34:35], v[6:7]
	v_accvgpr_write_b32 a37, v7
	v_accvgpr_write_b32 a36, v6
	s_and_saveexec_b64 s[24:25], vcc
	s_cbranch_execz .LBB253_983
; %bb.982:                              ;   in Loop: Header=BB253_619 Depth=1
	v_accvgpr_read_b32 v6, a10
	v_accvgpr_read_b32 v9, a1
	v_cmp_lt_i32_e64 s[4:5], v6, v62
	v_accvgpr_read_b32 v8, a0
	v_accvgpr_read_b32 v6, a39
	v_cndmask_b32_e64 v8, 0, v8, s[4:5]
	v_cmp_lt_i32_e64 s[4:5], v6, v62
	v_accvgpr_read_b32 v6, a21
	v_cndmask_b32_e64 v9, 0, v9, s[4:5]
	v_cmp_lt_i32_e64 s[4:5], v6, v62
	v_accvgpr_read_b32 v6, a36
	v_accvgpr_read_b32 v7, a37
	v_cndmask_b32_e64 v6, 0, v6, s[4:5]
	v_cmp_lt_i32_e64 s[4:5], v28, v62
	v_cndmask_b32_e64 v7, 0, v7, s[4:5]
	v_accvgpr_write_b32 a0, v8
	v_accvgpr_write_b32 a37, v7
	;; [unrolled: 1-line block ×4, first 2 shown]
.LBB253_983:                            ;   in Loop: Header=BB253_619 Depth=1
	s_or_b64 exec, exec, s[24:25]
	flat_load_dword v4, v[4:5] offset:3584
	v_pk_mov_b32 v[8:9], 0, 0
	v_pk_mov_b32 v[6:7], v[8:9], v[8:9] op_sel:[0,1]
	s_waitcnt vmcnt(0) lgkmcnt(0)
	v_cmp_ne_u16_sdwa s[4:5], v4, v27 src0_sel:BYTE_0 src1_sel:DWORD
	s_and_saveexec_b64 s[24:25], s[4:5]
	s_cbranch_execz .LBB253_989
; %bb.984:                              ;   in Loop: Header=BB253_619 Depth=1
	v_bfrev_b32_e32 v6, 1
	v_cmp_ne_u16_sdwa s[4:5], v4, s7 src0_sel:BYTE_0 src1_sel:DWORD
	v_mov_b32_e32 v7, 0
	s_and_saveexec_b64 s[26:27], s[4:5]
	s_cbranch_execz .LBB253_988
; %bb.985:                              ;   in Loop: Header=BB253_619 Depth=1
	v_and_b32_e32 v5, 0x7f, v4
	v_mov_b32_e32 v6, 0x7f800001
	v_cmp_ne_u32_e64 s[4:5], s15, v5
	v_mov_b32_e32 v7, 0
	s_and_saveexec_b64 s[28:29], s[4:5]
	s_cbranch_execz .LBB253_987
; %bb.986:                              ;   in Loop: Header=BB253_619 Depth=1
	v_and_b32_e32 v10, 7, v4
	v_lshrrev_b32_e32 v11, 3, v5
	v_cmp_gt_u32_e64 s[4:5], 8, v5
	v_ffbh_u32_e32 v5, v10
	v_min_u32_e32 v5, 32, v5
	v_subrev_u32_e32 v6, 28, v5
	v_lshlrev_b64 v[6:7], v6, v[4:5]
	v_sub_u32_e32 v5, 29, v5
	v_and_b32_e32 v6, 7, v6
	v_cndmask_b32_e64 v5, v11, v5, s[4:5]
	v_cndmask_b32_e64 v6, v10, v6, s[4:5]
	v_lshlrev_b32_e32 v6, 20, v6
	v_and_b32_sdwa v7, sext(v4), s11 dst_sel:DWORD dst_unused:UNUSED_PAD src0_sel:BYTE_0 src1_sel:DWORD
	v_lshl_add_u32 v5, v5, 23, v30
	v_or3_b32 v26, v7, v5, v6
	v_pk_mov_b32 v[6:7], v[26:27], v[26:27] op_sel:[0,1]
.LBB253_987:                            ;   in Loop: Header=BB253_619 Depth=1
	s_or_b64 exec, exec, s[28:29]
.LBB253_988:                            ;   in Loop: Header=BB253_619 Depth=1
	s_or_b64 exec, exec, s[26:27]
.LBB253_989:                            ;   in Loop: Header=BB253_619 Depth=1
	s_or_b64 exec, exec, s[24:25]
	v_cmp_ne_u16_sdwa s[4:5], v4, v27 src0_sel:BYTE_1 src1_sel:DWORD
	s_and_saveexec_b64 s[24:25], s[4:5]
	s_cbranch_execz .LBB253_995
; %bb.990:                              ;   in Loop: Header=BB253_619 Depth=1
	v_cmp_ne_u16_sdwa s[4:5], v4, s7 src0_sel:BYTE_1 src1_sel:DWORD
	v_pk_mov_b32 v[8:9], s[10:11], s[10:11] op_sel:[0,1]
	s_and_saveexec_b64 s[26:27], s[4:5]
	s_cbranch_execz .LBB253_994
; %bb.991:                              ;   in Loop: Header=BB253_619 Depth=1
	v_and_b32_sdwa v5, v4, s15 dst_sel:DWORD dst_unused:UNUSED_PAD src0_sel:BYTE_1 src1_sel:DWORD
	s_mov_b32 s22, s10
	v_cmp_ne_u32_e64 s[4:5], s15, v5
	v_pk_mov_b32 v[8:9], s[22:23], s[22:23] op_sel:[0,1]
	s_and_saveexec_b64 s[28:29], s[4:5]
	s_cbranch_execz .LBB253_993
; %bb.992:                              ;   in Loop: Header=BB253_619 Depth=1
	v_mov_b32_e32 v8, 7
	v_and_b32_sdwa v26, v4, v8 dst_sel:DWORD dst_unused:UNUSED_PAD src0_sel:BYTE_1 src1_sel:DWORD
	v_lshrrev_b32_e32 v10, 3, v5
	v_cmp_gt_u32_e64 s[4:5], 8, v5
	v_ffbh_u32_e32 v5, v26
	v_min_u32_e32 v5, 32, v5
	v_subrev_u32_e32 v8, 28, v5
	v_lshlrev_b64 v[8:9], v8, v[26:27]
	v_sub_u32_e32 v5, 29, v5
	v_and_b32_e32 v8, 7, v8
	v_cndmask_b32_e64 v5, v10, v5, s[4:5]
	v_cndmask_b32_e64 v8, v26, v8, s[4:5]
	v_lshlrev_b32_e32 v9, 16, v4
	v_lshl_add_u32 v5, v5, 23, v30
	v_and_or_b32 v5, v9, s11, v5
	v_lshlrev_b32_e32 v8, 20, v8
	v_or_b32_e32 v9, v5, v8
	v_mov_b32_e32 v8, v27
.LBB253_993:                            ;   in Loop: Header=BB253_619 Depth=1
	s_or_b64 exec, exec, s[28:29]
.LBB253_994:                            ;   in Loop: Header=BB253_619 Depth=1
	s_or_b64 exec, exec, s[26:27]
.LBB253_995:                            ;   in Loop: Header=BB253_619 Depth=1
	s_or_b64 exec, exec, s[24:25]
	v_lshrrev_b32_e32 v16, 16, v4
	v_pk_mov_b32 v[12:13], 0, 0
	v_cmp_ne_u16_sdwa s[4:5], v16, v27 src0_sel:BYTE_0 src1_sel:DWORD
	v_pk_mov_b32 v[10:11], v[12:13], v[12:13] op_sel:[0,1]
	s_and_saveexec_b64 s[24:25], s[4:5]
	s_cbranch_execz .LBB253_1001
; %bb.996:                              ;   in Loop: Header=BB253_619 Depth=1
	v_bfrev_b32_e32 v10, 1
	v_cmp_ne_u16_sdwa s[4:5], v16, s7 src0_sel:BYTE_0 src1_sel:DWORD
	v_mov_b32_e32 v11, 0
	s_and_saveexec_b64 s[26:27], s[4:5]
	s_cbranch_execz .LBB253_1000
; %bb.997:                              ;   in Loop: Header=BB253_619 Depth=1
	v_bfe_u32 v5, v4, 16, 7
	v_mov_b32_e32 v10, 0x7f800001
	v_cmp_ne_u32_e64 s[4:5], s15, v5
	v_mov_b32_e32 v11, 0
	s_and_saveexec_b64 s[28:29], s[4:5]
	s_cbranch_execz .LBB253_999
; %bb.998:                              ;   in Loop: Header=BB253_619 Depth=1
	v_and_b32_e32 v17, 7, v16
	v_lshrrev_b32_e32 v18, 3, v5
	v_cmp_gt_u32_e64 s[4:5], 8, v5
	v_ffbh_u32_e32 v5, v17
	v_min_u32_e32 v5, 32, v5
	v_subrev_u32_e32 v10, 28, v5
	v_lshlrev_b64 v[10:11], v10, v[16:17]
	v_sub_u32_e32 v5, 29, v5
	v_and_b32_e32 v10, 7, v10
	v_cndmask_b32_e64 v5, v18, v5, s[4:5]
	v_cndmask_b32_e64 v10, v17, v10, s[4:5]
	v_lshlrev_b32_e32 v10, 20, v10
	v_and_b32_sdwa v11, sext(v16), s11 dst_sel:DWORD dst_unused:UNUSED_PAD src0_sel:BYTE_0 src1_sel:DWORD
	v_lshl_add_u32 v5, v5, 23, v30
	v_or3_b32 v26, v11, v5, v10
	v_pk_mov_b32 v[10:11], v[26:27], v[26:27] op_sel:[0,1]
.LBB253_999:                            ;   in Loop: Header=BB253_619 Depth=1
	s_or_b64 exec, exec, s[28:29]
.LBB253_1000:                           ;   in Loop: Header=BB253_619 Depth=1
	s_or_b64 exec, exec, s[26:27]
.LBB253_1001:                           ;   in Loop: Header=BB253_619 Depth=1
	s_or_b64 exec, exec, s[24:25]
	v_cmp_lt_u32_e64 s[4:5], s30, v4
	s_and_saveexec_b64 s[24:25], s[4:5]
	s_cbranch_execz .LBB253_1007
; %bb.1002:                             ;   in Loop: Header=BB253_619 Depth=1
	v_cmp_ne_u32_sdwa s[4:5], v4, s7 src0_sel:BYTE_3 src1_sel:DWORD
	v_pk_mov_b32 v[12:13], s[10:11], s[10:11] op_sel:[0,1]
	s_and_saveexec_b64 s[26:27], s[4:5]
	s_cbranch_execz .LBB253_1006
; %bb.1003:                             ;   in Loop: Header=BB253_619 Depth=1
	v_bfe_u32 v5, v4, 24, 7
	s_mov_b32 s22, s10
	v_cmp_ne_u32_e64 s[4:5], s15, v5
	v_pk_mov_b32 v[12:13], s[22:23], s[22:23] op_sel:[0,1]
	s_and_saveexec_b64 s[28:29], s[4:5]
	s_cbranch_execz .LBB253_1005
; %bb.1004:                             ;   in Loop: Header=BB253_619 Depth=1
	v_mov_b32_e32 v12, 7
	v_and_b32_sdwa v26, v4, v12 dst_sel:DWORD dst_unused:UNUSED_PAD src0_sel:BYTE_3 src1_sel:DWORD
	v_lshrrev_b32_e32 v16, 3, v5
	v_cmp_gt_u32_e64 s[4:5], 8, v5
	v_ffbh_u32_e32 v5, v26
	v_min_u32_e32 v5, 32, v5
	v_subrev_u32_e32 v12, 28, v5
	v_lshlrev_b64 v[12:13], v12, v[26:27]
	v_sub_u32_e32 v5, 29, v5
	v_and_b32_e32 v12, 7, v12
	v_cndmask_b32_e64 v5, v16, v5, s[4:5]
	v_mov_b32_e32 v13, 24
	v_cndmask_b32_e64 v12, v26, v12, s[4:5]
	v_lshlrev_b32_sdwa v4, v13, v4 dst_sel:DWORD dst_unused:UNUSED_PAD src0_sel:DWORD src1_sel:BYTE_3
	v_lshl_add_u32 v5, v5, 23, v30
	v_and_or_b32 v4, v4, s11, v5
	v_lshlrev_b32_e32 v5, 20, v12
	v_or_b32_e32 v13, v4, v5
	v_mov_b32_e32 v12, v27
.LBB253_1005:                           ;   in Loop: Header=BB253_619 Depth=1
	s_or_b64 exec, exec, s[28:29]
.LBB253_1006:                           ;   in Loop: Header=BB253_619 Depth=1
	s_or_b64 exec, exec, s[26:27]
.LBB253_1007:                           ;   in Loop: Header=BB253_619 Depth=1
	s_or_b64 exec, exec, s[24:25]
	v_or_b32_e32 v5, v9, v7
	v_or_b32_e32 v4, v8, v6
	;; [unrolled: 1-line block ×4, first 2 shown]
	v_pk_mul_f32 v[4:5], v[34:35], v[4:5]
	v_pk_mul_f32 v[52:53], v[34:35], v[6:7]
	s_and_saveexec_b64 s[24:25], vcc
; %bb.1008:                             ;   in Loop: Header=BB253_619 Depth=1
	v_accvgpr_read_b32 v6, a10
	v_cmp_lt_i32_e64 s[4:5], v6, v62
	v_accvgpr_read_b32 v6, a39
	v_cndmask_b32_e64 v4, 0, v4, s[4:5]
	v_cmp_lt_i32_e64 s[4:5], v6, v62
	v_accvgpr_read_b32 v6, a21
	v_cndmask_b32_e64 v5, 0, v5, s[4:5]
	v_cmp_lt_i32_e64 s[4:5], v6, v62
	v_cndmask_b32_e64 v52, 0, v52, s[4:5]
	v_cmp_lt_i32_e64 s[4:5], v28, v62
	v_cndmask_b32_e64 v53, 0, v53, s[4:5]
; %bb.1009:                             ;   in Loop: Header=BB253_619 Depth=1
	s_or_b64 exec, exec, s[24:25]
	v_accvgpr_read_b32 v6, a38
	v_add_co_u32_e64 v6, s[4:5], v48, v6
	v_addc_co_u32_e64 v7, s[4:5], 0, v49, s[4:5]
	flat_load_dword v6, v[6:7]
	v_pk_mov_b32 v[10:11], 0, 0
	v_pk_mov_b32 v[8:9], v[10:11], v[10:11] op_sel:[0,1]
	s_waitcnt vmcnt(0) lgkmcnt(0)
	v_cmp_ne_u16_sdwa s[4:5], v6, v27 src0_sel:BYTE_0 src1_sel:DWORD
	s_and_saveexec_b64 s[24:25], s[4:5]
	s_cbranch_execz .LBB253_1015
; %bb.1010:                             ;   in Loop: Header=BB253_619 Depth=1
	v_bfrev_b32_e32 v8, 1
	v_cmp_ne_u16_sdwa s[4:5], v6, s7 src0_sel:BYTE_0 src1_sel:DWORD
	v_mov_b32_e32 v9, 0
	s_and_saveexec_b64 s[26:27], s[4:5]
	s_cbranch_execz .LBB253_1014
; %bb.1011:                             ;   in Loop: Header=BB253_619 Depth=1
	v_and_b32_e32 v7, 0x7f, v6
	v_mov_b32_e32 v8, 0x7f800001
	v_cmp_ne_u32_e64 s[4:5], s15, v7
	v_mov_b32_e32 v9, 0
	s_and_saveexec_b64 s[28:29], s[4:5]
	s_cbranch_execz .LBB253_1013
; %bb.1012:                             ;   in Loop: Header=BB253_619 Depth=1
	v_and_b32_e32 v12, 7, v6
	v_lshrrev_b32_e32 v13, 3, v7
	v_cmp_gt_u32_e64 s[4:5], 8, v7
	v_ffbh_u32_e32 v7, v12
	v_min_u32_e32 v7, 32, v7
	v_subrev_u32_e32 v8, 28, v7
	v_lshlrev_b64 v[8:9], v8, v[6:7]
	v_sub_u32_e32 v7, 29, v7
	v_and_b32_e32 v8, 7, v8
	v_cndmask_b32_e64 v7, v13, v7, s[4:5]
	v_cndmask_b32_e64 v8, v12, v8, s[4:5]
	v_lshlrev_b32_e32 v8, 20, v8
	v_and_b32_sdwa v9, sext(v6), s11 dst_sel:DWORD dst_unused:UNUSED_PAD src0_sel:BYTE_0 src1_sel:DWORD
	v_lshl_add_u32 v7, v7, 23, v30
	v_or3_b32 v26, v9, v7, v8
	v_pk_mov_b32 v[8:9], v[26:27], v[26:27] op_sel:[0,1]
.LBB253_1013:                           ;   in Loop: Header=BB253_619 Depth=1
	s_or_b64 exec, exec, s[28:29]
.LBB253_1014:                           ;   in Loop: Header=BB253_619 Depth=1
	s_or_b64 exec, exec, s[26:27]
.LBB253_1015:                           ;   in Loop: Header=BB253_619 Depth=1
	s_or_b64 exec, exec, s[24:25]
	v_cmp_ne_u16_sdwa s[4:5], v6, v27 src0_sel:BYTE_1 src1_sel:DWORD
	s_and_saveexec_b64 s[24:25], s[4:5]
	s_cbranch_execz .LBB253_1021
; %bb.1016:                             ;   in Loop: Header=BB253_619 Depth=1
	v_cmp_ne_u16_sdwa s[4:5], v6, s7 src0_sel:BYTE_1 src1_sel:DWORD
	v_pk_mov_b32 v[10:11], s[10:11], s[10:11] op_sel:[0,1]
	s_and_saveexec_b64 s[26:27], s[4:5]
	s_cbranch_execz .LBB253_1020
; %bb.1017:                             ;   in Loop: Header=BB253_619 Depth=1
	v_and_b32_sdwa v7, v6, s15 dst_sel:DWORD dst_unused:UNUSED_PAD src0_sel:BYTE_1 src1_sel:DWORD
	s_mov_b32 s22, s10
	v_cmp_ne_u32_e64 s[4:5], s15, v7
	v_pk_mov_b32 v[10:11], s[22:23], s[22:23] op_sel:[0,1]
	s_and_saveexec_b64 s[28:29], s[4:5]
	s_cbranch_execz .LBB253_1019
; %bb.1018:                             ;   in Loop: Header=BB253_619 Depth=1
	v_mov_b32_e32 v10, 7
	v_and_b32_sdwa v26, v6, v10 dst_sel:DWORD dst_unused:UNUSED_PAD src0_sel:BYTE_1 src1_sel:DWORD
	v_lshrrev_b32_e32 v12, 3, v7
	v_cmp_gt_u32_e64 s[4:5], 8, v7
	v_ffbh_u32_e32 v7, v26
	v_min_u32_e32 v7, 32, v7
	v_subrev_u32_e32 v10, 28, v7
	v_lshlrev_b64 v[10:11], v10, v[26:27]
	v_sub_u32_e32 v7, 29, v7
	v_and_b32_e32 v10, 7, v10
	v_cndmask_b32_e64 v7, v12, v7, s[4:5]
	v_cndmask_b32_e64 v10, v26, v10, s[4:5]
	v_lshlrev_b32_e32 v11, 16, v6
	v_lshl_add_u32 v7, v7, 23, v30
	v_and_or_b32 v7, v11, s11, v7
	v_lshlrev_b32_e32 v10, 20, v10
	v_or_b32_e32 v11, v7, v10
	v_mov_b32_e32 v10, v27
.LBB253_1019:                           ;   in Loop: Header=BB253_619 Depth=1
	s_or_b64 exec, exec, s[28:29]
.LBB253_1020:                           ;   in Loop: Header=BB253_619 Depth=1
	s_or_b64 exec, exec, s[26:27]
.LBB253_1021:                           ;   in Loop: Header=BB253_619 Depth=1
	s_or_b64 exec, exec, s[24:25]
	v_lshrrev_b32_e32 v18, 16, v6
	v_pk_mov_b32 v[16:17], 0, 0
	v_cmp_ne_u16_sdwa s[4:5], v18, v27 src0_sel:BYTE_0 src1_sel:DWORD
	v_pk_mov_b32 v[12:13], v[16:17], v[16:17] op_sel:[0,1]
	s_and_saveexec_b64 s[24:25], s[4:5]
	s_cbranch_execz .LBB253_1027
; %bb.1022:                             ;   in Loop: Header=BB253_619 Depth=1
	v_bfrev_b32_e32 v12, 1
	v_cmp_ne_u16_sdwa s[4:5], v18, s7 src0_sel:BYTE_0 src1_sel:DWORD
	v_mov_b32_e32 v13, 0
	s_and_saveexec_b64 s[26:27], s[4:5]
	s_cbranch_execz .LBB253_1026
; %bb.1023:                             ;   in Loop: Header=BB253_619 Depth=1
	v_bfe_u32 v7, v6, 16, 7
	v_mov_b32_e32 v12, 0x7f800001
	v_cmp_ne_u32_e64 s[4:5], s15, v7
	v_mov_b32_e32 v13, 0
	s_and_saveexec_b64 s[28:29], s[4:5]
	s_cbranch_execz .LBB253_1025
; %bb.1024:                             ;   in Loop: Header=BB253_619 Depth=1
	v_and_b32_e32 v19, 7, v18
	v_lshrrev_b32_e32 v20, 3, v7
	v_cmp_gt_u32_e64 s[4:5], 8, v7
	v_ffbh_u32_e32 v7, v19
	v_min_u32_e32 v7, 32, v7
	v_subrev_u32_e32 v12, 28, v7
	v_lshlrev_b64 v[12:13], v12, v[18:19]
	v_sub_u32_e32 v7, 29, v7
	v_and_b32_e32 v12, 7, v12
	v_cndmask_b32_e64 v7, v20, v7, s[4:5]
	v_cndmask_b32_e64 v12, v19, v12, s[4:5]
	v_lshlrev_b32_e32 v12, 20, v12
	v_and_b32_sdwa v13, sext(v18), s11 dst_sel:DWORD dst_unused:UNUSED_PAD src0_sel:BYTE_0 src1_sel:DWORD
	v_lshl_add_u32 v7, v7, 23, v30
	v_or3_b32 v26, v13, v7, v12
	v_pk_mov_b32 v[12:13], v[26:27], v[26:27] op_sel:[0,1]
.LBB253_1025:                           ;   in Loop: Header=BB253_619 Depth=1
	s_or_b64 exec, exec, s[28:29]
.LBB253_1026:                           ;   in Loop: Header=BB253_619 Depth=1
	s_or_b64 exec, exec, s[26:27]
.LBB253_1027:                           ;   in Loop: Header=BB253_619 Depth=1
	s_or_b64 exec, exec, s[24:25]
	v_cmp_lt_u32_e64 s[4:5], s30, v6
	s_and_saveexec_b64 s[24:25], s[4:5]
	s_cbranch_execz .LBB253_1033
; %bb.1028:                             ;   in Loop: Header=BB253_619 Depth=1
	v_cmp_ne_u32_sdwa s[4:5], v6, s7 src0_sel:BYTE_3 src1_sel:DWORD
	v_pk_mov_b32 v[16:17], s[10:11], s[10:11] op_sel:[0,1]
	s_and_saveexec_b64 s[26:27], s[4:5]
	s_cbranch_execz .LBB253_1032
; %bb.1029:                             ;   in Loop: Header=BB253_619 Depth=1
	v_bfe_u32 v7, v6, 24, 7
	s_mov_b32 s22, s10
	v_cmp_ne_u32_e64 s[4:5], s15, v7
	v_pk_mov_b32 v[16:17], s[22:23], s[22:23] op_sel:[0,1]
	s_and_saveexec_b64 s[28:29], s[4:5]
	s_cbranch_execz .LBB253_1031
; %bb.1030:                             ;   in Loop: Header=BB253_619 Depth=1
	v_mov_b32_e32 v16, 7
	v_and_b32_sdwa v26, v6, v16 dst_sel:DWORD dst_unused:UNUSED_PAD src0_sel:BYTE_3 src1_sel:DWORD
	v_lshrrev_b32_e32 v18, 3, v7
	v_cmp_gt_u32_e64 s[4:5], 8, v7
	v_ffbh_u32_e32 v7, v26
	v_min_u32_e32 v7, 32, v7
	v_subrev_u32_e32 v16, 28, v7
	v_lshlrev_b64 v[16:17], v16, v[26:27]
	v_sub_u32_e32 v7, 29, v7
	v_and_b32_e32 v16, 7, v16
	v_cndmask_b32_e64 v7, v18, v7, s[4:5]
	v_mov_b32_e32 v17, 24
	v_cndmask_b32_e64 v16, v26, v16, s[4:5]
	v_lshlrev_b32_sdwa v6, v17, v6 dst_sel:DWORD dst_unused:UNUSED_PAD src0_sel:DWORD src1_sel:BYTE_3
	v_lshl_add_u32 v7, v7, 23, v30
	v_and_or_b32 v6, v6, s11, v7
	v_lshlrev_b32_e32 v7, 20, v16
	v_or_b32_e32 v17, v6, v7
	v_mov_b32_e32 v16, v27
.LBB253_1031:                           ;   in Loop: Header=BB253_619 Depth=1
	s_or_b64 exec, exec, s[28:29]
.LBB253_1032:                           ;   in Loop: Header=BB253_619 Depth=1
	s_or_b64 exec, exec, s[26:27]
.LBB253_1033:                           ;   in Loop: Header=BB253_619 Depth=1
	s_or_b64 exec, exec, s[24:25]
	v_or_b32_e32 v7, v11, v9
	v_or_b32_e32 v6, v10, v8
	v_pk_mul_f32 v[60:61], v[34:35], v[6:7]
	v_or_b32_e32 v7, v17, v13
	v_or_b32_e32 v6, v16, v12
	v_pk_mul_f32 v[54:55], v[34:35], v[6:7]
	s_and_saveexec_b64 s[24:25], vcc
; %bb.1034:                             ;   in Loop: Header=BB253_619 Depth=1
	v_accvgpr_read_b32 v6, a10
	v_cmp_lt_i32_e64 s[4:5], v6, v62
	v_accvgpr_read_b32 v6, a39
	v_cndmask_b32_e64 v60, 0, v60, s[4:5]
	v_cmp_lt_i32_e64 s[4:5], v6, v62
	v_accvgpr_read_b32 v6, a21
	v_cndmask_b32_e64 v61, 0, v61, s[4:5]
	v_cmp_lt_i32_e64 s[4:5], v6, v62
	v_cndmask_b32_e64 v54, 0, v54, s[4:5]
	v_cmp_lt_i32_e64 s[4:5], v28, v62
	v_cndmask_b32_e64 v55, 0, v55, s[4:5]
; %bb.1035:                             ;   in Loop: Header=BB253_619 Depth=1
	s_or_b64 exec, exec, s[24:25]
	buffer_load_dword v6, off, s[0:3], s32 offset:284 ; 4-byte Folded Reload
	buffer_load_dword v7, off, s[0:3], s32 offset:288 ; 4-byte Folded Reload
	v_pk_mov_b32 v[10:11], 0, 0
	v_pk_mov_b32 v[8:9], v[10:11], v[10:11] op_sel:[0,1]
	s_waitcnt vmcnt(1)
	v_add_co_u32_e64 v6, s[4:5], v48, v6
	s_waitcnt vmcnt(0)
	v_addc_co_u32_e64 v7, s[4:5], 0, v49, s[4:5]
	flat_load_dword v6, v[6:7]
	s_waitcnt vmcnt(0) lgkmcnt(0)
	v_cmp_ne_u16_sdwa s[4:5], v6, v27 src0_sel:BYTE_0 src1_sel:DWORD
	s_and_saveexec_b64 s[24:25], s[4:5]
	s_cbranch_execz .LBB253_1041
; %bb.1036:                             ;   in Loop: Header=BB253_619 Depth=1
	v_bfrev_b32_e32 v8, 1
	v_cmp_ne_u16_sdwa s[4:5], v6, s7 src0_sel:BYTE_0 src1_sel:DWORD
	v_mov_b32_e32 v9, 0
	s_and_saveexec_b64 s[26:27], s[4:5]
	s_cbranch_execz .LBB253_1040
; %bb.1037:                             ;   in Loop: Header=BB253_619 Depth=1
	v_and_b32_e32 v7, 0x7f, v6
	v_mov_b32_e32 v8, 0x7f800001
	v_cmp_ne_u32_e64 s[4:5], s15, v7
	v_mov_b32_e32 v9, 0
	s_and_saveexec_b64 s[28:29], s[4:5]
	s_cbranch_execz .LBB253_1039
; %bb.1038:                             ;   in Loop: Header=BB253_619 Depth=1
	v_and_b32_e32 v12, 7, v6
	v_lshrrev_b32_e32 v13, 3, v7
	v_cmp_gt_u32_e64 s[4:5], 8, v7
	v_ffbh_u32_e32 v7, v12
	v_min_u32_e32 v7, 32, v7
	v_subrev_u32_e32 v8, 28, v7
	v_lshlrev_b64 v[8:9], v8, v[6:7]
	v_sub_u32_e32 v7, 29, v7
	v_and_b32_e32 v8, 7, v8
	v_cndmask_b32_e64 v7, v13, v7, s[4:5]
	v_cndmask_b32_e64 v8, v12, v8, s[4:5]
	v_lshlrev_b32_e32 v8, 20, v8
	v_and_b32_sdwa v9, sext(v6), s11 dst_sel:DWORD dst_unused:UNUSED_PAD src0_sel:BYTE_0 src1_sel:DWORD
	v_lshl_add_u32 v7, v7, 23, v30
	v_or3_b32 v26, v9, v7, v8
	v_pk_mov_b32 v[8:9], v[26:27], v[26:27] op_sel:[0,1]
.LBB253_1039:                           ;   in Loop: Header=BB253_619 Depth=1
	s_or_b64 exec, exec, s[28:29]
.LBB253_1040:                           ;   in Loop: Header=BB253_619 Depth=1
	s_or_b64 exec, exec, s[26:27]
.LBB253_1041:                           ;   in Loop: Header=BB253_619 Depth=1
	s_or_b64 exec, exec, s[24:25]
	v_cmp_ne_u16_sdwa s[4:5], v6, v27 src0_sel:BYTE_1 src1_sel:DWORD
	s_and_saveexec_b64 s[24:25], s[4:5]
	s_cbranch_execz .LBB253_1047
; %bb.1042:                             ;   in Loop: Header=BB253_619 Depth=1
	v_cmp_ne_u16_sdwa s[4:5], v6, s7 src0_sel:BYTE_1 src1_sel:DWORD
	v_pk_mov_b32 v[10:11], s[10:11], s[10:11] op_sel:[0,1]
	s_and_saveexec_b64 s[26:27], s[4:5]
	s_cbranch_execz .LBB253_1046
; %bb.1043:                             ;   in Loop: Header=BB253_619 Depth=1
	v_and_b32_sdwa v7, v6, s15 dst_sel:DWORD dst_unused:UNUSED_PAD src0_sel:BYTE_1 src1_sel:DWORD
	s_mov_b32 s22, s10
	v_cmp_ne_u32_e64 s[4:5], s15, v7
	v_pk_mov_b32 v[10:11], s[22:23], s[22:23] op_sel:[0,1]
	s_and_saveexec_b64 s[28:29], s[4:5]
	s_cbranch_execz .LBB253_1045
; %bb.1044:                             ;   in Loop: Header=BB253_619 Depth=1
	v_mov_b32_e32 v10, 7
	v_and_b32_sdwa v26, v6, v10 dst_sel:DWORD dst_unused:UNUSED_PAD src0_sel:BYTE_1 src1_sel:DWORD
	v_lshrrev_b32_e32 v12, 3, v7
	v_cmp_gt_u32_e64 s[4:5], 8, v7
	v_ffbh_u32_e32 v7, v26
	v_min_u32_e32 v7, 32, v7
	v_subrev_u32_e32 v10, 28, v7
	v_lshlrev_b64 v[10:11], v10, v[26:27]
	v_sub_u32_e32 v7, 29, v7
	v_and_b32_e32 v10, 7, v10
	v_cndmask_b32_e64 v7, v12, v7, s[4:5]
	v_cndmask_b32_e64 v10, v26, v10, s[4:5]
	v_lshlrev_b32_e32 v11, 16, v6
	v_lshl_add_u32 v7, v7, 23, v30
	v_and_or_b32 v7, v11, s11, v7
	v_lshlrev_b32_e32 v10, 20, v10
	v_or_b32_e32 v11, v7, v10
	v_mov_b32_e32 v10, v27
.LBB253_1045:                           ;   in Loop: Header=BB253_619 Depth=1
	s_or_b64 exec, exec, s[28:29]
.LBB253_1046:                           ;   in Loop: Header=BB253_619 Depth=1
	s_or_b64 exec, exec, s[26:27]
.LBB253_1047:                           ;   in Loop: Header=BB253_619 Depth=1
	s_or_b64 exec, exec, s[24:25]
	v_lshrrev_b32_e32 v18, 16, v6
	v_pk_mov_b32 v[16:17], 0, 0
	v_cmp_ne_u16_sdwa s[4:5], v18, v27 src0_sel:BYTE_0 src1_sel:DWORD
	v_pk_mov_b32 v[12:13], v[16:17], v[16:17] op_sel:[0,1]
	s_and_saveexec_b64 s[24:25], s[4:5]
	s_cbranch_execz .LBB253_1053
; %bb.1048:                             ;   in Loop: Header=BB253_619 Depth=1
	v_bfrev_b32_e32 v12, 1
	v_cmp_ne_u16_sdwa s[4:5], v18, s7 src0_sel:BYTE_0 src1_sel:DWORD
	v_mov_b32_e32 v13, 0
	s_and_saveexec_b64 s[26:27], s[4:5]
	s_cbranch_execz .LBB253_1052
; %bb.1049:                             ;   in Loop: Header=BB253_619 Depth=1
	v_bfe_u32 v7, v6, 16, 7
	v_mov_b32_e32 v12, 0x7f800001
	v_cmp_ne_u32_e64 s[4:5], s15, v7
	v_mov_b32_e32 v13, 0
	s_and_saveexec_b64 s[28:29], s[4:5]
	s_cbranch_execz .LBB253_1051
; %bb.1050:                             ;   in Loop: Header=BB253_619 Depth=1
	v_and_b32_e32 v19, 7, v18
	v_lshrrev_b32_e32 v20, 3, v7
	v_cmp_gt_u32_e64 s[4:5], 8, v7
	v_ffbh_u32_e32 v7, v19
	v_min_u32_e32 v7, 32, v7
	v_subrev_u32_e32 v12, 28, v7
	v_lshlrev_b64 v[12:13], v12, v[18:19]
	v_sub_u32_e32 v7, 29, v7
	v_and_b32_e32 v12, 7, v12
	v_cndmask_b32_e64 v7, v20, v7, s[4:5]
	v_cndmask_b32_e64 v12, v19, v12, s[4:5]
	v_lshlrev_b32_e32 v12, 20, v12
	v_and_b32_sdwa v13, sext(v18), s11 dst_sel:DWORD dst_unused:UNUSED_PAD src0_sel:BYTE_0 src1_sel:DWORD
	v_lshl_add_u32 v7, v7, 23, v30
	v_or3_b32 v26, v13, v7, v12
	v_pk_mov_b32 v[12:13], v[26:27], v[26:27] op_sel:[0,1]
.LBB253_1051:                           ;   in Loop: Header=BB253_619 Depth=1
	s_or_b64 exec, exec, s[28:29]
.LBB253_1052:                           ;   in Loop: Header=BB253_619 Depth=1
	s_or_b64 exec, exec, s[26:27]
.LBB253_1053:                           ;   in Loop: Header=BB253_619 Depth=1
	s_or_b64 exec, exec, s[24:25]
	v_cmp_lt_u32_e64 s[4:5], s30, v6
	s_and_saveexec_b64 s[24:25], s[4:5]
	s_cbranch_execz .LBB253_1059
; %bb.1054:                             ;   in Loop: Header=BB253_619 Depth=1
	v_cmp_ne_u32_sdwa s[4:5], v6, s7 src0_sel:BYTE_3 src1_sel:DWORD
	v_pk_mov_b32 v[16:17], s[10:11], s[10:11] op_sel:[0,1]
	s_and_saveexec_b64 s[26:27], s[4:5]
	s_cbranch_execz .LBB253_1058
; %bb.1055:                             ;   in Loop: Header=BB253_619 Depth=1
	v_bfe_u32 v7, v6, 24, 7
	s_mov_b32 s22, s10
	v_cmp_ne_u32_e64 s[4:5], s15, v7
	v_pk_mov_b32 v[16:17], s[22:23], s[22:23] op_sel:[0,1]
	s_and_saveexec_b64 s[28:29], s[4:5]
	s_cbranch_execz .LBB253_1057
; %bb.1056:                             ;   in Loop: Header=BB253_619 Depth=1
	v_mov_b32_e32 v16, 7
	v_and_b32_sdwa v26, v6, v16 dst_sel:DWORD dst_unused:UNUSED_PAD src0_sel:BYTE_3 src1_sel:DWORD
	v_lshrrev_b32_e32 v18, 3, v7
	v_cmp_gt_u32_e64 s[4:5], 8, v7
	v_ffbh_u32_e32 v7, v26
	v_min_u32_e32 v7, 32, v7
	v_subrev_u32_e32 v16, 28, v7
	v_lshlrev_b64 v[16:17], v16, v[26:27]
	v_sub_u32_e32 v7, 29, v7
	v_and_b32_e32 v16, 7, v16
	v_cndmask_b32_e64 v7, v18, v7, s[4:5]
	v_mov_b32_e32 v17, 24
	v_cndmask_b32_e64 v16, v26, v16, s[4:5]
	v_lshlrev_b32_sdwa v6, v17, v6 dst_sel:DWORD dst_unused:UNUSED_PAD src0_sel:DWORD src1_sel:BYTE_3
	v_lshl_add_u32 v7, v7, 23, v30
	v_and_or_b32 v6, v6, s11, v7
	v_lshlrev_b32_e32 v7, 20, v16
	v_or_b32_e32 v17, v6, v7
	v_mov_b32_e32 v16, v27
.LBB253_1057:                           ;   in Loop: Header=BB253_619 Depth=1
	s_or_b64 exec, exec, s[28:29]
.LBB253_1058:                           ;   in Loop: Header=BB253_619 Depth=1
	s_or_b64 exec, exec, s[26:27]
.LBB253_1059:                           ;   in Loop: Header=BB253_619 Depth=1
	s_or_b64 exec, exec, s[24:25]
	v_or_b32_e32 v7, v11, v9
	v_or_b32_e32 v6, v10, v8
	v_pk_mul_f32 v[40:41], v[34:35], v[6:7]
	v_or_b32_e32 v7, v17, v13
	v_or_b32_e32 v6, v16, v12
	v_pk_mul_f32 v[42:43], v[34:35], v[6:7]
	s_and_saveexec_b64 s[24:25], vcc
; %bb.1060:                             ;   in Loop: Header=BB253_619 Depth=1
	v_accvgpr_read_b32 v6, a10
	v_cmp_lt_i32_e64 s[4:5], v6, v62
	v_accvgpr_read_b32 v6, a39
	v_cndmask_b32_e64 v40, 0, v40, s[4:5]
	v_cmp_lt_i32_e64 s[4:5], v6, v62
	v_accvgpr_read_b32 v6, a21
	v_cndmask_b32_e64 v41, 0, v41, s[4:5]
	v_cmp_lt_i32_e64 s[4:5], v6, v62
	v_cndmask_b32_e64 v42, 0, v42, s[4:5]
	v_cmp_lt_i32_e64 s[4:5], v28, v62
	v_cndmask_b32_e64 v43, 0, v43, s[4:5]
; %bb.1061:                             ;   in Loop: Header=BB253_619 Depth=1
	s_or_b64 exec, exec, s[24:25]
	buffer_load_dword v6, off, s[0:3], s32 offset:292 ; 4-byte Folded Reload
	buffer_load_dword v7, off, s[0:3], s32 offset:296 ; 4-byte Folded Reload
	v_pk_mov_b32 v[10:11], 0, 0
	v_pk_mov_b32 v[8:9], v[10:11], v[10:11] op_sel:[0,1]
	s_waitcnt vmcnt(1)
	v_add_co_u32_e64 v6, s[4:5], v48, v6
	s_waitcnt vmcnt(0)
	v_addc_co_u32_e64 v7, s[4:5], 0, v49, s[4:5]
	flat_load_dword v6, v[6:7]
	s_waitcnt vmcnt(0) lgkmcnt(0)
	v_cmp_ne_u16_sdwa s[4:5], v6, v27 src0_sel:BYTE_0 src1_sel:DWORD
	s_and_saveexec_b64 s[24:25], s[4:5]
	s_cbranch_execz .LBB253_1067
; %bb.1062:                             ;   in Loop: Header=BB253_619 Depth=1
	v_bfrev_b32_e32 v8, 1
	v_cmp_ne_u16_sdwa s[4:5], v6, s7 src0_sel:BYTE_0 src1_sel:DWORD
	v_mov_b32_e32 v9, 0
	s_and_saveexec_b64 s[26:27], s[4:5]
	s_cbranch_execz .LBB253_1066
; %bb.1063:                             ;   in Loop: Header=BB253_619 Depth=1
	v_and_b32_e32 v7, 0x7f, v6
	v_mov_b32_e32 v8, 0x7f800001
	v_cmp_ne_u32_e64 s[4:5], s15, v7
	v_mov_b32_e32 v9, 0
	s_and_saveexec_b64 s[28:29], s[4:5]
	s_cbranch_execz .LBB253_1065
; %bb.1064:                             ;   in Loop: Header=BB253_619 Depth=1
	v_and_b32_e32 v12, 7, v6
	v_lshrrev_b32_e32 v13, 3, v7
	v_cmp_gt_u32_e64 s[4:5], 8, v7
	v_ffbh_u32_e32 v7, v12
	v_min_u32_e32 v7, 32, v7
	v_subrev_u32_e32 v8, 28, v7
	v_lshlrev_b64 v[8:9], v8, v[6:7]
	v_sub_u32_e32 v7, 29, v7
	v_and_b32_e32 v8, 7, v8
	v_cndmask_b32_e64 v7, v13, v7, s[4:5]
	v_cndmask_b32_e64 v8, v12, v8, s[4:5]
	v_lshlrev_b32_e32 v8, 20, v8
	v_and_b32_sdwa v9, sext(v6), s11 dst_sel:DWORD dst_unused:UNUSED_PAD src0_sel:BYTE_0 src1_sel:DWORD
	v_lshl_add_u32 v7, v7, 23, v30
	v_or3_b32 v26, v9, v7, v8
	v_pk_mov_b32 v[8:9], v[26:27], v[26:27] op_sel:[0,1]
.LBB253_1065:                           ;   in Loop: Header=BB253_619 Depth=1
	s_or_b64 exec, exec, s[28:29]
.LBB253_1066:                           ;   in Loop: Header=BB253_619 Depth=1
	s_or_b64 exec, exec, s[26:27]
.LBB253_1067:                           ;   in Loop: Header=BB253_619 Depth=1
	s_or_b64 exec, exec, s[24:25]
	v_cmp_ne_u16_sdwa s[4:5], v6, v27 src0_sel:BYTE_1 src1_sel:DWORD
	s_and_saveexec_b64 s[24:25], s[4:5]
	s_cbranch_execz .LBB253_1073
; %bb.1068:                             ;   in Loop: Header=BB253_619 Depth=1
	v_cmp_ne_u16_sdwa s[4:5], v6, s7 src0_sel:BYTE_1 src1_sel:DWORD
	v_pk_mov_b32 v[10:11], s[10:11], s[10:11] op_sel:[0,1]
	s_and_saveexec_b64 s[26:27], s[4:5]
	s_cbranch_execz .LBB253_1072
; %bb.1069:                             ;   in Loop: Header=BB253_619 Depth=1
	v_and_b32_sdwa v7, v6, s15 dst_sel:DWORD dst_unused:UNUSED_PAD src0_sel:BYTE_1 src1_sel:DWORD
	s_mov_b32 s22, s10
	v_cmp_ne_u32_e64 s[4:5], s15, v7
	v_pk_mov_b32 v[10:11], s[22:23], s[22:23] op_sel:[0,1]
	s_and_saveexec_b64 s[28:29], s[4:5]
	s_cbranch_execz .LBB253_1071
; %bb.1070:                             ;   in Loop: Header=BB253_619 Depth=1
	v_mov_b32_e32 v10, 7
	v_and_b32_sdwa v26, v6, v10 dst_sel:DWORD dst_unused:UNUSED_PAD src0_sel:BYTE_1 src1_sel:DWORD
	v_lshrrev_b32_e32 v12, 3, v7
	v_cmp_gt_u32_e64 s[4:5], 8, v7
	v_ffbh_u32_e32 v7, v26
	v_min_u32_e32 v7, 32, v7
	v_subrev_u32_e32 v10, 28, v7
	v_lshlrev_b64 v[10:11], v10, v[26:27]
	v_sub_u32_e32 v7, 29, v7
	v_and_b32_e32 v10, 7, v10
	v_cndmask_b32_e64 v7, v12, v7, s[4:5]
	v_cndmask_b32_e64 v10, v26, v10, s[4:5]
	v_lshlrev_b32_e32 v11, 16, v6
	v_lshl_add_u32 v7, v7, 23, v30
	v_and_or_b32 v7, v11, s11, v7
	v_lshlrev_b32_e32 v10, 20, v10
	v_or_b32_e32 v11, v7, v10
	v_mov_b32_e32 v10, v27
.LBB253_1071:                           ;   in Loop: Header=BB253_619 Depth=1
	s_or_b64 exec, exec, s[28:29]
.LBB253_1072:                           ;   in Loop: Header=BB253_619 Depth=1
	s_or_b64 exec, exec, s[26:27]
.LBB253_1073:                           ;   in Loop: Header=BB253_619 Depth=1
	s_or_b64 exec, exec, s[24:25]
	v_lshrrev_b32_e32 v18, 16, v6
	v_pk_mov_b32 v[16:17], 0, 0
	v_cmp_ne_u16_sdwa s[4:5], v18, v27 src0_sel:BYTE_0 src1_sel:DWORD
	v_pk_mov_b32 v[12:13], v[16:17], v[16:17] op_sel:[0,1]
	s_and_saveexec_b64 s[24:25], s[4:5]
	s_cbranch_execz .LBB253_1079
; %bb.1074:                             ;   in Loop: Header=BB253_619 Depth=1
	v_bfrev_b32_e32 v12, 1
	v_cmp_ne_u16_sdwa s[4:5], v18, s7 src0_sel:BYTE_0 src1_sel:DWORD
	v_mov_b32_e32 v13, 0
	s_and_saveexec_b64 s[26:27], s[4:5]
	s_cbranch_execz .LBB253_1078
; %bb.1075:                             ;   in Loop: Header=BB253_619 Depth=1
	v_bfe_u32 v7, v6, 16, 7
	v_mov_b32_e32 v12, 0x7f800001
	v_cmp_ne_u32_e64 s[4:5], s15, v7
	v_mov_b32_e32 v13, 0
	s_and_saveexec_b64 s[28:29], s[4:5]
	s_cbranch_execz .LBB253_1077
; %bb.1076:                             ;   in Loop: Header=BB253_619 Depth=1
	v_and_b32_e32 v19, 7, v18
	v_lshrrev_b32_e32 v20, 3, v7
	v_cmp_gt_u32_e64 s[4:5], 8, v7
	v_ffbh_u32_e32 v7, v19
	v_min_u32_e32 v7, 32, v7
	v_subrev_u32_e32 v12, 28, v7
	v_lshlrev_b64 v[12:13], v12, v[18:19]
	v_sub_u32_e32 v7, 29, v7
	v_and_b32_e32 v12, 7, v12
	v_cndmask_b32_e64 v7, v20, v7, s[4:5]
	v_cndmask_b32_e64 v12, v19, v12, s[4:5]
	v_lshlrev_b32_e32 v12, 20, v12
	v_and_b32_sdwa v13, sext(v18), s11 dst_sel:DWORD dst_unused:UNUSED_PAD src0_sel:BYTE_0 src1_sel:DWORD
	v_lshl_add_u32 v7, v7, 23, v30
	v_or3_b32 v26, v13, v7, v12
	v_pk_mov_b32 v[12:13], v[26:27], v[26:27] op_sel:[0,1]
.LBB253_1077:                           ;   in Loop: Header=BB253_619 Depth=1
	s_or_b64 exec, exec, s[28:29]
.LBB253_1078:                           ;   in Loop: Header=BB253_619 Depth=1
	s_or_b64 exec, exec, s[26:27]
.LBB253_1079:                           ;   in Loop: Header=BB253_619 Depth=1
	s_or_b64 exec, exec, s[24:25]
	v_cmp_lt_u32_e64 s[4:5], s30, v6
	s_and_saveexec_b64 s[24:25], s[4:5]
	s_cbranch_execz .LBB253_1085
; %bb.1080:                             ;   in Loop: Header=BB253_619 Depth=1
	v_cmp_ne_u32_sdwa s[4:5], v6, s7 src0_sel:BYTE_3 src1_sel:DWORD
	v_pk_mov_b32 v[16:17], s[10:11], s[10:11] op_sel:[0,1]
	s_and_saveexec_b64 s[26:27], s[4:5]
	s_cbranch_execz .LBB253_1084
; %bb.1081:                             ;   in Loop: Header=BB253_619 Depth=1
	v_bfe_u32 v7, v6, 24, 7
	s_mov_b32 s22, s10
	v_cmp_ne_u32_e64 s[4:5], s15, v7
	v_pk_mov_b32 v[16:17], s[22:23], s[22:23] op_sel:[0,1]
	s_and_saveexec_b64 s[28:29], s[4:5]
	s_cbranch_execz .LBB253_1083
; %bb.1082:                             ;   in Loop: Header=BB253_619 Depth=1
	v_mov_b32_e32 v16, 7
	v_and_b32_sdwa v26, v6, v16 dst_sel:DWORD dst_unused:UNUSED_PAD src0_sel:BYTE_3 src1_sel:DWORD
	v_lshrrev_b32_e32 v18, 3, v7
	v_cmp_gt_u32_e64 s[4:5], 8, v7
	v_ffbh_u32_e32 v7, v26
	v_min_u32_e32 v7, 32, v7
	v_subrev_u32_e32 v16, 28, v7
	v_lshlrev_b64 v[16:17], v16, v[26:27]
	v_sub_u32_e32 v7, 29, v7
	v_and_b32_e32 v16, 7, v16
	v_cndmask_b32_e64 v7, v18, v7, s[4:5]
	v_mov_b32_e32 v17, 24
	v_cndmask_b32_e64 v16, v26, v16, s[4:5]
	v_lshlrev_b32_sdwa v6, v17, v6 dst_sel:DWORD dst_unused:UNUSED_PAD src0_sel:DWORD src1_sel:BYTE_3
	v_lshl_add_u32 v7, v7, 23, v30
	v_and_or_b32 v6, v6, s11, v7
	v_lshlrev_b32_e32 v7, 20, v16
	v_or_b32_e32 v17, v6, v7
	v_mov_b32_e32 v16, v27
.LBB253_1083:                           ;   in Loop: Header=BB253_619 Depth=1
	s_or_b64 exec, exec, s[28:29]
.LBB253_1084:                           ;   in Loop: Header=BB253_619 Depth=1
	s_or_b64 exec, exec, s[26:27]
.LBB253_1085:                           ;   in Loop: Header=BB253_619 Depth=1
	s_or_b64 exec, exec, s[24:25]
	v_or_b32_e32 v7, v11, v9
	v_or_b32_e32 v6, v10, v8
	v_pk_mul_f32 v[44:45], v[34:35], v[6:7]
	v_or_b32_e32 v7, v17, v13
	v_or_b32_e32 v6, v16, v12
	v_pk_mul_f32 v[46:47], v[34:35], v[6:7]
	s_and_saveexec_b64 s[24:25], vcc
; %bb.1086:                             ;   in Loop: Header=BB253_619 Depth=1
	v_accvgpr_read_b32 v6, a10
	v_cmp_lt_i32_e64 s[4:5], v6, v62
	v_accvgpr_read_b32 v6, a39
	v_cndmask_b32_e64 v44, 0, v44, s[4:5]
	v_cmp_lt_i32_e64 s[4:5], v6, v62
	v_accvgpr_read_b32 v6, a21
	v_cndmask_b32_e64 v45, 0, v45, s[4:5]
	v_cmp_lt_i32_e64 s[4:5], v6, v62
	v_cndmask_b32_e64 v46, 0, v46, s[4:5]
	v_cmp_lt_i32_e64 s[4:5], v28, v62
	v_cndmask_b32_e64 v47, 0, v47, s[4:5]
; %bb.1087:                             ;   in Loop: Header=BB253_619 Depth=1
	s_or_b64 exec, exec, s[24:25]
	buffer_load_dword v6, off, s[0:3], s32 offset:300 ; 4-byte Folded Reload
	buffer_load_dword v7, off, s[0:3], s32 offset:304 ; 4-byte Folded Reload
	v_pk_mov_b32 v[10:11], 0, 0
	v_pk_mov_b32 v[8:9], v[10:11], v[10:11] op_sel:[0,1]
	s_waitcnt vmcnt(1)
	v_add_co_u32_e64 v6, s[4:5], v48, v6
	s_waitcnt vmcnt(0)
	v_addc_co_u32_e64 v7, s[4:5], 0, v49, s[4:5]
	flat_load_dword v6, v[6:7]
	s_waitcnt vmcnt(0) lgkmcnt(0)
	v_cmp_ne_u16_sdwa s[4:5], v6, v27 src0_sel:BYTE_0 src1_sel:DWORD
	s_and_saveexec_b64 s[24:25], s[4:5]
	s_cbranch_execz .LBB253_1093
; %bb.1088:                             ;   in Loop: Header=BB253_619 Depth=1
	v_bfrev_b32_e32 v8, 1
	v_cmp_ne_u16_sdwa s[4:5], v6, s7 src0_sel:BYTE_0 src1_sel:DWORD
	v_mov_b32_e32 v9, 0
	s_and_saveexec_b64 s[26:27], s[4:5]
	s_cbranch_execz .LBB253_1092
; %bb.1089:                             ;   in Loop: Header=BB253_619 Depth=1
	v_and_b32_e32 v7, 0x7f, v6
	v_mov_b32_e32 v8, 0x7f800001
	v_cmp_ne_u32_e64 s[4:5], s15, v7
	v_mov_b32_e32 v9, 0
	s_and_saveexec_b64 s[28:29], s[4:5]
	s_cbranch_execz .LBB253_1091
; %bb.1090:                             ;   in Loop: Header=BB253_619 Depth=1
	v_and_b32_e32 v12, 7, v6
	v_lshrrev_b32_e32 v13, 3, v7
	v_cmp_gt_u32_e64 s[4:5], 8, v7
	v_ffbh_u32_e32 v7, v12
	v_min_u32_e32 v7, 32, v7
	v_subrev_u32_e32 v8, 28, v7
	v_lshlrev_b64 v[8:9], v8, v[6:7]
	v_sub_u32_e32 v7, 29, v7
	v_and_b32_e32 v8, 7, v8
	v_cndmask_b32_e64 v7, v13, v7, s[4:5]
	v_cndmask_b32_e64 v8, v12, v8, s[4:5]
	v_lshlrev_b32_e32 v8, 20, v8
	v_and_b32_sdwa v9, sext(v6), s11 dst_sel:DWORD dst_unused:UNUSED_PAD src0_sel:BYTE_0 src1_sel:DWORD
	v_lshl_add_u32 v7, v7, 23, v30
	v_or3_b32 v26, v9, v7, v8
	v_pk_mov_b32 v[8:9], v[26:27], v[26:27] op_sel:[0,1]
.LBB253_1091:                           ;   in Loop: Header=BB253_619 Depth=1
	s_or_b64 exec, exec, s[28:29]
.LBB253_1092:                           ;   in Loop: Header=BB253_619 Depth=1
	s_or_b64 exec, exec, s[26:27]
.LBB253_1093:                           ;   in Loop: Header=BB253_619 Depth=1
	s_or_b64 exec, exec, s[24:25]
	v_cmp_ne_u16_sdwa s[4:5], v6, v27 src0_sel:BYTE_1 src1_sel:DWORD
	s_and_saveexec_b64 s[24:25], s[4:5]
	s_cbranch_execz .LBB253_1099
; %bb.1094:                             ;   in Loop: Header=BB253_619 Depth=1
	v_cmp_ne_u16_sdwa s[4:5], v6, s7 src0_sel:BYTE_1 src1_sel:DWORD
	v_pk_mov_b32 v[10:11], s[10:11], s[10:11] op_sel:[0,1]
	s_and_saveexec_b64 s[26:27], s[4:5]
	s_cbranch_execz .LBB253_1098
; %bb.1095:                             ;   in Loop: Header=BB253_619 Depth=1
	v_and_b32_sdwa v7, v6, s15 dst_sel:DWORD dst_unused:UNUSED_PAD src0_sel:BYTE_1 src1_sel:DWORD
	s_mov_b32 s22, s10
	v_cmp_ne_u32_e64 s[4:5], s15, v7
	v_pk_mov_b32 v[10:11], s[22:23], s[22:23] op_sel:[0,1]
	s_and_saveexec_b64 s[28:29], s[4:5]
	s_cbranch_execz .LBB253_1097
; %bb.1096:                             ;   in Loop: Header=BB253_619 Depth=1
	v_mov_b32_e32 v10, 7
	v_and_b32_sdwa v26, v6, v10 dst_sel:DWORD dst_unused:UNUSED_PAD src0_sel:BYTE_1 src1_sel:DWORD
	v_lshrrev_b32_e32 v12, 3, v7
	v_cmp_gt_u32_e64 s[4:5], 8, v7
	v_ffbh_u32_e32 v7, v26
	v_min_u32_e32 v7, 32, v7
	v_subrev_u32_e32 v10, 28, v7
	v_lshlrev_b64 v[10:11], v10, v[26:27]
	v_sub_u32_e32 v7, 29, v7
	v_and_b32_e32 v10, 7, v10
	v_cndmask_b32_e64 v7, v12, v7, s[4:5]
	v_cndmask_b32_e64 v10, v26, v10, s[4:5]
	v_lshlrev_b32_e32 v11, 16, v6
	v_lshl_add_u32 v7, v7, 23, v30
	v_and_or_b32 v7, v11, s11, v7
	v_lshlrev_b32_e32 v10, 20, v10
	v_or_b32_e32 v11, v7, v10
	v_mov_b32_e32 v10, v27
.LBB253_1097:                           ;   in Loop: Header=BB253_619 Depth=1
	s_or_b64 exec, exec, s[28:29]
.LBB253_1098:                           ;   in Loop: Header=BB253_619 Depth=1
	s_or_b64 exec, exec, s[26:27]
.LBB253_1099:                           ;   in Loop: Header=BB253_619 Depth=1
	s_or_b64 exec, exec, s[24:25]
	v_lshrrev_b32_e32 v18, 16, v6
	v_pk_mov_b32 v[16:17], 0, 0
	v_cmp_ne_u16_sdwa s[4:5], v18, v27 src0_sel:BYTE_0 src1_sel:DWORD
	v_pk_mov_b32 v[12:13], v[16:17], v[16:17] op_sel:[0,1]
	s_and_saveexec_b64 s[24:25], s[4:5]
	s_cbranch_execz .LBB253_1105
; %bb.1100:                             ;   in Loop: Header=BB253_619 Depth=1
	v_bfrev_b32_e32 v12, 1
	v_cmp_ne_u16_sdwa s[4:5], v18, s7 src0_sel:BYTE_0 src1_sel:DWORD
	v_mov_b32_e32 v13, 0
	s_and_saveexec_b64 s[26:27], s[4:5]
	s_cbranch_execz .LBB253_1104
; %bb.1101:                             ;   in Loop: Header=BB253_619 Depth=1
	v_bfe_u32 v7, v6, 16, 7
	v_mov_b32_e32 v12, 0x7f800001
	v_cmp_ne_u32_e64 s[4:5], s15, v7
	v_mov_b32_e32 v13, 0
	s_and_saveexec_b64 s[28:29], s[4:5]
	s_cbranch_execz .LBB253_1103
; %bb.1102:                             ;   in Loop: Header=BB253_619 Depth=1
	v_and_b32_e32 v19, 7, v18
	v_lshrrev_b32_e32 v20, 3, v7
	v_cmp_gt_u32_e64 s[4:5], 8, v7
	v_ffbh_u32_e32 v7, v19
	v_min_u32_e32 v7, 32, v7
	v_subrev_u32_e32 v12, 28, v7
	v_lshlrev_b64 v[12:13], v12, v[18:19]
	v_sub_u32_e32 v7, 29, v7
	v_and_b32_e32 v12, 7, v12
	v_cndmask_b32_e64 v7, v20, v7, s[4:5]
	v_cndmask_b32_e64 v12, v19, v12, s[4:5]
	v_lshlrev_b32_e32 v12, 20, v12
	v_and_b32_sdwa v13, sext(v18), s11 dst_sel:DWORD dst_unused:UNUSED_PAD src0_sel:BYTE_0 src1_sel:DWORD
	v_lshl_add_u32 v7, v7, 23, v30
	v_or3_b32 v26, v13, v7, v12
	v_pk_mov_b32 v[12:13], v[26:27], v[26:27] op_sel:[0,1]
.LBB253_1103:                           ;   in Loop: Header=BB253_619 Depth=1
	s_or_b64 exec, exec, s[28:29]
.LBB253_1104:                           ;   in Loop: Header=BB253_619 Depth=1
	s_or_b64 exec, exec, s[26:27]
.LBB253_1105:                           ;   in Loop: Header=BB253_619 Depth=1
	s_or_b64 exec, exec, s[24:25]
	v_cmp_lt_u32_e64 s[4:5], s30, v6
	s_and_saveexec_b64 s[24:25], s[4:5]
	s_cbranch_execz .LBB253_1111
; %bb.1106:                             ;   in Loop: Header=BB253_619 Depth=1
	v_cmp_ne_u32_sdwa s[4:5], v6, s7 src0_sel:BYTE_3 src1_sel:DWORD
	v_pk_mov_b32 v[16:17], s[10:11], s[10:11] op_sel:[0,1]
	s_and_saveexec_b64 s[26:27], s[4:5]
	s_cbranch_execz .LBB253_1110
; %bb.1107:                             ;   in Loop: Header=BB253_619 Depth=1
	v_bfe_u32 v7, v6, 24, 7
	s_mov_b32 s22, s10
	v_cmp_ne_u32_e64 s[4:5], s15, v7
	v_pk_mov_b32 v[16:17], s[22:23], s[22:23] op_sel:[0,1]
	s_and_saveexec_b64 s[28:29], s[4:5]
	s_cbranch_execz .LBB253_1109
; %bb.1108:                             ;   in Loop: Header=BB253_619 Depth=1
	v_mov_b32_e32 v16, 7
	v_and_b32_sdwa v26, v6, v16 dst_sel:DWORD dst_unused:UNUSED_PAD src0_sel:BYTE_3 src1_sel:DWORD
	v_lshrrev_b32_e32 v18, 3, v7
	v_cmp_gt_u32_e64 s[4:5], 8, v7
	v_ffbh_u32_e32 v7, v26
	v_min_u32_e32 v7, 32, v7
	v_subrev_u32_e32 v16, 28, v7
	v_lshlrev_b64 v[16:17], v16, v[26:27]
	v_sub_u32_e32 v7, 29, v7
	v_and_b32_e32 v16, 7, v16
	v_cndmask_b32_e64 v7, v18, v7, s[4:5]
	v_mov_b32_e32 v17, 24
	v_cndmask_b32_e64 v16, v26, v16, s[4:5]
	v_lshlrev_b32_sdwa v6, v17, v6 dst_sel:DWORD dst_unused:UNUSED_PAD src0_sel:DWORD src1_sel:BYTE_3
	v_lshl_add_u32 v7, v7, 23, v30
	v_and_or_b32 v6, v6, s11, v7
	v_lshlrev_b32_e32 v7, 20, v16
	v_or_b32_e32 v17, v6, v7
	v_mov_b32_e32 v16, v27
.LBB253_1109:                           ;   in Loop: Header=BB253_619 Depth=1
	s_or_b64 exec, exec, s[28:29]
.LBB253_1110:                           ;   in Loop: Header=BB253_619 Depth=1
	s_or_b64 exec, exec, s[26:27]
.LBB253_1111:                           ;   in Loop: Header=BB253_619 Depth=1
	s_or_b64 exec, exec, s[24:25]
	v_or_b32_e32 v7, v11, v9
	v_or_b32_e32 v6, v10, v8
	v_pk_mul_f32 v[36:37], v[34:35], v[6:7]
	v_or_b32_e32 v7, v17, v13
	v_or_b32_e32 v6, v16, v12
	v_pk_mul_f32 v[10:11], v[34:35], v[6:7]
	s_and_saveexec_b64 s[24:25], vcc
; %bb.1112:                             ;   in Loop: Header=BB253_619 Depth=1
	v_accvgpr_read_b32 v6, a10
	v_cmp_lt_i32_e64 s[4:5], v6, v62
	v_accvgpr_read_b32 v6, a39
	v_cndmask_b32_e64 v36, 0, v36, s[4:5]
	v_cmp_lt_i32_e64 s[4:5], v6, v62
	v_accvgpr_read_b32 v6, a21
	v_cndmask_b32_e64 v37, 0, v37, s[4:5]
	v_cmp_lt_i32_e64 s[4:5], v6, v62
	v_cndmask_b32_e64 v10, 0, v10, s[4:5]
	v_cmp_lt_i32_e64 s[4:5], v28, v62
	v_cndmask_b32_e64 v11, 0, v11, s[4:5]
; %bb.1113:                             ;   in Loop: Header=BB253_619 Depth=1
	s_or_b64 exec, exec, s[24:25]
	buffer_load_dword v6, off, s[0:3], s32 offset:308 ; 4-byte Folded Reload
	buffer_load_dword v7, off, s[0:3], s32 offset:312 ; 4-byte Folded Reload
	v_pk_mov_b32 v[12:13], 0, 0
	v_pk_mov_b32 v[8:9], v[12:13], v[12:13] op_sel:[0,1]
	s_waitcnt vmcnt(1)
	v_add_co_u32_e64 v6, s[4:5], v48, v6
	s_waitcnt vmcnt(0)
	v_addc_co_u32_e64 v7, s[4:5], 0, v49, s[4:5]
	flat_load_dword v6, v[6:7]
	s_waitcnt vmcnt(0) lgkmcnt(0)
	v_cmp_ne_u16_sdwa s[4:5], v6, v27 src0_sel:BYTE_0 src1_sel:DWORD
	s_and_saveexec_b64 s[24:25], s[4:5]
	s_cbranch_execz .LBB253_1119
; %bb.1114:                             ;   in Loop: Header=BB253_619 Depth=1
	v_bfrev_b32_e32 v8, 1
	v_cmp_ne_u16_sdwa s[4:5], v6, s7 src0_sel:BYTE_0 src1_sel:DWORD
	v_mov_b32_e32 v9, 0
	s_and_saveexec_b64 s[26:27], s[4:5]
	s_cbranch_execz .LBB253_1118
; %bb.1115:                             ;   in Loop: Header=BB253_619 Depth=1
	v_and_b32_e32 v7, 0x7f, v6
	v_mov_b32_e32 v8, 0x7f800001
	v_cmp_ne_u32_e64 s[4:5], s15, v7
	v_mov_b32_e32 v9, 0
	s_and_saveexec_b64 s[28:29], s[4:5]
	s_cbranch_execz .LBB253_1117
; %bb.1116:                             ;   in Loop: Header=BB253_619 Depth=1
	v_and_b32_e32 v16, 7, v6
	v_lshrrev_b32_e32 v17, 3, v7
	v_cmp_gt_u32_e64 s[4:5], 8, v7
	v_ffbh_u32_e32 v7, v16
	v_min_u32_e32 v7, 32, v7
	v_subrev_u32_e32 v8, 28, v7
	v_lshlrev_b64 v[8:9], v8, v[6:7]
	v_sub_u32_e32 v7, 29, v7
	v_and_b32_e32 v8, 7, v8
	v_cndmask_b32_e64 v7, v17, v7, s[4:5]
	v_cndmask_b32_e64 v8, v16, v8, s[4:5]
	v_lshlrev_b32_e32 v8, 20, v8
	v_and_b32_sdwa v9, sext(v6), s11 dst_sel:DWORD dst_unused:UNUSED_PAD src0_sel:BYTE_0 src1_sel:DWORD
	v_lshl_add_u32 v7, v7, 23, v30
	v_or3_b32 v26, v9, v7, v8
	v_pk_mov_b32 v[8:9], v[26:27], v[26:27] op_sel:[0,1]
.LBB253_1117:                           ;   in Loop: Header=BB253_619 Depth=1
	s_or_b64 exec, exec, s[28:29]
.LBB253_1118:                           ;   in Loop: Header=BB253_619 Depth=1
	s_or_b64 exec, exec, s[26:27]
.LBB253_1119:                           ;   in Loop: Header=BB253_619 Depth=1
	s_or_b64 exec, exec, s[24:25]
	v_cmp_ne_u16_sdwa s[4:5], v6, v27 src0_sel:BYTE_1 src1_sel:DWORD
	s_and_saveexec_b64 s[24:25], s[4:5]
	s_cbranch_execz .LBB253_1125
; %bb.1120:                             ;   in Loop: Header=BB253_619 Depth=1
	v_cmp_ne_u16_sdwa s[4:5], v6, s7 src0_sel:BYTE_1 src1_sel:DWORD
	v_pk_mov_b32 v[12:13], s[10:11], s[10:11] op_sel:[0,1]
	s_and_saveexec_b64 s[26:27], s[4:5]
	s_cbranch_execz .LBB253_1124
; %bb.1121:                             ;   in Loop: Header=BB253_619 Depth=1
	v_and_b32_sdwa v7, v6, s15 dst_sel:DWORD dst_unused:UNUSED_PAD src0_sel:BYTE_1 src1_sel:DWORD
	s_mov_b32 s22, s10
	v_cmp_ne_u32_e64 s[4:5], s15, v7
	v_pk_mov_b32 v[12:13], s[22:23], s[22:23] op_sel:[0,1]
	s_and_saveexec_b64 s[28:29], s[4:5]
	s_cbranch_execz .LBB253_1123
; %bb.1122:                             ;   in Loop: Header=BB253_619 Depth=1
	v_mov_b32_e32 v12, 7
	v_and_b32_sdwa v26, v6, v12 dst_sel:DWORD dst_unused:UNUSED_PAD src0_sel:BYTE_1 src1_sel:DWORD
	v_lshrrev_b32_e32 v16, 3, v7
	v_cmp_gt_u32_e64 s[4:5], 8, v7
	v_ffbh_u32_e32 v7, v26
	v_min_u32_e32 v7, 32, v7
	v_subrev_u32_e32 v12, 28, v7
	v_lshlrev_b64 v[12:13], v12, v[26:27]
	v_sub_u32_e32 v7, 29, v7
	v_and_b32_e32 v12, 7, v12
	v_cndmask_b32_e64 v7, v16, v7, s[4:5]
	v_cndmask_b32_e64 v12, v26, v12, s[4:5]
	v_lshlrev_b32_e32 v13, 16, v6
	v_lshl_add_u32 v7, v7, 23, v30
	v_and_or_b32 v7, v13, s11, v7
	v_lshlrev_b32_e32 v12, 20, v12
	v_or_b32_e32 v13, v7, v12
	v_mov_b32_e32 v12, v27
.LBB253_1123:                           ;   in Loop: Header=BB253_619 Depth=1
	s_or_b64 exec, exec, s[28:29]
.LBB253_1124:                           ;   in Loop: Header=BB253_619 Depth=1
	s_or_b64 exec, exec, s[26:27]
.LBB253_1125:                           ;   in Loop: Header=BB253_619 Depth=1
	s_or_b64 exec, exec, s[24:25]
	v_lshrrev_b32_e32 v20, 16, v6
	v_pk_mov_b32 v[18:19], 0, 0
	v_cmp_ne_u16_sdwa s[4:5], v20, v27 src0_sel:BYTE_0 src1_sel:DWORD
	v_pk_mov_b32 v[16:17], v[18:19], v[18:19] op_sel:[0,1]
	s_and_saveexec_b64 s[24:25], s[4:5]
	s_cbranch_execz .LBB253_1131
; %bb.1126:                             ;   in Loop: Header=BB253_619 Depth=1
	v_bfrev_b32_e32 v16, 1
	v_cmp_ne_u16_sdwa s[4:5], v20, s7 src0_sel:BYTE_0 src1_sel:DWORD
	v_mov_b32_e32 v17, 0
	s_and_saveexec_b64 s[26:27], s[4:5]
	s_cbranch_execz .LBB253_1130
; %bb.1127:                             ;   in Loop: Header=BB253_619 Depth=1
	v_bfe_u32 v7, v6, 16, 7
	v_mov_b32_e32 v16, 0x7f800001
	v_cmp_ne_u32_e64 s[4:5], s15, v7
	v_mov_b32_e32 v17, 0
	s_and_saveexec_b64 s[28:29], s[4:5]
	s_cbranch_execz .LBB253_1129
; %bb.1128:                             ;   in Loop: Header=BB253_619 Depth=1
	v_and_b32_e32 v21, 7, v20
	v_lshrrev_b32_e32 v22, 3, v7
	v_cmp_gt_u32_e64 s[4:5], 8, v7
	v_ffbh_u32_e32 v7, v21
	v_min_u32_e32 v7, 32, v7
	v_subrev_u32_e32 v16, 28, v7
	v_lshlrev_b64 v[16:17], v16, v[20:21]
	v_sub_u32_e32 v7, 29, v7
	v_and_b32_e32 v16, 7, v16
	v_cndmask_b32_e64 v7, v22, v7, s[4:5]
	v_cndmask_b32_e64 v16, v21, v16, s[4:5]
	v_lshlrev_b32_e32 v16, 20, v16
	v_and_b32_sdwa v17, sext(v20), s11 dst_sel:DWORD dst_unused:UNUSED_PAD src0_sel:BYTE_0 src1_sel:DWORD
	v_lshl_add_u32 v7, v7, 23, v30
	v_or3_b32 v26, v17, v7, v16
	v_pk_mov_b32 v[16:17], v[26:27], v[26:27] op_sel:[0,1]
.LBB253_1129:                           ;   in Loop: Header=BB253_619 Depth=1
	s_or_b64 exec, exec, s[28:29]
.LBB253_1130:                           ;   in Loop: Header=BB253_619 Depth=1
	s_or_b64 exec, exec, s[26:27]
.LBB253_1131:                           ;   in Loop: Header=BB253_619 Depth=1
	s_or_b64 exec, exec, s[24:25]
	v_cmp_lt_u32_e64 s[4:5], s30, v6
	s_and_saveexec_b64 s[24:25], s[4:5]
	s_cbranch_execz .LBB253_1137
; %bb.1132:                             ;   in Loop: Header=BB253_619 Depth=1
	v_cmp_ne_u32_sdwa s[4:5], v6, s7 src0_sel:BYTE_3 src1_sel:DWORD
	v_pk_mov_b32 v[18:19], s[10:11], s[10:11] op_sel:[0,1]
	s_and_saveexec_b64 s[26:27], s[4:5]
	s_cbranch_execz .LBB253_1136
; %bb.1133:                             ;   in Loop: Header=BB253_619 Depth=1
	v_bfe_u32 v7, v6, 24, 7
	s_mov_b32 s22, s10
	v_cmp_ne_u32_e64 s[4:5], s15, v7
	v_pk_mov_b32 v[18:19], s[22:23], s[22:23] op_sel:[0,1]
	s_and_saveexec_b64 s[28:29], s[4:5]
	s_cbranch_execz .LBB253_1135
; %bb.1134:                             ;   in Loop: Header=BB253_619 Depth=1
	v_mov_b32_e32 v18, 7
	v_and_b32_sdwa v26, v6, v18 dst_sel:DWORD dst_unused:UNUSED_PAD src0_sel:BYTE_3 src1_sel:DWORD
	v_lshrrev_b32_e32 v20, 3, v7
	v_cmp_gt_u32_e64 s[4:5], 8, v7
	v_ffbh_u32_e32 v7, v26
	v_min_u32_e32 v7, 32, v7
	v_subrev_u32_e32 v18, 28, v7
	v_lshlrev_b64 v[18:19], v18, v[26:27]
	v_sub_u32_e32 v7, 29, v7
	v_and_b32_e32 v18, 7, v18
	v_cndmask_b32_e64 v7, v20, v7, s[4:5]
	v_mov_b32_e32 v19, 24
	v_cndmask_b32_e64 v18, v26, v18, s[4:5]
	v_lshlrev_b32_sdwa v6, v19, v6 dst_sel:DWORD dst_unused:UNUSED_PAD src0_sel:DWORD src1_sel:BYTE_3
	v_lshl_add_u32 v7, v7, 23, v30
	v_and_or_b32 v6, v6, s11, v7
	v_lshlrev_b32_e32 v7, 20, v18
	v_or_b32_e32 v19, v6, v7
	v_mov_b32_e32 v18, v27
.LBB253_1135:                           ;   in Loop: Header=BB253_619 Depth=1
	s_or_b64 exec, exec, s[28:29]
.LBB253_1136:                           ;   in Loop: Header=BB253_619 Depth=1
	s_or_b64 exec, exec, s[26:27]
.LBB253_1137:                           ;   in Loop: Header=BB253_619 Depth=1
	s_or_b64 exec, exec, s[24:25]
	v_or_b32_e32 v7, v13, v9
	v_or_b32_e32 v6, v12, v8
	v_pk_mul_f32 v[56:57], v[34:35], v[6:7]
	v_or_b32_e32 v7, v19, v17
	v_or_b32_e32 v6, v18, v16
	v_pk_mul_f32 v[58:59], v[34:35], v[6:7]
	s_and_saveexec_b64 s[24:25], vcc
; %bb.1138:                             ;   in Loop: Header=BB253_619 Depth=1
	v_accvgpr_read_b32 v6, a10
	v_cmp_lt_i32_e64 s[4:5], v6, v62
	v_accvgpr_read_b32 v6, a39
	v_cndmask_b32_e64 v56, 0, v56, s[4:5]
	v_cmp_lt_i32_e64 s[4:5], v6, v62
	v_accvgpr_read_b32 v6, a21
	v_cndmask_b32_e64 v57, 0, v57, s[4:5]
	v_cmp_lt_i32_e64 s[4:5], v6, v62
	v_cndmask_b32_e64 v58, 0, v58, s[4:5]
	v_cmp_lt_i32_e64 s[4:5], v28, v62
	v_cndmask_b32_e64 v59, 0, v59, s[4:5]
; %bb.1139:                             ;   in Loop: Header=BB253_619 Depth=1
	s_or_b64 exec, exec, s[24:25]
	buffer_load_dword v6, off, s[0:3], s32 offset:316 ; 4-byte Folded Reload
	buffer_load_dword v7, off, s[0:3], s32 offset:320 ; 4-byte Folded Reload
	v_pk_mov_b32 v[12:13], 0, 0
	v_pk_mov_b32 v[8:9], v[12:13], v[12:13] op_sel:[0,1]
	s_waitcnt vmcnt(1)
	v_add_co_u32_e64 v6, s[4:5], v48, v6
	s_waitcnt vmcnt(0)
	v_addc_co_u32_e64 v7, s[4:5], 0, v49, s[4:5]
	flat_load_dword v6, v[6:7]
	s_waitcnt vmcnt(0) lgkmcnt(0)
	v_cmp_ne_u16_sdwa s[4:5], v6, v27 src0_sel:BYTE_0 src1_sel:DWORD
	s_and_saveexec_b64 s[24:25], s[4:5]
	s_cbranch_execz .LBB253_1145
; %bb.1140:                             ;   in Loop: Header=BB253_619 Depth=1
	v_bfrev_b32_e32 v8, 1
	v_cmp_ne_u16_sdwa s[4:5], v6, s7 src0_sel:BYTE_0 src1_sel:DWORD
	v_mov_b32_e32 v9, 0
	s_and_saveexec_b64 s[26:27], s[4:5]
	s_cbranch_execz .LBB253_1144
; %bb.1141:                             ;   in Loop: Header=BB253_619 Depth=1
	v_and_b32_e32 v7, 0x7f, v6
	v_mov_b32_e32 v8, 0x7f800001
	v_cmp_ne_u32_e64 s[4:5], s15, v7
	v_mov_b32_e32 v9, 0
	s_and_saveexec_b64 s[28:29], s[4:5]
	s_cbranch_execz .LBB253_1143
; %bb.1142:                             ;   in Loop: Header=BB253_619 Depth=1
	v_and_b32_e32 v16, 7, v6
	v_lshrrev_b32_e32 v17, 3, v7
	v_cmp_gt_u32_e64 s[4:5], 8, v7
	v_ffbh_u32_e32 v7, v16
	v_min_u32_e32 v7, 32, v7
	v_subrev_u32_e32 v8, 28, v7
	v_lshlrev_b64 v[8:9], v8, v[6:7]
	v_sub_u32_e32 v7, 29, v7
	v_and_b32_e32 v8, 7, v8
	v_cndmask_b32_e64 v7, v17, v7, s[4:5]
	v_cndmask_b32_e64 v8, v16, v8, s[4:5]
	v_lshlrev_b32_e32 v8, 20, v8
	v_and_b32_sdwa v9, sext(v6), s11 dst_sel:DWORD dst_unused:UNUSED_PAD src0_sel:BYTE_0 src1_sel:DWORD
	v_lshl_add_u32 v7, v7, 23, v30
	v_or3_b32 v26, v9, v7, v8
	v_pk_mov_b32 v[8:9], v[26:27], v[26:27] op_sel:[0,1]
.LBB253_1143:                           ;   in Loop: Header=BB253_619 Depth=1
	s_or_b64 exec, exec, s[28:29]
.LBB253_1144:                           ;   in Loop: Header=BB253_619 Depth=1
	s_or_b64 exec, exec, s[26:27]
.LBB253_1145:                           ;   in Loop: Header=BB253_619 Depth=1
	s_or_b64 exec, exec, s[24:25]
	v_cmp_ne_u16_sdwa s[4:5], v6, v27 src0_sel:BYTE_1 src1_sel:DWORD
	s_and_saveexec_b64 s[24:25], s[4:5]
	s_cbranch_execz .LBB253_1151
; %bb.1146:                             ;   in Loop: Header=BB253_619 Depth=1
	v_cmp_ne_u16_sdwa s[4:5], v6, s7 src0_sel:BYTE_1 src1_sel:DWORD
	v_pk_mov_b32 v[12:13], s[10:11], s[10:11] op_sel:[0,1]
	s_and_saveexec_b64 s[26:27], s[4:5]
	s_cbranch_execz .LBB253_1150
; %bb.1147:                             ;   in Loop: Header=BB253_619 Depth=1
	v_and_b32_sdwa v7, v6, s15 dst_sel:DWORD dst_unused:UNUSED_PAD src0_sel:BYTE_1 src1_sel:DWORD
	s_mov_b32 s22, s10
	v_cmp_ne_u32_e64 s[4:5], s15, v7
	v_pk_mov_b32 v[12:13], s[22:23], s[22:23] op_sel:[0,1]
	s_and_saveexec_b64 s[28:29], s[4:5]
	s_cbranch_execz .LBB253_1149
; %bb.1148:                             ;   in Loop: Header=BB253_619 Depth=1
	v_mov_b32_e32 v12, 7
	v_and_b32_sdwa v26, v6, v12 dst_sel:DWORD dst_unused:UNUSED_PAD src0_sel:BYTE_1 src1_sel:DWORD
	v_lshrrev_b32_e32 v16, 3, v7
	v_cmp_gt_u32_e64 s[4:5], 8, v7
	v_ffbh_u32_e32 v7, v26
	v_min_u32_e32 v7, 32, v7
	v_subrev_u32_e32 v12, 28, v7
	v_lshlrev_b64 v[12:13], v12, v[26:27]
	v_sub_u32_e32 v7, 29, v7
	v_and_b32_e32 v12, 7, v12
	v_cndmask_b32_e64 v7, v16, v7, s[4:5]
	v_cndmask_b32_e64 v12, v26, v12, s[4:5]
	v_lshlrev_b32_e32 v13, 16, v6
	v_lshl_add_u32 v7, v7, 23, v30
	v_and_or_b32 v7, v13, s11, v7
	v_lshlrev_b32_e32 v12, 20, v12
	v_or_b32_e32 v13, v7, v12
	v_mov_b32_e32 v12, v27
.LBB253_1149:                           ;   in Loop: Header=BB253_619 Depth=1
	s_or_b64 exec, exec, s[28:29]
.LBB253_1150:                           ;   in Loop: Header=BB253_619 Depth=1
	s_or_b64 exec, exec, s[26:27]
.LBB253_1151:                           ;   in Loop: Header=BB253_619 Depth=1
	s_or_b64 exec, exec, s[24:25]
	v_lshrrev_b32_e32 v20, 16, v6
	v_pk_mov_b32 v[18:19], 0, 0
	v_cmp_ne_u16_sdwa s[4:5], v20, v27 src0_sel:BYTE_0 src1_sel:DWORD
	v_pk_mov_b32 v[16:17], v[18:19], v[18:19] op_sel:[0,1]
	s_and_saveexec_b64 s[24:25], s[4:5]
	s_cbranch_execz .LBB253_1157
; %bb.1152:                             ;   in Loop: Header=BB253_619 Depth=1
	v_bfrev_b32_e32 v16, 1
	v_cmp_ne_u16_sdwa s[4:5], v20, s7 src0_sel:BYTE_0 src1_sel:DWORD
	v_mov_b32_e32 v17, 0
	s_and_saveexec_b64 s[26:27], s[4:5]
	s_cbranch_execz .LBB253_1156
; %bb.1153:                             ;   in Loop: Header=BB253_619 Depth=1
	v_bfe_u32 v7, v6, 16, 7
	v_mov_b32_e32 v16, 0x7f800001
	v_cmp_ne_u32_e64 s[4:5], s15, v7
	v_mov_b32_e32 v17, 0
	s_and_saveexec_b64 s[28:29], s[4:5]
	s_cbranch_execz .LBB253_1155
; %bb.1154:                             ;   in Loop: Header=BB253_619 Depth=1
	v_and_b32_e32 v21, 7, v20
	v_lshrrev_b32_e32 v22, 3, v7
	v_cmp_gt_u32_e64 s[4:5], 8, v7
	v_ffbh_u32_e32 v7, v21
	v_min_u32_e32 v7, 32, v7
	v_subrev_u32_e32 v16, 28, v7
	v_lshlrev_b64 v[16:17], v16, v[20:21]
	v_sub_u32_e32 v7, 29, v7
	v_and_b32_e32 v16, 7, v16
	v_cndmask_b32_e64 v7, v22, v7, s[4:5]
	v_cndmask_b32_e64 v16, v21, v16, s[4:5]
	v_lshlrev_b32_e32 v16, 20, v16
	v_and_b32_sdwa v17, sext(v20), s11 dst_sel:DWORD dst_unused:UNUSED_PAD src0_sel:BYTE_0 src1_sel:DWORD
	v_lshl_add_u32 v7, v7, 23, v30
	v_or3_b32 v26, v17, v7, v16
	v_pk_mov_b32 v[16:17], v[26:27], v[26:27] op_sel:[0,1]
.LBB253_1155:                           ;   in Loop: Header=BB253_619 Depth=1
	s_or_b64 exec, exec, s[28:29]
.LBB253_1156:                           ;   in Loop: Header=BB253_619 Depth=1
	s_or_b64 exec, exec, s[26:27]
.LBB253_1157:                           ;   in Loop: Header=BB253_619 Depth=1
	s_or_b64 exec, exec, s[24:25]
	v_cmp_lt_u32_e64 s[4:5], s30, v6
	s_and_saveexec_b64 s[24:25], s[4:5]
	s_cbranch_execz .LBB253_1163
; %bb.1158:                             ;   in Loop: Header=BB253_619 Depth=1
	v_cmp_ne_u32_sdwa s[4:5], v6, s7 src0_sel:BYTE_3 src1_sel:DWORD
	v_pk_mov_b32 v[18:19], s[10:11], s[10:11] op_sel:[0,1]
	s_and_saveexec_b64 s[26:27], s[4:5]
	s_cbranch_execz .LBB253_1162
; %bb.1159:                             ;   in Loop: Header=BB253_619 Depth=1
	v_bfe_u32 v7, v6, 24, 7
	s_mov_b32 s22, s10
	v_cmp_ne_u32_e64 s[4:5], s15, v7
	v_pk_mov_b32 v[18:19], s[22:23], s[22:23] op_sel:[0,1]
	s_and_saveexec_b64 s[28:29], s[4:5]
	s_cbranch_execz .LBB253_1161
; %bb.1160:                             ;   in Loop: Header=BB253_619 Depth=1
	v_mov_b32_e32 v18, 7
	v_and_b32_sdwa v26, v6, v18 dst_sel:DWORD dst_unused:UNUSED_PAD src0_sel:BYTE_3 src1_sel:DWORD
	v_lshrrev_b32_e32 v20, 3, v7
	v_cmp_gt_u32_e64 s[4:5], 8, v7
	v_ffbh_u32_e32 v7, v26
	v_min_u32_e32 v7, 32, v7
	v_subrev_u32_e32 v18, 28, v7
	v_lshlrev_b64 v[18:19], v18, v[26:27]
	v_sub_u32_e32 v7, 29, v7
	v_and_b32_e32 v18, 7, v18
	v_cndmask_b32_e64 v7, v20, v7, s[4:5]
	v_mov_b32_e32 v19, 24
	v_cndmask_b32_e64 v18, v26, v18, s[4:5]
	v_lshlrev_b32_sdwa v6, v19, v6 dst_sel:DWORD dst_unused:UNUSED_PAD src0_sel:DWORD src1_sel:BYTE_3
	v_lshl_add_u32 v7, v7, 23, v30
	v_and_or_b32 v6, v6, s11, v7
	v_lshlrev_b32_e32 v7, 20, v18
	v_or_b32_e32 v19, v6, v7
	v_mov_b32_e32 v18, v27
.LBB253_1161:                           ;   in Loop: Header=BB253_619 Depth=1
	s_or_b64 exec, exec, s[28:29]
.LBB253_1162:                           ;   in Loop: Header=BB253_619 Depth=1
	s_or_b64 exec, exec, s[26:27]
.LBB253_1163:                           ;   in Loop: Header=BB253_619 Depth=1
	s_or_b64 exec, exec, s[24:25]
	v_or_b32_e32 v7, v13, v9
	v_or_b32_e32 v6, v12, v8
	v_pk_mul_f32 v[50:51], v[34:35], v[6:7]
	v_or_b32_e32 v7, v19, v17
	v_or_b32_e32 v6, v18, v16
	v_pk_mul_f32 v[6:7], v[34:35], v[6:7]
	s_and_saveexec_b64 s[24:25], vcc
; %bb.1164:                             ;   in Loop: Header=BB253_619 Depth=1
	v_accvgpr_read_b32 v8, a10
	v_cmp_lt_i32_e64 s[4:5], v8, v62
	v_accvgpr_read_b32 v8, a39
	v_cndmask_b32_e64 v50, 0, v50, s[4:5]
	v_cmp_lt_i32_e64 s[4:5], v8, v62
	v_accvgpr_read_b32 v8, a21
	v_cndmask_b32_e64 v51, 0, v51, s[4:5]
	v_cmp_lt_i32_e64 s[4:5], v8, v62
	v_cndmask_b32_e64 v6, 0, v6, s[4:5]
	v_cmp_lt_i32_e64 s[4:5], v28, v62
	v_cndmask_b32_e64 v7, 0, v7, s[4:5]
; %bb.1165:                             ;   in Loop: Header=BB253_619 Depth=1
	s_or_b64 exec, exec, s[24:25]
	buffer_load_dword v8, off, s[0:3], s32 offset:324 ; 4-byte Folded Reload
	buffer_load_dword v9, off, s[0:3], s32 offset:328 ; 4-byte Folded Reload
	v_pk_mov_b32 v[16:17], 0, 0
	v_pk_mov_b32 v[12:13], v[16:17], v[16:17] op_sel:[0,1]
	s_waitcnt vmcnt(1)
	v_add_co_u32_e64 v8, s[4:5], v48, v8
	s_waitcnt vmcnt(0)
	v_addc_co_u32_e64 v9, s[4:5], 0, v49, s[4:5]
	flat_load_dword v8, v[8:9]
	s_waitcnt vmcnt(0) lgkmcnt(0)
	v_cmp_ne_u16_sdwa s[4:5], v8, v27 src0_sel:BYTE_0 src1_sel:DWORD
	s_and_saveexec_b64 s[24:25], s[4:5]
	s_cbranch_execz .LBB253_1171
; %bb.1166:                             ;   in Loop: Header=BB253_619 Depth=1
	v_bfrev_b32_e32 v12, 1
	v_cmp_ne_u16_sdwa s[4:5], v8, s7 src0_sel:BYTE_0 src1_sel:DWORD
	v_mov_b32_e32 v13, 0
	s_and_saveexec_b64 s[26:27], s[4:5]
	s_cbranch_execz .LBB253_1170
; %bb.1167:                             ;   in Loop: Header=BB253_619 Depth=1
	v_and_b32_e32 v9, 0x7f, v8
	v_mov_b32_e32 v12, 0x7f800001
	v_cmp_ne_u32_e64 s[4:5], s15, v9
	v_mov_b32_e32 v13, 0
	s_and_saveexec_b64 s[28:29], s[4:5]
	s_cbranch_execz .LBB253_1169
; %bb.1168:                             ;   in Loop: Header=BB253_619 Depth=1
	v_and_b32_e32 v18, 7, v8
	v_lshrrev_b32_e32 v19, 3, v9
	v_cmp_gt_u32_e64 s[4:5], 8, v9
	v_ffbh_u32_e32 v9, v18
	v_min_u32_e32 v9, 32, v9
	v_subrev_u32_e32 v12, 28, v9
	v_lshlrev_b64 v[12:13], v12, v[8:9]
	v_sub_u32_e32 v9, 29, v9
	v_and_b32_e32 v12, 7, v12
	v_cndmask_b32_e64 v9, v19, v9, s[4:5]
	v_cndmask_b32_e64 v12, v18, v12, s[4:5]
	v_lshlrev_b32_e32 v12, 20, v12
	v_and_b32_sdwa v13, sext(v8), s11 dst_sel:DWORD dst_unused:UNUSED_PAD src0_sel:BYTE_0 src1_sel:DWORD
	v_lshl_add_u32 v9, v9, 23, v30
	v_or3_b32 v26, v13, v9, v12
	v_pk_mov_b32 v[12:13], v[26:27], v[26:27] op_sel:[0,1]
.LBB253_1169:                           ;   in Loop: Header=BB253_619 Depth=1
	s_or_b64 exec, exec, s[28:29]
.LBB253_1170:                           ;   in Loop: Header=BB253_619 Depth=1
	s_or_b64 exec, exec, s[26:27]
.LBB253_1171:                           ;   in Loop: Header=BB253_619 Depth=1
	s_or_b64 exec, exec, s[24:25]
	v_cmp_ne_u16_sdwa s[4:5], v8, v27 src0_sel:BYTE_1 src1_sel:DWORD
	s_and_saveexec_b64 s[24:25], s[4:5]
	s_cbranch_execz .LBB253_1177
; %bb.1172:                             ;   in Loop: Header=BB253_619 Depth=1
	v_cmp_ne_u16_sdwa s[4:5], v8, s7 src0_sel:BYTE_1 src1_sel:DWORD
	v_pk_mov_b32 v[16:17], s[10:11], s[10:11] op_sel:[0,1]
	s_and_saveexec_b64 s[26:27], s[4:5]
	s_cbranch_execz .LBB253_1176
; %bb.1173:                             ;   in Loop: Header=BB253_619 Depth=1
	v_and_b32_sdwa v9, v8, s15 dst_sel:DWORD dst_unused:UNUSED_PAD src0_sel:BYTE_1 src1_sel:DWORD
	s_mov_b32 s22, s10
	v_cmp_ne_u32_e64 s[4:5], s15, v9
	v_pk_mov_b32 v[16:17], s[22:23], s[22:23] op_sel:[0,1]
	s_and_saveexec_b64 s[28:29], s[4:5]
	s_cbranch_execz .LBB253_1175
; %bb.1174:                             ;   in Loop: Header=BB253_619 Depth=1
	v_mov_b32_e32 v16, 7
	v_and_b32_sdwa v26, v8, v16 dst_sel:DWORD dst_unused:UNUSED_PAD src0_sel:BYTE_1 src1_sel:DWORD
	v_lshrrev_b32_e32 v18, 3, v9
	v_cmp_gt_u32_e64 s[4:5], 8, v9
	v_ffbh_u32_e32 v9, v26
	v_min_u32_e32 v9, 32, v9
	v_subrev_u32_e32 v16, 28, v9
	v_lshlrev_b64 v[16:17], v16, v[26:27]
	v_sub_u32_e32 v9, 29, v9
	v_and_b32_e32 v16, 7, v16
	v_cndmask_b32_e64 v9, v18, v9, s[4:5]
	v_cndmask_b32_e64 v16, v26, v16, s[4:5]
	v_lshlrev_b32_e32 v17, 16, v8
	v_lshl_add_u32 v9, v9, 23, v30
	v_and_or_b32 v9, v17, s11, v9
	v_lshlrev_b32_e32 v16, 20, v16
	v_or_b32_e32 v17, v9, v16
	v_mov_b32_e32 v16, v27
.LBB253_1175:                           ;   in Loop: Header=BB253_619 Depth=1
	s_or_b64 exec, exec, s[28:29]
.LBB253_1176:                           ;   in Loop: Header=BB253_619 Depth=1
	s_or_b64 exec, exec, s[26:27]
.LBB253_1177:                           ;   in Loop: Header=BB253_619 Depth=1
	s_or_b64 exec, exec, s[24:25]
	v_lshrrev_b32_e32 v22, 16, v8
	v_pk_mov_b32 v[20:21], 0, 0
	v_cmp_ne_u16_sdwa s[4:5], v22, v27 src0_sel:BYTE_0 src1_sel:DWORD
	v_pk_mov_b32 v[18:19], v[20:21], v[20:21] op_sel:[0,1]
	s_and_saveexec_b64 s[24:25], s[4:5]
	s_cbranch_execz .LBB253_1183
; %bb.1178:                             ;   in Loop: Header=BB253_619 Depth=1
	v_bfrev_b32_e32 v18, 1
	v_cmp_ne_u16_sdwa s[4:5], v22, s7 src0_sel:BYTE_0 src1_sel:DWORD
	v_mov_b32_e32 v19, 0
	s_and_saveexec_b64 s[26:27], s[4:5]
	s_cbranch_execz .LBB253_1182
; %bb.1179:                             ;   in Loop: Header=BB253_619 Depth=1
	v_bfe_u32 v9, v8, 16, 7
	v_mov_b32_e32 v18, 0x7f800001
	v_cmp_ne_u32_e64 s[4:5], s15, v9
	v_mov_b32_e32 v19, 0
	s_and_saveexec_b64 s[28:29], s[4:5]
	s_cbranch_execz .LBB253_1181
; %bb.1180:                             ;   in Loop: Header=BB253_619 Depth=1
	v_and_b32_e32 v23, 7, v22
	v_lshrrev_b32_e32 v24, 3, v9
	v_cmp_gt_u32_e64 s[4:5], 8, v9
	v_ffbh_u32_e32 v9, v23
	v_min_u32_e32 v9, 32, v9
	v_subrev_u32_e32 v18, 28, v9
	v_lshlrev_b64 v[18:19], v18, v[22:23]
	v_sub_u32_e32 v9, 29, v9
	v_and_b32_e32 v18, 7, v18
	v_cndmask_b32_e64 v9, v24, v9, s[4:5]
	v_cndmask_b32_e64 v18, v23, v18, s[4:5]
	v_lshlrev_b32_e32 v18, 20, v18
	v_and_b32_sdwa v19, sext(v22), s11 dst_sel:DWORD dst_unused:UNUSED_PAD src0_sel:BYTE_0 src1_sel:DWORD
	v_lshl_add_u32 v9, v9, 23, v30
	v_or3_b32 v26, v19, v9, v18
	v_pk_mov_b32 v[18:19], v[26:27], v[26:27] op_sel:[0,1]
.LBB253_1181:                           ;   in Loop: Header=BB253_619 Depth=1
	s_or_b64 exec, exec, s[28:29]
.LBB253_1182:                           ;   in Loop: Header=BB253_619 Depth=1
	s_or_b64 exec, exec, s[26:27]
.LBB253_1183:                           ;   in Loop: Header=BB253_619 Depth=1
	s_or_b64 exec, exec, s[24:25]
	v_cmp_lt_u32_e64 s[4:5], s30, v8
	s_and_saveexec_b64 s[24:25], s[4:5]
	s_cbranch_execz .LBB253_1189
; %bb.1184:                             ;   in Loop: Header=BB253_619 Depth=1
	v_cmp_ne_u32_sdwa s[4:5], v8, s7 src0_sel:BYTE_3 src1_sel:DWORD
	v_pk_mov_b32 v[20:21], s[10:11], s[10:11] op_sel:[0,1]
	s_and_saveexec_b64 s[26:27], s[4:5]
	s_cbranch_execz .LBB253_1188
; %bb.1185:                             ;   in Loop: Header=BB253_619 Depth=1
	v_bfe_u32 v9, v8, 24, 7
	s_mov_b32 s22, s10
	v_cmp_ne_u32_e64 s[4:5], s15, v9
	v_pk_mov_b32 v[20:21], s[22:23], s[22:23] op_sel:[0,1]
	s_and_saveexec_b64 s[28:29], s[4:5]
	s_cbranch_execz .LBB253_1187
; %bb.1186:                             ;   in Loop: Header=BB253_619 Depth=1
	v_mov_b32_e32 v20, 7
	v_and_b32_sdwa v26, v8, v20 dst_sel:DWORD dst_unused:UNUSED_PAD src0_sel:BYTE_3 src1_sel:DWORD
	v_lshrrev_b32_e32 v22, 3, v9
	v_cmp_gt_u32_e64 s[4:5], 8, v9
	v_ffbh_u32_e32 v9, v26
	v_min_u32_e32 v9, 32, v9
	v_subrev_u32_e32 v20, 28, v9
	v_lshlrev_b64 v[20:21], v20, v[26:27]
	v_sub_u32_e32 v9, 29, v9
	v_and_b32_e32 v20, 7, v20
	v_cndmask_b32_e64 v9, v22, v9, s[4:5]
	v_mov_b32_e32 v21, 24
	v_cndmask_b32_e64 v20, v26, v20, s[4:5]
	v_lshlrev_b32_sdwa v8, v21, v8 dst_sel:DWORD dst_unused:UNUSED_PAD src0_sel:DWORD src1_sel:BYTE_3
	v_lshl_add_u32 v9, v9, 23, v30
	v_and_or_b32 v8, v8, s11, v9
	v_lshlrev_b32_e32 v9, 20, v20
	v_or_b32_e32 v21, v8, v9
	v_mov_b32_e32 v20, v27
.LBB253_1187:                           ;   in Loop: Header=BB253_619 Depth=1
	s_or_b64 exec, exec, s[28:29]
.LBB253_1188:                           ;   in Loop: Header=BB253_619 Depth=1
	s_or_b64 exec, exec, s[26:27]
.LBB253_1189:                           ;   in Loop: Header=BB253_619 Depth=1
	s_or_b64 exec, exec, s[24:25]
	v_or_b32_e32 v9, v17, v13
	v_or_b32_e32 v8, v16, v12
	;; [unrolled: 1-line block ×4, first 2 shown]
	v_pk_mul_f32 v[8:9], v[34:35], v[8:9]
	v_pk_mul_f32 v[12:13], v[34:35], v[12:13]
	s_and_saveexec_b64 s[24:25], vcc
; %bb.1190:                             ;   in Loop: Header=BB253_619 Depth=1
	v_accvgpr_read_b32 v16, a10
	v_cmp_lt_i32_e64 s[4:5], v16, v62
	v_accvgpr_read_b32 v16, a39
	v_cndmask_b32_e64 v8, 0, v8, s[4:5]
	v_cmp_lt_i32_e64 s[4:5], v16, v62
	v_accvgpr_read_b32 v16, a21
	v_cndmask_b32_e64 v9, 0, v9, s[4:5]
	v_cmp_lt_i32_e64 s[4:5], v16, v62
	v_cndmask_b32_e64 v12, 0, v12, s[4:5]
	v_cmp_lt_i32_e64 s[4:5], v28, v62
	v_cndmask_b32_e64 v13, 0, v13, s[4:5]
; %bb.1191:                             ;   in Loop: Header=BB253_619 Depth=1
	s_or_b64 exec, exec, s[24:25]
	buffer_load_dword v16, off, s[0:3], s32 offset:332 ; 4-byte Folded Reload
	buffer_load_dword v17, off, s[0:3], s32 offset:336 ; 4-byte Folded Reload
	v_pk_mov_b32 v[20:21], 0, 0
	v_pk_mov_b32 v[18:19], v[20:21], v[20:21] op_sel:[0,1]
	s_waitcnt vmcnt(1)
	v_add_co_u32_e64 v16, s[4:5], v48, v16
	s_waitcnt vmcnt(0)
	v_addc_co_u32_e64 v17, s[4:5], 0, v49, s[4:5]
	flat_load_dword v16, v[16:17]
	s_waitcnt vmcnt(0) lgkmcnt(0)
	v_cmp_ne_u16_sdwa s[4:5], v16, v27 src0_sel:BYTE_0 src1_sel:DWORD
	s_and_saveexec_b64 s[24:25], s[4:5]
	s_cbranch_execz .LBB253_1197
; %bb.1192:                             ;   in Loop: Header=BB253_619 Depth=1
	v_bfrev_b32_e32 v18, 1
	v_cmp_ne_u16_sdwa s[4:5], v16, s7 src0_sel:BYTE_0 src1_sel:DWORD
	v_mov_b32_e32 v19, 0
	s_and_saveexec_b64 s[26:27], s[4:5]
	s_cbranch_execz .LBB253_1196
; %bb.1193:                             ;   in Loop: Header=BB253_619 Depth=1
	v_and_b32_e32 v17, 0x7f, v16
	v_mov_b32_e32 v18, 0x7f800001
	v_cmp_ne_u32_e64 s[4:5], s15, v17
	v_mov_b32_e32 v19, 0
	s_and_saveexec_b64 s[28:29], s[4:5]
	s_cbranch_execz .LBB253_1195
; %bb.1194:                             ;   in Loop: Header=BB253_619 Depth=1
	v_and_b32_e32 v22, 7, v16
	v_lshrrev_b32_e32 v23, 3, v17
	v_cmp_gt_u32_e64 s[4:5], 8, v17
	v_ffbh_u32_e32 v17, v22
	v_min_u32_e32 v17, 32, v17
	v_subrev_u32_e32 v18, 28, v17
	v_lshlrev_b64 v[18:19], v18, v[16:17]
	v_sub_u32_e32 v17, 29, v17
	v_and_b32_e32 v18, 7, v18
	v_cndmask_b32_e64 v17, v23, v17, s[4:5]
	v_cndmask_b32_e64 v18, v22, v18, s[4:5]
	v_lshlrev_b32_e32 v18, 20, v18
	v_and_b32_sdwa v19, sext(v16), s11 dst_sel:DWORD dst_unused:UNUSED_PAD src0_sel:BYTE_0 src1_sel:DWORD
	v_lshl_add_u32 v17, v17, 23, v30
	v_or3_b32 v26, v19, v17, v18
	v_pk_mov_b32 v[18:19], v[26:27], v[26:27] op_sel:[0,1]
.LBB253_1195:                           ;   in Loop: Header=BB253_619 Depth=1
	s_or_b64 exec, exec, s[28:29]
.LBB253_1196:                           ;   in Loop: Header=BB253_619 Depth=1
	s_or_b64 exec, exec, s[26:27]
.LBB253_1197:                           ;   in Loop: Header=BB253_619 Depth=1
	s_or_b64 exec, exec, s[24:25]
	v_cmp_ne_u16_sdwa s[4:5], v16, v27 src0_sel:BYTE_1 src1_sel:DWORD
	s_and_saveexec_b64 s[24:25], s[4:5]
	s_cbranch_execz .LBB253_1203
; %bb.1198:                             ;   in Loop: Header=BB253_619 Depth=1
	v_cmp_ne_u16_sdwa s[4:5], v16, s7 src0_sel:BYTE_1 src1_sel:DWORD
	v_pk_mov_b32 v[20:21], s[10:11], s[10:11] op_sel:[0,1]
	s_and_saveexec_b64 s[26:27], s[4:5]
	s_cbranch_execz .LBB253_1202
; %bb.1199:                             ;   in Loop: Header=BB253_619 Depth=1
	v_and_b32_sdwa v17, v16, s15 dst_sel:DWORD dst_unused:UNUSED_PAD src0_sel:BYTE_1 src1_sel:DWORD
	s_mov_b32 s22, s10
	v_cmp_ne_u32_e64 s[4:5], s15, v17
	v_pk_mov_b32 v[20:21], s[22:23], s[22:23] op_sel:[0,1]
	s_and_saveexec_b64 s[28:29], s[4:5]
	s_cbranch_execz .LBB253_1201
; %bb.1200:                             ;   in Loop: Header=BB253_619 Depth=1
	v_mov_b32_e32 v20, 7
	v_and_b32_sdwa v26, v16, v20 dst_sel:DWORD dst_unused:UNUSED_PAD src0_sel:BYTE_1 src1_sel:DWORD
	v_lshrrev_b32_e32 v22, 3, v17
	v_cmp_gt_u32_e64 s[4:5], 8, v17
	v_ffbh_u32_e32 v17, v26
	v_min_u32_e32 v17, 32, v17
	v_subrev_u32_e32 v20, 28, v17
	v_lshlrev_b64 v[20:21], v20, v[26:27]
	v_sub_u32_e32 v17, 29, v17
	v_and_b32_e32 v20, 7, v20
	v_cndmask_b32_e64 v17, v22, v17, s[4:5]
	v_cndmask_b32_e64 v20, v26, v20, s[4:5]
	v_lshlrev_b32_e32 v21, 16, v16
	v_lshl_add_u32 v17, v17, 23, v30
	v_and_or_b32 v17, v21, s11, v17
	v_lshlrev_b32_e32 v20, 20, v20
	v_or_b32_e32 v21, v17, v20
	v_mov_b32_e32 v20, v27
.LBB253_1201:                           ;   in Loop: Header=BB253_619 Depth=1
	s_or_b64 exec, exec, s[28:29]
.LBB253_1202:                           ;   in Loop: Header=BB253_619 Depth=1
	s_or_b64 exec, exec, s[26:27]
.LBB253_1203:                           ;   in Loop: Header=BB253_619 Depth=1
	s_or_b64 exec, exec, s[24:25]
	v_lshrrev_b32_e32 v24, 16, v16
	v_pk_mov_b32 v[38:39], 0, 0
	v_cmp_ne_u16_sdwa s[4:5], v24, v27 src0_sel:BYTE_0 src1_sel:DWORD
	v_pk_mov_b32 v[22:23], v[38:39], v[38:39] op_sel:[0,1]
	s_and_saveexec_b64 s[24:25], s[4:5]
	s_cbranch_execz .LBB253_1209
; %bb.1204:                             ;   in Loop: Header=BB253_619 Depth=1
	v_bfrev_b32_e32 v22, 1
	v_cmp_ne_u16_sdwa s[4:5], v24, s7 src0_sel:BYTE_0 src1_sel:DWORD
	v_mov_b32_e32 v23, 0
	s_and_saveexec_b64 s[26:27], s[4:5]
	s_cbranch_execz .LBB253_1208
; %bb.1205:                             ;   in Loop: Header=BB253_619 Depth=1
	v_bfe_u32 v17, v16, 16, 7
	v_mov_b32_e32 v22, 0x7f800001
	v_cmp_ne_u32_e64 s[4:5], s15, v17
	v_mov_b32_e32 v23, 0
	s_and_saveexec_b64 s[28:29], s[4:5]
	s_cbranch_execz .LBB253_1207
; %bb.1206:                             ;   in Loop: Header=BB253_619 Depth=1
	v_and_b32_e32 v25, 7, v24
	v_lshrrev_b32_e32 v26, 3, v17
	v_cmp_gt_u32_e64 s[4:5], 8, v17
	v_ffbh_u32_e32 v17, v25
	v_min_u32_e32 v17, 32, v17
	v_subrev_u32_e32 v22, 28, v17
	v_lshlrev_b64 v[22:23], v22, v[24:25]
	v_sub_u32_e32 v17, 29, v17
	v_and_b32_e32 v22, 7, v22
	v_cndmask_b32_e64 v17, v26, v17, s[4:5]
	v_cndmask_b32_e64 v22, v25, v22, s[4:5]
	v_lshlrev_b32_e32 v22, 20, v22
	v_and_b32_sdwa v23, sext(v24), s11 dst_sel:DWORD dst_unused:UNUSED_PAD src0_sel:BYTE_0 src1_sel:DWORD
	v_lshl_add_u32 v17, v17, 23, v30
	v_or3_b32 v26, v23, v17, v22
	v_pk_mov_b32 v[22:23], v[26:27], v[26:27] op_sel:[0,1]
.LBB253_1207:                           ;   in Loop: Header=BB253_619 Depth=1
	s_or_b64 exec, exec, s[28:29]
.LBB253_1208:                           ;   in Loop: Header=BB253_619 Depth=1
	s_or_b64 exec, exec, s[26:27]
.LBB253_1209:                           ;   in Loop: Header=BB253_619 Depth=1
	s_or_b64 exec, exec, s[24:25]
	v_cmp_lt_u32_e64 s[4:5], s30, v16
	s_and_saveexec_b64 s[24:25], s[4:5]
	s_cbranch_execz .LBB253_1215
; %bb.1210:                             ;   in Loop: Header=BB253_619 Depth=1
	v_cmp_ne_u32_sdwa s[4:5], v16, s7 src0_sel:BYTE_3 src1_sel:DWORD
	v_pk_mov_b32 v[38:39], s[10:11], s[10:11] op_sel:[0,1]
	s_and_saveexec_b64 s[26:27], s[4:5]
	s_cbranch_execz .LBB253_1214
; %bb.1211:                             ;   in Loop: Header=BB253_619 Depth=1
	v_bfe_u32 v17, v16, 24, 7
	s_mov_b32 s22, s10
	v_cmp_ne_u32_e64 s[4:5], s15, v17
	v_pk_mov_b32 v[38:39], s[22:23], s[22:23] op_sel:[0,1]
	s_and_saveexec_b64 s[28:29], s[4:5]
	s_cbranch_execz .LBB253_1213
; %bb.1212:                             ;   in Loop: Header=BB253_619 Depth=1
	v_mov_b32_e32 v24, 7
	v_and_b32_sdwa v26, v16, v24 dst_sel:DWORD dst_unused:UNUSED_PAD src0_sel:BYTE_3 src1_sel:DWORD
	v_lshrrev_b32_e32 v38, 3, v17
	v_cmp_gt_u32_e64 s[4:5], 8, v17
	v_ffbh_u32_e32 v17, v26
	v_min_u32_e32 v17, 32, v17
	v_subrev_u32_e32 v24, 28, v17
	v_lshlrev_b64 v[24:25], v24, v[26:27]
	v_sub_u32_e32 v17, 29, v17
	v_and_b32_e32 v24, 7, v24
	v_cndmask_b32_e64 v17, v38, v17, s[4:5]
	v_mov_b32_e32 v25, 24
	v_cndmask_b32_e64 v24, v26, v24, s[4:5]
	v_lshlrev_b32_sdwa v16, v25, v16 dst_sel:DWORD dst_unused:UNUSED_PAD src0_sel:DWORD src1_sel:BYTE_3
	v_lshl_add_u32 v17, v17, 23, v30
	v_and_or_b32 v16, v16, s11, v17
	v_lshlrev_b32_e32 v17, 20, v24
	v_or_b32_e32 v39, v16, v17
	v_mov_b32_e32 v38, v27
.LBB253_1213:                           ;   in Loop: Header=BB253_619 Depth=1
	s_or_b64 exec, exec, s[28:29]
.LBB253_1214:                           ;   in Loop: Header=BB253_619 Depth=1
	s_or_b64 exec, exec, s[26:27]
.LBB253_1215:                           ;   in Loop: Header=BB253_619 Depth=1
	s_or_b64 exec, exec, s[24:25]
	v_or_b32_e32 v17, v21, v19
	v_or_b32_e32 v16, v20, v18
	;; [unrolled: 1-line block ×4, first 2 shown]
	v_pk_mul_f32 v[16:17], v[34:35], v[16:17]
	v_pk_mul_f32 v[18:19], v[34:35], v[18:19]
	s_and_saveexec_b64 s[24:25], vcc
; %bb.1216:                             ;   in Loop: Header=BB253_619 Depth=1
	v_accvgpr_read_b32 v20, a10
	v_cmp_lt_i32_e64 s[4:5], v20, v62
	v_accvgpr_read_b32 v20, a39
	v_cndmask_b32_e64 v16, 0, v16, s[4:5]
	v_cmp_lt_i32_e64 s[4:5], v20, v62
	v_accvgpr_read_b32 v20, a21
	v_cndmask_b32_e64 v17, 0, v17, s[4:5]
	v_cmp_lt_i32_e64 s[4:5], v20, v62
	v_cndmask_b32_e64 v18, 0, v18, s[4:5]
	v_cmp_lt_i32_e64 s[4:5], v28, v62
	v_cndmask_b32_e64 v19, 0, v19, s[4:5]
; %bb.1217:                             ;   in Loop: Header=BB253_619 Depth=1
	s_or_b64 exec, exec, s[24:25]
	buffer_load_dword v20, off, s[0:3], s32 offset:340 ; 4-byte Folded Reload
	buffer_load_dword v21, off, s[0:3], s32 offset:344 ; 4-byte Folded Reload
	s_waitcnt vmcnt(1)
	v_add_co_u32_e64 v20, s[4:5], v48, v20
	s_waitcnt vmcnt(0)
	v_addc_co_u32_e64 v21, s[4:5], 0, v49, s[4:5]
	flat_load_dword v20, v[20:21]
	v_pk_mov_b32 v[48:49], 0, 0
	v_pk_mov_b32 v[22:23], v[48:49], v[48:49] op_sel:[0,1]
	s_waitcnt vmcnt(0) lgkmcnt(0)
	v_cmp_ne_u16_sdwa s[4:5], v20, v27 src0_sel:BYTE_0 src1_sel:DWORD
	s_and_saveexec_b64 s[24:25], s[4:5]
	s_cbranch_execz .LBB253_1223
; %bb.1218:                             ;   in Loop: Header=BB253_619 Depth=1
	v_bfrev_b32_e32 v22, 1
	v_cmp_ne_u16_sdwa s[4:5], v20, s7 src0_sel:BYTE_0 src1_sel:DWORD
	v_mov_b32_e32 v23, 0
	s_and_saveexec_b64 s[26:27], s[4:5]
	s_cbranch_execz .LBB253_1222
; %bb.1219:                             ;   in Loop: Header=BB253_619 Depth=1
	v_and_b32_e32 v21, 0x7f, v20
	v_mov_b32_e32 v22, 0x7f800001
	v_cmp_ne_u32_e64 s[4:5], s15, v21
	v_mov_b32_e32 v23, 0
	s_and_saveexec_b64 s[28:29], s[4:5]
	s_cbranch_execz .LBB253_1221
; %bb.1220:                             ;   in Loop: Header=BB253_619 Depth=1
	v_and_b32_e32 v24, 7, v20
	v_lshrrev_b32_e32 v25, 3, v21
	v_cmp_gt_u32_e64 s[4:5], 8, v21
	v_ffbh_u32_e32 v21, v24
	v_min_u32_e32 v21, 32, v21
	v_subrev_u32_e32 v22, 28, v21
	v_lshlrev_b64 v[22:23], v22, v[20:21]
	v_sub_u32_e32 v21, 29, v21
	v_and_b32_e32 v22, 7, v22
	v_cndmask_b32_e64 v21, v25, v21, s[4:5]
	v_cndmask_b32_e64 v22, v24, v22, s[4:5]
	v_lshlrev_b32_e32 v22, 20, v22
	v_and_b32_sdwa v23, sext(v20), s11 dst_sel:DWORD dst_unused:UNUSED_PAD src0_sel:BYTE_0 src1_sel:DWORD
	v_lshl_add_u32 v21, v21, 23, v30
	v_or3_b32 v26, v23, v21, v22
	v_pk_mov_b32 v[22:23], v[26:27], v[26:27] op_sel:[0,1]
.LBB253_1221:                           ;   in Loop: Header=BB253_619 Depth=1
	s_or_b64 exec, exec, s[28:29]
.LBB253_1222:                           ;   in Loop: Header=BB253_619 Depth=1
	s_or_b64 exec, exec, s[26:27]
.LBB253_1223:                           ;   in Loop: Header=BB253_619 Depth=1
	s_or_b64 exec, exec, s[24:25]
	v_cmp_ne_u16_sdwa s[4:5], v20, v27 src0_sel:BYTE_1 src1_sel:DWORD
	s_and_saveexec_b64 s[24:25], s[4:5]
	s_cbranch_execz .LBB253_1229
; %bb.1224:                             ;   in Loop: Header=BB253_619 Depth=1
	v_cmp_ne_u16_sdwa s[4:5], v20, s7 src0_sel:BYTE_1 src1_sel:DWORD
	v_pk_mov_b32 v[48:49], s[10:11], s[10:11] op_sel:[0,1]
	s_and_saveexec_b64 s[26:27], s[4:5]
	s_cbranch_execz .LBB253_1228
; %bb.1225:                             ;   in Loop: Header=BB253_619 Depth=1
	v_and_b32_sdwa v21, v20, s15 dst_sel:DWORD dst_unused:UNUSED_PAD src0_sel:BYTE_1 src1_sel:DWORD
	s_mov_b32 s22, s10
	v_cmp_ne_u32_e64 s[4:5], s15, v21
	v_pk_mov_b32 v[48:49], s[22:23], s[22:23] op_sel:[0,1]
	s_and_saveexec_b64 s[28:29], s[4:5]
	s_cbranch_execz .LBB253_1227
; %bb.1226:                             ;   in Loop: Header=BB253_619 Depth=1
	v_mov_b32_e32 v24, 7
	v_and_b32_sdwa v26, v20, v24 dst_sel:DWORD dst_unused:UNUSED_PAD src0_sel:BYTE_1 src1_sel:DWORD
	v_lshrrev_b32_e32 v38, 3, v21
	v_cmp_gt_u32_e64 s[4:5], 8, v21
	v_ffbh_u32_e32 v21, v26
	v_min_u32_e32 v21, 32, v21
	v_subrev_u32_e32 v24, 28, v21
	v_lshlrev_b64 v[24:25], v24, v[26:27]
	v_sub_u32_e32 v21, 29, v21
	v_and_b32_e32 v24, 7, v24
	v_cndmask_b32_e64 v21, v38, v21, s[4:5]
	v_cndmask_b32_e64 v24, v26, v24, s[4:5]
	v_lshlrev_b32_e32 v25, 16, v20
	v_lshl_add_u32 v21, v21, 23, v30
	v_and_or_b32 v21, v25, s11, v21
	v_lshlrev_b32_e32 v24, 20, v24
	v_or_b32_e32 v49, v21, v24
	v_mov_b32_e32 v48, v27
.LBB253_1227:                           ;   in Loop: Header=BB253_619 Depth=1
	s_or_b64 exec, exec, s[28:29]
.LBB253_1228:                           ;   in Loop: Header=BB253_619 Depth=1
	s_or_b64 exec, exec, s[26:27]
.LBB253_1229:                           ;   in Loop: Header=BB253_619 Depth=1
	s_or_b64 exec, exec, s[24:25]
	v_lshrrev_b32_e32 v26, 16, v20
	v_pk_mov_b32 v[38:39], 0, 0
	v_cmp_ne_u16_sdwa s[4:5], v26, v27 src0_sel:BYTE_0 src1_sel:DWORD
	v_pk_mov_b32 v[24:25], v[38:39], v[38:39] op_sel:[0,1]
	s_and_saveexec_b64 s[24:25], s[4:5]
	s_cbranch_execz .LBB253_1235
; %bb.1230:                             ;   in Loop: Header=BB253_619 Depth=1
	v_bfrev_b32_e32 v24, 1
	v_cmp_ne_u16_sdwa s[4:5], v26, s7 src0_sel:BYTE_0 src1_sel:DWORD
	v_mov_b32_e32 v25, 0
	s_and_saveexec_b64 s[26:27], s[4:5]
	s_cbranch_execz .LBB253_1234
; %bb.1231:                             ;   in Loop: Header=BB253_619 Depth=1
	v_bfe_u32 v21, v20, 16, 7
	v_mov_b32_e32 v24, 0x7f800001
	v_cmp_ne_u32_e64 s[4:5], s15, v21
	v_mov_b32_e32 v25, 0
	s_and_saveexec_b64 s[28:29], s[4:5]
	s_cbranch_execz .LBB253_1233
; %bb.1232:                             ;   in Loop: Header=BB253_619 Depth=1
	v_and_b32_e32 v29, 7, v26
	v_lshrrev_b32_e32 v30, 3, v21
	v_cmp_gt_u32_e64 s[4:5], 8, v21
	v_ffbh_u32_e32 v21, v29
	v_min_u32_e32 v21, 32, v21
	v_subrev_u32_e32 v24, 28, v21
	v_lshlrev_b64 v[24:25], v24, v[26:27]
	v_and_b32_e32 v24, 7, v24
	v_cndmask_b32_e64 v24, v29, v24, s[4:5]
	buffer_load_dword v29, off, s[0:3], s32 offset:348 ; 4-byte Folded Reload
	v_sub_u32_e32 v21, 29, v21
	v_cndmask_b32_e64 v21, v30, v21, s[4:5]
	v_bfrev_b32_e32 v30, 60
	v_lshlrev_b32_e32 v24, 20, v24
	v_and_b32_sdwa v25, sext(v26), s11 dst_sel:DWORD dst_unused:UNUSED_PAD src0_sel:BYTE_0 src1_sel:DWORD
	v_lshl_add_u32 v21, v21, 23, v30
	v_or3_b32 v26, v25, v21, v24
	v_pk_mov_b32 v[24:25], v[26:27], v[26:27] op_sel:[0,1]
.LBB253_1233:                           ;   in Loop: Header=BB253_619 Depth=1
	s_or_b64 exec, exec, s[28:29]
.LBB253_1234:                           ;   in Loop: Header=BB253_619 Depth=1
	s_or_b64 exec, exec, s[26:27]
.LBB253_1235:                           ;   in Loop: Header=BB253_619 Depth=1
	s_or_b64 exec, exec, s[24:25]
	v_cmp_lt_u32_e64 s[4:5], s30, v20
	s_and_saveexec_b64 s[24:25], s[4:5]
	s_cbranch_execz .LBB253_1241
; %bb.1236:                             ;   in Loop: Header=BB253_619 Depth=1
	v_cmp_ne_u32_sdwa s[4:5], v20, s7 src0_sel:BYTE_3 src1_sel:DWORD
	v_pk_mov_b32 v[38:39], s[10:11], s[10:11] op_sel:[0,1]
	s_and_saveexec_b64 s[26:27], s[4:5]
	s_cbranch_execz .LBB253_1240
; %bb.1237:                             ;   in Loop: Header=BB253_619 Depth=1
	v_bfe_u32 v21, v20, 24, 7
	s_mov_b32 s22, s10
	v_cmp_ne_u32_e64 s[4:5], s15, v21
	v_pk_mov_b32 v[38:39], s[22:23], s[22:23] op_sel:[0,1]
	s_and_saveexec_b64 s[28:29], s[4:5]
	s_cbranch_execz .LBB253_1239
; %bb.1238:                             ;   in Loop: Header=BB253_619 Depth=1
	v_mov_b32_e32 v26, 7
	v_and_b32_sdwa v26, v20, v26 dst_sel:DWORD dst_unused:UNUSED_PAD src0_sel:BYTE_3 src1_sel:DWORD
	s_waitcnt vmcnt(0)
	v_lshrrev_b32_e32 v29, 3, v21
	v_cmp_gt_u32_e64 s[4:5], 8, v21
	v_ffbh_u32_e32 v21, v26
	v_min_u32_e32 v21, 32, v21
	v_subrev_u32_e32 v30, 28, v21
	v_sub_u32_e32 v21, 29, v21
	v_cndmask_b32_e64 v21, v29, v21, s[4:5]
	buffer_load_dword v29, off, s[0:3], s32 offset:348 ; 4-byte Folded Reload
	v_lshlrev_b64 v[38:39], v30, v[26:27]
	v_and_b32_e32 v30, 7, v38
	v_cndmask_b32_e64 v26, v26, v30, s[4:5]
	v_bfrev_b32_e32 v30, 60
	v_mov_b32_e32 v38, 24
	v_lshlrev_b32_sdwa v20, v38, v20 dst_sel:DWORD dst_unused:UNUSED_PAD src0_sel:DWORD src1_sel:BYTE_3
	v_lshl_add_u32 v21, v21, 23, v30
	v_and_or_b32 v20, v20, s11, v21
	v_lshlrev_b32_e32 v21, 20, v26
	v_or_b32_e32 v39, v20, v21
	v_mov_b32_e32 v38, v27
.LBB253_1239:                           ;   in Loop: Header=BB253_619 Depth=1
	s_or_b64 exec, exec, s[28:29]
.LBB253_1240:                           ;   in Loop: Header=BB253_619 Depth=1
	s_or_b64 exec, exec, s[26:27]
.LBB253_1241:                           ;   in Loop: Header=BB253_619 Depth=1
	s_or_b64 exec, exec, s[24:25]
	v_or_b32_e32 v21, v49, v23
	v_or_b32_e32 v20, v48, v22
	v_pk_mul_f32 v[48:49], v[34:35], v[20:21]
	v_or_b32_e32 v21, v39, v25
	v_or_b32_e32 v20, v38, v24
	v_pk_mul_f32 v[20:21], v[34:35], v[20:21]
	s_and_saveexec_b64 s[4:5], vcc
	s_cbranch_execz .LBB253_618
; %bb.1242:                             ;   in Loop: Header=BB253_619 Depth=1
	v_accvgpr_read_b32 v22, a10
	v_cmp_lt_i32_e32 vcc, v22, v62
	v_accvgpr_read_b32 v22, a39
	v_cndmask_b32_e32 v48, 0, v48, vcc
	v_cmp_lt_i32_e32 vcc, v22, v62
	v_accvgpr_read_b32 v22, a21
	v_cndmask_b32_e32 v49, 0, v49, vcc
	v_cmp_lt_i32_e32 vcc, v22, v62
	v_cndmask_b32_e32 v20, 0, v20, vcc
	v_cmp_lt_i32_e32 vcc, v28, v62
	v_cndmask_b32_e32 v21, 0, v21, vcc
	s_branch .LBB253_618
.LBB253_1243:
	s_or_b64 exec, exec, s[12:13]
	buffer_load_dword v34, off, s[0:3], s32 offset:380 ; 4-byte Folded Reload
	buffer_load_dword v26, off, s[0:3], s32 offset:372 ; 4-byte Folded Reload
	v_accvgpr_read_b32 v39, a17
	v_accvgpr_read_b32 v49, a19
	;; [unrolled: 1-line block ×18, first 2 shown]
.LBB253_1244:
	s_or_b64 exec, exec, s[8:9]
	s_waitcnt vmcnt(0)
	ds_bpermute_b32 v2, v34, v6
	ds_bpermute_b32 v3, v34, v7
	;; [unrolled: 1-line block ×6, first 2 shown]
	s_waitcnt lgkmcnt(0)
	v_pk_add_f32 v[2:3], v[6:7], v[2:3]
	ds_bpermute_b32 v6, v31, v2
	ds_bpermute_b32 v7, v31, v3
	v_pk_add_f32 v[0:1], v[32:33], v[0:1]
	ds_bpermute_b32 v4, v31, v0
	ds_bpermute_b32 v5, v31, v1
	v_mov_b32_e32 v36, v26
	s_waitcnt lgkmcnt(2)
	v_pk_add_f32 v[2:3], v[2:3], v[6:7]
	v_pk_add_f32 v[6:7], v[12:13], v[8:9]
	ds_bpermute_b32 v8, v31, v6
	ds_bpermute_b32 v9, v31, v7
	;; [unrolled: 1-line block ×4, first 2 shown]
	s_waitcnt lgkmcnt(4)
	v_pk_add_f32 v[0:1], v[0:1], v[4:5]
	ds_bpermute_b32 v4, v26, v0
	s_waitcnt lgkmcnt(3)
	v_pk_add_f32 v[6:7], v[6:7], v[8:9]
	ds_bpermute_b32 v5, v26, v1
	;; [unrolled: 3-line block ×3, first 2 shown]
	ds_bpermute_b32 v9, v26, v7
	ds_bpermute_b32 v14, v31, v12
	;; [unrolled: 1-line block ×5, first 2 shown]
	s_waitcnt lgkmcnt(6)
	v_pk_add_f32 v[4:5], v[0:1], v[4:5]
	s_waitcnt lgkmcnt(4)
	v_pk_add_f32 v[0:1], v[6:7], v[8:9]
	;; [unrolled: 2-line block ×3, first 2 shown]
	ds_bpermute_b32 v12, v34, v16
	ds_bpermute_b32 v13, v34, v17
	s_waitcnt lgkmcnt(2)
	v_pk_add_f32 v[2:3], v[2:3], v[10:11]
	ds_bpermute_b32 v10, v34, v18
	ds_bpermute_b32 v11, v34, v19
	;; [unrolled: 1-line block ×3, first 2 shown]
	s_waitcnt lgkmcnt(3)
	v_pk_add_f32 v[12:13], v[16:17], v[12:13]
	ds_bpermute_b32 v16, v31, v12
	ds_bpermute_b32 v17, v31, v13
	s_waitcnt lgkmcnt(3)
	v_pk_add_f32 v[10:11], v[18:19], v[10:11]
	ds_bpermute_b32 v18, v34, v20
	ds_bpermute_b32 v19, v34, v21
	;; [unrolled: 1-line block ×3, first 2 shown]
	s_waitcnt lgkmcnt(3)
	v_pk_add_f32 v[12:13], v[12:13], v[16:17]
	ds_bpermute_b32 v15, v31, v11
	ds_bpermute_b32 v9, v26, v7
	s_waitcnt lgkmcnt(3)
	v_pk_add_f32 v[16:17], v[20:21], v[18:19]
	ds_bpermute_b32 v18, v31, v16
	ds_bpermute_b32 v19, v31, v17
	;; [unrolled: 4-line block ×3, first 2 shown]
	ds_bpermute_b32 v20, v34, v28
	s_waitcnt lgkmcnt(3)
	v_pk_add_f32 v[16:17], v[16:17], v[18:19]
	ds_bpermute_b32 v21, v34, v29
	ds_bpermute_b32 v24, v26, v16
	;; [unrolled: 1-line block ×5, first 2 shown]
	s_waitcnt lgkmcnt(4)
	v_pk_add_f32 v[26:27], v[28:29], v[20:21]
	v_pk_add_f32 v[18:19], v[10:11], v[14:15]
	s_waitcnt lgkmcnt(2)
	v_pk_add_f32 v[10:11], v[16:17], v[24:25]
	ds_bpermute_b32 v16, v34, v48
	ds_bpermute_b32 v17, v34, v49
	;; [unrolled: 1-line block ×4, first 2 shown]
	v_pk_add_f32 v[20:21], v[6:7], v[8:9]
	s_waitcnt lgkmcnt(0)
	v_pk_add_f32 v[16:17], v[48:49], v[16:17]
	ds_bpermute_b32 v24, v31, v16
	v_pk_add_f32 v[6:7], v[26:27], v[28:29]
	ds_bpermute_b32 v25, v31, v17
	ds_bpermute_b32 v26, v34, v38
	;; [unrolled: 1-line block ×5, first 2 shown]
	s_waitcnt lgkmcnt(4)
	v_pk_add_f32 v[24:25], v[16:17], v[24:25]
	s_barrier
	s_waitcnt lgkmcnt(2)
	v_pk_add_f32 v[16:17], v[38:39], v[26:27]
	ds_bpermute_b32 v26, v31, v16
	ds_bpermute_b32 v27, v31, v17
	s_waitcnt lgkmcnt(0)
	v_pk_add_f32 v[14:15], v[12:13], v[22:23]
	ds_bpermute_b32 v12, v34, v50
	ds_bpermute_b32 v13, v34, v51
	v_pk_add_f32 v[26:27], v[16:17], v[26:27]
	ds_bpermute_b32 v32, v36, v26
	ds_bpermute_b32 v33, v36, v27
	v_pk_add_f32 v[16:17], v[6:7], v[8:9]
	v_accvgpr_read_b32 v39, a5
	s_waitcnt lgkmcnt(2)
	v_pk_add_f32 v[12:13], v[50:51], v[12:13]
	v_accvgpr_read_b32 v38, a4
	s_waitcnt lgkmcnt(0)
	v_pk_add_f32 v[6:7], v[26:27], v[32:33]
	buffer_load_dword v27, off, s[0:3], s32 offset:1080 ; 4-byte Folded Reload
	ds_bpermute_b32 v22, v31, v12
	ds_bpermute_b32 v23, v31, v13
	ds_bpermute_b32 v30, v34, v38
	v_mov_b32_e32 v35, v31
	ds_bpermute_b32 v31, v34, v39
	ds_bpermute_b32 v28, v36, v24
	s_waitcnt lgkmcnt(3)
	v_pk_add_f32 v[12:13], v[12:13], v[22:23]
	ds_bpermute_b32 v22, v36, v12
	ds_bpermute_b32 v23, v36, v13
	s_waitcnt lgkmcnt(3)
	v_pk_add_f32 v[30:31], v[38:39], v[30:31]
	ds_bpermute_b32 v34, v35, v30
	ds_bpermute_b32 v35, v35, v31
	;; [unrolled: 1-line block ×3, first 2 shown]
	s_waitcnt lgkmcnt(3)
	v_pk_add_f32 v[12:13], v[12:13], v[22:23]
	s_waitcnt lgkmcnt(1)
	v_pk_add_f32 v[22:23], v[30:31], v[34:35]
	;; [unrolled: 2-line block ×3, first 2 shown]
	ds_bpermute_b32 v24, v36, v22
	ds_bpermute_b32 v25, v36, v23
	s_waitcnt vmcnt(0)
	v_and_b32_e32 v26, 0x3c7, v27
	v_cmp_ne_u32_e32 vcc, 64, v26
	s_and_saveexec_b64 s[4:5], vcc
	s_xor_b64 s[4:5], exec, s[4:5]
; %bb.1245:
                                        ; implicit-def: $vgpr28
                                        ; kill: killed $vgpr28
; %bb.1246:
	s_or_saveexec_b64 s[4:5], s[4:5]
	s_waitcnt lgkmcnt(0)
	v_pk_add_f32 v[22:23], v[22:23], v[24:25]
	s_xor_b64 exec, exec, s[4:5]
	s_cbranch_execz .LBB253_1248
; %bb.1247:
	buffer_load_dword v24, off, s[0:3], s32 offset:364 ; 4-byte Folded Reload
	s_ashr_i32 s19, s18, 31
	s_lshl_b64 s[8:9], s[18:19], 2
	s_getpc_b64 s[10:11]
	s_add_u32 s10, s10, llvm.amdgcn.dynlds.offset.table@rel32@lo+4
	s_addc_u32 s11, s11, llvm.amdgcn.dynlds.offset.table@rel32@hi+12
	s_add_u32 s8, s8, s10
	s_addc_u32 s9, s9, s11
	s_load_dword s7, s[8:9], 0x0
	s_waitcnt vmcnt(0)
	v_lshrrev_b32_e32 v24, 1, v24
	s_waitcnt lgkmcnt(0)
	v_add_u32_e32 v24, s7, v24
	ds_write2_b32 v24, v4, v5 offset1:8
	ds_write2_b32 v24, v2, v3 offset0:16 offset1:24
	ds_write2_b32 v24, v0, v1 offset0:32 offset1:40
	;; [unrolled: 1-line block ×11, first 2 shown]
.LBB253_1248:
	s_or_b64 exec, exec, s[4:5]
	v_cmp_gt_u32_e32 vcc, 64, v27
	s_waitcnt lgkmcnt(0)
	s_barrier
	s_and_saveexec_b64 s[4:5], vcc
	s_cbranch_execz .LBB253_1275
; %bb.1249:
	buffer_load_dword v24, off, s[0:3], s32 offset:356 ; 4-byte Folded Reload
	s_waitcnt vmcnt(0)
	v_cmp_eq_u32_e32 vcc, 0, v24
	v_lshrrev_b32_e32 v24, 3, v27
	s_and_saveexec_b64 s[8:9], vcc
	s_cbranch_execnz .LBB253_1278
; %bb.1250:
	s_or_b64 exec, exec, s[8:9]
	s_and_saveexec_b64 s[8:9], vcc
	s_cbranch_execnz .LBB253_1279
.LBB253_1251:
	s_or_b64 exec, exec, s[8:9]
	s_and_saveexec_b64 s[8:9], vcc
	s_cbranch_execnz .LBB253_1280
.LBB253_1252:
	s_or_b64 exec, exec, s[8:9]
	s_and_saveexec_b64 s[8:9], vcc
	s_cbranch_execnz .LBB253_1281
.LBB253_1253:
	s_or_b64 exec, exec, s[8:9]
	s_and_saveexec_b64 s[8:9], vcc
	s_cbranch_execnz .LBB253_1282
.LBB253_1254:
	s_or_b64 exec, exec, s[8:9]
	s_and_saveexec_b64 s[8:9], vcc
	s_cbranch_execnz .LBB253_1283
.LBB253_1255:
	s_or_b64 exec, exec, s[8:9]
	s_and_saveexec_b64 s[8:9], vcc
	s_cbranch_execnz .LBB253_1284
.LBB253_1256:
	s_or_b64 exec, exec, s[8:9]
	s_and_saveexec_b64 s[8:9], vcc
	s_cbranch_execnz .LBB253_1285
.LBB253_1257:
	s_or_b64 exec, exec, s[8:9]
	s_and_saveexec_b64 s[8:9], vcc
	s_cbranch_execnz .LBB253_1286
.LBB253_1258:
	s_or_b64 exec, exec, s[8:9]
	s_and_saveexec_b64 s[8:9], vcc
	s_cbranch_execnz .LBB253_1287
.LBB253_1259:
	s_or_b64 exec, exec, s[8:9]
	s_and_saveexec_b64 s[8:9], vcc
	s_cbranch_execnz .LBB253_1288
.LBB253_1260:
	s_or_b64 exec, exec, s[8:9]
	s_and_saveexec_b64 s[8:9], vcc
	s_cbranch_execnz .LBB253_1289
.LBB253_1261:
	s_or_b64 exec, exec, s[8:9]
	s_and_saveexec_b64 s[8:9], vcc
	s_cbranch_execnz .LBB253_1290
.LBB253_1262:
	s_or_b64 exec, exec, s[8:9]
	s_and_saveexec_b64 s[8:9], vcc
	s_cbranch_execnz .LBB253_1291
.LBB253_1263:
	s_or_b64 exec, exec, s[8:9]
	s_and_saveexec_b64 s[8:9], vcc
	s_cbranch_execnz .LBB253_1292
.LBB253_1264:
	s_or_b64 exec, exec, s[8:9]
	s_and_saveexec_b64 s[8:9], vcc
	s_cbranch_execnz .LBB253_1293
.LBB253_1265:
	s_or_b64 exec, exec, s[8:9]
	s_and_saveexec_b64 s[8:9], vcc
	s_cbranch_execnz .LBB253_1294
.LBB253_1266:
	s_or_b64 exec, exec, s[8:9]
	s_and_saveexec_b64 s[8:9], vcc
	s_cbranch_execnz .LBB253_1295
.LBB253_1267:
	s_or_b64 exec, exec, s[8:9]
	s_and_saveexec_b64 s[8:9], vcc
	s_cbranch_execnz .LBB253_1296
.LBB253_1268:
	s_or_b64 exec, exec, s[8:9]
	s_and_saveexec_b64 s[8:9], vcc
	s_cbranch_execnz .LBB253_1297
.LBB253_1269:
	s_or_b64 exec, exec, s[8:9]
	s_and_saveexec_b64 s[8:9], vcc
	s_cbranch_execnz .LBB253_1298
.LBB253_1270:
	s_or_b64 exec, exec, s[8:9]
	s_and_saveexec_b64 s[8:9], vcc
	s_cbranch_execnz .LBB253_1299
.LBB253_1271:
	s_or_b64 exec, exec, s[8:9]
	s_and_saveexec_b64 s[8:9], vcc
	s_cbranch_execnz .LBB253_1300
.LBB253_1272:
	s_or_b64 exec, exec, s[8:9]
	s_and_saveexec_b64 s[8:9], vcc
	s_cbranch_execz .LBB253_1274
.LBB253_1273:
	s_ashr_i32 s19, s18, 31
	s_lshl_b64 s[10:11], s[18:19], 2
	s_getpc_b64 s[12:13]
	s_add_u32 s12, s12, llvm.amdgcn.dynlds.offset.table@rel32@lo+4
	s_addc_u32 s13, s13, llvm.amdgcn.dynlds.offset.table@rel32@hi+12
	s_add_u32 s10, s10, s12
	s_addc_u32 s11, s11, s13
	s_load_dword s7, s[10:11], 0x0
	s_waitcnt lgkmcnt(0)
	v_lshl_add_u32 v24, v24, 2, s7
	ds_read_b32 v24, v24 offset:736
	s_waitcnt lgkmcnt(0)
	v_add_f32_e32 v23, v24, v23
.LBB253_1274:
	s_or_b64 exec, exec, s[8:9]
.LBB253_1275:
	s_or_b64 exec, exec, s[4:5]
	v_cmp_eq_u32_e32 vcc, 0, v26
	s_barrier
	s_and_b64 exec, exec, vcc
	s_cbranch_execz .LBB253_1277
; %bb.1276:
	buffer_load_dword v25, off, s[0:3], s32 offset:1108 ; 4-byte Folded Reload
	buffer_load_dword v26, off, s[0:3], s32 offset:1104 ; 4-byte Folded Reload
	s_mul_i32 s4, s6, 0xc0
	s_mul_i32 s6, s20, s21
	;; [unrolled: 1-line block ×3, first 2 shown]
	s_ashr_i32 s5, s4, 31
	s_ashr_i32 s7, s6, 31
	;; [unrolled: 1-line block ×3, first 2 shown]
	s_lshl_b64 s[4:5], s[4:5], 2
	s_lshl_b64 s[6:7], s[6:7], 2
	;; [unrolled: 1-line block ×3, first 2 shown]
	s_add_u32 s6, s8, s6
	s_addc_u32 s7, s9, s7
	s_add_u32 s4, s6, s4
	s_addc_u32 s5, s7, s5
	v_mov_b32_e32 v24, s5
	s_waitcnt vmcnt(1)
	v_add_co_u32_e32 v25, vcc, s4, v25
	s_waitcnt vmcnt(0)
	v_addc_co_u32_e32 v26, vcc, v24, v26, vcc
	v_lshrrev_b32_e32 v24, 1, v27
	v_add_co_u32_e32 v24, vcc, v25, v24
	v_addc_co_u32_e32 v25, vcc, 0, v26, vcc
	flat_store_dword v[24:25], v4
	flat_store_dword v[24:25], v5 offset:32
	flat_store_dword v[24:25], v2 offset:64
	;; [unrolled: 1-line block ×23, first 2 shown]
.LBB253_1277:
	s_or_b64 exec, exec, s[16:17]
	buffer_load_dword a63, off, s[0:3], s32 ; 4-byte Folded Reload
	buffer_load_dword a62, off, s[0:3], s32 offset:4 ; 4-byte Folded Reload
	buffer_load_dword a61, off, s[0:3], s32 offset:8 ; 4-byte Folded Reload
	;; [unrolled: 1-line block ×46, first 2 shown]
	v_readlane_b32 s30, v63, 8
	v_readlane_b32 s31, v63, 9
	;; [unrolled: 1-line block ×10, first 2 shown]
	s_or_saveexec_b64 s[4:5], -1
	buffer_load_dword v63, off, s[0:3], s32 offset:1168 ; 4-byte Folded Reload
	s_mov_b64 exec, s[4:5]
	s_waitcnt vmcnt(0) lgkmcnt(0)
	s_setpc_b64 s[30:31]
.LBB253_1278:
	s_ashr_i32 s19, s18, 31
	s_lshl_b64 s[10:11], s[18:19], 2
	s_getpc_b64 s[12:13]
	s_add_u32 s12, s12, llvm.amdgcn.dynlds.offset.table@rel32@lo+4
	s_addc_u32 s13, s13, llvm.amdgcn.dynlds.offset.table@rel32@hi+12
	s_add_u32 s10, s10, s12
	s_addc_u32 s11, s11, s13
	s_load_dword s7, s[10:11], 0x0
	s_waitcnt lgkmcnt(0)
	v_lshl_add_u32 v25, v24, 2, s7
	ds_read_b32 v25, v25
	s_waitcnt lgkmcnt(0)
	v_add_f32_e32 v4, v25, v4
	s_or_b64 exec, exec, s[8:9]
	s_and_saveexec_b64 s[8:9], vcc
	s_cbranch_execz .LBB253_1251
.LBB253_1279:
	s_ashr_i32 s19, s18, 31
	s_lshl_b64 s[10:11], s[18:19], 2
	s_getpc_b64 s[12:13]
	s_add_u32 s12, s12, llvm.amdgcn.dynlds.offset.table@rel32@lo+4
	s_addc_u32 s13, s13, llvm.amdgcn.dynlds.offset.table@rel32@hi+12
	s_add_u32 s10, s10, s12
	s_addc_u32 s11, s11, s13
	s_load_dword s7, s[10:11], 0x0
	s_waitcnt lgkmcnt(0)
	v_lshl_add_u32 v25, v24, 2, s7
	ds_read_b32 v25, v25 offset:32
	s_waitcnt lgkmcnt(0)
	v_add_f32_e32 v5, v25, v5
	s_or_b64 exec, exec, s[8:9]
	s_and_saveexec_b64 s[8:9], vcc
	s_cbranch_execz .LBB253_1252
.LBB253_1280:
	s_ashr_i32 s19, s18, 31
	s_lshl_b64 s[10:11], s[18:19], 2
	s_getpc_b64 s[12:13]
	s_add_u32 s12, s12, llvm.amdgcn.dynlds.offset.table@rel32@lo+4
	s_addc_u32 s13, s13, llvm.amdgcn.dynlds.offset.table@rel32@hi+12
	s_add_u32 s10, s10, s12
	s_addc_u32 s11, s11, s13
	s_load_dword s7, s[10:11], 0x0
	s_waitcnt lgkmcnt(0)
	v_lshl_add_u32 v25, v24, 2, s7
	ds_read_b32 v25, v25 offset:64
	s_waitcnt lgkmcnt(0)
	v_add_f32_e32 v2, v25, v2
	s_or_b64 exec, exec, s[8:9]
	s_and_saveexec_b64 s[8:9], vcc
	s_cbranch_execz .LBB253_1253
.LBB253_1281:
	s_ashr_i32 s19, s18, 31
	s_lshl_b64 s[10:11], s[18:19], 2
	s_getpc_b64 s[12:13]
	s_add_u32 s12, s12, llvm.amdgcn.dynlds.offset.table@rel32@lo+4
	s_addc_u32 s13, s13, llvm.amdgcn.dynlds.offset.table@rel32@hi+12
	s_add_u32 s10, s10, s12
	s_addc_u32 s11, s11, s13
	s_load_dword s7, s[10:11], 0x0
	s_waitcnt lgkmcnt(0)
	v_lshl_add_u32 v25, v24, 2, s7
	ds_read_b32 v25, v25 offset:96
	s_waitcnt lgkmcnt(0)
	v_add_f32_e32 v3, v25, v3
	s_or_b64 exec, exec, s[8:9]
	s_and_saveexec_b64 s[8:9], vcc
	s_cbranch_execz .LBB253_1254
.LBB253_1282:
	s_ashr_i32 s19, s18, 31
	s_lshl_b64 s[10:11], s[18:19], 2
	s_getpc_b64 s[12:13]
	s_add_u32 s12, s12, llvm.amdgcn.dynlds.offset.table@rel32@lo+4
	s_addc_u32 s13, s13, llvm.amdgcn.dynlds.offset.table@rel32@hi+12
	s_add_u32 s10, s10, s12
	s_addc_u32 s11, s11, s13
	s_load_dword s7, s[10:11], 0x0
	s_waitcnt lgkmcnt(0)
	v_lshl_add_u32 v25, v24, 2, s7
	ds_read_b32 v25, v25 offset:128
	s_waitcnt lgkmcnt(0)
	v_add_f32_e32 v0, v25, v0
	s_or_b64 exec, exec, s[8:9]
	s_and_saveexec_b64 s[8:9], vcc
	s_cbranch_execz .LBB253_1255
.LBB253_1283:
	s_ashr_i32 s19, s18, 31
	s_lshl_b64 s[10:11], s[18:19], 2
	s_getpc_b64 s[12:13]
	s_add_u32 s12, s12, llvm.amdgcn.dynlds.offset.table@rel32@lo+4
	s_addc_u32 s13, s13, llvm.amdgcn.dynlds.offset.table@rel32@hi+12
	s_add_u32 s10, s10, s12
	s_addc_u32 s11, s11, s13
	s_load_dword s7, s[10:11], 0x0
	s_waitcnt lgkmcnt(0)
	v_lshl_add_u32 v25, v24, 2, s7
	ds_read_b32 v25, v25 offset:160
	s_waitcnt lgkmcnt(0)
	v_add_f32_e32 v1, v25, v1
	s_or_b64 exec, exec, s[8:9]
	s_and_saveexec_b64 s[8:9], vcc
	s_cbranch_execz .LBB253_1256
.LBB253_1284:
	s_ashr_i32 s19, s18, 31
	s_lshl_b64 s[10:11], s[18:19], 2
	s_getpc_b64 s[12:13]
	s_add_u32 s12, s12, llvm.amdgcn.dynlds.offset.table@rel32@lo+4
	s_addc_u32 s13, s13, llvm.amdgcn.dynlds.offset.table@rel32@hi+12
	s_add_u32 s10, s10, s12
	s_addc_u32 s11, s11, s13
	s_load_dword s7, s[10:11], 0x0
	s_waitcnt lgkmcnt(0)
	v_lshl_add_u32 v25, v24, 2, s7
	ds_read_b32 v25, v25 offset:192
	s_waitcnt lgkmcnt(0)
	v_add_f32_e32 v20, v25, v20
	s_or_b64 exec, exec, s[8:9]
	s_and_saveexec_b64 s[8:9], vcc
	s_cbranch_execz .LBB253_1257
.LBB253_1285:
	s_ashr_i32 s19, s18, 31
	s_lshl_b64 s[10:11], s[18:19], 2
	s_getpc_b64 s[12:13]
	s_add_u32 s12, s12, llvm.amdgcn.dynlds.offset.table@rel32@lo+4
	s_addc_u32 s13, s13, llvm.amdgcn.dynlds.offset.table@rel32@hi+12
	s_add_u32 s10, s10, s12
	s_addc_u32 s11, s11, s13
	s_load_dword s7, s[10:11], 0x0
	s_waitcnt lgkmcnt(0)
	v_lshl_add_u32 v25, v24, 2, s7
	ds_read_b32 v25, v25 offset:224
	s_waitcnt lgkmcnt(0)
	v_add_f32_e32 v21, v25, v21
	s_or_b64 exec, exec, s[8:9]
	s_and_saveexec_b64 s[8:9], vcc
	s_cbranch_execz .LBB253_1258
.LBB253_1286:
	s_ashr_i32 s19, s18, 31
	s_lshl_b64 s[10:11], s[18:19], 2
	s_getpc_b64 s[12:13]
	s_add_u32 s12, s12, llvm.amdgcn.dynlds.offset.table@rel32@lo+4
	s_addc_u32 s13, s13, llvm.amdgcn.dynlds.offset.table@rel32@hi+12
	s_add_u32 s10, s10, s12
	s_addc_u32 s11, s11, s13
	s_load_dword s7, s[10:11], 0x0
	s_waitcnt lgkmcnt(0)
	v_lshl_add_u32 v25, v24, 2, s7
	ds_read_b32 v25, v25 offset:256
	s_waitcnt lgkmcnt(0)
	v_add_f32_e32 v18, v25, v18
	s_or_b64 exec, exec, s[8:9]
	s_and_saveexec_b64 s[8:9], vcc
	s_cbranch_execz .LBB253_1259
.LBB253_1287:
	s_ashr_i32 s19, s18, 31
	s_lshl_b64 s[10:11], s[18:19], 2
	s_getpc_b64 s[12:13]
	s_add_u32 s12, s12, llvm.amdgcn.dynlds.offset.table@rel32@lo+4
	s_addc_u32 s13, s13, llvm.amdgcn.dynlds.offset.table@rel32@hi+12
	s_add_u32 s10, s10, s12
	s_addc_u32 s11, s11, s13
	s_load_dword s7, s[10:11], 0x0
	s_waitcnt lgkmcnt(0)
	v_lshl_add_u32 v25, v24, 2, s7
	ds_read_b32 v25, v25 offset:288
	s_waitcnt lgkmcnt(0)
	v_add_f32_e32 v19, v25, v19
	s_or_b64 exec, exec, s[8:9]
	s_and_saveexec_b64 s[8:9], vcc
	s_cbranch_execz .LBB253_1260
.LBB253_1288:
	s_ashr_i32 s19, s18, 31
	s_lshl_b64 s[10:11], s[18:19], 2
	s_getpc_b64 s[12:13]
	s_add_u32 s12, s12, llvm.amdgcn.dynlds.offset.table@rel32@lo+4
	s_addc_u32 s13, s13, llvm.amdgcn.dynlds.offset.table@rel32@hi+12
	s_add_u32 s10, s10, s12
	s_addc_u32 s11, s11, s13
	s_load_dword s7, s[10:11], 0x0
	s_waitcnt lgkmcnt(0)
	v_lshl_add_u32 v25, v24, 2, s7
	ds_read_b32 v25, v25 offset:320
	s_waitcnt lgkmcnt(0)
	v_add_f32_e32 v14, v25, v14
	s_or_b64 exec, exec, s[8:9]
	s_and_saveexec_b64 s[8:9], vcc
	s_cbranch_execz .LBB253_1261
.LBB253_1289:
	s_ashr_i32 s19, s18, 31
	s_lshl_b64 s[10:11], s[18:19], 2
	s_getpc_b64 s[12:13]
	s_add_u32 s12, s12, llvm.amdgcn.dynlds.offset.table@rel32@lo+4
	s_addc_u32 s13, s13, llvm.amdgcn.dynlds.offset.table@rel32@hi+12
	s_add_u32 s10, s10, s12
	s_addc_u32 s11, s11, s13
	s_load_dword s7, s[10:11], 0x0
	s_waitcnt lgkmcnt(0)
	v_lshl_add_u32 v25, v24, 2, s7
	ds_read_b32 v25, v25 offset:352
	s_waitcnt lgkmcnt(0)
	v_add_f32_e32 v15, v25, v15
	s_or_b64 exec, exec, s[8:9]
	s_and_saveexec_b64 s[8:9], vcc
	s_cbranch_execz .LBB253_1262
.LBB253_1290:
	s_ashr_i32 s19, s18, 31
	s_lshl_b64 s[10:11], s[18:19], 2
	s_getpc_b64 s[12:13]
	s_add_u32 s12, s12, llvm.amdgcn.dynlds.offset.table@rel32@lo+4
	s_addc_u32 s13, s13, llvm.amdgcn.dynlds.offset.table@rel32@hi+12
	s_add_u32 s10, s10, s12
	s_addc_u32 s11, s11, s13
	s_load_dword s7, s[10:11], 0x0
	s_waitcnt lgkmcnt(0)
	v_lshl_add_u32 v25, v24, 2, s7
	ds_read_b32 v25, v25 offset:384
	s_waitcnt lgkmcnt(0)
	v_add_f32_e32 v10, v25, v10
	s_or_b64 exec, exec, s[8:9]
	s_and_saveexec_b64 s[8:9], vcc
	s_cbranch_execz .LBB253_1263
.LBB253_1291:
	s_ashr_i32 s19, s18, 31
	s_lshl_b64 s[10:11], s[18:19], 2
	s_getpc_b64 s[12:13]
	s_add_u32 s12, s12, llvm.amdgcn.dynlds.offset.table@rel32@lo+4
	s_addc_u32 s13, s13, llvm.amdgcn.dynlds.offset.table@rel32@hi+12
	s_add_u32 s10, s10, s12
	s_addc_u32 s11, s11, s13
	s_load_dword s7, s[10:11], 0x0
	s_waitcnt lgkmcnt(0)
	v_lshl_add_u32 v25, v24, 2, s7
	ds_read_b32 v25, v25 offset:416
	s_waitcnt lgkmcnt(0)
	v_add_f32_e32 v11, v25, v11
	s_or_b64 exec, exec, s[8:9]
	s_and_saveexec_b64 s[8:9], vcc
	s_cbranch_execz .LBB253_1264
.LBB253_1292:
	s_ashr_i32 s19, s18, 31
	s_lshl_b64 s[10:11], s[18:19], 2
	s_getpc_b64 s[12:13]
	s_add_u32 s12, s12, llvm.amdgcn.dynlds.offset.table@rel32@lo+4
	s_addc_u32 s13, s13, llvm.amdgcn.dynlds.offset.table@rel32@hi+12
	s_add_u32 s10, s10, s12
	s_addc_u32 s11, s11, s13
	s_load_dword s7, s[10:11], 0x0
	s_waitcnt lgkmcnt(0)
	v_lshl_add_u32 v25, v24, 2, s7
	ds_read_b32 v25, v25 offset:448
	s_waitcnt lgkmcnt(0)
	v_add_f32_e32 v16, v25, v16
	s_or_b64 exec, exec, s[8:9]
	s_and_saveexec_b64 s[8:9], vcc
	s_cbranch_execz .LBB253_1265
.LBB253_1293:
	s_ashr_i32 s19, s18, 31
	s_lshl_b64 s[10:11], s[18:19], 2
	s_getpc_b64 s[12:13]
	s_add_u32 s12, s12, llvm.amdgcn.dynlds.offset.table@rel32@lo+4
	s_addc_u32 s13, s13, llvm.amdgcn.dynlds.offset.table@rel32@hi+12
	s_add_u32 s10, s10, s12
	s_addc_u32 s11, s11, s13
	s_load_dword s7, s[10:11], 0x0
	s_waitcnt lgkmcnt(0)
	v_lshl_add_u32 v25, v24, 2, s7
	ds_read_b32 v25, v25 offset:480
	s_waitcnt lgkmcnt(0)
	v_add_f32_e32 v17, v25, v17
	s_or_b64 exec, exec, s[8:9]
	s_and_saveexec_b64 s[8:9], vcc
	s_cbranch_execz .LBB253_1266
.LBB253_1294:
	s_ashr_i32 s19, s18, 31
	s_lshl_b64 s[10:11], s[18:19], 2
	s_getpc_b64 s[12:13]
	s_add_u32 s12, s12, llvm.amdgcn.dynlds.offset.table@rel32@lo+4
	s_addc_u32 s13, s13, llvm.amdgcn.dynlds.offset.table@rel32@hi+12
	s_add_u32 s10, s10, s12
	s_addc_u32 s11, s11, s13
	s_load_dword s7, s[10:11], 0x0
	s_waitcnt lgkmcnt(0)
	v_lshl_add_u32 v25, v24, 2, s7
	ds_read_b32 v25, v25 offset:512
	s_waitcnt lgkmcnt(0)
	v_add_f32_e32 v12, v25, v12
	s_or_b64 exec, exec, s[8:9]
	s_and_saveexec_b64 s[8:9], vcc
	s_cbranch_execz .LBB253_1267
.LBB253_1295:
	s_ashr_i32 s19, s18, 31
	s_lshl_b64 s[10:11], s[18:19], 2
	s_getpc_b64 s[12:13]
	s_add_u32 s12, s12, llvm.amdgcn.dynlds.offset.table@rel32@lo+4
	s_addc_u32 s13, s13, llvm.amdgcn.dynlds.offset.table@rel32@hi+12
	s_add_u32 s10, s10, s12
	s_addc_u32 s11, s11, s13
	s_load_dword s7, s[10:11], 0x0
	s_waitcnt lgkmcnt(0)
	v_lshl_add_u32 v25, v24, 2, s7
	ds_read_b32 v25, v25 offset:544
	s_waitcnt lgkmcnt(0)
	v_add_f32_e32 v13, v25, v13
	s_or_b64 exec, exec, s[8:9]
	s_and_saveexec_b64 s[8:9], vcc
	s_cbranch_execz .LBB253_1268
.LBB253_1296:
	s_ashr_i32 s19, s18, 31
	s_lshl_b64 s[10:11], s[18:19], 2
	s_getpc_b64 s[12:13]
	s_add_u32 s12, s12, llvm.amdgcn.dynlds.offset.table@rel32@lo+4
	s_addc_u32 s13, s13, llvm.amdgcn.dynlds.offset.table@rel32@hi+12
	s_add_u32 s10, s10, s12
	s_addc_u32 s11, s11, s13
	s_load_dword s7, s[10:11], 0x0
	s_waitcnt lgkmcnt(0)
	v_lshl_add_u32 v25, v24, 2, s7
	ds_read_b32 v25, v25 offset:576
	s_waitcnt lgkmcnt(0)
	v_add_f32_e32 v8, v25, v8
	s_or_b64 exec, exec, s[8:9]
	s_and_saveexec_b64 s[8:9], vcc
	s_cbranch_execz .LBB253_1269
.LBB253_1297:
	s_ashr_i32 s19, s18, 31
	s_lshl_b64 s[10:11], s[18:19], 2
	s_getpc_b64 s[12:13]
	s_add_u32 s12, s12, llvm.amdgcn.dynlds.offset.table@rel32@lo+4
	s_addc_u32 s13, s13, llvm.amdgcn.dynlds.offset.table@rel32@hi+12
	s_add_u32 s10, s10, s12
	s_addc_u32 s11, s11, s13
	s_load_dword s7, s[10:11], 0x0
	s_waitcnt lgkmcnt(0)
	v_lshl_add_u32 v25, v24, 2, s7
	ds_read_b32 v25, v25 offset:608
	s_waitcnt lgkmcnt(0)
	v_add_f32_e32 v9, v25, v9
	s_or_b64 exec, exec, s[8:9]
	s_and_saveexec_b64 s[8:9], vcc
	s_cbranch_execz .LBB253_1270
.LBB253_1298:
	s_ashr_i32 s19, s18, 31
	s_lshl_b64 s[10:11], s[18:19], 2
	s_getpc_b64 s[12:13]
	s_add_u32 s12, s12, llvm.amdgcn.dynlds.offset.table@rel32@lo+4
	s_addc_u32 s13, s13, llvm.amdgcn.dynlds.offset.table@rel32@hi+12
	s_add_u32 s10, s10, s12
	s_addc_u32 s11, s11, s13
	s_load_dword s7, s[10:11], 0x0
	s_waitcnt lgkmcnt(0)
	v_lshl_add_u32 v25, v24, 2, s7
	ds_read_b32 v25, v25 offset:640
	s_waitcnt lgkmcnt(0)
	v_add_f32_e32 v6, v25, v6
	s_or_b64 exec, exec, s[8:9]
	s_and_saveexec_b64 s[8:9], vcc
	s_cbranch_execz .LBB253_1271
.LBB253_1299:
	s_ashr_i32 s19, s18, 31
	s_lshl_b64 s[10:11], s[18:19], 2
	s_getpc_b64 s[12:13]
	s_add_u32 s12, s12, llvm.amdgcn.dynlds.offset.table@rel32@lo+4
	s_addc_u32 s13, s13, llvm.amdgcn.dynlds.offset.table@rel32@hi+12
	s_add_u32 s10, s10, s12
	s_addc_u32 s11, s11, s13
	s_load_dword s7, s[10:11], 0x0
	s_waitcnt lgkmcnt(0)
	v_lshl_add_u32 v25, v24, 2, s7
	ds_read_b32 v25, v25 offset:672
	s_waitcnt lgkmcnt(0)
	v_add_f32_e32 v7, v25, v7
	s_or_b64 exec, exec, s[8:9]
	s_and_saveexec_b64 s[8:9], vcc
	s_cbranch_execz .LBB253_1272
.LBB253_1300:
	s_ashr_i32 s19, s18, 31
	s_lshl_b64 s[10:11], s[18:19], 2
	s_getpc_b64 s[12:13]
	s_add_u32 s12, s12, llvm.amdgcn.dynlds.offset.table@rel32@lo+4
	s_addc_u32 s13, s13, llvm.amdgcn.dynlds.offset.table@rel32@hi+12
	s_add_u32 s10, s10, s12
	s_addc_u32 s11, s11, s13
	s_load_dword s7, s[10:11], 0x0
	s_waitcnt lgkmcnt(0)
	v_lshl_add_u32 v25, v24, 2, s7
	ds_read_b32 v25, v25 offset:704
	s_waitcnt lgkmcnt(0)
	v_add_f32_e32 v22, v25, v22
	s_or_b64 exec, exec, s[8:9]
	s_and_saveexec_b64 s[8:9], vcc
	s_cbranch_execnz .LBB253_1273
	s_branch .LBB253_1274
.Lfunc_end253:
	.size	_ZN4vllm22paged_attention_kernelIfhLi192ELi32ELi128ELNS_18Fp8KVCacheDataTypeE1ELb0ELi512EEEvPfS2_PT_PKS3_PKT0_S9_ifPKiSB_iPKfiiiSD_SD_iiiii, .Lfunc_end253-_ZN4vllm22paged_attention_kernelIfhLi192ELi32ELi128ELNS_18Fp8KVCacheDataTypeE1ELb0ELi512EEEvPfS2_PT_PKS3_PKT0_S9_ifPKiSB_iPKfiiiSD_SD_iiiii
                                        ; -- End function
	.section	.AMDGPU.csdata,"",@progbits
; Function info:
; codeLenInByte = 65128
; NumSgprs: 46
; NumVgprs: 64
; NumAgprs: 64
; TotalNumVgprs: 128
; ScratchSize: 1176
; MemoryBound: 0
	.section	.text._ZN4vllm25paged_attention_v2_kernelIfhLi192ELi32ELi128ELNS_18Fp8KVCacheDataTypeE1ELb0ELi512EEEvPfS2_PT_PKS3_PKT0_S9_ifPKiSB_iPKfiiiSD_SD_iiiii,"axG",@progbits,_ZN4vllm25paged_attention_v2_kernelIfhLi192ELi32ELi128ELNS_18Fp8KVCacheDataTypeE1ELb0ELi512EEEvPfS2_PT_PKS3_PKT0_S9_ifPKiSB_iPKfiiiSD_SD_iiiii,comdat
	.protected	_ZN4vllm25paged_attention_v2_kernelIfhLi192ELi32ELi128ELNS_18Fp8KVCacheDataTypeE1ELb0ELi512EEEvPfS2_PT_PKS3_PKT0_S9_ifPKiSB_iPKfiiiSD_SD_iiiii ; -- Begin function _ZN4vllm25paged_attention_v2_kernelIfhLi192ELi32ELi128ELNS_18Fp8KVCacheDataTypeE1ELb0ELi512EEEvPfS2_PT_PKS3_PKT0_S9_ifPKiSB_iPKfiiiSD_SD_iiiii
	.globl	_ZN4vllm25paged_attention_v2_kernelIfhLi192ELi32ELi128ELNS_18Fp8KVCacheDataTypeE1ELb0ELi512EEEvPfS2_PT_PKS3_PKT0_S9_ifPKiSB_iPKfiiiSD_SD_iiiii
	.p2align	8
	.type	_ZN4vllm25paged_attention_v2_kernelIfhLi192ELi32ELi128ELNS_18Fp8KVCacheDataTypeE1ELb0ELi512EEEvPfS2_PT_PKS3_PKT0_S9_ifPKiSB_iPKfiiiSD_SD_iiiii,@function
_ZN4vllm25paged_attention_v2_kernelIfhLi192ELi32ELi128ELNS_18Fp8KVCacheDataTypeE1ELb0ELi512EEEvPfS2_PT_PKS3_PKT0_S9_ifPKiSB_iPKfiiiSD_SD_iiiii: ; @_ZN4vllm25paged_attention_v2_kernelIfhLi192ELi32ELi128ELNS_18Fp8KVCacheDataTypeE1ELb0ELi512EEEvPfS2_PT_PKS3_PKT0_S9_ifPKiSB_iPKfiiiSD_SD_iiiii
; %bb.0:
	s_add_u32 flat_scratch_lo, s6, s11
	s_addc_u32 flat_scratch_hi, s7, 0
	s_add_u32 s0, s0, s11
	s_load_dwordx8 s[24:31], s[4:5], 0x0
	s_load_dwordx8 s[16:23], s[4:5], 0x20
	s_load_dwordx2 s[6:7], s[4:5], 0x40
	s_load_dwordx2 s[34:35], s[4:5], 0x50
	s_load_dword s11, s[4:5], 0x48
	s_load_dwordx8 s[36:43], s[4:5], 0x58
	s_addc_u32 s1, s1, 0
	s_mov_b32 s12, s8
	s_add_u32 s8, s4, 0x90
	s_mov_b32 s13, s9
	s_addc_u32 s9, s5, 0
	s_mov_b32 s14, s10
	s_mov_b32 s15, 34
	v_mov_b32_e32 v31, v0
	s_waitcnt lgkmcnt(0)
	v_mov_b32_e32 v0, s24
	v_mov_b32_e32 v1, s25
	;; [unrolled: 1-line block ×28, first 2 shown]
	s_mov_b32 s32, 0
	s_getpc_b64 s[4:5]
	s_add_u32 s4, s4, _ZN4vllm22paged_attention_kernelIfhLi192ELi32ELi128ELNS_18Fp8KVCacheDataTypeE1ELb0ELi512EEEvPfS2_PT_PKS3_PKT0_S9_ifPKiSB_iPKfiiiSD_SD_iiiii@rel32@lo+4
	s_addc_u32 s5, s5, _ZN4vllm22paged_attention_kernelIfhLi192ELi32ELi128ELNS_18Fp8KVCacheDataTypeE1ELb0ELi512EEEvPfS2_PT_PKS3_PKT0_S9_ifPKiSB_iPKfiiiSD_SD_iiiii@rel32@hi+12
	s_swappc_b64 s[30:31], s[4:5]
	s_endpgm
	.section	.rodata,"a",@progbits
	.p2align	6, 0x0
	.amdhsa_kernel _ZN4vllm25paged_attention_v2_kernelIfhLi192ELi32ELi128ELNS_18Fp8KVCacheDataTypeE1ELb0ELi512EEEvPfS2_PT_PKS3_PKT0_S9_ifPKiSB_iPKfiiiSD_SD_iiiii
		.amdhsa_group_segment_fixed_size 784
		.amdhsa_private_segment_fixed_size 1176
		.amdhsa_kernarg_size 400
		.amdhsa_user_sgpr_count 8
		.amdhsa_user_sgpr_private_segment_buffer 1
		.amdhsa_user_sgpr_dispatch_ptr 0
		.amdhsa_user_sgpr_queue_ptr 0
		.amdhsa_user_sgpr_kernarg_segment_ptr 1
		.amdhsa_user_sgpr_dispatch_id 0
		.amdhsa_user_sgpr_flat_scratch_init 1
		.amdhsa_user_sgpr_kernarg_preload_length 0
		.amdhsa_user_sgpr_kernarg_preload_offset 0
		.amdhsa_user_sgpr_private_segment_size 0
		.amdhsa_uses_dynamic_stack 0
		.amdhsa_system_sgpr_private_segment_wavefront_offset 1
		.amdhsa_system_sgpr_workgroup_id_x 1
		.amdhsa_system_sgpr_workgroup_id_y 1
		.amdhsa_system_sgpr_workgroup_id_z 1
		.amdhsa_system_sgpr_workgroup_info 0
		.amdhsa_system_vgpr_workitem_id 0
		.amdhsa_next_free_vgpr 128
		.amdhsa_next_free_sgpr 44
		.amdhsa_accum_offset 64
		.amdhsa_reserve_vcc 1
		.amdhsa_reserve_flat_scratch 1
		.amdhsa_float_round_mode_32 0
		.amdhsa_float_round_mode_16_64 0
		.amdhsa_float_denorm_mode_32 3
		.amdhsa_float_denorm_mode_16_64 3
		.amdhsa_dx10_clamp 1
		.amdhsa_ieee_mode 1
		.amdhsa_fp16_overflow 0
		.amdhsa_tg_split 0
		.amdhsa_exception_fp_ieee_invalid_op 0
		.amdhsa_exception_fp_denorm_src 0
		.amdhsa_exception_fp_ieee_div_zero 0
		.amdhsa_exception_fp_ieee_overflow 0
		.amdhsa_exception_fp_ieee_underflow 0
		.amdhsa_exception_fp_ieee_inexact 0
		.amdhsa_exception_int_div_zero 0
	.end_amdhsa_kernel
	.section	.text._ZN4vllm25paged_attention_v2_kernelIfhLi192ELi32ELi128ELNS_18Fp8KVCacheDataTypeE1ELb0ELi512EEEvPfS2_PT_PKS3_PKT0_S9_ifPKiSB_iPKfiiiSD_SD_iiiii,"axG",@progbits,_ZN4vllm25paged_attention_v2_kernelIfhLi192ELi32ELi128ELNS_18Fp8KVCacheDataTypeE1ELb0ELi512EEEvPfS2_PT_PKS3_PKT0_S9_ifPKiSB_iPKfiiiSD_SD_iiiii,comdat
.Lfunc_end254:
	.size	_ZN4vllm25paged_attention_v2_kernelIfhLi192ELi32ELi128ELNS_18Fp8KVCacheDataTypeE1ELb0ELi512EEEvPfS2_PT_PKS3_PKT0_S9_ifPKiSB_iPKfiiiSD_SD_iiiii, .Lfunc_end254-_ZN4vllm25paged_attention_v2_kernelIfhLi192ELi32ELi128ELNS_18Fp8KVCacheDataTypeE1ELb0ELi512EEEvPfS2_PT_PKS3_PKT0_S9_ifPKiSB_iPKfiiiSD_SD_iiiii
                                        ; -- End function
	.section	.AMDGPU.csdata,"",@progbits
; Kernel info:
; codeLenInByte = 244
; NumSgprs: 50
; NumVgprs: 64
; NumAgprs: 64
; TotalNumVgprs: 128
; ScratchSize: 1176
; MemoryBound: 0
; FloatMode: 240
; IeeeMode: 1
; LDSByteSize: 784 bytes/workgroup (compile time only)
; SGPRBlocks: 6
; VGPRBlocks: 15
; NumSGPRsForWavesPerEU: 50
; NumVGPRsForWavesPerEU: 128
; AccumOffset: 64
; Occupancy: 4
; WaveLimiterHint : 1
; COMPUTE_PGM_RSRC2:SCRATCH_EN: 1
; COMPUTE_PGM_RSRC2:USER_SGPR: 8
; COMPUTE_PGM_RSRC2:TRAP_HANDLER: 0
; COMPUTE_PGM_RSRC2:TGID_X_EN: 1
; COMPUTE_PGM_RSRC2:TGID_Y_EN: 1
; COMPUTE_PGM_RSRC2:TGID_Z_EN: 1
; COMPUTE_PGM_RSRC2:TIDIG_COMP_CNT: 0
; COMPUTE_PGM_RSRC3_GFX90A:ACCUM_OFFSET: 15
; COMPUTE_PGM_RSRC3_GFX90A:TG_SPLIT: 0
	.text
	.p2align	2                               ; -- Begin function _ZN4vllm22paged_attention_kernelIfhLi256ELi32ELi128ELNS_18Fp8KVCacheDataTypeE1ELb0ELi512EEEvPfS2_PT_PKS3_PKT0_S9_ifPKiSB_iPKfiiiSD_SD_iiiii
	.type	_ZN4vllm22paged_attention_kernelIfhLi256ELi32ELi128ELNS_18Fp8KVCacheDataTypeE1ELb0ELi512EEEvPfS2_PT_PKS3_PKT0_S9_ifPKiSB_iPKfiiiSD_SD_iiiii,@function
_ZN4vllm22paged_attention_kernelIfhLi256ELi32ELi128ELNS_18Fp8KVCacheDataTypeE1ELb0ELi512EEEvPfS2_PT_PKS3_PKT0_S9_ifPKiSB_iPKfiiiSD_SD_iiiii: ; @_ZN4vllm22paged_attention_kernelIfhLi256ELi32ELi128ELNS_18Fp8KVCacheDataTypeE1ELb0ELi512EEEvPfS2_PT_PKS3_PKT0_S9_ifPKiSB_iPKfiiiSD_SD_iiiii
; %bb.0:
	s_waitcnt vmcnt(0) expcnt(0) lgkmcnt(0)
	s_or_saveexec_b64 s[4:5], -1
	buffer_store_dword v63, off, s[0:3], s32 offset:1568 ; 4-byte Folded Spill
	s_mov_b64 exec, s[4:5]
	buffer_store_dword v40, off, s[0:3], s32 offset:184 ; 4-byte Folded Spill
	buffer_store_dword v41, off, s[0:3], s32 offset:180 ; 4-byte Folded Spill
	;; [unrolled: 1-line block ×46, first 2 shown]
	buffer_store_dword a63, off, s[0:3], s32 ; 4-byte Folded Spill
	v_writelane_b32 v63, s34, 0
	v_writelane_b32 v63, s35, 1
	;; [unrolled: 1-line block ×10, first 2 shown]
	s_mov_b32 s22, s13
	s_ashr_i32 s23, s13, 31
	s_lshl_b64 s[4:5], s[22:23], 2
	buffer_store_dword v26, off, s[0:3], s32 offset:1500 ; 4-byte Folded Spill
	s_nop 0
	buffer_store_dword v27, off, s[0:3], s32 offset:1504 ; 4-byte Folded Spill
	buffer_store_dword v24, off, s[0:3], s32 offset:928 ; 4-byte Folded Spill
	s_nop 0
	buffer_store_dword v25, off, s[0:3], s32 offset:932 ; 4-byte Folded Spill
	;; [unrolled: 3-line block ×3, first 2 shown]
	buffer_store_dword v14, off, s[0:3], s32 offset:1484 ; 4-byte Folded Spill
	buffer_store_dword v13, off, s[0:3], s32 offset:1476 ; 4-byte Folded Spill
	;; [unrolled: 1-line block ×4, first 2 shown]
	v_mov_b32_e32 v5, s5
	v_add_co_u32_e32 v4, vcc, s4, v16
	v_addc_co_u32_e32 v5, vcc, v17, v5, vcc
	flat_load_dword v62, v[4:5]
	s_lshl_b32 s23, s14, 9
	v_mov_b32_e32 v25, v20
	v_mov_b32_e32 v24, v19
	s_waitcnt vmcnt(0) lgkmcnt(0)
	v_cmp_lt_i32_e32 vcc, s23, v62
	s_and_saveexec_b64 s[16:17], vcc
	s_cbranch_execz .LBB255_1685
; %bb.1:
	v_sub_u32_e32 v4, 0, v12
	v_max_i32_e32 v4, v12, v4
	v_cvt_f32_u32_e32 v5, v4
	s_load_dword s4, s[8:9], 0x10
	s_load_dword s6, s[8:9], 0x0
	v_sub_u32_e32 v13, 0, v4
	s_mov_b32 s18, s15
	v_rcp_iflag_f32_e32 v5, v5
	s_waitcnt lgkmcnt(0)
	s_lshr_b32 s4, s4, 16
	s_cmp_lg_u32 s4, 0
	s_cselect_b64 s[4:5], -1, 0
	v_mul_f32_e32 v5, 0x4f7ffffe, v5
	v_cvt_u32_f32_e32 v5, v5
	s_cmp_lg_u64 s[4:5], 0
	s_addc_u32 s15, s6, 0
	s_abs_i32 s4, s15
	v_mul_lo_u32 v13, v13, v5
	v_mul_hi_u32 v13, v5, v13
	v_add_u32_e32 v5, v5, v13
	v_mul_hi_u32 v5, s4, v5
	v_mul_lo_u32 v13, v5, v4
	v_sub_u32_e32 v13, s4, v13
	v_add_u32_e32 v14, 1, v5
	v_cmp_ge_u32_e32 vcc, v13, v4
	v_cndmask_b32_e32 v5, v5, v14, vcc
	v_sub_u32_e32 v14, v13, v4
	v_cndmask_b32_e32 v13, v13, v14, vcc
	v_xor_b32_e32 v12, s15, v12
	v_add_u32_e32 v14, 1, v5
	v_cmp_ge_u32_e32 vcc, v13, v4
	v_ashrrev_i32_e32 v12, 31, v12
	v_cndmask_b32_e32 v4, v5, v14, vcc
	v_xor_b32_e32 v4, v4, v12
	v_sub_u32_e32 v12, v4, v12
	v_sub_u32_e32 v4, 0, v12
	v_max_i32_e32 v13, v12, v4
	v_cvt_f32_u32_e32 v4, v13
	v_sub_u32_e32 v5, 0, v13
	s_abs_i32 s6, s12
	v_cmp_ne_u64_e32 vcc, 0, v[24:25]
	v_rcp_iflag_f32_e32 v4, v4
	v_mul_f32_e32 v4, 0x4f7ffffe, v4
	v_cvt_u32_f32_e32 v4, v4
	v_mul_lo_u32 v5, v5, v4
	v_mul_hi_u32 v5, v4, v5
	v_add_u32_e32 v4, v4, v5
	v_mad_u64_u32 v[4:5], s[4:5], s6, v4, 0
	v_mov_b32_e32 v4, 0
	buffer_store_dword v4, off, s[0:3], s32 offset:1472 ; 4-byte Folded Spill
	s_and_saveexec_b64 s[4:5], vcc
	s_cbranch_execz .LBB255_3
; %bb.2:
	s_ashr_i32 s13, s12, 31
	s_lshl_b64 s[10:11], s[12:13], 2
	v_mov_b32_e32 v4, s11
	v_add_co_u32_e32 v16, vcc, s10, v24
	v_addc_co_u32_e32 v17, vcc, v25, v4, vcc
	flat_load_dword v4, v[16:17]
	s_waitcnt vmcnt(0) lgkmcnt(0)
	buffer_store_dword v4, off, s[0:3], s32 offset:1472 ; 4-byte Folded Spill
.LBB255_3:
	s_or_b64 exec, exec, s[4:5]
	v_and_b32_e32 v16, 0x3ff, v31
	s_movk_i32 s4, 0x80
	s_ashr_i32 s7, s12, 31
	v_ashrrev_i32_e32 v4, 31, v12
	v_and_b32_e32 v12, 1, v16
	s_lshl_b32 s20, s12, 8
	v_cmp_gt_u32_e32 vcc, s4, v16
	v_lshlrev_b32_e32 v14, 2, v16
	buffer_store_dword v14, off, s[0:3], s32 offset:1524 ; 4-byte Folded Spill
	s_and_saveexec_b64 s[4:5], vcc
	s_cbranch_execz .LBB255_5
; %bb.4:
	v_mul_lo_u32 v20, s22, v21
	v_ashrrev_i32_e32 v21, 31, v20
	v_lshlrev_b64 v[20:21], 2, v[20:21]
	v_add_co_u32_e32 v6, vcc, v6, v20
	s_ashr_i32 s21, s20, 31
	v_addc_co_u32_e32 v7, vcc, v7, v21, vcc
	s_lshl_b64 s[10:11], s[20:21], 2
	v_mov_b32_e32 v14, s11
	v_add_co_u32_e32 v6, vcc, s10, v6
	v_addc_co_u32_e32 v7, vcc, v7, v14, vcc
	v_lshlrev_b32_e32 v14, 3, v16
	v_add_co_u32_e32 v6, vcc, v6, v14
	v_addc_co_u32_e32 v7, vcc, 0, v7, vcc
	flat_load_dwordx2 v[6:7], v[6:7]
	v_lshlrev_b32_e32 v14, 2, v16
	v_and_b32_e32 v14, 0xff8, v14
	v_lshl_add_u32 v14, v12, 9, v14
	s_waitcnt vmcnt(0) lgkmcnt(0)
	ds_write_b64 v14, v[6:7]
.LBB255_5:
	s_or_b64 exec, exec, s[4:5]
	v_add_u32_e32 v6, 31, v62
	v_ashrrev_i32_e32 v7, 31, v6
	v_lshrrev_b32_e32 v7, 27, v7
	v_add_u32_e32 v6, v6, v7
	s_lshl_b32 s21, s14, 4
	v_ashrrev_i32_e32 v6, 5, v6
	s_add_i32 s4, s21, 16
	buffer_store_dword v6, off, s[0:3], s32 offset:1528 ; 4-byte Folded Spill
	v_min_i32_e32 v14, s4, v6
	v_mul_lo_u32 v6, v5, v13
	v_sub_u32_e32 v6, s6, v6
	v_add_u32_e32 v7, 1, v5
	v_cmp_ge_u32_e32 vcc, v6, v13
	v_cndmask_b32_e32 v5, v5, v7, vcc
	v_sub_u32_e32 v7, v6, v13
	v_cndmask_b32_e32 v6, v6, v7, vcc
	v_add_u32_e32 v7, 1, v5
	v_cmp_ge_u32_e32 vcc, v6, v13
	v_xor_b32_e32 v4, s7, v4
	v_cndmask_b32_e32 v5, v5, v7, vcc
	buffer_store_dword v16, off, s[0:3], s32 offset:1480 ; 4-byte Folded Spill
	v_lshrrev_b32_e32 v16, 6, v16
	v_xor_b32_e32 v5, v5, v4
	v_sub_u32_e32 v7, v5, v4
	v_mul_lo_u32 v4, s22, v18
	v_or_b32_e32 v6, s21, v16
	s_waitcnt lgkmcnt(0)
	s_barrier
	v_ashrrev_i32_e32 v5, 31, v4
	buffer_store_dword v16, off, s[0:3], s32 offset:1488 ; 4-byte Folded Spill
	v_cmp_lt_i32_e64 s[4:5], v6, v14
	v_mov_b32_e32 v16, v6
	v_cmp_ge_i32_e32 vcc, v6, v14
	v_mbcnt_lo_u32_b32 v6, -1, 0
	buffer_store_dword v14, off, s[0:3], s32 offset:876 ; 4-byte Folded Spill
                                        ; implicit-def: $sgpr19
                                        ; implicit-def: $vgpr14
                                        ; implicit-def: $vgpr13
	s_and_saveexec_b64 s[6:7], vcc
	s_xor_b64 s[6:7], exec, s[6:7]
	s_cbranch_execz .LBB255_7
; %bb.6:
	v_mbcnt_hi_u32_b32 v14, -1, v6
	v_and_b32_e32 v6, 64, v14
	v_add_u32_e32 v13, 64, v6
                                        ; implicit-def: $vgpr6
                                        ; kill: killed $vgpr6
                                        ; implicit-def: $vgpr6
                                        ; kill: killed $vgpr6
                                        ; implicit-def: $vgpr6
	s_mov_b32 s19, 0xff7fffff
	buffer_store_dword v6, off, s[0:3], s32 offset:928 ; 4-byte Folded Spill
	s_nop 0
	buffer_store_dword v7, off, s[0:3], s32 offset:932 ; 4-byte Folded Spill
                                        ; implicit-def: $vgpr8
                                        ; implicit-def: $vgpr9
                                        ; implicit-def: $vgpr12
                                        ; implicit-def: $vgpr6
.LBB255_7:
	s_or_saveexec_b64 s[10:11], s[6:7]
	s_load_dword s40, s[8:9], 0x14
	s_load_dword s13, s[8:9], 0x8
	v_mul_lo_u32 v7, v7, v23
	v_ashrrev_i32_e32 v17, 31, v16
	v_mov_b32_e32 v18, s19
	buffer_store_dword v16, off, s[0:3], s32 offset:188 ; 4-byte Folded Spill
	s_nop 0
	buffer_store_dword v17, off, s[0:3], s32 offset:192 ; 4-byte Folded Spill
	buffer_store_dword v7, off, s[0:3], s32 offset:1520 ; 4-byte Folded Spill
	v_ashrrev_i32_e32 v7, 31, v7
	v_lshlrev_b64 v[4:5], 2, v[4:5]
	buffer_store_dword v7, off, s[0:3], s32 offset:1516 ; 4-byte Folded Spill
	buffer_store_dword v4, off, s[0:3], s32 offset:1508 ; 4-byte Folded Spill
	s_nop 0
	buffer_store_dword v5, off, s[0:3], s32 offset:1512 ; 4-byte Folded Spill
	s_xor_b64 exec, exec, s[10:11]
	s_cbranch_execz .LBB255_781
; %bb.8:
	buffer_store_dword v2, off, s[0:3], s32 offset:1536 ; 4-byte Folded Spill
	buffer_store_dword v3, off, s[0:3], s32 offset:1544 ; 4-byte Folded Spill
	;; [unrolled: 1-line block ×6, first 2 shown]
	buffer_load_dword v0, off, s[0:3], s32 offset:1480 ; 4-byte Folded Reload
	s_ashr_i32 s19, s18, 31
	buffer_load_dword v2, off, s[0:3], s32 offset:1516 ; 4-byte Folded Reload
	buffer_load_dword v1, off, s[0:3], s32 offset:1520 ; 4-byte Folded Reload
	s_lshl_b64 s[26:27], s[18:19], 2
	s_getpc_b64 s[28:29]
	s_add_u32 s28, s28, llvm.amdgcn.dynlds.offset.table@rel32@lo+4
	s_addc_u32 s29, s29, llvm.amdgcn.dynlds.offset.table@rel32@hi+12
	s_mov_b32 s24, 0
	s_add_u32 s26, s26, s28
	s_brev_b32 s25, 1
	v_mov_b32_e32 v53, 0
	v_cmp_eq_u32_e64 s[6:7], 0, v12
	s_addc_u32 s27, s27, s29
	s_mov_b64 s[28:29], 0
	s_movk_i32 s19, 0x80
	s_movk_i32 s41, 0x7f
	s_mov_b32 s31, 0x7f800001
	s_waitcnt vmcnt(2)
	v_bfe_u32 v0, v0, 1, 5
	v_lshlrev_b32_e32 v3, 4, v0
	s_waitcnt vmcnt(0)
	v_add_co_u32_e32 v1, vcc, v8, v1
	v_addc_co_u32_e32 v2, vcc, v9, v2, vcc
	v_add_co_u32_e32 v4, vcc, v1, v3
	v_addc_co_u32_e32 v5, vcc, 0, v2, vcc
	v_lshlrev_b32_e32 v2, 1, v12
	buffer_store_dword v4, off, s[0:3], s32 offset:1232 ; 4-byte Folded Spill
	s_nop 0
	buffer_store_dword v5, off, s[0:3], s32 offset:1236 ; 4-byte Folded Spill
	buffer_store_dword v2, off, s[0:3], s32 offset:1240 ; 4-byte Folded Spill
	s_nop 0
	buffer_store_dword v3, off, s[0:3], s32 offset:1244 ; 4-byte Folded Spill
	v_lshlrev_b32_e32 v1, 9, v12
	ds_read_b128 v[2:5], v1
	s_waitcnt lgkmcnt(0)
	buffer_store_dword v2, off, s[0:3], s32 offset:944 ; 4-byte Folded Spill
	s_nop 0
	buffer_store_dword v3, off, s[0:3], s32 offset:948 ; 4-byte Folded Spill
	buffer_store_dword v4, off, s[0:3], s32 offset:952 ; 4-byte Folded Spill
	buffer_store_dword v5, off, s[0:3], s32 offset:956 ; 4-byte Folded Spill
	ds_read_b128 v[2:5], v1 offset:16
	s_waitcnt lgkmcnt(0)
	buffer_store_dword v2, off, s[0:3], s32 offset:960 ; 4-byte Folded Spill
	s_nop 0
	buffer_store_dword v3, off, s[0:3], s32 offset:964 ; 4-byte Folded Spill
	buffer_store_dword v4, off, s[0:3], s32 offset:968 ; 4-byte Folded Spill
	buffer_store_dword v5, off, s[0:3], s32 offset:972 ; 4-byte Folded Spill
	ds_read_b128 v[2:5], v1 offset:32
	;; [unrolled: 7-line block ×12, first 2 shown]
	s_waitcnt lgkmcnt(0)
	buffer_store_dword v2, off, s[0:3], s32 offset:1136 ; 4-byte Folded Spill
	s_nop 0
	buffer_store_dword v3, off, s[0:3], s32 offset:1140 ; 4-byte Folded Spill
	buffer_store_dword v4, off, s[0:3], s32 offset:1144 ; 4-byte Folded Spill
	;; [unrolled: 1-line block ×3, first 2 shown]
	v_mbcnt_hi_u32_b32 v4, -1, v6
	v_and_b32_e32 v3, 64, v4
	v_xor_b32_e32 v2, 1, v4
	v_add_u32_e32 v3, 64, v3
	v_cmp_lt_i32_e32 vcc, v2, v3
	v_cndmask_b32_e32 v2, v4, v2, vcc
	v_lshlrev_b32_e32 v2, 2, v2
	buffer_store_dword v2, off, s[0:3], s32 offset:940 ; 4-byte Folded Spill
	buffer_load_dword v2, off, s[0:3], s32 offset:1472 ; 4-byte Folded Reload
	s_waitcnt vmcnt(0)
	v_cmp_neq_f32_e64 s[8:9], 0, v2
	buffer_store_dword v3, off, s[0:3], s32 offset:1540 ; 4-byte Folded Spill
	buffer_store_dword v4, off, s[0:3], s32 offset:1532 ; 4-byte Folded Spill
	ds_read_b128 v[2:5], v1 offset:208
	s_waitcnt lgkmcnt(0)
	buffer_store_dword v2, off, s[0:3], s32 offset:1152 ; 4-byte Folded Spill
	s_nop 0
	buffer_store_dword v3, off, s[0:3], s32 offset:1156 ; 4-byte Folded Spill
	buffer_store_dword v4, off, s[0:3], s32 offset:1160 ; 4-byte Folded Spill
	buffer_store_dword v5, off, s[0:3], s32 offset:1164 ; 4-byte Folded Spill
	ds_read_b128 v[2:5], v1 offset:224
	s_waitcnt lgkmcnt(0)
	buffer_store_dword v2, off, s[0:3], s32 offset:1168 ; 4-byte Folded Spill
	s_nop 0
	buffer_store_dword v3, off, s[0:3], s32 offset:1172 ; 4-byte Folded Spill
	;; [unrolled: 7-line block ×19, first 2 shown]
	buffer_store_dword v4, off, s[0:3], s32 offset:1464 ; 4-byte Folded Spill
	buffer_store_dword v5, off, s[0:3], s32 offset:1468 ; 4-byte Folded Spill
	buffer_load_dword v4, off, s[0:3], s32 offset:188 ; 4-byte Folded Reload
	s_nop 0
	buffer_load_dword v5, off, s[0:3], s32 offset:192 ; 4-byte Folded Reload
	buffer_load_dword v6, off, s[0:3], s32 offset:1508 ; 4-byte Folded Reload
	;; [unrolled: 1-line block ×3, first 2 shown]
	s_waitcnt vmcnt(2)
	v_lshlrev_b64 v[2:3], 2, v[4:5]
	s_waitcnt vmcnt(1)
	v_add_co_u32_e32 v1, vcc, v6, v2
	s_waitcnt vmcnt(0)
	v_addc_co_u32_e32 v2, vcc, v7, v3, vcc
	buffer_load_dword v3, off, s[0:3], s32 offset:1484 ; 4-byte Folded Reload
	v_mov_b32_e32 v52, v4
	buffer_store_dword v15, off, s[0:3], s32 offset:1560 ; 4-byte Folded Spill
	s_waitcnt vmcnt(1)
	v_add_co_u32_e32 v6, vcc, v3, v1
	v_addc_co_u32_e32 v7, vcc, v15, v2, vcc
	buffer_load_dword v2, off, s[0:3], s32 offset:1488 ; 4-byte Folded Reload
	s_waitcnt vmcnt(0)
	v_lshlrev_b32_e32 v1, 5, v2
	v_add3_u32 v1, s23, v1, v0
	v_lshlrev_b32_e32 v0, 2, v0
	v_lshl_or_b32 v0, v2, 7, v0
	buffer_store_dword v0, off, s[0:3], s32 offset:864 ; 4-byte Folded Spill
	v_mov_b32_e32 v0, 0xff7fffff
	buffer_store_dword v1, off, s[0:3], s32 offset:860 ; 4-byte Folded Spill
	buffer_store_dword v0, off, s[0:3], s32 offset:936 ; 4-byte Folded Spill
	s_branch .LBB255_10
.LBB255_9:                              ;   in Loop: Header=BB255_10 Depth=1
	s_or_b64 exec, exec, s[34:35]
	buffer_load_dword v6, off, s[0:3], s32 offset:880 ; 4-byte Folded Reload
	buffer_load_dword v7, off, s[0:3], s32 offset:884 ; 4-byte Folded Reload
	;; [unrolled: 1-line block ×3, first 2 shown]
	v_add_u32_e32 v52, 2, v52
	s_waitcnt vmcnt(2)
	v_add_co_u32_e32 v6, vcc, 8, v6
	s_waitcnt vmcnt(0)
	v_add_u32_e32 v0, 64, v0
	buffer_store_dword v0, off, s[0:3], s32 offset:860 ; 4-byte Folded Spill
	buffer_load_dword v0, off, s[0:3], s32 offset:876 ; 4-byte Folded Reload
	v_addc_co_u32_e32 v7, vcc, 0, v7, vcc
	s_waitcnt vmcnt(0)
	v_cmp_ge_i32_e32 vcc, v52, v0
	buffer_load_dword v0, off, s[0:3], s32 offset:864 ; 4-byte Folded Reload
	s_or_b64 s[28:29], vcc, s[28:29]
	s_waitcnt vmcnt(0)
	v_add_u32_e32 v0, 0x100, v0
	buffer_store_dword v0, off, s[0:3], s32 offset:864 ; 4-byte Folded Spill
	s_andn2_b64 exec, exec, s[28:29]
	s_cbranch_execz .LBB255_780
.LBB255_10:                             ; =>This Inner Loop Header: Depth=1
	buffer_store_dword v6, off, s[0:3], s32 offset:880 ; 4-byte Folded Spill
	s_nop 0
	buffer_store_dword v7, off, s[0:3], s32 offset:884 ; 4-byte Folded Spill
	flat_load_dword v0, v[6:7]
	buffer_load_dword v2, off, s[0:3], s32 offset:868 ; 4-byte Folded Reload
	buffer_load_dword v3, off, s[0:3], s32 offset:872 ; 4-byte Folded Reload
	;; [unrolled: 1-line block ×4, first 2 shown]
	s_waitcnt vmcnt(0) lgkmcnt(0)
	v_mad_i64_i32 v[0:1], vcc, v0, v2, v[4:5]
	buffer_load_dword v2, off, s[0:3], s32 offset:1240 ; 4-byte Folded Reload
	buffer_load_dword v3, off, s[0:3], s32 offset:1244 ; 4-byte Folded Reload
	s_waitcnt vmcnt(1)
	v_add_co_u32_e32 v56, vcc, v0, v2
	v_addc_co_u32_e32 v57, vcc, 0, v1, vcc
	flat_load_ushort v1, v[56:57]
	buffer_load_dword v2, off, s[0:3], s32 offset:928 ; 4-byte Folded Reload
	buffer_load_dword v3, off, s[0:3], s32 offset:932 ; 4-byte Folded Reload
	s_waitcnt vmcnt(0) lgkmcnt(0)
	v_and_b32_e32 v0, 0xffff, v1
	flat_load_dword v40, v[2:3]
	v_pk_mov_b32 v[2:3], 0, 0
	v_cmp_ne_u16_sdwa vcc, v1, v53 src0_sel:BYTE_0 src1_sel:DWORD
	buffer_store_dword v2, off, s[0:3], s32 offset:204 ; 4-byte Folded Spill
	s_nop 0
	buffer_store_dword v3, off, s[0:3], s32 offset:208 ; 4-byte Folded Spill
	buffer_store_dword v2, off, s[0:3], s32 offset:196 ; 4-byte Folded Spill
	s_nop 0
	buffer_store_dword v3, off, s[0:3], s32 offset:200 ; 4-byte Folded Spill
	s_mov_b64 s[34:35], exec
	s_and_b64 vcc, s[34:35], vcc
	v_mov_b32_e32 v59, v52
	s_mov_b64 exec, vcc
	s_cbranch_execz .LBB255_16
; %bb.11:                               ;   in Loop: Header=BB255_10 Depth=1
	v_bfrev_b32_e32 v2, 1
	v_cmp_ne_u16_sdwa vcc, v0, s19 src0_sel:BYTE_0 src1_sel:DWORD
	v_mov_b32_e32 v3, 0
	buffer_store_dword v2, off, s[0:3], s32 offset:196 ; 4-byte Folded Spill
	s_nop 0
	buffer_store_dword v3, off, s[0:3], s32 offset:200 ; 4-byte Folded Spill
	s_and_saveexec_b64 s[36:37], vcc
	s_cbranch_execz .LBB255_15
; %bb.12:                               ;   in Loop: Header=BB255_10 Depth=1
	v_and_b32_e32 v1, 0x7f, v0
	v_mov_b32_e32 v2, 0x7f800001
	v_cmp_ne_u32_e32 vcc, s41, v1
	v_mov_b32_e32 v3, 0
	buffer_store_dword v2, off, s[0:3], s32 offset:196 ; 4-byte Folded Spill
	s_nop 0
	buffer_store_dword v3, off, s[0:3], s32 offset:200 ; 4-byte Folded Spill
	s_and_saveexec_b64 s[38:39], vcc
	s_cbranch_execz .LBB255_14
; %bb.13:                               ;   in Loop: Header=BB255_10 Depth=1
	v_and_b32_e32 v4, 7, v0
	v_lshrrev_b32_e32 v5, 3, v1
	v_cmp_gt_u32_e32 vcc, 8, v1
	v_ffbh_u32_e32 v1, v4
	v_min_u32_e32 v1, 32, v1
	v_subrev_u32_e32 v2, 28, v1
	v_lshlrev_b64 v[2:3], v2, v[0:1]
	v_sub_u32_e32 v1, 29, v1
	v_and_b32_e32 v2, 7, v2
	v_cndmask_b32_e32 v1, v5, v1, vcc
	v_cndmask_b32_e32 v2, v4, v2, vcc
	v_bfrev_b32_e32 v4, 60
	v_lshlrev_b32_e32 v2, 20, v2
	v_and_b32_sdwa v3, sext(v0), s25 dst_sel:DWORD dst_unused:UNUSED_PAD src0_sel:BYTE_0 src1_sel:DWORD
	v_lshl_add_u32 v1, v1, 23, v4
	v_or3_b32 v52, v3, v1, v2
	buffer_store_dword v52, off, s[0:3], s32 offset:196 ; 4-byte Folded Spill
	s_nop 0
	buffer_store_dword v53, off, s[0:3], s32 offset:200 ; 4-byte Folded Spill
	v_mov_b32_e32 v52, v59
.LBB255_14:                             ;   in Loop: Header=BB255_10 Depth=1
	s_or_b64 exec, exec, s[38:39]
.LBB255_15:                             ;   in Loop: Header=BB255_10 Depth=1
	s_or_b64 exec, exec, s[36:37]
.LBB255_16:                             ;   in Loop: Header=BB255_10 Depth=1
	s_or_b64 exec, exec, s[34:35]
	v_cmp_ne_u16_sdwa vcc, v0, v53 src0_sel:BYTE_1 src1_sel:DWORD
	s_and_saveexec_b64 s[34:35], vcc
	s_cbranch_execz .LBB255_22
; %bb.17:                               ;   in Loop: Header=BB255_10 Depth=1
	v_cmp_ne_u16_sdwa vcc, v0, s19 src0_sel:BYTE_1 src1_sel:DWORD
	v_pk_mov_b32 v[2:3], s[24:25], s[24:25] op_sel:[0,1]
	buffer_store_dword v2, off, s[0:3], s32 offset:204 ; 4-byte Folded Spill
	s_nop 0
	buffer_store_dword v3, off, s[0:3], s32 offset:208 ; 4-byte Folded Spill
	s_and_saveexec_b64 s[36:37], vcc
	s_cbranch_execz .LBB255_21
; %bb.18:                               ;   in Loop: Header=BB255_10 Depth=1
	v_and_b32_sdwa v1, v0, s41 dst_sel:DWORD dst_unused:UNUSED_PAD src0_sel:BYTE_1 src1_sel:DWORD
	s_mov_b32 s30, s24
	v_cmp_ne_u32_e32 vcc, s41, v1
	v_pk_mov_b32 v[2:3], s[30:31], s[30:31] op_sel:[0,1]
	buffer_store_dword v2, off, s[0:3], s32 offset:204 ; 4-byte Folded Spill
	s_nop 0
	buffer_store_dword v3, off, s[0:3], s32 offset:208 ; 4-byte Folded Spill
	s_and_saveexec_b64 s[38:39], vcc
	s_cbranch_execz .LBB255_20
; %bb.19:                               ;   in Loop: Header=BB255_10 Depth=1
	v_mov_b32_e32 v2, 7
	v_and_b32_sdwa v52, v0, v2 dst_sel:DWORD dst_unused:UNUSED_PAD src0_sel:BYTE_1 src1_sel:DWORD
	v_lshrrev_b32_e32 v4, 3, v1
	v_cmp_gt_u32_e32 vcc, 8, v1
	v_ffbh_u32_e32 v1, v52
	v_min_u32_e32 v1, 32, v1
	v_subrev_u32_e32 v2, 28, v1
	v_lshlrev_b64 v[2:3], v2, v[52:53]
	v_sub_u32_e32 v1, 29, v1
	v_and_b32_e32 v2, 7, v2
	v_cndmask_b32_e32 v1, v4, v1, vcc
	v_bfrev_b32_e32 v3, 60
	v_cndmask_b32_e32 v2, v52, v2, vcc
	v_lshlrev_b32_e32 v0, 16, v0
	v_lshl_add_u32 v1, v1, 23, v3
	v_and_or_b32 v0, v0, s25, v1
	v_lshlrev_b32_e32 v1, 20, v2
	v_mov_b32_e32 v52, v59
	v_or_b32_e32 v1, v0, v1
	v_mov_b32_e32 v0, v53
	buffer_store_dword v0, off, s[0:3], s32 offset:204 ; 4-byte Folded Spill
	s_nop 0
	buffer_store_dword v1, off, s[0:3], s32 offset:208 ; 4-byte Folded Spill
.LBB255_20:                             ;   in Loop: Header=BB255_10 Depth=1
	s_or_b64 exec, exec, s[38:39]
.LBB255_21:                             ;   in Loop: Header=BB255_10 Depth=1
	s_or_b64 exec, exec, s[36:37]
.LBB255_22:                             ;   in Loop: Header=BB255_10 Depth=1
	s_or_b64 exec, exec, s[34:35]
	flat_load_ushort v1, v[56:57] offset:4
	v_pk_mov_b32 v[2:3], 0, 0
	buffer_store_dword v2, off, s[0:3], s32 offset:220 ; 4-byte Folded Spill
	s_nop 0
	buffer_store_dword v3, off, s[0:3], s32 offset:224 ; 4-byte Folded Spill
	buffer_store_dword v2, off, s[0:3], s32 offset:212 ; 4-byte Folded Spill
	s_nop 0
	buffer_store_dword v3, off, s[0:3], s32 offset:216 ; 4-byte Folded Spill
	s_waitcnt vmcnt(0) lgkmcnt(0)
	v_and_b32_e32 v0, 0xffff, v1
	v_cmp_ne_u16_sdwa vcc, v1, v53 src0_sel:BYTE_0 src1_sel:DWORD
	s_and_saveexec_b64 s[34:35], vcc
	s_cbranch_execz .LBB255_28
; %bb.23:                               ;   in Loop: Header=BB255_10 Depth=1
	v_bfrev_b32_e32 v2, 1
	v_cmp_ne_u16_sdwa vcc, v0, s19 src0_sel:BYTE_0 src1_sel:DWORD
	v_mov_b32_e32 v3, 0
	buffer_store_dword v2, off, s[0:3], s32 offset:212 ; 4-byte Folded Spill
	s_nop 0
	buffer_store_dword v3, off, s[0:3], s32 offset:216 ; 4-byte Folded Spill
	s_and_saveexec_b64 s[36:37], vcc
	s_cbranch_execz .LBB255_27
; %bb.24:                               ;   in Loop: Header=BB255_10 Depth=1
	v_and_b32_e32 v1, 0x7f, v0
	v_mov_b32_e32 v2, 0x7f800001
	v_cmp_ne_u32_e32 vcc, s41, v1
	v_mov_b32_e32 v3, 0
	buffer_store_dword v2, off, s[0:3], s32 offset:212 ; 4-byte Folded Spill
	s_nop 0
	buffer_store_dword v3, off, s[0:3], s32 offset:216 ; 4-byte Folded Spill
	s_and_saveexec_b64 s[38:39], vcc
	s_cbranch_execz .LBB255_26
; %bb.25:                               ;   in Loop: Header=BB255_10 Depth=1
	v_and_b32_e32 v4, 7, v0
	v_lshrrev_b32_e32 v5, 3, v1
	v_cmp_gt_u32_e32 vcc, 8, v1
	v_ffbh_u32_e32 v1, v4
	v_min_u32_e32 v1, 32, v1
	v_subrev_u32_e32 v2, 28, v1
	v_lshlrev_b64 v[2:3], v2, v[0:1]
	v_sub_u32_e32 v1, 29, v1
	v_and_b32_e32 v2, 7, v2
	v_cndmask_b32_e32 v1, v5, v1, vcc
	v_cndmask_b32_e32 v2, v4, v2, vcc
	v_bfrev_b32_e32 v4, 60
	v_lshlrev_b32_e32 v2, 20, v2
	v_and_b32_sdwa v3, sext(v0), s25 dst_sel:DWORD dst_unused:UNUSED_PAD src0_sel:BYTE_0 src1_sel:DWORD
	v_lshl_add_u32 v1, v1, 23, v4
	v_or3_b32 v52, v3, v1, v2
	buffer_store_dword v52, off, s[0:3], s32 offset:212 ; 4-byte Folded Spill
	s_nop 0
	buffer_store_dword v53, off, s[0:3], s32 offset:216 ; 4-byte Folded Spill
	v_mov_b32_e32 v52, v59
.LBB255_26:                             ;   in Loop: Header=BB255_10 Depth=1
	s_or_b64 exec, exec, s[38:39]
.LBB255_27:                             ;   in Loop: Header=BB255_10 Depth=1
	s_or_b64 exec, exec, s[36:37]
.LBB255_28:                             ;   in Loop: Header=BB255_10 Depth=1
	s_or_b64 exec, exec, s[34:35]
	v_cmp_ne_u16_sdwa vcc, v0, v53 src0_sel:BYTE_1 src1_sel:DWORD
	s_and_saveexec_b64 s[34:35], vcc
	s_cbranch_execz .LBB255_34
; %bb.29:                               ;   in Loop: Header=BB255_10 Depth=1
	v_cmp_ne_u16_sdwa vcc, v0, s19 src0_sel:BYTE_1 src1_sel:DWORD
	v_pk_mov_b32 v[2:3], s[24:25], s[24:25] op_sel:[0,1]
	buffer_store_dword v2, off, s[0:3], s32 offset:220 ; 4-byte Folded Spill
	s_nop 0
	buffer_store_dword v3, off, s[0:3], s32 offset:224 ; 4-byte Folded Spill
	s_and_saveexec_b64 s[36:37], vcc
	s_cbranch_execz .LBB255_33
; %bb.30:                               ;   in Loop: Header=BB255_10 Depth=1
	v_and_b32_sdwa v1, v0, s41 dst_sel:DWORD dst_unused:UNUSED_PAD src0_sel:BYTE_1 src1_sel:DWORD
	s_mov_b32 s30, s24
	v_cmp_ne_u32_e32 vcc, s41, v1
	v_pk_mov_b32 v[2:3], s[30:31], s[30:31] op_sel:[0,1]
	buffer_store_dword v2, off, s[0:3], s32 offset:220 ; 4-byte Folded Spill
	s_nop 0
	buffer_store_dword v3, off, s[0:3], s32 offset:224 ; 4-byte Folded Spill
	s_and_saveexec_b64 s[38:39], vcc
	s_cbranch_execz .LBB255_32
; %bb.31:                               ;   in Loop: Header=BB255_10 Depth=1
	v_mov_b32_e32 v2, 7
	v_and_b32_sdwa v52, v0, v2 dst_sel:DWORD dst_unused:UNUSED_PAD src0_sel:BYTE_1 src1_sel:DWORD
	v_lshrrev_b32_e32 v4, 3, v1
	v_cmp_gt_u32_e32 vcc, 8, v1
	v_ffbh_u32_e32 v1, v52
	v_min_u32_e32 v1, 32, v1
	v_subrev_u32_e32 v2, 28, v1
	v_lshlrev_b64 v[2:3], v2, v[52:53]
	v_sub_u32_e32 v1, 29, v1
	v_and_b32_e32 v2, 7, v2
	v_cndmask_b32_e32 v1, v4, v1, vcc
	v_bfrev_b32_e32 v3, 60
	v_cndmask_b32_e32 v2, v52, v2, vcc
	v_lshlrev_b32_e32 v0, 16, v0
	v_lshl_add_u32 v1, v1, 23, v3
	v_and_or_b32 v0, v0, s25, v1
	v_lshlrev_b32_e32 v1, 20, v2
	v_mov_b32_e32 v52, v59
	v_or_b32_e32 v1, v0, v1
	v_mov_b32_e32 v0, v53
	buffer_store_dword v0, off, s[0:3], s32 offset:220 ; 4-byte Folded Spill
	s_nop 0
	buffer_store_dword v1, off, s[0:3], s32 offset:224 ; 4-byte Folded Spill
.LBB255_32:                             ;   in Loop: Header=BB255_10 Depth=1
	s_or_b64 exec, exec, s[38:39]
.LBB255_33:                             ;   in Loop: Header=BB255_10 Depth=1
	s_or_b64 exec, exec, s[36:37]
.LBB255_34:                             ;   in Loop: Header=BB255_10 Depth=1
	s_or_b64 exec, exec, s[34:35]
	flat_load_ushort v1, v[56:57] offset:8
	v_pk_mov_b32 v[2:3], 0, 0
	buffer_store_dword v2, off, s[0:3], s32 offset:236 ; 4-byte Folded Spill
	s_nop 0
	buffer_store_dword v3, off, s[0:3], s32 offset:240 ; 4-byte Folded Spill
	buffer_store_dword v2, off, s[0:3], s32 offset:228 ; 4-byte Folded Spill
	s_nop 0
	buffer_store_dword v3, off, s[0:3], s32 offset:232 ; 4-byte Folded Spill
	s_waitcnt vmcnt(0) lgkmcnt(0)
	v_and_b32_e32 v0, 0xffff, v1
	v_cmp_ne_u16_sdwa vcc, v1, v53 src0_sel:BYTE_0 src1_sel:DWORD
	s_and_saveexec_b64 s[34:35], vcc
	s_cbranch_execz .LBB255_40
; %bb.35:                               ;   in Loop: Header=BB255_10 Depth=1
	v_bfrev_b32_e32 v2, 1
	v_cmp_ne_u16_sdwa vcc, v0, s19 src0_sel:BYTE_0 src1_sel:DWORD
	v_mov_b32_e32 v3, 0
	buffer_store_dword v2, off, s[0:3], s32 offset:228 ; 4-byte Folded Spill
	s_nop 0
	buffer_store_dword v3, off, s[0:3], s32 offset:232 ; 4-byte Folded Spill
	s_and_saveexec_b64 s[36:37], vcc
	s_cbranch_execz .LBB255_39
; %bb.36:                               ;   in Loop: Header=BB255_10 Depth=1
	v_and_b32_e32 v1, 0x7f, v0
	v_mov_b32_e32 v2, 0x7f800001
	v_cmp_ne_u32_e32 vcc, s41, v1
	v_mov_b32_e32 v3, 0
	buffer_store_dword v2, off, s[0:3], s32 offset:228 ; 4-byte Folded Spill
	s_nop 0
	buffer_store_dword v3, off, s[0:3], s32 offset:232 ; 4-byte Folded Spill
	s_and_saveexec_b64 s[38:39], vcc
	s_cbranch_execz .LBB255_38
; %bb.37:                               ;   in Loop: Header=BB255_10 Depth=1
	v_and_b32_e32 v4, 7, v0
	v_lshrrev_b32_e32 v5, 3, v1
	v_cmp_gt_u32_e32 vcc, 8, v1
	v_ffbh_u32_e32 v1, v4
	v_min_u32_e32 v1, 32, v1
	v_subrev_u32_e32 v2, 28, v1
	v_lshlrev_b64 v[2:3], v2, v[0:1]
	v_sub_u32_e32 v1, 29, v1
	v_and_b32_e32 v2, 7, v2
	v_cndmask_b32_e32 v1, v5, v1, vcc
	v_cndmask_b32_e32 v2, v4, v2, vcc
	v_bfrev_b32_e32 v4, 60
	v_lshlrev_b32_e32 v2, 20, v2
	v_and_b32_sdwa v3, sext(v0), s25 dst_sel:DWORD dst_unused:UNUSED_PAD src0_sel:BYTE_0 src1_sel:DWORD
	v_lshl_add_u32 v1, v1, 23, v4
	v_or3_b32 v52, v3, v1, v2
	buffer_store_dword v52, off, s[0:3], s32 offset:228 ; 4-byte Folded Spill
	s_nop 0
	buffer_store_dword v53, off, s[0:3], s32 offset:232 ; 4-byte Folded Spill
	v_mov_b32_e32 v52, v59
.LBB255_38:                             ;   in Loop: Header=BB255_10 Depth=1
	s_or_b64 exec, exec, s[38:39]
.LBB255_39:                             ;   in Loop: Header=BB255_10 Depth=1
	s_or_b64 exec, exec, s[36:37]
.LBB255_40:                             ;   in Loop: Header=BB255_10 Depth=1
	s_or_b64 exec, exec, s[34:35]
	v_cmp_ne_u16_sdwa vcc, v0, v53 src0_sel:BYTE_1 src1_sel:DWORD
	s_and_saveexec_b64 s[34:35], vcc
	s_cbranch_execz .LBB255_46
; %bb.41:                               ;   in Loop: Header=BB255_10 Depth=1
	v_cmp_ne_u16_sdwa vcc, v0, s19 src0_sel:BYTE_1 src1_sel:DWORD
	v_pk_mov_b32 v[2:3], s[24:25], s[24:25] op_sel:[0,1]
	buffer_store_dword v2, off, s[0:3], s32 offset:236 ; 4-byte Folded Spill
	s_nop 0
	buffer_store_dword v3, off, s[0:3], s32 offset:240 ; 4-byte Folded Spill
	s_and_saveexec_b64 s[36:37], vcc
	s_cbranch_execz .LBB255_45
; %bb.42:                               ;   in Loop: Header=BB255_10 Depth=1
	v_and_b32_sdwa v1, v0, s41 dst_sel:DWORD dst_unused:UNUSED_PAD src0_sel:BYTE_1 src1_sel:DWORD
	s_mov_b32 s30, s24
	v_cmp_ne_u32_e32 vcc, s41, v1
	v_pk_mov_b32 v[2:3], s[30:31], s[30:31] op_sel:[0,1]
	buffer_store_dword v2, off, s[0:3], s32 offset:236 ; 4-byte Folded Spill
	s_nop 0
	buffer_store_dword v3, off, s[0:3], s32 offset:240 ; 4-byte Folded Spill
	s_and_saveexec_b64 s[38:39], vcc
	s_cbranch_execz .LBB255_44
; %bb.43:                               ;   in Loop: Header=BB255_10 Depth=1
	v_mov_b32_e32 v2, 7
	v_and_b32_sdwa v52, v0, v2 dst_sel:DWORD dst_unused:UNUSED_PAD src0_sel:BYTE_1 src1_sel:DWORD
	v_lshrrev_b32_e32 v4, 3, v1
	v_cmp_gt_u32_e32 vcc, 8, v1
	v_ffbh_u32_e32 v1, v52
	v_min_u32_e32 v1, 32, v1
	v_subrev_u32_e32 v2, 28, v1
	v_lshlrev_b64 v[2:3], v2, v[52:53]
	v_sub_u32_e32 v1, 29, v1
	v_and_b32_e32 v2, 7, v2
	v_cndmask_b32_e32 v1, v4, v1, vcc
	v_bfrev_b32_e32 v3, 60
	v_cndmask_b32_e32 v2, v52, v2, vcc
	v_lshlrev_b32_e32 v0, 16, v0
	v_lshl_add_u32 v1, v1, 23, v3
	v_and_or_b32 v0, v0, s25, v1
	v_lshlrev_b32_e32 v1, 20, v2
	v_mov_b32_e32 v52, v59
	v_or_b32_e32 v1, v0, v1
	v_mov_b32_e32 v0, v53
	buffer_store_dword v0, off, s[0:3], s32 offset:236 ; 4-byte Folded Spill
	s_nop 0
	buffer_store_dword v1, off, s[0:3], s32 offset:240 ; 4-byte Folded Spill
.LBB255_44:                             ;   in Loop: Header=BB255_10 Depth=1
	s_or_b64 exec, exec, s[38:39]
.LBB255_45:                             ;   in Loop: Header=BB255_10 Depth=1
	s_or_b64 exec, exec, s[36:37]
.LBB255_46:                             ;   in Loop: Header=BB255_10 Depth=1
	s_or_b64 exec, exec, s[34:35]
	flat_load_ushort v1, v[56:57] offset:12
	v_pk_mov_b32 v[2:3], 0, 0
	buffer_store_dword v2, off, s[0:3], s32 offset:252 ; 4-byte Folded Spill
	s_nop 0
	buffer_store_dword v3, off, s[0:3], s32 offset:256 ; 4-byte Folded Spill
	buffer_store_dword v2, off, s[0:3], s32 offset:244 ; 4-byte Folded Spill
	s_nop 0
	buffer_store_dword v3, off, s[0:3], s32 offset:248 ; 4-byte Folded Spill
	s_waitcnt vmcnt(0) lgkmcnt(0)
	v_and_b32_e32 v0, 0xffff, v1
	v_cmp_ne_u16_sdwa vcc, v1, v53 src0_sel:BYTE_0 src1_sel:DWORD
	s_and_saveexec_b64 s[34:35], vcc
	s_cbranch_execz .LBB255_52
; %bb.47:                               ;   in Loop: Header=BB255_10 Depth=1
	v_bfrev_b32_e32 v2, 1
	v_cmp_ne_u16_sdwa vcc, v0, s19 src0_sel:BYTE_0 src1_sel:DWORD
	v_mov_b32_e32 v3, 0
	buffer_store_dword v2, off, s[0:3], s32 offset:244 ; 4-byte Folded Spill
	s_nop 0
	buffer_store_dword v3, off, s[0:3], s32 offset:248 ; 4-byte Folded Spill
	s_and_saveexec_b64 s[36:37], vcc
	s_cbranch_execz .LBB255_51
; %bb.48:                               ;   in Loop: Header=BB255_10 Depth=1
	v_and_b32_e32 v1, 0x7f, v0
	v_mov_b32_e32 v2, 0x7f800001
	v_cmp_ne_u32_e32 vcc, s41, v1
	v_mov_b32_e32 v3, 0
	buffer_store_dword v2, off, s[0:3], s32 offset:244 ; 4-byte Folded Spill
	s_nop 0
	buffer_store_dword v3, off, s[0:3], s32 offset:248 ; 4-byte Folded Spill
	s_and_saveexec_b64 s[38:39], vcc
	s_cbranch_execz .LBB255_50
; %bb.49:                               ;   in Loop: Header=BB255_10 Depth=1
	v_and_b32_e32 v4, 7, v0
	v_lshrrev_b32_e32 v5, 3, v1
	v_cmp_gt_u32_e32 vcc, 8, v1
	v_ffbh_u32_e32 v1, v4
	v_min_u32_e32 v1, 32, v1
	v_subrev_u32_e32 v2, 28, v1
	v_lshlrev_b64 v[2:3], v2, v[0:1]
	v_sub_u32_e32 v1, 29, v1
	v_and_b32_e32 v2, 7, v2
	v_cndmask_b32_e32 v1, v5, v1, vcc
	v_cndmask_b32_e32 v2, v4, v2, vcc
	v_bfrev_b32_e32 v4, 60
	v_lshlrev_b32_e32 v2, 20, v2
	v_and_b32_sdwa v3, sext(v0), s25 dst_sel:DWORD dst_unused:UNUSED_PAD src0_sel:BYTE_0 src1_sel:DWORD
	v_lshl_add_u32 v1, v1, 23, v4
	v_or3_b32 v52, v3, v1, v2
	buffer_store_dword v52, off, s[0:3], s32 offset:244 ; 4-byte Folded Spill
	s_nop 0
	buffer_store_dword v53, off, s[0:3], s32 offset:248 ; 4-byte Folded Spill
	v_mov_b32_e32 v52, v59
.LBB255_50:                             ;   in Loop: Header=BB255_10 Depth=1
	s_or_b64 exec, exec, s[38:39]
.LBB255_51:                             ;   in Loop: Header=BB255_10 Depth=1
	s_or_b64 exec, exec, s[36:37]
.LBB255_52:                             ;   in Loop: Header=BB255_10 Depth=1
	s_or_b64 exec, exec, s[34:35]
	v_cmp_ne_u16_sdwa vcc, v0, v53 src0_sel:BYTE_1 src1_sel:DWORD
	s_and_saveexec_b64 s[34:35], vcc
	s_cbranch_execz .LBB255_58
; %bb.53:                               ;   in Loop: Header=BB255_10 Depth=1
	v_cmp_ne_u16_sdwa vcc, v0, s19 src0_sel:BYTE_1 src1_sel:DWORD
	v_pk_mov_b32 v[2:3], s[24:25], s[24:25] op_sel:[0,1]
	buffer_store_dword v2, off, s[0:3], s32 offset:252 ; 4-byte Folded Spill
	s_nop 0
	buffer_store_dword v3, off, s[0:3], s32 offset:256 ; 4-byte Folded Spill
	s_and_saveexec_b64 s[36:37], vcc
	s_cbranch_execz .LBB255_57
; %bb.54:                               ;   in Loop: Header=BB255_10 Depth=1
	v_and_b32_sdwa v1, v0, s41 dst_sel:DWORD dst_unused:UNUSED_PAD src0_sel:BYTE_1 src1_sel:DWORD
	s_mov_b32 s30, s24
	v_cmp_ne_u32_e32 vcc, s41, v1
	v_pk_mov_b32 v[2:3], s[30:31], s[30:31] op_sel:[0,1]
	buffer_store_dword v2, off, s[0:3], s32 offset:252 ; 4-byte Folded Spill
	s_nop 0
	buffer_store_dword v3, off, s[0:3], s32 offset:256 ; 4-byte Folded Spill
	s_and_saveexec_b64 s[38:39], vcc
	s_cbranch_execz .LBB255_56
; %bb.55:                               ;   in Loop: Header=BB255_10 Depth=1
	v_mov_b32_e32 v2, 7
	v_and_b32_sdwa v52, v0, v2 dst_sel:DWORD dst_unused:UNUSED_PAD src0_sel:BYTE_1 src1_sel:DWORD
	v_lshrrev_b32_e32 v4, 3, v1
	v_cmp_gt_u32_e32 vcc, 8, v1
	v_ffbh_u32_e32 v1, v52
	v_min_u32_e32 v1, 32, v1
	v_subrev_u32_e32 v2, 28, v1
	v_lshlrev_b64 v[2:3], v2, v[52:53]
	v_sub_u32_e32 v1, 29, v1
	v_and_b32_e32 v2, 7, v2
	v_cndmask_b32_e32 v1, v4, v1, vcc
	v_bfrev_b32_e32 v3, 60
	v_cndmask_b32_e32 v2, v52, v2, vcc
	v_lshlrev_b32_e32 v0, 16, v0
	v_lshl_add_u32 v1, v1, 23, v3
	v_and_or_b32 v0, v0, s25, v1
	v_lshlrev_b32_e32 v1, 20, v2
	v_mov_b32_e32 v52, v59
	v_or_b32_e32 v1, v0, v1
	v_mov_b32_e32 v0, v53
	buffer_store_dword v0, off, s[0:3], s32 offset:252 ; 4-byte Folded Spill
	s_nop 0
	buffer_store_dword v1, off, s[0:3], s32 offset:256 ; 4-byte Folded Spill
.LBB255_56:                             ;   in Loop: Header=BB255_10 Depth=1
	s_or_b64 exec, exec, s[38:39]
.LBB255_57:                             ;   in Loop: Header=BB255_10 Depth=1
	s_or_b64 exec, exec, s[36:37]
.LBB255_58:                             ;   in Loop: Header=BB255_10 Depth=1
	s_or_b64 exec, exec, s[34:35]
	flat_load_ushort v1, v[56:57] offset:512
	v_pk_mov_b32 v[2:3], 0, 0
	buffer_store_dword v2, off, s[0:3], s32 offset:268 ; 4-byte Folded Spill
	s_nop 0
	buffer_store_dword v3, off, s[0:3], s32 offset:272 ; 4-byte Folded Spill
	buffer_store_dword v2, off, s[0:3], s32 offset:260 ; 4-byte Folded Spill
	s_nop 0
	buffer_store_dword v3, off, s[0:3], s32 offset:264 ; 4-byte Folded Spill
	s_waitcnt vmcnt(0) lgkmcnt(0)
	v_and_b32_e32 v0, 0xffff, v1
	v_cmp_ne_u16_sdwa vcc, v1, v53 src0_sel:BYTE_0 src1_sel:DWORD
	s_and_saveexec_b64 s[34:35], vcc
	s_cbranch_execz .LBB255_64
; %bb.59:                               ;   in Loop: Header=BB255_10 Depth=1
	v_bfrev_b32_e32 v2, 1
	v_cmp_ne_u16_sdwa vcc, v0, s19 src0_sel:BYTE_0 src1_sel:DWORD
	v_mov_b32_e32 v3, 0
	buffer_store_dword v2, off, s[0:3], s32 offset:260 ; 4-byte Folded Spill
	s_nop 0
	buffer_store_dword v3, off, s[0:3], s32 offset:264 ; 4-byte Folded Spill
	s_and_saveexec_b64 s[36:37], vcc
	s_cbranch_execz .LBB255_63
; %bb.60:                               ;   in Loop: Header=BB255_10 Depth=1
	v_and_b32_e32 v1, 0x7f, v0
	v_mov_b32_e32 v2, 0x7f800001
	v_cmp_ne_u32_e32 vcc, s41, v1
	v_mov_b32_e32 v3, 0
	buffer_store_dword v2, off, s[0:3], s32 offset:260 ; 4-byte Folded Spill
	s_nop 0
	buffer_store_dword v3, off, s[0:3], s32 offset:264 ; 4-byte Folded Spill
	s_and_saveexec_b64 s[38:39], vcc
	s_cbranch_execz .LBB255_62
; %bb.61:                               ;   in Loop: Header=BB255_10 Depth=1
	v_and_b32_e32 v4, 7, v0
	v_lshrrev_b32_e32 v5, 3, v1
	v_cmp_gt_u32_e32 vcc, 8, v1
	v_ffbh_u32_e32 v1, v4
	v_min_u32_e32 v1, 32, v1
	v_subrev_u32_e32 v2, 28, v1
	v_lshlrev_b64 v[2:3], v2, v[0:1]
	v_sub_u32_e32 v1, 29, v1
	v_and_b32_e32 v2, 7, v2
	v_cndmask_b32_e32 v1, v5, v1, vcc
	v_cndmask_b32_e32 v2, v4, v2, vcc
	v_bfrev_b32_e32 v4, 60
	v_lshlrev_b32_e32 v2, 20, v2
	v_and_b32_sdwa v3, sext(v0), s25 dst_sel:DWORD dst_unused:UNUSED_PAD src0_sel:BYTE_0 src1_sel:DWORD
	v_lshl_add_u32 v1, v1, 23, v4
	v_or3_b32 v52, v3, v1, v2
	buffer_store_dword v52, off, s[0:3], s32 offset:260 ; 4-byte Folded Spill
	s_nop 0
	buffer_store_dword v53, off, s[0:3], s32 offset:264 ; 4-byte Folded Spill
	v_mov_b32_e32 v52, v59
.LBB255_62:                             ;   in Loop: Header=BB255_10 Depth=1
	s_or_b64 exec, exec, s[38:39]
.LBB255_63:                             ;   in Loop: Header=BB255_10 Depth=1
	s_or_b64 exec, exec, s[36:37]
.LBB255_64:                             ;   in Loop: Header=BB255_10 Depth=1
	s_or_b64 exec, exec, s[34:35]
	v_cmp_ne_u16_sdwa vcc, v0, v53 src0_sel:BYTE_1 src1_sel:DWORD
	s_and_saveexec_b64 s[34:35], vcc
	s_cbranch_execz .LBB255_70
; %bb.65:                               ;   in Loop: Header=BB255_10 Depth=1
	v_cmp_ne_u16_sdwa vcc, v0, s19 src0_sel:BYTE_1 src1_sel:DWORD
	v_pk_mov_b32 v[2:3], s[24:25], s[24:25] op_sel:[0,1]
	buffer_store_dword v2, off, s[0:3], s32 offset:268 ; 4-byte Folded Spill
	s_nop 0
	buffer_store_dword v3, off, s[0:3], s32 offset:272 ; 4-byte Folded Spill
	s_and_saveexec_b64 s[36:37], vcc
	s_cbranch_execz .LBB255_69
; %bb.66:                               ;   in Loop: Header=BB255_10 Depth=1
	v_and_b32_sdwa v1, v0, s41 dst_sel:DWORD dst_unused:UNUSED_PAD src0_sel:BYTE_1 src1_sel:DWORD
	s_mov_b32 s30, s24
	v_cmp_ne_u32_e32 vcc, s41, v1
	v_pk_mov_b32 v[2:3], s[30:31], s[30:31] op_sel:[0,1]
	buffer_store_dword v2, off, s[0:3], s32 offset:268 ; 4-byte Folded Spill
	s_nop 0
	buffer_store_dword v3, off, s[0:3], s32 offset:272 ; 4-byte Folded Spill
	s_and_saveexec_b64 s[38:39], vcc
	s_cbranch_execz .LBB255_68
; %bb.67:                               ;   in Loop: Header=BB255_10 Depth=1
	v_mov_b32_e32 v2, 7
	v_and_b32_sdwa v52, v0, v2 dst_sel:DWORD dst_unused:UNUSED_PAD src0_sel:BYTE_1 src1_sel:DWORD
	v_lshrrev_b32_e32 v4, 3, v1
	v_cmp_gt_u32_e32 vcc, 8, v1
	v_ffbh_u32_e32 v1, v52
	v_min_u32_e32 v1, 32, v1
	v_subrev_u32_e32 v2, 28, v1
	v_lshlrev_b64 v[2:3], v2, v[52:53]
	v_sub_u32_e32 v1, 29, v1
	v_and_b32_e32 v2, 7, v2
	v_cndmask_b32_e32 v1, v4, v1, vcc
	v_bfrev_b32_e32 v3, 60
	v_cndmask_b32_e32 v2, v52, v2, vcc
	v_lshlrev_b32_e32 v0, 16, v0
	v_lshl_add_u32 v1, v1, 23, v3
	v_and_or_b32 v0, v0, s25, v1
	v_lshlrev_b32_e32 v1, 20, v2
	v_mov_b32_e32 v52, v59
	v_or_b32_e32 v1, v0, v1
	v_mov_b32_e32 v0, v53
	buffer_store_dword v0, off, s[0:3], s32 offset:268 ; 4-byte Folded Spill
	s_nop 0
	buffer_store_dword v1, off, s[0:3], s32 offset:272 ; 4-byte Folded Spill
.LBB255_68:                             ;   in Loop: Header=BB255_10 Depth=1
	s_or_b64 exec, exec, s[38:39]
.LBB255_69:                             ;   in Loop: Header=BB255_10 Depth=1
	s_or_b64 exec, exec, s[36:37]
.LBB255_70:                             ;   in Loop: Header=BB255_10 Depth=1
	s_or_b64 exec, exec, s[34:35]
	flat_load_ushort v1, v[56:57] offset:516
	v_pk_mov_b32 v[2:3], 0, 0
	buffer_store_dword v2, off, s[0:3], s32 offset:284 ; 4-byte Folded Spill
	s_nop 0
	buffer_store_dword v3, off, s[0:3], s32 offset:288 ; 4-byte Folded Spill
	buffer_store_dword v2, off, s[0:3], s32 offset:276 ; 4-byte Folded Spill
	s_nop 0
	buffer_store_dword v3, off, s[0:3], s32 offset:280 ; 4-byte Folded Spill
	s_waitcnt vmcnt(0) lgkmcnt(0)
	v_and_b32_e32 v0, 0xffff, v1
	v_cmp_ne_u16_sdwa vcc, v1, v53 src0_sel:BYTE_0 src1_sel:DWORD
	s_and_saveexec_b64 s[34:35], vcc
	s_cbranch_execz .LBB255_76
; %bb.71:                               ;   in Loop: Header=BB255_10 Depth=1
	v_bfrev_b32_e32 v2, 1
	v_cmp_ne_u16_sdwa vcc, v0, s19 src0_sel:BYTE_0 src1_sel:DWORD
	v_mov_b32_e32 v3, 0
	buffer_store_dword v2, off, s[0:3], s32 offset:276 ; 4-byte Folded Spill
	s_nop 0
	buffer_store_dword v3, off, s[0:3], s32 offset:280 ; 4-byte Folded Spill
	s_and_saveexec_b64 s[36:37], vcc
	s_cbranch_execz .LBB255_75
; %bb.72:                               ;   in Loop: Header=BB255_10 Depth=1
	v_and_b32_e32 v1, 0x7f, v0
	v_mov_b32_e32 v2, 0x7f800001
	v_cmp_ne_u32_e32 vcc, s41, v1
	v_mov_b32_e32 v3, 0
	buffer_store_dword v2, off, s[0:3], s32 offset:276 ; 4-byte Folded Spill
	s_nop 0
	buffer_store_dword v3, off, s[0:3], s32 offset:280 ; 4-byte Folded Spill
	s_and_saveexec_b64 s[38:39], vcc
	s_cbranch_execz .LBB255_74
; %bb.73:                               ;   in Loop: Header=BB255_10 Depth=1
	v_and_b32_e32 v4, 7, v0
	v_lshrrev_b32_e32 v5, 3, v1
	v_cmp_gt_u32_e32 vcc, 8, v1
	v_ffbh_u32_e32 v1, v4
	v_min_u32_e32 v1, 32, v1
	v_subrev_u32_e32 v2, 28, v1
	v_lshlrev_b64 v[2:3], v2, v[0:1]
	v_sub_u32_e32 v1, 29, v1
	v_and_b32_e32 v2, 7, v2
	v_cndmask_b32_e32 v1, v5, v1, vcc
	v_cndmask_b32_e32 v2, v4, v2, vcc
	v_bfrev_b32_e32 v4, 60
	v_lshlrev_b32_e32 v2, 20, v2
	v_and_b32_sdwa v3, sext(v0), s25 dst_sel:DWORD dst_unused:UNUSED_PAD src0_sel:BYTE_0 src1_sel:DWORD
	v_lshl_add_u32 v1, v1, 23, v4
	v_or3_b32 v52, v3, v1, v2
	buffer_store_dword v52, off, s[0:3], s32 offset:276 ; 4-byte Folded Spill
	s_nop 0
	buffer_store_dword v53, off, s[0:3], s32 offset:280 ; 4-byte Folded Spill
	v_mov_b32_e32 v52, v59
.LBB255_74:                             ;   in Loop: Header=BB255_10 Depth=1
	s_or_b64 exec, exec, s[38:39]
.LBB255_75:                             ;   in Loop: Header=BB255_10 Depth=1
	s_or_b64 exec, exec, s[36:37]
.LBB255_76:                             ;   in Loop: Header=BB255_10 Depth=1
	s_or_b64 exec, exec, s[34:35]
	v_cmp_ne_u16_sdwa vcc, v0, v53 src0_sel:BYTE_1 src1_sel:DWORD
	s_and_saveexec_b64 s[34:35], vcc
	s_cbranch_execz .LBB255_82
; %bb.77:                               ;   in Loop: Header=BB255_10 Depth=1
	v_cmp_ne_u16_sdwa vcc, v0, s19 src0_sel:BYTE_1 src1_sel:DWORD
	v_pk_mov_b32 v[2:3], s[24:25], s[24:25] op_sel:[0,1]
	buffer_store_dword v2, off, s[0:3], s32 offset:284 ; 4-byte Folded Spill
	s_nop 0
	buffer_store_dword v3, off, s[0:3], s32 offset:288 ; 4-byte Folded Spill
	s_and_saveexec_b64 s[36:37], vcc
	s_cbranch_execz .LBB255_81
; %bb.78:                               ;   in Loop: Header=BB255_10 Depth=1
	v_and_b32_sdwa v1, v0, s41 dst_sel:DWORD dst_unused:UNUSED_PAD src0_sel:BYTE_1 src1_sel:DWORD
	s_mov_b32 s30, s24
	v_cmp_ne_u32_e32 vcc, s41, v1
	v_pk_mov_b32 v[2:3], s[30:31], s[30:31] op_sel:[0,1]
	buffer_store_dword v2, off, s[0:3], s32 offset:284 ; 4-byte Folded Spill
	s_nop 0
	buffer_store_dword v3, off, s[0:3], s32 offset:288 ; 4-byte Folded Spill
	s_and_saveexec_b64 s[38:39], vcc
	s_cbranch_execz .LBB255_80
; %bb.79:                               ;   in Loop: Header=BB255_10 Depth=1
	v_mov_b32_e32 v2, 7
	v_and_b32_sdwa v52, v0, v2 dst_sel:DWORD dst_unused:UNUSED_PAD src0_sel:BYTE_1 src1_sel:DWORD
	v_lshrrev_b32_e32 v4, 3, v1
	v_cmp_gt_u32_e32 vcc, 8, v1
	v_ffbh_u32_e32 v1, v52
	v_min_u32_e32 v1, 32, v1
	v_subrev_u32_e32 v2, 28, v1
	v_lshlrev_b64 v[2:3], v2, v[52:53]
	v_sub_u32_e32 v1, 29, v1
	v_and_b32_e32 v2, 7, v2
	v_cndmask_b32_e32 v1, v4, v1, vcc
	v_bfrev_b32_e32 v3, 60
	v_cndmask_b32_e32 v2, v52, v2, vcc
	v_lshlrev_b32_e32 v0, 16, v0
	v_lshl_add_u32 v1, v1, 23, v3
	v_and_or_b32 v0, v0, s25, v1
	v_lshlrev_b32_e32 v1, 20, v2
	v_mov_b32_e32 v52, v59
	v_or_b32_e32 v1, v0, v1
	v_mov_b32_e32 v0, v53
	buffer_store_dword v0, off, s[0:3], s32 offset:284 ; 4-byte Folded Spill
	s_nop 0
	buffer_store_dword v1, off, s[0:3], s32 offset:288 ; 4-byte Folded Spill
.LBB255_80:                             ;   in Loop: Header=BB255_10 Depth=1
	s_or_b64 exec, exec, s[38:39]
.LBB255_81:                             ;   in Loop: Header=BB255_10 Depth=1
	s_or_b64 exec, exec, s[36:37]
.LBB255_82:                             ;   in Loop: Header=BB255_10 Depth=1
	s_or_b64 exec, exec, s[34:35]
	v_add_co_u32_e32 v0, vcc, 0x200, v56
	v_addc_co_u32_e32 v1, vcc, 0, v57, vcc
	flat_load_ushort v3, v[0:1] offset:8
	v_pk_mov_b32 v[4:5], 0, 0
	buffer_store_dword v4, off, s[0:3], s32 offset:300 ; 4-byte Folded Spill
	s_nop 0
	buffer_store_dword v5, off, s[0:3], s32 offset:304 ; 4-byte Folded Spill
	buffer_store_dword v4, off, s[0:3], s32 offset:292 ; 4-byte Folded Spill
	s_nop 0
	buffer_store_dword v5, off, s[0:3], s32 offset:296 ; 4-byte Folded Spill
	s_waitcnt vmcnt(0) lgkmcnt(0)
	v_and_b32_e32 v2, 0xffff, v3
	v_cmp_ne_u16_sdwa vcc, v3, v53 src0_sel:BYTE_0 src1_sel:DWORD
	s_and_saveexec_b64 s[34:35], vcc
	s_cbranch_execz .LBB255_88
; %bb.83:                               ;   in Loop: Header=BB255_10 Depth=1
	v_bfrev_b32_e32 v4, 1
	v_cmp_ne_u16_sdwa vcc, v2, s19 src0_sel:BYTE_0 src1_sel:DWORD
	v_mov_b32_e32 v5, 0
	buffer_store_dword v4, off, s[0:3], s32 offset:292 ; 4-byte Folded Spill
	s_nop 0
	buffer_store_dword v5, off, s[0:3], s32 offset:296 ; 4-byte Folded Spill
	s_and_saveexec_b64 s[36:37], vcc
	s_cbranch_execz .LBB255_87
; %bb.84:                               ;   in Loop: Header=BB255_10 Depth=1
	v_and_b32_e32 v3, 0x7f, v2
	v_mov_b32_e32 v4, 0x7f800001
	v_cmp_ne_u32_e32 vcc, s41, v3
	v_mov_b32_e32 v5, 0
	buffer_store_dword v4, off, s[0:3], s32 offset:292 ; 4-byte Folded Spill
	s_nop 0
	buffer_store_dword v5, off, s[0:3], s32 offset:296 ; 4-byte Folded Spill
	s_and_saveexec_b64 s[38:39], vcc
	s_cbranch_execz .LBB255_86
; %bb.85:                               ;   in Loop: Header=BB255_10 Depth=1
	v_and_b32_e32 v6, 7, v2
	v_lshrrev_b32_e32 v7, 3, v3
	v_cmp_gt_u32_e32 vcc, 8, v3
	v_ffbh_u32_e32 v3, v6
	v_min_u32_e32 v3, 32, v3
	v_subrev_u32_e32 v4, 28, v3
	v_lshlrev_b64 v[4:5], v4, v[2:3]
	v_sub_u32_e32 v3, 29, v3
	v_and_b32_e32 v4, 7, v4
	v_cndmask_b32_e32 v3, v7, v3, vcc
	v_cndmask_b32_e32 v4, v6, v4, vcc
	v_bfrev_b32_e32 v6, 60
	v_lshlrev_b32_e32 v4, 20, v4
	v_and_b32_sdwa v5, sext(v2), s25 dst_sel:DWORD dst_unused:UNUSED_PAD src0_sel:BYTE_0 src1_sel:DWORD
	v_lshl_add_u32 v3, v3, 23, v6
	v_or3_b32 v52, v5, v3, v4
	buffer_store_dword v52, off, s[0:3], s32 offset:292 ; 4-byte Folded Spill
	s_nop 0
	buffer_store_dword v53, off, s[0:3], s32 offset:296 ; 4-byte Folded Spill
	v_mov_b32_e32 v52, v59
.LBB255_86:                             ;   in Loop: Header=BB255_10 Depth=1
	s_or_b64 exec, exec, s[38:39]
.LBB255_87:                             ;   in Loop: Header=BB255_10 Depth=1
	s_or_b64 exec, exec, s[36:37]
.LBB255_88:                             ;   in Loop: Header=BB255_10 Depth=1
	s_or_b64 exec, exec, s[34:35]
	v_cmp_ne_u16_sdwa vcc, v2, v53 src0_sel:BYTE_1 src1_sel:DWORD
	s_and_saveexec_b64 s[34:35], vcc
	s_cbranch_execz .LBB255_94
; %bb.89:                               ;   in Loop: Header=BB255_10 Depth=1
	v_cmp_ne_u16_sdwa vcc, v2, s19 src0_sel:BYTE_1 src1_sel:DWORD
	v_pk_mov_b32 v[4:5], s[24:25], s[24:25] op_sel:[0,1]
	buffer_store_dword v4, off, s[0:3], s32 offset:300 ; 4-byte Folded Spill
	s_nop 0
	buffer_store_dword v5, off, s[0:3], s32 offset:304 ; 4-byte Folded Spill
	s_and_saveexec_b64 s[36:37], vcc
	s_cbranch_execz .LBB255_93
; %bb.90:                               ;   in Loop: Header=BB255_10 Depth=1
	v_and_b32_sdwa v3, v2, s41 dst_sel:DWORD dst_unused:UNUSED_PAD src0_sel:BYTE_1 src1_sel:DWORD
	s_mov_b32 s30, s24
	v_cmp_ne_u32_e32 vcc, s41, v3
	v_pk_mov_b32 v[4:5], s[30:31], s[30:31] op_sel:[0,1]
	buffer_store_dword v4, off, s[0:3], s32 offset:300 ; 4-byte Folded Spill
	s_nop 0
	buffer_store_dword v5, off, s[0:3], s32 offset:304 ; 4-byte Folded Spill
	s_and_saveexec_b64 s[38:39], vcc
	s_cbranch_execz .LBB255_92
; %bb.91:                               ;   in Loop: Header=BB255_10 Depth=1
	v_mov_b32_e32 v4, 7
	v_and_b32_sdwa v52, v2, v4 dst_sel:DWORD dst_unused:UNUSED_PAD src0_sel:BYTE_1 src1_sel:DWORD
	v_lshrrev_b32_e32 v6, 3, v3
	v_cmp_gt_u32_e32 vcc, 8, v3
	v_ffbh_u32_e32 v3, v52
	v_min_u32_e32 v3, 32, v3
	v_subrev_u32_e32 v4, 28, v3
	v_lshlrev_b64 v[4:5], v4, v[52:53]
	v_sub_u32_e32 v3, 29, v3
	v_and_b32_e32 v4, 7, v4
	v_cndmask_b32_e32 v3, v6, v3, vcc
	v_bfrev_b32_e32 v5, 60
	v_cndmask_b32_e32 v4, v52, v4, vcc
	v_lshlrev_b32_e32 v2, 16, v2
	v_lshl_add_u32 v3, v3, 23, v5
	v_and_or_b32 v2, v2, s25, v3
	v_lshlrev_b32_e32 v3, 20, v4
	v_mov_b32_e32 v52, v59
	v_or_b32_e32 v3, v2, v3
	v_mov_b32_e32 v2, v53
	buffer_store_dword v2, off, s[0:3], s32 offset:300 ; 4-byte Folded Spill
	s_nop 0
	buffer_store_dword v3, off, s[0:3], s32 offset:304 ; 4-byte Folded Spill
.LBB255_92:                             ;   in Loop: Header=BB255_10 Depth=1
	s_or_b64 exec, exec, s[38:39]
.LBB255_93:                             ;   in Loop: Header=BB255_10 Depth=1
	s_or_b64 exec, exec, s[36:37]
.LBB255_94:                             ;   in Loop: Header=BB255_10 Depth=1
	s_or_b64 exec, exec, s[34:35]
	flat_load_ushort v1, v[0:1] offset:12
	v_pk_mov_b32 v[2:3], 0, 0
	buffer_store_dword v2, off, s[0:3], s32 offset:316 ; 4-byte Folded Spill
	s_nop 0
	buffer_store_dword v3, off, s[0:3], s32 offset:320 ; 4-byte Folded Spill
	buffer_store_dword v2, off, s[0:3], s32 offset:308 ; 4-byte Folded Spill
	s_nop 0
	buffer_store_dword v3, off, s[0:3], s32 offset:312 ; 4-byte Folded Spill
	s_waitcnt vmcnt(0) lgkmcnt(0)
	v_and_b32_e32 v0, 0xffff, v1
	v_cmp_ne_u16_sdwa vcc, v1, v53 src0_sel:BYTE_0 src1_sel:DWORD
	s_and_saveexec_b64 s[34:35], vcc
	s_cbranch_execz .LBB255_100
; %bb.95:                               ;   in Loop: Header=BB255_10 Depth=1
	v_bfrev_b32_e32 v2, 1
	v_cmp_ne_u16_sdwa vcc, v0, s19 src0_sel:BYTE_0 src1_sel:DWORD
	v_mov_b32_e32 v3, 0
	buffer_store_dword v2, off, s[0:3], s32 offset:308 ; 4-byte Folded Spill
	s_nop 0
	buffer_store_dword v3, off, s[0:3], s32 offset:312 ; 4-byte Folded Spill
	s_and_saveexec_b64 s[36:37], vcc
	s_cbranch_execz .LBB255_99
; %bb.96:                               ;   in Loop: Header=BB255_10 Depth=1
	v_and_b32_e32 v1, 0x7f, v0
	v_mov_b32_e32 v2, 0x7f800001
	v_cmp_ne_u32_e32 vcc, s41, v1
	v_mov_b32_e32 v3, 0
	buffer_store_dword v2, off, s[0:3], s32 offset:308 ; 4-byte Folded Spill
	s_nop 0
	buffer_store_dword v3, off, s[0:3], s32 offset:312 ; 4-byte Folded Spill
	s_and_saveexec_b64 s[38:39], vcc
	s_cbranch_execz .LBB255_98
; %bb.97:                               ;   in Loop: Header=BB255_10 Depth=1
	v_and_b32_e32 v4, 7, v0
	v_lshrrev_b32_e32 v5, 3, v1
	v_cmp_gt_u32_e32 vcc, 8, v1
	v_ffbh_u32_e32 v1, v4
	v_min_u32_e32 v1, 32, v1
	v_subrev_u32_e32 v2, 28, v1
	v_lshlrev_b64 v[2:3], v2, v[0:1]
	v_sub_u32_e32 v1, 29, v1
	v_and_b32_e32 v2, 7, v2
	v_cndmask_b32_e32 v1, v5, v1, vcc
	v_cndmask_b32_e32 v2, v4, v2, vcc
	v_bfrev_b32_e32 v4, 60
	v_lshlrev_b32_e32 v2, 20, v2
	v_and_b32_sdwa v3, sext(v0), s25 dst_sel:DWORD dst_unused:UNUSED_PAD src0_sel:BYTE_0 src1_sel:DWORD
	v_lshl_add_u32 v1, v1, 23, v4
	v_or3_b32 v52, v3, v1, v2
	buffer_store_dword v52, off, s[0:3], s32 offset:308 ; 4-byte Folded Spill
	s_nop 0
	buffer_store_dword v53, off, s[0:3], s32 offset:312 ; 4-byte Folded Spill
	v_mov_b32_e32 v52, v59
.LBB255_98:                             ;   in Loop: Header=BB255_10 Depth=1
	s_or_b64 exec, exec, s[38:39]
.LBB255_99:                             ;   in Loop: Header=BB255_10 Depth=1
	s_or_b64 exec, exec, s[36:37]
.LBB255_100:                            ;   in Loop: Header=BB255_10 Depth=1
	s_or_b64 exec, exec, s[34:35]
	v_cmp_ne_u16_sdwa vcc, v0, v53 src0_sel:BYTE_1 src1_sel:DWORD
	s_and_saveexec_b64 s[34:35], vcc
	s_cbranch_execz .LBB255_106
; %bb.101:                              ;   in Loop: Header=BB255_10 Depth=1
	v_cmp_ne_u16_sdwa vcc, v0, s19 src0_sel:BYTE_1 src1_sel:DWORD
	v_pk_mov_b32 v[2:3], s[24:25], s[24:25] op_sel:[0,1]
	buffer_store_dword v2, off, s[0:3], s32 offset:316 ; 4-byte Folded Spill
	s_nop 0
	buffer_store_dword v3, off, s[0:3], s32 offset:320 ; 4-byte Folded Spill
	s_and_saveexec_b64 s[36:37], vcc
	s_cbranch_execz .LBB255_105
; %bb.102:                              ;   in Loop: Header=BB255_10 Depth=1
	v_and_b32_sdwa v1, v0, s41 dst_sel:DWORD dst_unused:UNUSED_PAD src0_sel:BYTE_1 src1_sel:DWORD
	s_mov_b32 s30, s24
	v_cmp_ne_u32_e32 vcc, s41, v1
	v_pk_mov_b32 v[2:3], s[30:31], s[30:31] op_sel:[0,1]
	buffer_store_dword v2, off, s[0:3], s32 offset:316 ; 4-byte Folded Spill
	s_nop 0
	buffer_store_dword v3, off, s[0:3], s32 offset:320 ; 4-byte Folded Spill
	s_and_saveexec_b64 s[38:39], vcc
	s_cbranch_execz .LBB255_104
; %bb.103:                              ;   in Loop: Header=BB255_10 Depth=1
	v_mov_b32_e32 v2, 7
	v_and_b32_sdwa v52, v0, v2 dst_sel:DWORD dst_unused:UNUSED_PAD src0_sel:BYTE_1 src1_sel:DWORD
	v_lshrrev_b32_e32 v4, 3, v1
	v_cmp_gt_u32_e32 vcc, 8, v1
	v_ffbh_u32_e32 v1, v52
	v_min_u32_e32 v1, 32, v1
	v_subrev_u32_e32 v2, 28, v1
	v_lshlrev_b64 v[2:3], v2, v[52:53]
	v_sub_u32_e32 v1, 29, v1
	v_and_b32_e32 v2, 7, v2
	v_cndmask_b32_e32 v1, v4, v1, vcc
	v_bfrev_b32_e32 v3, 60
	v_cndmask_b32_e32 v2, v52, v2, vcc
	v_lshlrev_b32_e32 v0, 16, v0
	v_lshl_add_u32 v1, v1, 23, v3
	v_and_or_b32 v0, v0, s25, v1
	v_lshlrev_b32_e32 v1, 20, v2
	v_mov_b32_e32 v52, v59
	v_or_b32_e32 v1, v0, v1
	v_mov_b32_e32 v0, v53
	buffer_store_dword v0, off, s[0:3], s32 offset:316 ; 4-byte Folded Spill
	s_nop 0
	buffer_store_dword v1, off, s[0:3], s32 offset:320 ; 4-byte Folded Spill
.LBB255_104:                            ;   in Loop: Header=BB255_10 Depth=1
	s_or_b64 exec, exec, s[38:39]
.LBB255_105:                            ;   in Loop: Header=BB255_10 Depth=1
	s_or_b64 exec, exec, s[36:37]
.LBB255_106:                            ;   in Loop: Header=BB255_10 Depth=1
	s_or_b64 exec, exec, s[34:35]
	flat_load_ushort v1, v[56:57] offset:1024
	v_pk_mov_b32 v[2:3], 0, 0
	buffer_store_dword v2, off, s[0:3], s32 offset:332 ; 4-byte Folded Spill
	s_nop 0
	buffer_store_dword v3, off, s[0:3], s32 offset:336 ; 4-byte Folded Spill
	buffer_store_dword v2, off, s[0:3], s32 offset:324 ; 4-byte Folded Spill
	s_nop 0
	buffer_store_dword v3, off, s[0:3], s32 offset:328 ; 4-byte Folded Spill
	s_waitcnt vmcnt(0) lgkmcnt(0)
	v_and_b32_e32 v0, 0xffff, v1
	v_cmp_ne_u16_sdwa vcc, v1, v53 src0_sel:BYTE_0 src1_sel:DWORD
	s_and_saveexec_b64 s[34:35], vcc
	s_cbranch_execz .LBB255_112
; %bb.107:                              ;   in Loop: Header=BB255_10 Depth=1
	v_bfrev_b32_e32 v2, 1
	v_cmp_ne_u16_sdwa vcc, v0, s19 src0_sel:BYTE_0 src1_sel:DWORD
	v_mov_b32_e32 v3, 0
	buffer_store_dword v2, off, s[0:3], s32 offset:324 ; 4-byte Folded Spill
	s_nop 0
	buffer_store_dword v3, off, s[0:3], s32 offset:328 ; 4-byte Folded Spill
	s_and_saveexec_b64 s[36:37], vcc
	s_cbranch_execz .LBB255_111
; %bb.108:                              ;   in Loop: Header=BB255_10 Depth=1
	v_and_b32_e32 v1, 0x7f, v0
	v_mov_b32_e32 v2, 0x7f800001
	v_cmp_ne_u32_e32 vcc, s41, v1
	v_mov_b32_e32 v3, 0
	buffer_store_dword v2, off, s[0:3], s32 offset:324 ; 4-byte Folded Spill
	s_nop 0
	buffer_store_dword v3, off, s[0:3], s32 offset:328 ; 4-byte Folded Spill
	s_and_saveexec_b64 s[38:39], vcc
	s_cbranch_execz .LBB255_110
; %bb.109:                              ;   in Loop: Header=BB255_10 Depth=1
	v_and_b32_e32 v4, 7, v0
	v_lshrrev_b32_e32 v5, 3, v1
	v_cmp_gt_u32_e32 vcc, 8, v1
	v_ffbh_u32_e32 v1, v4
	v_min_u32_e32 v1, 32, v1
	v_subrev_u32_e32 v2, 28, v1
	v_lshlrev_b64 v[2:3], v2, v[0:1]
	v_sub_u32_e32 v1, 29, v1
	v_and_b32_e32 v2, 7, v2
	v_cndmask_b32_e32 v1, v5, v1, vcc
	v_cndmask_b32_e32 v2, v4, v2, vcc
	v_bfrev_b32_e32 v4, 60
	v_lshlrev_b32_e32 v2, 20, v2
	v_and_b32_sdwa v3, sext(v0), s25 dst_sel:DWORD dst_unused:UNUSED_PAD src0_sel:BYTE_0 src1_sel:DWORD
	v_lshl_add_u32 v1, v1, 23, v4
	v_or3_b32 v52, v3, v1, v2
	buffer_store_dword v52, off, s[0:3], s32 offset:324 ; 4-byte Folded Spill
	s_nop 0
	buffer_store_dword v53, off, s[0:3], s32 offset:328 ; 4-byte Folded Spill
	v_mov_b32_e32 v52, v59
.LBB255_110:                            ;   in Loop: Header=BB255_10 Depth=1
	s_or_b64 exec, exec, s[38:39]
.LBB255_111:                            ;   in Loop: Header=BB255_10 Depth=1
	s_or_b64 exec, exec, s[36:37]
.LBB255_112:                            ;   in Loop: Header=BB255_10 Depth=1
	s_or_b64 exec, exec, s[34:35]
	v_cmp_ne_u16_sdwa vcc, v0, v53 src0_sel:BYTE_1 src1_sel:DWORD
	s_and_saveexec_b64 s[34:35], vcc
	s_cbranch_execz .LBB255_118
; %bb.113:                              ;   in Loop: Header=BB255_10 Depth=1
	v_cmp_ne_u16_sdwa vcc, v0, s19 src0_sel:BYTE_1 src1_sel:DWORD
	v_pk_mov_b32 v[2:3], s[24:25], s[24:25] op_sel:[0,1]
	buffer_store_dword v2, off, s[0:3], s32 offset:332 ; 4-byte Folded Spill
	s_nop 0
	buffer_store_dword v3, off, s[0:3], s32 offset:336 ; 4-byte Folded Spill
	s_and_saveexec_b64 s[36:37], vcc
	s_cbranch_execz .LBB255_117
; %bb.114:                              ;   in Loop: Header=BB255_10 Depth=1
	v_and_b32_sdwa v1, v0, s41 dst_sel:DWORD dst_unused:UNUSED_PAD src0_sel:BYTE_1 src1_sel:DWORD
	s_mov_b32 s30, s24
	v_cmp_ne_u32_e32 vcc, s41, v1
	v_pk_mov_b32 v[2:3], s[30:31], s[30:31] op_sel:[0,1]
	buffer_store_dword v2, off, s[0:3], s32 offset:332 ; 4-byte Folded Spill
	s_nop 0
	buffer_store_dword v3, off, s[0:3], s32 offset:336 ; 4-byte Folded Spill
	s_and_saveexec_b64 s[38:39], vcc
	s_cbranch_execz .LBB255_116
; %bb.115:                              ;   in Loop: Header=BB255_10 Depth=1
	v_mov_b32_e32 v2, 7
	v_and_b32_sdwa v52, v0, v2 dst_sel:DWORD dst_unused:UNUSED_PAD src0_sel:BYTE_1 src1_sel:DWORD
	v_lshrrev_b32_e32 v4, 3, v1
	v_cmp_gt_u32_e32 vcc, 8, v1
	v_ffbh_u32_e32 v1, v52
	v_min_u32_e32 v1, 32, v1
	v_subrev_u32_e32 v2, 28, v1
	v_lshlrev_b64 v[2:3], v2, v[52:53]
	v_sub_u32_e32 v1, 29, v1
	v_and_b32_e32 v2, 7, v2
	v_cndmask_b32_e32 v1, v4, v1, vcc
	v_bfrev_b32_e32 v3, 60
	v_cndmask_b32_e32 v2, v52, v2, vcc
	v_lshlrev_b32_e32 v0, 16, v0
	v_lshl_add_u32 v1, v1, 23, v3
	v_and_or_b32 v0, v0, s25, v1
	v_lshlrev_b32_e32 v1, 20, v2
	v_mov_b32_e32 v52, v59
	v_or_b32_e32 v1, v0, v1
	v_mov_b32_e32 v0, v53
	buffer_store_dword v0, off, s[0:3], s32 offset:332 ; 4-byte Folded Spill
	s_nop 0
	buffer_store_dword v1, off, s[0:3], s32 offset:336 ; 4-byte Folded Spill
.LBB255_116:                            ;   in Loop: Header=BB255_10 Depth=1
	s_or_b64 exec, exec, s[38:39]
.LBB255_117:                            ;   in Loop: Header=BB255_10 Depth=1
	s_or_b64 exec, exec, s[36:37]
.LBB255_118:                            ;   in Loop: Header=BB255_10 Depth=1
	s_or_b64 exec, exec, s[34:35]
	flat_load_ushort v1, v[56:57] offset:1028
	v_pk_mov_b32 v[2:3], 0, 0
	buffer_store_dword v2, off, s[0:3], s32 offset:348 ; 4-byte Folded Spill
	s_nop 0
	buffer_store_dword v3, off, s[0:3], s32 offset:352 ; 4-byte Folded Spill
	buffer_store_dword v2, off, s[0:3], s32 offset:340 ; 4-byte Folded Spill
	s_nop 0
	buffer_store_dword v3, off, s[0:3], s32 offset:344 ; 4-byte Folded Spill
	s_waitcnt vmcnt(0) lgkmcnt(0)
	v_and_b32_e32 v0, 0xffff, v1
	v_cmp_ne_u16_sdwa vcc, v1, v53 src0_sel:BYTE_0 src1_sel:DWORD
	s_and_saveexec_b64 s[34:35], vcc
	s_cbranch_execz .LBB255_124
; %bb.119:                              ;   in Loop: Header=BB255_10 Depth=1
	v_bfrev_b32_e32 v2, 1
	v_cmp_ne_u16_sdwa vcc, v0, s19 src0_sel:BYTE_0 src1_sel:DWORD
	v_mov_b32_e32 v3, 0
	buffer_store_dword v2, off, s[0:3], s32 offset:340 ; 4-byte Folded Spill
	s_nop 0
	buffer_store_dword v3, off, s[0:3], s32 offset:344 ; 4-byte Folded Spill
	s_and_saveexec_b64 s[36:37], vcc
	s_cbranch_execz .LBB255_123
; %bb.120:                              ;   in Loop: Header=BB255_10 Depth=1
	v_and_b32_e32 v1, 0x7f, v0
	v_mov_b32_e32 v2, 0x7f800001
	v_cmp_ne_u32_e32 vcc, s41, v1
	v_mov_b32_e32 v3, 0
	buffer_store_dword v2, off, s[0:3], s32 offset:340 ; 4-byte Folded Spill
	s_nop 0
	buffer_store_dword v3, off, s[0:3], s32 offset:344 ; 4-byte Folded Spill
	s_and_saveexec_b64 s[38:39], vcc
	s_cbranch_execz .LBB255_122
; %bb.121:                              ;   in Loop: Header=BB255_10 Depth=1
	v_and_b32_e32 v4, 7, v0
	v_lshrrev_b32_e32 v5, 3, v1
	v_cmp_gt_u32_e32 vcc, 8, v1
	v_ffbh_u32_e32 v1, v4
	v_min_u32_e32 v1, 32, v1
	v_subrev_u32_e32 v2, 28, v1
	v_lshlrev_b64 v[2:3], v2, v[0:1]
	v_sub_u32_e32 v1, 29, v1
	v_and_b32_e32 v2, 7, v2
	v_cndmask_b32_e32 v1, v5, v1, vcc
	v_cndmask_b32_e32 v2, v4, v2, vcc
	v_bfrev_b32_e32 v4, 60
	v_lshlrev_b32_e32 v2, 20, v2
	v_and_b32_sdwa v3, sext(v0), s25 dst_sel:DWORD dst_unused:UNUSED_PAD src0_sel:BYTE_0 src1_sel:DWORD
	v_lshl_add_u32 v1, v1, 23, v4
	v_or3_b32 v52, v3, v1, v2
	buffer_store_dword v52, off, s[0:3], s32 offset:340 ; 4-byte Folded Spill
	s_nop 0
	buffer_store_dword v53, off, s[0:3], s32 offset:344 ; 4-byte Folded Spill
	v_mov_b32_e32 v52, v59
.LBB255_122:                            ;   in Loop: Header=BB255_10 Depth=1
	s_or_b64 exec, exec, s[38:39]
.LBB255_123:                            ;   in Loop: Header=BB255_10 Depth=1
	s_or_b64 exec, exec, s[36:37]
.LBB255_124:                            ;   in Loop: Header=BB255_10 Depth=1
	s_or_b64 exec, exec, s[34:35]
	v_cmp_ne_u16_sdwa vcc, v0, v53 src0_sel:BYTE_1 src1_sel:DWORD
	s_and_saveexec_b64 s[34:35], vcc
	s_cbranch_execz .LBB255_130
; %bb.125:                              ;   in Loop: Header=BB255_10 Depth=1
	v_cmp_ne_u16_sdwa vcc, v0, s19 src0_sel:BYTE_1 src1_sel:DWORD
	v_pk_mov_b32 v[2:3], s[24:25], s[24:25] op_sel:[0,1]
	buffer_store_dword v2, off, s[0:3], s32 offset:348 ; 4-byte Folded Spill
	s_nop 0
	buffer_store_dword v3, off, s[0:3], s32 offset:352 ; 4-byte Folded Spill
	s_and_saveexec_b64 s[36:37], vcc
	s_cbranch_execz .LBB255_129
; %bb.126:                              ;   in Loop: Header=BB255_10 Depth=1
	v_and_b32_sdwa v1, v0, s41 dst_sel:DWORD dst_unused:UNUSED_PAD src0_sel:BYTE_1 src1_sel:DWORD
	s_mov_b32 s30, s24
	v_cmp_ne_u32_e32 vcc, s41, v1
	v_pk_mov_b32 v[2:3], s[30:31], s[30:31] op_sel:[0,1]
	buffer_store_dword v2, off, s[0:3], s32 offset:348 ; 4-byte Folded Spill
	s_nop 0
	buffer_store_dword v3, off, s[0:3], s32 offset:352 ; 4-byte Folded Spill
	s_and_saveexec_b64 s[38:39], vcc
	s_cbranch_execz .LBB255_128
; %bb.127:                              ;   in Loop: Header=BB255_10 Depth=1
	v_mov_b32_e32 v2, 7
	v_and_b32_sdwa v52, v0, v2 dst_sel:DWORD dst_unused:UNUSED_PAD src0_sel:BYTE_1 src1_sel:DWORD
	v_lshrrev_b32_e32 v4, 3, v1
	v_cmp_gt_u32_e32 vcc, 8, v1
	v_ffbh_u32_e32 v1, v52
	v_min_u32_e32 v1, 32, v1
	v_subrev_u32_e32 v2, 28, v1
	v_lshlrev_b64 v[2:3], v2, v[52:53]
	v_sub_u32_e32 v1, 29, v1
	v_and_b32_e32 v2, 7, v2
	v_cndmask_b32_e32 v1, v4, v1, vcc
	v_bfrev_b32_e32 v3, 60
	v_cndmask_b32_e32 v2, v52, v2, vcc
	v_lshlrev_b32_e32 v0, 16, v0
	v_lshl_add_u32 v1, v1, 23, v3
	v_and_or_b32 v0, v0, s25, v1
	v_lshlrev_b32_e32 v1, 20, v2
	v_mov_b32_e32 v52, v59
	v_or_b32_e32 v1, v0, v1
	v_mov_b32_e32 v0, v53
	buffer_store_dword v0, off, s[0:3], s32 offset:348 ; 4-byte Folded Spill
	s_nop 0
	buffer_store_dword v1, off, s[0:3], s32 offset:352 ; 4-byte Folded Spill
.LBB255_128:                            ;   in Loop: Header=BB255_10 Depth=1
	s_or_b64 exec, exec, s[38:39]
.LBB255_129:                            ;   in Loop: Header=BB255_10 Depth=1
	s_or_b64 exec, exec, s[36:37]
.LBB255_130:                            ;   in Loop: Header=BB255_10 Depth=1
	s_or_b64 exec, exec, s[34:35]
	v_add_co_u32_e32 v0, vcc, 0x400, v56
	v_addc_co_u32_e32 v1, vcc, 0, v57, vcc
	flat_load_ushort v3, v[0:1] offset:8
	v_pk_mov_b32 v[4:5], 0, 0
	buffer_store_dword v4, off, s[0:3], s32 offset:364 ; 4-byte Folded Spill
	s_nop 0
	buffer_store_dword v5, off, s[0:3], s32 offset:368 ; 4-byte Folded Spill
	buffer_store_dword v4, off, s[0:3], s32 offset:356 ; 4-byte Folded Spill
	s_nop 0
	buffer_store_dword v5, off, s[0:3], s32 offset:360 ; 4-byte Folded Spill
	s_waitcnt vmcnt(0) lgkmcnt(0)
	v_and_b32_e32 v2, 0xffff, v3
	v_cmp_ne_u16_sdwa vcc, v3, v53 src0_sel:BYTE_0 src1_sel:DWORD
	s_and_saveexec_b64 s[34:35], vcc
	s_cbranch_execz .LBB255_136
; %bb.131:                              ;   in Loop: Header=BB255_10 Depth=1
	v_bfrev_b32_e32 v4, 1
	v_cmp_ne_u16_sdwa vcc, v2, s19 src0_sel:BYTE_0 src1_sel:DWORD
	v_mov_b32_e32 v5, 0
	buffer_store_dword v4, off, s[0:3], s32 offset:356 ; 4-byte Folded Spill
	s_nop 0
	buffer_store_dword v5, off, s[0:3], s32 offset:360 ; 4-byte Folded Spill
	s_and_saveexec_b64 s[36:37], vcc
	s_cbranch_execz .LBB255_135
; %bb.132:                              ;   in Loop: Header=BB255_10 Depth=1
	v_and_b32_e32 v3, 0x7f, v2
	v_mov_b32_e32 v4, 0x7f800001
	v_cmp_ne_u32_e32 vcc, s41, v3
	v_mov_b32_e32 v5, 0
	buffer_store_dword v4, off, s[0:3], s32 offset:356 ; 4-byte Folded Spill
	s_nop 0
	buffer_store_dword v5, off, s[0:3], s32 offset:360 ; 4-byte Folded Spill
	s_and_saveexec_b64 s[38:39], vcc
	s_cbranch_execz .LBB255_134
; %bb.133:                              ;   in Loop: Header=BB255_10 Depth=1
	v_and_b32_e32 v6, 7, v2
	v_lshrrev_b32_e32 v7, 3, v3
	v_cmp_gt_u32_e32 vcc, 8, v3
	v_ffbh_u32_e32 v3, v6
	v_min_u32_e32 v3, 32, v3
	v_subrev_u32_e32 v4, 28, v3
	v_lshlrev_b64 v[4:5], v4, v[2:3]
	v_sub_u32_e32 v3, 29, v3
	v_and_b32_e32 v4, 7, v4
	v_cndmask_b32_e32 v3, v7, v3, vcc
	v_cndmask_b32_e32 v4, v6, v4, vcc
	v_bfrev_b32_e32 v6, 60
	v_lshlrev_b32_e32 v4, 20, v4
	v_and_b32_sdwa v5, sext(v2), s25 dst_sel:DWORD dst_unused:UNUSED_PAD src0_sel:BYTE_0 src1_sel:DWORD
	v_lshl_add_u32 v3, v3, 23, v6
	v_or3_b32 v52, v5, v3, v4
	buffer_store_dword v52, off, s[0:3], s32 offset:356 ; 4-byte Folded Spill
	s_nop 0
	buffer_store_dword v53, off, s[0:3], s32 offset:360 ; 4-byte Folded Spill
	v_mov_b32_e32 v52, v59
.LBB255_134:                            ;   in Loop: Header=BB255_10 Depth=1
	s_or_b64 exec, exec, s[38:39]
.LBB255_135:                            ;   in Loop: Header=BB255_10 Depth=1
	s_or_b64 exec, exec, s[36:37]
.LBB255_136:                            ;   in Loop: Header=BB255_10 Depth=1
	s_or_b64 exec, exec, s[34:35]
	v_cmp_ne_u16_sdwa vcc, v2, v53 src0_sel:BYTE_1 src1_sel:DWORD
	s_and_saveexec_b64 s[34:35], vcc
	s_cbranch_execz .LBB255_142
; %bb.137:                              ;   in Loop: Header=BB255_10 Depth=1
	v_cmp_ne_u16_sdwa vcc, v2, s19 src0_sel:BYTE_1 src1_sel:DWORD
	v_pk_mov_b32 v[4:5], s[24:25], s[24:25] op_sel:[0,1]
	buffer_store_dword v4, off, s[0:3], s32 offset:364 ; 4-byte Folded Spill
	s_nop 0
	buffer_store_dword v5, off, s[0:3], s32 offset:368 ; 4-byte Folded Spill
	s_and_saveexec_b64 s[36:37], vcc
	s_cbranch_execz .LBB255_141
; %bb.138:                              ;   in Loop: Header=BB255_10 Depth=1
	v_and_b32_sdwa v3, v2, s41 dst_sel:DWORD dst_unused:UNUSED_PAD src0_sel:BYTE_1 src1_sel:DWORD
	s_mov_b32 s30, s24
	v_cmp_ne_u32_e32 vcc, s41, v3
	v_pk_mov_b32 v[4:5], s[30:31], s[30:31] op_sel:[0,1]
	buffer_store_dword v4, off, s[0:3], s32 offset:364 ; 4-byte Folded Spill
	s_nop 0
	buffer_store_dword v5, off, s[0:3], s32 offset:368 ; 4-byte Folded Spill
	s_and_saveexec_b64 s[38:39], vcc
	s_cbranch_execz .LBB255_140
; %bb.139:                              ;   in Loop: Header=BB255_10 Depth=1
	v_mov_b32_e32 v4, 7
	v_and_b32_sdwa v52, v2, v4 dst_sel:DWORD dst_unused:UNUSED_PAD src0_sel:BYTE_1 src1_sel:DWORD
	v_lshrrev_b32_e32 v6, 3, v3
	v_cmp_gt_u32_e32 vcc, 8, v3
	v_ffbh_u32_e32 v3, v52
	v_min_u32_e32 v3, 32, v3
	v_subrev_u32_e32 v4, 28, v3
	v_lshlrev_b64 v[4:5], v4, v[52:53]
	v_sub_u32_e32 v3, 29, v3
	v_and_b32_e32 v4, 7, v4
	v_cndmask_b32_e32 v3, v6, v3, vcc
	v_bfrev_b32_e32 v5, 60
	v_cndmask_b32_e32 v4, v52, v4, vcc
	v_lshlrev_b32_e32 v2, 16, v2
	v_lshl_add_u32 v3, v3, 23, v5
	v_and_or_b32 v2, v2, s25, v3
	v_lshlrev_b32_e32 v3, 20, v4
	v_mov_b32_e32 v52, v59
	v_or_b32_e32 v3, v2, v3
	v_mov_b32_e32 v2, v53
	buffer_store_dword v2, off, s[0:3], s32 offset:364 ; 4-byte Folded Spill
	s_nop 0
	buffer_store_dword v3, off, s[0:3], s32 offset:368 ; 4-byte Folded Spill
.LBB255_140:                            ;   in Loop: Header=BB255_10 Depth=1
	s_or_b64 exec, exec, s[38:39]
.LBB255_141:                            ;   in Loop: Header=BB255_10 Depth=1
	s_or_b64 exec, exec, s[36:37]
.LBB255_142:                            ;   in Loop: Header=BB255_10 Depth=1
	s_or_b64 exec, exec, s[34:35]
	flat_load_ushort v1, v[0:1] offset:12
	v_pk_mov_b32 v[2:3], 0, 0
	buffer_store_dword v2, off, s[0:3], s32 offset:380 ; 4-byte Folded Spill
	s_nop 0
	buffer_store_dword v3, off, s[0:3], s32 offset:384 ; 4-byte Folded Spill
	buffer_store_dword v2, off, s[0:3], s32 offset:372 ; 4-byte Folded Spill
	s_nop 0
	buffer_store_dword v3, off, s[0:3], s32 offset:376 ; 4-byte Folded Spill
	s_waitcnt vmcnt(0) lgkmcnt(0)
	v_and_b32_e32 v0, 0xffff, v1
	v_cmp_ne_u16_sdwa vcc, v1, v53 src0_sel:BYTE_0 src1_sel:DWORD
	s_and_saveexec_b64 s[34:35], vcc
	s_cbranch_execz .LBB255_148
; %bb.143:                              ;   in Loop: Header=BB255_10 Depth=1
	v_bfrev_b32_e32 v2, 1
	v_cmp_ne_u16_sdwa vcc, v0, s19 src0_sel:BYTE_0 src1_sel:DWORD
	v_mov_b32_e32 v3, 0
	buffer_store_dword v2, off, s[0:3], s32 offset:372 ; 4-byte Folded Spill
	s_nop 0
	buffer_store_dword v3, off, s[0:3], s32 offset:376 ; 4-byte Folded Spill
	s_and_saveexec_b64 s[36:37], vcc
	s_cbranch_execz .LBB255_147
; %bb.144:                              ;   in Loop: Header=BB255_10 Depth=1
	v_and_b32_e32 v1, 0x7f, v0
	v_mov_b32_e32 v2, 0x7f800001
	v_cmp_ne_u32_e32 vcc, s41, v1
	v_mov_b32_e32 v3, 0
	buffer_store_dword v2, off, s[0:3], s32 offset:372 ; 4-byte Folded Spill
	s_nop 0
	buffer_store_dword v3, off, s[0:3], s32 offset:376 ; 4-byte Folded Spill
	s_and_saveexec_b64 s[38:39], vcc
	s_cbranch_execz .LBB255_146
; %bb.145:                              ;   in Loop: Header=BB255_10 Depth=1
	v_and_b32_e32 v4, 7, v0
	v_lshrrev_b32_e32 v5, 3, v1
	v_cmp_gt_u32_e32 vcc, 8, v1
	v_ffbh_u32_e32 v1, v4
	v_min_u32_e32 v1, 32, v1
	v_subrev_u32_e32 v2, 28, v1
	v_lshlrev_b64 v[2:3], v2, v[0:1]
	v_sub_u32_e32 v1, 29, v1
	v_and_b32_e32 v2, 7, v2
	v_cndmask_b32_e32 v1, v5, v1, vcc
	v_cndmask_b32_e32 v2, v4, v2, vcc
	v_bfrev_b32_e32 v4, 60
	v_lshlrev_b32_e32 v2, 20, v2
	v_and_b32_sdwa v3, sext(v0), s25 dst_sel:DWORD dst_unused:UNUSED_PAD src0_sel:BYTE_0 src1_sel:DWORD
	v_lshl_add_u32 v1, v1, 23, v4
	v_or3_b32 v52, v3, v1, v2
	buffer_store_dword v52, off, s[0:3], s32 offset:372 ; 4-byte Folded Spill
	s_nop 0
	buffer_store_dword v53, off, s[0:3], s32 offset:376 ; 4-byte Folded Spill
	v_mov_b32_e32 v52, v59
.LBB255_146:                            ;   in Loop: Header=BB255_10 Depth=1
	s_or_b64 exec, exec, s[38:39]
.LBB255_147:                            ;   in Loop: Header=BB255_10 Depth=1
	s_or_b64 exec, exec, s[36:37]
.LBB255_148:                            ;   in Loop: Header=BB255_10 Depth=1
	s_or_b64 exec, exec, s[34:35]
	v_cmp_ne_u16_sdwa vcc, v0, v53 src0_sel:BYTE_1 src1_sel:DWORD
	s_and_saveexec_b64 s[34:35], vcc
	s_cbranch_execz .LBB255_154
; %bb.149:                              ;   in Loop: Header=BB255_10 Depth=1
	v_cmp_ne_u16_sdwa vcc, v0, s19 src0_sel:BYTE_1 src1_sel:DWORD
	v_pk_mov_b32 v[2:3], s[24:25], s[24:25] op_sel:[0,1]
	buffer_store_dword v2, off, s[0:3], s32 offset:380 ; 4-byte Folded Spill
	s_nop 0
	buffer_store_dword v3, off, s[0:3], s32 offset:384 ; 4-byte Folded Spill
	s_and_saveexec_b64 s[36:37], vcc
	s_cbranch_execz .LBB255_153
; %bb.150:                              ;   in Loop: Header=BB255_10 Depth=1
	v_and_b32_sdwa v1, v0, s41 dst_sel:DWORD dst_unused:UNUSED_PAD src0_sel:BYTE_1 src1_sel:DWORD
	s_mov_b32 s30, s24
	v_cmp_ne_u32_e32 vcc, s41, v1
	v_pk_mov_b32 v[2:3], s[30:31], s[30:31] op_sel:[0,1]
	buffer_store_dword v2, off, s[0:3], s32 offset:380 ; 4-byte Folded Spill
	s_nop 0
	buffer_store_dword v3, off, s[0:3], s32 offset:384 ; 4-byte Folded Spill
	s_and_saveexec_b64 s[38:39], vcc
	s_cbranch_execz .LBB255_152
; %bb.151:                              ;   in Loop: Header=BB255_10 Depth=1
	v_mov_b32_e32 v2, 7
	v_and_b32_sdwa v52, v0, v2 dst_sel:DWORD dst_unused:UNUSED_PAD src0_sel:BYTE_1 src1_sel:DWORD
	v_lshrrev_b32_e32 v4, 3, v1
	v_cmp_gt_u32_e32 vcc, 8, v1
	v_ffbh_u32_e32 v1, v52
	v_min_u32_e32 v1, 32, v1
	v_subrev_u32_e32 v2, 28, v1
	v_lshlrev_b64 v[2:3], v2, v[52:53]
	v_sub_u32_e32 v1, 29, v1
	v_and_b32_e32 v2, 7, v2
	v_cndmask_b32_e32 v1, v4, v1, vcc
	v_bfrev_b32_e32 v3, 60
	v_cndmask_b32_e32 v2, v52, v2, vcc
	v_lshlrev_b32_e32 v0, 16, v0
	v_lshl_add_u32 v1, v1, 23, v3
	v_and_or_b32 v0, v0, s25, v1
	v_lshlrev_b32_e32 v1, 20, v2
	v_mov_b32_e32 v52, v59
	v_or_b32_e32 v1, v0, v1
	v_mov_b32_e32 v0, v53
	buffer_store_dword v0, off, s[0:3], s32 offset:380 ; 4-byte Folded Spill
	s_nop 0
	buffer_store_dword v1, off, s[0:3], s32 offset:384 ; 4-byte Folded Spill
.LBB255_152:                            ;   in Loop: Header=BB255_10 Depth=1
	s_or_b64 exec, exec, s[38:39]
.LBB255_153:                            ;   in Loop: Header=BB255_10 Depth=1
	s_or_b64 exec, exec, s[36:37]
.LBB255_154:                            ;   in Loop: Header=BB255_10 Depth=1
	s_or_b64 exec, exec, s[34:35]
	flat_load_ushort v1, v[56:57] offset:1536
	v_pk_mov_b32 v[2:3], 0, 0
	buffer_store_dword v2, off, s[0:3], s32 offset:396 ; 4-byte Folded Spill
	s_nop 0
	buffer_store_dword v3, off, s[0:3], s32 offset:400 ; 4-byte Folded Spill
	buffer_store_dword v2, off, s[0:3], s32 offset:388 ; 4-byte Folded Spill
	s_nop 0
	buffer_store_dword v3, off, s[0:3], s32 offset:392 ; 4-byte Folded Spill
	s_waitcnt vmcnt(0) lgkmcnt(0)
	v_and_b32_e32 v0, 0xffff, v1
	v_cmp_ne_u16_sdwa vcc, v1, v53 src0_sel:BYTE_0 src1_sel:DWORD
	s_and_saveexec_b64 s[34:35], vcc
	s_cbranch_execz .LBB255_160
; %bb.155:                              ;   in Loop: Header=BB255_10 Depth=1
	v_bfrev_b32_e32 v2, 1
	v_cmp_ne_u16_sdwa vcc, v0, s19 src0_sel:BYTE_0 src1_sel:DWORD
	v_mov_b32_e32 v3, 0
	buffer_store_dword v2, off, s[0:3], s32 offset:388 ; 4-byte Folded Spill
	s_nop 0
	buffer_store_dword v3, off, s[0:3], s32 offset:392 ; 4-byte Folded Spill
	s_and_saveexec_b64 s[36:37], vcc
	s_cbranch_execz .LBB255_159
; %bb.156:                              ;   in Loop: Header=BB255_10 Depth=1
	v_and_b32_e32 v1, 0x7f, v0
	v_mov_b32_e32 v2, 0x7f800001
	v_cmp_ne_u32_e32 vcc, s41, v1
	v_mov_b32_e32 v3, 0
	buffer_store_dword v2, off, s[0:3], s32 offset:388 ; 4-byte Folded Spill
	s_nop 0
	buffer_store_dword v3, off, s[0:3], s32 offset:392 ; 4-byte Folded Spill
	s_and_saveexec_b64 s[38:39], vcc
	s_cbranch_execz .LBB255_158
; %bb.157:                              ;   in Loop: Header=BB255_10 Depth=1
	v_and_b32_e32 v4, 7, v0
	v_lshrrev_b32_e32 v5, 3, v1
	v_cmp_gt_u32_e32 vcc, 8, v1
	v_ffbh_u32_e32 v1, v4
	v_min_u32_e32 v1, 32, v1
	v_subrev_u32_e32 v2, 28, v1
	v_lshlrev_b64 v[2:3], v2, v[0:1]
	v_sub_u32_e32 v1, 29, v1
	v_and_b32_e32 v2, 7, v2
	v_cndmask_b32_e32 v1, v5, v1, vcc
	v_cndmask_b32_e32 v2, v4, v2, vcc
	v_bfrev_b32_e32 v4, 60
	v_lshlrev_b32_e32 v2, 20, v2
	v_and_b32_sdwa v3, sext(v0), s25 dst_sel:DWORD dst_unused:UNUSED_PAD src0_sel:BYTE_0 src1_sel:DWORD
	v_lshl_add_u32 v1, v1, 23, v4
	v_or3_b32 v52, v3, v1, v2
	buffer_store_dword v52, off, s[0:3], s32 offset:388 ; 4-byte Folded Spill
	s_nop 0
	buffer_store_dword v53, off, s[0:3], s32 offset:392 ; 4-byte Folded Spill
	v_mov_b32_e32 v52, v59
.LBB255_158:                            ;   in Loop: Header=BB255_10 Depth=1
	s_or_b64 exec, exec, s[38:39]
.LBB255_159:                            ;   in Loop: Header=BB255_10 Depth=1
	s_or_b64 exec, exec, s[36:37]
.LBB255_160:                            ;   in Loop: Header=BB255_10 Depth=1
	s_or_b64 exec, exec, s[34:35]
	v_cmp_ne_u16_sdwa vcc, v0, v53 src0_sel:BYTE_1 src1_sel:DWORD
	s_and_saveexec_b64 s[34:35], vcc
	s_cbranch_execz .LBB255_166
; %bb.161:                              ;   in Loop: Header=BB255_10 Depth=1
	v_cmp_ne_u16_sdwa vcc, v0, s19 src0_sel:BYTE_1 src1_sel:DWORD
	v_pk_mov_b32 v[2:3], s[24:25], s[24:25] op_sel:[0,1]
	buffer_store_dword v2, off, s[0:3], s32 offset:396 ; 4-byte Folded Spill
	s_nop 0
	buffer_store_dword v3, off, s[0:3], s32 offset:400 ; 4-byte Folded Spill
	s_and_saveexec_b64 s[36:37], vcc
	s_cbranch_execz .LBB255_165
; %bb.162:                              ;   in Loop: Header=BB255_10 Depth=1
	v_and_b32_sdwa v1, v0, s41 dst_sel:DWORD dst_unused:UNUSED_PAD src0_sel:BYTE_1 src1_sel:DWORD
	s_mov_b32 s30, s24
	v_cmp_ne_u32_e32 vcc, s41, v1
	v_pk_mov_b32 v[2:3], s[30:31], s[30:31] op_sel:[0,1]
	buffer_store_dword v2, off, s[0:3], s32 offset:396 ; 4-byte Folded Spill
	s_nop 0
	buffer_store_dword v3, off, s[0:3], s32 offset:400 ; 4-byte Folded Spill
	s_and_saveexec_b64 s[38:39], vcc
	s_cbranch_execz .LBB255_164
; %bb.163:                              ;   in Loop: Header=BB255_10 Depth=1
	v_mov_b32_e32 v2, 7
	v_and_b32_sdwa v52, v0, v2 dst_sel:DWORD dst_unused:UNUSED_PAD src0_sel:BYTE_1 src1_sel:DWORD
	v_lshrrev_b32_e32 v4, 3, v1
	v_cmp_gt_u32_e32 vcc, 8, v1
	v_ffbh_u32_e32 v1, v52
	v_min_u32_e32 v1, 32, v1
	v_subrev_u32_e32 v2, 28, v1
	v_lshlrev_b64 v[2:3], v2, v[52:53]
	v_sub_u32_e32 v1, 29, v1
	v_and_b32_e32 v2, 7, v2
	v_cndmask_b32_e32 v1, v4, v1, vcc
	v_bfrev_b32_e32 v3, 60
	v_cndmask_b32_e32 v2, v52, v2, vcc
	v_lshlrev_b32_e32 v0, 16, v0
	v_lshl_add_u32 v1, v1, 23, v3
	v_and_or_b32 v0, v0, s25, v1
	v_lshlrev_b32_e32 v1, 20, v2
	v_mov_b32_e32 v52, v59
	v_or_b32_e32 v1, v0, v1
	v_mov_b32_e32 v0, v53
	buffer_store_dword v0, off, s[0:3], s32 offset:396 ; 4-byte Folded Spill
	s_nop 0
	buffer_store_dword v1, off, s[0:3], s32 offset:400 ; 4-byte Folded Spill
.LBB255_164:                            ;   in Loop: Header=BB255_10 Depth=1
	s_or_b64 exec, exec, s[38:39]
.LBB255_165:                            ;   in Loop: Header=BB255_10 Depth=1
	s_or_b64 exec, exec, s[36:37]
.LBB255_166:                            ;   in Loop: Header=BB255_10 Depth=1
	s_or_b64 exec, exec, s[34:35]
	flat_load_ushort v1, v[56:57] offset:1540
	v_pk_mov_b32 v[2:3], 0, 0
	buffer_store_dword v2, off, s[0:3], s32 offset:412 ; 4-byte Folded Spill
	s_nop 0
	buffer_store_dword v3, off, s[0:3], s32 offset:416 ; 4-byte Folded Spill
	buffer_store_dword v2, off, s[0:3], s32 offset:404 ; 4-byte Folded Spill
	s_nop 0
	buffer_store_dword v3, off, s[0:3], s32 offset:408 ; 4-byte Folded Spill
	s_waitcnt vmcnt(0) lgkmcnt(0)
	v_and_b32_e32 v0, 0xffff, v1
	v_cmp_ne_u16_sdwa vcc, v1, v53 src0_sel:BYTE_0 src1_sel:DWORD
	s_and_saveexec_b64 s[34:35], vcc
	s_cbranch_execz .LBB255_172
; %bb.167:                              ;   in Loop: Header=BB255_10 Depth=1
	v_bfrev_b32_e32 v2, 1
	v_cmp_ne_u16_sdwa vcc, v0, s19 src0_sel:BYTE_0 src1_sel:DWORD
	v_mov_b32_e32 v3, 0
	buffer_store_dword v2, off, s[0:3], s32 offset:404 ; 4-byte Folded Spill
	s_nop 0
	buffer_store_dword v3, off, s[0:3], s32 offset:408 ; 4-byte Folded Spill
	s_and_saveexec_b64 s[36:37], vcc
	s_cbranch_execz .LBB255_171
; %bb.168:                              ;   in Loop: Header=BB255_10 Depth=1
	v_and_b32_e32 v1, 0x7f, v0
	v_mov_b32_e32 v2, 0x7f800001
	v_cmp_ne_u32_e32 vcc, s41, v1
	v_mov_b32_e32 v3, 0
	buffer_store_dword v2, off, s[0:3], s32 offset:404 ; 4-byte Folded Spill
	s_nop 0
	buffer_store_dword v3, off, s[0:3], s32 offset:408 ; 4-byte Folded Spill
	s_and_saveexec_b64 s[38:39], vcc
	s_cbranch_execz .LBB255_170
; %bb.169:                              ;   in Loop: Header=BB255_10 Depth=1
	v_and_b32_e32 v4, 7, v0
	v_lshrrev_b32_e32 v5, 3, v1
	v_cmp_gt_u32_e32 vcc, 8, v1
	v_ffbh_u32_e32 v1, v4
	v_min_u32_e32 v1, 32, v1
	v_subrev_u32_e32 v2, 28, v1
	v_lshlrev_b64 v[2:3], v2, v[0:1]
	v_sub_u32_e32 v1, 29, v1
	v_and_b32_e32 v2, 7, v2
	v_cndmask_b32_e32 v1, v5, v1, vcc
	v_cndmask_b32_e32 v2, v4, v2, vcc
	v_bfrev_b32_e32 v4, 60
	v_lshlrev_b32_e32 v2, 20, v2
	v_and_b32_sdwa v3, sext(v0), s25 dst_sel:DWORD dst_unused:UNUSED_PAD src0_sel:BYTE_0 src1_sel:DWORD
	v_lshl_add_u32 v1, v1, 23, v4
	v_or3_b32 v52, v3, v1, v2
	buffer_store_dword v52, off, s[0:3], s32 offset:404 ; 4-byte Folded Spill
	s_nop 0
	buffer_store_dword v53, off, s[0:3], s32 offset:408 ; 4-byte Folded Spill
	v_mov_b32_e32 v52, v59
.LBB255_170:                            ;   in Loop: Header=BB255_10 Depth=1
	s_or_b64 exec, exec, s[38:39]
.LBB255_171:                            ;   in Loop: Header=BB255_10 Depth=1
	s_or_b64 exec, exec, s[36:37]
.LBB255_172:                            ;   in Loop: Header=BB255_10 Depth=1
	s_or_b64 exec, exec, s[34:35]
	v_cmp_ne_u16_sdwa vcc, v0, v53 src0_sel:BYTE_1 src1_sel:DWORD
	s_and_saveexec_b64 s[34:35], vcc
	s_cbranch_execz .LBB255_178
; %bb.173:                              ;   in Loop: Header=BB255_10 Depth=1
	v_cmp_ne_u16_sdwa vcc, v0, s19 src0_sel:BYTE_1 src1_sel:DWORD
	v_pk_mov_b32 v[2:3], s[24:25], s[24:25] op_sel:[0,1]
	buffer_store_dword v2, off, s[0:3], s32 offset:412 ; 4-byte Folded Spill
	s_nop 0
	buffer_store_dword v3, off, s[0:3], s32 offset:416 ; 4-byte Folded Spill
	s_and_saveexec_b64 s[36:37], vcc
	s_cbranch_execz .LBB255_177
; %bb.174:                              ;   in Loop: Header=BB255_10 Depth=1
	v_and_b32_sdwa v1, v0, s41 dst_sel:DWORD dst_unused:UNUSED_PAD src0_sel:BYTE_1 src1_sel:DWORD
	s_mov_b32 s30, s24
	v_cmp_ne_u32_e32 vcc, s41, v1
	v_pk_mov_b32 v[2:3], s[30:31], s[30:31] op_sel:[0,1]
	buffer_store_dword v2, off, s[0:3], s32 offset:412 ; 4-byte Folded Spill
	s_nop 0
	buffer_store_dword v3, off, s[0:3], s32 offset:416 ; 4-byte Folded Spill
	s_and_saveexec_b64 s[38:39], vcc
	s_cbranch_execz .LBB255_176
; %bb.175:                              ;   in Loop: Header=BB255_10 Depth=1
	v_mov_b32_e32 v2, 7
	v_and_b32_sdwa v52, v0, v2 dst_sel:DWORD dst_unused:UNUSED_PAD src0_sel:BYTE_1 src1_sel:DWORD
	v_lshrrev_b32_e32 v4, 3, v1
	v_cmp_gt_u32_e32 vcc, 8, v1
	v_ffbh_u32_e32 v1, v52
	v_min_u32_e32 v1, 32, v1
	v_subrev_u32_e32 v2, 28, v1
	v_lshlrev_b64 v[2:3], v2, v[52:53]
	v_sub_u32_e32 v1, 29, v1
	v_and_b32_e32 v2, 7, v2
	v_cndmask_b32_e32 v1, v4, v1, vcc
	v_bfrev_b32_e32 v3, 60
	v_cndmask_b32_e32 v2, v52, v2, vcc
	v_lshlrev_b32_e32 v0, 16, v0
	v_lshl_add_u32 v1, v1, 23, v3
	v_and_or_b32 v0, v0, s25, v1
	v_lshlrev_b32_e32 v1, 20, v2
	v_mov_b32_e32 v52, v59
	v_or_b32_e32 v1, v0, v1
	v_mov_b32_e32 v0, v53
	buffer_store_dword v0, off, s[0:3], s32 offset:412 ; 4-byte Folded Spill
	s_nop 0
	buffer_store_dword v1, off, s[0:3], s32 offset:416 ; 4-byte Folded Spill
.LBB255_176:                            ;   in Loop: Header=BB255_10 Depth=1
	s_or_b64 exec, exec, s[38:39]
.LBB255_177:                            ;   in Loop: Header=BB255_10 Depth=1
	s_or_b64 exec, exec, s[36:37]
.LBB255_178:                            ;   in Loop: Header=BB255_10 Depth=1
	s_or_b64 exec, exec, s[34:35]
	v_add_co_u32_e32 v0, vcc, 0x600, v56
	v_addc_co_u32_e32 v1, vcc, 0, v57, vcc
	flat_load_ushort v3, v[0:1] offset:8
	v_pk_mov_b32 v[4:5], 0, 0
	buffer_store_dword v4, off, s[0:3], s32 offset:428 ; 4-byte Folded Spill
	s_nop 0
	buffer_store_dword v5, off, s[0:3], s32 offset:432 ; 4-byte Folded Spill
	buffer_store_dword v4, off, s[0:3], s32 offset:420 ; 4-byte Folded Spill
	s_nop 0
	buffer_store_dword v5, off, s[0:3], s32 offset:424 ; 4-byte Folded Spill
	s_waitcnt vmcnt(0) lgkmcnt(0)
	v_and_b32_e32 v2, 0xffff, v3
	v_cmp_ne_u16_sdwa vcc, v3, v53 src0_sel:BYTE_0 src1_sel:DWORD
	s_and_saveexec_b64 s[34:35], vcc
	s_cbranch_execz .LBB255_184
; %bb.179:                              ;   in Loop: Header=BB255_10 Depth=1
	v_bfrev_b32_e32 v4, 1
	v_cmp_ne_u16_sdwa vcc, v2, s19 src0_sel:BYTE_0 src1_sel:DWORD
	v_mov_b32_e32 v5, 0
	buffer_store_dword v4, off, s[0:3], s32 offset:420 ; 4-byte Folded Spill
	s_nop 0
	buffer_store_dword v5, off, s[0:3], s32 offset:424 ; 4-byte Folded Spill
	s_and_saveexec_b64 s[36:37], vcc
	s_cbranch_execz .LBB255_183
; %bb.180:                              ;   in Loop: Header=BB255_10 Depth=1
	v_and_b32_e32 v3, 0x7f, v2
	v_mov_b32_e32 v4, 0x7f800001
	v_cmp_ne_u32_e32 vcc, s41, v3
	v_mov_b32_e32 v5, 0
	buffer_store_dword v4, off, s[0:3], s32 offset:420 ; 4-byte Folded Spill
	s_nop 0
	buffer_store_dword v5, off, s[0:3], s32 offset:424 ; 4-byte Folded Spill
	s_and_saveexec_b64 s[38:39], vcc
	s_cbranch_execz .LBB255_182
; %bb.181:                              ;   in Loop: Header=BB255_10 Depth=1
	v_and_b32_e32 v6, 7, v2
	v_lshrrev_b32_e32 v7, 3, v3
	v_cmp_gt_u32_e32 vcc, 8, v3
	v_ffbh_u32_e32 v3, v6
	v_min_u32_e32 v3, 32, v3
	v_subrev_u32_e32 v4, 28, v3
	v_lshlrev_b64 v[4:5], v4, v[2:3]
	v_sub_u32_e32 v3, 29, v3
	v_and_b32_e32 v4, 7, v4
	v_cndmask_b32_e32 v3, v7, v3, vcc
	v_cndmask_b32_e32 v4, v6, v4, vcc
	v_bfrev_b32_e32 v6, 60
	v_lshlrev_b32_e32 v4, 20, v4
	v_and_b32_sdwa v5, sext(v2), s25 dst_sel:DWORD dst_unused:UNUSED_PAD src0_sel:BYTE_0 src1_sel:DWORD
	v_lshl_add_u32 v3, v3, 23, v6
	v_or3_b32 v52, v5, v3, v4
	buffer_store_dword v52, off, s[0:3], s32 offset:420 ; 4-byte Folded Spill
	s_nop 0
	buffer_store_dword v53, off, s[0:3], s32 offset:424 ; 4-byte Folded Spill
	v_mov_b32_e32 v52, v59
.LBB255_182:                            ;   in Loop: Header=BB255_10 Depth=1
	s_or_b64 exec, exec, s[38:39]
.LBB255_183:                            ;   in Loop: Header=BB255_10 Depth=1
	s_or_b64 exec, exec, s[36:37]
.LBB255_184:                            ;   in Loop: Header=BB255_10 Depth=1
	s_or_b64 exec, exec, s[34:35]
	v_cmp_ne_u16_sdwa vcc, v2, v53 src0_sel:BYTE_1 src1_sel:DWORD
	s_and_saveexec_b64 s[34:35], vcc
	s_cbranch_execz .LBB255_190
; %bb.185:                              ;   in Loop: Header=BB255_10 Depth=1
	v_cmp_ne_u16_sdwa vcc, v2, s19 src0_sel:BYTE_1 src1_sel:DWORD
	v_pk_mov_b32 v[4:5], s[24:25], s[24:25] op_sel:[0,1]
	buffer_store_dword v4, off, s[0:3], s32 offset:428 ; 4-byte Folded Spill
	s_nop 0
	buffer_store_dword v5, off, s[0:3], s32 offset:432 ; 4-byte Folded Spill
	s_and_saveexec_b64 s[36:37], vcc
	s_cbranch_execz .LBB255_189
; %bb.186:                              ;   in Loop: Header=BB255_10 Depth=1
	v_and_b32_sdwa v3, v2, s41 dst_sel:DWORD dst_unused:UNUSED_PAD src0_sel:BYTE_1 src1_sel:DWORD
	s_mov_b32 s30, s24
	v_cmp_ne_u32_e32 vcc, s41, v3
	v_pk_mov_b32 v[4:5], s[30:31], s[30:31] op_sel:[0,1]
	buffer_store_dword v4, off, s[0:3], s32 offset:428 ; 4-byte Folded Spill
	s_nop 0
	buffer_store_dword v5, off, s[0:3], s32 offset:432 ; 4-byte Folded Spill
	s_and_saveexec_b64 s[38:39], vcc
	s_cbranch_execz .LBB255_188
; %bb.187:                              ;   in Loop: Header=BB255_10 Depth=1
	v_mov_b32_e32 v4, 7
	v_and_b32_sdwa v52, v2, v4 dst_sel:DWORD dst_unused:UNUSED_PAD src0_sel:BYTE_1 src1_sel:DWORD
	v_lshrrev_b32_e32 v6, 3, v3
	v_cmp_gt_u32_e32 vcc, 8, v3
	v_ffbh_u32_e32 v3, v52
	v_min_u32_e32 v3, 32, v3
	v_subrev_u32_e32 v4, 28, v3
	v_lshlrev_b64 v[4:5], v4, v[52:53]
	v_sub_u32_e32 v3, 29, v3
	v_and_b32_e32 v4, 7, v4
	v_cndmask_b32_e32 v3, v6, v3, vcc
	v_bfrev_b32_e32 v5, 60
	v_cndmask_b32_e32 v4, v52, v4, vcc
	v_lshlrev_b32_e32 v2, 16, v2
	v_lshl_add_u32 v3, v3, 23, v5
	v_and_or_b32 v2, v2, s25, v3
	v_lshlrev_b32_e32 v3, 20, v4
	v_mov_b32_e32 v52, v59
	v_or_b32_e32 v3, v2, v3
	v_mov_b32_e32 v2, v53
	buffer_store_dword v2, off, s[0:3], s32 offset:428 ; 4-byte Folded Spill
	s_nop 0
	buffer_store_dword v3, off, s[0:3], s32 offset:432 ; 4-byte Folded Spill
.LBB255_188:                            ;   in Loop: Header=BB255_10 Depth=1
	s_or_b64 exec, exec, s[38:39]
.LBB255_189:                            ;   in Loop: Header=BB255_10 Depth=1
	s_or_b64 exec, exec, s[36:37]
.LBB255_190:                            ;   in Loop: Header=BB255_10 Depth=1
	s_or_b64 exec, exec, s[34:35]
	flat_load_ushort v1, v[0:1] offset:12
	v_pk_mov_b32 v[2:3], 0, 0
	buffer_store_dword v2, off, s[0:3], s32 offset:444 ; 4-byte Folded Spill
	s_nop 0
	buffer_store_dword v3, off, s[0:3], s32 offset:448 ; 4-byte Folded Spill
	buffer_store_dword v2, off, s[0:3], s32 offset:436 ; 4-byte Folded Spill
	s_nop 0
	buffer_store_dword v3, off, s[0:3], s32 offset:440 ; 4-byte Folded Spill
	s_waitcnt vmcnt(0) lgkmcnt(0)
	v_and_b32_e32 v0, 0xffff, v1
	v_cmp_ne_u16_sdwa vcc, v1, v53 src0_sel:BYTE_0 src1_sel:DWORD
	s_and_saveexec_b64 s[34:35], vcc
	s_cbranch_execz .LBB255_196
; %bb.191:                              ;   in Loop: Header=BB255_10 Depth=1
	v_bfrev_b32_e32 v2, 1
	v_cmp_ne_u16_sdwa vcc, v0, s19 src0_sel:BYTE_0 src1_sel:DWORD
	v_mov_b32_e32 v3, 0
	buffer_store_dword v2, off, s[0:3], s32 offset:436 ; 4-byte Folded Spill
	s_nop 0
	buffer_store_dword v3, off, s[0:3], s32 offset:440 ; 4-byte Folded Spill
	s_and_saveexec_b64 s[36:37], vcc
	s_cbranch_execz .LBB255_195
; %bb.192:                              ;   in Loop: Header=BB255_10 Depth=1
	v_and_b32_e32 v1, 0x7f, v0
	v_mov_b32_e32 v2, 0x7f800001
	v_cmp_ne_u32_e32 vcc, s41, v1
	v_mov_b32_e32 v3, 0
	buffer_store_dword v2, off, s[0:3], s32 offset:436 ; 4-byte Folded Spill
	s_nop 0
	buffer_store_dword v3, off, s[0:3], s32 offset:440 ; 4-byte Folded Spill
	s_and_saveexec_b64 s[38:39], vcc
	s_cbranch_execz .LBB255_194
; %bb.193:                              ;   in Loop: Header=BB255_10 Depth=1
	v_and_b32_e32 v4, 7, v0
	v_lshrrev_b32_e32 v5, 3, v1
	v_cmp_gt_u32_e32 vcc, 8, v1
	v_ffbh_u32_e32 v1, v4
	v_min_u32_e32 v1, 32, v1
	v_subrev_u32_e32 v2, 28, v1
	v_lshlrev_b64 v[2:3], v2, v[0:1]
	v_sub_u32_e32 v1, 29, v1
	v_and_b32_e32 v2, 7, v2
	v_cndmask_b32_e32 v1, v5, v1, vcc
	v_cndmask_b32_e32 v2, v4, v2, vcc
	v_bfrev_b32_e32 v4, 60
	v_lshlrev_b32_e32 v2, 20, v2
	v_and_b32_sdwa v3, sext(v0), s25 dst_sel:DWORD dst_unused:UNUSED_PAD src0_sel:BYTE_0 src1_sel:DWORD
	v_lshl_add_u32 v1, v1, 23, v4
	v_or3_b32 v52, v3, v1, v2
	buffer_store_dword v52, off, s[0:3], s32 offset:436 ; 4-byte Folded Spill
	s_nop 0
	buffer_store_dword v53, off, s[0:3], s32 offset:440 ; 4-byte Folded Spill
	v_mov_b32_e32 v52, v59
.LBB255_194:                            ;   in Loop: Header=BB255_10 Depth=1
	s_or_b64 exec, exec, s[38:39]
.LBB255_195:                            ;   in Loop: Header=BB255_10 Depth=1
	s_or_b64 exec, exec, s[36:37]
.LBB255_196:                            ;   in Loop: Header=BB255_10 Depth=1
	s_or_b64 exec, exec, s[34:35]
	v_cmp_ne_u16_sdwa vcc, v0, v53 src0_sel:BYTE_1 src1_sel:DWORD
	s_and_saveexec_b64 s[34:35], vcc
	s_cbranch_execz .LBB255_202
; %bb.197:                              ;   in Loop: Header=BB255_10 Depth=1
	v_cmp_ne_u16_sdwa vcc, v0, s19 src0_sel:BYTE_1 src1_sel:DWORD
	v_pk_mov_b32 v[2:3], s[24:25], s[24:25] op_sel:[0,1]
	buffer_store_dword v2, off, s[0:3], s32 offset:444 ; 4-byte Folded Spill
	s_nop 0
	buffer_store_dword v3, off, s[0:3], s32 offset:448 ; 4-byte Folded Spill
	s_and_saveexec_b64 s[36:37], vcc
	s_cbranch_execz .LBB255_201
; %bb.198:                              ;   in Loop: Header=BB255_10 Depth=1
	v_and_b32_sdwa v1, v0, s41 dst_sel:DWORD dst_unused:UNUSED_PAD src0_sel:BYTE_1 src1_sel:DWORD
	s_mov_b32 s30, s24
	v_cmp_ne_u32_e32 vcc, s41, v1
	v_pk_mov_b32 v[2:3], s[30:31], s[30:31] op_sel:[0,1]
	buffer_store_dword v2, off, s[0:3], s32 offset:444 ; 4-byte Folded Spill
	s_nop 0
	buffer_store_dword v3, off, s[0:3], s32 offset:448 ; 4-byte Folded Spill
	s_and_saveexec_b64 s[38:39], vcc
	s_cbranch_execz .LBB255_200
; %bb.199:                              ;   in Loop: Header=BB255_10 Depth=1
	v_mov_b32_e32 v2, 7
	v_and_b32_sdwa v52, v0, v2 dst_sel:DWORD dst_unused:UNUSED_PAD src0_sel:BYTE_1 src1_sel:DWORD
	v_lshrrev_b32_e32 v4, 3, v1
	v_cmp_gt_u32_e32 vcc, 8, v1
	v_ffbh_u32_e32 v1, v52
	v_min_u32_e32 v1, 32, v1
	v_subrev_u32_e32 v2, 28, v1
	v_lshlrev_b64 v[2:3], v2, v[52:53]
	v_sub_u32_e32 v1, 29, v1
	v_and_b32_e32 v2, 7, v2
	v_cndmask_b32_e32 v1, v4, v1, vcc
	v_bfrev_b32_e32 v3, 60
	v_cndmask_b32_e32 v2, v52, v2, vcc
	v_lshlrev_b32_e32 v0, 16, v0
	v_lshl_add_u32 v1, v1, 23, v3
	v_and_or_b32 v0, v0, s25, v1
	v_lshlrev_b32_e32 v1, 20, v2
	v_mov_b32_e32 v52, v59
	v_or_b32_e32 v1, v0, v1
	v_mov_b32_e32 v0, v53
	buffer_store_dword v0, off, s[0:3], s32 offset:444 ; 4-byte Folded Spill
	s_nop 0
	buffer_store_dword v1, off, s[0:3], s32 offset:448 ; 4-byte Folded Spill
.LBB255_200:                            ;   in Loop: Header=BB255_10 Depth=1
	s_or_b64 exec, exec, s[38:39]
.LBB255_201:                            ;   in Loop: Header=BB255_10 Depth=1
	s_or_b64 exec, exec, s[36:37]
.LBB255_202:                            ;   in Loop: Header=BB255_10 Depth=1
	s_or_b64 exec, exec, s[34:35]
	flat_load_ushort v1, v[56:57] offset:2048
	v_pk_mov_b32 v[2:3], 0, 0
	buffer_store_dword v2, off, s[0:3], s32 offset:460 ; 4-byte Folded Spill
	s_nop 0
	buffer_store_dword v3, off, s[0:3], s32 offset:464 ; 4-byte Folded Spill
	buffer_store_dword v2, off, s[0:3], s32 offset:452 ; 4-byte Folded Spill
	s_nop 0
	buffer_store_dword v3, off, s[0:3], s32 offset:456 ; 4-byte Folded Spill
	s_waitcnt vmcnt(0) lgkmcnt(0)
	v_and_b32_e32 v0, 0xffff, v1
	v_cmp_ne_u16_sdwa vcc, v1, v53 src0_sel:BYTE_0 src1_sel:DWORD
	s_and_saveexec_b64 s[34:35], vcc
	s_cbranch_execz .LBB255_208
; %bb.203:                              ;   in Loop: Header=BB255_10 Depth=1
	v_bfrev_b32_e32 v2, 1
	v_cmp_ne_u16_sdwa vcc, v0, s19 src0_sel:BYTE_0 src1_sel:DWORD
	v_mov_b32_e32 v3, 0
	buffer_store_dword v2, off, s[0:3], s32 offset:452 ; 4-byte Folded Spill
	s_nop 0
	buffer_store_dword v3, off, s[0:3], s32 offset:456 ; 4-byte Folded Spill
	s_and_saveexec_b64 s[36:37], vcc
	s_cbranch_execz .LBB255_207
; %bb.204:                              ;   in Loop: Header=BB255_10 Depth=1
	v_and_b32_e32 v1, 0x7f, v0
	v_mov_b32_e32 v2, 0x7f800001
	v_cmp_ne_u32_e32 vcc, s41, v1
	v_mov_b32_e32 v3, 0
	buffer_store_dword v2, off, s[0:3], s32 offset:452 ; 4-byte Folded Spill
	s_nop 0
	buffer_store_dword v3, off, s[0:3], s32 offset:456 ; 4-byte Folded Spill
	s_and_saveexec_b64 s[38:39], vcc
	s_cbranch_execz .LBB255_206
; %bb.205:                              ;   in Loop: Header=BB255_10 Depth=1
	v_and_b32_e32 v4, 7, v0
	v_lshrrev_b32_e32 v5, 3, v1
	v_cmp_gt_u32_e32 vcc, 8, v1
	v_ffbh_u32_e32 v1, v4
	v_min_u32_e32 v1, 32, v1
	v_subrev_u32_e32 v2, 28, v1
	v_lshlrev_b64 v[2:3], v2, v[0:1]
	v_sub_u32_e32 v1, 29, v1
	v_and_b32_e32 v2, 7, v2
	v_cndmask_b32_e32 v1, v5, v1, vcc
	v_cndmask_b32_e32 v2, v4, v2, vcc
	v_bfrev_b32_e32 v4, 60
	v_lshlrev_b32_e32 v2, 20, v2
	v_and_b32_sdwa v3, sext(v0), s25 dst_sel:DWORD dst_unused:UNUSED_PAD src0_sel:BYTE_0 src1_sel:DWORD
	v_lshl_add_u32 v1, v1, 23, v4
	v_or3_b32 v52, v3, v1, v2
	buffer_store_dword v52, off, s[0:3], s32 offset:452 ; 4-byte Folded Spill
	s_nop 0
	buffer_store_dword v53, off, s[0:3], s32 offset:456 ; 4-byte Folded Spill
	v_mov_b32_e32 v52, v59
.LBB255_206:                            ;   in Loop: Header=BB255_10 Depth=1
	s_or_b64 exec, exec, s[38:39]
.LBB255_207:                            ;   in Loop: Header=BB255_10 Depth=1
	s_or_b64 exec, exec, s[36:37]
.LBB255_208:                            ;   in Loop: Header=BB255_10 Depth=1
	s_or_b64 exec, exec, s[34:35]
	v_cmp_ne_u16_sdwa vcc, v0, v53 src0_sel:BYTE_1 src1_sel:DWORD
	s_and_saveexec_b64 s[34:35], vcc
	s_cbranch_execz .LBB255_214
; %bb.209:                              ;   in Loop: Header=BB255_10 Depth=1
	v_cmp_ne_u16_sdwa vcc, v0, s19 src0_sel:BYTE_1 src1_sel:DWORD
	v_pk_mov_b32 v[2:3], s[24:25], s[24:25] op_sel:[0,1]
	buffer_store_dword v2, off, s[0:3], s32 offset:460 ; 4-byte Folded Spill
	s_nop 0
	buffer_store_dword v3, off, s[0:3], s32 offset:464 ; 4-byte Folded Spill
	s_and_saveexec_b64 s[36:37], vcc
	s_cbranch_execz .LBB255_213
; %bb.210:                              ;   in Loop: Header=BB255_10 Depth=1
	v_and_b32_sdwa v1, v0, s41 dst_sel:DWORD dst_unused:UNUSED_PAD src0_sel:BYTE_1 src1_sel:DWORD
	s_mov_b32 s30, s24
	v_cmp_ne_u32_e32 vcc, s41, v1
	v_pk_mov_b32 v[2:3], s[30:31], s[30:31] op_sel:[0,1]
	buffer_store_dword v2, off, s[0:3], s32 offset:460 ; 4-byte Folded Spill
	s_nop 0
	buffer_store_dword v3, off, s[0:3], s32 offset:464 ; 4-byte Folded Spill
	s_and_saveexec_b64 s[38:39], vcc
	s_cbranch_execz .LBB255_212
; %bb.211:                              ;   in Loop: Header=BB255_10 Depth=1
	v_mov_b32_e32 v2, 7
	v_and_b32_sdwa v52, v0, v2 dst_sel:DWORD dst_unused:UNUSED_PAD src0_sel:BYTE_1 src1_sel:DWORD
	v_lshrrev_b32_e32 v4, 3, v1
	v_cmp_gt_u32_e32 vcc, 8, v1
	v_ffbh_u32_e32 v1, v52
	v_min_u32_e32 v1, 32, v1
	v_subrev_u32_e32 v2, 28, v1
	v_lshlrev_b64 v[2:3], v2, v[52:53]
	v_sub_u32_e32 v1, 29, v1
	v_and_b32_e32 v2, 7, v2
	v_cndmask_b32_e32 v1, v4, v1, vcc
	v_bfrev_b32_e32 v3, 60
	v_cndmask_b32_e32 v2, v52, v2, vcc
	v_lshlrev_b32_e32 v0, 16, v0
	v_lshl_add_u32 v1, v1, 23, v3
	v_and_or_b32 v0, v0, s25, v1
	v_lshlrev_b32_e32 v1, 20, v2
	v_mov_b32_e32 v52, v59
	v_or_b32_e32 v1, v0, v1
	v_mov_b32_e32 v0, v53
	buffer_store_dword v0, off, s[0:3], s32 offset:460 ; 4-byte Folded Spill
	s_nop 0
	buffer_store_dword v1, off, s[0:3], s32 offset:464 ; 4-byte Folded Spill
.LBB255_212:                            ;   in Loop: Header=BB255_10 Depth=1
	s_or_b64 exec, exec, s[38:39]
.LBB255_213:                            ;   in Loop: Header=BB255_10 Depth=1
	s_or_b64 exec, exec, s[36:37]
.LBB255_214:                            ;   in Loop: Header=BB255_10 Depth=1
	s_or_b64 exec, exec, s[34:35]
	flat_load_ushort v1, v[56:57] offset:2052
	v_pk_mov_b32 v[2:3], 0, 0
	buffer_store_dword v2, off, s[0:3], s32 offset:476 ; 4-byte Folded Spill
	s_nop 0
	buffer_store_dword v3, off, s[0:3], s32 offset:480 ; 4-byte Folded Spill
	buffer_store_dword v2, off, s[0:3], s32 offset:468 ; 4-byte Folded Spill
	s_nop 0
	buffer_store_dword v3, off, s[0:3], s32 offset:472 ; 4-byte Folded Spill
	s_waitcnt vmcnt(0) lgkmcnt(0)
	v_and_b32_e32 v0, 0xffff, v1
	v_cmp_ne_u16_sdwa vcc, v1, v53 src0_sel:BYTE_0 src1_sel:DWORD
	s_and_saveexec_b64 s[34:35], vcc
	s_cbranch_execz .LBB255_220
; %bb.215:                              ;   in Loop: Header=BB255_10 Depth=1
	v_bfrev_b32_e32 v2, 1
	v_cmp_ne_u16_sdwa vcc, v0, s19 src0_sel:BYTE_0 src1_sel:DWORD
	v_mov_b32_e32 v3, 0
	buffer_store_dword v2, off, s[0:3], s32 offset:468 ; 4-byte Folded Spill
	s_nop 0
	buffer_store_dword v3, off, s[0:3], s32 offset:472 ; 4-byte Folded Spill
	s_and_saveexec_b64 s[36:37], vcc
	s_cbranch_execz .LBB255_219
; %bb.216:                              ;   in Loop: Header=BB255_10 Depth=1
	v_and_b32_e32 v1, 0x7f, v0
	v_mov_b32_e32 v2, 0x7f800001
	v_cmp_ne_u32_e32 vcc, s41, v1
	v_mov_b32_e32 v3, 0
	buffer_store_dword v2, off, s[0:3], s32 offset:468 ; 4-byte Folded Spill
	s_nop 0
	buffer_store_dword v3, off, s[0:3], s32 offset:472 ; 4-byte Folded Spill
	s_and_saveexec_b64 s[38:39], vcc
	s_cbranch_execz .LBB255_218
; %bb.217:                              ;   in Loop: Header=BB255_10 Depth=1
	v_and_b32_e32 v4, 7, v0
	v_lshrrev_b32_e32 v5, 3, v1
	v_cmp_gt_u32_e32 vcc, 8, v1
	v_ffbh_u32_e32 v1, v4
	v_min_u32_e32 v1, 32, v1
	v_subrev_u32_e32 v2, 28, v1
	v_lshlrev_b64 v[2:3], v2, v[0:1]
	v_sub_u32_e32 v1, 29, v1
	v_and_b32_e32 v2, 7, v2
	v_cndmask_b32_e32 v1, v5, v1, vcc
	v_cndmask_b32_e32 v2, v4, v2, vcc
	v_bfrev_b32_e32 v4, 60
	v_lshlrev_b32_e32 v2, 20, v2
	v_and_b32_sdwa v3, sext(v0), s25 dst_sel:DWORD dst_unused:UNUSED_PAD src0_sel:BYTE_0 src1_sel:DWORD
	v_lshl_add_u32 v1, v1, 23, v4
	v_or3_b32 v52, v3, v1, v2
	buffer_store_dword v52, off, s[0:3], s32 offset:468 ; 4-byte Folded Spill
	s_nop 0
	buffer_store_dword v53, off, s[0:3], s32 offset:472 ; 4-byte Folded Spill
	v_mov_b32_e32 v52, v59
.LBB255_218:                            ;   in Loop: Header=BB255_10 Depth=1
	s_or_b64 exec, exec, s[38:39]
.LBB255_219:                            ;   in Loop: Header=BB255_10 Depth=1
	s_or_b64 exec, exec, s[36:37]
.LBB255_220:                            ;   in Loop: Header=BB255_10 Depth=1
	s_or_b64 exec, exec, s[34:35]
	v_cmp_ne_u16_sdwa vcc, v0, v53 src0_sel:BYTE_1 src1_sel:DWORD
	s_and_saveexec_b64 s[34:35], vcc
	s_cbranch_execz .LBB255_226
; %bb.221:                              ;   in Loop: Header=BB255_10 Depth=1
	v_cmp_ne_u16_sdwa vcc, v0, s19 src0_sel:BYTE_1 src1_sel:DWORD
	v_pk_mov_b32 v[2:3], s[24:25], s[24:25] op_sel:[0,1]
	buffer_store_dword v2, off, s[0:3], s32 offset:476 ; 4-byte Folded Spill
	s_nop 0
	buffer_store_dword v3, off, s[0:3], s32 offset:480 ; 4-byte Folded Spill
	s_and_saveexec_b64 s[36:37], vcc
	s_cbranch_execz .LBB255_225
; %bb.222:                              ;   in Loop: Header=BB255_10 Depth=1
	v_and_b32_sdwa v1, v0, s41 dst_sel:DWORD dst_unused:UNUSED_PAD src0_sel:BYTE_1 src1_sel:DWORD
	s_mov_b32 s30, s24
	v_cmp_ne_u32_e32 vcc, s41, v1
	v_pk_mov_b32 v[2:3], s[30:31], s[30:31] op_sel:[0,1]
	buffer_store_dword v2, off, s[0:3], s32 offset:476 ; 4-byte Folded Spill
	s_nop 0
	buffer_store_dword v3, off, s[0:3], s32 offset:480 ; 4-byte Folded Spill
	s_and_saveexec_b64 s[38:39], vcc
	s_cbranch_execz .LBB255_224
; %bb.223:                              ;   in Loop: Header=BB255_10 Depth=1
	v_mov_b32_e32 v2, 7
	v_and_b32_sdwa v52, v0, v2 dst_sel:DWORD dst_unused:UNUSED_PAD src0_sel:BYTE_1 src1_sel:DWORD
	v_lshrrev_b32_e32 v4, 3, v1
	v_cmp_gt_u32_e32 vcc, 8, v1
	v_ffbh_u32_e32 v1, v52
	v_min_u32_e32 v1, 32, v1
	v_subrev_u32_e32 v2, 28, v1
	v_lshlrev_b64 v[2:3], v2, v[52:53]
	v_sub_u32_e32 v1, 29, v1
	v_and_b32_e32 v2, 7, v2
	v_cndmask_b32_e32 v1, v4, v1, vcc
	v_bfrev_b32_e32 v3, 60
	v_cndmask_b32_e32 v2, v52, v2, vcc
	v_lshlrev_b32_e32 v0, 16, v0
	v_lshl_add_u32 v1, v1, 23, v3
	v_and_or_b32 v0, v0, s25, v1
	v_lshlrev_b32_e32 v1, 20, v2
	v_mov_b32_e32 v52, v59
	v_or_b32_e32 v1, v0, v1
	v_mov_b32_e32 v0, v53
	buffer_store_dword v0, off, s[0:3], s32 offset:476 ; 4-byte Folded Spill
	s_nop 0
	buffer_store_dword v1, off, s[0:3], s32 offset:480 ; 4-byte Folded Spill
.LBB255_224:                            ;   in Loop: Header=BB255_10 Depth=1
	s_or_b64 exec, exec, s[38:39]
.LBB255_225:                            ;   in Loop: Header=BB255_10 Depth=1
	s_or_b64 exec, exec, s[36:37]
.LBB255_226:                            ;   in Loop: Header=BB255_10 Depth=1
	s_or_b64 exec, exec, s[34:35]
	v_add_co_u32_e32 v0, vcc, 0x800, v56
	v_addc_co_u32_e32 v1, vcc, 0, v57, vcc
	flat_load_ushort v3, v[0:1] offset:8
	v_pk_mov_b32 v[4:5], 0, 0
	buffer_store_dword v4, off, s[0:3], s32 offset:492 ; 4-byte Folded Spill
	s_nop 0
	buffer_store_dword v5, off, s[0:3], s32 offset:496 ; 4-byte Folded Spill
	buffer_store_dword v4, off, s[0:3], s32 offset:484 ; 4-byte Folded Spill
	s_nop 0
	buffer_store_dword v5, off, s[0:3], s32 offset:488 ; 4-byte Folded Spill
	s_waitcnt vmcnt(0) lgkmcnt(0)
	v_and_b32_e32 v2, 0xffff, v3
	v_cmp_ne_u16_sdwa vcc, v3, v53 src0_sel:BYTE_0 src1_sel:DWORD
	s_and_saveexec_b64 s[34:35], vcc
	s_cbranch_execz .LBB255_232
; %bb.227:                              ;   in Loop: Header=BB255_10 Depth=1
	v_bfrev_b32_e32 v4, 1
	v_cmp_ne_u16_sdwa vcc, v2, s19 src0_sel:BYTE_0 src1_sel:DWORD
	v_mov_b32_e32 v5, 0
	buffer_store_dword v4, off, s[0:3], s32 offset:484 ; 4-byte Folded Spill
	s_nop 0
	buffer_store_dword v5, off, s[0:3], s32 offset:488 ; 4-byte Folded Spill
	s_and_saveexec_b64 s[36:37], vcc
	s_cbranch_execz .LBB255_231
; %bb.228:                              ;   in Loop: Header=BB255_10 Depth=1
	v_and_b32_e32 v3, 0x7f, v2
	v_mov_b32_e32 v4, 0x7f800001
	v_cmp_ne_u32_e32 vcc, s41, v3
	v_mov_b32_e32 v5, 0
	buffer_store_dword v4, off, s[0:3], s32 offset:484 ; 4-byte Folded Spill
	s_nop 0
	buffer_store_dword v5, off, s[0:3], s32 offset:488 ; 4-byte Folded Spill
	s_and_saveexec_b64 s[38:39], vcc
	s_cbranch_execz .LBB255_230
; %bb.229:                              ;   in Loop: Header=BB255_10 Depth=1
	v_and_b32_e32 v6, 7, v2
	v_lshrrev_b32_e32 v7, 3, v3
	v_cmp_gt_u32_e32 vcc, 8, v3
	v_ffbh_u32_e32 v3, v6
	v_min_u32_e32 v3, 32, v3
	v_subrev_u32_e32 v4, 28, v3
	v_lshlrev_b64 v[4:5], v4, v[2:3]
	v_sub_u32_e32 v3, 29, v3
	v_and_b32_e32 v4, 7, v4
	v_cndmask_b32_e32 v3, v7, v3, vcc
	v_cndmask_b32_e32 v4, v6, v4, vcc
	v_bfrev_b32_e32 v6, 60
	v_lshlrev_b32_e32 v4, 20, v4
	v_and_b32_sdwa v5, sext(v2), s25 dst_sel:DWORD dst_unused:UNUSED_PAD src0_sel:BYTE_0 src1_sel:DWORD
	v_lshl_add_u32 v3, v3, 23, v6
	v_or3_b32 v52, v5, v3, v4
	buffer_store_dword v52, off, s[0:3], s32 offset:484 ; 4-byte Folded Spill
	s_nop 0
	buffer_store_dword v53, off, s[0:3], s32 offset:488 ; 4-byte Folded Spill
	v_mov_b32_e32 v52, v59
.LBB255_230:                            ;   in Loop: Header=BB255_10 Depth=1
	s_or_b64 exec, exec, s[38:39]
.LBB255_231:                            ;   in Loop: Header=BB255_10 Depth=1
	s_or_b64 exec, exec, s[36:37]
.LBB255_232:                            ;   in Loop: Header=BB255_10 Depth=1
	s_or_b64 exec, exec, s[34:35]
	v_cmp_ne_u16_sdwa vcc, v2, v53 src0_sel:BYTE_1 src1_sel:DWORD
	s_and_saveexec_b64 s[34:35], vcc
	s_cbranch_execz .LBB255_238
; %bb.233:                              ;   in Loop: Header=BB255_10 Depth=1
	v_cmp_ne_u16_sdwa vcc, v2, s19 src0_sel:BYTE_1 src1_sel:DWORD
	v_pk_mov_b32 v[4:5], s[24:25], s[24:25] op_sel:[0,1]
	buffer_store_dword v4, off, s[0:3], s32 offset:492 ; 4-byte Folded Spill
	s_nop 0
	buffer_store_dword v5, off, s[0:3], s32 offset:496 ; 4-byte Folded Spill
	s_and_saveexec_b64 s[36:37], vcc
	s_cbranch_execz .LBB255_237
; %bb.234:                              ;   in Loop: Header=BB255_10 Depth=1
	v_and_b32_sdwa v3, v2, s41 dst_sel:DWORD dst_unused:UNUSED_PAD src0_sel:BYTE_1 src1_sel:DWORD
	s_mov_b32 s30, s24
	v_cmp_ne_u32_e32 vcc, s41, v3
	v_pk_mov_b32 v[4:5], s[30:31], s[30:31] op_sel:[0,1]
	buffer_store_dword v4, off, s[0:3], s32 offset:492 ; 4-byte Folded Spill
	s_nop 0
	buffer_store_dword v5, off, s[0:3], s32 offset:496 ; 4-byte Folded Spill
	s_and_saveexec_b64 s[38:39], vcc
	s_cbranch_execz .LBB255_236
; %bb.235:                              ;   in Loop: Header=BB255_10 Depth=1
	v_mov_b32_e32 v4, 7
	v_and_b32_sdwa v52, v2, v4 dst_sel:DWORD dst_unused:UNUSED_PAD src0_sel:BYTE_1 src1_sel:DWORD
	v_lshrrev_b32_e32 v6, 3, v3
	v_cmp_gt_u32_e32 vcc, 8, v3
	v_ffbh_u32_e32 v3, v52
	v_min_u32_e32 v3, 32, v3
	v_subrev_u32_e32 v4, 28, v3
	v_lshlrev_b64 v[4:5], v4, v[52:53]
	v_sub_u32_e32 v3, 29, v3
	v_and_b32_e32 v4, 7, v4
	v_cndmask_b32_e32 v3, v6, v3, vcc
	v_bfrev_b32_e32 v5, 60
	v_cndmask_b32_e32 v4, v52, v4, vcc
	v_lshlrev_b32_e32 v2, 16, v2
	v_lshl_add_u32 v3, v3, 23, v5
	v_and_or_b32 v2, v2, s25, v3
	v_lshlrev_b32_e32 v3, 20, v4
	v_mov_b32_e32 v52, v59
	v_or_b32_e32 v3, v2, v3
	v_mov_b32_e32 v2, v53
	buffer_store_dword v2, off, s[0:3], s32 offset:492 ; 4-byte Folded Spill
	s_nop 0
	buffer_store_dword v3, off, s[0:3], s32 offset:496 ; 4-byte Folded Spill
.LBB255_236:                            ;   in Loop: Header=BB255_10 Depth=1
	s_or_b64 exec, exec, s[38:39]
.LBB255_237:                            ;   in Loop: Header=BB255_10 Depth=1
	s_or_b64 exec, exec, s[36:37]
.LBB255_238:                            ;   in Loop: Header=BB255_10 Depth=1
	s_or_b64 exec, exec, s[34:35]
	flat_load_ushort v1, v[0:1] offset:12
	v_pk_mov_b32 v[2:3], 0, 0
	buffer_store_dword v2, off, s[0:3], s32 offset:508 ; 4-byte Folded Spill
	s_nop 0
	buffer_store_dword v3, off, s[0:3], s32 offset:512 ; 4-byte Folded Spill
	buffer_store_dword v2, off, s[0:3], s32 offset:500 ; 4-byte Folded Spill
	s_nop 0
	buffer_store_dword v3, off, s[0:3], s32 offset:504 ; 4-byte Folded Spill
	s_waitcnt vmcnt(0) lgkmcnt(0)
	v_and_b32_e32 v0, 0xffff, v1
	v_cmp_ne_u16_sdwa vcc, v1, v53 src0_sel:BYTE_0 src1_sel:DWORD
	s_and_saveexec_b64 s[34:35], vcc
	s_cbranch_execz .LBB255_244
; %bb.239:                              ;   in Loop: Header=BB255_10 Depth=1
	v_bfrev_b32_e32 v2, 1
	v_cmp_ne_u16_sdwa vcc, v0, s19 src0_sel:BYTE_0 src1_sel:DWORD
	v_mov_b32_e32 v3, 0
	buffer_store_dword v2, off, s[0:3], s32 offset:500 ; 4-byte Folded Spill
	s_nop 0
	buffer_store_dword v3, off, s[0:3], s32 offset:504 ; 4-byte Folded Spill
	s_and_saveexec_b64 s[36:37], vcc
	s_cbranch_execz .LBB255_243
; %bb.240:                              ;   in Loop: Header=BB255_10 Depth=1
	v_and_b32_e32 v1, 0x7f, v0
	v_mov_b32_e32 v2, 0x7f800001
	v_cmp_ne_u32_e32 vcc, s41, v1
	v_mov_b32_e32 v3, 0
	buffer_store_dword v2, off, s[0:3], s32 offset:500 ; 4-byte Folded Spill
	s_nop 0
	buffer_store_dword v3, off, s[0:3], s32 offset:504 ; 4-byte Folded Spill
	s_and_saveexec_b64 s[38:39], vcc
	s_cbranch_execz .LBB255_242
; %bb.241:                              ;   in Loop: Header=BB255_10 Depth=1
	v_and_b32_e32 v4, 7, v0
	v_lshrrev_b32_e32 v5, 3, v1
	v_cmp_gt_u32_e32 vcc, 8, v1
	v_ffbh_u32_e32 v1, v4
	v_min_u32_e32 v1, 32, v1
	v_subrev_u32_e32 v2, 28, v1
	v_lshlrev_b64 v[2:3], v2, v[0:1]
	v_sub_u32_e32 v1, 29, v1
	v_and_b32_e32 v2, 7, v2
	v_cndmask_b32_e32 v1, v5, v1, vcc
	v_cndmask_b32_e32 v2, v4, v2, vcc
	v_bfrev_b32_e32 v4, 60
	v_lshlrev_b32_e32 v2, 20, v2
	v_and_b32_sdwa v3, sext(v0), s25 dst_sel:DWORD dst_unused:UNUSED_PAD src0_sel:BYTE_0 src1_sel:DWORD
	v_lshl_add_u32 v1, v1, 23, v4
	v_or3_b32 v52, v3, v1, v2
	buffer_store_dword v52, off, s[0:3], s32 offset:500 ; 4-byte Folded Spill
	s_nop 0
	buffer_store_dword v53, off, s[0:3], s32 offset:504 ; 4-byte Folded Spill
	v_mov_b32_e32 v52, v59
.LBB255_242:                            ;   in Loop: Header=BB255_10 Depth=1
	s_or_b64 exec, exec, s[38:39]
.LBB255_243:                            ;   in Loop: Header=BB255_10 Depth=1
	s_or_b64 exec, exec, s[36:37]
.LBB255_244:                            ;   in Loop: Header=BB255_10 Depth=1
	s_or_b64 exec, exec, s[34:35]
	v_cmp_ne_u16_sdwa vcc, v0, v53 src0_sel:BYTE_1 src1_sel:DWORD
	s_and_saveexec_b64 s[34:35], vcc
	s_cbranch_execz .LBB255_250
; %bb.245:                              ;   in Loop: Header=BB255_10 Depth=1
	v_cmp_ne_u16_sdwa vcc, v0, s19 src0_sel:BYTE_1 src1_sel:DWORD
	v_pk_mov_b32 v[2:3], s[24:25], s[24:25] op_sel:[0,1]
	buffer_store_dword v2, off, s[0:3], s32 offset:508 ; 4-byte Folded Spill
	s_nop 0
	buffer_store_dword v3, off, s[0:3], s32 offset:512 ; 4-byte Folded Spill
	s_and_saveexec_b64 s[36:37], vcc
	s_cbranch_execz .LBB255_249
; %bb.246:                              ;   in Loop: Header=BB255_10 Depth=1
	v_and_b32_sdwa v1, v0, s41 dst_sel:DWORD dst_unused:UNUSED_PAD src0_sel:BYTE_1 src1_sel:DWORD
	s_mov_b32 s30, s24
	v_cmp_ne_u32_e32 vcc, s41, v1
	v_pk_mov_b32 v[2:3], s[30:31], s[30:31] op_sel:[0,1]
	buffer_store_dword v2, off, s[0:3], s32 offset:508 ; 4-byte Folded Spill
	s_nop 0
	buffer_store_dword v3, off, s[0:3], s32 offset:512 ; 4-byte Folded Spill
	s_and_saveexec_b64 s[38:39], vcc
	s_cbranch_execz .LBB255_248
; %bb.247:                              ;   in Loop: Header=BB255_10 Depth=1
	v_mov_b32_e32 v2, 7
	v_and_b32_sdwa v52, v0, v2 dst_sel:DWORD dst_unused:UNUSED_PAD src0_sel:BYTE_1 src1_sel:DWORD
	v_lshrrev_b32_e32 v4, 3, v1
	v_cmp_gt_u32_e32 vcc, 8, v1
	v_ffbh_u32_e32 v1, v52
	v_min_u32_e32 v1, 32, v1
	v_subrev_u32_e32 v2, 28, v1
	v_lshlrev_b64 v[2:3], v2, v[52:53]
	v_sub_u32_e32 v1, 29, v1
	v_and_b32_e32 v2, 7, v2
	v_cndmask_b32_e32 v1, v4, v1, vcc
	v_bfrev_b32_e32 v3, 60
	v_cndmask_b32_e32 v2, v52, v2, vcc
	v_lshlrev_b32_e32 v0, 16, v0
	v_lshl_add_u32 v1, v1, 23, v3
	v_and_or_b32 v0, v0, s25, v1
	v_lshlrev_b32_e32 v1, 20, v2
	v_mov_b32_e32 v52, v59
	v_or_b32_e32 v1, v0, v1
	v_mov_b32_e32 v0, v53
	buffer_store_dword v0, off, s[0:3], s32 offset:508 ; 4-byte Folded Spill
	s_nop 0
	buffer_store_dword v1, off, s[0:3], s32 offset:512 ; 4-byte Folded Spill
.LBB255_248:                            ;   in Loop: Header=BB255_10 Depth=1
	s_or_b64 exec, exec, s[38:39]
.LBB255_249:                            ;   in Loop: Header=BB255_10 Depth=1
	s_or_b64 exec, exec, s[36:37]
.LBB255_250:                            ;   in Loop: Header=BB255_10 Depth=1
	s_or_b64 exec, exec, s[34:35]
	flat_load_ushort v1, v[56:57] offset:2560
	v_pk_mov_b32 v[2:3], 0, 0
	buffer_store_dword v2, off, s[0:3], s32 offset:524 ; 4-byte Folded Spill
	s_nop 0
	buffer_store_dword v3, off, s[0:3], s32 offset:528 ; 4-byte Folded Spill
	buffer_store_dword v2, off, s[0:3], s32 offset:516 ; 4-byte Folded Spill
	s_nop 0
	buffer_store_dword v3, off, s[0:3], s32 offset:520 ; 4-byte Folded Spill
	s_waitcnt vmcnt(0) lgkmcnt(0)
	v_and_b32_e32 v0, 0xffff, v1
	v_cmp_ne_u16_sdwa vcc, v1, v53 src0_sel:BYTE_0 src1_sel:DWORD
	s_and_saveexec_b64 s[34:35], vcc
	s_cbranch_execz .LBB255_256
; %bb.251:                              ;   in Loop: Header=BB255_10 Depth=1
	v_bfrev_b32_e32 v2, 1
	v_cmp_ne_u16_sdwa vcc, v0, s19 src0_sel:BYTE_0 src1_sel:DWORD
	v_mov_b32_e32 v3, 0
	buffer_store_dword v2, off, s[0:3], s32 offset:516 ; 4-byte Folded Spill
	s_nop 0
	buffer_store_dword v3, off, s[0:3], s32 offset:520 ; 4-byte Folded Spill
	s_and_saveexec_b64 s[36:37], vcc
	s_cbranch_execz .LBB255_255
; %bb.252:                              ;   in Loop: Header=BB255_10 Depth=1
	v_and_b32_e32 v1, 0x7f, v0
	v_mov_b32_e32 v2, 0x7f800001
	v_cmp_ne_u32_e32 vcc, s41, v1
	v_mov_b32_e32 v3, 0
	buffer_store_dword v2, off, s[0:3], s32 offset:516 ; 4-byte Folded Spill
	s_nop 0
	buffer_store_dword v3, off, s[0:3], s32 offset:520 ; 4-byte Folded Spill
	s_and_saveexec_b64 s[38:39], vcc
	s_cbranch_execz .LBB255_254
; %bb.253:                              ;   in Loop: Header=BB255_10 Depth=1
	v_and_b32_e32 v4, 7, v0
	v_lshrrev_b32_e32 v5, 3, v1
	v_cmp_gt_u32_e32 vcc, 8, v1
	v_ffbh_u32_e32 v1, v4
	v_min_u32_e32 v1, 32, v1
	v_subrev_u32_e32 v2, 28, v1
	v_lshlrev_b64 v[2:3], v2, v[0:1]
	v_sub_u32_e32 v1, 29, v1
	v_and_b32_e32 v2, 7, v2
	v_cndmask_b32_e32 v1, v5, v1, vcc
	v_cndmask_b32_e32 v2, v4, v2, vcc
	v_bfrev_b32_e32 v4, 60
	v_lshlrev_b32_e32 v2, 20, v2
	v_and_b32_sdwa v3, sext(v0), s25 dst_sel:DWORD dst_unused:UNUSED_PAD src0_sel:BYTE_0 src1_sel:DWORD
	v_lshl_add_u32 v1, v1, 23, v4
	v_or3_b32 v52, v3, v1, v2
	buffer_store_dword v52, off, s[0:3], s32 offset:516 ; 4-byte Folded Spill
	s_nop 0
	buffer_store_dword v53, off, s[0:3], s32 offset:520 ; 4-byte Folded Spill
	v_mov_b32_e32 v52, v59
.LBB255_254:                            ;   in Loop: Header=BB255_10 Depth=1
	s_or_b64 exec, exec, s[38:39]
.LBB255_255:                            ;   in Loop: Header=BB255_10 Depth=1
	s_or_b64 exec, exec, s[36:37]
.LBB255_256:                            ;   in Loop: Header=BB255_10 Depth=1
	s_or_b64 exec, exec, s[34:35]
	v_cmp_ne_u16_sdwa vcc, v0, v53 src0_sel:BYTE_1 src1_sel:DWORD
	s_and_saveexec_b64 s[34:35], vcc
	s_cbranch_execz .LBB255_262
; %bb.257:                              ;   in Loop: Header=BB255_10 Depth=1
	v_cmp_ne_u16_sdwa vcc, v0, s19 src0_sel:BYTE_1 src1_sel:DWORD
	v_pk_mov_b32 v[2:3], s[24:25], s[24:25] op_sel:[0,1]
	buffer_store_dword v2, off, s[0:3], s32 offset:524 ; 4-byte Folded Spill
	s_nop 0
	buffer_store_dword v3, off, s[0:3], s32 offset:528 ; 4-byte Folded Spill
	s_and_saveexec_b64 s[36:37], vcc
	s_cbranch_execz .LBB255_261
; %bb.258:                              ;   in Loop: Header=BB255_10 Depth=1
	v_and_b32_sdwa v1, v0, s41 dst_sel:DWORD dst_unused:UNUSED_PAD src0_sel:BYTE_1 src1_sel:DWORD
	s_mov_b32 s30, s24
	v_cmp_ne_u32_e32 vcc, s41, v1
	v_pk_mov_b32 v[2:3], s[30:31], s[30:31] op_sel:[0,1]
	buffer_store_dword v2, off, s[0:3], s32 offset:524 ; 4-byte Folded Spill
	s_nop 0
	buffer_store_dword v3, off, s[0:3], s32 offset:528 ; 4-byte Folded Spill
	s_and_saveexec_b64 s[38:39], vcc
	s_cbranch_execz .LBB255_260
; %bb.259:                              ;   in Loop: Header=BB255_10 Depth=1
	v_mov_b32_e32 v2, 7
	v_and_b32_sdwa v52, v0, v2 dst_sel:DWORD dst_unused:UNUSED_PAD src0_sel:BYTE_1 src1_sel:DWORD
	v_lshrrev_b32_e32 v4, 3, v1
	v_cmp_gt_u32_e32 vcc, 8, v1
	v_ffbh_u32_e32 v1, v52
	v_min_u32_e32 v1, 32, v1
	v_subrev_u32_e32 v2, 28, v1
	v_lshlrev_b64 v[2:3], v2, v[52:53]
	v_sub_u32_e32 v1, 29, v1
	v_and_b32_e32 v2, 7, v2
	v_cndmask_b32_e32 v1, v4, v1, vcc
	v_bfrev_b32_e32 v3, 60
	v_cndmask_b32_e32 v2, v52, v2, vcc
	v_lshlrev_b32_e32 v0, 16, v0
	v_lshl_add_u32 v1, v1, 23, v3
	v_and_or_b32 v0, v0, s25, v1
	v_lshlrev_b32_e32 v1, 20, v2
	v_mov_b32_e32 v52, v59
	v_or_b32_e32 v1, v0, v1
	v_mov_b32_e32 v0, v53
	buffer_store_dword v0, off, s[0:3], s32 offset:524 ; 4-byte Folded Spill
	s_nop 0
	buffer_store_dword v1, off, s[0:3], s32 offset:528 ; 4-byte Folded Spill
.LBB255_260:                            ;   in Loop: Header=BB255_10 Depth=1
	s_or_b64 exec, exec, s[38:39]
.LBB255_261:                            ;   in Loop: Header=BB255_10 Depth=1
	s_or_b64 exec, exec, s[36:37]
.LBB255_262:                            ;   in Loop: Header=BB255_10 Depth=1
	s_or_b64 exec, exec, s[34:35]
	flat_load_ushort v1, v[56:57] offset:2564
	v_pk_mov_b32 v[2:3], 0, 0
	buffer_store_dword v2, off, s[0:3], s32 offset:540 ; 4-byte Folded Spill
	s_nop 0
	buffer_store_dword v3, off, s[0:3], s32 offset:544 ; 4-byte Folded Spill
	buffer_store_dword v2, off, s[0:3], s32 offset:532 ; 4-byte Folded Spill
	s_nop 0
	buffer_store_dword v3, off, s[0:3], s32 offset:536 ; 4-byte Folded Spill
	s_waitcnt vmcnt(0) lgkmcnt(0)
	v_and_b32_e32 v0, 0xffff, v1
	v_cmp_ne_u16_sdwa vcc, v1, v53 src0_sel:BYTE_0 src1_sel:DWORD
	s_and_saveexec_b64 s[34:35], vcc
	s_cbranch_execz .LBB255_268
; %bb.263:                              ;   in Loop: Header=BB255_10 Depth=1
	v_bfrev_b32_e32 v2, 1
	v_cmp_ne_u16_sdwa vcc, v0, s19 src0_sel:BYTE_0 src1_sel:DWORD
	v_mov_b32_e32 v3, 0
	buffer_store_dword v2, off, s[0:3], s32 offset:532 ; 4-byte Folded Spill
	s_nop 0
	buffer_store_dword v3, off, s[0:3], s32 offset:536 ; 4-byte Folded Spill
	s_and_saveexec_b64 s[36:37], vcc
	s_cbranch_execz .LBB255_267
; %bb.264:                              ;   in Loop: Header=BB255_10 Depth=1
	v_and_b32_e32 v1, 0x7f, v0
	v_mov_b32_e32 v2, 0x7f800001
	v_cmp_ne_u32_e32 vcc, s41, v1
	v_mov_b32_e32 v3, 0
	buffer_store_dword v2, off, s[0:3], s32 offset:532 ; 4-byte Folded Spill
	s_nop 0
	buffer_store_dword v3, off, s[0:3], s32 offset:536 ; 4-byte Folded Spill
	s_and_saveexec_b64 s[38:39], vcc
	s_cbranch_execz .LBB255_266
; %bb.265:                              ;   in Loop: Header=BB255_10 Depth=1
	v_and_b32_e32 v4, 7, v0
	v_lshrrev_b32_e32 v5, 3, v1
	v_cmp_gt_u32_e32 vcc, 8, v1
	v_ffbh_u32_e32 v1, v4
	v_min_u32_e32 v1, 32, v1
	v_subrev_u32_e32 v2, 28, v1
	v_lshlrev_b64 v[2:3], v2, v[0:1]
	v_sub_u32_e32 v1, 29, v1
	v_and_b32_e32 v2, 7, v2
	v_cndmask_b32_e32 v1, v5, v1, vcc
	v_cndmask_b32_e32 v2, v4, v2, vcc
	v_bfrev_b32_e32 v4, 60
	v_lshlrev_b32_e32 v2, 20, v2
	v_and_b32_sdwa v3, sext(v0), s25 dst_sel:DWORD dst_unused:UNUSED_PAD src0_sel:BYTE_0 src1_sel:DWORD
	v_lshl_add_u32 v1, v1, 23, v4
	v_or3_b32 v52, v3, v1, v2
	buffer_store_dword v52, off, s[0:3], s32 offset:532 ; 4-byte Folded Spill
	s_nop 0
	buffer_store_dword v53, off, s[0:3], s32 offset:536 ; 4-byte Folded Spill
	v_mov_b32_e32 v52, v59
.LBB255_266:                            ;   in Loop: Header=BB255_10 Depth=1
	s_or_b64 exec, exec, s[38:39]
.LBB255_267:                            ;   in Loop: Header=BB255_10 Depth=1
	s_or_b64 exec, exec, s[36:37]
.LBB255_268:                            ;   in Loop: Header=BB255_10 Depth=1
	s_or_b64 exec, exec, s[34:35]
	v_cmp_ne_u16_sdwa vcc, v0, v53 src0_sel:BYTE_1 src1_sel:DWORD
	s_and_saveexec_b64 s[34:35], vcc
	s_cbranch_execz .LBB255_274
; %bb.269:                              ;   in Loop: Header=BB255_10 Depth=1
	v_cmp_ne_u16_sdwa vcc, v0, s19 src0_sel:BYTE_1 src1_sel:DWORD
	v_pk_mov_b32 v[2:3], s[24:25], s[24:25] op_sel:[0,1]
	buffer_store_dword v2, off, s[0:3], s32 offset:540 ; 4-byte Folded Spill
	s_nop 0
	buffer_store_dword v3, off, s[0:3], s32 offset:544 ; 4-byte Folded Spill
	s_and_saveexec_b64 s[36:37], vcc
	s_cbranch_execz .LBB255_273
; %bb.270:                              ;   in Loop: Header=BB255_10 Depth=1
	v_and_b32_sdwa v1, v0, s41 dst_sel:DWORD dst_unused:UNUSED_PAD src0_sel:BYTE_1 src1_sel:DWORD
	s_mov_b32 s30, s24
	v_cmp_ne_u32_e32 vcc, s41, v1
	v_pk_mov_b32 v[2:3], s[30:31], s[30:31] op_sel:[0,1]
	buffer_store_dword v2, off, s[0:3], s32 offset:540 ; 4-byte Folded Spill
	s_nop 0
	buffer_store_dword v3, off, s[0:3], s32 offset:544 ; 4-byte Folded Spill
	s_and_saveexec_b64 s[38:39], vcc
	s_cbranch_execz .LBB255_272
; %bb.271:                              ;   in Loop: Header=BB255_10 Depth=1
	v_mov_b32_e32 v2, 7
	v_and_b32_sdwa v52, v0, v2 dst_sel:DWORD dst_unused:UNUSED_PAD src0_sel:BYTE_1 src1_sel:DWORD
	v_lshrrev_b32_e32 v4, 3, v1
	v_cmp_gt_u32_e32 vcc, 8, v1
	v_ffbh_u32_e32 v1, v52
	v_min_u32_e32 v1, 32, v1
	v_subrev_u32_e32 v2, 28, v1
	v_lshlrev_b64 v[2:3], v2, v[52:53]
	v_sub_u32_e32 v1, 29, v1
	v_and_b32_e32 v2, 7, v2
	v_cndmask_b32_e32 v1, v4, v1, vcc
	v_bfrev_b32_e32 v3, 60
	v_cndmask_b32_e32 v2, v52, v2, vcc
	v_lshlrev_b32_e32 v0, 16, v0
	v_lshl_add_u32 v1, v1, 23, v3
	v_and_or_b32 v0, v0, s25, v1
	v_lshlrev_b32_e32 v1, 20, v2
	v_mov_b32_e32 v52, v59
	v_or_b32_e32 v1, v0, v1
	v_mov_b32_e32 v0, v53
	buffer_store_dword v0, off, s[0:3], s32 offset:540 ; 4-byte Folded Spill
	s_nop 0
	buffer_store_dword v1, off, s[0:3], s32 offset:544 ; 4-byte Folded Spill
.LBB255_272:                            ;   in Loop: Header=BB255_10 Depth=1
	s_or_b64 exec, exec, s[38:39]
.LBB255_273:                            ;   in Loop: Header=BB255_10 Depth=1
	s_or_b64 exec, exec, s[36:37]
.LBB255_274:                            ;   in Loop: Header=BB255_10 Depth=1
	s_or_b64 exec, exec, s[34:35]
	v_add_co_u32_e32 v0, vcc, 0xa00, v56
	v_addc_co_u32_e32 v1, vcc, 0, v57, vcc
	flat_load_ushort v3, v[0:1] offset:8
	v_pk_mov_b32 v[4:5], 0, 0
	buffer_store_dword v4, off, s[0:3], s32 offset:556 ; 4-byte Folded Spill
	s_nop 0
	buffer_store_dword v5, off, s[0:3], s32 offset:560 ; 4-byte Folded Spill
	buffer_store_dword v4, off, s[0:3], s32 offset:548 ; 4-byte Folded Spill
	s_nop 0
	buffer_store_dword v5, off, s[0:3], s32 offset:552 ; 4-byte Folded Spill
	s_waitcnt vmcnt(0) lgkmcnt(0)
	v_and_b32_e32 v2, 0xffff, v3
	v_cmp_ne_u16_sdwa vcc, v3, v53 src0_sel:BYTE_0 src1_sel:DWORD
	s_and_saveexec_b64 s[34:35], vcc
	s_cbranch_execz .LBB255_280
; %bb.275:                              ;   in Loop: Header=BB255_10 Depth=1
	v_bfrev_b32_e32 v4, 1
	v_cmp_ne_u16_sdwa vcc, v2, s19 src0_sel:BYTE_0 src1_sel:DWORD
	v_mov_b32_e32 v5, 0
	buffer_store_dword v4, off, s[0:3], s32 offset:548 ; 4-byte Folded Spill
	s_nop 0
	buffer_store_dword v5, off, s[0:3], s32 offset:552 ; 4-byte Folded Spill
	s_and_saveexec_b64 s[36:37], vcc
	s_cbranch_execz .LBB255_279
; %bb.276:                              ;   in Loop: Header=BB255_10 Depth=1
	v_and_b32_e32 v3, 0x7f, v2
	v_mov_b32_e32 v4, 0x7f800001
	v_cmp_ne_u32_e32 vcc, s41, v3
	v_mov_b32_e32 v5, 0
	buffer_store_dword v4, off, s[0:3], s32 offset:548 ; 4-byte Folded Spill
	s_nop 0
	buffer_store_dword v5, off, s[0:3], s32 offset:552 ; 4-byte Folded Spill
	s_and_saveexec_b64 s[38:39], vcc
	s_cbranch_execz .LBB255_278
; %bb.277:                              ;   in Loop: Header=BB255_10 Depth=1
	v_and_b32_e32 v6, 7, v2
	v_lshrrev_b32_e32 v7, 3, v3
	v_cmp_gt_u32_e32 vcc, 8, v3
	v_ffbh_u32_e32 v3, v6
	v_min_u32_e32 v3, 32, v3
	v_subrev_u32_e32 v4, 28, v3
	v_lshlrev_b64 v[4:5], v4, v[2:3]
	v_sub_u32_e32 v3, 29, v3
	v_and_b32_e32 v4, 7, v4
	v_cndmask_b32_e32 v3, v7, v3, vcc
	v_cndmask_b32_e32 v4, v6, v4, vcc
	v_bfrev_b32_e32 v6, 60
	v_lshlrev_b32_e32 v4, 20, v4
	v_and_b32_sdwa v5, sext(v2), s25 dst_sel:DWORD dst_unused:UNUSED_PAD src0_sel:BYTE_0 src1_sel:DWORD
	v_lshl_add_u32 v3, v3, 23, v6
	v_or3_b32 v52, v5, v3, v4
	buffer_store_dword v52, off, s[0:3], s32 offset:548 ; 4-byte Folded Spill
	s_nop 0
	buffer_store_dword v53, off, s[0:3], s32 offset:552 ; 4-byte Folded Spill
	v_mov_b32_e32 v52, v59
.LBB255_278:                            ;   in Loop: Header=BB255_10 Depth=1
	s_or_b64 exec, exec, s[38:39]
.LBB255_279:                            ;   in Loop: Header=BB255_10 Depth=1
	s_or_b64 exec, exec, s[36:37]
.LBB255_280:                            ;   in Loop: Header=BB255_10 Depth=1
	s_or_b64 exec, exec, s[34:35]
	v_cmp_ne_u16_sdwa vcc, v2, v53 src0_sel:BYTE_1 src1_sel:DWORD
	s_and_saveexec_b64 s[34:35], vcc
	s_cbranch_execz .LBB255_286
; %bb.281:                              ;   in Loop: Header=BB255_10 Depth=1
	v_cmp_ne_u16_sdwa vcc, v2, s19 src0_sel:BYTE_1 src1_sel:DWORD
	v_pk_mov_b32 v[4:5], s[24:25], s[24:25] op_sel:[0,1]
	buffer_store_dword v4, off, s[0:3], s32 offset:556 ; 4-byte Folded Spill
	s_nop 0
	buffer_store_dword v5, off, s[0:3], s32 offset:560 ; 4-byte Folded Spill
	s_and_saveexec_b64 s[36:37], vcc
	s_cbranch_execz .LBB255_285
; %bb.282:                              ;   in Loop: Header=BB255_10 Depth=1
	v_and_b32_sdwa v3, v2, s41 dst_sel:DWORD dst_unused:UNUSED_PAD src0_sel:BYTE_1 src1_sel:DWORD
	s_mov_b32 s30, s24
	v_cmp_ne_u32_e32 vcc, s41, v3
	v_pk_mov_b32 v[4:5], s[30:31], s[30:31] op_sel:[0,1]
	buffer_store_dword v4, off, s[0:3], s32 offset:556 ; 4-byte Folded Spill
	s_nop 0
	buffer_store_dword v5, off, s[0:3], s32 offset:560 ; 4-byte Folded Spill
	s_and_saveexec_b64 s[38:39], vcc
	s_cbranch_execz .LBB255_284
; %bb.283:                              ;   in Loop: Header=BB255_10 Depth=1
	v_mov_b32_e32 v4, 7
	v_and_b32_sdwa v52, v2, v4 dst_sel:DWORD dst_unused:UNUSED_PAD src0_sel:BYTE_1 src1_sel:DWORD
	v_lshrrev_b32_e32 v6, 3, v3
	v_cmp_gt_u32_e32 vcc, 8, v3
	v_ffbh_u32_e32 v3, v52
	v_min_u32_e32 v3, 32, v3
	v_subrev_u32_e32 v4, 28, v3
	v_lshlrev_b64 v[4:5], v4, v[52:53]
	v_sub_u32_e32 v3, 29, v3
	v_and_b32_e32 v4, 7, v4
	v_cndmask_b32_e32 v3, v6, v3, vcc
	v_bfrev_b32_e32 v5, 60
	v_cndmask_b32_e32 v4, v52, v4, vcc
	v_lshlrev_b32_e32 v2, 16, v2
	v_lshl_add_u32 v3, v3, 23, v5
	v_and_or_b32 v2, v2, s25, v3
	v_lshlrev_b32_e32 v3, 20, v4
	v_mov_b32_e32 v52, v59
	v_or_b32_e32 v3, v2, v3
	v_mov_b32_e32 v2, v53
	buffer_store_dword v2, off, s[0:3], s32 offset:556 ; 4-byte Folded Spill
	s_nop 0
	buffer_store_dword v3, off, s[0:3], s32 offset:560 ; 4-byte Folded Spill
.LBB255_284:                            ;   in Loop: Header=BB255_10 Depth=1
	s_or_b64 exec, exec, s[38:39]
.LBB255_285:                            ;   in Loop: Header=BB255_10 Depth=1
	s_or_b64 exec, exec, s[36:37]
.LBB255_286:                            ;   in Loop: Header=BB255_10 Depth=1
	s_or_b64 exec, exec, s[34:35]
	flat_load_ushort v1, v[0:1] offset:12
	v_pk_mov_b32 v[2:3], 0, 0
	buffer_store_dword v2, off, s[0:3], s32 offset:572 ; 4-byte Folded Spill
	s_nop 0
	buffer_store_dword v3, off, s[0:3], s32 offset:576 ; 4-byte Folded Spill
	buffer_store_dword v2, off, s[0:3], s32 offset:564 ; 4-byte Folded Spill
	s_nop 0
	buffer_store_dword v3, off, s[0:3], s32 offset:568 ; 4-byte Folded Spill
	s_waitcnt vmcnt(0) lgkmcnt(0)
	v_and_b32_e32 v0, 0xffff, v1
	v_cmp_ne_u16_sdwa vcc, v1, v53 src0_sel:BYTE_0 src1_sel:DWORD
	s_and_saveexec_b64 s[34:35], vcc
	s_cbranch_execz .LBB255_292
; %bb.287:                              ;   in Loop: Header=BB255_10 Depth=1
	v_bfrev_b32_e32 v2, 1
	v_cmp_ne_u16_sdwa vcc, v0, s19 src0_sel:BYTE_0 src1_sel:DWORD
	v_mov_b32_e32 v3, 0
	buffer_store_dword v2, off, s[0:3], s32 offset:564 ; 4-byte Folded Spill
	s_nop 0
	buffer_store_dword v3, off, s[0:3], s32 offset:568 ; 4-byte Folded Spill
	s_and_saveexec_b64 s[36:37], vcc
	s_cbranch_execz .LBB255_291
; %bb.288:                              ;   in Loop: Header=BB255_10 Depth=1
	v_and_b32_e32 v1, 0x7f, v0
	v_mov_b32_e32 v2, 0x7f800001
	v_cmp_ne_u32_e32 vcc, s41, v1
	v_mov_b32_e32 v3, 0
	buffer_store_dword v2, off, s[0:3], s32 offset:564 ; 4-byte Folded Spill
	s_nop 0
	buffer_store_dword v3, off, s[0:3], s32 offset:568 ; 4-byte Folded Spill
	s_and_saveexec_b64 s[38:39], vcc
	s_cbranch_execz .LBB255_290
; %bb.289:                              ;   in Loop: Header=BB255_10 Depth=1
	v_and_b32_e32 v4, 7, v0
	v_lshrrev_b32_e32 v5, 3, v1
	v_cmp_gt_u32_e32 vcc, 8, v1
	v_ffbh_u32_e32 v1, v4
	v_min_u32_e32 v1, 32, v1
	v_subrev_u32_e32 v2, 28, v1
	v_lshlrev_b64 v[2:3], v2, v[0:1]
	v_sub_u32_e32 v1, 29, v1
	v_and_b32_e32 v2, 7, v2
	v_cndmask_b32_e32 v1, v5, v1, vcc
	v_cndmask_b32_e32 v2, v4, v2, vcc
	v_bfrev_b32_e32 v4, 60
	v_lshlrev_b32_e32 v2, 20, v2
	v_and_b32_sdwa v3, sext(v0), s25 dst_sel:DWORD dst_unused:UNUSED_PAD src0_sel:BYTE_0 src1_sel:DWORD
	v_lshl_add_u32 v1, v1, 23, v4
	v_or3_b32 v52, v3, v1, v2
	buffer_store_dword v52, off, s[0:3], s32 offset:564 ; 4-byte Folded Spill
	s_nop 0
	buffer_store_dword v53, off, s[0:3], s32 offset:568 ; 4-byte Folded Spill
	v_mov_b32_e32 v52, v59
.LBB255_290:                            ;   in Loop: Header=BB255_10 Depth=1
	s_or_b64 exec, exec, s[38:39]
.LBB255_291:                            ;   in Loop: Header=BB255_10 Depth=1
	s_or_b64 exec, exec, s[36:37]
.LBB255_292:                            ;   in Loop: Header=BB255_10 Depth=1
	s_or_b64 exec, exec, s[34:35]
	v_cmp_ne_u16_sdwa vcc, v0, v53 src0_sel:BYTE_1 src1_sel:DWORD
	s_and_saveexec_b64 s[34:35], vcc
	s_cbranch_execz .LBB255_298
; %bb.293:                              ;   in Loop: Header=BB255_10 Depth=1
	v_cmp_ne_u16_sdwa vcc, v0, s19 src0_sel:BYTE_1 src1_sel:DWORD
	v_pk_mov_b32 v[2:3], s[24:25], s[24:25] op_sel:[0,1]
	buffer_store_dword v2, off, s[0:3], s32 offset:572 ; 4-byte Folded Spill
	s_nop 0
	buffer_store_dword v3, off, s[0:3], s32 offset:576 ; 4-byte Folded Spill
	s_and_saveexec_b64 s[36:37], vcc
	s_cbranch_execz .LBB255_297
; %bb.294:                              ;   in Loop: Header=BB255_10 Depth=1
	v_and_b32_sdwa v1, v0, s41 dst_sel:DWORD dst_unused:UNUSED_PAD src0_sel:BYTE_1 src1_sel:DWORD
	s_mov_b32 s30, s24
	v_cmp_ne_u32_e32 vcc, s41, v1
	v_pk_mov_b32 v[2:3], s[30:31], s[30:31] op_sel:[0,1]
	buffer_store_dword v2, off, s[0:3], s32 offset:572 ; 4-byte Folded Spill
	s_nop 0
	buffer_store_dword v3, off, s[0:3], s32 offset:576 ; 4-byte Folded Spill
	s_and_saveexec_b64 s[38:39], vcc
	s_cbranch_execz .LBB255_296
; %bb.295:                              ;   in Loop: Header=BB255_10 Depth=1
	v_mov_b32_e32 v2, 7
	v_and_b32_sdwa v52, v0, v2 dst_sel:DWORD dst_unused:UNUSED_PAD src0_sel:BYTE_1 src1_sel:DWORD
	v_lshrrev_b32_e32 v4, 3, v1
	v_cmp_gt_u32_e32 vcc, 8, v1
	v_ffbh_u32_e32 v1, v52
	v_min_u32_e32 v1, 32, v1
	v_subrev_u32_e32 v2, 28, v1
	v_lshlrev_b64 v[2:3], v2, v[52:53]
	v_sub_u32_e32 v1, 29, v1
	v_and_b32_e32 v2, 7, v2
	v_cndmask_b32_e32 v1, v4, v1, vcc
	v_bfrev_b32_e32 v3, 60
	v_cndmask_b32_e32 v2, v52, v2, vcc
	v_lshlrev_b32_e32 v0, 16, v0
	v_lshl_add_u32 v1, v1, 23, v3
	v_and_or_b32 v0, v0, s25, v1
	v_lshlrev_b32_e32 v1, 20, v2
	v_mov_b32_e32 v52, v59
	v_or_b32_e32 v1, v0, v1
	v_mov_b32_e32 v0, v53
	buffer_store_dword v0, off, s[0:3], s32 offset:572 ; 4-byte Folded Spill
	s_nop 0
	buffer_store_dword v1, off, s[0:3], s32 offset:576 ; 4-byte Folded Spill
.LBB255_296:                            ;   in Loop: Header=BB255_10 Depth=1
	s_or_b64 exec, exec, s[38:39]
.LBB255_297:                            ;   in Loop: Header=BB255_10 Depth=1
	s_or_b64 exec, exec, s[36:37]
.LBB255_298:                            ;   in Loop: Header=BB255_10 Depth=1
	s_or_b64 exec, exec, s[34:35]
	flat_load_ushort v1, v[56:57] offset:3072
	v_pk_mov_b32 v[2:3], 0, 0
	buffer_store_dword v2, off, s[0:3], s32 offset:588 ; 4-byte Folded Spill
	s_nop 0
	buffer_store_dword v3, off, s[0:3], s32 offset:592 ; 4-byte Folded Spill
	buffer_store_dword v2, off, s[0:3], s32 offset:580 ; 4-byte Folded Spill
	s_nop 0
	buffer_store_dword v3, off, s[0:3], s32 offset:584 ; 4-byte Folded Spill
	s_waitcnt vmcnt(0) lgkmcnt(0)
	v_and_b32_e32 v0, 0xffff, v1
	v_cmp_ne_u16_sdwa vcc, v1, v53 src0_sel:BYTE_0 src1_sel:DWORD
	s_and_saveexec_b64 s[34:35], vcc
	s_cbranch_execz .LBB255_304
; %bb.299:                              ;   in Loop: Header=BB255_10 Depth=1
	v_bfrev_b32_e32 v2, 1
	v_cmp_ne_u16_sdwa vcc, v0, s19 src0_sel:BYTE_0 src1_sel:DWORD
	v_mov_b32_e32 v3, 0
	buffer_store_dword v2, off, s[0:3], s32 offset:580 ; 4-byte Folded Spill
	s_nop 0
	buffer_store_dword v3, off, s[0:3], s32 offset:584 ; 4-byte Folded Spill
	s_and_saveexec_b64 s[36:37], vcc
	s_cbranch_execz .LBB255_303
; %bb.300:                              ;   in Loop: Header=BB255_10 Depth=1
	v_and_b32_e32 v1, 0x7f, v0
	v_mov_b32_e32 v2, 0x7f800001
	v_cmp_ne_u32_e32 vcc, s41, v1
	v_mov_b32_e32 v3, 0
	buffer_store_dword v2, off, s[0:3], s32 offset:580 ; 4-byte Folded Spill
	s_nop 0
	buffer_store_dword v3, off, s[0:3], s32 offset:584 ; 4-byte Folded Spill
	s_and_saveexec_b64 s[38:39], vcc
	s_cbranch_execz .LBB255_302
; %bb.301:                              ;   in Loop: Header=BB255_10 Depth=1
	v_and_b32_e32 v4, 7, v0
	v_lshrrev_b32_e32 v5, 3, v1
	v_cmp_gt_u32_e32 vcc, 8, v1
	v_ffbh_u32_e32 v1, v4
	v_min_u32_e32 v1, 32, v1
	v_subrev_u32_e32 v2, 28, v1
	v_lshlrev_b64 v[2:3], v2, v[0:1]
	v_sub_u32_e32 v1, 29, v1
	v_and_b32_e32 v2, 7, v2
	v_cndmask_b32_e32 v1, v5, v1, vcc
	v_cndmask_b32_e32 v2, v4, v2, vcc
	v_bfrev_b32_e32 v4, 60
	v_lshlrev_b32_e32 v2, 20, v2
	v_and_b32_sdwa v3, sext(v0), s25 dst_sel:DWORD dst_unused:UNUSED_PAD src0_sel:BYTE_0 src1_sel:DWORD
	v_lshl_add_u32 v1, v1, 23, v4
	v_or3_b32 v52, v3, v1, v2
	buffer_store_dword v52, off, s[0:3], s32 offset:580 ; 4-byte Folded Spill
	s_nop 0
	buffer_store_dword v53, off, s[0:3], s32 offset:584 ; 4-byte Folded Spill
	v_mov_b32_e32 v52, v59
.LBB255_302:                            ;   in Loop: Header=BB255_10 Depth=1
	s_or_b64 exec, exec, s[38:39]
.LBB255_303:                            ;   in Loop: Header=BB255_10 Depth=1
	s_or_b64 exec, exec, s[36:37]
.LBB255_304:                            ;   in Loop: Header=BB255_10 Depth=1
	s_or_b64 exec, exec, s[34:35]
	v_cmp_ne_u16_sdwa vcc, v0, v53 src0_sel:BYTE_1 src1_sel:DWORD
	s_and_saveexec_b64 s[34:35], vcc
	s_cbranch_execz .LBB255_310
; %bb.305:                              ;   in Loop: Header=BB255_10 Depth=1
	v_cmp_ne_u16_sdwa vcc, v0, s19 src0_sel:BYTE_1 src1_sel:DWORD
	v_pk_mov_b32 v[2:3], s[24:25], s[24:25] op_sel:[0,1]
	buffer_store_dword v2, off, s[0:3], s32 offset:588 ; 4-byte Folded Spill
	s_nop 0
	buffer_store_dword v3, off, s[0:3], s32 offset:592 ; 4-byte Folded Spill
	s_and_saveexec_b64 s[36:37], vcc
	s_cbranch_execz .LBB255_309
; %bb.306:                              ;   in Loop: Header=BB255_10 Depth=1
	v_and_b32_sdwa v1, v0, s41 dst_sel:DWORD dst_unused:UNUSED_PAD src0_sel:BYTE_1 src1_sel:DWORD
	s_mov_b32 s30, s24
	v_cmp_ne_u32_e32 vcc, s41, v1
	v_pk_mov_b32 v[2:3], s[30:31], s[30:31] op_sel:[0,1]
	buffer_store_dword v2, off, s[0:3], s32 offset:588 ; 4-byte Folded Spill
	s_nop 0
	buffer_store_dword v3, off, s[0:3], s32 offset:592 ; 4-byte Folded Spill
	s_and_saveexec_b64 s[38:39], vcc
	s_cbranch_execz .LBB255_308
; %bb.307:                              ;   in Loop: Header=BB255_10 Depth=1
	v_mov_b32_e32 v2, 7
	v_and_b32_sdwa v52, v0, v2 dst_sel:DWORD dst_unused:UNUSED_PAD src0_sel:BYTE_1 src1_sel:DWORD
	v_lshrrev_b32_e32 v4, 3, v1
	v_cmp_gt_u32_e32 vcc, 8, v1
	v_ffbh_u32_e32 v1, v52
	v_min_u32_e32 v1, 32, v1
	v_subrev_u32_e32 v2, 28, v1
	v_lshlrev_b64 v[2:3], v2, v[52:53]
	v_sub_u32_e32 v1, 29, v1
	v_and_b32_e32 v2, 7, v2
	v_cndmask_b32_e32 v1, v4, v1, vcc
	v_bfrev_b32_e32 v3, 60
	v_cndmask_b32_e32 v2, v52, v2, vcc
	v_lshlrev_b32_e32 v0, 16, v0
	v_lshl_add_u32 v1, v1, 23, v3
	v_and_or_b32 v0, v0, s25, v1
	v_lshlrev_b32_e32 v1, 20, v2
	v_mov_b32_e32 v52, v59
	v_or_b32_e32 v1, v0, v1
	v_mov_b32_e32 v0, v53
	buffer_store_dword v0, off, s[0:3], s32 offset:588 ; 4-byte Folded Spill
	s_nop 0
	buffer_store_dword v1, off, s[0:3], s32 offset:592 ; 4-byte Folded Spill
.LBB255_308:                            ;   in Loop: Header=BB255_10 Depth=1
	s_or_b64 exec, exec, s[38:39]
.LBB255_309:                            ;   in Loop: Header=BB255_10 Depth=1
	s_or_b64 exec, exec, s[36:37]
.LBB255_310:                            ;   in Loop: Header=BB255_10 Depth=1
	s_or_b64 exec, exec, s[34:35]
	flat_load_ushort v1, v[56:57] offset:3076
	v_pk_mov_b32 v[2:3], 0, 0
	buffer_store_dword v2, off, s[0:3], s32 offset:604 ; 4-byte Folded Spill
	s_nop 0
	buffer_store_dword v3, off, s[0:3], s32 offset:608 ; 4-byte Folded Spill
	buffer_store_dword v2, off, s[0:3], s32 offset:596 ; 4-byte Folded Spill
	s_nop 0
	buffer_store_dword v3, off, s[0:3], s32 offset:600 ; 4-byte Folded Spill
	s_waitcnt vmcnt(0) lgkmcnt(0)
	v_and_b32_e32 v0, 0xffff, v1
	v_cmp_ne_u16_sdwa vcc, v1, v53 src0_sel:BYTE_0 src1_sel:DWORD
	s_and_saveexec_b64 s[34:35], vcc
	s_cbranch_execz .LBB255_316
; %bb.311:                              ;   in Loop: Header=BB255_10 Depth=1
	v_bfrev_b32_e32 v2, 1
	v_cmp_ne_u16_sdwa vcc, v0, s19 src0_sel:BYTE_0 src1_sel:DWORD
	v_mov_b32_e32 v3, 0
	buffer_store_dword v2, off, s[0:3], s32 offset:596 ; 4-byte Folded Spill
	s_nop 0
	buffer_store_dword v3, off, s[0:3], s32 offset:600 ; 4-byte Folded Spill
	s_and_saveexec_b64 s[36:37], vcc
	s_cbranch_execz .LBB255_315
; %bb.312:                              ;   in Loop: Header=BB255_10 Depth=1
	v_and_b32_e32 v1, 0x7f, v0
	v_mov_b32_e32 v2, 0x7f800001
	v_cmp_ne_u32_e32 vcc, s41, v1
	v_mov_b32_e32 v3, 0
	buffer_store_dword v2, off, s[0:3], s32 offset:596 ; 4-byte Folded Spill
	s_nop 0
	buffer_store_dword v3, off, s[0:3], s32 offset:600 ; 4-byte Folded Spill
	s_and_saveexec_b64 s[38:39], vcc
	s_cbranch_execz .LBB255_314
; %bb.313:                              ;   in Loop: Header=BB255_10 Depth=1
	v_and_b32_e32 v4, 7, v0
	v_lshrrev_b32_e32 v5, 3, v1
	v_cmp_gt_u32_e32 vcc, 8, v1
	v_ffbh_u32_e32 v1, v4
	v_min_u32_e32 v1, 32, v1
	v_subrev_u32_e32 v2, 28, v1
	v_lshlrev_b64 v[2:3], v2, v[0:1]
	v_sub_u32_e32 v1, 29, v1
	v_and_b32_e32 v2, 7, v2
	v_cndmask_b32_e32 v1, v5, v1, vcc
	v_cndmask_b32_e32 v2, v4, v2, vcc
	v_bfrev_b32_e32 v4, 60
	v_lshlrev_b32_e32 v2, 20, v2
	v_and_b32_sdwa v3, sext(v0), s25 dst_sel:DWORD dst_unused:UNUSED_PAD src0_sel:BYTE_0 src1_sel:DWORD
	v_lshl_add_u32 v1, v1, 23, v4
	v_or3_b32 v52, v3, v1, v2
	buffer_store_dword v52, off, s[0:3], s32 offset:596 ; 4-byte Folded Spill
	s_nop 0
	buffer_store_dword v53, off, s[0:3], s32 offset:600 ; 4-byte Folded Spill
	v_mov_b32_e32 v52, v59
.LBB255_314:                            ;   in Loop: Header=BB255_10 Depth=1
	s_or_b64 exec, exec, s[38:39]
.LBB255_315:                            ;   in Loop: Header=BB255_10 Depth=1
	s_or_b64 exec, exec, s[36:37]
.LBB255_316:                            ;   in Loop: Header=BB255_10 Depth=1
	s_or_b64 exec, exec, s[34:35]
	v_cmp_ne_u16_sdwa vcc, v0, v53 src0_sel:BYTE_1 src1_sel:DWORD
	s_and_saveexec_b64 s[34:35], vcc
	s_cbranch_execz .LBB255_322
; %bb.317:                              ;   in Loop: Header=BB255_10 Depth=1
	v_cmp_ne_u16_sdwa vcc, v0, s19 src0_sel:BYTE_1 src1_sel:DWORD
	v_pk_mov_b32 v[2:3], s[24:25], s[24:25] op_sel:[0,1]
	buffer_store_dword v2, off, s[0:3], s32 offset:604 ; 4-byte Folded Spill
	s_nop 0
	buffer_store_dword v3, off, s[0:3], s32 offset:608 ; 4-byte Folded Spill
	s_and_saveexec_b64 s[36:37], vcc
	s_cbranch_execz .LBB255_321
; %bb.318:                              ;   in Loop: Header=BB255_10 Depth=1
	v_and_b32_sdwa v1, v0, s41 dst_sel:DWORD dst_unused:UNUSED_PAD src0_sel:BYTE_1 src1_sel:DWORD
	s_mov_b32 s30, s24
	v_cmp_ne_u32_e32 vcc, s41, v1
	v_pk_mov_b32 v[2:3], s[30:31], s[30:31] op_sel:[0,1]
	buffer_store_dword v2, off, s[0:3], s32 offset:604 ; 4-byte Folded Spill
	s_nop 0
	buffer_store_dword v3, off, s[0:3], s32 offset:608 ; 4-byte Folded Spill
	s_and_saveexec_b64 s[38:39], vcc
	s_cbranch_execz .LBB255_320
; %bb.319:                              ;   in Loop: Header=BB255_10 Depth=1
	v_mov_b32_e32 v2, 7
	v_and_b32_sdwa v52, v0, v2 dst_sel:DWORD dst_unused:UNUSED_PAD src0_sel:BYTE_1 src1_sel:DWORD
	v_lshrrev_b32_e32 v4, 3, v1
	v_cmp_gt_u32_e32 vcc, 8, v1
	v_ffbh_u32_e32 v1, v52
	v_min_u32_e32 v1, 32, v1
	v_subrev_u32_e32 v2, 28, v1
	v_lshlrev_b64 v[2:3], v2, v[52:53]
	v_sub_u32_e32 v1, 29, v1
	v_and_b32_e32 v2, 7, v2
	v_cndmask_b32_e32 v1, v4, v1, vcc
	v_bfrev_b32_e32 v3, 60
	v_cndmask_b32_e32 v2, v52, v2, vcc
	v_lshlrev_b32_e32 v0, 16, v0
	v_lshl_add_u32 v1, v1, 23, v3
	v_and_or_b32 v0, v0, s25, v1
	v_lshlrev_b32_e32 v1, 20, v2
	v_mov_b32_e32 v52, v59
	v_or_b32_e32 v1, v0, v1
	v_mov_b32_e32 v0, v53
	buffer_store_dword v0, off, s[0:3], s32 offset:604 ; 4-byte Folded Spill
	s_nop 0
	buffer_store_dword v1, off, s[0:3], s32 offset:608 ; 4-byte Folded Spill
.LBB255_320:                            ;   in Loop: Header=BB255_10 Depth=1
	s_or_b64 exec, exec, s[38:39]
.LBB255_321:                            ;   in Loop: Header=BB255_10 Depth=1
	s_or_b64 exec, exec, s[36:37]
.LBB255_322:                            ;   in Loop: Header=BB255_10 Depth=1
	s_or_b64 exec, exec, s[34:35]
	v_add_co_u32_e32 v0, vcc, 0xc00, v56
	v_addc_co_u32_e32 v1, vcc, 0, v57, vcc
	flat_load_ushort v3, v[0:1] offset:8
	v_pk_mov_b32 v[4:5], 0, 0
	buffer_store_dword v4, off, s[0:3], s32 offset:620 ; 4-byte Folded Spill
	s_nop 0
	buffer_store_dword v5, off, s[0:3], s32 offset:624 ; 4-byte Folded Spill
	buffer_store_dword v4, off, s[0:3], s32 offset:612 ; 4-byte Folded Spill
	s_nop 0
	buffer_store_dword v5, off, s[0:3], s32 offset:616 ; 4-byte Folded Spill
	s_waitcnt vmcnt(0) lgkmcnt(0)
	v_and_b32_e32 v2, 0xffff, v3
	v_cmp_ne_u16_sdwa vcc, v3, v53 src0_sel:BYTE_0 src1_sel:DWORD
	s_and_saveexec_b64 s[34:35], vcc
	s_cbranch_execz .LBB255_328
; %bb.323:                              ;   in Loop: Header=BB255_10 Depth=1
	v_bfrev_b32_e32 v4, 1
	v_cmp_ne_u16_sdwa vcc, v2, s19 src0_sel:BYTE_0 src1_sel:DWORD
	v_mov_b32_e32 v5, 0
	buffer_store_dword v4, off, s[0:3], s32 offset:612 ; 4-byte Folded Spill
	s_nop 0
	buffer_store_dword v5, off, s[0:3], s32 offset:616 ; 4-byte Folded Spill
	s_and_saveexec_b64 s[36:37], vcc
	s_cbranch_execz .LBB255_327
; %bb.324:                              ;   in Loop: Header=BB255_10 Depth=1
	v_and_b32_e32 v3, 0x7f, v2
	v_mov_b32_e32 v4, 0x7f800001
	v_cmp_ne_u32_e32 vcc, s41, v3
	v_mov_b32_e32 v5, 0
	buffer_store_dword v4, off, s[0:3], s32 offset:612 ; 4-byte Folded Spill
	s_nop 0
	buffer_store_dword v5, off, s[0:3], s32 offset:616 ; 4-byte Folded Spill
	s_and_saveexec_b64 s[38:39], vcc
	s_cbranch_execz .LBB255_326
; %bb.325:                              ;   in Loop: Header=BB255_10 Depth=1
	v_and_b32_e32 v6, 7, v2
	v_lshrrev_b32_e32 v7, 3, v3
	v_cmp_gt_u32_e32 vcc, 8, v3
	v_ffbh_u32_e32 v3, v6
	v_min_u32_e32 v3, 32, v3
	v_subrev_u32_e32 v4, 28, v3
	v_lshlrev_b64 v[4:5], v4, v[2:3]
	v_sub_u32_e32 v3, 29, v3
	v_and_b32_e32 v4, 7, v4
	v_cndmask_b32_e32 v3, v7, v3, vcc
	v_cndmask_b32_e32 v4, v6, v4, vcc
	v_bfrev_b32_e32 v6, 60
	v_lshlrev_b32_e32 v4, 20, v4
	v_and_b32_sdwa v5, sext(v2), s25 dst_sel:DWORD dst_unused:UNUSED_PAD src0_sel:BYTE_0 src1_sel:DWORD
	v_lshl_add_u32 v3, v3, 23, v6
	v_or3_b32 v52, v5, v3, v4
	buffer_store_dword v52, off, s[0:3], s32 offset:612 ; 4-byte Folded Spill
	s_nop 0
	buffer_store_dword v53, off, s[0:3], s32 offset:616 ; 4-byte Folded Spill
	v_mov_b32_e32 v52, v59
.LBB255_326:                            ;   in Loop: Header=BB255_10 Depth=1
	s_or_b64 exec, exec, s[38:39]
.LBB255_327:                            ;   in Loop: Header=BB255_10 Depth=1
	s_or_b64 exec, exec, s[36:37]
.LBB255_328:                            ;   in Loop: Header=BB255_10 Depth=1
	s_or_b64 exec, exec, s[34:35]
	v_cmp_ne_u16_sdwa vcc, v2, v53 src0_sel:BYTE_1 src1_sel:DWORD
	s_and_saveexec_b64 s[34:35], vcc
	s_cbranch_execz .LBB255_334
; %bb.329:                              ;   in Loop: Header=BB255_10 Depth=1
	v_cmp_ne_u16_sdwa vcc, v2, s19 src0_sel:BYTE_1 src1_sel:DWORD
	v_pk_mov_b32 v[4:5], s[24:25], s[24:25] op_sel:[0,1]
	buffer_store_dword v4, off, s[0:3], s32 offset:620 ; 4-byte Folded Spill
	s_nop 0
	buffer_store_dword v5, off, s[0:3], s32 offset:624 ; 4-byte Folded Spill
	s_and_saveexec_b64 s[36:37], vcc
	s_cbranch_execz .LBB255_333
; %bb.330:                              ;   in Loop: Header=BB255_10 Depth=1
	v_and_b32_sdwa v3, v2, s41 dst_sel:DWORD dst_unused:UNUSED_PAD src0_sel:BYTE_1 src1_sel:DWORD
	s_mov_b32 s30, s24
	v_cmp_ne_u32_e32 vcc, s41, v3
	v_pk_mov_b32 v[4:5], s[30:31], s[30:31] op_sel:[0,1]
	buffer_store_dword v4, off, s[0:3], s32 offset:620 ; 4-byte Folded Spill
	s_nop 0
	buffer_store_dword v5, off, s[0:3], s32 offset:624 ; 4-byte Folded Spill
	s_and_saveexec_b64 s[38:39], vcc
	s_cbranch_execz .LBB255_332
; %bb.331:                              ;   in Loop: Header=BB255_10 Depth=1
	v_mov_b32_e32 v4, 7
	v_and_b32_sdwa v52, v2, v4 dst_sel:DWORD dst_unused:UNUSED_PAD src0_sel:BYTE_1 src1_sel:DWORD
	v_lshrrev_b32_e32 v6, 3, v3
	v_cmp_gt_u32_e32 vcc, 8, v3
	v_ffbh_u32_e32 v3, v52
	v_min_u32_e32 v3, 32, v3
	v_subrev_u32_e32 v4, 28, v3
	v_lshlrev_b64 v[4:5], v4, v[52:53]
	v_sub_u32_e32 v3, 29, v3
	v_and_b32_e32 v4, 7, v4
	v_cndmask_b32_e32 v3, v6, v3, vcc
	v_bfrev_b32_e32 v5, 60
	v_cndmask_b32_e32 v4, v52, v4, vcc
	v_lshlrev_b32_e32 v2, 16, v2
	v_lshl_add_u32 v3, v3, 23, v5
	v_and_or_b32 v2, v2, s25, v3
	v_lshlrev_b32_e32 v3, 20, v4
	v_mov_b32_e32 v52, v59
	v_or_b32_e32 v3, v2, v3
	v_mov_b32_e32 v2, v53
	buffer_store_dword v2, off, s[0:3], s32 offset:620 ; 4-byte Folded Spill
	s_nop 0
	buffer_store_dword v3, off, s[0:3], s32 offset:624 ; 4-byte Folded Spill
.LBB255_332:                            ;   in Loop: Header=BB255_10 Depth=1
	s_or_b64 exec, exec, s[38:39]
.LBB255_333:                            ;   in Loop: Header=BB255_10 Depth=1
	s_or_b64 exec, exec, s[36:37]
.LBB255_334:                            ;   in Loop: Header=BB255_10 Depth=1
	s_or_b64 exec, exec, s[34:35]
	flat_load_ushort v1, v[0:1] offset:12
	v_pk_mov_b32 v[2:3], 0, 0
	buffer_store_dword v2, off, s[0:3], s32 offset:636 ; 4-byte Folded Spill
	s_nop 0
	buffer_store_dword v3, off, s[0:3], s32 offset:640 ; 4-byte Folded Spill
	buffer_store_dword v2, off, s[0:3], s32 offset:628 ; 4-byte Folded Spill
	s_nop 0
	buffer_store_dword v3, off, s[0:3], s32 offset:632 ; 4-byte Folded Spill
	s_waitcnt vmcnt(0) lgkmcnt(0)
	v_and_b32_e32 v0, 0xffff, v1
	v_cmp_ne_u16_sdwa vcc, v1, v53 src0_sel:BYTE_0 src1_sel:DWORD
	s_and_saveexec_b64 s[34:35], vcc
	s_cbranch_execz .LBB255_340
; %bb.335:                              ;   in Loop: Header=BB255_10 Depth=1
	v_bfrev_b32_e32 v2, 1
	v_cmp_ne_u16_sdwa vcc, v0, s19 src0_sel:BYTE_0 src1_sel:DWORD
	v_mov_b32_e32 v3, 0
	buffer_store_dword v2, off, s[0:3], s32 offset:628 ; 4-byte Folded Spill
	s_nop 0
	buffer_store_dword v3, off, s[0:3], s32 offset:632 ; 4-byte Folded Spill
	s_and_saveexec_b64 s[36:37], vcc
	s_cbranch_execz .LBB255_339
; %bb.336:                              ;   in Loop: Header=BB255_10 Depth=1
	v_and_b32_e32 v1, 0x7f, v0
	v_mov_b32_e32 v2, 0x7f800001
	v_cmp_ne_u32_e32 vcc, s41, v1
	v_mov_b32_e32 v3, 0
	buffer_store_dword v2, off, s[0:3], s32 offset:628 ; 4-byte Folded Spill
	s_nop 0
	buffer_store_dword v3, off, s[0:3], s32 offset:632 ; 4-byte Folded Spill
	s_and_saveexec_b64 s[38:39], vcc
	s_cbranch_execz .LBB255_338
; %bb.337:                              ;   in Loop: Header=BB255_10 Depth=1
	v_and_b32_e32 v4, 7, v0
	v_lshrrev_b32_e32 v5, 3, v1
	v_cmp_gt_u32_e32 vcc, 8, v1
	v_ffbh_u32_e32 v1, v4
	v_min_u32_e32 v1, 32, v1
	v_subrev_u32_e32 v2, 28, v1
	v_lshlrev_b64 v[2:3], v2, v[0:1]
	v_sub_u32_e32 v1, 29, v1
	v_and_b32_e32 v2, 7, v2
	v_cndmask_b32_e32 v1, v5, v1, vcc
	v_cndmask_b32_e32 v2, v4, v2, vcc
	v_bfrev_b32_e32 v4, 60
	v_lshlrev_b32_e32 v2, 20, v2
	v_and_b32_sdwa v3, sext(v0), s25 dst_sel:DWORD dst_unused:UNUSED_PAD src0_sel:BYTE_0 src1_sel:DWORD
	v_lshl_add_u32 v1, v1, 23, v4
	v_or3_b32 v52, v3, v1, v2
	buffer_store_dword v52, off, s[0:3], s32 offset:628 ; 4-byte Folded Spill
	s_nop 0
	buffer_store_dword v53, off, s[0:3], s32 offset:632 ; 4-byte Folded Spill
	v_mov_b32_e32 v52, v59
.LBB255_338:                            ;   in Loop: Header=BB255_10 Depth=1
	s_or_b64 exec, exec, s[38:39]
.LBB255_339:                            ;   in Loop: Header=BB255_10 Depth=1
	s_or_b64 exec, exec, s[36:37]
.LBB255_340:                            ;   in Loop: Header=BB255_10 Depth=1
	s_or_b64 exec, exec, s[34:35]
	v_cmp_ne_u16_sdwa vcc, v0, v53 src0_sel:BYTE_1 src1_sel:DWORD
	s_and_saveexec_b64 s[34:35], vcc
	s_cbranch_execz .LBB255_346
; %bb.341:                              ;   in Loop: Header=BB255_10 Depth=1
	v_cmp_ne_u16_sdwa vcc, v0, s19 src0_sel:BYTE_1 src1_sel:DWORD
	v_pk_mov_b32 v[2:3], s[24:25], s[24:25] op_sel:[0,1]
	buffer_store_dword v2, off, s[0:3], s32 offset:636 ; 4-byte Folded Spill
	s_nop 0
	buffer_store_dword v3, off, s[0:3], s32 offset:640 ; 4-byte Folded Spill
	s_and_saveexec_b64 s[36:37], vcc
	s_cbranch_execz .LBB255_345
; %bb.342:                              ;   in Loop: Header=BB255_10 Depth=1
	v_and_b32_sdwa v1, v0, s41 dst_sel:DWORD dst_unused:UNUSED_PAD src0_sel:BYTE_1 src1_sel:DWORD
	s_mov_b32 s30, s24
	v_cmp_ne_u32_e32 vcc, s41, v1
	v_pk_mov_b32 v[2:3], s[30:31], s[30:31] op_sel:[0,1]
	buffer_store_dword v2, off, s[0:3], s32 offset:636 ; 4-byte Folded Spill
	s_nop 0
	buffer_store_dword v3, off, s[0:3], s32 offset:640 ; 4-byte Folded Spill
	s_and_saveexec_b64 s[38:39], vcc
	s_cbranch_execz .LBB255_344
; %bb.343:                              ;   in Loop: Header=BB255_10 Depth=1
	v_mov_b32_e32 v2, 7
	v_and_b32_sdwa v52, v0, v2 dst_sel:DWORD dst_unused:UNUSED_PAD src0_sel:BYTE_1 src1_sel:DWORD
	v_lshrrev_b32_e32 v4, 3, v1
	v_cmp_gt_u32_e32 vcc, 8, v1
	v_ffbh_u32_e32 v1, v52
	v_min_u32_e32 v1, 32, v1
	v_subrev_u32_e32 v2, 28, v1
	v_lshlrev_b64 v[2:3], v2, v[52:53]
	v_sub_u32_e32 v1, 29, v1
	v_and_b32_e32 v2, 7, v2
	v_cndmask_b32_e32 v1, v4, v1, vcc
	v_bfrev_b32_e32 v3, 60
	v_cndmask_b32_e32 v2, v52, v2, vcc
	v_lshlrev_b32_e32 v0, 16, v0
	v_lshl_add_u32 v1, v1, 23, v3
	v_and_or_b32 v0, v0, s25, v1
	v_lshlrev_b32_e32 v1, 20, v2
	v_mov_b32_e32 v52, v59
	v_or_b32_e32 v1, v0, v1
	v_mov_b32_e32 v0, v53
	buffer_store_dword v0, off, s[0:3], s32 offset:636 ; 4-byte Folded Spill
	s_nop 0
	buffer_store_dword v1, off, s[0:3], s32 offset:640 ; 4-byte Folded Spill
.LBB255_344:                            ;   in Loop: Header=BB255_10 Depth=1
	s_or_b64 exec, exec, s[38:39]
.LBB255_345:                            ;   in Loop: Header=BB255_10 Depth=1
	s_or_b64 exec, exec, s[36:37]
.LBB255_346:                            ;   in Loop: Header=BB255_10 Depth=1
	s_or_b64 exec, exec, s[34:35]
	flat_load_ushort v1, v[56:57] offset:3584
	v_pk_mov_b32 v[2:3], 0, 0
	buffer_store_dword v2, off, s[0:3], s32 offset:652 ; 4-byte Folded Spill
	s_nop 0
	buffer_store_dword v3, off, s[0:3], s32 offset:656 ; 4-byte Folded Spill
	buffer_store_dword v2, off, s[0:3], s32 offset:644 ; 4-byte Folded Spill
	s_nop 0
	buffer_store_dword v3, off, s[0:3], s32 offset:648 ; 4-byte Folded Spill
	s_waitcnt vmcnt(0) lgkmcnt(0)
	v_and_b32_e32 v0, 0xffff, v1
	v_cmp_ne_u16_sdwa vcc, v1, v53 src0_sel:BYTE_0 src1_sel:DWORD
	s_and_saveexec_b64 s[34:35], vcc
	s_cbranch_execz .LBB255_352
; %bb.347:                              ;   in Loop: Header=BB255_10 Depth=1
	v_bfrev_b32_e32 v2, 1
	v_cmp_ne_u16_sdwa vcc, v0, s19 src0_sel:BYTE_0 src1_sel:DWORD
	v_mov_b32_e32 v3, 0
	buffer_store_dword v2, off, s[0:3], s32 offset:644 ; 4-byte Folded Spill
	s_nop 0
	buffer_store_dword v3, off, s[0:3], s32 offset:648 ; 4-byte Folded Spill
	s_and_saveexec_b64 s[36:37], vcc
	s_cbranch_execz .LBB255_351
; %bb.348:                              ;   in Loop: Header=BB255_10 Depth=1
	v_and_b32_e32 v1, 0x7f, v0
	v_mov_b32_e32 v2, 0x7f800001
	v_cmp_ne_u32_e32 vcc, s41, v1
	v_mov_b32_e32 v3, 0
	buffer_store_dword v2, off, s[0:3], s32 offset:644 ; 4-byte Folded Spill
	s_nop 0
	buffer_store_dword v3, off, s[0:3], s32 offset:648 ; 4-byte Folded Spill
	s_and_saveexec_b64 s[38:39], vcc
	s_cbranch_execz .LBB255_350
; %bb.349:                              ;   in Loop: Header=BB255_10 Depth=1
	v_and_b32_e32 v4, 7, v0
	v_lshrrev_b32_e32 v5, 3, v1
	v_cmp_gt_u32_e32 vcc, 8, v1
	v_ffbh_u32_e32 v1, v4
	v_min_u32_e32 v1, 32, v1
	v_subrev_u32_e32 v2, 28, v1
	v_lshlrev_b64 v[2:3], v2, v[0:1]
	v_sub_u32_e32 v1, 29, v1
	v_and_b32_e32 v2, 7, v2
	v_cndmask_b32_e32 v1, v5, v1, vcc
	v_cndmask_b32_e32 v2, v4, v2, vcc
	v_bfrev_b32_e32 v4, 60
	v_lshlrev_b32_e32 v2, 20, v2
	v_and_b32_sdwa v3, sext(v0), s25 dst_sel:DWORD dst_unused:UNUSED_PAD src0_sel:BYTE_0 src1_sel:DWORD
	v_lshl_add_u32 v1, v1, 23, v4
	v_or3_b32 v52, v3, v1, v2
	buffer_store_dword v52, off, s[0:3], s32 offset:644 ; 4-byte Folded Spill
	s_nop 0
	buffer_store_dword v53, off, s[0:3], s32 offset:648 ; 4-byte Folded Spill
	v_mov_b32_e32 v52, v59
.LBB255_350:                            ;   in Loop: Header=BB255_10 Depth=1
	s_or_b64 exec, exec, s[38:39]
.LBB255_351:                            ;   in Loop: Header=BB255_10 Depth=1
	s_or_b64 exec, exec, s[36:37]
.LBB255_352:                            ;   in Loop: Header=BB255_10 Depth=1
	s_or_b64 exec, exec, s[34:35]
	v_cmp_ne_u16_sdwa vcc, v0, v53 src0_sel:BYTE_1 src1_sel:DWORD
	s_and_saveexec_b64 s[34:35], vcc
	s_cbranch_execz .LBB255_358
; %bb.353:                              ;   in Loop: Header=BB255_10 Depth=1
	v_cmp_ne_u16_sdwa vcc, v0, s19 src0_sel:BYTE_1 src1_sel:DWORD
	v_pk_mov_b32 v[2:3], s[24:25], s[24:25] op_sel:[0,1]
	buffer_store_dword v2, off, s[0:3], s32 offset:652 ; 4-byte Folded Spill
	s_nop 0
	buffer_store_dword v3, off, s[0:3], s32 offset:656 ; 4-byte Folded Spill
	s_and_saveexec_b64 s[36:37], vcc
	s_cbranch_execz .LBB255_357
; %bb.354:                              ;   in Loop: Header=BB255_10 Depth=1
	v_and_b32_sdwa v1, v0, s41 dst_sel:DWORD dst_unused:UNUSED_PAD src0_sel:BYTE_1 src1_sel:DWORD
	s_mov_b32 s30, s24
	v_cmp_ne_u32_e32 vcc, s41, v1
	v_pk_mov_b32 v[2:3], s[30:31], s[30:31] op_sel:[0,1]
	buffer_store_dword v2, off, s[0:3], s32 offset:652 ; 4-byte Folded Spill
	s_nop 0
	buffer_store_dword v3, off, s[0:3], s32 offset:656 ; 4-byte Folded Spill
	s_and_saveexec_b64 s[38:39], vcc
	s_cbranch_execz .LBB255_356
; %bb.355:                              ;   in Loop: Header=BB255_10 Depth=1
	v_mov_b32_e32 v2, 7
	v_and_b32_sdwa v52, v0, v2 dst_sel:DWORD dst_unused:UNUSED_PAD src0_sel:BYTE_1 src1_sel:DWORD
	v_lshrrev_b32_e32 v4, 3, v1
	v_cmp_gt_u32_e32 vcc, 8, v1
	v_ffbh_u32_e32 v1, v52
	v_min_u32_e32 v1, 32, v1
	v_subrev_u32_e32 v2, 28, v1
	v_lshlrev_b64 v[2:3], v2, v[52:53]
	v_sub_u32_e32 v1, 29, v1
	v_and_b32_e32 v2, 7, v2
	v_cndmask_b32_e32 v1, v4, v1, vcc
	v_bfrev_b32_e32 v3, 60
	v_cndmask_b32_e32 v2, v52, v2, vcc
	v_lshlrev_b32_e32 v0, 16, v0
	v_lshl_add_u32 v1, v1, 23, v3
	v_and_or_b32 v0, v0, s25, v1
	v_lshlrev_b32_e32 v1, 20, v2
	v_mov_b32_e32 v52, v59
	v_or_b32_e32 v1, v0, v1
	v_mov_b32_e32 v0, v53
	buffer_store_dword v0, off, s[0:3], s32 offset:652 ; 4-byte Folded Spill
	s_nop 0
	buffer_store_dword v1, off, s[0:3], s32 offset:656 ; 4-byte Folded Spill
.LBB255_356:                            ;   in Loop: Header=BB255_10 Depth=1
	s_or_b64 exec, exec, s[38:39]
.LBB255_357:                            ;   in Loop: Header=BB255_10 Depth=1
	s_or_b64 exec, exec, s[36:37]
.LBB255_358:                            ;   in Loop: Header=BB255_10 Depth=1
	s_or_b64 exec, exec, s[34:35]
	flat_load_ushort v1, v[56:57] offset:3588
	v_pk_mov_b32 v[2:3], 0, 0
	buffer_store_dword v2, off, s[0:3], s32 offset:668 ; 4-byte Folded Spill
	s_nop 0
	buffer_store_dword v3, off, s[0:3], s32 offset:672 ; 4-byte Folded Spill
	buffer_store_dword v2, off, s[0:3], s32 offset:660 ; 4-byte Folded Spill
	s_nop 0
	buffer_store_dword v3, off, s[0:3], s32 offset:664 ; 4-byte Folded Spill
	s_waitcnt vmcnt(0) lgkmcnt(0)
	v_and_b32_e32 v0, 0xffff, v1
	v_cmp_ne_u16_sdwa vcc, v1, v53 src0_sel:BYTE_0 src1_sel:DWORD
	s_and_saveexec_b64 s[34:35], vcc
	s_cbranch_execz .LBB255_364
; %bb.359:                              ;   in Loop: Header=BB255_10 Depth=1
	v_bfrev_b32_e32 v2, 1
	v_cmp_ne_u16_sdwa vcc, v0, s19 src0_sel:BYTE_0 src1_sel:DWORD
	v_mov_b32_e32 v3, 0
	buffer_store_dword v2, off, s[0:3], s32 offset:660 ; 4-byte Folded Spill
	s_nop 0
	buffer_store_dword v3, off, s[0:3], s32 offset:664 ; 4-byte Folded Spill
	s_and_saveexec_b64 s[36:37], vcc
	s_cbranch_execz .LBB255_363
; %bb.360:                              ;   in Loop: Header=BB255_10 Depth=1
	v_and_b32_e32 v1, 0x7f, v0
	v_mov_b32_e32 v2, 0x7f800001
	v_cmp_ne_u32_e32 vcc, s41, v1
	v_mov_b32_e32 v3, 0
	buffer_store_dword v2, off, s[0:3], s32 offset:660 ; 4-byte Folded Spill
	s_nop 0
	buffer_store_dword v3, off, s[0:3], s32 offset:664 ; 4-byte Folded Spill
	s_and_saveexec_b64 s[38:39], vcc
	s_cbranch_execz .LBB255_362
; %bb.361:                              ;   in Loop: Header=BB255_10 Depth=1
	v_and_b32_e32 v4, 7, v0
	v_lshrrev_b32_e32 v5, 3, v1
	v_cmp_gt_u32_e32 vcc, 8, v1
	v_ffbh_u32_e32 v1, v4
	v_min_u32_e32 v1, 32, v1
	v_subrev_u32_e32 v2, 28, v1
	v_lshlrev_b64 v[2:3], v2, v[0:1]
	v_sub_u32_e32 v1, 29, v1
	v_and_b32_e32 v2, 7, v2
	v_cndmask_b32_e32 v1, v5, v1, vcc
	v_cndmask_b32_e32 v2, v4, v2, vcc
	v_bfrev_b32_e32 v4, 60
	v_lshlrev_b32_e32 v2, 20, v2
	v_and_b32_sdwa v3, sext(v0), s25 dst_sel:DWORD dst_unused:UNUSED_PAD src0_sel:BYTE_0 src1_sel:DWORD
	v_lshl_add_u32 v1, v1, 23, v4
	v_or3_b32 v52, v3, v1, v2
	buffer_store_dword v52, off, s[0:3], s32 offset:660 ; 4-byte Folded Spill
	s_nop 0
	buffer_store_dword v53, off, s[0:3], s32 offset:664 ; 4-byte Folded Spill
	v_mov_b32_e32 v52, v59
.LBB255_362:                            ;   in Loop: Header=BB255_10 Depth=1
	s_or_b64 exec, exec, s[38:39]
.LBB255_363:                            ;   in Loop: Header=BB255_10 Depth=1
	s_or_b64 exec, exec, s[36:37]
.LBB255_364:                            ;   in Loop: Header=BB255_10 Depth=1
	s_or_b64 exec, exec, s[34:35]
	v_cmp_ne_u16_sdwa vcc, v0, v53 src0_sel:BYTE_1 src1_sel:DWORD
	s_and_saveexec_b64 s[34:35], vcc
	s_cbranch_execz .LBB255_370
; %bb.365:                              ;   in Loop: Header=BB255_10 Depth=1
	v_cmp_ne_u16_sdwa vcc, v0, s19 src0_sel:BYTE_1 src1_sel:DWORD
	v_pk_mov_b32 v[2:3], s[24:25], s[24:25] op_sel:[0,1]
	buffer_store_dword v2, off, s[0:3], s32 offset:668 ; 4-byte Folded Spill
	s_nop 0
	buffer_store_dword v3, off, s[0:3], s32 offset:672 ; 4-byte Folded Spill
	s_and_saveexec_b64 s[36:37], vcc
	s_cbranch_execz .LBB255_369
; %bb.366:                              ;   in Loop: Header=BB255_10 Depth=1
	v_and_b32_sdwa v1, v0, s41 dst_sel:DWORD dst_unused:UNUSED_PAD src0_sel:BYTE_1 src1_sel:DWORD
	s_mov_b32 s30, s24
	v_cmp_ne_u32_e32 vcc, s41, v1
	v_pk_mov_b32 v[2:3], s[30:31], s[30:31] op_sel:[0,1]
	buffer_store_dword v2, off, s[0:3], s32 offset:668 ; 4-byte Folded Spill
	s_nop 0
	buffer_store_dword v3, off, s[0:3], s32 offset:672 ; 4-byte Folded Spill
	s_and_saveexec_b64 s[38:39], vcc
	s_cbranch_execz .LBB255_368
; %bb.367:                              ;   in Loop: Header=BB255_10 Depth=1
	v_mov_b32_e32 v2, 7
	v_and_b32_sdwa v52, v0, v2 dst_sel:DWORD dst_unused:UNUSED_PAD src0_sel:BYTE_1 src1_sel:DWORD
	v_lshrrev_b32_e32 v4, 3, v1
	v_cmp_gt_u32_e32 vcc, 8, v1
	v_ffbh_u32_e32 v1, v52
	v_min_u32_e32 v1, 32, v1
	v_subrev_u32_e32 v2, 28, v1
	v_lshlrev_b64 v[2:3], v2, v[52:53]
	v_sub_u32_e32 v1, 29, v1
	v_and_b32_e32 v2, 7, v2
	v_cndmask_b32_e32 v1, v4, v1, vcc
	v_bfrev_b32_e32 v3, 60
	v_cndmask_b32_e32 v2, v52, v2, vcc
	v_lshlrev_b32_e32 v0, 16, v0
	v_lshl_add_u32 v1, v1, 23, v3
	v_and_or_b32 v0, v0, s25, v1
	v_lshlrev_b32_e32 v1, 20, v2
	v_mov_b32_e32 v52, v59
	v_or_b32_e32 v1, v0, v1
	v_mov_b32_e32 v0, v53
	buffer_store_dword v0, off, s[0:3], s32 offset:668 ; 4-byte Folded Spill
	s_nop 0
	buffer_store_dword v1, off, s[0:3], s32 offset:672 ; 4-byte Folded Spill
.LBB255_368:                            ;   in Loop: Header=BB255_10 Depth=1
	s_or_b64 exec, exec, s[38:39]
.LBB255_369:                            ;   in Loop: Header=BB255_10 Depth=1
	s_or_b64 exec, exec, s[36:37]
.LBB255_370:                            ;   in Loop: Header=BB255_10 Depth=1
	s_or_b64 exec, exec, s[34:35]
	v_add_co_u32_e32 v0, vcc, 0xe00, v56
	v_addc_co_u32_e32 v1, vcc, 0, v57, vcc
	flat_load_ushort v3, v[0:1] offset:8
	v_pk_mov_b32 v[4:5], 0, 0
	buffer_store_dword v4, off, s[0:3], s32 offset:684 ; 4-byte Folded Spill
	s_nop 0
	buffer_store_dword v5, off, s[0:3], s32 offset:688 ; 4-byte Folded Spill
	buffer_store_dword v4, off, s[0:3], s32 offset:676 ; 4-byte Folded Spill
	s_nop 0
	buffer_store_dword v5, off, s[0:3], s32 offset:680 ; 4-byte Folded Spill
	s_waitcnt vmcnt(0) lgkmcnt(0)
	v_and_b32_e32 v2, 0xffff, v3
	v_cmp_ne_u16_sdwa vcc, v3, v53 src0_sel:BYTE_0 src1_sel:DWORD
	s_and_saveexec_b64 s[34:35], vcc
	s_cbranch_execz .LBB255_376
; %bb.371:                              ;   in Loop: Header=BB255_10 Depth=1
	v_bfrev_b32_e32 v4, 1
	v_cmp_ne_u16_sdwa vcc, v2, s19 src0_sel:BYTE_0 src1_sel:DWORD
	v_mov_b32_e32 v5, 0
	buffer_store_dword v4, off, s[0:3], s32 offset:676 ; 4-byte Folded Spill
	s_nop 0
	buffer_store_dword v5, off, s[0:3], s32 offset:680 ; 4-byte Folded Spill
	s_and_saveexec_b64 s[36:37], vcc
	s_cbranch_execz .LBB255_375
; %bb.372:                              ;   in Loop: Header=BB255_10 Depth=1
	v_and_b32_e32 v3, 0x7f, v2
	v_mov_b32_e32 v4, 0x7f800001
	v_cmp_ne_u32_e32 vcc, s41, v3
	v_mov_b32_e32 v5, 0
	buffer_store_dword v4, off, s[0:3], s32 offset:676 ; 4-byte Folded Spill
	s_nop 0
	buffer_store_dword v5, off, s[0:3], s32 offset:680 ; 4-byte Folded Spill
	s_and_saveexec_b64 s[38:39], vcc
	s_cbranch_execz .LBB255_374
; %bb.373:                              ;   in Loop: Header=BB255_10 Depth=1
	v_and_b32_e32 v6, 7, v2
	v_lshrrev_b32_e32 v7, 3, v3
	v_cmp_gt_u32_e32 vcc, 8, v3
	v_ffbh_u32_e32 v3, v6
	v_min_u32_e32 v3, 32, v3
	v_subrev_u32_e32 v4, 28, v3
	v_lshlrev_b64 v[4:5], v4, v[2:3]
	v_sub_u32_e32 v3, 29, v3
	v_and_b32_e32 v4, 7, v4
	v_cndmask_b32_e32 v3, v7, v3, vcc
	v_cndmask_b32_e32 v4, v6, v4, vcc
	v_bfrev_b32_e32 v6, 60
	v_lshlrev_b32_e32 v4, 20, v4
	v_and_b32_sdwa v5, sext(v2), s25 dst_sel:DWORD dst_unused:UNUSED_PAD src0_sel:BYTE_0 src1_sel:DWORD
	v_lshl_add_u32 v3, v3, 23, v6
	v_or3_b32 v52, v5, v3, v4
	buffer_store_dword v52, off, s[0:3], s32 offset:676 ; 4-byte Folded Spill
	s_nop 0
	buffer_store_dword v53, off, s[0:3], s32 offset:680 ; 4-byte Folded Spill
	v_mov_b32_e32 v52, v59
.LBB255_374:                            ;   in Loop: Header=BB255_10 Depth=1
	s_or_b64 exec, exec, s[38:39]
.LBB255_375:                            ;   in Loop: Header=BB255_10 Depth=1
	s_or_b64 exec, exec, s[36:37]
.LBB255_376:                            ;   in Loop: Header=BB255_10 Depth=1
	s_or_b64 exec, exec, s[34:35]
	v_cmp_ne_u16_sdwa vcc, v2, v53 src0_sel:BYTE_1 src1_sel:DWORD
	s_and_saveexec_b64 s[34:35], vcc
	s_cbranch_execz .LBB255_382
; %bb.377:                              ;   in Loop: Header=BB255_10 Depth=1
	v_cmp_ne_u16_sdwa vcc, v2, s19 src0_sel:BYTE_1 src1_sel:DWORD
	v_pk_mov_b32 v[4:5], s[24:25], s[24:25] op_sel:[0,1]
	buffer_store_dword v4, off, s[0:3], s32 offset:684 ; 4-byte Folded Spill
	s_nop 0
	buffer_store_dword v5, off, s[0:3], s32 offset:688 ; 4-byte Folded Spill
	s_and_saveexec_b64 s[36:37], vcc
	s_cbranch_execz .LBB255_381
; %bb.378:                              ;   in Loop: Header=BB255_10 Depth=1
	v_and_b32_sdwa v3, v2, s41 dst_sel:DWORD dst_unused:UNUSED_PAD src0_sel:BYTE_1 src1_sel:DWORD
	s_mov_b32 s30, s24
	v_cmp_ne_u32_e32 vcc, s41, v3
	v_pk_mov_b32 v[4:5], s[30:31], s[30:31] op_sel:[0,1]
	buffer_store_dword v4, off, s[0:3], s32 offset:684 ; 4-byte Folded Spill
	s_nop 0
	buffer_store_dword v5, off, s[0:3], s32 offset:688 ; 4-byte Folded Spill
	s_and_saveexec_b64 s[38:39], vcc
	s_cbranch_execz .LBB255_380
; %bb.379:                              ;   in Loop: Header=BB255_10 Depth=1
	v_mov_b32_e32 v4, 7
	v_and_b32_sdwa v52, v2, v4 dst_sel:DWORD dst_unused:UNUSED_PAD src0_sel:BYTE_1 src1_sel:DWORD
	v_lshrrev_b32_e32 v6, 3, v3
	v_cmp_gt_u32_e32 vcc, 8, v3
	v_ffbh_u32_e32 v3, v52
	v_min_u32_e32 v3, 32, v3
	v_subrev_u32_e32 v4, 28, v3
	v_lshlrev_b64 v[4:5], v4, v[52:53]
	v_sub_u32_e32 v3, 29, v3
	v_and_b32_e32 v4, 7, v4
	v_cndmask_b32_e32 v3, v6, v3, vcc
	v_bfrev_b32_e32 v5, 60
	v_cndmask_b32_e32 v4, v52, v4, vcc
	v_lshlrev_b32_e32 v2, 16, v2
	v_lshl_add_u32 v3, v3, 23, v5
	v_and_or_b32 v2, v2, s25, v3
	v_lshlrev_b32_e32 v3, 20, v4
	v_mov_b32_e32 v52, v59
	v_or_b32_e32 v3, v2, v3
	v_mov_b32_e32 v2, v53
	buffer_store_dword v2, off, s[0:3], s32 offset:684 ; 4-byte Folded Spill
	s_nop 0
	buffer_store_dword v3, off, s[0:3], s32 offset:688 ; 4-byte Folded Spill
.LBB255_380:                            ;   in Loop: Header=BB255_10 Depth=1
	s_or_b64 exec, exec, s[38:39]
.LBB255_381:                            ;   in Loop: Header=BB255_10 Depth=1
	s_or_b64 exec, exec, s[36:37]
.LBB255_382:                            ;   in Loop: Header=BB255_10 Depth=1
	s_or_b64 exec, exec, s[34:35]
	flat_load_ushort v1, v[0:1] offset:12
	v_pk_mov_b32 v[2:3], 0, 0
	buffer_store_dword v2, off, s[0:3], s32 offset:700 ; 4-byte Folded Spill
	s_nop 0
	buffer_store_dword v3, off, s[0:3], s32 offset:704 ; 4-byte Folded Spill
	buffer_store_dword v2, off, s[0:3], s32 offset:692 ; 4-byte Folded Spill
	s_nop 0
	buffer_store_dword v3, off, s[0:3], s32 offset:696 ; 4-byte Folded Spill
	s_waitcnt vmcnt(0) lgkmcnt(0)
	v_and_b32_e32 v0, 0xffff, v1
	v_cmp_ne_u16_sdwa vcc, v1, v53 src0_sel:BYTE_0 src1_sel:DWORD
	s_and_saveexec_b64 s[34:35], vcc
	s_cbranch_execz .LBB255_388
; %bb.383:                              ;   in Loop: Header=BB255_10 Depth=1
	v_bfrev_b32_e32 v2, 1
	v_cmp_ne_u16_sdwa vcc, v0, s19 src0_sel:BYTE_0 src1_sel:DWORD
	v_mov_b32_e32 v3, 0
	buffer_store_dword v2, off, s[0:3], s32 offset:692 ; 4-byte Folded Spill
	s_nop 0
	buffer_store_dword v3, off, s[0:3], s32 offset:696 ; 4-byte Folded Spill
	s_and_saveexec_b64 s[36:37], vcc
	s_cbranch_execz .LBB255_387
; %bb.384:                              ;   in Loop: Header=BB255_10 Depth=1
	v_and_b32_e32 v1, 0x7f, v0
	v_mov_b32_e32 v2, 0x7f800001
	v_cmp_ne_u32_e32 vcc, s41, v1
	v_mov_b32_e32 v3, 0
	buffer_store_dword v2, off, s[0:3], s32 offset:692 ; 4-byte Folded Spill
	s_nop 0
	buffer_store_dword v3, off, s[0:3], s32 offset:696 ; 4-byte Folded Spill
	s_and_saveexec_b64 s[38:39], vcc
	s_cbranch_execz .LBB255_386
; %bb.385:                              ;   in Loop: Header=BB255_10 Depth=1
	v_and_b32_e32 v4, 7, v0
	v_lshrrev_b32_e32 v5, 3, v1
	v_cmp_gt_u32_e32 vcc, 8, v1
	v_ffbh_u32_e32 v1, v4
	v_min_u32_e32 v1, 32, v1
	v_subrev_u32_e32 v2, 28, v1
	v_lshlrev_b64 v[2:3], v2, v[0:1]
	v_sub_u32_e32 v1, 29, v1
	v_and_b32_e32 v2, 7, v2
	v_cndmask_b32_e32 v1, v5, v1, vcc
	v_cndmask_b32_e32 v2, v4, v2, vcc
	v_bfrev_b32_e32 v4, 60
	v_lshlrev_b32_e32 v2, 20, v2
	v_and_b32_sdwa v3, sext(v0), s25 dst_sel:DWORD dst_unused:UNUSED_PAD src0_sel:BYTE_0 src1_sel:DWORD
	v_lshl_add_u32 v1, v1, 23, v4
	v_or3_b32 v52, v3, v1, v2
	buffer_store_dword v52, off, s[0:3], s32 offset:692 ; 4-byte Folded Spill
	s_nop 0
	buffer_store_dword v53, off, s[0:3], s32 offset:696 ; 4-byte Folded Spill
	v_mov_b32_e32 v52, v59
.LBB255_386:                            ;   in Loop: Header=BB255_10 Depth=1
	s_or_b64 exec, exec, s[38:39]
.LBB255_387:                            ;   in Loop: Header=BB255_10 Depth=1
	s_or_b64 exec, exec, s[36:37]
.LBB255_388:                            ;   in Loop: Header=BB255_10 Depth=1
	s_or_b64 exec, exec, s[34:35]
	v_cmp_ne_u16_sdwa vcc, v0, v53 src0_sel:BYTE_1 src1_sel:DWORD
	s_and_saveexec_b64 s[34:35], vcc
	s_cbranch_execz .LBB255_394
; %bb.389:                              ;   in Loop: Header=BB255_10 Depth=1
	v_cmp_ne_u16_sdwa vcc, v0, s19 src0_sel:BYTE_1 src1_sel:DWORD
	v_pk_mov_b32 v[2:3], s[24:25], s[24:25] op_sel:[0,1]
	buffer_store_dword v2, off, s[0:3], s32 offset:700 ; 4-byte Folded Spill
	s_nop 0
	buffer_store_dword v3, off, s[0:3], s32 offset:704 ; 4-byte Folded Spill
	s_and_saveexec_b64 s[36:37], vcc
	s_cbranch_execz .LBB255_393
; %bb.390:                              ;   in Loop: Header=BB255_10 Depth=1
	v_and_b32_sdwa v1, v0, s41 dst_sel:DWORD dst_unused:UNUSED_PAD src0_sel:BYTE_1 src1_sel:DWORD
	s_mov_b32 s30, s24
	v_cmp_ne_u32_e32 vcc, s41, v1
	v_pk_mov_b32 v[2:3], s[30:31], s[30:31] op_sel:[0,1]
	buffer_store_dword v2, off, s[0:3], s32 offset:700 ; 4-byte Folded Spill
	s_nop 0
	buffer_store_dword v3, off, s[0:3], s32 offset:704 ; 4-byte Folded Spill
	s_and_saveexec_b64 s[38:39], vcc
	s_cbranch_execz .LBB255_392
; %bb.391:                              ;   in Loop: Header=BB255_10 Depth=1
	v_mov_b32_e32 v2, 7
	v_and_b32_sdwa v52, v0, v2 dst_sel:DWORD dst_unused:UNUSED_PAD src0_sel:BYTE_1 src1_sel:DWORD
	v_lshrrev_b32_e32 v4, 3, v1
	v_cmp_gt_u32_e32 vcc, 8, v1
	v_ffbh_u32_e32 v1, v52
	v_min_u32_e32 v1, 32, v1
	v_subrev_u32_e32 v2, 28, v1
	v_lshlrev_b64 v[2:3], v2, v[52:53]
	v_sub_u32_e32 v1, 29, v1
	v_and_b32_e32 v2, 7, v2
	v_cndmask_b32_e32 v1, v4, v1, vcc
	v_bfrev_b32_e32 v3, 60
	v_cndmask_b32_e32 v2, v52, v2, vcc
	v_lshlrev_b32_e32 v0, 16, v0
	v_lshl_add_u32 v1, v1, 23, v3
	v_and_or_b32 v0, v0, s25, v1
	v_lshlrev_b32_e32 v1, 20, v2
	v_mov_b32_e32 v52, v59
	v_or_b32_e32 v1, v0, v1
	v_mov_b32_e32 v0, v53
	buffer_store_dword v0, off, s[0:3], s32 offset:700 ; 4-byte Folded Spill
	s_nop 0
	buffer_store_dword v1, off, s[0:3], s32 offset:704 ; 4-byte Folded Spill
.LBB255_392:                            ;   in Loop: Header=BB255_10 Depth=1
	s_or_b64 exec, exec, s[38:39]
.LBB255_393:                            ;   in Loop: Header=BB255_10 Depth=1
	s_or_b64 exec, exec, s[36:37]
.LBB255_394:                            ;   in Loop: Header=BB255_10 Depth=1
	s_or_b64 exec, exec, s[34:35]
	v_add_co_u32_e32 v0, vcc, 0x1000, v56
	v_addc_co_u32_e32 v1, vcc, 0, v57, vcc
	flat_load_ushort v1, v[0:1]
	v_pk_mov_b32 v[2:3], 0, 0
	buffer_store_dword v2, off, s[0:3], s32 offset:716 ; 4-byte Folded Spill
	s_nop 0
	buffer_store_dword v3, off, s[0:3], s32 offset:720 ; 4-byte Folded Spill
	buffer_store_dword v2, off, s[0:3], s32 offset:708 ; 4-byte Folded Spill
	s_nop 0
	buffer_store_dword v3, off, s[0:3], s32 offset:712 ; 4-byte Folded Spill
	s_waitcnt vmcnt(0) lgkmcnt(0)
	v_and_b32_e32 v0, 0xffff, v1
	v_cmp_ne_u16_sdwa vcc, v1, v53 src0_sel:BYTE_0 src1_sel:DWORD
	s_and_saveexec_b64 s[34:35], vcc
	s_cbranch_execz .LBB255_400
; %bb.395:                              ;   in Loop: Header=BB255_10 Depth=1
	v_bfrev_b32_e32 v2, 1
	v_cmp_ne_u16_sdwa vcc, v0, s19 src0_sel:BYTE_0 src1_sel:DWORD
	v_mov_b32_e32 v3, 0
	buffer_store_dword v2, off, s[0:3], s32 offset:708 ; 4-byte Folded Spill
	s_nop 0
	buffer_store_dword v3, off, s[0:3], s32 offset:712 ; 4-byte Folded Spill
	s_and_saveexec_b64 s[36:37], vcc
	s_cbranch_execz .LBB255_399
; %bb.396:                              ;   in Loop: Header=BB255_10 Depth=1
	v_and_b32_e32 v1, 0x7f, v0
	v_mov_b32_e32 v2, 0x7f800001
	v_cmp_ne_u32_e32 vcc, s41, v1
	v_mov_b32_e32 v3, 0
	buffer_store_dword v2, off, s[0:3], s32 offset:708 ; 4-byte Folded Spill
	s_nop 0
	buffer_store_dword v3, off, s[0:3], s32 offset:712 ; 4-byte Folded Spill
	s_and_saveexec_b64 s[38:39], vcc
	s_cbranch_execz .LBB255_398
; %bb.397:                              ;   in Loop: Header=BB255_10 Depth=1
	v_and_b32_e32 v4, 7, v0
	v_lshrrev_b32_e32 v5, 3, v1
	v_cmp_gt_u32_e32 vcc, 8, v1
	v_ffbh_u32_e32 v1, v4
	v_min_u32_e32 v1, 32, v1
	v_subrev_u32_e32 v2, 28, v1
	v_lshlrev_b64 v[2:3], v2, v[0:1]
	v_sub_u32_e32 v1, 29, v1
	v_and_b32_e32 v2, 7, v2
	v_cndmask_b32_e32 v1, v5, v1, vcc
	v_cndmask_b32_e32 v2, v4, v2, vcc
	v_bfrev_b32_e32 v4, 60
	v_lshlrev_b32_e32 v2, 20, v2
	v_and_b32_sdwa v3, sext(v0), s25 dst_sel:DWORD dst_unused:UNUSED_PAD src0_sel:BYTE_0 src1_sel:DWORD
	v_lshl_add_u32 v1, v1, 23, v4
	v_or3_b32 v52, v3, v1, v2
	buffer_store_dword v52, off, s[0:3], s32 offset:708 ; 4-byte Folded Spill
	s_nop 0
	buffer_store_dword v53, off, s[0:3], s32 offset:712 ; 4-byte Folded Spill
	v_mov_b32_e32 v52, v59
.LBB255_398:                            ;   in Loop: Header=BB255_10 Depth=1
	s_or_b64 exec, exec, s[38:39]
.LBB255_399:                            ;   in Loop: Header=BB255_10 Depth=1
	s_or_b64 exec, exec, s[36:37]
.LBB255_400:                            ;   in Loop: Header=BB255_10 Depth=1
	s_or_b64 exec, exec, s[34:35]
	v_cmp_ne_u16_sdwa vcc, v0, v53 src0_sel:BYTE_1 src1_sel:DWORD
	s_and_saveexec_b64 s[34:35], vcc
	s_cbranch_execz .LBB255_406
; %bb.401:                              ;   in Loop: Header=BB255_10 Depth=1
	v_cmp_ne_u16_sdwa vcc, v0, s19 src0_sel:BYTE_1 src1_sel:DWORD
	v_pk_mov_b32 v[2:3], s[24:25], s[24:25] op_sel:[0,1]
	buffer_store_dword v2, off, s[0:3], s32 offset:716 ; 4-byte Folded Spill
	s_nop 0
	buffer_store_dword v3, off, s[0:3], s32 offset:720 ; 4-byte Folded Spill
	s_and_saveexec_b64 s[36:37], vcc
	s_cbranch_execz .LBB255_405
; %bb.402:                              ;   in Loop: Header=BB255_10 Depth=1
	v_and_b32_sdwa v1, v0, s41 dst_sel:DWORD dst_unused:UNUSED_PAD src0_sel:BYTE_1 src1_sel:DWORD
	s_mov_b32 s30, s24
	v_cmp_ne_u32_e32 vcc, s41, v1
	v_pk_mov_b32 v[2:3], s[30:31], s[30:31] op_sel:[0,1]
	buffer_store_dword v2, off, s[0:3], s32 offset:716 ; 4-byte Folded Spill
	s_nop 0
	buffer_store_dword v3, off, s[0:3], s32 offset:720 ; 4-byte Folded Spill
	s_and_saveexec_b64 s[38:39], vcc
	s_cbranch_execz .LBB255_404
; %bb.403:                              ;   in Loop: Header=BB255_10 Depth=1
	v_mov_b32_e32 v2, 7
	v_and_b32_sdwa v52, v0, v2 dst_sel:DWORD dst_unused:UNUSED_PAD src0_sel:BYTE_1 src1_sel:DWORD
	v_lshrrev_b32_e32 v4, 3, v1
	v_cmp_gt_u32_e32 vcc, 8, v1
	v_ffbh_u32_e32 v1, v52
	v_min_u32_e32 v1, 32, v1
	v_subrev_u32_e32 v2, 28, v1
	v_lshlrev_b64 v[2:3], v2, v[52:53]
	v_sub_u32_e32 v1, 29, v1
	v_and_b32_e32 v2, 7, v2
	v_cndmask_b32_e32 v1, v4, v1, vcc
	v_bfrev_b32_e32 v3, 60
	v_cndmask_b32_e32 v2, v52, v2, vcc
	v_lshlrev_b32_e32 v0, 16, v0
	v_lshl_add_u32 v1, v1, 23, v3
	v_and_or_b32 v0, v0, s25, v1
	v_lshlrev_b32_e32 v1, 20, v2
	v_mov_b32_e32 v52, v59
	v_or_b32_e32 v1, v0, v1
	v_mov_b32_e32 v0, v53
	buffer_store_dword v0, off, s[0:3], s32 offset:716 ; 4-byte Folded Spill
	s_nop 0
	buffer_store_dword v1, off, s[0:3], s32 offset:720 ; 4-byte Folded Spill
.LBB255_404:                            ;   in Loop: Header=BB255_10 Depth=1
	s_or_b64 exec, exec, s[38:39]
.LBB255_405:                            ;   in Loop: Header=BB255_10 Depth=1
	s_or_b64 exec, exec, s[36:37]
.LBB255_406:                            ;   in Loop: Header=BB255_10 Depth=1
	s_or_b64 exec, exec, s[34:35]
	v_add_co_u32_e32 v0, vcc, 0x1000, v56
	v_addc_co_u32_e32 v1, vcc, 0, v57, vcc
	flat_load_ushort v3, v[0:1] offset:4
	v_pk_mov_b32 v[4:5], 0, 0
	buffer_store_dword v4, off, s[0:3], s32 offset:732 ; 4-byte Folded Spill
	s_nop 0
	buffer_store_dword v5, off, s[0:3], s32 offset:736 ; 4-byte Folded Spill
	buffer_store_dword v4, off, s[0:3], s32 offset:724 ; 4-byte Folded Spill
	s_nop 0
	buffer_store_dword v5, off, s[0:3], s32 offset:728 ; 4-byte Folded Spill
	s_waitcnt vmcnt(0) lgkmcnt(0)
	v_and_b32_e32 v2, 0xffff, v3
	v_cmp_ne_u16_sdwa vcc, v3, v53 src0_sel:BYTE_0 src1_sel:DWORD
	s_and_saveexec_b64 s[34:35], vcc
	s_cbranch_execz .LBB255_412
; %bb.407:                              ;   in Loop: Header=BB255_10 Depth=1
	v_bfrev_b32_e32 v4, 1
	v_cmp_ne_u16_sdwa vcc, v2, s19 src0_sel:BYTE_0 src1_sel:DWORD
	v_mov_b32_e32 v5, 0
	buffer_store_dword v4, off, s[0:3], s32 offset:724 ; 4-byte Folded Spill
	s_nop 0
	buffer_store_dword v5, off, s[0:3], s32 offset:728 ; 4-byte Folded Spill
	s_and_saveexec_b64 s[36:37], vcc
	s_cbranch_execz .LBB255_411
; %bb.408:                              ;   in Loop: Header=BB255_10 Depth=1
	v_and_b32_e32 v3, 0x7f, v2
	v_mov_b32_e32 v4, 0x7f800001
	v_cmp_ne_u32_e32 vcc, s41, v3
	v_mov_b32_e32 v5, 0
	buffer_store_dword v4, off, s[0:3], s32 offset:724 ; 4-byte Folded Spill
	s_nop 0
	buffer_store_dword v5, off, s[0:3], s32 offset:728 ; 4-byte Folded Spill
	s_and_saveexec_b64 s[38:39], vcc
	s_cbranch_execz .LBB255_410
; %bb.409:                              ;   in Loop: Header=BB255_10 Depth=1
	v_and_b32_e32 v6, 7, v2
	v_lshrrev_b32_e32 v7, 3, v3
	v_cmp_gt_u32_e32 vcc, 8, v3
	v_ffbh_u32_e32 v3, v6
	v_min_u32_e32 v3, 32, v3
	v_subrev_u32_e32 v4, 28, v3
	v_lshlrev_b64 v[4:5], v4, v[2:3]
	v_sub_u32_e32 v3, 29, v3
	v_and_b32_e32 v4, 7, v4
	v_cndmask_b32_e32 v3, v7, v3, vcc
	v_cndmask_b32_e32 v4, v6, v4, vcc
	v_bfrev_b32_e32 v6, 60
	v_lshlrev_b32_e32 v4, 20, v4
	v_and_b32_sdwa v5, sext(v2), s25 dst_sel:DWORD dst_unused:UNUSED_PAD src0_sel:BYTE_0 src1_sel:DWORD
	v_lshl_add_u32 v3, v3, 23, v6
	v_or3_b32 v52, v5, v3, v4
	buffer_store_dword v52, off, s[0:3], s32 offset:724 ; 4-byte Folded Spill
	s_nop 0
	buffer_store_dword v53, off, s[0:3], s32 offset:728 ; 4-byte Folded Spill
	v_mov_b32_e32 v52, v59
.LBB255_410:                            ;   in Loop: Header=BB255_10 Depth=1
	s_or_b64 exec, exec, s[38:39]
.LBB255_411:                            ;   in Loop: Header=BB255_10 Depth=1
	s_or_b64 exec, exec, s[36:37]
.LBB255_412:                            ;   in Loop: Header=BB255_10 Depth=1
	s_or_b64 exec, exec, s[34:35]
	v_cmp_ne_u16_sdwa vcc, v2, v53 src0_sel:BYTE_1 src1_sel:DWORD
	s_and_saveexec_b64 s[34:35], vcc
	s_cbranch_execz .LBB255_418
; %bb.413:                              ;   in Loop: Header=BB255_10 Depth=1
	v_cmp_ne_u16_sdwa vcc, v2, s19 src0_sel:BYTE_1 src1_sel:DWORD
	v_pk_mov_b32 v[4:5], s[24:25], s[24:25] op_sel:[0,1]
	buffer_store_dword v4, off, s[0:3], s32 offset:732 ; 4-byte Folded Spill
	s_nop 0
	buffer_store_dword v5, off, s[0:3], s32 offset:736 ; 4-byte Folded Spill
	s_and_saveexec_b64 s[36:37], vcc
	s_cbranch_execz .LBB255_417
; %bb.414:                              ;   in Loop: Header=BB255_10 Depth=1
	v_and_b32_sdwa v3, v2, s41 dst_sel:DWORD dst_unused:UNUSED_PAD src0_sel:BYTE_1 src1_sel:DWORD
	s_mov_b32 s30, s24
	v_cmp_ne_u32_e32 vcc, s41, v3
	v_pk_mov_b32 v[4:5], s[30:31], s[30:31] op_sel:[0,1]
	buffer_store_dword v4, off, s[0:3], s32 offset:732 ; 4-byte Folded Spill
	s_nop 0
	buffer_store_dword v5, off, s[0:3], s32 offset:736 ; 4-byte Folded Spill
	s_and_saveexec_b64 s[38:39], vcc
	s_cbranch_execz .LBB255_416
; %bb.415:                              ;   in Loop: Header=BB255_10 Depth=1
	v_mov_b32_e32 v4, 7
	v_and_b32_sdwa v52, v2, v4 dst_sel:DWORD dst_unused:UNUSED_PAD src0_sel:BYTE_1 src1_sel:DWORD
	v_lshrrev_b32_e32 v6, 3, v3
	v_cmp_gt_u32_e32 vcc, 8, v3
	v_ffbh_u32_e32 v3, v52
	v_min_u32_e32 v3, 32, v3
	v_subrev_u32_e32 v4, 28, v3
	v_lshlrev_b64 v[4:5], v4, v[52:53]
	v_sub_u32_e32 v3, 29, v3
	v_and_b32_e32 v4, 7, v4
	v_cndmask_b32_e32 v3, v6, v3, vcc
	v_bfrev_b32_e32 v5, 60
	v_cndmask_b32_e32 v4, v52, v4, vcc
	v_lshlrev_b32_e32 v2, 16, v2
	v_lshl_add_u32 v3, v3, 23, v5
	v_and_or_b32 v2, v2, s25, v3
	v_lshlrev_b32_e32 v3, 20, v4
	v_mov_b32_e32 v52, v59
	v_or_b32_e32 v3, v2, v3
	v_mov_b32_e32 v2, v53
	buffer_store_dword v2, off, s[0:3], s32 offset:732 ; 4-byte Folded Spill
	s_nop 0
	buffer_store_dword v3, off, s[0:3], s32 offset:736 ; 4-byte Folded Spill
.LBB255_416:                            ;   in Loop: Header=BB255_10 Depth=1
	s_or_b64 exec, exec, s[38:39]
.LBB255_417:                            ;   in Loop: Header=BB255_10 Depth=1
	s_or_b64 exec, exec, s[36:37]
.LBB255_418:                            ;   in Loop: Header=BB255_10 Depth=1
	s_or_b64 exec, exec, s[34:35]
	flat_load_ushort v3, v[0:1] offset:8
	v_pk_mov_b32 v[4:5], 0, 0
	buffer_store_dword v4, off, s[0:3], s32 offset:748 ; 4-byte Folded Spill
	s_nop 0
	buffer_store_dword v5, off, s[0:3], s32 offset:752 ; 4-byte Folded Spill
	buffer_store_dword v4, off, s[0:3], s32 offset:740 ; 4-byte Folded Spill
	s_nop 0
	buffer_store_dword v5, off, s[0:3], s32 offset:744 ; 4-byte Folded Spill
	s_waitcnt vmcnt(0) lgkmcnt(0)
	v_and_b32_e32 v2, 0xffff, v3
	v_cmp_ne_u16_sdwa vcc, v3, v53 src0_sel:BYTE_0 src1_sel:DWORD
	s_and_saveexec_b64 s[34:35], vcc
	s_cbranch_execz .LBB255_424
; %bb.419:                              ;   in Loop: Header=BB255_10 Depth=1
	v_bfrev_b32_e32 v4, 1
	v_cmp_ne_u16_sdwa vcc, v2, s19 src0_sel:BYTE_0 src1_sel:DWORD
	v_mov_b32_e32 v5, 0
	buffer_store_dword v4, off, s[0:3], s32 offset:740 ; 4-byte Folded Spill
	s_nop 0
	buffer_store_dword v5, off, s[0:3], s32 offset:744 ; 4-byte Folded Spill
	s_and_saveexec_b64 s[36:37], vcc
	s_cbranch_execz .LBB255_423
; %bb.420:                              ;   in Loop: Header=BB255_10 Depth=1
	v_and_b32_e32 v3, 0x7f, v2
	v_mov_b32_e32 v4, 0x7f800001
	v_cmp_ne_u32_e32 vcc, s41, v3
	v_mov_b32_e32 v5, 0
	buffer_store_dword v4, off, s[0:3], s32 offset:740 ; 4-byte Folded Spill
	s_nop 0
	buffer_store_dword v5, off, s[0:3], s32 offset:744 ; 4-byte Folded Spill
	s_and_saveexec_b64 s[38:39], vcc
	s_cbranch_execz .LBB255_422
; %bb.421:                              ;   in Loop: Header=BB255_10 Depth=1
	v_and_b32_e32 v6, 7, v2
	v_lshrrev_b32_e32 v7, 3, v3
	v_cmp_gt_u32_e32 vcc, 8, v3
	v_ffbh_u32_e32 v3, v6
	v_min_u32_e32 v3, 32, v3
	v_subrev_u32_e32 v4, 28, v3
	v_lshlrev_b64 v[4:5], v4, v[2:3]
	v_sub_u32_e32 v3, 29, v3
	v_and_b32_e32 v4, 7, v4
	v_cndmask_b32_e32 v3, v7, v3, vcc
	v_cndmask_b32_e32 v4, v6, v4, vcc
	v_bfrev_b32_e32 v6, 60
	v_lshlrev_b32_e32 v4, 20, v4
	v_and_b32_sdwa v5, sext(v2), s25 dst_sel:DWORD dst_unused:UNUSED_PAD src0_sel:BYTE_0 src1_sel:DWORD
	v_lshl_add_u32 v3, v3, 23, v6
	v_or3_b32 v52, v5, v3, v4
	buffer_store_dword v52, off, s[0:3], s32 offset:740 ; 4-byte Folded Spill
	s_nop 0
	buffer_store_dword v53, off, s[0:3], s32 offset:744 ; 4-byte Folded Spill
	v_mov_b32_e32 v52, v59
.LBB255_422:                            ;   in Loop: Header=BB255_10 Depth=1
	s_or_b64 exec, exec, s[38:39]
.LBB255_423:                            ;   in Loop: Header=BB255_10 Depth=1
	s_or_b64 exec, exec, s[36:37]
.LBB255_424:                            ;   in Loop: Header=BB255_10 Depth=1
	s_or_b64 exec, exec, s[34:35]
	v_cmp_ne_u16_sdwa vcc, v2, v53 src0_sel:BYTE_1 src1_sel:DWORD
	s_and_saveexec_b64 s[34:35], vcc
	s_cbranch_execz .LBB255_430
; %bb.425:                              ;   in Loop: Header=BB255_10 Depth=1
	v_cmp_ne_u16_sdwa vcc, v2, s19 src0_sel:BYTE_1 src1_sel:DWORD
	v_pk_mov_b32 v[4:5], s[24:25], s[24:25] op_sel:[0,1]
	buffer_store_dword v4, off, s[0:3], s32 offset:748 ; 4-byte Folded Spill
	s_nop 0
	buffer_store_dword v5, off, s[0:3], s32 offset:752 ; 4-byte Folded Spill
	s_and_saveexec_b64 s[36:37], vcc
	s_cbranch_execz .LBB255_429
; %bb.426:                              ;   in Loop: Header=BB255_10 Depth=1
	v_and_b32_sdwa v3, v2, s41 dst_sel:DWORD dst_unused:UNUSED_PAD src0_sel:BYTE_1 src1_sel:DWORD
	s_mov_b32 s30, s24
	v_cmp_ne_u32_e32 vcc, s41, v3
	v_pk_mov_b32 v[4:5], s[30:31], s[30:31] op_sel:[0,1]
	buffer_store_dword v4, off, s[0:3], s32 offset:748 ; 4-byte Folded Spill
	s_nop 0
	buffer_store_dword v5, off, s[0:3], s32 offset:752 ; 4-byte Folded Spill
	s_and_saveexec_b64 s[38:39], vcc
	s_cbranch_execz .LBB255_428
; %bb.427:                              ;   in Loop: Header=BB255_10 Depth=1
	v_mov_b32_e32 v4, 7
	v_and_b32_sdwa v52, v2, v4 dst_sel:DWORD dst_unused:UNUSED_PAD src0_sel:BYTE_1 src1_sel:DWORD
	v_lshrrev_b32_e32 v6, 3, v3
	v_cmp_gt_u32_e32 vcc, 8, v3
	v_ffbh_u32_e32 v3, v52
	v_min_u32_e32 v3, 32, v3
	v_subrev_u32_e32 v4, 28, v3
	v_lshlrev_b64 v[4:5], v4, v[52:53]
	v_sub_u32_e32 v3, 29, v3
	v_and_b32_e32 v4, 7, v4
	v_cndmask_b32_e32 v3, v6, v3, vcc
	v_bfrev_b32_e32 v5, 60
	v_cndmask_b32_e32 v4, v52, v4, vcc
	v_lshlrev_b32_e32 v2, 16, v2
	v_lshl_add_u32 v3, v3, 23, v5
	v_and_or_b32 v2, v2, s25, v3
	v_lshlrev_b32_e32 v3, 20, v4
	v_mov_b32_e32 v52, v59
	v_or_b32_e32 v3, v2, v3
	v_mov_b32_e32 v2, v53
	buffer_store_dword v2, off, s[0:3], s32 offset:748 ; 4-byte Folded Spill
	s_nop 0
	buffer_store_dword v3, off, s[0:3], s32 offset:752 ; 4-byte Folded Spill
.LBB255_428:                            ;   in Loop: Header=BB255_10 Depth=1
	s_or_b64 exec, exec, s[38:39]
.LBB255_429:                            ;   in Loop: Header=BB255_10 Depth=1
	s_or_b64 exec, exec, s[36:37]
.LBB255_430:                            ;   in Loop: Header=BB255_10 Depth=1
	s_or_b64 exec, exec, s[34:35]
	flat_load_ushort v1, v[0:1] offset:12
	v_pk_mov_b32 v[2:3], 0, 0
	buffer_store_dword v2, off, s[0:3], s32 offset:764 ; 4-byte Folded Spill
	s_nop 0
	buffer_store_dword v3, off, s[0:3], s32 offset:768 ; 4-byte Folded Spill
	buffer_store_dword v2, off, s[0:3], s32 offset:756 ; 4-byte Folded Spill
	s_nop 0
	buffer_store_dword v3, off, s[0:3], s32 offset:760 ; 4-byte Folded Spill
	s_waitcnt vmcnt(0) lgkmcnt(0)
	v_and_b32_e32 v0, 0xffff, v1
	v_cmp_ne_u16_sdwa vcc, v1, v53 src0_sel:BYTE_0 src1_sel:DWORD
	s_and_saveexec_b64 s[34:35], vcc
	s_cbranch_execz .LBB255_436
; %bb.431:                              ;   in Loop: Header=BB255_10 Depth=1
	v_bfrev_b32_e32 v2, 1
	v_cmp_ne_u16_sdwa vcc, v0, s19 src0_sel:BYTE_0 src1_sel:DWORD
	v_mov_b32_e32 v3, 0
	buffer_store_dword v2, off, s[0:3], s32 offset:756 ; 4-byte Folded Spill
	s_nop 0
	buffer_store_dword v3, off, s[0:3], s32 offset:760 ; 4-byte Folded Spill
	s_and_saveexec_b64 s[36:37], vcc
	s_cbranch_execz .LBB255_435
; %bb.432:                              ;   in Loop: Header=BB255_10 Depth=1
	v_and_b32_e32 v1, 0x7f, v0
	v_mov_b32_e32 v2, 0x7f800001
	v_cmp_ne_u32_e32 vcc, s41, v1
	v_mov_b32_e32 v3, 0
	buffer_store_dword v2, off, s[0:3], s32 offset:756 ; 4-byte Folded Spill
	s_nop 0
	buffer_store_dword v3, off, s[0:3], s32 offset:760 ; 4-byte Folded Spill
	s_and_saveexec_b64 s[38:39], vcc
	s_cbranch_execz .LBB255_434
; %bb.433:                              ;   in Loop: Header=BB255_10 Depth=1
	v_and_b32_e32 v4, 7, v0
	v_lshrrev_b32_e32 v5, 3, v1
	v_cmp_gt_u32_e32 vcc, 8, v1
	v_ffbh_u32_e32 v1, v4
	v_min_u32_e32 v1, 32, v1
	v_subrev_u32_e32 v2, 28, v1
	v_lshlrev_b64 v[2:3], v2, v[0:1]
	v_sub_u32_e32 v1, 29, v1
	v_and_b32_e32 v2, 7, v2
	v_cndmask_b32_e32 v1, v5, v1, vcc
	v_cndmask_b32_e32 v2, v4, v2, vcc
	v_bfrev_b32_e32 v4, 60
	v_lshlrev_b32_e32 v2, 20, v2
	v_and_b32_sdwa v3, sext(v0), s25 dst_sel:DWORD dst_unused:UNUSED_PAD src0_sel:BYTE_0 src1_sel:DWORD
	v_lshl_add_u32 v1, v1, 23, v4
	v_or3_b32 v52, v3, v1, v2
	buffer_store_dword v52, off, s[0:3], s32 offset:756 ; 4-byte Folded Spill
	s_nop 0
	buffer_store_dword v53, off, s[0:3], s32 offset:760 ; 4-byte Folded Spill
	v_mov_b32_e32 v52, v59
.LBB255_434:                            ;   in Loop: Header=BB255_10 Depth=1
	s_or_b64 exec, exec, s[38:39]
.LBB255_435:                            ;   in Loop: Header=BB255_10 Depth=1
	s_or_b64 exec, exec, s[36:37]
.LBB255_436:                            ;   in Loop: Header=BB255_10 Depth=1
	s_or_b64 exec, exec, s[34:35]
	v_cmp_ne_u16_sdwa vcc, v0, v53 src0_sel:BYTE_1 src1_sel:DWORD
	s_and_saveexec_b64 s[34:35], vcc
	s_cbranch_execz .LBB255_442
; %bb.437:                              ;   in Loop: Header=BB255_10 Depth=1
	v_cmp_ne_u16_sdwa vcc, v0, s19 src0_sel:BYTE_1 src1_sel:DWORD
	v_pk_mov_b32 v[2:3], s[24:25], s[24:25] op_sel:[0,1]
	buffer_store_dword v2, off, s[0:3], s32 offset:764 ; 4-byte Folded Spill
	s_nop 0
	buffer_store_dword v3, off, s[0:3], s32 offset:768 ; 4-byte Folded Spill
	s_and_saveexec_b64 s[36:37], vcc
	s_cbranch_execz .LBB255_441
; %bb.438:                              ;   in Loop: Header=BB255_10 Depth=1
	v_and_b32_sdwa v1, v0, s41 dst_sel:DWORD dst_unused:UNUSED_PAD src0_sel:BYTE_1 src1_sel:DWORD
	s_mov_b32 s30, s24
	v_cmp_ne_u32_e32 vcc, s41, v1
	v_pk_mov_b32 v[2:3], s[30:31], s[30:31] op_sel:[0,1]
	buffer_store_dword v2, off, s[0:3], s32 offset:764 ; 4-byte Folded Spill
	s_nop 0
	buffer_store_dword v3, off, s[0:3], s32 offset:768 ; 4-byte Folded Spill
	s_and_saveexec_b64 s[38:39], vcc
	s_cbranch_execz .LBB255_440
; %bb.439:                              ;   in Loop: Header=BB255_10 Depth=1
	v_mov_b32_e32 v2, 7
	v_and_b32_sdwa v52, v0, v2 dst_sel:DWORD dst_unused:UNUSED_PAD src0_sel:BYTE_1 src1_sel:DWORD
	v_lshrrev_b32_e32 v4, 3, v1
	v_cmp_gt_u32_e32 vcc, 8, v1
	v_ffbh_u32_e32 v1, v52
	v_min_u32_e32 v1, 32, v1
	v_subrev_u32_e32 v2, 28, v1
	v_lshlrev_b64 v[2:3], v2, v[52:53]
	v_sub_u32_e32 v1, 29, v1
	v_and_b32_e32 v2, 7, v2
	v_cndmask_b32_e32 v1, v4, v1, vcc
	v_bfrev_b32_e32 v3, 60
	v_cndmask_b32_e32 v2, v52, v2, vcc
	v_lshlrev_b32_e32 v0, 16, v0
	v_lshl_add_u32 v1, v1, 23, v3
	v_and_or_b32 v0, v0, s25, v1
	v_lshlrev_b32_e32 v1, 20, v2
	v_mov_b32_e32 v52, v59
	v_or_b32_e32 v1, v0, v1
	v_mov_b32_e32 v0, v53
	buffer_store_dword v0, off, s[0:3], s32 offset:764 ; 4-byte Folded Spill
	s_nop 0
	buffer_store_dword v1, off, s[0:3], s32 offset:768 ; 4-byte Folded Spill
.LBB255_440:                            ;   in Loop: Header=BB255_10 Depth=1
	s_or_b64 exec, exec, s[38:39]
.LBB255_441:                            ;   in Loop: Header=BB255_10 Depth=1
	s_or_b64 exec, exec, s[36:37]
.LBB255_442:                            ;   in Loop: Header=BB255_10 Depth=1
	s_or_b64 exec, exec, s[34:35]
	v_add_co_u32_e32 v0, vcc, 0x1000, v56
	v_addc_co_u32_e32 v1, vcc, 0, v57, vcc
	flat_load_ushort v1, v[0:1] offset:512
	v_pk_mov_b32 v[2:3], 0, 0
	buffer_store_dword v2, off, s[0:3], s32 offset:780 ; 4-byte Folded Spill
	s_nop 0
	buffer_store_dword v3, off, s[0:3], s32 offset:784 ; 4-byte Folded Spill
	buffer_store_dword v2, off, s[0:3], s32 offset:772 ; 4-byte Folded Spill
	s_nop 0
	buffer_store_dword v3, off, s[0:3], s32 offset:776 ; 4-byte Folded Spill
	s_waitcnt vmcnt(0) lgkmcnt(0)
	v_and_b32_e32 v0, 0xffff, v1
	v_cmp_ne_u16_sdwa vcc, v1, v53 src0_sel:BYTE_0 src1_sel:DWORD
	s_and_saveexec_b64 s[34:35], vcc
	s_cbranch_execz .LBB255_448
; %bb.443:                              ;   in Loop: Header=BB255_10 Depth=1
	v_bfrev_b32_e32 v2, 1
	v_cmp_ne_u16_sdwa vcc, v0, s19 src0_sel:BYTE_0 src1_sel:DWORD
	v_mov_b32_e32 v3, 0
	buffer_store_dword v2, off, s[0:3], s32 offset:772 ; 4-byte Folded Spill
	s_nop 0
	buffer_store_dword v3, off, s[0:3], s32 offset:776 ; 4-byte Folded Spill
	s_and_saveexec_b64 s[36:37], vcc
	s_cbranch_execz .LBB255_447
; %bb.444:                              ;   in Loop: Header=BB255_10 Depth=1
	v_and_b32_e32 v1, 0x7f, v0
	v_mov_b32_e32 v2, 0x7f800001
	v_cmp_ne_u32_e32 vcc, s41, v1
	v_mov_b32_e32 v3, 0
	buffer_store_dword v2, off, s[0:3], s32 offset:772 ; 4-byte Folded Spill
	s_nop 0
	buffer_store_dword v3, off, s[0:3], s32 offset:776 ; 4-byte Folded Spill
	s_and_saveexec_b64 s[38:39], vcc
	s_cbranch_execz .LBB255_446
; %bb.445:                              ;   in Loop: Header=BB255_10 Depth=1
	v_and_b32_e32 v4, 7, v0
	v_lshrrev_b32_e32 v5, 3, v1
	v_cmp_gt_u32_e32 vcc, 8, v1
	v_ffbh_u32_e32 v1, v4
	v_min_u32_e32 v1, 32, v1
	v_subrev_u32_e32 v2, 28, v1
	v_lshlrev_b64 v[2:3], v2, v[0:1]
	v_sub_u32_e32 v1, 29, v1
	v_and_b32_e32 v2, 7, v2
	v_cndmask_b32_e32 v1, v5, v1, vcc
	v_cndmask_b32_e32 v2, v4, v2, vcc
	v_bfrev_b32_e32 v4, 60
	v_lshlrev_b32_e32 v2, 20, v2
	v_and_b32_sdwa v3, sext(v0), s25 dst_sel:DWORD dst_unused:UNUSED_PAD src0_sel:BYTE_0 src1_sel:DWORD
	v_lshl_add_u32 v1, v1, 23, v4
	v_or3_b32 v52, v3, v1, v2
	buffer_store_dword v52, off, s[0:3], s32 offset:772 ; 4-byte Folded Spill
	s_nop 0
	buffer_store_dword v53, off, s[0:3], s32 offset:776 ; 4-byte Folded Spill
	v_mov_b32_e32 v52, v59
.LBB255_446:                            ;   in Loop: Header=BB255_10 Depth=1
	s_or_b64 exec, exec, s[38:39]
.LBB255_447:                            ;   in Loop: Header=BB255_10 Depth=1
	s_or_b64 exec, exec, s[36:37]
.LBB255_448:                            ;   in Loop: Header=BB255_10 Depth=1
	s_or_b64 exec, exec, s[34:35]
	v_cmp_ne_u16_sdwa vcc, v0, v53 src0_sel:BYTE_1 src1_sel:DWORD
	s_and_saveexec_b64 s[34:35], vcc
	s_cbranch_execz .LBB255_454
; %bb.449:                              ;   in Loop: Header=BB255_10 Depth=1
	v_cmp_ne_u16_sdwa vcc, v0, s19 src0_sel:BYTE_1 src1_sel:DWORD
	v_pk_mov_b32 v[2:3], s[24:25], s[24:25] op_sel:[0,1]
	buffer_store_dword v2, off, s[0:3], s32 offset:780 ; 4-byte Folded Spill
	s_nop 0
	buffer_store_dword v3, off, s[0:3], s32 offset:784 ; 4-byte Folded Spill
	s_and_saveexec_b64 s[36:37], vcc
	s_cbranch_execz .LBB255_453
; %bb.450:                              ;   in Loop: Header=BB255_10 Depth=1
	v_and_b32_sdwa v1, v0, s41 dst_sel:DWORD dst_unused:UNUSED_PAD src0_sel:BYTE_1 src1_sel:DWORD
	s_mov_b32 s30, s24
	v_cmp_ne_u32_e32 vcc, s41, v1
	v_pk_mov_b32 v[2:3], s[30:31], s[30:31] op_sel:[0,1]
	buffer_store_dword v2, off, s[0:3], s32 offset:780 ; 4-byte Folded Spill
	s_nop 0
	buffer_store_dword v3, off, s[0:3], s32 offset:784 ; 4-byte Folded Spill
	s_and_saveexec_b64 s[38:39], vcc
	s_cbranch_execz .LBB255_452
; %bb.451:                              ;   in Loop: Header=BB255_10 Depth=1
	v_mov_b32_e32 v2, 7
	v_and_b32_sdwa v52, v0, v2 dst_sel:DWORD dst_unused:UNUSED_PAD src0_sel:BYTE_1 src1_sel:DWORD
	v_lshrrev_b32_e32 v4, 3, v1
	v_cmp_gt_u32_e32 vcc, 8, v1
	v_ffbh_u32_e32 v1, v52
	v_min_u32_e32 v1, 32, v1
	v_subrev_u32_e32 v2, 28, v1
	v_lshlrev_b64 v[2:3], v2, v[52:53]
	v_sub_u32_e32 v1, 29, v1
	v_and_b32_e32 v2, 7, v2
	v_cndmask_b32_e32 v1, v4, v1, vcc
	v_bfrev_b32_e32 v3, 60
	v_cndmask_b32_e32 v2, v52, v2, vcc
	v_lshlrev_b32_e32 v0, 16, v0
	v_lshl_add_u32 v1, v1, 23, v3
	v_and_or_b32 v0, v0, s25, v1
	v_lshlrev_b32_e32 v1, 20, v2
	v_mov_b32_e32 v52, v59
	v_or_b32_e32 v1, v0, v1
	v_mov_b32_e32 v0, v53
	buffer_store_dword v0, off, s[0:3], s32 offset:780 ; 4-byte Folded Spill
	s_nop 0
	buffer_store_dword v1, off, s[0:3], s32 offset:784 ; 4-byte Folded Spill
.LBB255_452:                            ;   in Loop: Header=BB255_10 Depth=1
	s_or_b64 exec, exec, s[38:39]
.LBB255_453:                            ;   in Loop: Header=BB255_10 Depth=1
	s_or_b64 exec, exec, s[36:37]
.LBB255_454:                            ;   in Loop: Header=BB255_10 Depth=1
	s_or_b64 exec, exec, s[34:35]
	v_add_co_u32_e32 v0, vcc, 0x1200, v56
	v_addc_co_u32_e32 v1, vcc, 0, v57, vcc
	flat_load_ushort v3, v[0:1] offset:4
	v_pk_mov_b32 v[4:5], 0, 0
	buffer_store_dword v4, off, s[0:3], s32 offset:796 ; 4-byte Folded Spill
	s_nop 0
	buffer_store_dword v5, off, s[0:3], s32 offset:800 ; 4-byte Folded Spill
	buffer_store_dword v4, off, s[0:3], s32 offset:788 ; 4-byte Folded Spill
	s_nop 0
	buffer_store_dword v5, off, s[0:3], s32 offset:792 ; 4-byte Folded Spill
	s_waitcnt vmcnt(0) lgkmcnt(0)
	v_and_b32_e32 v2, 0xffff, v3
	v_cmp_ne_u16_sdwa vcc, v3, v53 src0_sel:BYTE_0 src1_sel:DWORD
	s_and_saveexec_b64 s[34:35], vcc
	s_cbranch_execz .LBB255_460
; %bb.455:                              ;   in Loop: Header=BB255_10 Depth=1
	v_bfrev_b32_e32 v4, 1
	v_cmp_ne_u16_sdwa vcc, v2, s19 src0_sel:BYTE_0 src1_sel:DWORD
	v_mov_b32_e32 v5, 0
	buffer_store_dword v4, off, s[0:3], s32 offset:788 ; 4-byte Folded Spill
	s_nop 0
	buffer_store_dword v5, off, s[0:3], s32 offset:792 ; 4-byte Folded Spill
	s_and_saveexec_b64 s[36:37], vcc
	s_cbranch_execz .LBB255_459
; %bb.456:                              ;   in Loop: Header=BB255_10 Depth=1
	v_and_b32_e32 v3, 0x7f, v2
	v_mov_b32_e32 v4, 0x7f800001
	v_cmp_ne_u32_e32 vcc, s41, v3
	v_mov_b32_e32 v5, 0
	buffer_store_dword v4, off, s[0:3], s32 offset:788 ; 4-byte Folded Spill
	s_nop 0
	buffer_store_dword v5, off, s[0:3], s32 offset:792 ; 4-byte Folded Spill
	s_and_saveexec_b64 s[38:39], vcc
	s_cbranch_execz .LBB255_458
; %bb.457:                              ;   in Loop: Header=BB255_10 Depth=1
	v_and_b32_e32 v6, 7, v2
	v_lshrrev_b32_e32 v7, 3, v3
	v_cmp_gt_u32_e32 vcc, 8, v3
	v_ffbh_u32_e32 v3, v6
	v_min_u32_e32 v3, 32, v3
	v_subrev_u32_e32 v4, 28, v3
	v_lshlrev_b64 v[4:5], v4, v[2:3]
	v_sub_u32_e32 v3, 29, v3
	v_and_b32_e32 v4, 7, v4
	v_cndmask_b32_e32 v3, v7, v3, vcc
	v_cndmask_b32_e32 v4, v6, v4, vcc
	v_bfrev_b32_e32 v6, 60
	v_lshlrev_b32_e32 v4, 20, v4
	v_and_b32_sdwa v5, sext(v2), s25 dst_sel:DWORD dst_unused:UNUSED_PAD src0_sel:BYTE_0 src1_sel:DWORD
	v_lshl_add_u32 v3, v3, 23, v6
	v_or3_b32 v52, v5, v3, v4
	buffer_store_dword v52, off, s[0:3], s32 offset:788 ; 4-byte Folded Spill
	s_nop 0
	buffer_store_dword v53, off, s[0:3], s32 offset:792 ; 4-byte Folded Spill
	v_mov_b32_e32 v52, v59
.LBB255_458:                            ;   in Loop: Header=BB255_10 Depth=1
	s_or_b64 exec, exec, s[38:39]
.LBB255_459:                            ;   in Loop: Header=BB255_10 Depth=1
	s_or_b64 exec, exec, s[36:37]
.LBB255_460:                            ;   in Loop: Header=BB255_10 Depth=1
	s_or_b64 exec, exec, s[34:35]
	v_cmp_ne_u16_sdwa vcc, v2, v53 src0_sel:BYTE_1 src1_sel:DWORD
	s_and_saveexec_b64 s[34:35], vcc
	s_cbranch_execz .LBB255_466
; %bb.461:                              ;   in Loop: Header=BB255_10 Depth=1
	v_cmp_ne_u16_sdwa vcc, v2, s19 src0_sel:BYTE_1 src1_sel:DWORD
	v_pk_mov_b32 v[4:5], s[24:25], s[24:25] op_sel:[0,1]
	buffer_store_dword v4, off, s[0:3], s32 offset:796 ; 4-byte Folded Spill
	s_nop 0
	buffer_store_dword v5, off, s[0:3], s32 offset:800 ; 4-byte Folded Spill
	s_and_saveexec_b64 s[36:37], vcc
	s_cbranch_execz .LBB255_465
; %bb.462:                              ;   in Loop: Header=BB255_10 Depth=1
	v_and_b32_sdwa v3, v2, s41 dst_sel:DWORD dst_unused:UNUSED_PAD src0_sel:BYTE_1 src1_sel:DWORD
	s_mov_b32 s30, s24
	v_cmp_ne_u32_e32 vcc, s41, v3
	v_pk_mov_b32 v[4:5], s[30:31], s[30:31] op_sel:[0,1]
	buffer_store_dword v4, off, s[0:3], s32 offset:796 ; 4-byte Folded Spill
	s_nop 0
	buffer_store_dword v5, off, s[0:3], s32 offset:800 ; 4-byte Folded Spill
	s_and_saveexec_b64 s[38:39], vcc
	s_cbranch_execz .LBB255_464
; %bb.463:                              ;   in Loop: Header=BB255_10 Depth=1
	v_mov_b32_e32 v4, 7
	v_and_b32_sdwa v52, v2, v4 dst_sel:DWORD dst_unused:UNUSED_PAD src0_sel:BYTE_1 src1_sel:DWORD
	v_lshrrev_b32_e32 v6, 3, v3
	v_cmp_gt_u32_e32 vcc, 8, v3
	v_ffbh_u32_e32 v3, v52
	v_min_u32_e32 v3, 32, v3
	v_subrev_u32_e32 v4, 28, v3
	v_lshlrev_b64 v[4:5], v4, v[52:53]
	v_sub_u32_e32 v3, 29, v3
	v_and_b32_e32 v4, 7, v4
	v_cndmask_b32_e32 v3, v6, v3, vcc
	v_bfrev_b32_e32 v5, 60
	v_cndmask_b32_e32 v4, v52, v4, vcc
	v_lshlrev_b32_e32 v2, 16, v2
	v_lshl_add_u32 v3, v3, 23, v5
	v_and_or_b32 v2, v2, s25, v3
	v_lshlrev_b32_e32 v3, 20, v4
	v_mov_b32_e32 v52, v59
	v_or_b32_e32 v3, v2, v3
	v_mov_b32_e32 v2, v53
	buffer_store_dword v2, off, s[0:3], s32 offset:796 ; 4-byte Folded Spill
	s_nop 0
	buffer_store_dword v3, off, s[0:3], s32 offset:800 ; 4-byte Folded Spill
.LBB255_464:                            ;   in Loop: Header=BB255_10 Depth=1
	s_or_b64 exec, exec, s[38:39]
.LBB255_465:                            ;   in Loop: Header=BB255_10 Depth=1
	s_or_b64 exec, exec, s[36:37]
.LBB255_466:                            ;   in Loop: Header=BB255_10 Depth=1
	s_or_b64 exec, exec, s[34:35]
	flat_load_ushort v3, v[0:1] offset:8
	v_pk_mov_b32 v[4:5], 0, 0
	buffer_store_dword v4, off, s[0:3], s32 offset:812 ; 4-byte Folded Spill
	s_nop 0
	buffer_store_dword v5, off, s[0:3], s32 offset:816 ; 4-byte Folded Spill
	buffer_store_dword v4, off, s[0:3], s32 offset:804 ; 4-byte Folded Spill
	s_nop 0
	buffer_store_dword v5, off, s[0:3], s32 offset:808 ; 4-byte Folded Spill
	s_waitcnt vmcnt(0) lgkmcnt(0)
	v_and_b32_e32 v2, 0xffff, v3
	v_cmp_ne_u16_sdwa vcc, v3, v53 src0_sel:BYTE_0 src1_sel:DWORD
	s_and_saveexec_b64 s[34:35], vcc
	s_cbranch_execz .LBB255_472
; %bb.467:                              ;   in Loop: Header=BB255_10 Depth=1
	v_bfrev_b32_e32 v4, 1
	v_cmp_ne_u16_sdwa vcc, v2, s19 src0_sel:BYTE_0 src1_sel:DWORD
	v_mov_b32_e32 v5, 0
	buffer_store_dword v4, off, s[0:3], s32 offset:804 ; 4-byte Folded Spill
	s_nop 0
	buffer_store_dword v5, off, s[0:3], s32 offset:808 ; 4-byte Folded Spill
	s_and_saveexec_b64 s[36:37], vcc
	s_cbranch_execz .LBB255_471
; %bb.468:                              ;   in Loop: Header=BB255_10 Depth=1
	v_and_b32_e32 v3, 0x7f, v2
	v_mov_b32_e32 v4, 0x7f800001
	v_cmp_ne_u32_e32 vcc, s41, v3
	v_mov_b32_e32 v5, 0
	buffer_store_dword v4, off, s[0:3], s32 offset:804 ; 4-byte Folded Spill
	s_nop 0
	buffer_store_dword v5, off, s[0:3], s32 offset:808 ; 4-byte Folded Spill
	s_and_saveexec_b64 s[38:39], vcc
	s_cbranch_execz .LBB255_470
; %bb.469:                              ;   in Loop: Header=BB255_10 Depth=1
	v_and_b32_e32 v6, 7, v2
	v_lshrrev_b32_e32 v7, 3, v3
	v_cmp_gt_u32_e32 vcc, 8, v3
	v_ffbh_u32_e32 v3, v6
	v_min_u32_e32 v3, 32, v3
	v_subrev_u32_e32 v4, 28, v3
	v_lshlrev_b64 v[4:5], v4, v[2:3]
	v_sub_u32_e32 v3, 29, v3
	v_and_b32_e32 v4, 7, v4
	v_cndmask_b32_e32 v3, v7, v3, vcc
	v_cndmask_b32_e32 v4, v6, v4, vcc
	v_bfrev_b32_e32 v6, 60
	v_lshlrev_b32_e32 v4, 20, v4
	v_and_b32_sdwa v5, sext(v2), s25 dst_sel:DWORD dst_unused:UNUSED_PAD src0_sel:BYTE_0 src1_sel:DWORD
	v_lshl_add_u32 v3, v3, 23, v6
	v_or3_b32 v52, v5, v3, v4
	buffer_store_dword v52, off, s[0:3], s32 offset:804 ; 4-byte Folded Spill
	s_nop 0
	buffer_store_dword v53, off, s[0:3], s32 offset:808 ; 4-byte Folded Spill
	v_mov_b32_e32 v52, v59
.LBB255_470:                            ;   in Loop: Header=BB255_10 Depth=1
	s_or_b64 exec, exec, s[38:39]
.LBB255_471:                            ;   in Loop: Header=BB255_10 Depth=1
	s_or_b64 exec, exec, s[36:37]
.LBB255_472:                            ;   in Loop: Header=BB255_10 Depth=1
	s_or_b64 exec, exec, s[34:35]
	v_cmp_ne_u16_sdwa vcc, v2, v53 src0_sel:BYTE_1 src1_sel:DWORD
	s_and_saveexec_b64 s[34:35], vcc
	s_cbranch_execz .LBB255_478
; %bb.473:                              ;   in Loop: Header=BB255_10 Depth=1
	v_cmp_ne_u16_sdwa vcc, v2, s19 src0_sel:BYTE_1 src1_sel:DWORD
	v_pk_mov_b32 v[4:5], s[24:25], s[24:25] op_sel:[0,1]
	buffer_store_dword v4, off, s[0:3], s32 offset:812 ; 4-byte Folded Spill
	s_nop 0
	buffer_store_dword v5, off, s[0:3], s32 offset:816 ; 4-byte Folded Spill
	s_and_saveexec_b64 s[36:37], vcc
	s_cbranch_execz .LBB255_477
; %bb.474:                              ;   in Loop: Header=BB255_10 Depth=1
	v_and_b32_sdwa v3, v2, s41 dst_sel:DWORD dst_unused:UNUSED_PAD src0_sel:BYTE_1 src1_sel:DWORD
	s_mov_b32 s30, s24
	v_cmp_ne_u32_e32 vcc, s41, v3
	v_pk_mov_b32 v[4:5], s[30:31], s[30:31] op_sel:[0,1]
	buffer_store_dword v4, off, s[0:3], s32 offset:812 ; 4-byte Folded Spill
	s_nop 0
	buffer_store_dword v5, off, s[0:3], s32 offset:816 ; 4-byte Folded Spill
	s_and_saveexec_b64 s[38:39], vcc
	s_cbranch_execz .LBB255_476
; %bb.475:                              ;   in Loop: Header=BB255_10 Depth=1
	v_mov_b32_e32 v4, 7
	v_and_b32_sdwa v52, v2, v4 dst_sel:DWORD dst_unused:UNUSED_PAD src0_sel:BYTE_1 src1_sel:DWORD
	v_lshrrev_b32_e32 v6, 3, v3
	v_cmp_gt_u32_e32 vcc, 8, v3
	v_ffbh_u32_e32 v3, v52
	v_min_u32_e32 v3, 32, v3
	v_subrev_u32_e32 v4, 28, v3
	v_lshlrev_b64 v[4:5], v4, v[52:53]
	v_sub_u32_e32 v3, 29, v3
	v_and_b32_e32 v4, 7, v4
	v_cndmask_b32_e32 v3, v6, v3, vcc
	v_bfrev_b32_e32 v5, 60
	v_cndmask_b32_e32 v4, v52, v4, vcc
	v_lshlrev_b32_e32 v2, 16, v2
	v_lshl_add_u32 v3, v3, 23, v5
	v_and_or_b32 v2, v2, s25, v3
	v_lshlrev_b32_e32 v3, 20, v4
	v_mov_b32_e32 v52, v59
	v_or_b32_e32 v3, v2, v3
	v_mov_b32_e32 v2, v53
	buffer_store_dword v2, off, s[0:3], s32 offset:812 ; 4-byte Folded Spill
	s_nop 0
	buffer_store_dword v3, off, s[0:3], s32 offset:816 ; 4-byte Folded Spill
.LBB255_476:                            ;   in Loop: Header=BB255_10 Depth=1
	s_or_b64 exec, exec, s[38:39]
.LBB255_477:                            ;   in Loop: Header=BB255_10 Depth=1
	s_or_b64 exec, exec, s[36:37]
.LBB255_478:                            ;   in Loop: Header=BB255_10 Depth=1
	s_or_b64 exec, exec, s[34:35]
	flat_load_ushort v1, v[0:1] offset:12
	v_pk_mov_b32 v[2:3], 0, 0
	buffer_store_dword v2, off, s[0:3], s32 offset:828 ; 4-byte Folded Spill
	s_nop 0
	buffer_store_dword v3, off, s[0:3], s32 offset:832 ; 4-byte Folded Spill
	buffer_store_dword v2, off, s[0:3], s32 offset:820 ; 4-byte Folded Spill
	s_nop 0
	buffer_store_dword v3, off, s[0:3], s32 offset:824 ; 4-byte Folded Spill
	s_waitcnt vmcnt(0) lgkmcnt(0)
	v_and_b32_e32 v0, 0xffff, v1
	v_cmp_ne_u16_sdwa vcc, v1, v53 src0_sel:BYTE_0 src1_sel:DWORD
	s_and_saveexec_b64 s[34:35], vcc
	s_cbranch_execz .LBB255_484
; %bb.479:                              ;   in Loop: Header=BB255_10 Depth=1
	v_bfrev_b32_e32 v2, 1
	v_cmp_ne_u16_sdwa vcc, v0, s19 src0_sel:BYTE_0 src1_sel:DWORD
	v_mov_b32_e32 v3, 0
	buffer_store_dword v2, off, s[0:3], s32 offset:820 ; 4-byte Folded Spill
	s_nop 0
	buffer_store_dword v3, off, s[0:3], s32 offset:824 ; 4-byte Folded Spill
	s_and_saveexec_b64 s[36:37], vcc
	s_cbranch_execz .LBB255_483
; %bb.480:                              ;   in Loop: Header=BB255_10 Depth=1
	v_and_b32_e32 v1, 0x7f, v0
	v_mov_b32_e32 v2, 0x7f800001
	v_cmp_ne_u32_e32 vcc, s41, v1
	v_mov_b32_e32 v3, 0
	buffer_store_dword v2, off, s[0:3], s32 offset:820 ; 4-byte Folded Spill
	s_nop 0
	buffer_store_dword v3, off, s[0:3], s32 offset:824 ; 4-byte Folded Spill
	s_and_saveexec_b64 s[38:39], vcc
	s_cbranch_execz .LBB255_482
; %bb.481:                              ;   in Loop: Header=BB255_10 Depth=1
	v_and_b32_e32 v4, 7, v0
	v_lshrrev_b32_e32 v5, 3, v1
	v_cmp_gt_u32_e32 vcc, 8, v1
	v_ffbh_u32_e32 v1, v4
	v_min_u32_e32 v1, 32, v1
	v_subrev_u32_e32 v2, 28, v1
	v_lshlrev_b64 v[2:3], v2, v[0:1]
	v_sub_u32_e32 v1, 29, v1
	v_and_b32_e32 v2, 7, v2
	v_cndmask_b32_e32 v1, v5, v1, vcc
	v_cndmask_b32_e32 v2, v4, v2, vcc
	v_bfrev_b32_e32 v4, 60
	v_lshlrev_b32_e32 v2, 20, v2
	v_and_b32_sdwa v3, sext(v0), s25 dst_sel:DWORD dst_unused:UNUSED_PAD src0_sel:BYTE_0 src1_sel:DWORD
	v_lshl_add_u32 v1, v1, 23, v4
	v_or3_b32 v52, v3, v1, v2
	buffer_store_dword v52, off, s[0:3], s32 offset:820 ; 4-byte Folded Spill
	s_nop 0
	buffer_store_dword v53, off, s[0:3], s32 offset:824 ; 4-byte Folded Spill
	v_mov_b32_e32 v52, v59
.LBB255_482:                            ;   in Loop: Header=BB255_10 Depth=1
	s_or_b64 exec, exec, s[38:39]
.LBB255_483:                            ;   in Loop: Header=BB255_10 Depth=1
	s_or_b64 exec, exec, s[36:37]
.LBB255_484:                            ;   in Loop: Header=BB255_10 Depth=1
	s_or_b64 exec, exec, s[34:35]
	v_cmp_ne_u16_sdwa vcc, v0, v53 src0_sel:BYTE_1 src1_sel:DWORD
	s_and_saveexec_b64 s[34:35], vcc
	s_cbranch_execz .LBB255_490
; %bb.485:                              ;   in Loop: Header=BB255_10 Depth=1
	v_cmp_ne_u16_sdwa vcc, v0, s19 src0_sel:BYTE_1 src1_sel:DWORD
	v_pk_mov_b32 v[2:3], s[24:25], s[24:25] op_sel:[0,1]
	buffer_store_dword v2, off, s[0:3], s32 offset:828 ; 4-byte Folded Spill
	s_nop 0
	buffer_store_dword v3, off, s[0:3], s32 offset:832 ; 4-byte Folded Spill
	s_and_saveexec_b64 s[36:37], vcc
	s_cbranch_execz .LBB255_489
; %bb.486:                              ;   in Loop: Header=BB255_10 Depth=1
	v_and_b32_sdwa v1, v0, s41 dst_sel:DWORD dst_unused:UNUSED_PAD src0_sel:BYTE_1 src1_sel:DWORD
	s_mov_b32 s30, s24
	v_cmp_ne_u32_e32 vcc, s41, v1
	v_pk_mov_b32 v[2:3], s[30:31], s[30:31] op_sel:[0,1]
	buffer_store_dword v2, off, s[0:3], s32 offset:828 ; 4-byte Folded Spill
	s_nop 0
	buffer_store_dword v3, off, s[0:3], s32 offset:832 ; 4-byte Folded Spill
	s_and_saveexec_b64 s[38:39], vcc
	s_cbranch_execz .LBB255_488
; %bb.487:                              ;   in Loop: Header=BB255_10 Depth=1
	v_mov_b32_e32 v2, 7
	v_and_b32_sdwa v52, v0, v2 dst_sel:DWORD dst_unused:UNUSED_PAD src0_sel:BYTE_1 src1_sel:DWORD
	v_lshrrev_b32_e32 v4, 3, v1
	v_cmp_gt_u32_e32 vcc, 8, v1
	v_ffbh_u32_e32 v1, v52
	v_min_u32_e32 v1, 32, v1
	v_subrev_u32_e32 v2, 28, v1
	v_lshlrev_b64 v[2:3], v2, v[52:53]
	v_sub_u32_e32 v1, 29, v1
	v_and_b32_e32 v2, 7, v2
	v_cndmask_b32_e32 v1, v4, v1, vcc
	v_bfrev_b32_e32 v3, 60
	v_cndmask_b32_e32 v2, v52, v2, vcc
	v_lshlrev_b32_e32 v0, 16, v0
	v_lshl_add_u32 v1, v1, 23, v3
	v_and_or_b32 v0, v0, s25, v1
	v_lshlrev_b32_e32 v1, 20, v2
	v_mov_b32_e32 v52, v59
	v_or_b32_e32 v1, v0, v1
	v_mov_b32_e32 v0, v53
	buffer_store_dword v0, off, s[0:3], s32 offset:828 ; 4-byte Folded Spill
	s_nop 0
	buffer_store_dword v1, off, s[0:3], s32 offset:832 ; 4-byte Folded Spill
.LBB255_488:                            ;   in Loop: Header=BB255_10 Depth=1
	s_or_b64 exec, exec, s[38:39]
.LBB255_489:                            ;   in Loop: Header=BB255_10 Depth=1
	s_or_b64 exec, exec, s[36:37]
.LBB255_490:                            ;   in Loop: Header=BB255_10 Depth=1
	s_or_b64 exec, exec, s[34:35]
	v_add_co_u32_e32 v0, vcc, 0x1000, v56
	v_addc_co_u32_e32 v1, vcc, 0, v57, vcc
	flat_load_ushort v1, v[0:1] offset:1024
	v_pk_mov_b32 v[2:3], 0, 0
	buffer_store_dword v2, off, s[0:3], s32 offset:844 ; 4-byte Folded Spill
	s_nop 0
	buffer_store_dword v3, off, s[0:3], s32 offset:848 ; 4-byte Folded Spill
	buffer_store_dword v2, off, s[0:3], s32 offset:836 ; 4-byte Folded Spill
	s_nop 0
	buffer_store_dword v3, off, s[0:3], s32 offset:840 ; 4-byte Folded Spill
	s_waitcnt vmcnt(0) lgkmcnt(0)
	v_and_b32_e32 v0, 0xffff, v1
	v_cmp_ne_u16_sdwa vcc, v1, v53 src0_sel:BYTE_0 src1_sel:DWORD
	s_and_saveexec_b64 s[34:35], vcc
	s_cbranch_execz .LBB255_496
; %bb.491:                              ;   in Loop: Header=BB255_10 Depth=1
	v_bfrev_b32_e32 v2, 1
	v_cmp_ne_u16_sdwa vcc, v0, s19 src0_sel:BYTE_0 src1_sel:DWORD
	v_mov_b32_e32 v3, 0
	buffer_store_dword v2, off, s[0:3], s32 offset:836 ; 4-byte Folded Spill
	s_nop 0
	buffer_store_dword v3, off, s[0:3], s32 offset:840 ; 4-byte Folded Spill
	s_and_saveexec_b64 s[36:37], vcc
	s_cbranch_execz .LBB255_495
; %bb.492:                              ;   in Loop: Header=BB255_10 Depth=1
	v_and_b32_e32 v1, 0x7f, v0
	v_mov_b32_e32 v2, 0x7f800001
	v_cmp_ne_u32_e32 vcc, s41, v1
	v_mov_b32_e32 v3, 0
	buffer_store_dword v2, off, s[0:3], s32 offset:836 ; 4-byte Folded Spill
	s_nop 0
	buffer_store_dword v3, off, s[0:3], s32 offset:840 ; 4-byte Folded Spill
	s_and_saveexec_b64 s[38:39], vcc
	s_cbranch_execz .LBB255_494
; %bb.493:                              ;   in Loop: Header=BB255_10 Depth=1
	v_and_b32_e32 v4, 7, v0
	v_lshrrev_b32_e32 v5, 3, v1
	v_cmp_gt_u32_e32 vcc, 8, v1
	v_ffbh_u32_e32 v1, v4
	v_min_u32_e32 v1, 32, v1
	v_subrev_u32_e32 v2, 28, v1
	v_lshlrev_b64 v[2:3], v2, v[0:1]
	v_sub_u32_e32 v1, 29, v1
	v_and_b32_e32 v2, 7, v2
	v_cndmask_b32_e32 v1, v5, v1, vcc
	v_cndmask_b32_e32 v2, v4, v2, vcc
	v_bfrev_b32_e32 v4, 60
	v_lshlrev_b32_e32 v2, 20, v2
	v_and_b32_sdwa v3, sext(v0), s25 dst_sel:DWORD dst_unused:UNUSED_PAD src0_sel:BYTE_0 src1_sel:DWORD
	v_lshl_add_u32 v1, v1, 23, v4
	v_or3_b32 v52, v3, v1, v2
	buffer_store_dword v52, off, s[0:3], s32 offset:836 ; 4-byte Folded Spill
	s_nop 0
	buffer_store_dword v53, off, s[0:3], s32 offset:840 ; 4-byte Folded Spill
	v_mov_b32_e32 v52, v59
.LBB255_494:                            ;   in Loop: Header=BB255_10 Depth=1
	s_or_b64 exec, exec, s[38:39]
.LBB255_495:                            ;   in Loop: Header=BB255_10 Depth=1
	s_or_b64 exec, exec, s[36:37]
.LBB255_496:                            ;   in Loop: Header=BB255_10 Depth=1
	s_or_b64 exec, exec, s[34:35]
	v_cmp_ne_u16_sdwa vcc, v0, v53 src0_sel:BYTE_1 src1_sel:DWORD
	s_and_saveexec_b64 s[34:35], vcc
	s_cbranch_execz .LBB255_502
; %bb.497:                              ;   in Loop: Header=BB255_10 Depth=1
	v_cmp_ne_u16_sdwa vcc, v0, s19 src0_sel:BYTE_1 src1_sel:DWORD
	v_pk_mov_b32 v[2:3], s[24:25], s[24:25] op_sel:[0,1]
	buffer_store_dword v2, off, s[0:3], s32 offset:844 ; 4-byte Folded Spill
	s_nop 0
	buffer_store_dword v3, off, s[0:3], s32 offset:848 ; 4-byte Folded Spill
	s_and_saveexec_b64 s[36:37], vcc
	s_cbranch_execz .LBB255_501
; %bb.498:                              ;   in Loop: Header=BB255_10 Depth=1
	v_and_b32_sdwa v1, v0, s41 dst_sel:DWORD dst_unused:UNUSED_PAD src0_sel:BYTE_1 src1_sel:DWORD
	s_mov_b32 s30, s24
	v_cmp_ne_u32_e32 vcc, s41, v1
	v_pk_mov_b32 v[2:3], s[30:31], s[30:31] op_sel:[0,1]
	buffer_store_dword v2, off, s[0:3], s32 offset:844 ; 4-byte Folded Spill
	s_nop 0
	buffer_store_dword v3, off, s[0:3], s32 offset:848 ; 4-byte Folded Spill
	s_and_saveexec_b64 s[38:39], vcc
	s_cbranch_execz .LBB255_500
; %bb.499:                              ;   in Loop: Header=BB255_10 Depth=1
	v_mov_b32_e32 v2, 7
	v_and_b32_sdwa v52, v0, v2 dst_sel:DWORD dst_unused:UNUSED_PAD src0_sel:BYTE_1 src1_sel:DWORD
	v_lshrrev_b32_e32 v4, 3, v1
	v_cmp_gt_u32_e32 vcc, 8, v1
	v_ffbh_u32_e32 v1, v52
	v_min_u32_e32 v1, 32, v1
	v_subrev_u32_e32 v2, 28, v1
	v_lshlrev_b64 v[2:3], v2, v[52:53]
	v_sub_u32_e32 v1, 29, v1
	v_and_b32_e32 v2, 7, v2
	v_cndmask_b32_e32 v1, v4, v1, vcc
	v_bfrev_b32_e32 v3, 60
	v_cndmask_b32_e32 v2, v52, v2, vcc
	v_lshlrev_b32_e32 v0, 16, v0
	v_lshl_add_u32 v1, v1, 23, v3
	v_and_or_b32 v0, v0, s25, v1
	v_lshlrev_b32_e32 v1, 20, v2
	v_mov_b32_e32 v52, v59
	v_or_b32_e32 v1, v0, v1
	v_mov_b32_e32 v0, v53
	buffer_store_dword v0, off, s[0:3], s32 offset:844 ; 4-byte Folded Spill
	s_nop 0
	buffer_store_dword v1, off, s[0:3], s32 offset:848 ; 4-byte Folded Spill
.LBB255_500:                            ;   in Loop: Header=BB255_10 Depth=1
	s_or_b64 exec, exec, s[38:39]
.LBB255_501:                            ;   in Loop: Header=BB255_10 Depth=1
	s_or_b64 exec, exec, s[36:37]
.LBB255_502:                            ;   in Loop: Header=BB255_10 Depth=1
	s_or_b64 exec, exec, s[34:35]
	v_add_co_u32_e32 v0, vcc, 0x1400, v56
	v_addc_co_u32_e32 v1, vcc, 0, v57, vcc
	flat_load_ushort v3, v[0:1] offset:4
	v_pk_mov_b32 v[4:5], 0, 0
	v_accvgpr_write_b32 a2, v4
	v_accvgpr_write_b32 a3, v5
	buffer_store_dword v4, off, s[0:3], s32 offset:852 ; 4-byte Folded Spill
	s_nop 0
	buffer_store_dword v5, off, s[0:3], s32 offset:856 ; 4-byte Folded Spill
	s_waitcnt vmcnt(0) lgkmcnt(0)
	v_and_b32_e32 v2, 0xffff, v3
	v_cmp_ne_u16_sdwa vcc, v3, v53 src0_sel:BYTE_0 src1_sel:DWORD
	s_and_saveexec_b64 s[34:35], vcc
	s_cbranch_execz .LBB255_508
; %bb.503:                              ;   in Loop: Header=BB255_10 Depth=1
	v_bfrev_b32_e32 v4, 1
	v_cmp_ne_u16_sdwa vcc, v2, s19 src0_sel:BYTE_0 src1_sel:DWORD
	v_mov_b32_e32 v5, 0
	buffer_store_dword v4, off, s[0:3], s32 offset:852 ; 4-byte Folded Spill
	s_nop 0
	buffer_store_dword v5, off, s[0:3], s32 offset:856 ; 4-byte Folded Spill
	s_and_saveexec_b64 s[36:37], vcc
	s_cbranch_execz .LBB255_507
; %bb.504:                              ;   in Loop: Header=BB255_10 Depth=1
	v_and_b32_e32 v3, 0x7f, v2
	v_mov_b32_e32 v4, 0x7f800001
	v_cmp_ne_u32_e32 vcc, s41, v3
	v_mov_b32_e32 v5, 0
	buffer_store_dword v4, off, s[0:3], s32 offset:852 ; 4-byte Folded Spill
	s_nop 0
	buffer_store_dword v5, off, s[0:3], s32 offset:856 ; 4-byte Folded Spill
	s_and_saveexec_b64 s[38:39], vcc
	s_cbranch_execz .LBB255_506
; %bb.505:                              ;   in Loop: Header=BB255_10 Depth=1
	v_and_b32_e32 v6, 7, v2
	v_lshrrev_b32_e32 v7, 3, v3
	v_cmp_gt_u32_e32 vcc, 8, v3
	v_ffbh_u32_e32 v3, v6
	v_min_u32_e32 v3, 32, v3
	v_subrev_u32_e32 v4, 28, v3
	v_lshlrev_b64 v[4:5], v4, v[2:3]
	v_sub_u32_e32 v3, 29, v3
	v_and_b32_e32 v4, 7, v4
	v_cndmask_b32_e32 v3, v7, v3, vcc
	v_cndmask_b32_e32 v4, v6, v4, vcc
	v_bfrev_b32_e32 v6, 60
	v_lshlrev_b32_e32 v4, 20, v4
	v_and_b32_sdwa v5, sext(v2), s25 dst_sel:DWORD dst_unused:UNUSED_PAD src0_sel:BYTE_0 src1_sel:DWORD
	v_lshl_add_u32 v3, v3, 23, v6
	v_or3_b32 v52, v5, v3, v4
	buffer_store_dword v52, off, s[0:3], s32 offset:852 ; 4-byte Folded Spill
	s_nop 0
	buffer_store_dword v53, off, s[0:3], s32 offset:856 ; 4-byte Folded Spill
	v_mov_b32_e32 v52, v59
.LBB255_506:                            ;   in Loop: Header=BB255_10 Depth=1
	s_or_b64 exec, exec, s[38:39]
.LBB255_507:                            ;   in Loop: Header=BB255_10 Depth=1
	s_or_b64 exec, exec, s[36:37]
.LBB255_508:                            ;   in Loop: Header=BB255_10 Depth=1
	s_or_b64 exec, exec, s[34:35]
	v_cmp_ne_u16_sdwa vcc, v2, v53 src0_sel:BYTE_1 src1_sel:DWORD
	s_and_saveexec_b64 s[34:35], vcc
	s_cbranch_execz .LBB255_514
; %bb.509:                              ;   in Loop: Header=BB255_10 Depth=1
	v_accvgpr_write_b32 a2, s24
	v_cmp_ne_u16_sdwa vcc, v2, s19 src0_sel:BYTE_1 src1_sel:DWORD
	v_accvgpr_write_b32 a3, s25
	s_and_saveexec_b64 s[36:37], vcc
	s_cbranch_execz .LBB255_513
; %bb.510:                              ;   in Loop: Header=BB255_10 Depth=1
	s_mov_b32 s30, s24
	v_and_b32_sdwa v3, v2, s41 dst_sel:DWORD dst_unused:UNUSED_PAD src0_sel:BYTE_1 src1_sel:DWORD
	v_accvgpr_write_b32 a2, s30
	v_cmp_ne_u32_e32 vcc, s41, v3
	v_accvgpr_write_b32 a3, s31
	s_and_saveexec_b64 s[38:39], vcc
	s_cbranch_execz .LBB255_512
; %bb.511:                              ;   in Loop: Header=BB255_10 Depth=1
	v_mov_b32_e32 v4, 7
	v_and_b32_sdwa v52, v2, v4 dst_sel:DWORD dst_unused:UNUSED_PAD src0_sel:BYTE_1 src1_sel:DWORD
	v_lshrrev_b32_e32 v6, 3, v3
	v_cmp_gt_u32_e32 vcc, 8, v3
	v_ffbh_u32_e32 v3, v52
	v_min_u32_e32 v3, 32, v3
	v_subrev_u32_e32 v4, 28, v3
	v_lshlrev_b64 v[4:5], v4, v[52:53]
	v_sub_u32_e32 v3, 29, v3
	v_and_b32_e32 v4, 7, v4
	v_cndmask_b32_e32 v3, v6, v3, vcc
	v_bfrev_b32_e32 v5, 60
	v_cndmask_b32_e32 v4, v52, v4, vcc
	v_lshlrev_b32_e32 v2, 16, v2
	v_lshl_add_u32 v3, v3, 23, v5
	v_and_or_b32 v2, v2, s25, v3
	v_lshlrev_b32_e32 v3, 20, v4
	v_or_b32_e32 v3, v2, v3
	v_mov_b32_e32 v2, v53
	v_accvgpr_write_b32 a2, v2
	v_mov_b32_e32 v52, v59
	v_accvgpr_write_b32 a3, v3
.LBB255_512:                            ;   in Loop: Header=BB255_10 Depth=1
	s_or_b64 exec, exec, s[38:39]
.LBB255_513:                            ;   in Loop: Header=BB255_10 Depth=1
	s_or_b64 exec, exec, s[36:37]
.LBB255_514:                            ;   in Loop: Header=BB255_10 Depth=1
	s_or_b64 exec, exec, s[34:35]
	flat_load_ushort v3, v[0:1] offset:8
	v_pk_mov_b32 v[4:5], 0, 0
	v_accvgpr_write_b32 a7, v5
	v_accvgpr_write_b32 a11, v5
	;; [unrolled: 1-line block ×4, first 2 shown]
	s_waitcnt vmcnt(0) lgkmcnt(0)
	v_and_b32_e32 v2, 0xffff, v3
	v_cmp_ne_u16_sdwa vcc, v3, v53 src0_sel:BYTE_0 src1_sel:DWORD
	s_and_saveexec_b64 s[34:35], vcc
	s_cbranch_execz .LBB255_520
; %bb.515:                              ;   in Loop: Header=BB255_10 Depth=1
	v_bfrev_b32_e32 v4, 1
	v_mov_b32_e32 v5, 0
	v_accvgpr_write_b32 a11, v5
	v_cmp_ne_u16_sdwa vcc, v2, s19 src0_sel:BYTE_0 src1_sel:DWORD
	v_accvgpr_write_b32 a10, v4
	s_and_saveexec_b64 s[36:37], vcc
	s_cbranch_execz .LBB255_519
; %bb.516:                              ;   in Loop: Header=BB255_10 Depth=1
	v_mov_b32_e32 v4, 0x7f800001
	v_mov_b32_e32 v5, 0
	v_and_b32_e32 v3, 0x7f, v2
	v_accvgpr_write_b32 a11, v5
	v_cmp_ne_u32_e32 vcc, s41, v3
	v_accvgpr_write_b32 a10, v4
	s_and_saveexec_b64 s[38:39], vcc
	s_cbranch_execz .LBB255_518
; %bb.517:                              ;   in Loop: Header=BB255_10 Depth=1
	v_and_b32_e32 v6, 7, v2
	v_lshrrev_b32_e32 v7, 3, v3
	v_cmp_gt_u32_e32 vcc, 8, v3
	v_ffbh_u32_e32 v3, v6
	v_min_u32_e32 v3, 32, v3
	v_subrev_u32_e32 v4, 28, v3
	v_lshlrev_b64 v[4:5], v4, v[2:3]
	v_sub_u32_e32 v3, 29, v3
	v_and_b32_e32 v4, 7, v4
	v_cndmask_b32_e32 v3, v7, v3, vcc
	v_cndmask_b32_e32 v4, v6, v4, vcc
	v_bfrev_b32_e32 v6, 60
	v_lshlrev_b32_e32 v4, 20, v4
	v_and_b32_sdwa v5, sext(v2), s25 dst_sel:DWORD dst_unused:UNUSED_PAD src0_sel:BYTE_0 src1_sel:DWORD
	v_lshl_add_u32 v3, v3, 23, v6
	v_or3_b32 v52, v5, v3, v4
	v_accvgpr_write_b32 a10, v52
	v_accvgpr_write_b32 a11, v53
	v_mov_b32_e32 v52, v59
.LBB255_518:                            ;   in Loop: Header=BB255_10 Depth=1
	s_or_b64 exec, exec, s[38:39]
.LBB255_519:                            ;   in Loop: Header=BB255_10 Depth=1
	s_or_b64 exec, exec, s[36:37]
.LBB255_520:                            ;   in Loop: Header=BB255_10 Depth=1
	s_or_b64 exec, exec, s[34:35]
	v_cmp_ne_u16_sdwa vcc, v2, v53 src0_sel:BYTE_1 src1_sel:DWORD
	s_and_saveexec_b64 s[34:35], vcc
	s_cbranch_execz .LBB255_526
; %bb.521:                              ;   in Loop: Header=BB255_10 Depth=1
	v_accvgpr_write_b32 a6, s24
	v_cmp_ne_u16_sdwa vcc, v2, s19 src0_sel:BYTE_1 src1_sel:DWORD
	v_accvgpr_write_b32 a7, s25
	s_and_saveexec_b64 s[36:37], vcc
	s_cbranch_execz .LBB255_525
; %bb.522:                              ;   in Loop: Header=BB255_10 Depth=1
	s_mov_b32 s30, s24
	v_and_b32_sdwa v3, v2, s41 dst_sel:DWORD dst_unused:UNUSED_PAD src0_sel:BYTE_1 src1_sel:DWORD
	v_accvgpr_write_b32 a6, s30
	v_cmp_ne_u32_e32 vcc, s41, v3
	v_accvgpr_write_b32 a7, s31
	s_and_saveexec_b64 s[38:39], vcc
	s_cbranch_execz .LBB255_524
; %bb.523:                              ;   in Loop: Header=BB255_10 Depth=1
	v_mov_b32_e32 v4, 7
	v_and_b32_sdwa v52, v2, v4 dst_sel:DWORD dst_unused:UNUSED_PAD src0_sel:BYTE_1 src1_sel:DWORD
	v_lshrrev_b32_e32 v6, 3, v3
	v_cmp_gt_u32_e32 vcc, 8, v3
	v_ffbh_u32_e32 v3, v52
	v_min_u32_e32 v3, 32, v3
	v_subrev_u32_e32 v4, 28, v3
	v_lshlrev_b64 v[4:5], v4, v[52:53]
	v_sub_u32_e32 v3, 29, v3
	v_and_b32_e32 v4, 7, v4
	v_cndmask_b32_e32 v3, v6, v3, vcc
	v_bfrev_b32_e32 v5, 60
	v_cndmask_b32_e32 v4, v52, v4, vcc
	v_lshlrev_b32_e32 v2, 16, v2
	v_lshl_add_u32 v3, v3, 23, v5
	v_and_or_b32 v2, v2, s25, v3
	v_lshlrev_b32_e32 v3, 20, v4
	v_or_b32_e32 v3, v2, v3
	v_mov_b32_e32 v2, v53
	v_accvgpr_write_b32 a7, v3
	v_mov_b32_e32 v52, v59
	v_accvgpr_write_b32 a6, v2
.LBB255_524:                            ;   in Loop: Header=BB255_10 Depth=1
	s_or_b64 exec, exec, s[38:39]
.LBB255_525:                            ;   in Loop: Header=BB255_10 Depth=1
	s_or_b64 exec, exec, s[36:37]
.LBB255_526:                            ;   in Loop: Header=BB255_10 Depth=1
	s_or_b64 exec, exec, s[34:35]
	flat_load_ushort v1, v[0:1] offset:12
	v_pk_mov_b32 v[2:3], 0, 0
	v_accvgpr_write_b32 a43, v3
	v_accvgpr_write_b32 a5, v3
	;; [unrolled: 1-line block ×4, first 2 shown]
	s_waitcnt vmcnt(0) lgkmcnt(0)
	v_and_b32_e32 v0, 0xffff, v1
	v_cmp_ne_u16_sdwa vcc, v1, v53 src0_sel:BYTE_0 src1_sel:DWORD
	s_and_saveexec_b64 s[34:35], vcc
	s_cbranch_execz .LBB255_532
; %bb.527:                              ;   in Loop: Header=BB255_10 Depth=1
	v_bfrev_b32_e32 v2, 1
	v_mov_b32_e32 v3, 0
	v_accvgpr_write_b32 a5, v3
	v_cmp_ne_u16_sdwa vcc, v0, s19 src0_sel:BYTE_0 src1_sel:DWORD
	v_accvgpr_write_b32 a4, v2
	s_and_saveexec_b64 s[36:37], vcc
	s_cbranch_execz .LBB255_531
; %bb.528:                              ;   in Loop: Header=BB255_10 Depth=1
	v_mov_b32_e32 v2, 0x7f800001
	v_mov_b32_e32 v3, 0
	v_and_b32_e32 v1, 0x7f, v0
	v_accvgpr_write_b32 a5, v3
	v_cmp_ne_u32_e32 vcc, s41, v1
	v_accvgpr_write_b32 a4, v2
	s_and_saveexec_b64 s[38:39], vcc
	s_cbranch_execz .LBB255_530
; %bb.529:                              ;   in Loop: Header=BB255_10 Depth=1
	v_and_b32_e32 v4, 7, v0
	v_lshrrev_b32_e32 v5, 3, v1
	v_cmp_gt_u32_e32 vcc, 8, v1
	v_ffbh_u32_e32 v1, v4
	v_min_u32_e32 v1, 32, v1
	v_subrev_u32_e32 v2, 28, v1
	v_lshlrev_b64 v[2:3], v2, v[0:1]
	v_sub_u32_e32 v1, 29, v1
	v_and_b32_e32 v2, 7, v2
	v_cndmask_b32_e32 v1, v5, v1, vcc
	v_cndmask_b32_e32 v2, v4, v2, vcc
	v_bfrev_b32_e32 v4, 60
	v_lshlrev_b32_e32 v2, 20, v2
	v_and_b32_sdwa v3, sext(v0), s25 dst_sel:DWORD dst_unused:UNUSED_PAD src0_sel:BYTE_0 src1_sel:DWORD
	v_lshl_add_u32 v1, v1, 23, v4
	v_or3_b32 v52, v3, v1, v2
	v_accvgpr_write_b32 a4, v52
	v_accvgpr_write_b32 a5, v53
	v_mov_b32_e32 v52, v59
.LBB255_530:                            ;   in Loop: Header=BB255_10 Depth=1
	s_or_b64 exec, exec, s[38:39]
.LBB255_531:                            ;   in Loop: Header=BB255_10 Depth=1
	s_or_b64 exec, exec, s[36:37]
.LBB255_532:                            ;   in Loop: Header=BB255_10 Depth=1
	s_or_b64 exec, exec, s[34:35]
	v_cmp_ne_u16_sdwa vcc, v0, v53 src0_sel:BYTE_1 src1_sel:DWORD
	s_and_saveexec_b64 s[34:35], vcc
	s_cbranch_execz .LBB255_538
; %bb.533:                              ;   in Loop: Header=BB255_10 Depth=1
	v_accvgpr_write_b32 a43, s25
	v_cmp_ne_u16_sdwa vcc, v0, s19 src0_sel:BYTE_1 src1_sel:DWORD
	v_accvgpr_write_b32 a42, s24
	s_and_saveexec_b64 s[36:37], vcc
	s_cbranch_execz .LBB255_537
; %bb.534:                              ;   in Loop: Header=BB255_10 Depth=1
	v_and_b32_sdwa v1, v0, s41 dst_sel:DWORD dst_unused:UNUSED_PAD src0_sel:BYTE_1 src1_sel:DWORD
	s_mov_b32 s30, s24
	v_accvgpr_write_b32 a43, s31
	v_cmp_ne_u32_e32 vcc, s41, v1
	v_accvgpr_write_b32 a42, s30
	s_and_saveexec_b64 s[38:39], vcc
	s_cbranch_execz .LBB255_536
; %bb.535:                              ;   in Loop: Header=BB255_10 Depth=1
	v_mov_b32_e32 v2, 7
	v_and_b32_sdwa v52, v0, v2 dst_sel:DWORD dst_unused:UNUSED_PAD src0_sel:BYTE_1 src1_sel:DWORD
	v_lshrrev_b32_e32 v4, 3, v1
	v_cmp_gt_u32_e32 vcc, 8, v1
	v_ffbh_u32_e32 v1, v52
	v_min_u32_e32 v1, 32, v1
	v_subrev_u32_e32 v2, 28, v1
	v_lshlrev_b64 v[2:3], v2, v[52:53]
	v_sub_u32_e32 v1, 29, v1
	v_and_b32_e32 v2, 7, v2
	v_cndmask_b32_e32 v1, v4, v1, vcc
	v_bfrev_b32_e32 v3, 60
	v_cndmask_b32_e32 v2, v52, v2, vcc
	v_lshlrev_b32_e32 v0, 16, v0
	v_lshl_add_u32 v1, v1, 23, v3
	v_and_or_b32 v0, v0, s25, v1
	v_lshlrev_b32_e32 v1, 20, v2
	v_or_b32_e32 v1, v0, v1
	v_mov_b32_e32 v0, v53
	v_accvgpr_write_b32 a43, v1
	v_mov_b32_e32 v52, v59
	v_accvgpr_write_b32 a42, v0
.LBB255_536:                            ;   in Loop: Header=BB255_10 Depth=1
	s_or_b64 exec, exec, s[38:39]
.LBB255_537:                            ;   in Loop: Header=BB255_10 Depth=1
	s_or_b64 exec, exec, s[36:37]
.LBB255_538:                            ;   in Loop: Header=BB255_10 Depth=1
	s_or_b64 exec, exec, s[34:35]
	v_add_co_u32_e32 v0, vcc, 0x1000, v56
	v_addc_co_u32_e32 v1, vcc, 0, v57, vcc
	flat_load_ushort v1, v[0:1] offset:1536
	v_pk_mov_b32 v[2:3], 0, 0
	v_accvgpr_write_b32 a47, v3
	v_accvgpr_write_b32 a41, v3
	;; [unrolled: 1-line block ×4, first 2 shown]
	s_waitcnt vmcnt(0) lgkmcnt(0)
	v_and_b32_e32 v0, 0xffff, v1
	v_cmp_ne_u16_sdwa vcc, v1, v53 src0_sel:BYTE_0 src1_sel:DWORD
	s_and_saveexec_b64 s[34:35], vcc
	s_cbranch_execz .LBB255_544
; %bb.539:                              ;   in Loop: Header=BB255_10 Depth=1
	v_bfrev_b32_e32 v2, 1
	v_mov_b32_e32 v3, 0
	v_accvgpr_write_b32 a41, v3
	v_cmp_ne_u16_sdwa vcc, v0, s19 src0_sel:BYTE_0 src1_sel:DWORD
	v_accvgpr_write_b32 a40, v2
	s_and_saveexec_b64 s[36:37], vcc
	s_cbranch_execz .LBB255_543
; %bb.540:                              ;   in Loop: Header=BB255_10 Depth=1
	v_mov_b32_e32 v2, 0x7f800001
	v_mov_b32_e32 v3, 0
	v_and_b32_e32 v1, 0x7f, v0
	v_accvgpr_write_b32 a41, v3
	v_cmp_ne_u32_e32 vcc, s41, v1
	v_accvgpr_write_b32 a40, v2
	s_and_saveexec_b64 s[38:39], vcc
	s_cbranch_execz .LBB255_542
; %bb.541:                              ;   in Loop: Header=BB255_10 Depth=1
	v_and_b32_e32 v4, 7, v0
	v_lshrrev_b32_e32 v5, 3, v1
	v_cmp_gt_u32_e32 vcc, 8, v1
	v_ffbh_u32_e32 v1, v4
	v_min_u32_e32 v1, 32, v1
	v_subrev_u32_e32 v2, 28, v1
	v_lshlrev_b64 v[2:3], v2, v[0:1]
	v_sub_u32_e32 v1, 29, v1
	v_and_b32_e32 v2, 7, v2
	v_cndmask_b32_e32 v1, v5, v1, vcc
	v_cndmask_b32_e32 v2, v4, v2, vcc
	v_bfrev_b32_e32 v4, 60
	v_lshlrev_b32_e32 v2, 20, v2
	v_and_b32_sdwa v3, sext(v0), s25 dst_sel:DWORD dst_unused:UNUSED_PAD src0_sel:BYTE_0 src1_sel:DWORD
	v_lshl_add_u32 v1, v1, 23, v4
	v_or3_b32 v52, v3, v1, v2
	v_accvgpr_write_b32 a40, v52
	v_accvgpr_write_b32 a41, v53
	v_mov_b32_e32 v52, v59
.LBB255_542:                            ;   in Loop: Header=BB255_10 Depth=1
	s_or_b64 exec, exec, s[38:39]
.LBB255_543:                            ;   in Loop: Header=BB255_10 Depth=1
	s_or_b64 exec, exec, s[36:37]
.LBB255_544:                            ;   in Loop: Header=BB255_10 Depth=1
	s_or_b64 exec, exec, s[34:35]
	v_cmp_ne_u16_sdwa vcc, v0, v53 src0_sel:BYTE_1 src1_sel:DWORD
	s_and_saveexec_b64 s[34:35], vcc
	s_cbranch_execz .LBB255_550
; %bb.545:                              ;   in Loop: Header=BB255_10 Depth=1
	v_accvgpr_write_b32 a47, s25
	v_cmp_ne_u16_sdwa vcc, v0, s19 src0_sel:BYTE_1 src1_sel:DWORD
	v_accvgpr_write_b32 a46, s24
	s_and_saveexec_b64 s[36:37], vcc
	s_cbranch_execz .LBB255_549
; %bb.546:                              ;   in Loop: Header=BB255_10 Depth=1
	v_and_b32_sdwa v1, v0, s41 dst_sel:DWORD dst_unused:UNUSED_PAD src0_sel:BYTE_1 src1_sel:DWORD
	s_mov_b32 s30, s24
	v_accvgpr_write_b32 a47, s31
	v_cmp_ne_u32_e32 vcc, s41, v1
	v_accvgpr_write_b32 a46, s30
	s_and_saveexec_b64 s[38:39], vcc
	s_cbranch_execz .LBB255_548
; %bb.547:                              ;   in Loop: Header=BB255_10 Depth=1
	v_mov_b32_e32 v2, 7
	v_and_b32_sdwa v52, v0, v2 dst_sel:DWORD dst_unused:UNUSED_PAD src0_sel:BYTE_1 src1_sel:DWORD
	v_lshrrev_b32_e32 v4, 3, v1
	v_cmp_gt_u32_e32 vcc, 8, v1
	v_ffbh_u32_e32 v1, v52
	v_min_u32_e32 v1, 32, v1
	v_subrev_u32_e32 v2, 28, v1
	v_lshlrev_b64 v[2:3], v2, v[52:53]
	v_sub_u32_e32 v1, 29, v1
	v_and_b32_e32 v2, 7, v2
	v_cndmask_b32_e32 v1, v4, v1, vcc
	v_bfrev_b32_e32 v3, 60
	v_cndmask_b32_e32 v2, v52, v2, vcc
	v_lshlrev_b32_e32 v0, 16, v0
	v_lshl_add_u32 v1, v1, 23, v3
	v_and_or_b32 v0, v0, s25, v1
	v_lshlrev_b32_e32 v1, 20, v2
	v_or_b32_e32 v1, v0, v1
	v_mov_b32_e32 v0, v53
	v_accvgpr_write_b32 a47, v1
	v_mov_b32_e32 v52, v59
	v_accvgpr_write_b32 a46, v0
.LBB255_548:                            ;   in Loop: Header=BB255_10 Depth=1
	s_or_b64 exec, exec, s[38:39]
.LBB255_549:                            ;   in Loop: Header=BB255_10 Depth=1
	s_or_b64 exec, exec, s[36:37]
.LBB255_550:                            ;   in Loop: Header=BB255_10 Depth=1
	s_or_b64 exec, exec, s[34:35]
	v_add_co_u32_e32 v0, vcc, 0x1600, v56
	v_addc_co_u32_e32 v1, vcc, 0, v57, vcc
	flat_load_ushort v3, v[0:1] offset:4
	v_pk_mov_b32 v[4:5], 0, 0
	v_accvgpr_write_b32 a63, v5
	v_accvgpr_write_b32 a45, v5
	;; [unrolled: 1-line block ×4, first 2 shown]
	s_waitcnt vmcnt(0) lgkmcnt(0)
	v_and_b32_e32 v2, 0xffff, v3
	v_cmp_ne_u16_sdwa vcc, v3, v53 src0_sel:BYTE_0 src1_sel:DWORD
	s_and_saveexec_b64 s[34:35], vcc
	s_cbranch_execz .LBB255_556
; %bb.551:                              ;   in Loop: Header=BB255_10 Depth=1
	v_bfrev_b32_e32 v4, 1
	v_mov_b32_e32 v5, 0
	v_accvgpr_write_b32 a45, v5
	v_cmp_ne_u16_sdwa vcc, v2, s19 src0_sel:BYTE_0 src1_sel:DWORD
	v_accvgpr_write_b32 a44, v4
	s_and_saveexec_b64 s[36:37], vcc
	s_cbranch_execz .LBB255_555
; %bb.552:                              ;   in Loop: Header=BB255_10 Depth=1
	v_mov_b32_e32 v4, 0x7f800001
	v_mov_b32_e32 v5, 0
	v_and_b32_e32 v3, 0x7f, v2
	v_accvgpr_write_b32 a45, v5
	v_cmp_ne_u32_e32 vcc, s41, v3
	v_accvgpr_write_b32 a44, v4
	s_and_saveexec_b64 s[38:39], vcc
	s_cbranch_execz .LBB255_554
; %bb.553:                              ;   in Loop: Header=BB255_10 Depth=1
	v_and_b32_e32 v6, 7, v2
	v_lshrrev_b32_e32 v7, 3, v3
	v_cmp_gt_u32_e32 vcc, 8, v3
	v_ffbh_u32_e32 v3, v6
	v_min_u32_e32 v3, 32, v3
	v_subrev_u32_e32 v4, 28, v3
	v_lshlrev_b64 v[4:5], v4, v[2:3]
	v_sub_u32_e32 v3, 29, v3
	v_and_b32_e32 v4, 7, v4
	v_cndmask_b32_e32 v3, v7, v3, vcc
	v_cndmask_b32_e32 v4, v6, v4, vcc
	v_bfrev_b32_e32 v6, 60
	v_lshlrev_b32_e32 v4, 20, v4
	v_and_b32_sdwa v5, sext(v2), s25 dst_sel:DWORD dst_unused:UNUSED_PAD src0_sel:BYTE_0 src1_sel:DWORD
	v_lshl_add_u32 v3, v3, 23, v6
	v_or3_b32 v52, v5, v3, v4
	v_accvgpr_write_b32 a44, v52
	v_accvgpr_write_b32 a45, v53
	v_mov_b32_e32 v52, v59
.LBB255_554:                            ;   in Loop: Header=BB255_10 Depth=1
	s_or_b64 exec, exec, s[38:39]
.LBB255_555:                            ;   in Loop: Header=BB255_10 Depth=1
	s_or_b64 exec, exec, s[36:37]
.LBB255_556:                            ;   in Loop: Header=BB255_10 Depth=1
	s_or_b64 exec, exec, s[34:35]
	v_cmp_ne_u16_sdwa vcc, v2, v53 src0_sel:BYTE_1 src1_sel:DWORD
	s_and_saveexec_b64 s[34:35], vcc
	s_cbranch_execz .LBB255_562
; %bb.557:                              ;   in Loop: Header=BB255_10 Depth=1
	v_accvgpr_write_b32 a63, s25
	v_cmp_ne_u16_sdwa vcc, v2, s19 src0_sel:BYTE_1 src1_sel:DWORD
	v_accvgpr_write_b32 a62, s24
	s_and_saveexec_b64 s[36:37], vcc
	s_cbranch_execz .LBB255_561
; %bb.558:                              ;   in Loop: Header=BB255_10 Depth=1
	v_and_b32_sdwa v3, v2, s41 dst_sel:DWORD dst_unused:UNUSED_PAD src0_sel:BYTE_1 src1_sel:DWORD
	s_mov_b32 s30, s24
	v_accvgpr_write_b32 a63, s31
	v_cmp_ne_u32_e32 vcc, s41, v3
	v_accvgpr_write_b32 a62, s30
	s_and_saveexec_b64 s[38:39], vcc
	s_cbranch_execz .LBB255_560
; %bb.559:                              ;   in Loop: Header=BB255_10 Depth=1
	v_mov_b32_e32 v4, 7
	v_and_b32_sdwa v52, v2, v4 dst_sel:DWORD dst_unused:UNUSED_PAD src0_sel:BYTE_1 src1_sel:DWORD
	v_lshrrev_b32_e32 v6, 3, v3
	v_cmp_gt_u32_e32 vcc, 8, v3
	v_ffbh_u32_e32 v3, v52
	v_min_u32_e32 v3, 32, v3
	v_subrev_u32_e32 v4, 28, v3
	v_lshlrev_b64 v[4:5], v4, v[52:53]
	v_sub_u32_e32 v3, 29, v3
	v_and_b32_e32 v4, 7, v4
	v_cndmask_b32_e32 v3, v6, v3, vcc
	v_bfrev_b32_e32 v5, 60
	v_cndmask_b32_e32 v4, v52, v4, vcc
	v_lshlrev_b32_e32 v2, 16, v2
	v_lshl_add_u32 v3, v3, 23, v5
	v_and_or_b32 v2, v2, s25, v3
	v_lshlrev_b32_e32 v3, 20, v4
	v_or_b32_e32 v3, v2, v3
	v_mov_b32_e32 v2, v53
	v_accvgpr_write_b32 a63, v3
	v_mov_b32_e32 v52, v59
	v_accvgpr_write_b32 a62, v2
.LBB255_560:                            ;   in Loop: Header=BB255_10 Depth=1
	s_or_b64 exec, exec, s[38:39]
.LBB255_561:                            ;   in Loop: Header=BB255_10 Depth=1
	s_or_b64 exec, exec, s[36:37]
.LBB255_562:                            ;   in Loop: Header=BB255_10 Depth=1
	s_or_b64 exec, exec, s[34:35]
	flat_load_ushort v3, v[0:1] offset:8
	v_pk_mov_b32 v[4:5], 0, 0
	v_accvgpr_write_b32 a55, v5
	v_accvgpr_write_b32 a9, v5
	;; [unrolled: 1-line block ×4, first 2 shown]
	s_waitcnt vmcnt(0) lgkmcnt(0)
	v_and_b32_e32 v2, 0xffff, v3
	v_cmp_ne_u16_sdwa vcc, v3, v53 src0_sel:BYTE_0 src1_sel:DWORD
	s_and_saveexec_b64 s[34:35], vcc
	s_cbranch_execz .LBB255_568
; %bb.563:                              ;   in Loop: Header=BB255_10 Depth=1
	v_bfrev_b32_e32 v4, 1
	v_mov_b32_e32 v5, 0
	v_accvgpr_write_b32 a9, v5
	v_cmp_ne_u16_sdwa vcc, v2, s19 src0_sel:BYTE_0 src1_sel:DWORD
	v_accvgpr_write_b32 a8, v4
	s_and_saveexec_b64 s[36:37], vcc
	s_cbranch_execz .LBB255_567
; %bb.564:                              ;   in Loop: Header=BB255_10 Depth=1
	v_mov_b32_e32 v4, 0x7f800001
	v_mov_b32_e32 v5, 0
	v_and_b32_e32 v3, 0x7f, v2
	v_accvgpr_write_b32 a9, v5
	v_cmp_ne_u32_e32 vcc, s41, v3
	v_accvgpr_write_b32 a8, v4
	s_and_saveexec_b64 s[38:39], vcc
	s_cbranch_execz .LBB255_566
; %bb.565:                              ;   in Loop: Header=BB255_10 Depth=1
	v_and_b32_e32 v6, 7, v2
	v_lshrrev_b32_e32 v7, 3, v3
	v_cmp_gt_u32_e32 vcc, 8, v3
	v_ffbh_u32_e32 v3, v6
	v_min_u32_e32 v3, 32, v3
	v_subrev_u32_e32 v4, 28, v3
	v_lshlrev_b64 v[4:5], v4, v[2:3]
	v_sub_u32_e32 v3, 29, v3
	v_and_b32_e32 v4, 7, v4
	v_cndmask_b32_e32 v3, v7, v3, vcc
	v_cndmask_b32_e32 v4, v6, v4, vcc
	v_bfrev_b32_e32 v6, 60
	v_lshlrev_b32_e32 v4, 20, v4
	v_and_b32_sdwa v5, sext(v2), s25 dst_sel:DWORD dst_unused:UNUSED_PAD src0_sel:BYTE_0 src1_sel:DWORD
	v_lshl_add_u32 v3, v3, 23, v6
	v_or3_b32 v52, v5, v3, v4
	v_accvgpr_write_b32 a8, v52
	v_accvgpr_write_b32 a9, v53
	v_mov_b32_e32 v52, v59
.LBB255_566:                            ;   in Loop: Header=BB255_10 Depth=1
	s_or_b64 exec, exec, s[38:39]
.LBB255_567:                            ;   in Loop: Header=BB255_10 Depth=1
	s_or_b64 exec, exec, s[36:37]
.LBB255_568:                            ;   in Loop: Header=BB255_10 Depth=1
	s_or_b64 exec, exec, s[34:35]
	v_cmp_ne_u16_sdwa vcc, v2, v53 src0_sel:BYTE_1 src1_sel:DWORD
	s_and_saveexec_b64 s[34:35], vcc
	s_cbranch_execz .LBB255_574
; %bb.569:                              ;   in Loop: Header=BB255_10 Depth=1
	v_accvgpr_write_b32 a55, s25
	v_cmp_ne_u16_sdwa vcc, v2, s19 src0_sel:BYTE_1 src1_sel:DWORD
	v_accvgpr_write_b32 a54, s24
	s_and_saveexec_b64 s[36:37], vcc
	s_cbranch_execz .LBB255_573
; %bb.570:                              ;   in Loop: Header=BB255_10 Depth=1
	v_and_b32_sdwa v3, v2, s41 dst_sel:DWORD dst_unused:UNUSED_PAD src0_sel:BYTE_1 src1_sel:DWORD
	s_mov_b32 s30, s24
	v_accvgpr_write_b32 a55, s31
	v_cmp_ne_u32_e32 vcc, s41, v3
	v_accvgpr_write_b32 a54, s30
	s_and_saveexec_b64 s[38:39], vcc
	s_cbranch_execz .LBB255_572
; %bb.571:                              ;   in Loop: Header=BB255_10 Depth=1
	v_mov_b32_e32 v4, 7
	v_and_b32_sdwa v52, v2, v4 dst_sel:DWORD dst_unused:UNUSED_PAD src0_sel:BYTE_1 src1_sel:DWORD
	v_lshrrev_b32_e32 v6, 3, v3
	v_cmp_gt_u32_e32 vcc, 8, v3
	v_ffbh_u32_e32 v3, v52
	v_min_u32_e32 v3, 32, v3
	v_subrev_u32_e32 v4, 28, v3
	v_lshlrev_b64 v[4:5], v4, v[52:53]
	v_sub_u32_e32 v3, 29, v3
	v_and_b32_e32 v4, 7, v4
	v_cndmask_b32_e32 v3, v6, v3, vcc
	v_bfrev_b32_e32 v5, 60
	v_cndmask_b32_e32 v4, v52, v4, vcc
	v_lshlrev_b32_e32 v2, 16, v2
	v_lshl_add_u32 v3, v3, 23, v5
	v_and_or_b32 v2, v2, s25, v3
	v_lshlrev_b32_e32 v3, 20, v4
	v_or_b32_e32 v3, v2, v3
	v_mov_b32_e32 v2, v53
	v_accvgpr_write_b32 a55, v3
	v_mov_b32_e32 v52, v59
	v_accvgpr_write_b32 a54, v2
.LBB255_572:                            ;   in Loop: Header=BB255_10 Depth=1
	s_or_b64 exec, exec, s[38:39]
.LBB255_573:                            ;   in Loop: Header=BB255_10 Depth=1
	s_or_b64 exec, exec, s[36:37]
.LBB255_574:                            ;   in Loop: Header=BB255_10 Depth=1
	s_or_b64 exec, exec, s[34:35]
	flat_load_ushort v1, v[0:1] offset:12
	v_pk_mov_b32 v[2:3], 0, 0
	v_accvgpr_write_b32 a33, v3
	v_accvgpr_write_b32 a59, v3
	;; [unrolled: 1-line block ×4, first 2 shown]
	s_waitcnt vmcnt(0) lgkmcnt(0)
	v_and_b32_e32 v0, 0xffff, v1
	v_cmp_ne_u16_sdwa vcc, v1, v53 src0_sel:BYTE_0 src1_sel:DWORD
	s_and_saveexec_b64 s[34:35], vcc
	s_cbranch_execz .LBB255_580
; %bb.575:                              ;   in Loop: Header=BB255_10 Depth=1
	v_bfrev_b32_e32 v2, 1
	v_mov_b32_e32 v3, 0
	v_accvgpr_write_b32 a59, v3
	v_cmp_ne_u16_sdwa vcc, v0, s19 src0_sel:BYTE_0 src1_sel:DWORD
	v_accvgpr_write_b32 a58, v2
	s_and_saveexec_b64 s[36:37], vcc
	s_cbranch_execz .LBB255_579
; %bb.576:                              ;   in Loop: Header=BB255_10 Depth=1
	v_mov_b32_e32 v2, 0x7f800001
	v_mov_b32_e32 v3, 0
	v_and_b32_e32 v1, 0x7f, v0
	v_accvgpr_write_b32 a59, v3
	v_cmp_ne_u32_e32 vcc, s41, v1
	v_accvgpr_write_b32 a58, v2
	s_and_saveexec_b64 s[38:39], vcc
	s_cbranch_execz .LBB255_578
; %bb.577:                              ;   in Loop: Header=BB255_10 Depth=1
	v_and_b32_e32 v4, 7, v0
	v_lshrrev_b32_e32 v5, 3, v1
	v_cmp_gt_u32_e32 vcc, 8, v1
	v_ffbh_u32_e32 v1, v4
	v_min_u32_e32 v1, 32, v1
	v_subrev_u32_e32 v2, 28, v1
	v_lshlrev_b64 v[2:3], v2, v[0:1]
	v_sub_u32_e32 v1, 29, v1
	v_and_b32_e32 v2, 7, v2
	v_cndmask_b32_e32 v1, v5, v1, vcc
	v_cndmask_b32_e32 v2, v4, v2, vcc
	v_bfrev_b32_e32 v4, 60
	v_lshlrev_b32_e32 v2, 20, v2
	v_and_b32_sdwa v3, sext(v0), s25 dst_sel:DWORD dst_unused:UNUSED_PAD src0_sel:BYTE_0 src1_sel:DWORD
	v_lshl_add_u32 v1, v1, 23, v4
	v_or3_b32 v52, v3, v1, v2
	v_accvgpr_write_b32 a59, v53
	v_accvgpr_write_b32 a58, v52
	v_mov_b32_e32 v52, v59
.LBB255_578:                            ;   in Loop: Header=BB255_10 Depth=1
	s_or_b64 exec, exec, s[38:39]
.LBB255_579:                            ;   in Loop: Header=BB255_10 Depth=1
	s_or_b64 exec, exec, s[36:37]
.LBB255_580:                            ;   in Loop: Header=BB255_10 Depth=1
	s_or_b64 exec, exec, s[34:35]
	v_cmp_ne_u16_sdwa vcc, v0, v53 src0_sel:BYTE_1 src1_sel:DWORD
	s_and_saveexec_b64 s[34:35], vcc
	s_cbranch_execz .LBB255_586
; %bb.581:                              ;   in Loop: Header=BB255_10 Depth=1
	v_accvgpr_write_b32 a33, s25
	v_cmp_ne_u16_sdwa vcc, v0, s19 src0_sel:BYTE_1 src1_sel:DWORD
	v_accvgpr_write_b32 a32, s24
	s_and_saveexec_b64 s[36:37], vcc
	s_cbranch_execz .LBB255_585
; %bb.582:                              ;   in Loop: Header=BB255_10 Depth=1
	v_and_b32_sdwa v1, v0, s41 dst_sel:DWORD dst_unused:UNUSED_PAD src0_sel:BYTE_1 src1_sel:DWORD
	s_mov_b32 s30, s24
	v_accvgpr_write_b32 a33, s31
	v_cmp_ne_u32_e32 vcc, s41, v1
	v_accvgpr_write_b32 a32, s30
	s_and_saveexec_b64 s[38:39], vcc
	s_cbranch_execz .LBB255_584
; %bb.583:                              ;   in Loop: Header=BB255_10 Depth=1
	v_mov_b32_e32 v2, 7
	v_and_b32_sdwa v52, v0, v2 dst_sel:DWORD dst_unused:UNUSED_PAD src0_sel:BYTE_1 src1_sel:DWORD
	v_lshrrev_b32_e32 v4, 3, v1
	v_cmp_gt_u32_e32 vcc, 8, v1
	v_ffbh_u32_e32 v1, v52
	v_min_u32_e32 v1, 32, v1
	v_subrev_u32_e32 v2, 28, v1
	v_lshlrev_b64 v[2:3], v2, v[52:53]
	v_sub_u32_e32 v1, 29, v1
	v_and_b32_e32 v2, 7, v2
	v_cndmask_b32_e32 v1, v4, v1, vcc
	v_bfrev_b32_e32 v3, 60
	v_cndmask_b32_e32 v2, v52, v2, vcc
	v_lshlrev_b32_e32 v0, 16, v0
	v_lshl_add_u32 v1, v1, 23, v3
	v_and_or_b32 v0, v0, s25, v1
	v_lshlrev_b32_e32 v1, 20, v2
	v_or_b32_e32 v1, v0, v1
	v_mov_b32_e32 v0, v53
	v_accvgpr_write_b32 a33, v1
	v_mov_b32_e32 v52, v59
	v_accvgpr_write_b32 a32, v0
.LBB255_584:                            ;   in Loop: Header=BB255_10 Depth=1
	s_or_b64 exec, exec, s[38:39]
.LBB255_585:                            ;   in Loop: Header=BB255_10 Depth=1
	s_or_b64 exec, exec, s[36:37]
.LBB255_586:                            ;   in Loop: Header=BB255_10 Depth=1
	s_or_b64 exec, exec, s[34:35]
	v_add_co_u32_e32 v0, vcc, 0x1000, v56
	v_addc_co_u32_e32 v1, vcc, 0, v57, vcc
	flat_load_ushort v1, v[0:1] offset:2048
	v_pk_mov_b32 v[2:3], 0, 0
	v_accvgpr_write_b32 a13, v3
	v_accvgpr_write_b32 a57, v3
	;; [unrolled: 1-line block ×4, first 2 shown]
	s_waitcnt vmcnt(0) lgkmcnt(0)
	v_and_b32_e32 v0, 0xffff, v1
	v_cmp_ne_u16_sdwa vcc, v1, v53 src0_sel:BYTE_0 src1_sel:DWORD
	s_and_saveexec_b64 s[34:35], vcc
	s_cbranch_execz .LBB255_592
; %bb.587:                              ;   in Loop: Header=BB255_10 Depth=1
	v_bfrev_b32_e32 v2, 1
	v_mov_b32_e32 v3, 0
	v_accvgpr_write_b32 a57, v3
	v_cmp_ne_u16_sdwa vcc, v0, s19 src0_sel:BYTE_0 src1_sel:DWORD
	v_accvgpr_write_b32 a56, v2
	s_and_saveexec_b64 s[36:37], vcc
	s_cbranch_execz .LBB255_591
; %bb.588:                              ;   in Loop: Header=BB255_10 Depth=1
	v_mov_b32_e32 v2, 0x7f800001
	v_mov_b32_e32 v3, 0
	v_and_b32_e32 v1, 0x7f, v0
	v_accvgpr_write_b32 a57, v3
	v_cmp_ne_u32_e32 vcc, s41, v1
	v_accvgpr_write_b32 a56, v2
	s_and_saveexec_b64 s[38:39], vcc
	s_cbranch_execz .LBB255_590
; %bb.589:                              ;   in Loop: Header=BB255_10 Depth=1
	v_and_b32_e32 v4, 7, v0
	v_lshrrev_b32_e32 v5, 3, v1
	v_cmp_gt_u32_e32 vcc, 8, v1
	v_ffbh_u32_e32 v1, v4
	v_min_u32_e32 v1, 32, v1
	v_subrev_u32_e32 v2, 28, v1
	v_lshlrev_b64 v[2:3], v2, v[0:1]
	v_sub_u32_e32 v1, 29, v1
	v_and_b32_e32 v2, 7, v2
	v_cndmask_b32_e32 v1, v5, v1, vcc
	v_cndmask_b32_e32 v2, v4, v2, vcc
	v_bfrev_b32_e32 v4, 60
	v_lshlrev_b32_e32 v2, 20, v2
	v_and_b32_sdwa v3, sext(v0), s25 dst_sel:DWORD dst_unused:UNUSED_PAD src0_sel:BYTE_0 src1_sel:DWORD
	v_lshl_add_u32 v1, v1, 23, v4
	v_or3_b32 v52, v3, v1, v2
	v_accvgpr_write_b32 a57, v53
	v_accvgpr_write_b32 a56, v52
	v_mov_b32_e32 v52, v59
.LBB255_590:                            ;   in Loop: Header=BB255_10 Depth=1
	s_or_b64 exec, exec, s[38:39]
.LBB255_591:                            ;   in Loop: Header=BB255_10 Depth=1
	s_or_b64 exec, exec, s[36:37]
.LBB255_592:                            ;   in Loop: Header=BB255_10 Depth=1
	s_or_b64 exec, exec, s[34:35]
	v_cmp_ne_u16_sdwa vcc, v0, v53 src0_sel:BYTE_1 src1_sel:DWORD
	s_and_saveexec_b64 s[34:35], vcc
	s_cbranch_execz .LBB255_598
; %bb.593:                              ;   in Loop: Header=BB255_10 Depth=1
	v_accvgpr_write_b32 a12, s24
	v_cmp_ne_u16_sdwa vcc, v0, s19 src0_sel:BYTE_1 src1_sel:DWORD
	v_accvgpr_write_b32 a13, s25
	s_and_saveexec_b64 s[36:37], vcc
	s_cbranch_execz .LBB255_597
; %bb.594:                              ;   in Loop: Header=BB255_10 Depth=1
	s_mov_b32 s30, s24
	v_and_b32_sdwa v1, v0, s41 dst_sel:DWORD dst_unused:UNUSED_PAD src0_sel:BYTE_1 src1_sel:DWORD
	v_accvgpr_write_b32 a12, s30
	v_cmp_ne_u32_e32 vcc, s41, v1
	v_accvgpr_write_b32 a13, s31
	s_and_saveexec_b64 s[38:39], vcc
	s_cbranch_execz .LBB255_596
; %bb.595:                              ;   in Loop: Header=BB255_10 Depth=1
	v_mov_b32_e32 v2, 7
	v_and_b32_sdwa v52, v0, v2 dst_sel:DWORD dst_unused:UNUSED_PAD src0_sel:BYTE_1 src1_sel:DWORD
	v_lshrrev_b32_e32 v4, 3, v1
	v_cmp_gt_u32_e32 vcc, 8, v1
	v_ffbh_u32_e32 v1, v52
	v_min_u32_e32 v1, 32, v1
	v_subrev_u32_e32 v2, 28, v1
	v_lshlrev_b64 v[2:3], v2, v[52:53]
	v_sub_u32_e32 v1, 29, v1
	v_and_b32_e32 v2, 7, v2
	v_cndmask_b32_e32 v1, v4, v1, vcc
	v_bfrev_b32_e32 v3, 60
	v_cndmask_b32_e32 v2, v52, v2, vcc
	v_lshlrev_b32_e32 v0, 16, v0
	v_lshl_add_u32 v1, v1, 23, v3
	v_and_or_b32 v0, v0, s25, v1
	v_lshlrev_b32_e32 v1, 20, v2
	v_or_b32_e32 v1, v0, v1
	v_mov_b32_e32 v0, v53
	v_accvgpr_write_b32 a13, v1
	v_mov_b32_e32 v52, v59
	v_accvgpr_write_b32 a12, v0
.LBB255_596:                            ;   in Loop: Header=BB255_10 Depth=1
	s_or_b64 exec, exec, s[38:39]
.LBB255_597:                            ;   in Loop: Header=BB255_10 Depth=1
	s_or_b64 exec, exec, s[36:37]
.LBB255_598:                            ;   in Loop: Header=BB255_10 Depth=1
	s_or_b64 exec, exec, s[34:35]
	v_add_co_u32_e32 v0, vcc, 0x1800, v56
	v_addc_co_u32_e32 v1, vcc, 0, v57, vcc
	flat_load_ushort v4, v[0:1] offset:4
	v_pk_mov_b32 v[2:3], 0, 0
	v_accvgpr_write_b32 a0, v2
	v_accvgpr_write_b32 a1, v3
	s_waitcnt vmcnt(0) lgkmcnt(0)
	v_and_b32_e32 v6, 0xffff, v4
	v_cmp_ne_u16_sdwa vcc, v4, v53 src0_sel:BYTE_0 src1_sel:DWORD
	s_and_saveexec_b64 s[34:35], vcc
	s_cbranch_execz .LBB255_604
; %bb.599:                              ;   in Loop: Header=BB255_10 Depth=1
	v_bfrev_b32_e32 v4, 1
	v_mov_b32_e32 v5, 0
	v_accvgpr_write_b32 a0, v4
	v_cmp_ne_u16_sdwa vcc, v6, s19 src0_sel:BYTE_0 src1_sel:DWORD
	v_accvgpr_write_b32 a1, v5
	s_and_saveexec_b64 s[36:37], vcc
	s_cbranch_execz .LBB255_603
; %bb.600:                              ;   in Loop: Header=BB255_10 Depth=1
	v_mov_b32_e32 v8, 0x7f800001
	v_and_b32_e32 v4, 0x7f, v6
	v_mov_b32_e32 v9, 0
	v_accvgpr_write_b32 a0, v8
	v_cmp_ne_u32_e32 vcc, s41, v4
	v_accvgpr_write_b32 a1, v9
	s_and_saveexec_b64 s[38:39], vcc
	s_cbranch_execz .LBB255_602
; %bb.601:                              ;   in Loop: Header=BB255_10 Depth=1
	v_and_b32_e32 v7, 7, v6
	v_lshrrev_b32_e32 v8, 3, v4
	v_cmp_gt_u32_e32 vcc, 8, v4
	v_ffbh_u32_e32 v4, v7
	v_min_u32_e32 v9, 32, v4
	v_subrev_u32_e32 v4, 28, v9
	v_lshlrev_b64 v[4:5], v4, v[6:7]
	v_sub_u32_e32 v5, 29, v9
	v_and_b32_e32 v4, 7, v4
	v_cndmask_b32_e32 v5, v8, v5, vcc
	v_cndmask_b32_e32 v4, v7, v4, vcc
	v_bfrev_b32_e32 v8, 60
	v_lshlrev_b32_e32 v4, 20, v4
	v_and_b32_sdwa v7, sext(v6), s25 dst_sel:DWORD dst_unused:UNUSED_PAD src0_sel:BYTE_0 src1_sel:DWORD
	v_lshl_add_u32 v5, v5, 23, v8
	v_or3_b32 v52, v7, v5, v4
	v_accvgpr_write_b32 a0, v52
	v_accvgpr_write_b32 a1, v53
	v_mov_b32_e32 v52, v59
.LBB255_602:                            ;   in Loop: Header=BB255_10 Depth=1
	s_or_b64 exec, exec, s[38:39]
.LBB255_603:                            ;   in Loop: Header=BB255_10 Depth=1
	s_or_b64 exec, exec, s[36:37]
.LBB255_604:                            ;   in Loop: Header=BB255_10 Depth=1
	s_or_b64 exec, exec, s[34:35]
	v_cmp_ne_u16_sdwa vcc, v6, v53 src0_sel:BYTE_1 src1_sel:DWORD
	s_and_saveexec_b64 s[34:35], vcc
	s_cbranch_execz .LBB255_610
; %bb.605:                              ;   in Loop: Header=BB255_10 Depth=1
	v_cmp_ne_u16_sdwa vcc, v6, s19 src0_sel:BYTE_1 src1_sel:DWORD
	v_pk_mov_b32 v[2:3], s[24:25], s[24:25] op_sel:[0,1]
	s_and_saveexec_b64 s[36:37], vcc
	s_cbranch_execz .LBB255_609
; %bb.606:                              ;   in Loop: Header=BB255_10 Depth=1
	v_and_b32_sdwa v4, v6, s41 dst_sel:DWORD dst_unused:UNUSED_PAD src0_sel:BYTE_1 src1_sel:DWORD
	s_mov_b32 s30, s24
	v_cmp_ne_u32_e32 vcc, s41, v4
	v_pk_mov_b32 v[2:3], s[30:31], s[30:31] op_sel:[0,1]
	s_and_saveexec_b64 s[38:39], vcc
	s_cbranch_execz .LBB255_608
; %bb.607:                              ;   in Loop: Header=BB255_10 Depth=1
	v_mov_b32_e32 v2, 7
	v_and_b32_sdwa v52, v6, v2 dst_sel:DWORD dst_unused:UNUSED_PAD src0_sel:BYTE_1 src1_sel:DWORD
	v_ffbh_u32_e32 v2, v52
	v_lshrrev_b32_e32 v5, 3, v4
	v_cmp_gt_u32_e32 vcc, 8, v4
	v_min_u32_e32 v4, 32, v2
	v_subrev_u32_e32 v2, 28, v4
	v_lshlrev_b64 v[2:3], v2, v[52:53]
	v_sub_u32_e32 v3, 29, v4
	v_and_b32_e32 v2, 7, v2
	v_cndmask_b32_e32 v3, v5, v3, vcc
	v_bfrev_b32_e32 v5, 60
	v_cndmask_b32_e32 v2, v52, v2, vcc
	v_lshlrev_b32_e32 v4, 16, v6
	v_lshl_add_u32 v3, v3, 23, v5
	v_and_or_b32 v3, v4, s25, v3
	v_lshlrev_b32_e32 v2, 20, v2
	v_mov_b32_e32 v52, v59
	v_or_b32_e32 v3, v3, v2
	v_mov_b32_e32 v2, v53
.LBB255_608:                            ;   in Loop: Header=BB255_10 Depth=1
	s_or_b64 exec, exec, s[38:39]
.LBB255_609:                            ;   in Loop: Header=BB255_10 Depth=1
	s_or_b64 exec, exec, s[36:37]
.LBB255_610:                            ;   in Loop: Header=BB255_10 Depth=1
	s_or_b64 exec, exec, s[34:35]
	flat_load_ushort v4, v[0:1] offset:8
	v_pk_mov_b32 v[22:23], 0, 0
	v_accvgpr_write_b32 a61, v23
	v_accvgpr_write_b32 a60, v22
	s_waitcnt vmcnt(0) lgkmcnt(0)
	v_and_b32_e32 v6, 0xffff, v4
	v_cmp_ne_u16_sdwa vcc, v4, v53 src0_sel:BYTE_0 src1_sel:DWORD
	s_and_saveexec_b64 s[34:35], vcc
	s_cbranch_execz .LBB255_616
; %bb.611:                              ;   in Loop: Header=BB255_10 Depth=1
	v_bfrev_b32_e32 v4, 1
	v_mov_b32_e32 v5, 0
	v_accvgpr_write_b32 a61, v5
	v_cmp_ne_u16_sdwa vcc, v6, s19 src0_sel:BYTE_0 src1_sel:DWORD
	v_accvgpr_write_b32 a60, v4
	s_and_saveexec_b64 s[36:37], vcc
	s_cbranch_execz .LBB255_615
; %bb.612:                              ;   in Loop: Header=BB255_10 Depth=1
	v_mov_b32_e32 v8, 0x7f800001
	v_mov_b32_e32 v9, 0
	v_and_b32_e32 v4, 0x7f, v6
	v_accvgpr_write_b32 a61, v9
	v_cmp_ne_u32_e32 vcc, s41, v4
	v_accvgpr_write_b32 a60, v8
	s_and_saveexec_b64 s[38:39], vcc
	s_cbranch_execz .LBB255_614
; %bb.613:                              ;   in Loop: Header=BB255_10 Depth=1
	v_and_b32_e32 v7, 7, v6
	v_lshrrev_b32_e32 v8, 3, v4
	v_cmp_gt_u32_e32 vcc, 8, v4
	v_ffbh_u32_e32 v4, v7
	v_min_u32_e32 v9, 32, v4
	v_subrev_u32_e32 v4, 28, v9
	v_lshlrev_b64 v[4:5], v4, v[6:7]
	v_sub_u32_e32 v5, 29, v9
	v_and_b32_e32 v4, 7, v4
	v_cndmask_b32_e32 v5, v8, v5, vcc
	v_cndmask_b32_e32 v4, v7, v4, vcc
	v_bfrev_b32_e32 v8, 60
	v_lshlrev_b32_e32 v4, 20, v4
	v_and_b32_sdwa v7, sext(v6), s25 dst_sel:DWORD dst_unused:UNUSED_PAD src0_sel:BYTE_0 src1_sel:DWORD
	v_lshl_add_u32 v5, v5, 23, v8
	v_or3_b32 v52, v7, v5, v4
	v_accvgpr_write_b32 a61, v53
	v_accvgpr_write_b32 a60, v52
	v_mov_b32_e32 v52, v59
.LBB255_614:                            ;   in Loop: Header=BB255_10 Depth=1
	s_or_b64 exec, exec, s[38:39]
.LBB255_615:                            ;   in Loop: Header=BB255_10 Depth=1
	s_or_b64 exec, exec, s[36:37]
.LBB255_616:                            ;   in Loop: Header=BB255_10 Depth=1
	s_or_b64 exec, exec, s[34:35]
	v_cmp_ne_u16_sdwa vcc, v6, v53 src0_sel:BYTE_1 src1_sel:DWORD
	s_and_saveexec_b64 s[34:35], vcc
	s_cbranch_execz .LBB255_622
; %bb.617:                              ;   in Loop: Header=BB255_10 Depth=1
	v_cmp_ne_u16_sdwa vcc, v6, s19 src0_sel:BYTE_1 src1_sel:DWORD
	v_pk_mov_b32 v[22:23], s[24:25], s[24:25] op_sel:[0,1]
	s_and_saveexec_b64 s[36:37], vcc
	s_cbranch_execz .LBB255_621
; %bb.618:                              ;   in Loop: Header=BB255_10 Depth=1
	v_and_b32_sdwa v4, v6, s41 dst_sel:DWORD dst_unused:UNUSED_PAD src0_sel:BYTE_1 src1_sel:DWORD
	s_mov_b32 s30, s24
	v_cmp_ne_u32_e32 vcc, s41, v4
	v_pk_mov_b32 v[22:23], s[30:31], s[30:31] op_sel:[0,1]
	s_and_saveexec_b64 s[38:39], vcc
	s_cbranch_execz .LBB255_620
; %bb.619:                              ;   in Loop: Header=BB255_10 Depth=1
	v_mov_b32_e32 v5, 7
	v_and_b32_sdwa v52, v6, v5 dst_sel:DWORD dst_unused:UNUSED_PAD src0_sel:BYTE_1 src1_sel:DWORD
	v_lshrrev_b32_e32 v7, 3, v4
	v_cmp_gt_u32_e32 vcc, 8, v4
	v_ffbh_u32_e32 v4, v52
	v_min_u32_e32 v8, 32, v4
	v_subrev_u32_e32 v4, 28, v8
	v_lshlrev_b64 v[4:5], v4, v[52:53]
	v_sub_u32_e32 v5, 29, v8
	v_and_b32_e32 v4, 7, v4
	v_cndmask_b32_e32 v5, v7, v5, vcc
	v_bfrev_b32_e32 v7, 60
	v_cndmask_b32_e32 v4, v52, v4, vcc
	v_lshlrev_b32_e32 v6, 16, v6
	v_lshl_add_u32 v5, v5, 23, v7
	v_and_or_b32 v5, v6, s25, v5
	v_lshlrev_b32_e32 v4, 20, v4
	v_mov_b32_e32 v52, v59
	v_or_b32_e32 v23, v5, v4
	v_mov_b32_e32 v22, v53
.LBB255_620:                            ;   in Loop: Header=BB255_10 Depth=1
	s_or_b64 exec, exec, s[38:39]
.LBB255_621:                            ;   in Loop: Header=BB255_10 Depth=1
	s_or_b64 exec, exec, s[36:37]
.LBB255_622:                            ;   in Loop: Header=BB255_10 Depth=1
	s_or_b64 exec, exec, s[34:35]
	flat_load_ushort v4, v[0:1] offset:12
	v_pk_mov_b32 v[0:1], 0, 0
	v_accvgpr_write_b32 a15, v1
	v_accvgpr_write_b32 a14, v0
	s_waitcnt vmcnt(0) lgkmcnt(0)
	v_and_b32_e32 v6, 0xffff, v4
	v_cmp_ne_u16_sdwa vcc, v4, v53 src0_sel:BYTE_0 src1_sel:DWORD
	s_and_saveexec_b64 s[34:35], vcc
	s_cbranch_execz .LBB255_628
; %bb.623:                              ;   in Loop: Header=BB255_10 Depth=1
	v_bfrev_b32_e32 v4, 1
	v_mov_b32_e32 v5, 0
	v_accvgpr_write_b32 a15, v5
	v_cmp_ne_u16_sdwa vcc, v6, s19 src0_sel:BYTE_0 src1_sel:DWORD
	v_accvgpr_write_b32 a14, v4
	s_and_saveexec_b64 s[36:37], vcc
	s_cbranch_execz .LBB255_627
; %bb.624:                              ;   in Loop: Header=BB255_10 Depth=1
	v_mov_b32_e32 v8, 0x7f800001
	v_mov_b32_e32 v9, 0
	v_and_b32_e32 v4, 0x7f, v6
	v_accvgpr_write_b32 a15, v9
	v_cmp_ne_u32_e32 vcc, s41, v4
	v_accvgpr_write_b32 a14, v8
	s_and_saveexec_b64 s[38:39], vcc
	s_cbranch_execz .LBB255_626
; %bb.625:                              ;   in Loop: Header=BB255_10 Depth=1
	v_and_b32_e32 v7, 7, v6
	v_lshrrev_b32_e32 v8, 3, v4
	v_cmp_gt_u32_e32 vcc, 8, v4
	v_ffbh_u32_e32 v4, v7
	v_min_u32_e32 v9, 32, v4
	v_subrev_u32_e32 v4, 28, v9
	v_lshlrev_b64 v[4:5], v4, v[6:7]
	v_sub_u32_e32 v5, 29, v9
	v_and_b32_e32 v4, 7, v4
	v_cndmask_b32_e32 v5, v8, v5, vcc
	v_cndmask_b32_e32 v4, v7, v4, vcc
	v_bfrev_b32_e32 v8, 60
	v_lshlrev_b32_e32 v4, 20, v4
	v_and_b32_sdwa v7, sext(v6), s25 dst_sel:DWORD dst_unused:UNUSED_PAD src0_sel:BYTE_0 src1_sel:DWORD
	v_lshl_add_u32 v5, v5, 23, v8
	v_or3_b32 v52, v7, v5, v4
	v_accvgpr_write_b32 a14, v52
	v_accvgpr_write_b32 a15, v53
	v_mov_b32_e32 v52, v59
.LBB255_626:                            ;   in Loop: Header=BB255_10 Depth=1
	s_or_b64 exec, exec, s[38:39]
.LBB255_627:                            ;   in Loop: Header=BB255_10 Depth=1
	s_or_b64 exec, exec, s[36:37]
.LBB255_628:                            ;   in Loop: Header=BB255_10 Depth=1
	s_or_b64 exec, exec, s[34:35]
	v_cmp_ne_u16_sdwa vcc, v6, v53 src0_sel:BYTE_1 src1_sel:DWORD
	s_and_saveexec_b64 s[34:35], vcc
	s_cbranch_execz .LBB255_634
; %bb.629:                              ;   in Loop: Header=BB255_10 Depth=1
	v_cmp_ne_u16_sdwa vcc, v6, s19 src0_sel:BYTE_1 src1_sel:DWORD
	v_pk_mov_b32 v[0:1], s[24:25], s[24:25] op_sel:[0,1]
	s_and_saveexec_b64 s[36:37], vcc
	s_cbranch_execz .LBB255_633
; %bb.630:                              ;   in Loop: Header=BB255_10 Depth=1
	v_and_b32_sdwa v4, v6, s41 dst_sel:DWORD dst_unused:UNUSED_PAD src0_sel:BYTE_1 src1_sel:DWORD
	s_mov_b32 s30, s24
	v_cmp_ne_u32_e32 vcc, s41, v4
	v_pk_mov_b32 v[0:1], s[30:31], s[30:31] op_sel:[0,1]
	s_and_saveexec_b64 s[38:39], vcc
	s_cbranch_execz .LBB255_632
; %bb.631:                              ;   in Loop: Header=BB255_10 Depth=1
	v_mov_b32_e32 v0, 7
	v_and_b32_sdwa v52, v6, v0 dst_sel:DWORD dst_unused:UNUSED_PAD src0_sel:BYTE_1 src1_sel:DWORD
	v_ffbh_u32_e32 v0, v52
	v_lshrrev_b32_e32 v5, 3, v4
	v_cmp_gt_u32_e32 vcc, 8, v4
	v_min_u32_e32 v4, 32, v0
	v_subrev_u32_e32 v0, 28, v4
	v_lshlrev_b64 v[0:1], v0, v[52:53]
	v_sub_u32_e32 v1, 29, v4
	v_and_b32_e32 v0, 7, v0
	v_cndmask_b32_e32 v1, v5, v1, vcc
	v_bfrev_b32_e32 v5, 60
	v_cndmask_b32_e32 v0, v52, v0, vcc
	v_lshlrev_b32_e32 v4, 16, v6
	v_lshl_add_u32 v1, v1, 23, v5
	v_and_or_b32 v1, v4, s25, v1
	v_lshlrev_b32_e32 v0, 20, v0
	v_mov_b32_e32 v52, v59
	v_or_b32_e32 v1, v1, v0
	v_mov_b32_e32 v0, v53
.LBB255_632:                            ;   in Loop: Header=BB255_10 Depth=1
	s_or_b64 exec, exec, s[38:39]
.LBB255_633:                            ;   in Loop: Header=BB255_10 Depth=1
	s_or_b64 exec, exec, s[36:37]
.LBB255_634:                            ;   in Loop: Header=BB255_10 Depth=1
	s_or_b64 exec, exec, s[34:35]
	v_add_co_u32_e32 v4, vcc, 0x1000, v56
	v_addc_co_u32_e32 v5, vcc, 0, v57, vcc
	flat_load_ushort v4, v[4:5] offset:2560
	v_pk_mov_b32 v[38:39], 0, 0
	v_accvgpr_write_b32 a34, v38
	v_accvgpr_write_b32 a35, v39
	s_waitcnt vmcnt(0) lgkmcnt(0)
	v_and_b32_e32 v6, 0xffff, v4
	v_cmp_ne_u16_sdwa vcc, v4, v53 src0_sel:BYTE_0 src1_sel:DWORD
	s_and_saveexec_b64 s[34:35], vcc
	s_cbranch_execz .LBB255_640
; %bb.635:                              ;   in Loop: Header=BB255_10 Depth=1
	v_bfrev_b32_e32 v4, 1
	v_mov_b32_e32 v5, 0
	v_accvgpr_write_b32 a35, v5
	v_cmp_ne_u16_sdwa vcc, v6, s19 src0_sel:BYTE_0 src1_sel:DWORD
	v_accvgpr_write_b32 a34, v4
	s_and_saveexec_b64 s[36:37], vcc
	s_cbranch_execz .LBB255_639
; %bb.636:                              ;   in Loop: Header=BB255_10 Depth=1
	v_mov_b32_e32 v4, 0x7f800001
	v_mov_b32_e32 v5, 0
	v_and_b32_e32 v7, 0x7f, v6
	v_accvgpr_write_b32 a35, v5
	v_cmp_ne_u32_e32 vcc, s41, v7
	v_accvgpr_write_b32 a34, v4
	s_and_saveexec_b64 s[38:39], vcc
	s_cbranch_execz .LBB255_638
; %bb.637:                              ;   in Loop: Header=BB255_10 Depth=1
	v_and_b32_e32 v8, 7, v6
	v_ffbh_u32_e32 v4, v8
	v_lshrrev_b32_e32 v9, 3, v7
	v_cmp_gt_u32_e32 vcc, 8, v7
	v_min_u32_e32 v7, 32, v4
	v_subrev_u32_e32 v4, 28, v7
	v_lshlrev_b64 v[4:5], v4, v[6:7]
	v_sub_u32_e32 v5, 29, v7
	v_and_b32_e32 v4, 7, v4
	v_cndmask_b32_e32 v5, v9, v5, vcc
	v_cndmask_b32_e32 v4, v8, v4, vcc
	v_bfrev_b32_e32 v8, 60
	v_lshlrev_b32_e32 v4, 20, v4
	v_and_b32_sdwa v7, sext(v6), s25 dst_sel:DWORD dst_unused:UNUSED_PAD src0_sel:BYTE_0 src1_sel:DWORD
	v_lshl_add_u32 v5, v5, 23, v8
	v_or3_b32 v52, v7, v5, v4
	v_accvgpr_write_b32 a34, v52
	v_accvgpr_write_b32 a35, v53
	v_mov_b32_e32 v52, v59
.LBB255_638:                            ;   in Loop: Header=BB255_10 Depth=1
	s_or_b64 exec, exec, s[38:39]
.LBB255_639:                            ;   in Loop: Header=BB255_10 Depth=1
	s_or_b64 exec, exec, s[36:37]
.LBB255_640:                            ;   in Loop: Header=BB255_10 Depth=1
	s_or_b64 exec, exec, s[34:35]
	v_cmp_ne_u16_sdwa vcc, v6, v53 src0_sel:BYTE_1 src1_sel:DWORD
	s_and_saveexec_b64 s[34:35], vcc
	s_cbranch_execz .LBB255_646
; %bb.641:                              ;   in Loop: Header=BB255_10 Depth=1
	v_cmp_ne_u16_sdwa vcc, v6, s19 src0_sel:BYTE_1 src1_sel:DWORD
	v_pk_mov_b32 v[38:39], s[24:25], s[24:25] op_sel:[0,1]
	s_and_saveexec_b64 s[36:37], vcc
	s_cbranch_execz .LBB255_645
; %bb.642:                              ;   in Loop: Header=BB255_10 Depth=1
	v_and_b32_sdwa v7, v6, s41 dst_sel:DWORD dst_unused:UNUSED_PAD src0_sel:BYTE_1 src1_sel:DWORD
	s_mov_b32 s30, s24
	v_cmp_ne_u32_e32 vcc, s41, v7
	v_pk_mov_b32 v[38:39], s[30:31], s[30:31] op_sel:[0,1]
	s_and_saveexec_b64 s[38:39], vcc
	s_cbranch_execz .LBB255_644
; %bb.643:                              ;   in Loop: Header=BB255_10 Depth=1
	v_mov_b32_e32 v8, 7
	v_and_b32_sdwa v52, v6, v8 dst_sel:DWORD dst_unused:UNUSED_PAD src0_sel:BYTE_1 src1_sel:DWORD
	v_lshrrev_b32_e32 v10, 3, v7
	v_cmp_gt_u32_e32 vcc, 8, v7
	v_ffbh_u32_e32 v7, v52
	v_min_u32_e32 v7, 32, v7
	v_subrev_u32_e32 v8, 28, v7
	v_lshlrev_b64 v[8:9], v8, v[52:53]
	v_sub_u32_e32 v7, 29, v7
	v_and_b32_e32 v8, 7, v8
	v_cndmask_b32_e32 v7, v10, v7, vcc
	v_bfrev_b32_e32 v9, 60
	v_cndmask_b32_e32 v8, v52, v8, vcc
	v_lshlrev_b32_e32 v6, 16, v6
	v_lshl_add_u32 v7, v7, 23, v9
	v_and_or_b32 v6, v6, s25, v7
	v_lshlrev_b32_e32 v7, 20, v8
	v_mov_b32_e32 v52, v59
	v_or_b32_e32 v39, v6, v7
	v_mov_b32_e32 v38, v53
.LBB255_644:                            ;   in Loop: Header=BB255_10 Depth=1
	s_or_b64 exec, exec, s[38:39]
.LBB255_645:                            ;   in Loop: Header=BB255_10 Depth=1
	s_or_b64 exec, exec, s[36:37]
.LBB255_646:                            ;   in Loop: Header=BB255_10 Depth=1
	s_or_b64 exec, exec, s[34:35]
	v_add_co_u32_e32 v6, vcc, 0x1a00, v56
	v_addc_co_u32_e32 v7, vcc, 0, v57, vcc
	flat_load_ushort v9, v[6:7] offset:4
	v_pk_mov_b32 v[28:29], 0, 0
	v_pk_mov_b32 v[4:5], v[28:29], v[28:29] op_sel:[0,1]
	s_waitcnt vmcnt(0) lgkmcnt(0)
	v_and_b32_e32 v8, 0xffff, v9
	v_cmp_ne_u16_sdwa vcc, v9, v53 src0_sel:BYTE_0 src1_sel:DWORD
	s_and_saveexec_b64 s[34:35], vcc
	s_cbranch_execz .LBB255_652
; %bb.647:                              ;   in Loop: Header=BB255_10 Depth=1
	v_bfrev_b32_e32 v4, 1
	v_cmp_ne_u16_sdwa vcc, v8, s19 src0_sel:BYTE_0 src1_sel:DWORD
	v_mov_b32_e32 v5, 0
	s_and_saveexec_b64 s[36:37], vcc
	s_cbranch_execz .LBB255_651
; %bb.648:                              ;   in Loop: Header=BB255_10 Depth=1
	v_and_b32_e32 v9, 0x7f, v8
	v_mov_b32_e32 v4, 0x7f800001
	v_cmp_ne_u32_e32 vcc, s41, v9
	v_mov_b32_e32 v5, 0
	s_and_saveexec_b64 s[38:39], vcc
	s_cbranch_execz .LBB255_650
; %bb.649:                              ;   in Loop: Header=BB255_10 Depth=1
	v_and_b32_e32 v12, 7, v8
	v_lshrrev_b32_e32 v13, 3, v9
	v_cmp_gt_u32_e32 vcc, 8, v9
	v_ffbh_u32_e32 v9, v12
	v_min_u32_e32 v9, 32, v9
	v_subrev_u32_e32 v10, 28, v9
	v_lshlrev_b64 v[10:11], v10, v[8:9]
	v_sub_u32_e32 v9, 29, v9
	v_and_b32_e32 v10, 7, v10
	v_cndmask_b32_e32 v9, v13, v9, vcc
	v_cndmask_b32_e32 v10, v12, v10, vcc
	v_bfrev_b32_e32 v12, 60
	v_lshlrev_b32_e32 v10, 20, v10
	v_and_b32_sdwa v11, sext(v8), s25 dst_sel:DWORD dst_unused:UNUSED_PAD src0_sel:BYTE_0 src1_sel:DWORD
	v_lshl_add_u32 v9, v9, 23, v12
	v_or3_b32 v52, v11, v9, v10
	v_pk_mov_b32 v[4:5], v[52:53], v[52:53] op_sel:[0,1]
	v_mov_b32_e32 v52, v59
.LBB255_650:                            ;   in Loop: Header=BB255_10 Depth=1
	s_or_b64 exec, exec, s[38:39]
.LBB255_651:                            ;   in Loop: Header=BB255_10 Depth=1
	s_or_b64 exec, exec, s[36:37]
.LBB255_652:                            ;   in Loop: Header=BB255_10 Depth=1
	s_or_b64 exec, exec, s[34:35]
	v_cmp_ne_u16_sdwa vcc, v8, v53 src0_sel:BYTE_1 src1_sel:DWORD
	s_and_saveexec_b64 s[34:35], vcc
	s_cbranch_execz .LBB255_658
; %bb.653:                              ;   in Loop: Header=BB255_10 Depth=1
	v_cmp_ne_u16_sdwa vcc, v8, s19 src0_sel:BYTE_1 src1_sel:DWORD
	v_pk_mov_b32 v[28:29], s[24:25], s[24:25] op_sel:[0,1]
	s_and_saveexec_b64 s[36:37], vcc
	s_cbranch_execz .LBB255_657
; %bb.654:                              ;   in Loop: Header=BB255_10 Depth=1
	v_and_b32_sdwa v9, v8, s41 dst_sel:DWORD dst_unused:UNUSED_PAD src0_sel:BYTE_1 src1_sel:DWORD
	s_mov_b32 s30, s24
	v_cmp_ne_u32_e32 vcc, s41, v9
	v_pk_mov_b32 v[28:29], s[30:31], s[30:31] op_sel:[0,1]
	s_and_saveexec_b64 s[38:39], vcc
	s_cbranch_execz .LBB255_656
; %bb.655:                              ;   in Loop: Header=BB255_10 Depth=1
	v_mov_b32_e32 v10, 7
	v_and_b32_sdwa v52, v8, v10 dst_sel:DWORD dst_unused:UNUSED_PAD src0_sel:BYTE_1 src1_sel:DWORD
	v_lshrrev_b32_e32 v12, 3, v9
	v_cmp_gt_u32_e32 vcc, 8, v9
	v_ffbh_u32_e32 v9, v52
	v_min_u32_e32 v9, 32, v9
	v_subrev_u32_e32 v10, 28, v9
	v_lshlrev_b64 v[10:11], v10, v[52:53]
	v_sub_u32_e32 v9, 29, v9
	v_and_b32_e32 v10, 7, v10
	v_cndmask_b32_e32 v9, v12, v9, vcc
	v_bfrev_b32_e32 v11, 60
	v_cndmask_b32_e32 v10, v52, v10, vcc
	v_lshlrev_b32_e32 v8, 16, v8
	v_lshl_add_u32 v9, v9, 23, v11
	v_and_or_b32 v8, v8, s25, v9
	v_lshlrev_b32_e32 v9, 20, v10
	v_mov_b32_e32 v52, v59
	v_or_b32_e32 v29, v8, v9
	v_mov_b32_e32 v28, v53
.LBB255_656:                            ;   in Loop: Header=BB255_10 Depth=1
	s_or_b64 exec, exec, s[38:39]
.LBB255_657:                            ;   in Loop: Header=BB255_10 Depth=1
	s_or_b64 exec, exec, s[36:37]
.LBB255_658:                            ;   in Loop: Header=BB255_10 Depth=1
	s_or_b64 exec, exec, s[34:35]
	flat_load_ushort v9, v[6:7] offset:8
	v_pk_mov_b32 v[12:13], 0, 0
	v_pk_mov_b32 v[48:49], v[12:13], v[12:13] op_sel:[0,1]
	s_waitcnt vmcnt(0) lgkmcnt(0)
	v_and_b32_e32 v8, 0xffff, v9
	v_cmp_ne_u16_sdwa vcc, v9, v53 src0_sel:BYTE_0 src1_sel:DWORD
	s_and_saveexec_b64 s[34:35], vcc
	s_cbranch_execz .LBB255_664
; %bb.659:                              ;   in Loop: Header=BB255_10 Depth=1
	v_bfrev_b32_e32 v48, 1
	v_cmp_ne_u16_sdwa vcc, v8, s19 src0_sel:BYTE_0 src1_sel:DWORD
	v_mov_b32_e32 v49, 0
	s_and_saveexec_b64 s[36:37], vcc
	s_cbranch_execz .LBB255_663
; %bb.660:                              ;   in Loop: Header=BB255_10 Depth=1
	v_and_b32_e32 v9, 0x7f, v8
	v_mov_b32_e32 v48, 0x7f800001
	v_cmp_ne_u32_e32 vcc, s41, v9
	v_mov_b32_e32 v49, 0
	s_and_saveexec_b64 s[38:39], vcc
	s_cbranch_execz .LBB255_662
; %bb.661:                              ;   in Loop: Header=BB255_10 Depth=1
	v_and_b32_e32 v14, 7, v8
	v_lshrrev_b32_e32 v15, 3, v9
	v_cmp_gt_u32_e32 vcc, 8, v9
	v_ffbh_u32_e32 v9, v14
	v_min_u32_e32 v9, 32, v9
	v_subrev_u32_e32 v10, 28, v9
	v_lshlrev_b64 v[10:11], v10, v[8:9]
	v_sub_u32_e32 v9, 29, v9
	v_and_b32_e32 v10, 7, v10
	v_cndmask_b32_e32 v9, v15, v9, vcc
	v_cndmask_b32_e32 v10, v14, v10, vcc
	v_bfrev_b32_e32 v14, 60
	v_lshlrev_b32_e32 v10, 20, v10
	v_and_b32_sdwa v11, sext(v8), s25 dst_sel:DWORD dst_unused:UNUSED_PAD src0_sel:BYTE_0 src1_sel:DWORD
	v_lshl_add_u32 v9, v9, 23, v14
	v_or3_b32 v52, v11, v9, v10
	v_pk_mov_b32 v[48:49], v[52:53], v[52:53] op_sel:[0,1]
	v_mov_b32_e32 v52, v59
.LBB255_662:                            ;   in Loop: Header=BB255_10 Depth=1
	s_or_b64 exec, exec, s[38:39]
.LBB255_663:                            ;   in Loop: Header=BB255_10 Depth=1
	s_or_b64 exec, exec, s[36:37]
.LBB255_664:                            ;   in Loop: Header=BB255_10 Depth=1
	s_or_b64 exec, exec, s[34:35]
	v_cmp_ne_u16_sdwa vcc, v8, v53 src0_sel:BYTE_1 src1_sel:DWORD
	s_and_saveexec_b64 s[34:35], vcc
	s_cbranch_execz .LBB255_670
; %bb.665:                              ;   in Loop: Header=BB255_10 Depth=1
	v_cmp_ne_u16_sdwa vcc, v8, s19 src0_sel:BYTE_1 src1_sel:DWORD
	v_pk_mov_b32 v[12:13], s[24:25], s[24:25] op_sel:[0,1]
	s_and_saveexec_b64 s[36:37], vcc
	s_cbranch_execz .LBB255_669
; %bb.666:                              ;   in Loop: Header=BB255_10 Depth=1
	v_and_b32_sdwa v9, v8, s41 dst_sel:DWORD dst_unused:UNUSED_PAD src0_sel:BYTE_1 src1_sel:DWORD
	s_mov_b32 s30, s24
	v_cmp_ne_u32_e32 vcc, s41, v9
	v_pk_mov_b32 v[12:13], s[30:31], s[30:31] op_sel:[0,1]
	s_and_saveexec_b64 s[38:39], vcc
	s_cbranch_execz .LBB255_668
; %bb.667:                              ;   in Loop: Header=BB255_10 Depth=1
	v_mov_b32_e32 v10, 7
	v_and_b32_sdwa v52, v8, v10 dst_sel:DWORD dst_unused:UNUSED_PAD src0_sel:BYTE_1 src1_sel:DWORD
	v_lshrrev_b32_e32 v12, 3, v9
	v_cmp_gt_u32_e32 vcc, 8, v9
	v_ffbh_u32_e32 v9, v52
	v_min_u32_e32 v9, 32, v9
	v_subrev_u32_e32 v10, 28, v9
	v_lshlrev_b64 v[10:11], v10, v[52:53]
	v_sub_u32_e32 v9, 29, v9
	v_and_b32_e32 v10, 7, v10
	v_cndmask_b32_e32 v9, v12, v9, vcc
	v_bfrev_b32_e32 v11, 60
	v_cndmask_b32_e32 v10, v52, v10, vcc
	v_lshlrev_b32_e32 v8, 16, v8
	v_lshl_add_u32 v9, v9, 23, v11
	v_and_or_b32 v8, v8, s25, v9
	v_lshlrev_b32_e32 v9, 20, v10
	v_mov_b32_e32 v52, v59
	v_or_b32_e32 v13, v8, v9
	v_mov_b32_e32 v12, v53
.LBB255_668:                            ;   in Loop: Header=BB255_10 Depth=1
	s_or_b64 exec, exec, s[38:39]
.LBB255_669:                            ;   in Loop: Header=BB255_10 Depth=1
	s_or_b64 exec, exec, s[36:37]
.LBB255_670:                            ;   in Loop: Header=BB255_10 Depth=1
	s_or_b64 exec, exec, s[34:35]
	flat_load_ushort v7, v[6:7] offset:12
	v_pk_mov_b32 v[60:61], 0, 0
	v_pk_mov_b32 v[26:27], v[60:61], v[60:61] op_sel:[0,1]
	s_waitcnt vmcnt(0) lgkmcnt(0)
	v_and_b32_e32 v6, 0xffff, v7
	v_cmp_ne_u16_sdwa vcc, v7, v53 src0_sel:BYTE_0 src1_sel:DWORD
	s_and_saveexec_b64 s[34:35], vcc
	s_cbranch_execz .LBB255_676
; %bb.671:                              ;   in Loop: Header=BB255_10 Depth=1
	v_bfrev_b32_e32 v26, 1
	v_cmp_ne_u16_sdwa vcc, v6, s19 src0_sel:BYTE_0 src1_sel:DWORD
	v_mov_b32_e32 v27, 0
	s_and_saveexec_b64 s[36:37], vcc
	s_cbranch_execz .LBB255_675
; %bb.672:                              ;   in Loop: Header=BB255_10 Depth=1
	v_and_b32_e32 v7, 0x7f, v6
	v_mov_b32_e32 v26, 0x7f800001
	v_cmp_ne_u32_e32 vcc, s41, v7
	v_mov_b32_e32 v27, 0
	s_and_saveexec_b64 s[38:39], vcc
	s_cbranch_execz .LBB255_674
; %bb.673:                              ;   in Loop: Header=BB255_10 Depth=1
	v_and_b32_e32 v10, 7, v6
	v_lshrrev_b32_e32 v11, 3, v7
	v_cmp_gt_u32_e32 vcc, 8, v7
	v_ffbh_u32_e32 v7, v10
	v_min_u32_e32 v7, 32, v7
	v_subrev_u32_e32 v8, 28, v7
	v_lshlrev_b64 v[8:9], v8, v[6:7]
	v_sub_u32_e32 v7, 29, v7
	v_and_b32_e32 v8, 7, v8
	v_cndmask_b32_e32 v7, v11, v7, vcc
	v_cndmask_b32_e32 v8, v10, v8, vcc
	v_bfrev_b32_e32 v10, 60
	v_lshlrev_b32_e32 v8, 20, v8
	v_and_b32_sdwa v9, sext(v6), s25 dst_sel:DWORD dst_unused:UNUSED_PAD src0_sel:BYTE_0 src1_sel:DWORD
	v_lshl_add_u32 v7, v7, 23, v10
	v_or3_b32 v52, v9, v7, v8
	v_pk_mov_b32 v[26:27], v[52:53], v[52:53] op_sel:[0,1]
	v_mov_b32_e32 v52, v59
.LBB255_674:                            ;   in Loop: Header=BB255_10 Depth=1
	s_or_b64 exec, exec, s[38:39]
.LBB255_675:                            ;   in Loop: Header=BB255_10 Depth=1
	s_or_b64 exec, exec, s[36:37]
.LBB255_676:                            ;   in Loop: Header=BB255_10 Depth=1
	s_or_b64 exec, exec, s[34:35]
	v_cmp_ne_u16_sdwa vcc, v6, v53 src0_sel:BYTE_1 src1_sel:DWORD
	s_and_saveexec_b64 s[34:35], vcc
	s_cbranch_execz .LBB255_682
; %bb.677:                              ;   in Loop: Header=BB255_10 Depth=1
	v_cmp_ne_u16_sdwa vcc, v6, s19 src0_sel:BYTE_1 src1_sel:DWORD
	v_pk_mov_b32 v[60:61], s[24:25], s[24:25] op_sel:[0,1]
	s_and_saveexec_b64 s[36:37], vcc
	s_cbranch_execz .LBB255_681
; %bb.678:                              ;   in Loop: Header=BB255_10 Depth=1
	v_and_b32_sdwa v7, v6, s41 dst_sel:DWORD dst_unused:UNUSED_PAD src0_sel:BYTE_1 src1_sel:DWORD
	s_mov_b32 s30, s24
	v_cmp_ne_u32_e32 vcc, s41, v7
	v_pk_mov_b32 v[60:61], s[30:31], s[30:31] op_sel:[0,1]
	s_and_saveexec_b64 s[38:39], vcc
	s_cbranch_execz .LBB255_680
; %bb.679:                              ;   in Loop: Header=BB255_10 Depth=1
	v_mov_b32_e32 v8, 7
	v_and_b32_sdwa v52, v6, v8 dst_sel:DWORD dst_unused:UNUSED_PAD src0_sel:BYTE_1 src1_sel:DWORD
	v_lshrrev_b32_e32 v10, 3, v7
	v_cmp_gt_u32_e32 vcc, 8, v7
	v_ffbh_u32_e32 v7, v52
	v_min_u32_e32 v7, 32, v7
	v_subrev_u32_e32 v8, 28, v7
	v_lshlrev_b64 v[8:9], v8, v[52:53]
	v_sub_u32_e32 v7, 29, v7
	v_and_b32_e32 v8, 7, v8
	v_cndmask_b32_e32 v7, v10, v7, vcc
	v_bfrev_b32_e32 v9, 60
	v_cndmask_b32_e32 v8, v52, v8, vcc
	v_lshlrev_b32_e32 v6, 16, v6
	v_lshl_add_u32 v7, v7, 23, v9
	v_and_or_b32 v6, v6, s25, v7
	v_lshlrev_b32_e32 v7, 20, v8
	v_mov_b32_e32 v52, v59
	v_or_b32_e32 v61, v6, v7
	v_mov_b32_e32 v60, v53
.LBB255_680:                            ;   in Loop: Header=BB255_10 Depth=1
	s_or_b64 exec, exec, s[38:39]
.LBB255_681:                            ;   in Loop: Header=BB255_10 Depth=1
	s_or_b64 exec, exec, s[36:37]
.LBB255_682:                            ;   in Loop: Header=BB255_10 Depth=1
	s_or_b64 exec, exec, s[34:35]
	v_add_co_u32_e32 v6, vcc, 0x1000, v56
	v_addc_co_u32_e32 v7, vcc, 0, v57, vcc
	flat_load_ushort v7, v[6:7] offset:3072
	v_pk_mov_b32 v[32:33], 0, 0
	v_pk_mov_b32 v[24:25], v[32:33], v[32:33] op_sel:[0,1]
	s_waitcnt vmcnt(0) lgkmcnt(0)
	v_and_b32_e32 v6, 0xffff, v7
	v_cmp_ne_u16_sdwa vcc, v7, v53 src0_sel:BYTE_0 src1_sel:DWORD
	s_and_saveexec_b64 s[34:35], vcc
	s_cbranch_execz .LBB255_688
; %bb.683:                              ;   in Loop: Header=BB255_10 Depth=1
	v_bfrev_b32_e32 v24, 1
	v_cmp_ne_u16_sdwa vcc, v6, s19 src0_sel:BYTE_0 src1_sel:DWORD
	v_mov_b32_e32 v25, 0
	s_and_saveexec_b64 s[36:37], vcc
	s_cbranch_execz .LBB255_687
; %bb.684:                              ;   in Loop: Header=BB255_10 Depth=1
	v_and_b32_e32 v7, 0x7f, v6
	v_mov_b32_e32 v24, 0x7f800001
	v_cmp_ne_u32_e32 vcc, s41, v7
	v_mov_b32_e32 v25, 0
	s_and_saveexec_b64 s[38:39], vcc
	s_cbranch_execz .LBB255_686
; %bb.685:                              ;   in Loop: Header=BB255_10 Depth=1
	v_and_b32_e32 v10, 7, v6
	v_lshrrev_b32_e32 v11, 3, v7
	v_cmp_gt_u32_e32 vcc, 8, v7
	v_ffbh_u32_e32 v7, v10
	v_min_u32_e32 v7, 32, v7
	v_subrev_u32_e32 v8, 28, v7
	v_lshlrev_b64 v[8:9], v8, v[6:7]
	v_sub_u32_e32 v7, 29, v7
	v_and_b32_e32 v8, 7, v8
	v_cndmask_b32_e32 v7, v11, v7, vcc
	v_cndmask_b32_e32 v8, v10, v8, vcc
	v_bfrev_b32_e32 v10, 60
	v_lshlrev_b32_e32 v8, 20, v8
	v_and_b32_sdwa v9, sext(v6), s25 dst_sel:DWORD dst_unused:UNUSED_PAD src0_sel:BYTE_0 src1_sel:DWORD
	v_lshl_add_u32 v7, v7, 23, v10
	v_or3_b32 v52, v9, v7, v8
	v_pk_mov_b32 v[24:25], v[52:53], v[52:53] op_sel:[0,1]
	v_mov_b32_e32 v52, v59
.LBB255_686:                            ;   in Loop: Header=BB255_10 Depth=1
	s_or_b64 exec, exec, s[38:39]
.LBB255_687:                            ;   in Loop: Header=BB255_10 Depth=1
	s_or_b64 exec, exec, s[36:37]
.LBB255_688:                            ;   in Loop: Header=BB255_10 Depth=1
	s_or_b64 exec, exec, s[34:35]
	v_cmp_ne_u16_sdwa vcc, v6, v53 src0_sel:BYTE_1 src1_sel:DWORD
	s_and_saveexec_b64 s[34:35], vcc
	s_cbranch_execz .LBB255_694
; %bb.689:                              ;   in Loop: Header=BB255_10 Depth=1
	v_cmp_ne_u16_sdwa vcc, v6, s19 src0_sel:BYTE_1 src1_sel:DWORD
	v_pk_mov_b32 v[32:33], s[24:25], s[24:25] op_sel:[0,1]
	s_and_saveexec_b64 s[36:37], vcc
	s_cbranch_execz .LBB255_693
; %bb.690:                              ;   in Loop: Header=BB255_10 Depth=1
	v_and_b32_sdwa v7, v6, s41 dst_sel:DWORD dst_unused:UNUSED_PAD src0_sel:BYTE_1 src1_sel:DWORD
	s_mov_b32 s30, s24
	v_cmp_ne_u32_e32 vcc, s41, v7
	v_pk_mov_b32 v[32:33], s[30:31], s[30:31] op_sel:[0,1]
	s_and_saveexec_b64 s[38:39], vcc
	s_cbranch_execz .LBB255_692
; %bb.691:                              ;   in Loop: Header=BB255_10 Depth=1
	v_mov_b32_e32 v8, 7
	v_and_b32_sdwa v52, v6, v8 dst_sel:DWORD dst_unused:UNUSED_PAD src0_sel:BYTE_1 src1_sel:DWORD
	v_lshrrev_b32_e32 v10, 3, v7
	v_cmp_gt_u32_e32 vcc, 8, v7
	v_ffbh_u32_e32 v7, v52
	v_min_u32_e32 v7, 32, v7
	v_subrev_u32_e32 v8, 28, v7
	v_lshlrev_b64 v[8:9], v8, v[52:53]
	v_sub_u32_e32 v7, 29, v7
	v_and_b32_e32 v8, 7, v8
	v_cndmask_b32_e32 v7, v10, v7, vcc
	v_bfrev_b32_e32 v9, 60
	v_cndmask_b32_e32 v8, v52, v8, vcc
	v_lshlrev_b32_e32 v6, 16, v6
	v_lshl_add_u32 v7, v7, 23, v9
	v_and_or_b32 v6, v6, s25, v7
	v_lshlrev_b32_e32 v7, 20, v8
	v_mov_b32_e32 v52, v59
	v_or_b32_e32 v33, v6, v7
	v_mov_b32_e32 v32, v53
.LBB255_692:                            ;   in Loop: Header=BB255_10 Depth=1
	s_or_b64 exec, exec, s[38:39]
.LBB255_693:                            ;   in Loop: Header=BB255_10 Depth=1
	s_or_b64 exec, exec, s[36:37]
.LBB255_694:                            ;   in Loop: Header=BB255_10 Depth=1
	s_or_b64 exec, exec, s[34:35]
	v_add_co_u32_e32 v6, vcc, 0x1c00, v56
	v_addc_co_u32_e32 v7, vcc, 0, v57, vcc
	flat_load_ushort v9, v[6:7] offset:4
	v_pk_mov_b32 v[44:45], 0, 0
	v_pk_mov_b32 v[20:21], v[44:45], v[44:45] op_sel:[0,1]
	s_waitcnt vmcnt(0) lgkmcnt(0)
	v_and_b32_e32 v8, 0xffff, v9
	v_cmp_ne_u16_sdwa vcc, v9, v53 src0_sel:BYTE_0 src1_sel:DWORD
	s_and_saveexec_b64 s[34:35], vcc
	s_cbranch_execz .LBB255_700
; %bb.695:                              ;   in Loop: Header=BB255_10 Depth=1
	v_bfrev_b32_e32 v20, 1
	v_cmp_ne_u16_sdwa vcc, v8, s19 src0_sel:BYTE_0 src1_sel:DWORD
	v_mov_b32_e32 v21, 0
	s_and_saveexec_b64 s[36:37], vcc
	s_cbranch_execz .LBB255_699
; %bb.696:                              ;   in Loop: Header=BB255_10 Depth=1
	v_and_b32_e32 v9, 0x7f, v8
	v_mov_b32_e32 v20, 0x7f800001
	v_cmp_ne_u32_e32 vcc, s41, v9
	v_mov_b32_e32 v21, 0
	s_and_saveexec_b64 s[38:39], vcc
	s_cbranch_execz .LBB255_698
; %bb.697:                              ;   in Loop: Header=BB255_10 Depth=1
	v_and_b32_e32 v14, 7, v8
	v_lshrrev_b32_e32 v15, 3, v9
	v_cmp_gt_u32_e32 vcc, 8, v9
	v_ffbh_u32_e32 v9, v14
	v_min_u32_e32 v9, 32, v9
	v_subrev_u32_e32 v10, 28, v9
	v_lshlrev_b64 v[10:11], v10, v[8:9]
	v_sub_u32_e32 v9, 29, v9
	v_and_b32_e32 v10, 7, v10
	v_cndmask_b32_e32 v9, v15, v9, vcc
	v_cndmask_b32_e32 v10, v14, v10, vcc
	v_bfrev_b32_e32 v14, 60
	v_lshlrev_b32_e32 v10, 20, v10
	v_and_b32_sdwa v11, sext(v8), s25 dst_sel:DWORD dst_unused:UNUSED_PAD src0_sel:BYTE_0 src1_sel:DWORD
	v_lshl_add_u32 v9, v9, 23, v14
	v_or3_b32 v52, v11, v9, v10
	v_pk_mov_b32 v[20:21], v[52:53], v[52:53] op_sel:[0,1]
	v_mov_b32_e32 v52, v59
.LBB255_698:                            ;   in Loop: Header=BB255_10 Depth=1
	s_or_b64 exec, exec, s[38:39]
.LBB255_699:                            ;   in Loop: Header=BB255_10 Depth=1
	s_or_b64 exec, exec, s[36:37]
.LBB255_700:                            ;   in Loop: Header=BB255_10 Depth=1
	s_or_b64 exec, exec, s[34:35]
	v_cmp_ne_u16_sdwa vcc, v8, v53 src0_sel:BYTE_1 src1_sel:DWORD
	s_and_saveexec_b64 s[34:35], vcc
	s_cbranch_execz .LBB255_706
; %bb.701:                              ;   in Loop: Header=BB255_10 Depth=1
	v_cmp_ne_u16_sdwa vcc, v8, s19 src0_sel:BYTE_1 src1_sel:DWORD
	v_pk_mov_b32 v[44:45], s[24:25], s[24:25] op_sel:[0,1]
	s_and_saveexec_b64 s[36:37], vcc
	s_cbranch_execz .LBB255_705
; %bb.702:                              ;   in Loop: Header=BB255_10 Depth=1
	v_and_b32_sdwa v9, v8, s41 dst_sel:DWORD dst_unused:UNUSED_PAD src0_sel:BYTE_1 src1_sel:DWORD
	s_mov_b32 s30, s24
	v_cmp_ne_u32_e32 vcc, s41, v9
	v_pk_mov_b32 v[44:45], s[30:31], s[30:31] op_sel:[0,1]
	s_and_saveexec_b64 s[38:39], vcc
	s_cbranch_execz .LBB255_704
; %bb.703:                              ;   in Loop: Header=BB255_10 Depth=1
	v_mov_b32_e32 v10, 7
	v_and_b32_sdwa v52, v8, v10 dst_sel:DWORD dst_unused:UNUSED_PAD src0_sel:BYTE_1 src1_sel:DWORD
	v_lshrrev_b32_e32 v14, 3, v9
	v_cmp_gt_u32_e32 vcc, 8, v9
	v_ffbh_u32_e32 v9, v52
	v_min_u32_e32 v9, 32, v9
	v_subrev_u32_e32 v10, 28, v9
	v_lshlrev_b64 v[10:11], v10, v[52:53]
	v_sub_u32_e32 v9, 29, v9
	v_and_b32_e32 v10, 7, v10
	v_cndmask_b32_e32 v9, v14, v9, vcc
	v_bfrev_b32_e32 v11, 60
	v_cndmask_b32_e32 v10, v52, v10, vcc
	v_lshlrev_b32_e32 v8, 16, v8
	v_lshl_add_u32 v9, v9, 23, v11
	v_and_or_b32 v8, v8, s25, v9
	v_lshlrev_b32_e32 v9, 20, v10
	v_mov_b32_e32 v52, v59
	v_or_b32_e32 v45, v8, v9
	v_mov_b32_e32 v44, v53
.LBB255_704:                            ;   in Loop: Header=BB255_10 Depth=1
	s_or_b64 exec, exec, s[38:39]
.LBB255_705:                            ;   in Loop: Header=BB255_10 Depth=1
	s_or_b64 exec, exec, s[36:37]
.LBB255_706:                            ;   in Loop: Header=BB255_10 Depth=1
	s_or_b64 exec, exec, s[34:35]
	flat_load_ushort v9, v[6:7] offset:8
	v_pk_mov_b32 v[10:11], 0, 0
	v_pk_mov_b32 v[16:17], v[10:11], v[10:11] op_sel:[0,1]
	s_waitcnt vmcnt(0) lgkmcnt(0)
	v_and_b32_e32 v8, 0xffff, v9
	v_cmp_ne_u16_sdwa vcc, v9, v53 src0_sel:BYTE_0 src1_sel:DWORD
	s_and_saveexec_b64 s[34:35], vcc
	s_cbranch_execz .LBB255_712
; %bb.707:                              ;   in Loop: Header=BB255_10 Depth=1
	v_bfrev_b32_e32 v16, 1
	v_cmp_ne_u16_sdwa vcc, v8, s19 src0_sel:BYTE_0 src1_sel:DWORD
	v_mov_b32_e32 v17, 0
	s_and_saveexec_b64 s[36:37], vcc
	s_cbranch_execz .LBB255_711
; %bb.708:                              ;   in Loop: Header=BB255_10 Depth=1
	v_and_b32_e32 v9, 0x7f, v8
	v_mov_b32_e32 v16, 0x7f800001
	v_cmp_ne_u32_e32 vcc, s41, v9
	v_mov_b32_e32 v17, 0
	s_and_saveexec_b64 s[38:39], vcc
	s_cbranch_execz .LBB255_710
; %bb.709:                              ;   in Loop: Header=BB255_10 Depth=1
	v_and_b32_e32 v16, 7, v8
	v_lshrrev_b32_e32 v17, 3, v9
	v_cmp_gt_u32_e32 vcc, 8, v9
	v_ffbh_u32_e32 v9, v16
	v_min_u32_e32 v9, 32, v9
	v_subrev_u32_e32 v14, 28, v9
	v_lshlrev_b64 v[14:15], v14, v[8:9]
	v_sub_u32_e32 v9, 29, v9
	v_and_b32_e32 v14, 7, v14
	v_cndmask_b32_e32 v9, v17, v9, vcc
	v_cndmask_b32_e32 v14, v16, v14, vcc
	v_bfrev_b32_e32 v16, 60
	v_lshlrev_b32_e32 v14, 20, v14
	v_and_b32_sdwa v15, sext(v8), s25 dst_sel:DWORD dst_unused:UNUSED_PAD src0_sel:BYTE_0 src1_sel:DWORD
	v_lshl_add_u32 v9, v9, 23, v16
	v_or3_b32 v52, v15, v9, v14
	v_pk_mov_b32 v[16:17], v[52:53], v[52:53] op_sel:[0,1]
	v_mov_b32_e32 v52, v59
.LBB255_710:                            ;   in Loop: Header=BB255_10 Depth=1
	s_or_b64 exec, exec, s[38:39]
.LBB255_711:                            ;   in Loop: Header=BB255_10 Depth=1
	s_or_b64 exec, exec, s[36:37]
.LBB255_712:                            ;   in Loop: Header=BB255_10 Depth=1
	s_or_b64 exec, exec, s[34:35]
	v_cmp_ne_u16_sdwa vcc, v8, v53 src0_sel:BYTE_1 src1_sel:DWORD
	s_and_saveexec_b64 s[34:35], vcc
	s_cbranch_execz .LBB255_718
; %bb.713:                              ;   in Loop: Header=BB255_10 Depth=1
	v_cmp_ne_u16_sdwa vcc, v8, s19 src0_sel:BYTE_1 src1_sel:DWORD
	v_pk_mov_b32 v[10:11], s[24:25], s[24:25] op_sel:[0,1]
	s_and_saveexec_b64 s[36:37], vcc
	s_cbranch_execz .LBB255_717
; %bb.714:                              ;   in Loop: Header=BB255_10 Depth=1
	v_and_b32_sdwa v9, v8, s41 dst_sel:DWORD dst_unused:UNUSED_PAD src0_sel:BYTE_1 src1_sel:DWORD
	s_mov_b32 s30, s24
	v_cmp_ne_u32_e32 vcc, s41, v9
	v_pk_mov_b32 v[10:11], s[30:31], s[30:31] op_sel:[0,1]
	s_and_saveexec_b64 s[38:39], vcc
	s_cbranch_execz .LBB255_716
; %bb.715:                              ;   in Loop: Header=BB255_10 Depth=1
	v_mov_b32_e32 v10, 7
	v_and_b32_sdwa v52, v8, v10 dst_sel:DWORD dst_unused:UNUSED_PAD src0_sel:BYTE_1 src1_sel:DWORD
	v_lshrrev_b32_e32 v14, 3, v9
	v_cmp_gt_u32_e32 vcc, 8, v9
	v_ffbh_u32_e32 v9, v52
	v_min_u32_e32 v9, 32, v9
	v_subrev_u32_e32 v10, 28, v9
	v_lshlrev_b64 v[10:11], v10, v[52:53]
	v_sub_u32_e32 v9, 29, v9
	v_and_b32_e32 v10, 7, v10
	v_cndmask_b32_e32 v9, v14, v9, vcc
	v_bfrev_b32_e32 v11, 60
	v_cndmask_b32_e32 v10, v52, v10, vcc
	v_lshlrev_b32_e32 v8, 16, v8
	v_lshl_add_u32 v9, v9, 23, v11
	v_and_or_b32 v8, v8, s25, v9
	v_lshlrev_b32_e32 v9, 20, v10
	v_mov_b32_e32 v52, v59
	v_or_b32_e32 v11, v8, v9
	v_mov_b32_e32 v10, v53
.LBB255_716:                            ;   in Loop: Header=BB255_10 Depth=1
	s_or_b64 exec, exec, s[38:39]
.LBB255_717:                            ;   in Loop: Header=BB255_10 Depth=1
	s_or_b64 exec, exec, s[36:37]
.LBB255_718:                            ;   in Loop: Header=BB255_10 Depth=1
	s_or_b64 exec, exec, s[34:35]
	flat_load_ushort v7, v[6:7] offset:12
	v_pk_mov_b32 v[54:55], 0, 0
	v_pk_mov_b32 v[14:15], v[54:55], v[54:55] op_sel:[0,1]
	s_waitcnt vmcnt(0) lgkmcnt(0)
	v_and_b32_e32 v6, 0xffff, v7
	v_cmp_ne_u16_sdwa vcc, v7, v53 src0_sel:BYTE_0 src1_sel:DWORD
	s_and_saveexec_b64 s[34:35], vcc
	s_cbranch_execz .LBB255_724
; %bb.719:                              ;   in Loop: Header=BB255_10 Depth=1
	v_bfrev_b32_e32 v14, 1
	v_cmp_ne_u16_sdwa vcc, v6, s19 src0_sel:BYTE_0 src1_sel:DWORD
	v_mov_b32_e32 v15, 0
	s_and_saveexec_b64 s[36:37], vcc
	s_cbranch_execz .LBB255_723
; %bb.720:                              ;   in Loop: Header=BB255_10 Depth=1
	v_and_b32_e32 v7, 0x7f, v6
	v_mov_b32_e32 v14, 0x7f800001
	v_cmp_ne_u32_e32 vcc, s41, v7
	v_mov_b32_e32 v15, 0
	s_and_saveexec_b64 s[38:39], vcc
	s_cbranch_execz .LBB255_722
; %bb.721:                              ;   in Loop: Header=BB255_10 Depth=1
	v_and_b32_e32 v14, 7, v6
	v_lshrrev_b32_e32 v15, 3, v7
	v_cmp_gt_u32_e32 vcc, 8, v7
	v_ffbh_u32_e32 v7, v14
	v_min_u32_e32 v7, 32, v7
	v_subrev_u32_e32 v8, 28, v7
	v_lshlrev_b64 v[8:9], v8, v[6:7]
	v_sub_u32_e32 v7, 29, v7
	v_and_b32_e32 v8, 7, v8
	v_cndmask_b32_e32 v7, v15, v7, vcc
	v_cndmask_b32_e32 v8, v14, v8, vcc
	v_bfrev_b32_e32 v14, 60
	v_lshlrev_b32_e32 v8, 20, v8
	v_and_b32_sdwa v9, sext(v6), s25 dst_sel:DWORD dst_unused:UNUSED_PAD src0_sel:BYTE_0 src1_sel:DWORD
	v_lshl_add_u32 v7, v7, 23, v14
	v_or3_b32 v52, v9, v7, v8
	v_pk_mov_b32 v[14:15], v[52:53], v[52:53] op_sel:[0,1]
	v_mov_b32_e32 v52, v59
.LBB255_722:                            ;   in Loop: Header=BB255_10 Depth=1
	s_or_b64 exec, exec, s[38:39]
.LBB255_723:                            ;   in Loop: Header=BB255_10 Depth=1
	s_or_b64 exec, exec, s[36:37]
.LBB255_724:                            ;   in Loop: Header=BB255_10 Depth=1
	s_or_b64 exec, exec, s[34:35]
	v_cmp_ne_u16_sdwa vcc, v6, v53 src0_sel:BYTE_1 src1_sel:DWORD
	s_and_saveexec_b64 s[34:35], vcc
	s_cbranch_execz .LBB255_730
; %bb.725:                              ;   in Loop: Header=BB255_10 Depth=1
	v_cmp_ne_u16_sdwa vcc, v6, s19 src0_sel:BYTE_1 src1_sel:DWORD
	v_pk_mov_b32 v[54:55], s[24:25], s[24:25] op_sel:[0,1]
	s_and_saveexec_b64 s[36:37], vcc
	s_cbranch_execz .LBB255_729
; %bb.726:                              ;   in Loop: Header=BB255_10 Depth=1
	v_and_b32_sdwa v7, v6, s41 dst_sel:DWORD dst_unused:UNUSED_PAD src0_sel:BYTE_1 src1_sel:DWORD
	s_mov_b32 s30, s24
	v_cmp_ne_u32_e32 vcc, s41, v7
	v_pk_mov_b32 v[54:55], s[30:31], s[30:31] op_sel:[0,1]
	s_and_saveexec_b64 s[38:39], vcc
	s_cbranch_execz .LBB255_728
; %bb.727:                              ;   in Loop: Header=BB255_10 Depth=1
	v_mov_b32_e32 v8, 7
	v_and_b32_sdwa v52, v6, v8 dst_sel:DWORD dst_unused:UNUSED_PAD src0_sel:BYTE_1 src1_sel:DWORD
	v_lshrrev_b32_e32 v30, 3, v7
	v_cmp_gt_u32_e32 vcc, 8, v7
	v_ffbh_u32_e32 v7, v52
	v_min_u32_e32 v7, 32, v7
	v_subrev_u32_e32 v8, 28, v7
	v_lshlrev_b64 v[8:9], v8, v[52:53]
	v_sub_u32_e32 v7, 29, v7
	v_and_b32_e32 v8, 7, v8
	v_cndmask_b32_e32 v7, v30, v7, vcc
	v_bfrev_b32_e32 v9, 60
	v_cndmask_b32_e32 v8, v52, v8, vcc
	v_lshlrev_b32_e32 v6, 16, v6
	v_lshl_add_u32 v7, v7, 23, v9
	v_and_or_b32 v6, v6, s25, v7
	v_lshlrev_b32_e32 v7, 20, v8
	v_mov_b32_e32 v52, v59
	v_or_b32_e32 v55, v6, v7
	v_mov_b32_e32 v54, v53
.LBB255_728:                            ;   in Loop: Header=BB255_10 Depth=1
	s_or_b64 exec, exec, s[38:39]
.LBB255_729:                            ;   in Loop: Header=BB255_10 Depth=1
	s_or_b64 exec, exec, s[36:37]
.LBB255_730:                            ;   in Loop: Header=BB255_10 Depth=1
	s_or_b64 exec, exec, s[34:35]
	v_add_co_u32_e32 v6, vcc, 0x1000, v56
	v_addc_co_u32_e32 v7, vcc, 0, v57, vcc
	flat_load_ushort v6, v[6:7] offset:3584
	v_pk_mov_b32 v[42:43], 0, 0
	s_waitcnt vmcnt(0) lgkmcnt(0)
	v_and_b32_e32 v8, 0xffff, v6
	v_cmp_ne_u16_sdwa vcc, v6, v53 src0_sel:BYTE_0 src1_sel:DWORD
	v_pk_mov_b32 v[6:7], v[42:43], v[42:43] op_sel:[0,1]
	s_and_saveexec_b64 s[34:35], vcc
	s_cbranch_execz .LBB255_736
; %bb.731:                              ;   in Loop: Header=BB255_10 Depth=1
	v_bfrev_b32_e32 v6, 1
	v_cmp_ne_u16_sdwa vcc, v8, s19 src0_sel:BYTE_0 src1_sel:DWORD
	v_mov_b32_e32 v7, 0
	s_and_saveexec_b64 s[36:37], vcc
	s_cbranch_execz .LBB255_735
; %bb.732:                              ;   in Loop: Header=BB255_10 Depth=1
	v_and_b32_e32 v9, 0x7f, v8
	v_mov_b32_e32 v6, 0x7f800001
	v_cmp_ne_u32_e32 vcc, s41, v9
	v_mov_b32_e32 v7, 0
	s_and_saveexec_b64 s[38:39], vcc
	s_cbranch_execz .LBB255_734
; %bb.733:                              ;   in Loop: Header=BB255_10 Depth=1
	v_and_b32_e32 v18, 7, v8
	v_ffbh_u32_e32 v6, v18
	v_lshrrev_b32_e32 v30, 3, v9
	v_cmp_gt_u32_e32 vcc, 8, v9
	v_min_u32_e32 v9, 32, v6
	v_subrev_u32_e32 v6, 28, v9
	v_lshlrev_b64 v[6:7], v6, v[8:9]
	v_sub_u32_e32 v7, 29, v9
	v_and_b32_e32 v6, 7, v6
	v_cndmask_b32_e32 v7, v30, v7, vcc
	v_cndmask_b32_e32 v6, v18, v6, vcc
	v_bfrev_b32_e32 v18, 60
	v_lshlrev_b32_e32 v6, 20, v6
	v_and_b32_sdwa v9, sext(v8), s25 dst_sel:DWORD dst_unused:UNUSED_PAD src0_sel:BYTE_0 src1_sel:DWORD
	v_lshl_add_u32 v7, v7, 23, v18
	v_or3_b32 v52, v9, v7, v6
	v_pk_mov_b32 v[6:7], v[52:53], v[52:53] op_sel:[0,1]
	v_mov_b32_e32 v52, v59
.LBB255_734:                            ;   in Loop: Header=BB255_10 Depth=1
	s_or_b64 exec, exec, s[38:39]
.LBB255_735:                            ;   in Loop: Header=BB255_10 Depth=1
	s_or_b64 exec, exec, s[36:37]
.LBB255_736:                            ;   in Loop: Header=BB255_10 Depth=1
	s_or_b64 exec, exec, s[34:35]
	v_cmp_ne_u16_sdwa vcc, v8, v53 src0_sel:BYTE_1 src1_sel:DWORD
	s_and_saveexec_b64 s[34:35], vcc
	s_cbranch_execz .LBB255_742
; %bb.737:                              ;   in Loop: Header=BB255_10 Depth=1
	v_cmp_ne_u16_sdwa vcc, v8, s19 src0_sel:BYTE_1 src1_sel:DWORD
	v_pk_mov_b32 v[42:43], s[24:25], s[24:25] op_sel:[0,1]
	s_and_saveexec_b64 s[36:37], vcc
	s_cbranch_execz .LBB255_741
; %bb.738:                              ;   in Loop: Header=BB255_10 Depth=1
	v_and_b32_sdwa v9, v8, s41 dst_sel:DWORD dst_unused:UNUSED_PAD src0_sel:BYTE_1 src1_sel:DWORD
	s_mov_b32 s30, s24
	v_cmp_ne_u32_e32 vcc, s41, v9
	v_pk_mov_b32 v[42:43], s[30:31], s[30:31] op_sel:[0,1]
	s_and_saveexec_b64 s[38:39], vcc
	s_cbranch_execz .LBB255_740
; %bb.739:                              ;   in Loop: Header=BB255_10 Depth=1
	v_mov_b32_e32 v18, 7
	v_and_b32_sdwa v52, v8, v18 dst_sel:DWORD dst_unused:UNUSED_PAD src0_sel:BYTE_1 src1_sel:DWORD
	v_lshrrev_b32_e32 v34, 3, v9
	v_cmp_gt_u32_e32 vcc, 8, v9
	v_ffbh_u32_e32 v9, v52
	v_min_u32_e32 v9, 32, v9
	v_subrev_u32_e32 v30, 28, v9
	v_lshlrev_b64 v[30:31], v30, v[52:53]
	v_sub_u32_e32 v9, 29, v9
	v_and_b32_e32 v30, 7, v30
	v_cndmask_b32_e32 v9, v34, v9, vcc
	v_bfrev_b32_e32 v19, 60
	v_cndmask_b32_e32 v18, v52, v30, vcc
	v_lshlrev_b32_e32 v8, 16, v8
	v_lshl_add_u32 v9, v9, 23, v19
	v_and_or_b32 v8, v8, s25, v9
	v_lshlrev_b32_e32 v9, 20, v18
	v_mov_b32_e32 v52, v59
	v_or_b32_e32 v43, v8, v9
	v_mov_b32_e32 v42, v53
.LBB255_740:                            ;   in Loop: Header=BB255_10 Depth=1
	s_or_b64 exec, exec, s[38:39]
.LBB255_741:                            ;   in Loop: Header=BB255_10 Depth=1
	s_or_b64 exec, exec, s[36:37]
.LBB255_742:                            ;   in Loop: Header=BB255_10 Depth=1
	s_or_b64 exec, exec, s[34:35]
	v_add_co_u32_e32 v30, vcc, 0x1e00, v56
	v_addc_co_u32_e32 v31, vcc, 0, v57, vcc
	flat_load_ushort v18, v[30:31] offset:4
	v_pk_mov_b32 v[8:9], 0, 0
	v_pk_mov_b32 v[34:35], v[8:9], v[8:9] op_sel:[0,1]
	s_waitcnt vmcnt(0) lgkmcnt(0)
	v_and_b32_e32 v36, 0xffff, v18
	v_cmp_ne_u16_sdwa vcc, v18, v53 src0_sel:BYTE_0 src1_sel:DWORD
	s_and_saveexec_b64 s[34:35], vcc
	s_cbranch_execz .LBB255_748
; %bb.743:                              ;   in Loop: Header=BB255_10 Depth=1
	v_bfrev_b32_e32 v34, 1
	v_cmp_ne_u16_sdwa vcc, v36, s19 src0_sel:BYTE_0 src1_sel:DWORD
	v_mov_b32_e32 v35, 0
	s_and_saveexec_b64 s[36:37], vcc
	s_cbranch_execz .LBB255_747
; %bb.744:                              ;   in Loop: Header=BB255_10 Depth=1
	v_and_b32_e32 v18, 0x7f, v36
	v_mov_b32_e32 v34, 0x7f800001
	v_cmp_ne_u32_e32 vcc, s41, v18
	v_mov_b32_e32 v35, 0
	s_and_saveexec_b64 s[38:39], vcc
	s_cbranch_execz .LBB255_746
; %bb.745:                              ;   in Loop: Header=BB255_10 Depth=1
	v_and_b32_e32 v37, 7, v36
	v_lshrrev_b32_e32 v50, 3, v18
	v_cmp_gt_u32_e32 vcc, 8, v18
	v_ffbh_u32_e32 v18, v37
	v_min_u32_e32 v18, 32, v18
	v_subrev_u32_e32 v34, 28, v18
	v_lshlrev_b64 v[34:35], v34, v[36:37]
	v_sub_u32_e32 v18, 29, v18
	v_and_b32_e32 v34, 7, v34
	v_cndmask_b32_e32 v18, v50, v18, vcc
	v_cndmask_b32_e32 v34, v37, v34, vcc
	v_bfrev_b32_e32 v19, 60
	v_lshlrev_b32_e32 v34, 20, v34
	v_and_b32_sdwa v35, sext(v36), s25 dst_sel:DWORD dst_unused:UNUSED_PAD src0_sel:BYTE_0 src1_sel:DWORD
	v_lshl_add_u32 v18, v18, 23, v19
	v_or3_b32 v52, v35, v18, v34
	v_pk_mov_b32 v[34:35], v[52:53], v[52:53] op_sel:[0,1]
	v_mov_b32_e32 v52, v59
.LBB255_746:                            ;   in Loop: Header=BB255_10 Depth=1
	s_or_b64 exec, exec, s[38:39]
.LBB255_747:                            ;   in Loop: Header=BB255_10 Depth=1
	s_or_b64 exec, exec, s[36:37]
.LBB255_748:                            ;   in Loop: Header=BB255_10 Depth=1
	s_or_b64 exec, exec, s[34:35]
	v_cmp_ne_u16_sdwa vcc, v36, v53 src0_sel:BYTE_1 src1_sel:DWORD
	s_and_saveexec_b64 s[34:35], vcc
	s_cbranch_execz .LBB255_754
; %bb.749:                              ;   in Loop: Header=BB255_10 Depth=1
	v_cmp_ne_u16_sdwa vcc, v36, s19 src0_sel:BYTE_1 src1_sel:DWORD
	v_pk_mov_b32 v[8:9], s[24:25], s[24:25] op_sel:[0,1]
	s_and_saveexec_b64 s[36:37], vcc
	s_cbranch_execz .LBB255_753
; %bb.750:                              ;   in Loop: Header=BB255_10 Depth=1
	v_and_b32_sdwa v37, v36, s41 dst_sel:DWORD dst_unused:UNUSED_PAD src0_sel:BYTE_1 src1_sel:DWORD
	s_mov_b32 s30, s24
	v_cmp_ne_u32_e32 vcc, s41, v37
	v_pk_mov_b32 v[8:9], s[30:31], s[30:31] op_sel:[0,1]
	s_and_saveexec_b64 s[38:39], vcc
	s_cbranch_execz .LBB255_752
; %bb.751:                              ;   in Loop: Header=BB255_10 Depth=1
	v_mov_b32_e32 v8, 7
	v_and_b32_sdwa v52, v36, v8 dst_sel:DWORD dst_unused:UNUSED_PAD src0_sel:BYTE_1 src1_sel:DWORD
	v_ffbh_u32_e32 v8, v52
	v_lshrrev_b32_e32 v50, 3, v37
	v_cmp_gt_u32_e32 vcc, 8, v37
	v_min_u32_e32 v37, 32, v8
	v_subrev_u32_e32 v8, 28, v37
	v_lshlrev_b64 v[8:9], v8, v[52:53]
	v_sub_u32_e32 v9, 29, v37
	v_and_b32_e32 v8, 7, v8
	v_cndmask_b32_e32 v9, v50, v9, vcc
	v_bfrev_b32_e32 v19, 60
	v_cndmask_b32_e32 v8, v52, v8, vcc
	v_lshlrev_b32_e32 v18, 16, v36
	v_lshl_add_u32 v9, v9, 23, v19
	v_and_or_b32 v9, v18, s25, v9
	v_lshlrev_b32_e32 v8, 20, v8
	v_mov_b32_e32 v52, v59
	v_or_b32_e32 v9, v9, v8
	v_mov_b32_e32 v8, v53
.LBB255_752:                            ;   in Loop: Header=BB255_10 Depth=1
	s_or_b64 exec, exec, s[38:39]
.LBB255_753:                            ;   in Loop: Header=BB255_10 Depth=1
	s_or_b64 exec, exec, s[36:37]
.LBB255_754:                            ;   in Loop: Header=BB255_10 Depth=1
	s_or_b64 exec, exec, s[34:35]
	flat_load_ushort v18, v[30:31] offset:8
	v_pk_mov_b32 v[36:37], 0, 0
	v_pk_mov_b32 v[50:51], v[36:37], v[36:37] op_sel:[0,1]
	s_waitcnt vmcnt(0) lgkmcnt(0)
	v_and_b32_e32 v46, 0xffff, v18
	v_cmp_ne_u16_sdwa vcc, v18, v53 src0_sel:BYTE_0 src1_sel:DWORD
	s_and_saveexec_b64 s[34:35], vcc
	s_cbranch_execz .LBB255_760
; %bb.755:                              ;   in Loop: Header=BB255_10 Depth=1
	v_bfrev_b32_e32 v50, 1
	v_cmp_ne_u16_sdwa vcc, v46, s19 src0_sel:BYTE_0 src1_sel:DWORD
	v_mov_b32_e32 v51, 0
	s_and_saveexec_b64 s[36:37], vcc
	s_cbranch_execz .LBB255_759
; %bb.756:                              ;   in Loop: Header=BB255_10 Depth=1
	v_and_b32_e32 v18, 0x7f, v46
	v_mov_b32_e32 v50, 0x7f800001
	v_cmp_ne_u32_e32 vcc, s41, v18
	v_mov_b32_e32 v51, 0
	s_and_saveexec_b64 s[38:39], vcc
	s_cbranch_execz .LBB255_758
; %bb.757:                              ;   in Loop: Header=BB255_10 Depth=1
	v_and_b32_e32 v47, 7, v46
	v_lshrrev_b32_e32 v56, 3, v18
	v_cmp_gt_u32_e32 vcc, 8, v18
	v_ffbh_u32_e32 v18, v47
	v_min_u32_e32 v18, 32, v18
	v_subrev_u32_e32 v50, 28, v18
	v_lshlrev_b64 v[50:51], v50, v[46:47]
	v_sub_u32_e32 v18, 29, v18
	v_and_b32_e32 v50, 7, v50
	v_cndmask_b32_e32 v18, v56, v18, vcc
	v_cndmask_b32_e32 v50, v47, v50, vcc
	v_bfrev_b32_e32 v19, 60
	v_lshlrev_b32_e32 v50, 20, v50
	v_and_b32_sdwa v51, sext(v46), s25 dst_sel:DWORD dst_unused:UNUSED_PAD src0_sel:BYTE_0 src1_sel:DWORD
	v_lshl_add_u32 v18, v18, 23, v19
	v_or3_b32 v52, v51, v18, v50
	v_pk_mov_b32 v[50:51], v[52:53], v[52:53] op_sel:[0,1]
	v_mov_b32_e32 v52, v59
.LBB255_758:                            ;   in Loop: Header=BB255_10 Depth=1
	s_or_b64 exec, exec, s[38:39]
.LBB255_759:                            ;   in Loop: Header=BB255_10 Depth=1
	s_or_b64 exec, exec, s[36:37]
.LBB255_760:                            ;   in Loop: Header=BB255_10 Depth=1
	s_or_b64 exec, exec, s[34:35]
	v_cmp_ne_u16_sdwa vcc, v46, v53 src0_sel:BYTE_1 src1_sel:DWORD
	s_and_saveexec_b64 s[34:35], vcc
	s_cbranch_execz .LBB255_766
; %bb.761:                              ;   in Loop: Header=BB255_10 Depth=1
	v_cmp_ne_u16_sdwa vcc, v46, s19 src0_sel:BYTE_1 src1_sel:DWORD
	v_pk_mov_b32 v[36:37], s[24:25], s[24:25] op_sel:[0,1]
	s_and_saveexec_b64 s[36:37], vcc
	s_cbranch_execz .LBB255_765
; %bb.762:                              ;   in Loop: Header=BB255_10 Depth=1
	v_and_b32_sdwa v47, v46, s41 dst_sel:DWORD dst_unused:UNUSED_PAD src0_sel:BYTE_1 src1_sel:DWORD
	s_mov_b32 s30, s24
	v_cmp_ne_u32_e32 vcc, s41, v47
	v_pk_mov_b32 v[36:37], s[30:31], s[30:31] op_sel:[0,1]
	s_and_saveexec_b64 s[38:39], vcc
	s_cbranch_execz .LBB255_764
; %bb.763:                              ;   in Loop: Header=BB255_10 Depth=1
	v_mov_b32_e32 v18, 7
	v_and_b32_sdwa v52, v46, v18 dst_sel:DWORD dst_unused:UNUSED_PAD src0_sel:BYTE_1 src1_sel:DWORD
	v_ffbh_u32_e32 v36, v52
	v_lshrrev_b32_e32 v56, 3, v47
	v_cmp_gt_u32_e32 vcc, 8, v47
	v_min_u32_e32 v47, 32, v36
	v_subrev_u32_e32 v36, 28, v47
	v_lshlrev_b64 v[36:37], v36, v[52:53]
	v_sub_u32_e32 v37, 29, v47
	v_and_b32_e32 v36, 7, v36
	v_cndmask_b32_e32 v37, v56, v37, vcc
	v_bfrev_b32_e32 v19, 60
	v_cndmask_b32_e32 v18, v52, v36, vcc
	v_lshlrev_b32_e32 v36, 16, v46
	v_lshl_add_u32 v37, v37, 23, v19
	v_and_or_b32 v36, v36, s25, v37
	v_lshlrev_b32_e32 v18, 20, v18
	v_mov_b32_e32 v52, v59
	v_or_b32_e32 v37, v36, v18
	v_mov_b32_e32 v36, v53
.LBB255_764:                            ;   in Loop: Header=BB255_10 Depth=1
	s_or_b64 exec, exec, s[38:39]
.LBB255_765:                            ;   in Loop: Header=BB255_10 Depth=1
	s_or_b64 exec, exec, s[36:37]
.LBB255_766:                            ;   in Loop: Header=BB255_10 Depth=1
	s_or_b64 exec, exec, s[34:35]
	flat_load_ushort v18, v[30:31] offset:12
	v_pk_mov_b32 v[56:57], 0, 0
	v_pk_mov_b32 v[46:47], v[56:57], v[56:57] op_sel:[0,1]
	s_waitcnt vmcnt(0) lgkmcnt(0)
	v_and_b32_e32 v30, 0xffff, v18
	v_cmp_ne_u16_sdwa vcc, v18, v53 src0_sel:BYTE_0 src1_sel:DWORD
	s_and_saveexec_b64 s[34:35], vcc
	s_cbranch_execz .LBB255_772
; %bb.767:                              ;   in Loop: Header=BB255_10 Depth=1
	v_bfrev_b32_e32 v46, 1
	v_cmp_ne_u16_sdwa vcc, v30, s19 src0_sel:BYTE_0 src1_sel:DWORD
	v_mov_b32_e32 v47, 0
	s_and_saveexec_b64 s[36:37], vcc
	s_cbranch_execz .LBB255_771
; %bb.768:                              ;   in Loop: Header=BB255_10 Depth=1
	v_and_b32_e32 v18, 0x7f, v30
	v_mov_b32_e32 v46, 0x7f800001
	v_cmp_ne_u32_e32 vcc, s41, v18
	v_mov_b32_e32 v47, 0
	s_and_saveexec_b64 s[38:39], vcc
	s_cbranch_execz .LBB255_770
; %bb.769:                              ;   in Loop: Header=BB255_10 Depth=1
	v_and_b32_e32 v31, 7, v30
	v_lshrrev_b32_e32 v58, 3, v18
	v_cmp_gt_u32_e32 vcc, 8, v18
	v_ffbh_u32_e32 v18, v31
	v_min_u32_e32 v18, 32, v18
	v_subrev_u32_e32 v46, 28, v18
	v_lshlrev_b64 v[46:47], v46, v[30:31]
	v_sub_u32_e32 v18, 29, v18
	v_and_b32_e32 v46, 7, v46
	v_cndmask_b32_e32 v18, v58, v18, vcc
	v_cndmask_b32_e32 v31, v31, v46, vcc
	v_bfrev_b32_e32 v19, 60
	v_lshlrev_b32_e32 v31, 20, v31
	v_and_b32_sdwa v46, sext(v30), s25 dst_sel:DWORD dst_unused:UNUSED_PAD src0_sel:BYTE_0 src1_sel:DWORD
	v_lshl_add_u32 v18, v18, 23, v19
	v_or3_b32 v52, v46, v18, v31
	v_pk_mov_b32 v[46:47], v[52:53], v[52:53] op_sel:[0,1]
	v_mov_b32_e32 v52, v59
.LBB255_770:                            ;   in Loop: Header=BB255_10 Depth=1
	s_or_b64 exec, exec, s[38:39]
.LBB255_771:                            ;   in Loop: Header=BB255_10 Depth=1
	s_or_b64 exec, exec, s[36:37]
.LBB255_772:                            ;   in Loop: Header=BB255_10 Depth=1
	s_or_b64 exec, exec, s[34:35]
	v_accvgpr_write_b32 a51, v47
	v_accvgpr_write_b32 a50, v46
	v_cmp_ne_u16_sdwa vcc, v30, v53 src0_sel:BYTE_1 src1_sel:DWORD
	s_and_saveexec_b64 s[34:35], vcc
	s_cbranch_execz .LBB255_778
; %bb.773:                              ;   in Loop: Header=BB255_10 Depth=1
	v_cmp_ne_u16_sdwa vcc, v30, s19 src0_sel:BYTE_1 src1_sel:DWORD
	v_pk_mov_b32 v[56:57], s[24:25], s[24:25] op_sel:[0,1]
	s_and_saveexec_b64 s[36:37], vcc
	s_cbranch_execz .LBB255_777
; %bb.774:                              ;   in Loop: Header=BB255_10 Depth=1
	v_and_b32_sdwa v31, v30, s41 dst_sel:DWORD dst_unused:UNUSED_PAD src0_sel:BYTE_1 src1_sel:DWORD
	s_mov_b32 s30, s24
	v_cmp_ne_u32_e32 vcc, s41, v31
	v_pk_mov_b32 v[56:57], s[30:31], s[30:31] op_sel:[0,1]
	s_and_saveexec_b64 s[38:39], vcc
	s_cbranch_execz .LBB255_776
; %bb.775:                              ;   in Loop: Header=BB255_10 Depth=1
	v_mov_b32_e32 v18, 7
	v_and_b32_sdwa v52, v30, v18 dst_sel:DWORD dst_unused:UNUSED_PAD src0_sel:BYTE_1 src1_sel:DWORD
	v_lshrrev_b32_e32 v56, 3, v31
	v_cmp_gt_u32_e32 vcc, 8, v31
	v_ffbh_u32_e32 v31, v52
	v_min_u32_e32 v31, 32, v31
	v_subrev_u32_e32 v46, 28, v31
	v_lshlrev_b64 v[46:47], v46, v[52:53]
	v_sub_u32_e32 v31, 29, v31
	v_and_b32_e32 v46, 7, v46
	v_cndmask_b32_e32 v31, v56, v31, vcc
	v_bfrev_b32_e32 v19, 60
	v_cndmask_b32_e32 v18, v52, v46, vcc
	v_lshlrev_b32_e32 v30, 16, v30
	v_lshl_add_u32 v31, v31, 23, v19
	v_and_or_b32 v30, v30, s25, v31
	v_lshlrev_b32_e32 v18, 20, v18
	v_mov_b32_e32 v52, v59
	v_or_b32_e32 v57, v30, v18
	v_mov_b32_e32 v56, v53
.LBB255_776:                            ;   in Loop: Header=BB255_10 Depth=1
	s_or_b64 exec, exec, s[38:39]
.LBB255_777:                            ;   in Loop: Header=BB255_10 Depth=1
	s_or_b64 exec, exec, s[36:37]
.LBB255_778:                            ;   in Loop: Header=BB255_10 Depth=1
	s_or_b64 exec, exec, s[34:35]
	v_or_b32_e32 v5, v29, v5
	v_or_b32_e32 v4, v28, v4
	v_accvgpr_write_b32 a29, v5
	v_accvgpr_write_b32 a28, v4
	v_accvgpr_read_b32 v4, a34
	v_accvgpr_read_b32 v5, a35
	v_or_b32_e32 v5, v39, v5
	v_or_b32_e32 v4, v38, v4
	v_accvgpr_write_b32 a35, v5
	v_accvgpr_write_b32 a34, v4
	v_accvgpr_read_b32 v4, a14
	v_accvgpr_read_b32 v5, a15
	;; [unrolled: 6-line block ×5, first 2 shown]
	v_accvgpr_read_b32 v1, a13
	v_accvgpr_read_b32 v3, a57
	v_or_b32_e32 v1, v1, v3
	v_or_b32_e32 v0, v0, v2
	v_accvgpr_write_b32 a57, v1
	v_accvgpr_write_b32 a56, v0
	v_accvgpr_read_b32 v0, a32
	v_accvgpr_read_b32 v2, a58
	v_accvgpr_read_b32 v1, a33
	v_accvgpr_read_b32 v3, a59
	v_or_b32_e32 v1, v1, v3
	v_or_b32_e32 v0, v0, v2
	v_accvgpr_write_b32 a33, v1
	v_accvgpr_write_b32 a32, v0
	v_accvgpr_read_b32 v0, a54
	v_accvgpr_read_b32 v2, a8
	;; [unrolled: 8-line block ×4, first 2 shown]
	v_accvgpr_read_b32 v1, a47
	v_accvgpr_read_b32 v3, a41
	v_or_b32_e32 v1, v1, v3
	v_or_b32_e32 v0, v0, v2
	v_accvgpr_write_b32 a41, v1
	v_or_b32_e32 v19, v37, v51
	v_or_b32_e32 v18, v36, v50
	;; [unrolled: 1-line block ×6, first 2 shown]
	v_accvgpr_write_b32 a40, v0
	v_accvgpr_read_b32 v0, a42
	v_accvgpr_read_b32 v2, a4
	buffer_store_dword v18, off, s[0:3], s32 offset:888 ; 4-byte Folded Spill
	s_nop 0
	buffer_store_dword v19, off, s[0:3], s32 offset:892 ; 4-byte Folded Spill
	buffer_store_dword v8, off, s[0:3], s32 offset:896 ; 4-byte Folded Spill
	s_nop 0
	buffer_store_dword v9, off, s[0:3], s32 offset:900 ; 4-byte Folded Spill
	;; [unrolled: 3-line block ×3, first 2 shown]
	v_accvgpr_read_b32 v1, a43
	v_accvgpr_read_b32 v3, a5
	v_or_b32_e32 v7, v55, v15
	v_or_b32_e32 v6, v54, v14
	;; [unrolled: 1-line block ×3, first 2 shown]
	buffer_store_dword v6, off, s[0:3], s32 offset:912 ; 4-byte Folded Spill
	s_nop 0
	buffer_store_dword v7, off, s[0:3], s32 offset:916 ; 4-byte Folded Spill
	v_or_b32_e32 v0, v0, v2
	v_accvgpr_write_b32 a43, v1
	v_or_b32_e32 v7, v11, v17
	v_or_b32_e32 v6, v10, v16
	v_accvgpr_write_b32 a42, v0
	v_accvgpr_read_b32 v0, a6
	v_accvgpr_read_b32 v2, a10
	buffer_store_dword v6, off, s[0:3], s32 offset:920 ; 4-byte Folded Spill
	s_nop 0
	buffer_store_dword v7, off, s[0:3], s32 offset:924 ; 4-byte Folded Spill
	v_accvgpr_read_b32 v1, a7
	v_accvgpr_read_b32 v3, a11
	v_or_b32_e32 v1, v1, v3
	v_or_b32_e32 v0, v0, v2
	buffer_load_dword v2, off, s[0:3], s32 offset:852 ; 4-byte Folded Reload
	buffer_load_dword v3, off, s[0:3], s32 offset:856 ; 4-byte Folded Reload
	v_accvgpr_write_b32 a47, v1
	v_accvgpr_write_b32 a46, v0
	v_accvgpr_read_b32 v0, a2
	v_accvgpr_read_b32 v1, a3
	v_or_b32_e32 v7, v45, v21
	v_or_b32_e32 v6, v44, v20
	v_accvgpr_write_b32 a53, v7
	v_accvgpr_write_b32 a52, v6
	v_or_b32_e32 v7, v33, v25
	v_or_b32_e32 v6, v32, v24
	v_accvgpr_write_b32 a49, v7
	v_accvgpr_write_b32 a48, v6
	;; [unrolled: 4-line block ×4, first 2 shown]
	s_waitcnt vmcnt(0)
	v_or_b32_e32 v1, v1, v3
	v_or_b32_e32 v0, v0, v2
	v_accvgpr_write_b32 a59, v1
	v_accvgpr_write_b32 a58, v0
	buffer_load_dword v0, off, s[0:3], s32 offset:844 ; 4-byte Folded Reload
	buffer_load_dword v1, off, s[0:3], s32 offset:848 ; 4-byte Folded Reload
	buffer_load_dword v2, off, s[0:3], s32 offset:836 ; 4-byte Folded Reload
	buffer_load_dword v3, off, s[0:3], s32 offset:840 ; 4-byte Folded Reload
	s_waitcnt vmcnt(0)
	v_or_b32_e32 v1, v1, v3
	v_or_b32_e32 v0, v0, v2
	v_accvgpr_write_b32 a63, v1
	v_accvgpr_write_b32 a62, v0
	buffer_load_dword v0, off, s[0:3], s32 offset:828 ; 4-byte Folded Reload
	buffer_load_dword v1, off, s[0:3], s32 offset:832 ; 4-byte Folded Reload
	buffer_load_dword v2, off, s[0:3], s32 offset:820 ; 4-byte Folded Reload
	buffer_load_dword v3, off, s[0:3], s32 offset:824 ; 4-byte Folded Reload
	;; [unrolled: 9-line block ×14, first 2 shown]
	s_waitcnt vmcnt(1)
	v_or_b32_e32 v0, v0, v2
	s_waitcnt vmcnt(0)
	v_or_b32_e32 v1, v1, v3
	v_accvgpr_write_b32 a0, v0
	v_accvgpr_write_b32 a1, v1
	buffer_load_dword v0, off, s[0:3], s32 offset:620 ; 4-byte Folded Reload
	buffer_load_dword v1, off, s[0:3], s32 offset:624 ; 4-byte Folded Reload
	buffer_load_dword v2, off, s[0:3], s32 offset:612 ; 4-byte Folded Reload
	buffer_load_dword v3, off, s[0:3], s32 offset:616 ; 4-byte Folded Reload
	s_waitcnt vmcnt(0)
	v_or_b32_e32 v61, v1, v3
	v_or_b32_e32 v60, v0, v2
	buffer_load_dword v0, off, s[0:3], s32 offset:604 ; 4-byte Folded Reload
	buffer_load_dword v1, off, s[0:3], s32 offset:608 ; 4-byte Folded Reload
	buffer_load_dword v2, off, s[0:3], s32 offset:596 ; 4-byte Folded Reload
	buffer_load_dword v3, off, s[0:3], s32 offset:600 ; 4-byte Folded Reload
	s_waitcnt vmcnt(0)
	v_or_b32_e32 v59, v1, v3
	v_or_b32_e32 v58, v0, v2
	;; [unrolled: 7-line block ×13, first 2 shown]
	buffer_load_dword v0, off, s[0:3], s32 offset:412 ; 4-byte Folded Reload
	buffer_load_dword v1, off, s[0:3], s32 offset:416 ; 4-byte Folded Reload
	buffer_load_dword v2, off, s[0:3], s32 offset:404 ; 4-byte Folded Reload
	buffer_load_dword v3, off, s[0:3], s32 offset:408 ; 4-byte Folded Reload
	v_pk_mul_f32 v[44:45], v[40:41], v[44:45] op_sel_hi:[0,1]
	s_waitcnt vmcnt(0)
	v_or_b32_e32 v27, v1, v3
	v_or_b32_e32 v26, v0, v2
	buffer_load_dword v0, off, s[0:3], s32 offset:396 ; 4-byte Folded Reload
	buffer_load_dword v1, off, s[0:3], s32 offset:400 ; 4-byte Folded Reload
	buffer_load_dword v2, off, s[0:3], s32 offset:388 ; 4-byte Folded Reload
	buffer_load_dword v3, off, s[0:3], s32 offset:392 ; 4-byte Folded Reload
	v_pk_mul_f32 v[26:27], v[40:41], v[26:27] op_sel_hi:[0,1]
	s_waitcnt vmcnt(0)
	v_or_b32_e32 v31, v1, v3
	v_or_b32_e32 v30, v0, v2
	;; [unrolled: 8-line block ×3, first 2 shown]
	buffer_load_dword v0, off, s[0:3], s32 offset:364 ; 4-byte Folded Reload
	buffer_load_dword v1, off, s[0:3], s32 offset:368 ; 4-byte Folded Reload
	;; [unrolled: 1-line block ×4, first 2 shown]
	s_waitcnt vmcnt(0)
	v_or_b32_e32 v25, v1, v3
	v_or_b32_e32 v24, v0, v2
	buffer_load_dword v0, off, s[0:3], s32 offset:348 ; 4-byte Folded Reload
	buffer_load_dword v1, off, s[0:3], s32 offset:352 ; 4-byte Folded Reload
	buffer_load_dword v2, off, s[0:3], s32 offset:340 ; 4-byte Folded Reload
	buffer_load_dword v3, off, s[0:3], s32 offset:344 ; 4-byte Folded Reload
	v_pk_mul_f32 v[24:25], v[40:41], v[24:25] op_sel_hi:[0,1]
	s_waitcnt vmcnt(0)
	v_or_b32_e32 v23, v1, v3
	v_or_b32_e32 v22, v0, v2
	buffer_load_dword v0, off, s[0:3], s32 offset:332 ; 4-byte Folded Reload
	buffer_load_dword v1, off, s[0:3], s32 offset:336 ; 4-byte Folded Reload
	buffer_load_dword v2, off, s[0:3], s32 offset:324 ; 4-byte Folded Reload
	buffer_load_dword v3, off, s[0:3], s32 offset:328 ; 4-byte Folded Reload
	v_pk_mul_f32 v[22:23], v[40:41], v[22:23] op_sel_hi:[0,1]
	;; [unrolled: 8-line block ×9, first 2 shown]
	s_waitcnt vmcnt(0)
	v_or_b32_e32 v3, v1, v3
	v_or_b32_e32 v2, v0, v2
	buffer_load_dword v0, off, s[0:3], s32 offset:204 ; 4-byte Folded Reload
	buffer_load_dword v1, off, s[0:3], s32 offset:208 ; 4-byte Folded Reload
	;; [unrolled: 1-line block ×4, first 2 shown]
	s_waitcnt vmcnt(0)
	v_or_b32_e32 v1, v1, v5
	v_or_b32_e32 v0, v0, v4
	v_accvgpr_read_b32 v4, a50
	v_accvgpr_read_b32 v5, a51
	v_or_b32_e32 v5, v57, v5
	v_or_b32_e32 v4, v56, v4
	buffer_load_dword v56, off, s[0:3], s32 offset:888 ; 4-byte Folded Reload
	buffer_load_dword v57, off, s[0:3], s32 offset:892 ; 4-byte Folded Reload
	s_waitcnt vmcnt(0)
	v_pk_mul_f32 v[56:57], v[40:41], v[56:57] op_sel_hi:[0,1]
	buffer_store_dword v56, off, s[0:3], s32 offset:196 ; 4-byte Folded Spill
	s_nop 0
	buffer_store_dword v57, off, s[0:3], s32 offset:200 ; 4-byte Folded Spill
	buffer_load_dword v56, off, s[0:3], s32 offset:896 ; 4-byte Folded Reload
	s_nop 0
	buffer_load_dword v57, off, s[0:3], s32 offset:900 ; 4-byte Folded Reload
	s_waitcnt vmcnt(0)
	v_pk_mul_f32 v[56:57], v[40:41], v[56:57] op_sel_hi:[0,1]
	buffer_store_dword v56, off, s[0:3], s32 offset:204 ; 4-byte Folded Spill
	s_nop 0
	buffer_store_dword v57, off, s[0:3], s32 offset:208 ; 4-byte Folded Spill
	buffer_load_dword v56, off, s[0:3], s32 offset:904 ; 4-byte Folded Reload
	s_nop 0
	;; [unrolled: 8-line block ×4, first 2 shown]
	buffer_load_dword v57, off, s[0:3], s32 offset:924 ; 4-byte Folded Reload
	s_waitcnt vmcnt(0)
	v_pk_mul_f32 v[56:57], v[40:41], v[56:57] op_sel_hi:[0,1]
	buffer_store_dword v56, off, s[0:3], s32 offset:228 ; 4-byte Folded Spill
	s_nop 0
	buffer_store_dword v57, off, s[0:3], s32 offset:232 ; 4-byte Folded Spill
	v_accvgpr_read_b32 v57, a53
	v_accvgpr_read_b32 v56, a52
	v_pk_mul_f32 v[56:57], v[40:41], v[56:57] op_sel_hi:[0,1]
	buffer_store_dword v56, off, s[0:3], s32 offset:236 ; 4-byte Folded Spill
	s_nop 0
	buffer_store_dword v57, off, s[0:3], s32 offset:240 ; 4-byte Folded Spill
	v_accvgpr_read_b32 v57, a49
	v_accvgpr_read_b32 v56, a48
	;; [unrolled: 6-line block ×5, first 2 shown]
	v_pk_mul_f32 v[56:57], v[40:41], v[56:57] op_sel_hi:[0,1]
	v_accvgpr_write_b32 a52, v56
	v_accvgpr_write_b32 a53, v57
	v_accvgpr_read_b32 v57, a35
	v_accvgpr_read_b32 v56, a34
	v_pk_mul_f32 v[56:57], v[40:41], v[56:57] op_sel_hi:[0,1]
	v_accvgpr_write_b32 a50, v56
	v_accvgpr_write_b32 a51, v57
	v_accvgpr_read_b32 v57, a39
	v_accvgpr_read_b32 v56, a38
	;; [unrolled: 5-line block ×26, first 2 shown]
	v_pk_mul_f32 v[56:57], v[40:41], v[56:57] op_sel_hi:[0,1]
	v_accvgpr_write_b32 a0, v56
	v_accvgpr_write_b32 a1, v57
	v_pk_mul_f32 v[56:57], v[40:41], v[60:61] op_sel_hi:[0,1]
	v_accvgpr_write_b32 a46, v56
	v_accvgpr_write_b32 a47, v57
	v_pk_mul_f32 v[60:61], v[40:41], v[58:59] op_sel_hi:[0,1]
	v_pk_mul_f32 v[58:59], v[40:41], v[46:47] op_sel_hi:[0,1]
	;; [unrolled: 1-line block ×15, first 2 shown]
	buffer_load_dword v2, off, s[0:3], s32 offset:944 ; 4-byte Folded Reload
	buffer_load_dword v3, off, s[0:3], s32 offset:948 ; 4-byte Folded Reload
	;; [unrolled: 1-line block ×4, first 2 shown]
	s_waitcnt vmcnt(1)
	v_mul_f32_e32 v0, v4, v18
	s_waitcnt vmcnt(0)
	v_mul_f32_e32 v1, v5, v19
	v_fmac_f32_e32 v0, v2, v28
	v_fmac_f32_e32 v1, v3, v29
	buffer_load_dword v2, off, s[0:3], s32 offset:960 ; 4-byte Folded Reload
	buffer_load_dword v3, off, s[0:3], s32 offset:964 ; 4-byte Folded Reload
	;; [unrolled: 1-line block ×4, first 2 shown]
	s_waitcnt vmcnt(3)
	v_fmac_f32_e32 v0, v2, v6
	s_waitcnt vmcnt(2)
	v_fmac_f32_e32 v1, v3, v7
	;; [unrolled: 2-line block ×4, first 2 shown]
	buffer_load_dword v2, off, s[0:3], s32 offset:976 ; 4-byte Folded Reload
	buffer_load_dword v3, off, s[0:3], s32 offset:980 ; 4-byte Folded Reload
	;; [unrolled: 1-line block ×4, first 2 shown]
	v_accvgpr_read_b32 v6, a46
	v_accvgpr_read_b32 v7, a47
	s_waitcnt vmcnt(3)
	v_fmac_f32_e32 v0, v2, v10
	s_waitcnt vmcnt(2)
	v_fmac_f32_e32 v1, v3, v11
	s_waitcnt vmcnt(1)
	v_fmac_f32_e32 v0, v4, v12
	s_waitcnt vmcnt(0)
	v_fmac_f32_e32 v1, v5, v13
	buffer_load_dword v2, off, s[0:3], s32 offset:992 ; 4-byte Folded Reload
	buffer_load_dword v3, off, s[0:3], s32 offset:996 ; 4-byte Folded Reload
	buffer_load_dword v4, off, s[0:3], s32 offset:1000 ; 4-byte Folded Reload
	buffer_load_dword v5, off, s[0:3], s32 offset:1004 ; 4-byte Folded Reload
	s_waitcnt vmcnt(3)
	v_fmac_f32_e32 v0, v2, v14
	s_waitcnt vmcnt(2)
	v_fmac_f32_e32 v1, v3, v15
	s_waitcnt vmcnt(1)
	v_fmac_f32_e32 v0, v4, v16
	s_waitcnt vmcnt(0)
	v_fmac_f32_e32 v1, v5, v17
	buffer_load_dword v2, off, s[0:3], s32 offset:1008 ; 4-byte Folded Reload
	buffer_load_dword v3, off, s[0:3], s32 offset:1012 ; 4-byte Folded Reload
	buffer_load_dword v4, off, s[0:3], s32 offset:1016 ; 4-byte Folded Reload
	buffer_load_dword v5, off, s[0:3], s32 offset:1020 ; 4-byte Folded Reload
	;; [unrolled: 12-line block ×11, first 2 shown]
	s_waitcnt vmcnt(3)
	v_fmac_f32_e32 v0, v2, v6
	s_waitcnt vmcnt(2)
	v_fmac_f32_e32 v1, v3, v7
	v_accvgpr_read_b32 v3, a1
	v_accvgpr_read_b32 v2, a0
	s_waitcnt vmcnt(1)
	v_fmac_f32_e32 v0, v4, v2
	s_waitcnt vmcnt(0)
	v_fmac_f32_e32 v1, v5, v3
	buffer_load_dword v2, off, s[0:3], s32 offset:1168 ; 4-byte Folded Reload
	buffer_load_dword v3, off, s[0:3], s32 offset:1172 ; 4-byte Folded Reload
	buffer_load_dword v4, off, s[0:3], s32 offset:1176 ; 4-byte Folded Reload
	buffer_load_dword v5, off, s[0:3], s32 offset:1180 ; 4-byte Folded Reload
	v_accvgpr_read_b32 v7, a3
	v_accvgpr_read_b32 v6, a2
	s_waitcnt vmcnt(3)
	v_fmac_f32_e32 v0, v2, v6
	s_waitcnt vmcnt(2)
	v_fmac_f32_e32 v1, v3, v7
	v_accvgpr_read_b32 v2, a4
	v_accvgpr_read_b32 v3, a5
	s_waitcnt vmcnt(1)
	v_fmac_f32_e32 v0, v4, v2
	s_waitcnt vmcnt(0)
	v_fmac_f32_e32 v1, v5, v3
	buffer_load_dword v2, off, s[0:3], s32 offset:1184 ; 4-byte Folded Reload
	buffer_load_dword v3, off, s[0:3], s32 offset:1188 ; 4-byte Folded Reload
	buffer_load_dword v4, off, s[0:3], s32 offset:1192 ; 4-byte Folded Reload
	buffer_load_dword v5, off, s[0:3], s32 offset:1196 ; 4-byte Folded Reload
	v_accvgpr_read_b32 v6, a10
	v_accvgpr_read_b32 v7, a11
	;; [unrolled: 16-line block ×13, first 2 shown]
	s_waitcnt vmcnt(3)
	v_fmac_f32_e32 v0, v2, v6
	s_waitcnt vmcnt(2)
	v_fmac_f32_e32 v1, v3, v7
	v_accvgpr_read_b32 v2, a52
	v_accvgpr_read_b32 v3, a53
	s_waitcnt vmcnt(1)
	v_fmac_f32_e32 v0, v4, v2
	s_waitcnt vmcnt(0)
	v_fmac_f32_e32 v1, v5, v3
	buffer_load_dword v2, off, s[0:3], s32 offset:1392 ; 4-byte Folded Reload
	buffer_load_dword v3, off, s[0:3], s32 offset:1396 ; 4-byte Folded Reload
	buffer_load_dword v4, off, s[0:3], s32 offset:1400 ; 4-byte Folded Reload
	buffer_load_dword v5, off, s[0:3], s32 offset:1404 ; 4-byte Folded Reload
	buffer_load_dword v6, off, s[0:3], s32 offset:260 ; 4-byte Folded Reload
	buffer_load_dword v7, off, s[0:3], s32 offset:264 ; 4-byte Folded Reload
	s_waitcnt vmcnt(1)
	v_fmac_f32_e32 v0, v2, v6
	s_waitcnt vmcnt(0)
	v_fmac_f32_e32 v1, v3, v7
	buffer_load_dword v2, off, s[0:3], s32 offset:252 ; 4-byte Folded Reload
	buffer_load_dword v3, off, s[0:3], s32 offset:256 ; 4-byte Folded Reload
	s_waitcnt vmcnt(1)
	v_fmac_f32_e32 v0, v4, v2
	s_waitcnt vmcnt(0)
	v_fmac_f32_e32 v1, v5, v3
	buffer_load_dword v2, off, s[0:3], s32 offset:1408 ; 4-byte Folded Reload
	buffer_load_dword v3, off, s[0:3], s32 offset:1412 ; 4-byte Folded Reload
	buffer_load_dword v4, off, s[0:3], s32 offset:1416 ; 4-byte Folded Reload
	buffer_load_dword v5, off, s[0:3], s32 offset:1420 ; 4-byte Folded Reload
	buffer_load_dword v6, off, s[0:3], s32 offset:244 ; 4-byte Folded Reload
	buffer_load_dword v7, off, s[0:3], s32 offset:248 ; 4-byte Folded Reload
	s_waitcnt vmcnt(1)
	v_fmac_f32_e32 v0, v2, v6
	s_waitcnt vmcnt(0)
	v_fmac_f32_e32 v1, v3, v7
	buffer_load_dword v2, off, s[0:3], s32 offset:236 ; 4-byte Folded Reload
	buffer_load_dword v3, off, s[0:3], s32 offset:240 ; 4-byte Folded Reload
	;; [unrolled: 16-line block ×4, first 2 shown]
	s_waitcnt vmcnt(1)
	v_fmac_f32_e32 v0, v4, v2
	s_waitcnt vmcnt(0)
	v_fmac_f32_e32 v1, v5, v3
	buffer_load_dword v2, off, s[0:3], s32 offset:1456 ; 4-byte Folded Reload
	buffer_load_dword v3, off, s[0:3], s32 offset:1460 ; 4-byte Folded Reload
	;; [unrolled: 1-line block ×6, first 2 shown]
	s_waitcnt vmcnt(1)
	v_fmac_f32_e32 v0, v2, v6
	s_waitcnt vmcnt(0)
	v_fmac_f32_e32 v1, v3, v7
	v_fmac_f32_e32 v0, v4, v40
	;; [unrolled: 1-line block ×3, first 2 shown]
	v_add_f32_e32 v0, v0, v1
	buffer_load_dword v1, off, s[0:3], s32 offset:940 ; 4-byte Folded Reload
	s_waitcnt vmcnt(0)
	ds_bpermute_b32 v1, v1, v0
	s_and_saveexec_b64 s[34:35], s[6:7]
	s_cbranch_execz .LBB255_9
; %bb.779:                              ;   in Loop: Header=BB255_10 Depth=1
	buffer_load_dword v4, off, s[0:3], s32 offset:860 ; 4-byte Folded Reload
	s_waitcnt lgkmcnt(0)
	v_add_f32_e32 v0, v0, v1
	buffer_load_dword v1, off, s[0:3], s32 offset:1472 ; 4-byte Folded Reload
	v_sub_u32_e32 v2, 1, v62
	s_load_dword vcc_lo, s[26:27], 0x0
	buffer_load_dword v3, off, s[0:3], s32 offset:1476 ; 4-byte Folded Reload
	s_waitcnt vmcnt(2)
	v_add_u32_e32 v2, v2, v4
	v_cvt_f32_i32_e32 v2, v2
	s_waitcnt vmcnt(1)
	v_mul_f32_e32 v1, v1, v2
	buffer_load_dword v2, off, s[0:3], s32 offset:864 ; 4-byte Folded Reload
	v_cndmask_b32_e64 v1, 0, v1, s[8:9]
	s_waitcnt vmcnt(1)
	v_fmac_f32_e32 v1, v0, v3
	s_waitcnt vmcnt(0) lgkmcnt(0)
	v_add_u32_e32 v2, vcc_lo, v2
	v_cmp_lt_i32_e32 vcc, v4, v62
	v_cndmask_b32_e32 v0, 0, v1, vcc
	ds_write_b32 v2, v0
	buffer_load_dword v2, off, s[0:3], s32 offset:936 ; 4-byte Folded Reload
	s_waitcnt vmcnt(0)
	v_max_f32_e32 v0, v2, v2
	v_max_f32_e32 v0, v0, v1
	v_cndmask_b32_e32 v2, v2, v0, vcc
	buffer_store_dword v2, off, s[0:3], s32 offset:936 ; 4-byte Folded Spill
	s_branch .LBB255_9
.LBB255_780:
	s_or_b64 exec, exec, s[28:29]
	buffer_load_dword v11, off, s[0:3], s32 offset:1564 ; 4-byte Folded Reload
	buffer_load_dword v10, off, s[0:3], s32 offset:1556 ; 4-byte Folded Reload
	s_waitcnt lgkmcnt(0)
	buffer_load_dword v1, off, s[0:3], s32 offset:1552 ; 4-byte Folded Reload
	buffer_load_dword v0, off, s[0:3], s32 offset:1548 ; 4-byte Folded Reload
	buffer_load_dword v3, off, s[0:3], s32 offset:1544 ; 4-byte Folded Reload
	buffer_load_dword v2, off, s[0:3], s32 offset:1536 ; 4-byte Folded Reload
	buffer_load_dword v15, off, s[0:3], s32 offset:1560 ; 4-byte Folded Reload
	buffer_load_dword v14, off, s[0:3], s32 offset:1532 ; 4-byte Folded Reload
	buffer_load_dword v13, off, s[0:3], s32 offset:1540 ; 4-byte Folded Reload
	buffer_load_dword v18, off, s[0:3], s32 offset:936 ; 4-byte Folded Reload
.LBB255_781:
	s_or_b64 exec, exec, s[10:11]
	s_waitcnt vmcnt(2)
	v_xor_b32_e32 v4, 32, v14
	s_waitcnt vmcnt(1)
	v_cmp_lt_i32_e32 vcc, v4, v13
	v_cndmask_b32_e32 v4, v14, v4, vcc
	v_lshlrev_b32_e32 v4, 2, v4
	s_waitcnt vmcnt(0)
	ds_bpermute_b32 v5, v4, v18
	v_xor_b32_e32 v7, 16, v14
	v_max_f32_e32 v6, v18, v18
	v_cmp_lt_i32_e32 vcc, v7, v13
	v_xor_b32_e32 v8, 8, v14
	s_waitcnt lgkmcnt(0)
	v_max_f32_e32 v5, v5, v5
	v_max_f32_e32 v6, v6, v5
	v_cndmask_b32_e32 v5, v14, v7, vcc
	v_lshlrev_b32_e32 v5, 2, v5
	ds_bpermute_b32 v7, v5, v6
	v_cmp_lt_i32_e32 vcc, v8, v13
	v_xor_b32_e32 v9, 4, v14
	s_lshr_b32 s28, s40, 16
	s_waitcnt lgkmcnt(0)
	v_max_f32_e32 v7, v7, v7
	v_max_f32_e32 v6, v6, v7
	v_cndmask_b32_e32 v7, v14, v8, vcc
	v_lshlrev_b32_e32 v8, 2, v7
	ds_bpermute_b32 v7, v8, v6
	v_cmp_lt_i32_e32 vcc, v9, v13
	s_waitcnt lgkmcnt(0)
	v_max_f32_e32 v7, v7, v7
	v_max_f32_e32 v6, v6, v7
	v_cndmask_b32_e32 v7, v14, v9, vcc
	v_lshlrev_b32_e32 v37, 2, v7
	ds_bpermute_b32 v7, v37, v6
	v_xor_b32_e32 v9, 2, v14
	v_cmp_lt_i32_e32 vcc, v9, v13
	s_waitcnt lgkmcnt(0)
	v_max_f32_e32 v7, v7, v7
	v_max_f32_e32 v6, v6, v7
	v_cndmask_b32_e32 v7, v14, v9, vcc
	buffer_load_dword v9, off, s[0:3], s32 offset:1480 ; 4-byte Folded Reload
	v_lshlrev_b32_e32 v51, 2, v7
	ds_bpermute_b32 v7, v51, v6
	s_waitcnt vmcnt(0)
	v_and_b32_e32 v52, 63, v9
	buffer_load_dword v9, off, s[0:3], s32 offset:1488 ; 4-byte Folded Reload
	v_cmp_eq_u32_e32 vcc, 0, v52
	s_waitcnt vmcnt(0)
	v_lshlrev_b32_e32 v9, 2, v9
	s_and_saveexec_b64 s[6:7], vcc
	s_cbranch_execz .LBB255_783
; %bb.782:
	s_waitcnt lgkmcnt(0)
	v_max_f32_e32 v7, v7, v7
	v_max_f32_e32 v6, v6, v6
	;; [unrolled: 1-line block ×3, first 2 shown]
	ds_write_b32 v9, v6 offset:1024
.LBB255_783:
	s_or_b64 exec, exec, s[6:7]
	v_cmp_gt_u32_e64 s[6:7], 2, v52
	v_mov_b32_e32 v6, 0xff7fffff
	v_lshlrev_b32_e32 v12, 2, v52
	s_waitcnt lgkmcnt(0)
	s_barrier
	s_and_saveexec_b64 s[8:9], s[6:7]
	s_cbranch_execz .LBB255_785
; %bb.784:
	ds_read_b32 v6, v12 offset:1024
.LBB255_785:
	s_or_b64 exec, exec, s[8:9]
	v_xor_b32_e32 v7, 1, v14
	v_cmp_lt_i32_e64 s[8:9], v7, v13
	buffer_load_dword v13, off, s[0:3], s32 offset:876 ; 4-byte Folded Reload
	buffer_load_dword v16, off, s[0:3], s32 offset:1480 ; 4-byte Folded Reload
	v_cndmask_b32_e64 v7, v14, v7, s[8:9]
	v_lshlrev_b32_e32 v53, 2, v7
	s_waitcnt lgkmcnt(0)
	ds_bpermute_b32 v7, v53, v6
	v_max_f32_e32 v6, v6, v6
	v_mov_b32_e32 v19, 0
	s_waitcnt lgkmcnt(0)
	v_max_f32_e32 v7, v7, v7
	v_max_f32_e32 v6, v6, v7
	v_lshlrev_b32_e32 v7, 2, v14
	v_and_b32_e32 v14, 0xffffff00, v7
	ds_bpermute_b32 v6, v14, v6
	s_waitcnt vmcnt(1)
	v_subrev_u32_e32 v13, s21, v13
	v_lshl_add_u32 v13, v13, 5, s23
	v_min_i32_e32 v13, v13, v62
	v_subrev_u32_e32 v7, s23, v13
	s_waitcnt vmcnt(0)
	v_cmp_lt_i32_e64 s[8:9], v16, v7
	s_and_saveexec_b64 s[24:25], s[8:9]
	s_cbranch_execz .LBB255_789
; %bb.786:
	buffer_load_dword v17, off, s[0:3], s32 offset:1480 ; 4-byte Folded Reload
	s_ashr_i32 s19, s18, 31
	s_lshl_b64 s[10:11], s[18:19], 2
	s_getpc_b64 s[26:27]
	s_add_u32 s26, s26, llvm.amdgcn.dynlds.offset.table@rel32@lo+4
	s_addc_u32 s27, s27, llvm.amdgcn.dynlds.offset.table@rel32@hi+12
	s_add_u32 s10, s10, s26
	s_addc_u32 s11, s11, s27
	s_load_dword s10, s[10:11], 0x0
	s_mov_b64 s[26:27], 0
	v_mov_b32_e32 v19, 0
	s_waitcnt vmcnt(0) lgkmcnt(0)
	v_lshl_add_u32 v16, v17, 2, s10
.LBB255_787:                            ; =>This Inner Loop Header: Depth=1
	ds_read_b32 v18, v16
	v_add_u32_e32 v17, 0x80, v17
	v_cmp_ge_i32_e64 s[10:11], v17, v7
	s_or_b64 s[26:27], s[10:11], s[26:27]
	s_waitcnt lgkmcnt(0)
	v_sub_f32_e32 v18, v18, v6
	v_mul_f32_e32 v18, 0x3fb8aa3b, v18
	v_exp_f32_e32 v18, v18
	ds_write_b32 v16, v18
	v_add_f32_e32 v19, v19, v18
	v_add_u32_e32 v16, 0x200, v16
	s_andn2_b64 exec, exec, s[26:27]
	s_cbranch_execnz .LBB255_787
; %bb.788:
	s_or_b64 exec, exec, s[26:27]
.LBB255_789:
	s_or_b64 exec, exec, s[24:25]
	ds_bpermute_b32 v4, v4, v19
	s_waitcnt lgkmcnt(0)
	v_add_f32_e32 v4, v19, v4
	ds_bpermute_b32 v5, v5, v4
	s_waitcnt lgkmcnt(0)
	v_add_f32_e32 v4, v4, v5
	;; [unrolled: 3-line block ×6, first 2 shown]
	s_and_saveexec_b64 s[10:11], vcc
	s_cbranch_execz .LBB255_791
; %bb.790:
	ds_write_b32 v9, v4 offset:1032
.LBB255_791:
	s_or_b64 exec, exec, s[10:11]
	s_waitcnt lgkmcnt(0)
	s_barrier
	s_and_saveexec_b64 s[10:11], s[6:7]
	s_cbranch_execz .LBB255_793
; %bb.792:
	ds_read_b32 v4, v12 offset:1032
.LBB255_793:
	s_or_b64 exec, exec, s[10:11]
	s_waitcnt lgkmcnt(0)
	ds_bpermute_b32 v5, v53, v4
	s_waitcnt lgkmcnt(0)
	v_add_f32_e32 v4, v4, v5
	ds_bpermute_b32 v8, v14, v4
	s_and_saveexec_b64 s[6:7], s[8:9]
	s_cbranch_execz .LBB255_806
; %bb.794:
	s_waitcnt lgkmcnt(0)
	v_add_f32_e32 v4, 0x358637bd, v8
	v_div_scale_f32 v5, s[8:9], v4, v4, 1.0
	v_rcp_f32_e32 v9, v5
	v_div_scale_f32 v12, vcc, 1.0, v4, 1.0
	s_movk_i32 s8, 0x7f
	v_fma_f32 v14, -v5, v9, 1.0
	v_fmac_f32_e32 v9, v14, v9
	v_mul_f32_e32 v14, v12, v9
	v_fma_f32 v16, -v5, v14, v12
	v_fmac_f32_e32 v14, v16, v9
	v_fma_f32 v5, -v5, v14, v12
	buffer_load_dword v12, off, s[0:3], s32 offset:1480 ; 4-byte Folded Reload
	v_div_fmas_f32 v5, v5, v9, v14
	v_div_fixup_f32 v4, v5, v4, 1.0
	s_mov_b64 s[10:11], -1
	s_waitcnt vmcnt(0)
	v_xad_u32 v5, v12, -1, v13
	v_subrev_u32_e32 v9, s23, v5
	v_cmp_lt_u32_e32 vcc, s8, v9
	v_mov_b32_e32 v5, v12
	s_and_saveexec_b64 s[8:9], vcc
	s_cbranch_execz .LBB255_803
; %bb.795:
	v_lshrrev_b32_e32 v9, 7, v9
	v_add_u32_e32 v13, -1, v9
	v_lshrrev_b32_e32 v12, 1, v13
	v_mov_b32_e32 v5, v4
	v_add_u32_e32 v12, 1, v12
	v_cmp_lt_u32_e32 vcc, 13, v13
	v_mov_b32_e32 v16, 0
	s_and_saveexec_b64 s[10:11], vcc
	s_cbranch_execz .LBB255_799
; %bb.796:
	buffer_load_dword v14, off, s[0:3], s32 offset:1480 ; 4-byte Folded Reload
	s_ashr_i32 s19, s18, 31
	s_lshl_b64 s[24:25], s[18:19], 2
	s_getpc_b64 s[26:27]
	s_add_u32 s26, s26, llvm.amdgcn.dynlds.offset.table@rel32@lo+4
	s_addc_u32 s27, s27, llvm.amdgcn.dynlds.offset.table@rel32@hi+12
	s_add_u32 s24, s24, s26
	s_addc_u32 s25, s25, s27
	s_load_dword s21, s[24:25], 0x0
	v_and_b32_e32 v13, -8, v12
	s_mov_b32 s19, 0
	s_mov_b64 s[24:25], 0
	s_waitcnt vmcnt(0) lgkmcnt(0)
	v_lshl_add_u32 v14, v14, 2, s21
.LBB255_797:                            ; =>This Inner Loop Header: Depth=1
	ds_read2st64_b32 v[16:17], v14 offset1:2
	ds_read2st64_b32 v[18:19], v14 offset0:4 offset1:6
	ds_read2st64_b32 v[20:21], v14 offset0:8 offset1:10
	;; [unrolled: 1-line block ×3, first 2 shown]
	v_add_u32_e32 v13, -8, v13
	s_waitcnt lgkmcnt(3)
	v_pk_mul_f32 v[16:17], v[4:5], v[16:17]
	s_waitcnt lgkmcnt(2)
	v_pk_mul_f32 v[18:19], v[4:5], v[18:19]
	ds_write2st64_b32 v14, v16, v17 offset1:2
	ds_write2st64_b32 v14, v18, v19 offset0:4 offset1:6
	ds_read2st64_b32 v[18:19], v14 offset0:16 offset1:18
	s_waitcnt lgkmcnt(4)
	v_pk_mul_f32 v[16:17], v[4:5], v[20:21]
	ds_write2st64_b32 v14, v16, v17 offset0:8 offset1:10
	s_waitcnt lgkmcnt(4)
	v_pk_mul_f32 v[16:17], v[4:5], v[22:23]
	ds_write2st64_b32 v14, v16, v17 offset0:12 offset1:14
	ds_read2st64_b32 v[16:17], v14 offset0:20 offset1:22
	s_waitcnt lgkmcnt(3)
	v_pk_mul_f32 v[18:19], v[4:5], v[18:19]
	ds_read2st64_b32 v[20:21], v14 offset0:24 offset1:26
	ds_write2st64_b32 v14, v18, v19 offset0:16 offset1:18
	ds_read2st64_b32 v[18:19], v14 offset0:28 offset1:30
	s_waitcnt lgkmcnt(3)
	v_pk_mul_f32 v[16:17], v[4:5], v[16:17]
	ds_write2st64_b32 v14, v16, v17 offset0:20 offset1:22
	s_waitcnt lgkmcnt(3)
	v_pk_mul_f32 v[16:17], v[4:5], v[20:21]
	ds_write2st64_b32 v14, v16, v17 offset0:24 offset1:26
	s_waitcnt lgkmcnt(2)
	v_pk_mul_f32 v[16:17], v[4:5], v[18:19]
	s_add_i32 s19, s19, 16
	v_cmp_eq_u32_e32 vcc, 0, v13
	ds_write2st64_b32 v14, v16, v17 offset0:28 offset1:30
	v_add_u32_e32 v14, 0x2000, v14
	s_or_b64 s[24:25], vcc, s[24:25]
	v_mov_b32_e32 v16, s19
	s_andn2_b64 exec, exec, s[24:25]
	s_cbranch_execnz .LBB255_797
; %bb.798:
	s_or_b64 exec, exec, s[24:25]
.LBB255_799:
	s_or_b64 exec, exec, s[10:11]
	v_and_b32_e32 v12, 7, v12
	v_cmp_ne_u32_e32 vcc, 0, v12
	s_and_saveexec_b64 s[10:11], vcc
	s_cbranch_execz .LBB255_802
; %bb.800:
	buffer_load_dword v14, off, s[0:3], s32 offset:1524 ; 4-byte Folded Reload
	s_ashr_i32 s19, s18, 31
	s_lshl_b64 s[24:25], s[18:19], 2
	s_getpc_b64 s[26:27]
	s_add_u32 s26, s26, llvm.amdgcn.dynlds.offset.table@rel32@lo+4
	s_addc_u32 s27, s27, llvm.amdgcn.dynlds.offset.table@rel32@hi+12
	s_add_u32 s24, s24, s26
	s_addc_u32 s25, s25, s27
	s_load_dword s19, s[24:25], 0x0
	v_lshlrev_b32_e32 v13, 9, v16
	s_mov_b64 s[24:25], 0
	s_waitcnt vmcnt(0) lgkmcnt(0)
	v_add3_u32 v13, v13, v14, s19
.LBB255_801:                            ; =>This Inner Loop Header: Depth=1
	ds_read2st64_b32 v[16:17], v13 offset1:2
	v_add_u32_e32 v12, -1, v12
	v_cmp_eq_u32_e32 vcc, 0, v12
	s_or_b64 s[24:25], vcc, s[24:25]
	s_waitcnt lgkmcnt(0)
	v_pk_mul_f32 v[16:17], v[4:5], v[16:17]
	ds_write2st64_b32 v13, v16, v17 offset1:2
	v_add_u32_e32 v13, 0x400, v13
	s_andn2_b64 exec, exec, s[24:25]
	s_cbranch_execnz .LBB255_801
.LBB255_802:
	s_or_b64 exec, exec, s[10:11]
	buffer_load_dword v5, off, s[0:3], s32 offset:1480 ; 4-byte Folded Reload
	v_add_u32_e32 v9, 1, v9
	v_and_b32_e32 v12, 0x3fffffe, v9
	v_cmp_ne_u32_e32 vcc, v9, v12
	s_orn2_b64 s[10:11], vcc, exec
	s_waitcnt vmcnt(0)
	v_lshl_add_u32 v5, v12, 7, v5
.LBB255_803:
	s_or_b64 exec, exec, s[8:9]
	s_and_b64 exec, exec, s[10:11]
	s_cbranch_execz .LBB255_806
; %bb.804:
	s_ashr_i32 s19, s18, 31
	s_lshl_b64 s[8:9], s[18:19], 2
	s_getpc_b64 s[10:11]
	s_add_u32 s10, s10, llvm.amdgcn.dynlds.offset.table@rel32@lo+4
	s_addc_u32 s11, s11, llvm.amdgcn.dynlds.offset.table@rel32@hi+12
	s_add_u32 s8, s8, s10
	s_addc_u32 s9, s9, s11
	s_load_dword s8, s[8:9], 0x0
	s_waitcnt lgkmcnt(0)
	v_lshl_add_u32 v9, v5, 2, s8
	s_mov_b64 s[8:9], 0
.LBB255_805:                            ; =>This Inner Loop Header: Depth=1
	ds_read_b32 v12, v9
	v_add_u32_e32 v5, 0x80, v5
	v_cmp_ge_i32_e32 vcc, v5, v7
	s_or_b64 s[8:9], vcc, s[8:9]
	s_waitcnt lgkmcnt(0)
	v_mul_f32_e32 v12, v4, v12
	ds_write_b32 v9, v12
	v_add_u32_e32 v9, 0x200, v9
	s_andn2_b64 exec, exec, s[8:9]
	s_cbranch_execnz .LBB255_805
.LBB255_806:
	s_or_b64 exec, exec, s[6:7]
	s_waitcnt lgkmcnt(0)
	s_barrier
	buffer_load_dword v4, off, s[0:3], s32 offset:1480 ; 4-byte Folded Reload
	v_cmp_ne_u16_e64 s[6:7], s28, 0
	s_cmp_lg_u64 s[6:7], 0
	s_addc_u32 s21, s13, 0
	s_mul_i32 s6, s21, s22
	s_mul_i32 s6, s6, s15
	s_waitcnt vmcnt(0)
	v_cmp_eq_u32_e32 vcc, 0, v4
	s_and_saveexec_b64 s[8:9], vcc
	s_cbranch_execz .LBB255_808
; %bb.807:
	s_mul_i32 s12, s21, s12
	s_ashr_i32 s7, s6, 31
	s_ashr_i32 s13, s12, 31
	;; [unrolled: 1-line block ×3, first 2 shown]
	s_lshl_b64 s[10:11], s[6:7], 2
	s_lshl_b64 s[12:13], s[12:13], 2
	;; [unrolled: 1-line block ×3, first 2 shown]
	s_add_u32 s7, s24, s12
	s_addc_u32 s12, s25, s13
	s_add_u32 s7, s7, s10
	s_addc_u32 s10, s12, s11
	v_mov_b32_e32 v4, s10
	v_add_co_u32_e32 v2, vcc, s7, v2
	v_addc_co_u32_e32 v3, vcc, v4, v3, vcc
	flat_store_dword v[2:3], v6
	v_mov_b32_e32 v2, s10
	v_add_co_u32_e32 v0, vcc, s7, v0
	v_addc_co_u32_e32 v1, vcc, v2, v1, vcc
	flat_store_dword v[0:1], v8
.LBB255_808:
	s_or_b64 exec, exec, s[8:9]
	buffer_load_dword v0, off, s[0:3], s32 offset:1480 ; 4-byte Folded Reload
	s_mov_b32 s10, 0
	v_mov_b32_e32 v2, 0
	v_mov_b32_e32 v3, 0
	;; [unrolled: 1-line block ×32, first 2 shown]
	s_waitcnt vmcnt(0)
	v_and_b32_e32 v54, 7, v0
	s_and_saveexec_b64 s[8:9], s[4:5]
	s_cbranch_execz .LBB255_1644
; %bb.809:
	buffer_store_dword v53, off, s[0:3], s32 offset:572 ; 4-byte Folded Spill
	buffer_store_dword v37, off, s[0:3], s32 offset:580 ; 4-byte Folded Spill
	;; [unrolled: 1-line block ×4, first 2 shown]
	buffer_load_dword v0, off, s[0:3], s32 offset:1500 ; 4-byte Folded Reload
	buffer_load_dword v1, off, s[0:3], s32 offset:1504 ; 4-byte Folded Reload
	v_mov_b32_e32 v7, 0
	v_mov_b32_e32 v6, 0
	v_accvgpr_write_b32 a17, v7
	v_accvgpr_write_b32 a16, v6
	v_mov_b32_e32 v7, 0
	v_mov_b32_e32 v6, 0
	s_ashr_i32 s19, s18, 31
	s_getpc_b64 s[4:5]
	s_add_u32 s4, s4, llvm.amdgcn.dynlds.offset.table@rel32@lo+4
	s_addc_u32 s5, s5, llvm.amdgcn.dynlds.offset.table@rel32@hi+12
	s_lshl_b64 s[24:25], s[18:19], 2
	s_add_u32 s4, s24, s4
	s_addc_u32 s5, s25, s5
	v_mov_b32_e32 v23, 0
	s_mov_b64 s[12:13], 0
	s_movk_i32 s7, 0x80
	s_movk_i32 s15, 0x7f
	s_brev_b32 s11, 1
	s_mov_b32 s30, 0xffffff
	v_mov_b32_e32 v9, 0
	v_mov_b32_e32 v8, 0
	s_waitcnt vmcnt(0)
	flat_load_dword v50, v[0:1]
	s_nop 0
	buffer_load_dword v1, off, s[0:3], s32 offset:1520 ; 4-byte Folded Reload
	buffer_load_dword v0, off, s[0:3], s32 offset:1524 ; 4-byte Folded Reload
	s_waitcnt vmcnt(0) lgkmcnt(0)
	v_mov_b32_e32 v51, v50
	v_add_co_u32_e32 v4, vcc, v10, v1
	buffer_load_dword v1, off, s[0:3], s32 offset:1516 ; 4-byte Folded Reload
	v_and_b32_e32 v2, 28, v0
	v_and_b32_e32 v10, 0xfc, v0
	s_waitcnt vmcnt(0)
	v_addc_co_u32_e32 v5, vcc, v11, v1, vcc
	buffer_store_dword v4, off, s[0:3], s32 offset:444 ; 4-byte Folded Spill
	s_nop 0
	buffer_store_dword v5, off, s[0:3], s32 offset:448 ; 4-byte Folded Spill
	buffer_load_dword v1, off, s[0:3], s32 offset:1528 ; 4-byte Folded Reload
	v_or_b32_e32 v4, 0xf00, v0
	v_or_b32_e32 v0, 0x1f00, v0
	buffer_store_dword v4, off, s[0:3], s32 offset:452 ; 4-byte Folded Spill
	s_nop 0
	buffer_store_dword v5, off, s[0:3], s32 offset:456 ; 4-byte Folded Spill
	v_lshlrev_b32_e32 v4, 4, v54
	s_waitcnt vmcnt(2)
	v_add_u32_e32 v43, -1, v1
	buffer_store_dword v0, off, s[0:3], s32 offset:460 ; 4-byte Folded Spill
	s_nop 0
	buffer_store_dword v1, off, s[0:3], s32 offset:464 ; 4-byte Folded Spill
	buffer_load_dword v0, off, s[0:3], s32 offset:188 ; 4-byte Folded Reload
	s_nop 0
	buffer_load_dword v1, off, s[0:3], s32 offset:192 ; 4-byte Folded Reload
	buffer_load_dword v5, off, s[0:3], s32 offset:1488 ; 4-byte Folded Reload
	s_waitcnt vmcnt(1)
	v_lshlrev_b64 v[0:1], 2, v[0:1]
	buffer_store_dword v54, off, s[0:3], s32 offset:604 ; 4-byte Folded Spill
	buffer_store_dword v6, off, s[0:3], s32 offset:324 ; 4-byte Folded Spill
	s_nop 0
	buffer_store_dword v7, off, s[0:3], s32 offset:328 ; 4-byte Folded Spill
	v_mov_b32_e32 v7, 0
	v_mov_b32_e32 v6, 0
	buffer_store_dword v6, off, s[0:3], s32 offset:332 ; 4-byte Folded Spill
	s_nop 0
	buffer_store_dword v7, off, s[0:3], s32 offset:336 ; 4-byte Folded Spill
	v_mov_b32_e32 v7, 0
	v_mov_b32_e32 v6, 0
	;; [unrolled: 5-line block ×12, first 2 shown]
	v_accvgpr_write_b32 a45, v7
	v_accvgpr_write_b32 a44, v6
	buffer_load_dword v6, off, s[0:3], s32 offset:1508 ; 4-byte Folded Reload
	buffer_load_dword v7, off, s[0:3], s32 offset:1512 ; 4-byte Folded Reload
	s_waitcnt vmcnt(27)
	v_lshl_add_u32 v3, v5, 5, s23
	v_add3_u32 v42, v3, v2, 3
	v_or_b32_e32 v2, 0x1000, v10
	s_mov_b32 s23, 0x7f800001
	s_waitcnt vmcnt(1)
	v_add_co_u32_e32 v0, vcc, v6, v0
	s_waitcnt vmcnt(0)
	v_addc_co_u32_e32 v1, vcc, v7, v1, vcc
	v_mov_b32_e32 v7, 0
	v_mov_b32_e32 v6, 0
	buffer_store_dword v6, off, s[0:3], s32 offset:420 ; 4-byte Folded Spill
	s_nop 0
	buffer_store_dword v7, off, s[0:3], s32 offset:424 ; 4-byte Folded Spill
	buffer_store_dword v2, off, s[0:3], s32 offset:468 ; 4-byte Folded Spill
	s_nop 0
	buffer_store_dword v3, off, s[0:3], s32 offset:472 ; 4-byte Folded Spill
	buffer_load_dword v2, off, s[0:3], s32 offset:1484 ; 4-byte Folded Reload
	s_load_dword s4, s[4:5], 0x0
	s_waitcnt vmcnt(0)
	v_add_co_u32_e32 v6, vcc, v2, v0
	v_or_b32_e32 v0, 0x1100, v10
	v_addc_co_u32_e32 v7, vcc, v15, v1, vcc
	buffer_store_dword v0, off, s[0:3], s32 offset:476 ; 4-byte Folded Spill
	s_nop 0
	buffer_store_dword v1, off, s[0:3], s32 offset:480 ; 4-byte Folded Spill
	v_lshl_or_b32 v0, v5, 7, v4
	s_waitcnt lgkmcnt(0)
	v_add_u32_e32 v1, s4, v0
	v_or_b32_e32 v0, 0x1200, v10
	buffer_store_dword v0, off, s[0:3], s32 offset:484 ; 4-byte Folded Spill
	s_nop 0
	buffer_store_dword v1, off, s[0:3], s32 offset:488 ; 4-byte Folded Spill
	v_or_b32_e32 v0, 0x1300, v10
	buffer_store_dword v0, off, s[0:3], s32 offset:492 ; 4-byte Folded Spill
	s_nop 0
	buffer_store_dword v1, off, s[0:3], s32 offset:496 ; 4-byte Folded Spill
	;; [unrolled: 4-line block ×7, first 2 shown]
	v_or_b32_e32 v0, 0x1900, v10
	v_accvgpr_write_b32 a50, v0
	v_or_b32_e32 v0, 0x1a00, v10
	v_accvgpr_write_b32 a52, v0
	v_or_b32_e32 v0, 0x1b00, v10
	buffer_store_dword v0, off, s[0:3], s32 offset:524 ; 4-byte Folded Spill
	s_nop 0
	buffer_store_dword v1, off, s[0:3], s32 offset:528 ; 4-byte Folded Spill
	v_or_b32_e32 v0, 0x1c00, v10
	buffer_store_dword v0, off, s[0:3], s32 offset:532 ; 4-byte Folded Spill
	s_nop 0
	buffer_store_dword v1, off, s[0:3], s32 offset:536 ; 4-byte Folded Spill
	;; [unrolled: 4-line block ×3, first 2 shown]
	v_mov_b32_e32 v0, v10
	buffer_store_dword v0, off, s[0:3], s32 offset:548 ; 4-byte Folded Spill
	s_nop 0
	buffer_store_dword v1, off, s[0:3], s32 offset:552 ; 4-byte Folded Spill
	v_or_b32_e32 v0, 0x1e00, v10
	v_accvgpr_write_b32 a4, v0
	s_branch .LBB255_811
.LBB255_810:                            ;   in Loop: Header=BB255_811 Depth=1
	s_or_b64 exec, exec, s[4:5]
	v_mul_f32_e32 v19, v1, v29
	v_fmac_f32_e32 v19, v0, v28
	v_fmac_f32_e32 v19, v2, v30
	;; [unrolled: 1-line block ×3, first 2 shown]
	buffer_load_dword v30, off, s[0:3], s32 offset:308 ; 4-byte Folded Reload
	buffer_load_dword v31, off, s[0:3], s32 offset:312 ; 4-byte Folded Reload
	v_mul_f32_e32 v9, v1, v9
	v_fmac_f32_e32 v9, v0, v8
	v_mul_f32_e32 v8, v1, v11
	v_fmac_f32_e32 v8, v0, v10
	v_accvgpr_read_b32 v4, a42
	v_fmac_f32_e32 v8, v2, v6
	v_accvgpr_read_b32 v5, a43
	v_fmac_f32_e32 v8, v3, v7
	v_mul_f32_e32 v7, v1, v5
	v_accvgpr_read_b32 v10, a38
	v_fmac_f32_e32 v7, v0, v4
	v_accvgpr_read_b32 v4, a36
	v_accvgpr_read_b32 v11, a39
	v_fmac_f32_e32 v7, v2, v4
	v_mul_f32_e32 v4, v1, v11
	v_fmac_f32_e32 v4, v0, v10
	v_accvgpr_read_b32 v10, a40
	v_accvgpr_read_b32 v11, a41
	v_fmac_f32_e32 v4, v2, v10
	v_fmac_f32_e32 v4, v3, v11
	v_accvgpr_read_b32 v10, a32
	v_fmac_f32_e32 v9, v2, v12
	v_accvgpr_read_b32 v5, a37
	v_accvgpr_read_b32 v11, a33
	v_fmac_f32_e32 v9, v3, v13
	v_fmac_f32_e32 v7, v3, v5
	v_mul_f32_e32 v5, v1, v11
	v_accvgpr_read_b32 v12, a28
	v_fmac_f32_e32 v5, v0, v10
	v_accvgpr_read_b32 v10, a34
	v_accvgpr_read_b32 v13, a29
	v_fmac_f32_e32 v5, v2, v10
	v_mul_f32_e32 v10, v1, v13
	v_fmac_f32_e32 v10, v0, v12
	v_accvgpr_read_b32 v12, a30
	v_accvgpr_read_b32 v13, a31
	v_fmac_f32_e32 v10, v2, v12
	v_fmac_f32_e32 v10, v3, v13
	v_accvgpr_read_b32 v12, a24
	v_accvgpr_read_b32 v11, a35
	v_accvgpr_read_b32 v13, a25
	v_mul_f32_e32 v22, v1, v25
	v_fmac_f32_e32 v5, v3, v11
	v_mul_f32_e32 v11, v1, v13
	v_fmac_f32_e32 v22, v0, v24
	v_fmac_f32_e32 v11, v0, v12
	v_accvgpr_read_b32 v12, a26
	v_accvgpr_read_b32 v25, a21
	v_fmac_f32_e32 v11, v2, v12
	v_accvgpr_read_b32 v24, a20
	v_mul_f32_e32 v12, v1, v25
	v_fmac_f32_e32 v12, v0, v24
	v_accvgpr_read_b32 v25, a23
	v_accvgpr_read_b32 v24, a22
	v_fmac_f32_e32 v12, v2, v24
	v_fmac_f32_e32 v12, v3, v25
	v_accvgpr_read_b32 v24, a62
	v_accvgpr_read_b32 v13, a27
	;; [unrolled: 1-line block ×3, first 2 shown]
	v_fmac_f32_e32 v11, v3, v13
	v_mul_f32_e32 v13, v1, v25
	v_fmac_f32_e32 v13, v0, v24
	v_accvgpr_read_b32 v25, a19
	v_accvgpr_read_b32 v24, a18
	v_fmac_f32_e32 v13, v2, v24
	v_mul_f32_e32 v17, v1, v17
	v_fmac_f32_e32 v13, v3, v25
	v_accvgpr_read_b32 v25, a3
	v_fmac_f32_e32 v17, v0, v16
	v_accvgpr_read_b32 v24, a2
	v_mul_f32_e32 v16, v1, v25
	v_fmac_f32_e32 v16, v0, v24
	v_accvgpr_read_b32 v25, a1
	v_accvgpr_read_b32 v24, a0
	v_fmac_f32_e32 v16, v2, v24
	v_mul_f32_e32 v21, v1, v21
	v_fmac_f32_e32 v16, v3, v25
	v_accvgpr_read_b32 v25, a15
	v_fmac_f32_e32 v22, v2, v26
	v_fmac_f32_e32 v21, v0, v20
	v_accvgpr_read_b32 v24, a14
	v_mul_f32_e32 v20, v1, v25
	v_fmac_f32_e32 v22, v3, v27
	v_fmac_f32_e32 v20, v0, v24
	v_accvgpr_read_b32 v25, a13
	v_accvgpr_read_b32 v26, a56
	;; [unrolled: 1-line block ×4, first 2 shown]
	v_fmac_f32_e32 v20, v2, v24
	v_mul_f32_e32 v24, v1, v27
	v_fmac_f32_e32 v24, v0, v26
	v_accvgpr_read_b32 v27, a11
	v_accvgpr_read_b32 v26, a10
	v_fmac_f32_e32 v24, v2, v26
	v_fmac_f32_e32 v24, v3, v27
	v_accvgpr_read_b32 v26, a60
	v_accvgpr_read_b32 v27, a61
	v_fmac_f32_e32 v20, v3, v25
	v_mul_f32_e32 v25, v1, v27
	v_accvgpr_read_b32 v28, a54
	v_fmac_f32_e32 v25, v0, v26
	v_accvgpr_read_b32 v26, a48
	v_accvgpr_read_b32 v29, a55
	v_fmac_f32_e32 v25, v2, v26
	v_mul_f32_e32 v26, v1, v29
	v_fmac_f32_e32 v26, v0, v28
	v_accvgpr_read_b32 v28, a58
	v_accvgpr_read_b32 v29, a59
	v_fmac_f32_e32 v26, v2, v28
	v_accvgpr_read_b32 v27, a49
	v_fmac_f32_e32 v26, v3, v29
	;; [unrolled: 2-line block ×3, first 2 shown]
	v_accvgpr_read_b32 v28, a6
	v_mul_f32_e32 v27, v1, v29
	v_fmac_f32_e32 v27, v0, v28
	v_accvgpr_read_b32 v28, a46
	v_fmac_f32_e32 v27, v2, v28
	s_waitcnt vmcnt(0)
	v_mul_f32_e32 v28, v1, v31
	v_fmac_f32_e32 v28, v0, v30
	buffer_load_dword v30, off, s[0:3], s32 offset:316 ; 4-byte Folded Reload
	buffer_load_dword v31, off, s[0:3], s32 offset:320 ; 4-byte Folded Reload
	v_accvgpr_read_b32 v29, a47
	v_mul_f32_e32 v18, v1, v33
	v_fmac_f32_e32 v27, v3, v29
	v_fmac_f32_e32 v18, v0, v32
	v_mul_f32_e32 v15, v1, v47
	v_fmac_f32_e32 v15, v0, v46
	v_fmac_f32_e32 v15, v2, v34
	;; [unrolled: 1-line block ×3, first 2 shown]
	v_mul_f32_e32 v14, v1, v39
	v_fmac_f32_e32 v14, v0, v38
	v_fmac_f32_e32 v18, v2, v44
	;; [unrolled: 1-line block ×9, first 2 shown]
	v_mul_f32_e32 v6, v1, v61
	v_fmac_f32_e32 v6, v0, v60
	v_fmac_f32_e32 v6, v2, v52
	;; [unrolled: 1-line block ×3, first 2 shown]
	v_add_u32_e32 v42, 64, v42
	s_waitcnt vmcnt(1)
	v_fmac_f32_e32 v28, v2, v30
	s_waitcnt vmcnt(0)
	v_fmac_f32_e32 v28, v3, v31
	buffer_load_dword v30, off, s[0:3], s32 offset:292 ; 4-byte Folded Reload
	buffer_load_dword v31, off, s[0:3], s32 offset:296 ; 4-byte Folded Reload
	s_waitcnt vmcnt(0)
	v_mul_f32_e32 v29, v1, v31
	v_fmac_f32_e32 v29, v0, v30
	buffer_load_dword v30, off, s[0:3], s32 offset:300 ; 4-byte Folded Reload
	buffer_load_dword v31, off, s[0:3], s32 offset:304 ; 4-byte Folded Reload
	buffer_load_dword v32, off, s[0:3], s32 offset:276 ; 4-byte Folded Reload
	buffer_load_dword v33, off, s[0:3], s32 offset:280 ; 4-byte Folded Reload
	s_waitcnt vmcnt(3)
	v_fmac_f32_e32 v29, v2, v30
	s_waitcnt vmcnt(0)
	v_mul_f32_e32 v30, v1, v33
	v_fmac_f32_e32 v30, v0, v32
	buffer_load_dword v32, off, s[0:3], s32 offset:284 ; 4-byte Folded Reload
	buffer_load_dword v33, off, s[0:3], s32 offset:288 ; 4-byte Folded Reload
	v_fmac_f32_e32 v29, v3, v31
	s_waitcnt vmcnt(1)
	v_fmac_f32_e32 v30, v2, v32
	s_waitcnt vmcnt(0)
	v_fmac_f32_e32 v30, v3, v33
	buffer_load_dword v32, off, s[0:3], s32 offset:260 ; 4-byte Folded Reload
	buffer_load_dword v33, off, s[0:3], s32 offset:264 ; 4-byte Folded Reload
	s_waitcnt vmcnt(0)
	v_mul_f32_e32 v31, v1, v33
	v_fmac_f32_e32 v31, v0, v32
	buffer_load_dword v32, off, s[0:3], s32 offset:268 ; 4-byte Folded Reload
	buffer_load_dword v33, off, s[0:3], s32 offset:272 ; 4-byte Folded Reload
	;; [unrolled: 1-line block ×4, first 2 shown]
	s_waitcnt vmcnt(3)
	v_fmac_f32_e32 v31, v2, v32
	s_waitcnt vmcnt(0)
	v_mul_f32_e32 v32, v1, v35
	v_fmac_f32_e32 v32, v0, v34
	buffer_load_dword v34, off, s[0:3], s32 offset:252 ; 4-byte Folded Reload
	buffer_load_dword v35, off, s[0:3], s32 offset:256 ; 4-byte Folded Reload
	buffer_load_dword v38, off, s[0:3], s32 offset:324 ; 4-byte Folded Reload
	buffer_load_dword v39, off, s[0:3], s32 offset:328 ; 4-byte Folded Reload
	v_fmac_f32_e32 v31, v3, v33
	s_waitcnt vmcnt(3)
	v_fmac_f32_e32 v32, v2, v34
	s_waitcnt vmcnt(2)
	v_fmac_f32_e32 v32, v3, v35
	v_accvgpr_read_b32 v35, a17
	s_waitcnt vmcnt(0)
	v_add_f32_e32 v39, v39, v15
	v_add_f32_e32 v38, v38, v18
	v_accvgpr_read_b32 v34, a16
	buffer_store_dword v38, off, s[0:3], s32 offset:324 ; 4-byte Folded Spill
	s_nop 0
	buffer_store_dword v39, off, s[0:3], s32 offset:328 ; 4-byte Folded Spill
	v_add_f32_e32 v34, v34, v14
	buffer_load_dword v14, off, s[0:3], s32 offset:332 ; 4-byte Folded Reload
	buffer_load_dword v15, off, s[0:3], s32 offset:336 ; 4-byte Folded Reload
	s_waitcnt vmcnt(0)
	v_add_f32_e32 v15, v15, v19
	v_add_f32_e32 v14, v14, v22
	buffer_store_dword v14, off, s[0:3], s32 offset:332 ; 4-byte Folded Spill
	s_nop 0
	buffer_store_dword v15, off, s[0:3], s32 offset:336 ; 4-byte Folded Spill
	buffer_load_dword v14, off, s[0:3], s32 offset:340 ; 4-byte Folded Reload
	s_nop 0
	buffer_load_dword v15, off, s[0:3], s32 offset:344 ; 4-byte Folded Reload
	s_waitcnt vmcnt(0)
	v_add_f32_e32 v15, v15, v21
	v_add_f32_e32 v14, v14, v17
	buffer_store_dword v14, off, s[0:3], s32 offset:340 ; 4-byte Folded Spill
	s_nop 0
	buffer_store_dword v15, off, s[0:3], s32 offset:344 ; 4-byte Folded Spill
	buffer_load_dword v14, off, s[0:3], s32 offset:348 ; 4-byte Folded Reload
	s_nop 0
	buffer_load_dword v15, off, s[0:3], s32 offset:352 ; 4-byte Folded Reload
	s_waitcnt vmcnt(0)
	v_add_f32_e32 v15, v15, v9
	v_add_f32_e32 v14, v14, v8
	buffer_store_dword v14, off, s[0:3], s32 offset:348 ; 4-byte Folded Spill
	s_nop 0
	buffer_store_dword v15, off, s[0:3], s32 offset:352 ; 4-byte Folded Spill
	buffer_load_dword v8, off, s[0:3], s32 offset:356 ; 4-byte Folded Reload
	buffer_load_dword v9, off, s[0:3], s32 offset:360 ; 4-byte Folded Reload
	s_waitcnt vmcnt(0)
	v_add_f32_e32 v9, v9, v6
	v_add_f32_e32 v8, v8, v7
	buffer_store_dword v8, off, s[0:3], s32 offset:356 ; 4-byte Folded Spill
	s_nop 0
	buffer_store_dword v9, off, s[0:3], s32 offset:360 ; 4-byte Folded Spill
	buffer_load_dword v6, off, s[0:3], s32 offset:364 ; 4-byte Folded Reload
	;; [unrolled: 8-line block ×3, first 2 shown]
	buffer_load_dword v5, off, s[0:3], s32 offset:376 ; 4-byte Folded Reload
	v_accvgpr_read_b32 v6, a44
	v_accvgpr_read_b32 v7, a45
	v_add_f32_e32 v7, v7, v32
	s_waitcnt vmcnt(0)
	v_add_f32_e32 v5, v5, v10
	v_add_f32_e32 v4, v4, v11
	buffer_store_dword v4, off, s[0:3], s32 offset:372 ; 4-byte Folded Spill
	s_nop 0
	buffer_store_dword v5, off, s[0:3], s32 offset:376 ; 4-byte Folded Spill
	buffer_load_dword v4, off, s[0:3], s32 offset:380 ; 4-byte Folded Reload
	s_nop 0
	buffer_load_dword v5, off, s[0:3], s32 offset:384 ; 4-byte Folded Reload
	s_waitcnt vmcnt(0)
	v_add_f32_e32 v5, v5, v12
	v_add_f32_e32 v4, v4, v13
	buffer_store_dword v4, off, s[0:3], s32 offset:380 ; 4-byte Folded Spill
	s_nop 0
	buffer_store_dword v5, off, s[0:3], s32 offset:384 ; 4-byte Folded Spill
	buffer_load_dword v4, off, s[0:3], s32 offset:388 ; 4-byte Folded Reload
	s_nop 0
	buffer_load_dword v5, off, s[0:3], s32 offset:392 ; 4-byte Folded Reload
	;; [unrolled: 9-line block ×5, first 2 shown]
	s_waitcnt vmcnt(0)
	v_add_f32_e32 v5, v5, v28
	v_add_f32_e32 v4, v4, v29
	buffer_store_dword v4, off, s[0:3], s32 offset:412 ; 4-byte Folded Spill
	s_nop 0
	buffer_store_dword v5, off, s[0:3], s32 offset:416 ; 4-byte Folded Spill
	buffer_load_dword v8, off, s[0:3], s32 offset:436 ; 4-byte Folded Reload
	buffer_load_dword v9, off, s[0:3], s32 offset:440 ; 4-byte Folded Reload
	;; [unrolled: 1-line block ×4, first 2 shown]
	s_waitcnt vmcnt(2)
	v_add_f32_e32 v9, v9, v30
	s_waitcnt vmcnt(0)
	v_mul_f32_e32 v4, v1, v11
	v_fmac_f32_e32 v4, v0, v10
	buffer_load_dword v10, off, s[0:3], s32 offset:236 ; 4-byte Folded Reload
	buffer_load_dword v11, off, s[0:3], s32 offset:240 ; 4-byte Folded Reload
	v_add_f32_e32 v8, v8, v31
	s_waitcnt vmcnt(1)
	v_fmac_f32_e32 v4, v2, v10
	s_waitcnt vmcnt(0)
	v_fmac_f32_e32 v4, v3, v11
	v_add_f32_e32 v6, v6, v4
	v_accvgpr_write_b32 a45, v7
	v_accvgpr_write_b32 a44, v6
	buffer_load_dword v6, off, s[0:3], s32 offset:212 ; 4-byte Folded Reload
	buffer_load_dword v7, off, s[0:3], s32 offset:216 ; 4-byte Folded Reload
	s_waitcnt vmcnt(0)
	v_mul_f32_e32 v4, v1, v7
	v_fmac_f32_e32 v4, v0, v6
	buffer_load_dword v6, off, s[0:3], s32 offset:220 ; 4-byte Folded Reload
	buffer_load_dword v7, off, s[0:3], s32 offset:224 ; 4-byte Folded Reload
	s_waitcnt vmcnt(1)
	v_fmac_f32_e32 v4, v2, v6
	s_waitcnt vmcnt(0)
	v_fmac_f32_e32 v4, v3, v7
	buffer_load_dword v6, off, s[0:3], s32 offset:420 ; 4-byte Folded Reload
	buffer_load_dword v7, off, s[0:3], s32 offset:424 ; 4-byte Folded Reload
	;; [unrolled: 1-line block ×4, first 2 shown]
	s_waitcnt vmcnt(2)
	v_add_f32_e32 v7, v7, v4
	s_waitcnt vmcnt(0)
	v_mul_f32_e32 v4, v1, v11
	v_fmac_f32_e32 v4, v0, v10
	buffer_load_dword v10, off, s[0:3], s32 offset:204 ; 4-byte Folded Reload
	buffer_load_dword v11, off, s[0:3], s32 offset:208 ; 4-byte Folded Reload
	v_mul_f32_e32 v1, v1, v41
	v_fmac_f32_e32 v1, v0, v40
	v_fmac_f32_e32 v1, v2, v36
	;; [unrolled: 1-line block ×3, first 2 shown]
	v_add_f32_e32 v35, v35, v1
	v_accvgpr_write_b32 a16, v34
	v_accvgpr_write_b32 a17, v35
	s_waitcnt vmcnt(1)
	v_fmac_f32_e32 v4, v2, v10
	s_waitcnt vmcnt(0)
	v_fmac_f32_e32 v4, v3, v11
	v_add_f32_e32 v6, v6, v4
	buffer_store_dword v6, off, s[0:3], s32 offset:420 ; 4-byte Folded Spill
	s_nop 0
	buffer_store_dword v7, off, s[0:3], s32 offset:424 ; 4-byte Folded Spill
	buffer_load_dword v2, off, s[0:3], s32 offset:188 ; 4-byte Folded Reload
	buffer_load_dword v3, off, s[0:3], s32 offset:192 ; 4-byte Folded Reload
	s_nop 0
	buffer_load_dword v6, off, s[0:3], s32 offset:428 ; 4-byte Folded Reload
	buffer_load_dword v7, off, s[0:3], s32 offset:432 ; 4-byte Folded Reload
	s_waitcnt vmcnt(3)
	v_add_u32_e32 v2, 2, v2
	v_mov_b32_e32 v0, v2
	buffer_store_dword v0, off, s[0:3], s32 offset:188 ; 4-byte Folded Spill
	s_nop 0
	buffer_store_dword v1, off, s[0:3], s32 offset:192 ; 4-byte Folded Spill
	buffer_load_dword v0, off, s[0:3], s32 offset:876 ; 4-byte Folded Reload
	s_waitcnt vmcnt(4)
	v_add_co_u32_e32 v6, vcc, 8, v6
	s_waitcnt vmcnt(3)
	v_addc_co_u32_e32 v7, vcc, 0, v7, vcc
	v_accvgpr_read_b32 v1, a8
	v_add_u32_e32 v1, 0x100, v1
	s_waitcnt vmcnt(0)
	v_cmp_ge_i32_e32 vcc, v2, v0
	s_or_b64 s[12:13], vcc, s[12:13]
	s_andn2_b64 exec, exec, s[12:13]
	s_cbranch_execz .LBB255_1643
.LBB255_811:                            ; =>This Inner Loop Header: Depth=1
	buffer_store_dword v8, off, s[0:3], s32 offset:436 ; 4-byte Folded Spill
	s_nop 0
	buffer_store_dword v9, off, s[0:3], s32 offset:440 ; 4-byte Folded Spill
	buffer_store_dword v6, off, s[0:3], s32 offset:428 ; 4-byte Folded Spill
	s_nop 0
	buffer_store_dword v7, off, s[0:3], s32 offset:432 ; 4-byte Folded Spill
	v_accvgpr_write_b32 a8, v1
	v_pk_mov_b32 v[10:11], 0, 0
	v_pk_mov_b32 v[8:9], v[10:11], v[10:11] op_sel:[0,1]
	flat_load_dword v0, v[6:7]
	buffer_load_dword v4, off, s[0:3], s32 offset:444 ; 4-byte Folded Reload
	buffer_load_dword v5, off, s[0:3], s32 offset:448 ; 4-byte Folded Reload
	buffer_load_dword v2, off, s[0:3], s32 offset:868 ; 4-byte Folded Reload
	buffer_load_dword v3, off, s[0:3], s32 offset:872 ; 4-byte Folded Reload
	s_waitcnt vmcnt(0) lgkmcnt(0)
	v_mad_i64_i32 v[40:41], s[4:5], v0, v2, v[4:5]
	buffer_load_dword v2, off, s[0:3], s32 offset:548 ; 4-byte Folded Reload
	buffer_load_dword v3, off, s[0:3], s32 offset:552 ; 4-byte Folded Reload
	s_waitcnt vmcnt(1)
	v_add_co_u32_e32 v4, vcc, v40, v2
	v_addc_co_u32_e32 v5, vcc, 0, v41, vcc
	flat_load_dword v6, v[4:5]
	s_waitcnt vmcnt(0)
	ds_read_b128 v[0:3], v1
	s_waitcnt lgkmcnt(0)
	v_cmp_ne_u16_sdwa s[24:25], v6, v23 src0_sel:BYTE_0 src1_sel:DWORD
	s_and_saveexec_b64 s[4:5], s[24:25]
	s_cbranch_execz .LBB255_817
; %bb.812:                              ;   in Loop: Header=BB255_811 Depth=1
	v_bfrev_b32_e32 v8, 1
	v_cmp_ne_u16_sdwa s[26:27], v6, s7 src0_sel:BYTE_0 src1_sel:DWORD
	v_mov_b32_e32 v9, 0
	s_and_saveexec_b64 s[24:25], s[26:27]
	s_cbranch_execz .LBB255_816
; %bb.813:                              ;   in Loop: Header=BB255_811 Depth=1
	v_and_b32_e32 v7, 0x7f, v6
	v_mov_b32_e32 v8, 0x7f800001
	v_cmp_ne_u32_e32 vcc, s15, v7
	v_mov_b32_e32 v9, 0
	s_and_saveexec_b64 s[26:27], vcc
	s_cbranch_execz .LBB255_815
; %bb.814:                              ;   in Loop: Header=BB255_811 Depth=1
	v_and_b32_e32 v12, 7, v6
	v_ffbh_u32_e32 v8, v12
	v_min_u32_e32 v14, 32, v8
	v_subrev_u32_e32 v8, 28, v14
	v_lshlrev_b64 v[8:9], v8, v[6:7]
	v_lshrrev_b32_e32 v13, 3, v7
	v_sub_u32_e32 v9, 29, v14
	v_and_b32_e32 v8, 7, v8
	v_cmp_gt_u32_e32 vcc, 8, v7
	v_cndmask_b32_e32 v7, v13, v9, vcc
	v_cndmask_b32_e32 v8, v12, v8, vcc
	v_bfrev_b32_e32 v12, 60
	v_lshlrev_b32_e32 v8, 20, v8
	v_and_b32_sdwa v9, sext(v6), s11 dst_sel:DWORD dst_unused:UNUSED_PAD src0_sel:BYTE_0 src1_sel:DWORD
	v_lshl_add_u32 v7, v7, 23, v12
	v_or3_b32 v22, v9, v7, v8
	v_pk_mov_b32 v[8:9], v[22:23], v[22:23] op_sel:[0,1]
.LBB255_815:                            ;   in Loop: Header=BB255_811 Depth=1
	s_or_b64 exec, exec, s[26:27]
.LBB255_816:                            ;   in Loop: Header=BB255_811 Depth=1
	s_or_b64 exec, exec, s[24:25]
.LBB255_817:                            ;   in Loop: Header=BB255_811 Depth=1
	s_or_b64 exec, exec, s[4:5]
	v_cmp_ne_u16_sdwa s[24:25], v6, v23 src0_sel:BYTE_1 src1_sel:DWORD
	s_and_saveexec_b64 s[4:5], s[24:25]
	s_cbranch_execz .LBB255_823
; %bb.818:                              ;   in Loop: Header=BB255_811 Depth=1
	v_cmp_ne_u16_sdwa s[26:27], v6, s7 src0_sel:BYTE_1 src1_sel:DWORD
	v_pk_mov_b32 v[10:11], s[10:11], s[10:11] op_sel:[0,1]
	s_and_saveexec_b64 s[24:25], s[26:27]
	s_cbranch_execz .LBB255_822
; %bb.819:                              ;   in Loop: Header=BB255_811 Depth=1
	v_and_b32_sdwa v7, v6, s15 dst_sel:DWORD dst_unused:UNUSED_PAD src0_sel:BYTE_1 src1_sel:DWORD
	s_mov_b32 s22, s10
	v_cmp_ne_u32_e32 vcc, s15, v7
	v_pk_mov_b32 v[10:11], s[22:23], s[22:23] op_sel:[0,1]
	s_and_saveexec_b64 s[26:27], vcc
	s_cbranch_execz .LBB255_821
; %bb.820:                              ;   in Loop: Header=BB255_811 Depth=1
	v_mov_b32_e32 v10, 7
	v_and_b32_sdwa v22, v6, v10 dst_sel:DWORD dst_unused:UNUSED_PAD src0_sel:BYTE_1 src1_sel:DWORD
	v_ffbh_u32_e32 v10, v22
	v_min_u32_e32 v13, 32, v10
	v_subrev_u32_e32 v10, 28, v13
	v_lshlrev_b64 v[10:11], v10, v[22:23]
	v_lshrrev_b32_e32 v12, 3, v7
	v_sub_u32_e32 v11, 29, v13
	v_cmp_gt_u32_e32 vcc, 8, v7
	v_and_b32_e32 v10, 7, v10
	v_cndmask_b32_e32 v7, v12, v11, vcc
	v_bfrev_b32_e32 v12, 60
	v_cndmask_b32_e32 v10, v22, v10, vcc
	v_lshlrev_b32_e32 v11, 16, v6
	v_lshl_add_u32 v7, v7, 23, v12
	v_and_or_b32 v7, v11, s11, v7
	v_lshlrev_b32_e32 v10, 20, v10
	v_or_b32_e32 v11, v7, v10
	v_mov_b32_e32 v10, v23
.LBB255_821:                            ;   in Loop: Header=BB255_811 Depth=1
	s_or_b64 exec, exec, s[26:27]
.LBB255_822:                            ;   in Loop: Header=BB255_811 Depth=1
	s_or_b64 exec, exec, s[24:25]
.LBB255_823:                            ;   in Loop: Header=BB255_811 Depth=1
	s_or_b64 exec, exec, s[4:5]
	v_lshrrev_b32_e32 v16, 16, v6
	v_pk_mov_b32 v[14:15], 0, 0
	v_cmp_ne_u16_sdwa s[24:25], v16, v23 src0_sel:BYTE_0 src1_sel:DWORD
	v_pk_mov_b32 v[12:13], v[14:15], v[14:15] op_sel:[0,1]
	s_and_saveexec_b64 s[4:5], s[24:25]
	s_cbranch_execz .LBB255_829
; %bb.824:                              ;   in Loop: Header=BB255_811 Depth=1
	v_bfrev_b32_e32 v12, 1
	v_cmp_ne_u16_sdwa s[26:27], v16, s7 src0_sel:BYTE_0 src1_sel:DWORD
	v_mov_b32_e32 v13, 0
	s_and_saveexec_b64 s[24:25], s[26:27]
	s_cbranch_execz .LBB255_828
; %bb.825:                              ;   in Loop: Header=BB255_811 Depth=1
	v_bfe_u32 v7, v6, 16, 7
	v_mov_b32_e32 v12, 0x7f800001
	v_cmp_ne_u32_e32 vcc, s15, v7
	v_mov_b32_e32 v13, 0
	s_and_saveexec_b64 s[26:27], vcc
	s_cbranch_execz .LBB255_827
; %bb.826:                              ;   in Loop: Header=BB255_811 Depth=1
	v_and_b32_e32 v17, 7, v16
	v_ffbh_u32_e32 v12, v17
	v_min_u32_e32 v19, 32, v12
	v_subrev_u32_e32 v12, 28, v19
	v_lshlrev_b64 v[12:13], v12, v[16:17]
	v_lshrrev_b32_e32 v18, 3, v7
	v_sub_u32_e32 v13, 29, v19
	v_and_b32_e32 v12, 7, v12
	v_cmp_gt_u32_e32 vcc, 8, v7
	v_cndmask_b32_e32 v7, v18, v13, vcc
	v_cndmask_b32_e32 v12, v17, v12, vcc
	v_and_b32_sdwa v13, sext(v16), s11 dst_sel:DWORD dst_unused:UNUSED_PAD src0_sel:BYTE_0 src1_sel:DWORD
	v_bfrev_b32_e32 v16, 60
	v_lshlrev_b32_e32 v12, 20, v12
	v_lshl_add_u32 v7, v7, 23, v16
	v_or3_b32 v22, v13, v7, v12
	v_pk_mov_b32 v[12:13], v[22:23], v[22:23] op_sel:[0,1]
.LBB255_827:                            ;   in Loop: Header=BB255_811 Depth=1
	s_or_b64 exec, exec, s[26:27]
.LBB255_828:                            ;   in Loop: Header=BB255_811 Depth=1
	s_or_b64 exec, exec, s[24:25]
.LBB255_829:                            ;   in Loop: Header=BB255_811 Depth=1
	s_or_b64 exec, exec, s[4:5]
	v_cmp_lt_u32_e32 vcc, s30, v6
	s_and_saveexec_b64 s[4:5], vcc
	s_cbranch_execz .LBB255_835
; %bb.830:                              ;   in Loop: Header=BB255_811 Depth=1
	v_cmp_ne_u32_sdwa s[26:27], v6, s7 src0_sel:BYTE_3 src1_sel:DWORD
	v_pk_mov_b32 v[14:15], s[10:11], s[10:11] op_sel:[0,1]
	s_and_saveexec_b64 s[24:25], s[26:27]
	s_cbranch_execz .LBB255_834
; %bb.831:                              ;   in Loop: Header=BB255_811 Depth=1
	v_bfe_u32 v7, v6, 24, 7
	s_mov_b32 s22, s10
	v_cmp_ne_u32_e32 vcc, s15, v7
	v_pk_mov_b32 v[14:15], s[22:23], s[22:23] op_sel:[0,1]
	s_and_saveexec_b64 s[26:27], vcc
	s_cbranch_execz .LBB255_833
; %bb.832:                              ;   in Loop: Header=BB255_811 Depth=1
	v_mov_b32_e32 v14, 7
	v_and_b32_sdwa v22, v6, v14 dst_sel:DWORD dst_unused:UNUSED_PAD src0_sel:BYTE_3 src1_sel:DWORD
	v_ffbh_u32_e32 v14, v22
	v_min_u32_e32 v17, 32, v14
	v_subrev_u32_e32 v14, 28, v17
	v_lshlrev_b64 v[14:15], v14, v[22:23]
	v_lshrrev_b32_e32 v16, 3, v7
	v_sub_u32_e32 v15, 29, v17
	v_cmp_gt_u32_e32 vcc, 8, v7
	v_cndmask_b32_e32 v7, v16, v15, vcc
	v_mov_b32_e32 v15, 24
	v_and_b32_e32 v14, 7, v14
	v_lshlrev_b32_sdwa v6, v15, v6 dst_sel:DWORD dst_unused:UNUSED_PAD src0_sel:DWORD src1_sel:BYTE_3
	v_bfrev_b32_e32 v15, 60
	v_cndmask_b32_e32 v14, v22, v14, vcc
	v_lshl_add_u32 v7, v7, 23, v15
	v_and_or_b32 v6, v6, s11, v7
	v_lshlrev_b32_e32 v7, 20, v14
	v_or_b32_e32 v15, v6, v7
	v_mov_b32_e32 v14, v23
.LBB255_833:                            ;   in Loop: Header=BB255_811 Depth=1
	s_or_b64 exec, exec, s[26:27]
.LBB255_834:                            ;   in Loop: Header=BB255_811 Depth=1
	s_or_b64 exec, exec, s[24:25]
.LBB255_835:                            ;   in Loop: Header=BB255_811 Depth=1
	s_or_b64 exec, exec, s[4:5]
	v_add_u32_e32 v6, -3, v42
	v_accvgpr_write_b32 a9, v6
	buffer_load_dword v6, off, s[0:3], s32 offset:188 ; 4-byte Folded Reload
	buffer_load_dword v7, off, s[0:3], s32 offset:192 ; 4-byte Folded Reload
	s_waitcnt vmcnt(0)
	v_or_b32_e32 v7, v11, v9
	v_cmp_eq_u32_e32 vcc, v43, v6
	v_or_b32_e32 v6, v10, v8
	v_pk_mul_f32 v[6:7], v[50:51], v[6:7]
	buffer_store_dword v6, off, s[0:3], s32 offset:196 ; 4-byte Folded Spill
	s_nop 0
	buffer_store_dword v7, off, s[0:3], s32 offset:200 ; 4-byte Folded Spill
	v_or_b32_e32 v7, v15, v13
	v_or_b32_e32 v6, v14, v12
	v_pk_mul_f32 v[6:7], v[50:51], v[6:7]
	buffer_store_dword v6, off, s[0:3], s32 offset:204 ; 4-byte Folded Spill
	s_nop 0
	buffer_store_dword v7, off, s[0:3], s32 offset:208 ; 4-byte Folded Spill
	v_add_u32_e32 v6, -2, v42
	v_accvgpr_write_b32 a53, v6
	v_add_u32_e32 v6, -1, v42
	v_accvgpr_write_b32 a51, v6
	s_and_saveexec_b64 s[24:25], vcc
	s_cbranch_execz .LBB255_837
; %bb.836:                              ;   in Loop: Header=BB255_811 Depth=1
	v_accvgpr_read_b32 v6, a9
	v_cmp_lt_i32_e64 s[4:5], v6, v62
	buffer_load_dword v6, off, s[0:3], s32 offset:196 ; 4-byte Folded Reload
	buffer_load_dword v7, off, s[0:3], s32 offset:200 ; 4-byte Folded Reload
	v_accvgpr_read_b32 v8, a53
	s_waitcnt vmcnt(1)
	v_cndmask_b32_e64 v6, 0, v6, s[4:5]
	v_cmp_lt_i32_e64 s[4:5], v8, v62
	s_waitcnt vmcnt(0)
	v_cndmask_b32_e64 v7, 0, v7, s[4:5]
	buffer_store_dword v6, off, s[0:3], s32 offset:196 ; 4-byte Folded Spill
	s_nop 0
	buffer_store_dword v7, off, s[0:3], s32 offset:200 ; 4-byte Folded Spill
	v_accvgpr_read_b32 v6, a51
	v_cmp_lt_i32_e64 s[4:5], v6, v62
	buffer_load_dword v6, off, s[0:3], s32 offset:204 ; 4-byte Folded Reload
	buffer_load_dword v7, off, s[0:3], s32 offset:208 ; 4-byte Folded Reload
	s_waitcnt vmcnt(1)
	v_cndmask_b32_e64 v6, 0, v6, s[4:5]
	v_cmp_lt_i32_e64 s[4:5], v42, v62
	s_waitcnt vmcnt(0)
	v_cndmask_b32_e64 v7, 0, v7, s[4:5]
	buffer_store_dword v6, off, s[0:3], s32 offset:204 ; 4-byte Folded Spill
	s_nop 0
	buffer_store_dword v7, off, s[0:3], s32 offset:208 ; 4-byte Folded Spill
.LBB255_837:                            ;   in Loop: Header=BB255_811 Depth=1
	s_or_b64 exec, exec, s[24:25]
	flat_load_dword v6, v[4:5] offset:256
	v_pk_mov_b32 v[10:11], 0, 0
	v_pk_mov_b32 v[8:9], v[10:11], v[10:11] op_sel:[0,1]
	s_waitcnt vmcnt(0) lgkmcnt(0)
	v_cmp_ne_u16_sdwa s[4:5], v6, v23 src0_sel:BYTE_0 src1_sel:DWORD
	s_and_saveexec_b64 s[24:25], s[4:5]
	s_cbranch_execz .LBB255_843
; %bb.838:                              ;   in Loop: Header=BB255_811 Depth=1
	v_bfrev_b32_e32 v8, 1
	v_cmp_ne_u16_sdwa s[4:5], v6, s7 src0_sel:BYTE_0 src1_sel:DWORD
	v_mov_b32_e32 v9, 0
	s_and_saveexec_b64 s[26:27], s[4:5]
	s_cbranch_execz .LBB255_842
; %bb.839:                              ;   in Loop: Header=BB255_811 Depth=1
	v_and_b32_e32 v7, 0x7f, v6
	v_mov_b32_e32 v8, 0x7f800001
	v_cmp_ne_u32_e64 s[4:5], s15, v7
	v_mov_b32_e32 v9, 0
	s_and_saveexec_b64 s[28:29], s[4:5]
	s_cbranch_execz .LBB255_841
; %bb.840:                              ;   in Loop: Header=BB255_811 Depth=1
	v_and_b32_e32 v12, 7, v6
	v_ffbh_u32_e32 v8, v12
	v_min_u32_e32 v14, 32, v8
	v_subrev_u32_e32 v8, 28, v14
	v_lshlrev_b64 v[8:9], v8, v[6:7]
	v_lshrrev_b32_e32 v13, 3, v7
	v_sub_u32_e32 v9, 29, v14
	v_and_b32_e32 v8, 7, v8
	v_cmp_gt_u32_e64 s[4:5], 8, v7
	v_cndmask_b32_e64 v7, v13, v9, s[4:5]
	v_cndmask_b32_e64 v8, v12, v8, s[4:5]
	v_bfrev_b32_e32 v12, 60
	v_lshlrev_b32_e32 v8, 20, v8
	v_and_b32_sdwa v9, sext(v6), s11 dst_sel:DWORD dst_unused:UNUSED_PAD src0_sel:BYTE_0 src1_sel:DWORD
	v_lshl_add_u32 v7, v7, 23, v12
	v_or3_b32 v22, v9, v7, v8
	v_pk_mov_b32 v[8:9], v[22:23], v[22:23] op_sel:[0,1]
.LBB255_841:                            ;   in Loop: Header=BB255_811 Depth=1
	s_or_b64 exec, exec, s[28:29]
.LBB255_842:                            ;   in Loop: Header=BB255_811 Depth=1
	s_or_b64 exec, exec, s[26:27]
.LBB255_843:                            ;   in Loop: Header=BB255_811 Depth=1
	s_or_b64 exec, exec, s[24:25]
	v_cmp_ne_u16_sdwa s[4:5], v6, v23 src0_sel:BYTE_1 src1_sel:DWORD
	s_and_saveexec_b64 s[24:25], s[4:5]
	s_cbranch_execz .LBB255_849
; %bb.844:                              ;   in Loop: Header=BB255_811 Depth=1
	v_cmp_ne_u16_sdwa s[4:5], v6, s7 src0_sel:BYTE_1 src1_sel:DWORD
	v_pk_mov_b32 v[10:11], s[10:11], s[10:11] op_sel:[0,1]
	s_and_saveexec_b64 s[26:27], s[4:5]
	s_cbranch_execz .LBB255_848
; %bb.845:                              ;   in Loop: Header=BB255_811 Depth=1
	v_and_b32_sdwa v7, v6, s15 dst_sel:DWORD dst_unused:UNUSED_PAD src0_sel:BYTE_1 src1_sel:DWORD
	s_mov_b32 s22, s10
	v_cmp_ne_u32_e64 s[4:5], s15, v7
	v_pk_mov_b32 v[10:11], s[22:23], s[22:23] op_sel:[0,1]
	s_and_saveexec_b64 s[28:29], s[4:5]
	s_cbranch_execz .LBB255_847
; %bb.846:                              ;   in Loop: Header=BB255_811 Depth=1
	v_mov_b32_e32 v10, 7
	v_and_b32_sdwa v22, v6, v10 dst_sel:DWORD dst_unused:UNUSED_PAD src0_sel:BYTE_1 src1_sel:DWORD
	v_ffbh_u32_e32 v10, v22
	v_min_u32_e32 v13, 32, v10
	v_subrev_u32_e32 v10, 28, v13
	v_lshlrev_b64 v[10:11], v10, v[22:23]
	v_lshrrev_b32_e32 v12, 3, v7
	v_sub_u32_e32 v11, 29, v13
	v_cmp_gt_u32_e64 s[4:5], 8, v7
	v_and_b32_e32 v10, 7, v10
	v_cndmask_b32_e64 v7, v12, v11, s[4:5]
	v_bfrev_b32_e32 v12, 60
	v_cndmask_b32_e64 v10, v22, v10, s[4:5]
	v_lshlrev_b32_e32 v11, 16, v6
	v_lshl_add_u32 v7, v7, 23, v12
	v_and_or_b32 v7, v11, s11, v7
	v_lshlrev_b32_e32 v10, 20, v10
	v_or_b32_e32 v11, v7, v10
	v_mov_b32_e32 v10, v23
.LBB255_847:                            ;   in Loop: Header=BB255_811 Depth=1
	s_or_b64 exec, exec, s[28:29]
.LBB255_848:                            ;   in Loop: Header=BB255_811 Depth=1
	s_or_b64 exec, exec, s[26:27]
.LBB255_849:                            ;   in Loop: Header=BB255_811 Depth=1
	s_or_b64 exec, exec, s[24:25]
	v_lshrrev_b32_e32 v16, 16, v6
	v_pk_mov_b32 v[14:15], 0, 0
	v_cmp_ne_u16_sdwa s[4:5], v16, v23 src0_sel:BYTE_0 src1_sel:DWORD
	v_pk_mov_b32 v[12:13], v[14:15], v[14:15] op_sel:[0,1]
	s_and_saveexec_b64 s[24:25], s[4:5]
	s_cbranch_execz .LBB255_855
; %bb.850:                              ;   in Loop: Header=BB255_811 Depth=1
	v_bfrev_b32_e32 v12, 1
	v_cmp_ne_u16_sdwa s[4:5], v16, s7 src0_sel:BYTE_0 src1_sel:DWORD
	v_mov_b32_e32 v13, 0
	s_and_saveexec_b64 s[26:27], s[4:5]
	s_cbranch_execz .LBB255_854
; %bb.851:                              ;   in Loop: Header=BB255_811 Depth=1
	v_bfe_u32 v7, v6, 16, 7
	v_mov_b32_e32 v12, 0x7f800001
	v_cmp_ne_u32_e64 s[4:5], s15, v7
	v_mov_b32_e32 v13, 0
	s_and_saveexec_b64 s[28:29], s[4:5]
	s_cbranch_execz .LBB255_853
; %bb.852:                              ;   in Loop: Header=BB255_811 Depth=1
	v_and_b32_e32 v17, 7, v16
	v_ffbh_u32_e32 v12, v17
	v_min_u32_e32 v19, 32, v12
	v_subrev_u32_e32 v12, 28, v19
	v_lshlrev_b64 v[12:13], v12, v[16:17]
	v_lshrrev_b32_e32 v18, 3, v7
	v_sub_u32_e32 v13, 29, v19
	v_and_b32_e32 v12, 7, v12
	v_cmp_gt_u32_e64 s[4:5], 8, v7
	v_cndmask_b32_e64 v7, v18, v13, s[4:5]
	v_cndmask_b32_e64 v12, v17, v12, s[4:5]
	v_and_b32_sdwa v13, sext(v16), s11 dst_sel:DWORD dst_unused:UNUSED_PAD src0_sel:BYTE_0 src1_sel:DWORD
	v_bfrev_b32_e32 v16, 60
	v_lshlrev_b32_e32 v12, 20, v12
	v_lshl_add_u32 v7, v7, 23, v16
	v_or3_b32 v22, v13, v7, v12
	v_pk_mov_b32 v[12:13], v[22:23], v[22:23] op_sel:[0,1]
.LBB255_853:                            ;   in Loop: Header=BB255_811 Depth=1
	s_or_b64 exec, exec, s[28:29]
.LBB255_854:                            ;   in Loop: Header=BB255_811 Depth=1
	s_or_b64 exec, exec, s[26:27]
.LBB255_855:                            ;   in Loop: Header=BB255_811 Depth=1
	s_or_b64 exec, exec, s[24:25]
	v_cmp_lt_u32_e64 s[4:5], s30, v6
	s_and_saveexec_b64 s[24:25], s[4:5]
	s_cbranch_execz .LBB255_861
; %bb.856:                              ;   in Loop: Header=BB255_811 Depth=1
	v_cmp_ne_u32_sdwa s[4:5], v6, s7 src0_sel:BYTE_3 src1_sel:DWORD
	v_pk_mov_b32 v[14:15], s[10:11], s[10:11] op_sel:[0,1]
	s_and_saveexec_b64 s[26:27], s[4:5]
	s_cbranch_execz .LBB255_860
; %bb.857:                              ;   in Loop: Header=BB255_811 Depth=1
	v_bfe_u32 v7, v6, 24, 7
	s_mov_b32 s22, s10
	v_cmp_ne_u32_e64 s[4:5], s15, v7
	v_pk_mov_b32 v[14:15], s[22:23], s[22:23] op_sel:[0,1]
	s_and_saveexec_b64 s[28:29], s[4:5]
	s_cbranch_execz .LBB255_859
; %bb.858:                              ;   in Loop: Header=BB255_811 Depth=1
	v_mov_b32_e32 v14, 7
	v_and_b32_sdwa v22, v6, v14 dst_sel:DWORD dst_unused:UNUSED_PAD src0_sel:BYTE_3 src1_sel:DWORD
	v_ffbh_u32_e32 v14, v22
	v_min_u32_e32 v17, 32, v14
	v_subrev_u32_e32 v14, 28, v17
	v_lshlrev_b64 v[14:15], v14, v[22:23]
	v_lshrrev_b32_e32 v16, 3, v7
	v_sub_u32_e32 v15, 29, v17
	v_cmp_gt_u32_e64 s[4:5], 8, v7
	v_cndmask_b32_e64 v7, v16, v15, s[4:5]
	v_mov_b32_e32 v15, 24
	v_and_b32_e32 v14, 7, v14
	v_lshlrev_b32_sdwa v6, v15, v6 dst_sel:DWORD dst_unused:UNUSED_PAD src0_sel:DWORD src1_sel:BYTE_3
	v_bfrev_b32_e32 v15, 60
	v_cndmask_b32_e64 v14, v22, v14, s[4:5]
	v_lshl_add_u32 v7, v7, 23, v15
	v_and_or_b32 v6, v6, s11, v7
	v_lshlrev_b32_e32 v7, 20, v14
	v_or_b32_e32 v15, v6, v7
	v_mov_b32_e32 v14, v23
.LBB255_859:                            ;   in Loop: Header=BB255_811 Depth=1
	s_or_b64 exec, exec, s[28:29]
.LBB255_860:                            ;   in Loop: Header=BB255_811 Depth=1
	s_or_b64 exec, exec, s[26:27]
.LBB255_861:                            ;   in Loop: Header=BB255_811 Depth=1
	s_or_b64 exec, exec, s[24:25]
	v_or_b32_e32 v7, v11, v9
	v_or_b32_e32 v6, v10, v8
	v_pk_mul_f32 v[6:7], v[50:51], v[6:7]
	buffer_store_dword v6, off, s[0:3], s32 offset:212 ; 4-byte Folded Spill
	s_nop 0
	buffer_store_dword v7, off, s[0:3], s32 offset:216 ; 4-byte Folded Spill
	v_or_b32_e32 v7, v15, v13
	v_or_b32_e32 v6, v14, v12
	v_pk_mul_f32 v[6:7], v[50:51], v[6:7]
	buffer_store_dword v6, off, s[0:3], s32 offset:220 ; 4-byte Folded Spill
	s_nop 0
	buffer_store_dword v7, off, s[0:3], s32 offset:224 ; 4-byte Folded Spill
	s_and_saveexec_b64 s[24:25], vcc
	s_cbranch_execz .LBB255_863
; %bb.862:                              ;   in Loop: Header=BB255_811 Depth=1
	v_accvgpr_read_b32 v6, a9
	v_cmp_lt_i32_e64 s[4:5], v6, v62
	buffer_load_dword v6, off, s[0:3], s32 offset:212 ; 4-byte Folded Reload
	buffer_load_dword v7, off, s[0:3], s32 offset:216 ; 4-byte Folded Reload
	v_accvgpr_read_b32 v8, a53
	s_waitcnt vmcnt(1)
	v_cndmask_b32_e64 v6, 0, v6, s[4:5]
	v_cmp_lt_i32_e64 s[4:5], v8, v62
	s_waitcnt vmcnt(0)
	v_cndmask_b32_e64 v7, 0, v7, s[4:5]
	buffer_store_dword v6, off, s[0:3], s32 offset:212 ; 4-byte Folded Spill
	s_nop 0
	buffer_store_dword v7, off, s[0:3], s32 offset:216 ; 4-byte Folded Spill
	v_accvgpr_read_b32 v6, a51
	v_cmp_lt_i32_e64 s[4:5], v6, v62
	buffer_load_dword v6, off, s[0:3], s32 offset:220 ; 4-byte Folded Reload
	buffer_load_dword v7, off, s[0:3], s32 offset:224 ; 4-byte Folded Reload
	s_waitcnt vmcnt(1)
	v_cndmask_b32_e64 v6, 0, v6, s[4:5]
	v_cmp_lt_i32_e64 s[4:5], v42, v62
	s_waitcnt vmcnt(0)
	v_cndmask_b32_e64 v7, 0, v7, s[4:5]
	buffer_store_dword v6, off, s[0:3], s32 offset:220 ; 4-byte Folded Spill
	s_nop 0
	buffer_store_dword v7, off, s[0:3], s32 offset:224 ; 4-byte Folded Spill
.LBB255_863:                            ;   in Loop: Header=BB255_811 Depth=1
	s_or_b64 exec, exec, s[24:25]
	flat_load_dword v6, v[4:5] offset:512
	v_pk_mov_b32 v[10:11], 0, 0
	v_pk_mov_b32 v[8:9], v[10:11], v[10:11] op_sel:[0,1]
	s_waitcnt vmcnt(0) lgkmcnt(0)
	v_cmp_ne_u16_sdwa s[4:5], v6, v23 src0_sel:BYTE_0 src1_sel:DWORD
	s_and_saveexec_b64 s[24:25], s[4:5]
	s_cbranch_execz .LBB255_869
; %bb.864:                              ;   in Loop: Header=BB255_811 Depth=1
	v_bfrev_b32_e32 v8, 1
	v_cmp_ne_u16_sdwa s[4:5], v6, s7 src0_sel:BYTE_0 src1_sel:DWORD
	v_mov_b32_e32 v9, 0
	s_and_saveexec_b64 s[26:27], s[4:5]
	s_cbranch_execz .LBB255_868
; %bb.865:                              ;   in Loop: Header=BB255_811 Depth=1
	v_and_b32_e32 v7, 0x7f, v6
	v_mov_b32_e32 v8, 0x7f800001
	v_cmp_ne_u32_e64 s[4:5], s15, v7
	v_mov_b32_e32 v9, 0
	s_and_saveexec_b64 s[28:29], s[4:5]
	s_cbranch_execz .LBB255_867
; %bb.866:                              ;   in Loop: Header=BB255_811 Depth=1
	v_and_b32_e32 v12, 7, v6
	v_ffbh_u32_e32 v8, v12
	v_min_u32_e32 v14, 32, v8
	v_subrev_u32_e32 v8, 28, v14
	v_lshlrev_b64 v[8:9], v8, v[6:7]
	v_lshrrev_b32_e32 v13, 3, v7
	v_sub_u32_e32 v9, 29, v14
	v_and_b32_e32 v8, 7, v8
	v_cmp_gt_u32_e64 s[4:5], 8, v7
	v_cndmask_b32_e64 v7, v13, v9, s[4:5]
	v_cndmask_b32_e64 v8, v12, v8, s[4:5]
	v_bfrev_b32_e32 v12, 60
	v_lshlrev_b32_e32 v8, 20, v8
	v_and_b32_sdwa v9, sext(v6), s11 dst_sel:DWORD dst_unused:UNUSED_PAD src0_sel:BYTE_0 src1_sel:DWORD
	v_lshl_add_u32 v7, v7, 23, v12
	v_or3_b32 v22, v9, v7, v8
	v_pk_mov_b32 v[8:9], v[22:23], v[22:23] op_sel:[0,1]
.LBB255_867:                            ;   in Loop: Header=BB255_811 Depth=1
	s_or_b64 exec, exec, s[28:29]
.LBB255_868:                            ;   in Loop: Header=BB255_811 Depth=1
	s_or_b64 exec, exec, s[26:27]
.LBB255_869:                            ;   in Loop: Header=BB255_811 Depth=1
	s_or_b64 exec, exec, s[24:25]
	v_cmp_ne_u16_sdwa s[4:5], v6, v23 src0_sel:BYTE_1 src1_sel:DWORD
	s_and_saveexec_b64 s[24:25], s[4:5]
	s_cbranch_execz .LBB255_875
; %bb.870:                              ;   in Loop: Header=BB255_811 Depth=1
	v_cmp_ne_u16_sdwa s[4:5], v6, s7 src0_sel:BYTE_1 src1_sel:DWORD
	v_pk_mov_b32 v[10:11], s[10:11], s[10:11] op_sel:[0,1]
	s_and_saveexec_b64 s[26:27], s[4:5]
	s_cbranch_execz .LBB255_874
; %bb.871:                              ;   in Loop: Header=BB255_811 Depth=1
	v_and_b32_sdwa v7, v6, s15 dst_sel:DWORD dst_unused:UNUSED_PAD src0_sel:BYTE_1 src1_sel:DWORD
	s_mov_b32 s22, s10
	v_cmp_ne_u32_e64 s[4:5], s15, v7
	v_pk_mov_b32 v[10:11], s[22:23], s[22:23] op_sel:[0,1]
	s_and_saveexec_b64 s[28:29], s[4:5]
	s_cbranch_execz .LBB255_873
; %bb.872:                              ;   in Loop: Header=BB255_811 Depth=1
	v_mov_b32_e32 v10, 7
	v_and_b32_sdwa v22, v6, v10 dst_sel:DWORD dst_unused:UNUSED_PAD src0_sel:BYTE_1 src1_sel:DWORD
	v_ffbh_u32_e32 v10, v22
	v_min_u32_e32 v13, 32, v10
	v_subrev_u32_e32 v10, 28, v13
	v_lshlrev_b64 v[10:11], v10, v[22:23]
	v_lshrrev_b32_e32 v12, 3, v7
	v_sub_u32_e32 v11, 29, v13
	v_cmp_gt_u32_e64 s[4:5], 8, v7
	v_and_b32_e32 v10, 7, v10
	v_cndmask_b32_e64 v7, v12, v11, s[4:5]
	v_bfrev_b32_e32 v12, 60
	v_cndmask_b32_e64 v10, v22, v10, s[4:5]
	v_lshlrev_b32_e32 v11, 16, v6
	v_lshl_add_u32 v7, v7, 23, v12
	v_and_or_b32 v7, v11, s11, v7
	v_lshlrev_b32_e32 v10, 20, v10
	v_or_b32_e32 v11, v7, v10
	v_mov_b32_e32 v10, v23
.LBB255_873:                            ;   in Loop: Header=BB255_811 Depth=1
	s_or_b64 exec, exec, s[28:29]
.LBB255_874:                            ;   in Loop: Header=BB255_811 Depth=1
	s_or_b64 exec, exec, s[26:27]
.LBB255_875:                            ;   in Loop: Header=BB255_811 Depth=1
	s_or_b64 exec, exec, s[24:25]
	v_lshrrev_b32_e32 v16, 16, v6
	v_pk_mov_b32 v[14:15], 0, 0
	v_cmp_ne_u16_sdwa s[4:5], v16, v23 src0_sel:BYTE_0 src1_sel:DWORD
	v_pk_mov_b32 v[12:13], v[14:15], v[14:15] op_sel:[0,1]
	s_and_saveexec_b64 s[24:25], s[4:5]
	s_cbranch_execz .LBB255_881
; %bb.876:                              ;   in Loop: Header=BB255_811 Depth=1
	v_bfrev_b32_e32 v12, 1
	v_cmp_ne_u16_sdwa s[4:5], v16, s7 src0_sel:BYTE_0 src1_sel:DWORD
	v_mov_b32_e32 v13, 0
	s_and_saveexec_b64 s[26:27], s[4:5]
	s_cbranch_execz .LBB255_880
; %bb.877:                              ;   in Loop: Header=BB255_811 Depth=1
	v_bfe_u32 v7, v6, 16, 7
	v_mov_b32_e32 v12, 0x7f800001
	v_cmp_ne_u32_e64 s[4:5], s15, v7
	v_mov_b32_e32 v13, 0
	s_and_saveexec_b64 s[28:29], s[4:5]
	s_cbranch_execz .LBB255_879
; %bb.878:                              ;   in Loop: Header=BB255_811 Depth=1
	v_and_b32_e32 v17, 7, v16
	v_ffbh_u32_e32 v12, v17
	v_min_u32_e32 v19, 32, v12
	v_subrev_u32_e32 v12, 28, v19
	v_lshlrev_b64 v[12:13], v12, v[16:17]
	v_lshrrev_b32_e32 v18, 3, v7
	v_sub_u32_e32 v13, 29, v19
	v_and_b32_e32 v12, 7, v12
	v_cmp_gt_u32_e64 s[4:5], 8, v7
	v_cndmask_b32_e64 v7, v18, v13, s[4:5]
	v_cndmask_b32_e64 v12, v17, v12, s[4:5]
	v_and_b32_sdwa v13, sext(v16), s11 dst_sel:DWORD dst_unused:UNUSED_PAD src0_sel:BYTE_0 src1_sel:DWORD
	v_bfrev_b32_e32 v16, 60
	v_lshlrev_b32_e32 v12, 20, v12
	v_lshl_add_u32 v7, v7, 23, v16
	v_or3_b32 v22, v13, v7, v12
	v_pk_mov_b32 v[12:13], v[22:23], v[22:23] op_sel:[0,1]
.LBB255_879:                            ;   in Loop: Header=BB255_811 Depth=1
	s_or_b64 exec, exec, s[28:29]
.LBB255_880:                            ;   in Loop: Header=BB255_811 Depth=1
	s_or_b64 exec, exec, s[26:27]
.LBB255_881:                            ;   in Loop: Header=BB255_811 Depth=1
	s_or_b64 exec, exec, s[24:25]
	v_cmp_lt_u32_e64 s[4:5], s30, v6
	s_and_saveexec_b64 s[24:25], s[4:5]
	s_cbranch_execz .LBB255_887
; %bb.882:                              ;   in Loop: Header=BB255_811 Depth=1
	v_cmp_ne_u32_sdwa s[4:5], v6, s7 src0_sel:BYTE_3 src1_sel:DWORD
	v_pk_mov_b32 v[14:15], s[10:11], s[10:11] op_sel:[0,1]
	s_and_saveexec_b64 s[26:27], s[4:5]
	s_cbranch_execz .LBB255_886
; %bb.883:                              ;   in Loop: Header=BB255_811 Depth=1
	v_bfe_u32 v7, v6, 24, 7
	s_mov_b32 s22, s10
	v_cmp_ne_u32_e64 s[4:5], s15, v7
	v_pk_mov_b32 v[14:15], s[22:23], s[22:23] op_sel:[0,1]
	s_and_saveexec_b64 s[28:29], s[4:5]
	s_cbranch_execz .LBB255_885
; %bb.884:                              ;   in Loop: Header=BB255_811 Depth=1
	v_mov_b32_e32 v14, 7
	v_and_b32_sdwa v22, v6, v14 dst_sel:DWORD dst_unused:UNUSED_PAD src0_sel:BYTE_3 src1_sel:DWORD
	v_ffbh_u32_e32 v14, v22
	v_min_u32_e32 v17, 32, v14
	v_subrev_u32_e32 v14, 28, v17
	v_lshlrev_b64 v[14:15], v14, v[22:23]
	v_lshrrev_b32_e32 v16, 3, v7
	v_sub_u32_e32 v15, 29, v17
	v_cmp_gt_u32_e64 s[4:5], 8, v7
	v_cndmask_b32_e64 v7, v16, v15, s[4:5]
	v_mov_b32_e32 v15, 24
	v_and_b32_e32 v14, 7, v14
	v_lshlrev_b32_sdwa v6, v15, v6 dst_sel:DWORD dst_unused:UNUSED_PAD src0_sel:DWORD src1_sel:BYTE_3
	v_bfrev_b32_e32 v15, 60
	v_cndmask_b32_e64 v14, v22, v14, s[4:5]
	v_lshl_add_u32 v7, v7, 23, v15
	v_and_or_b32 v6, v6, s11, v7
	v_lshlrev_b32_e32 v7, 20, v14
	v_or_b32_e32 v15, v6, v7
	v_mov_b32_e32 v14, v23
.LBB255_885:                            ;   in Loop: Header=BB255_811 Depth=1
	s_or_b64 exec, exec, s[28:29]
.LBB255_886:                            ;   in Loop: Header=BB255_811 Depth=1
	s_or_b64 exec, exec, s[26:27]
.LBB255_887:                            ;   in Loop: Header=BB255_811 Depth=1
	s_or_b64 exec, exec, s[24:25]
	v_or_b32_e32 v7, v11, v9
	v_or_b32_e32 v6, v10, v8
	v_pk_mul_f32 v[6:7], v[50:51], v[6:7]
	buffer_store_dword v6, off, s[0:3], s32 offset:228 ; 4-byte Folded Spill
	s_nop 0
	buffer_store_dword v7, off, s[0:3], s32 offset:232 ; 4-byte Folded Spill
	v_or_b32_e32 v7, v15, v13
	v_or_b32_e32 v6, v14, v12
	v_pk_mul_f32 v[6:7], v[50:51], v[6:7]
	buffer_store_dword v6, off, s[0:3], s32 offset:236 ; 4-byte Folded Spill
	s_nop 0
	buffer_store_dword v7, off, s[0:3], s32 offset:240 ; 4-byte Folded Spill
	s_and_saveexec_b64 s[24:25], vcc
	s_cbranch_execz .LBB255_889
; %bb.888:                              ;   in Loop: Header=BB255_811 Depth=1
	buffer_load_dword v8, off, s[0:3], s32 offset:228 ; 4-byte Folded Reload
	buffer_load_dword v9, off, s[0:3], s32 offset:232 ; 4-byte Folded Reload
	v_accvgpr_read_b32 v6, a9
	v_cmp_lt_i32_e64 s[4:5], v6, v62
	v_accvgpr_read_b32 v6, a53
	s_waitcnt vmcnt(1)
	v_cndmask_b32_e64 v8, 0, v8, s[4:5]
	v_cmp_lt_i32_e64 s[4:5], v6, v62
	s_waitcnt vmcnt(0)
	v_cndmask_b32_e64 v9, 0, v9, s[4:5]
	buffer_store_dword v8, off, s[0:3], s32 offset:228 ; 4-byte Folded Spill
	s_nop 0
	buffer_store_dword v9, off, s[0:3], s32 offset:232 ; 4-byte Folded Spill
	v_accvgpr_read_b32 v6, a51
	v_cmp_lt_i32_e64 s[4:5], v6, v62
	buffer_load_dword v6, off, s[0:3], s32 offset:236 ; 4-byte Folded Reload
	buffer_load_dword v7, off, s[0:3], s32 offset:240 ; 4-byte Folded Reload
	s_waitcnt vmcnt(1)
	v_cndmask_b32_e64 v6, 0, v6, s[4:5]
	v_cmp_lt_i32_e64 s[4:5], v42, v62
	s_waitcnt vmcnt(0)
	v_cndmask_b32_e64 v7, 0, v7, s[4:5]
	buffer_store_dword v6, off, s[0:3], s32 offset:236 ; 4-byte Folded Spill
	s_nop 0
	buffer_store_dword v7, off, s[0:3], s32 offset:240 ; 4-byte Folded Spill
.LBB255_889:                            ;   in Loop: Header=BB255_811 Depth=1
	s_or_b64 exec, exec, s[24:25]
	flat_load_dword v6, v[4:5] offset:768
	v_pk_mov_b32 v[10:11], 0, 0
	v_pk_mov_b32 v[8:9], v[10:11], v[10:11] op_sel:[0,1]
	s_waitcnt vmcnt(0) lgkmcnt(0)
	v_cmp_ne_u16_sdwa s[4:5], v6, v23 src0_sel:BYTE_0 src1_sel:DWORD
	s_and_saveexec_b64 s[24:25], s[4:5]
	s_cbranch_execz .LBB255_895
; %bb.890:                              ;   in Loop: Header=BB255_811 Depth=1
	v_bfrev_b32_e32 v8, 1
	v_cmp_ne_u16_sdwa s[4:5], v6, s7 src0_sel:BYTE_0 src1_sel:DWORD
	v_mov_b32_e32 v9, 0
	s_and_saveexec_b64 s[26:27], s[4:5]
	s_cbranch_execz .LBB255_894
; %bb.891:                              ;   in Loop: Header=BB255_811 Depth=1
	v_and_b32_e32 v7, 0x7f, v6
	v_mov_b32_e32 v8, 0x7f800001
	v_cmp_ne_u32_e64 s[4:5], s15, v7
	v_mov_b32_e32 v9, 0
	s_and_saveexec_b64 s[28:29], s[4:5]
	s_cbranch_execz .LBB255_893
; %bb.892:                              ;   in Loop: Header=BB255_811 Depth=1
	v_and_b32_e32 v12, 7, v6
	v_ffbh_u32_e32 v8, v12
	v_min_u32_e32 v14, 32, v8
	v_subrev_u32_e32 v8, 28, v14
	v_lshlrev_b64 v[8:9], v8, v[6:7]
	v_lshrrev_b32_e32 v13, 3, v7
	v_sub_u32_e32 v9, 29, v14
	v_and_b32_e32 v8, 7, v8
	v_cmp_gt_u32_e64 s[4:5], 8, v7
	v_cndmask_b32_e64 v7, v13, v9, s[4:5]
	v_cndmask_b32_e64 v8, v12, v8, s[4:5]
	v_bfrev_b32_e32 v12, 60
	v_lshlrev_b32_e32 v8, 20, v8
	v_and_b32_sdwa v9, sext(v6), s11 dst_sel:DWORD dst_unused:UNUSED_PAD src0_sel:BYTE_0 src1_sel:DWORD
	v_lshl_add_u32 v7, v7, 23, v12
	v_or3_b32 v22, v9, v7, v8
	v_pk_mov_b32 v[8:9], v[22:23], v[22:23] op_sel:[0,1]
.LBB255_893:                            ;   in Loop: Header=BB255_811 Depth=1
	s_or_b64 exec, exec, s[28:29]
.LBB255_894:                            ;   in Loop: Header=BB255_811 Depth=1
	s_or_b64 exec, exec, s[26:27]
.LBB255_895:                            ;   in Loop: Header=BB255_811 Depth=1
	s_or_b64 exec, exec, s[24:25]
	v_cmp_ne_u16_sdwa s[4:5], v6, v23 src0_sel:BYTE_1 src1_sel:DWORD
	s_and_saveexec_b64 s[24:25], s[4:5]
	s_cbranch_execz .LBB255_901
; %bb.896:                              ;   in Loop: Header=BB255_811 Depth=1
	v_cmp_ne_u16_sdwa s[4:5], v6, s7 src0_sel:BYTE_1 src1_sel:DWORD
	v_pk_mov_b32 v[10:11], s[10:11], s[10:11] op_sel:[0,1]
	s_and_saveexec_b64 s[26:27], s[4:5]
	s_cbranch_execz .LBB255_900
; %bb.897:                              ;   in Loop: Header=BB255_811 Depth=1
	v_and_b32_sdwa v7, v6, s15 dst_sel:DWORD dst_unused:UNUSED_PAD src0_sel:BYTE_1 src1_sel:DWORD
	s_mov_b32 s22, s10
	v_cmp_ne_u32_e64 s[4:5], s15, v7
	v_pk_mov_b32 v[10:11], s[22:23], s[22:23] op_sel:[0,1]
	s_and_saveexec_b64 s[28:29], s[4:5]
	s_cbranch_execz .LBB255_899
; %bb.898:                              ;   in Loop: Header=BB255_811 Depth=1
	v_mov_b32_e32 v10, 7
	v_and_b32_sdwa v22, v6, v10 dst_sel:DWORD dst_unused:UNUSED_PAD src0_sel:BYTE_1 src1_sel:DWORD
	v_ffbh_u32_e32 v10, v22
	v_min_u32_e32 v13, 32, v10
	v_subrev_u32_e32 v10, 28, v13
	v_lshlrev_b64 v[10:11], v10, v[22:23]
	v_lshrrev_b32_e32 v12, 3, v7
	v_sub_u32_e32 v11, 29, v13
	v_cmp_gt_u32_e64 s[4:5], 8, v7
	v_and_b32_e32 v10, 7, v10
	v_cndmask_b32_e64 v7, v12, v11, s[4:5]
	v_bfrev_b32_e32 v12, 60
	v_cndmask_b32_e64 v10, v22, v10, s[4:5]
	v_lshlrev_b32_e32 v11, 16, v6
	v_lshl_add_u32 v7, v7, 23, v12
	v_and_or_b32 v7, v11, s11, v7
	v_lshlrev_b32_e32 v10, 20, v10
	v_or_b32_e32 v11, v7, v10
	v_mov_b32_e32 v10, v23
.LBB255_899:                            ;   in Loop: Header=BB255_811 Depth=1
	s_or_b64 exec, exec, s[28:29]
.LBB255_900:                            ;   in Loop: Header=BB255_811 Depth=1
	s_or_b64 exec, exec, s[26:27]
.LBB255_901:                            ;   in Loop: Header=BB255_811 Depth=1
	s_or_b64 exec, exec, s[24:25]
	v_lshrrev_b32_e32 v16, 16, v6
	v_pk_mov_b32 v[14:15], 0, 0
	v_cmp_ne_u16_sdwa s[4:5], v16, v23 src0_sel:BYTE_0 src1_sel:DWORD
	v_pk_mov_b32 v[12:13], v[14:15], v[14:15] op_sel:[0,1]
	s_and_saveexec_b64 s[24:25], s[4:5]
	s_cbranch_execz .LBB255_907
; %bb.902:                              ;   in Loop: Header=BB255_811 Depth=1
	v_bfrev_b32_e32 v12, 1
	v_cmp_ne_u16_sdwa s[4:5], v16, s7 src0_sel:BYTE_0 src1_sel:DWORD
	v_mov_b32_e32 v13, 0
	s_and_saveexec_b64 s[26:27], s[4:5]
	s_cbranch_execz .LBB255_906
; %bb.903:                              ;   in Loop: Header=BB255_811 Depth=1
	v_bfe_u32 v7, v6, 16, 7
	v_mov_b32_e32 v12, 0x7f800001
	v_cmp_ne_u32_e64 s[4:5], s15, v7
	v_mov_b32_e32 v13, 0
	s_and_saveexec_b64 s[28:29], s[4:5]
	s_cbranch_execz .LBB255_905
; %bb.904:                              ;   in Loop: Header=BB255_811 Depth=1
	v_and_b32_e32 v17, 7, v16
	v_ffbh_u32_e32 v12, v17
	v_min_u32_e32 v19, 32, v12
	v_subrev_u32_e32 v12, 28, v19
	v_lshlrev_b64 v[12:13], v12, v[16:17]
	v_lshrrev_b32_e32 v18, 3, v7
	v_sub_u32_e32 v13, 29, v19
	v_and_b32_e32 v12, 7, v12
	v_cmp_gt_u32_e64 s[4:5], 8, v7
	v_cndmask_b32_e64 v7, v18, v13, s[4:5]
	v_cndmask_b32_e64 v12, v17, v12, s[4:5]
	v_and_b32_sdwa v13, sext(v16), s11 dst_sel:DWORD dst_unused:UNUSED_PAD src0_sel:BYTE_0 src1_sel:DWORD
	v_bfrev_b32_e32 v16, 60
	v_lshlrev_b32_e32 v12, 20, v12
	v_lshl_add_u32 v7, v7, 23, v16
	v_or3_b32 v22, v13, v7, v12
	v_pk_mov_b32 v[12:13], v[22:23], v[22:23] op_sel:[0,1]
.LBB255_905:                            ;   in Loop: Header=BB255_811 Depth=1
	s_or_b64 exec, exec, s[28:29]
.LBB255_906:                            ;   in Loop: Header=BB255_811 Depth=1
	s_or_b64 exec, exec, s[26:27]
.LBB255_907:                            ;   in Loop: Header=BB255_811 Depth=1
	s_or_b64 exec, exec, s[24:25]
	v_cmp_lt_u32_e64 s[4:5], s30, v6
	s_and_saveexec_b64 s[24:25], s[4:5]
	s_cbranch_execz .LBB255_913
; %bb.908:                              ;   in Loop: Header=BB255_811 Depth=1
	v_cmp_ne_u32_sdwa s[4:5], v6, s7 src0_sel:BYTE_3 src1_sel:DWORD
	v_pk_mov_b32 v[14:15], s[10:11], s[10:11] op_sel:[0,1]
	s_and_saveexec_b64 s[26:27], s[4:5]
	s_cbranch_execz .LBB255_912
; %bb.909:                              ;   in Loop: Header=BB255_811 Depth=1
	v_bfe_u32 v7, v6, 24, 7
	s_mov_b32 s22, s10
	v_cmp_ne_u32_e64 s[4:5], s15, v7
	v_pk_mov_b32 v[14:15], s[22:23], s[22:23] op_sel:[0,1]
	s_and_saveexec_b64 s[28:29], s[4:5]
	s_cbranch_execz .LBB255_911
; %bb.910:                              ;   in Loop: Header=BB255_811 Depth=1
	v_mov_b32_e32 v14, 7
	v_and_b32_sdwa v22, v6, v14 dst_sel:DWORD dst_unused:UNUSED_PAD src0_sel:BYTE_3 src1_sel:DWORD
	v_ffbh_u32_e32 v14, v22
	v_min_u32_e32 v17, 32, v14
	v_subrev_u32_e32 v14, 28, v17
	v_lshlrev_b64 v[14:15], v14, v[22:23]
	v_lshrrev_b32_e32 v16, 3, v7
	v_sub_u32_e32 v15, 29, v17
	v_cmp_gt_u32_e64 s[4:5], 8, v7
	v_cndmask_b32_e64 v7, v16, v15, s[4:5]
	v_mov_b32_e32 v15, 24
	v_and_b32_e32 v14, 7, v14
	v_lshlrev_b32_sdwa v6, v15, v6 dst_sel:DWORD dst_unused:UNUSED_PAD src0_sel:DWORD src1_sel:BYTE_3
	v_bfrev_b32_e32 v15, 60
	v_cndmask_b32_e64 v14, v22, v14, s[4:5]
	v_lshl_add_u32 v7, v7, 23, v15
	v_and_or_b32 v6, v6, s11, v7
	v_lshlrev_b32_e32 v7, 20, v14
	v_or_b32_e32 v15, v6, v7
	v_mov_b32_e32 v14, v23
.LBB255_911:                            ;   in Loop: Header=BB255_811 Depth=1
	s_or_b64 exec, exec, s[28:29]
.LBB255_912:                            ;   in Loop: Header=BB255_811 Depth=1
	s_or_b64 exec, exec, s[26:27]
.LBB255_913:                            ;   in Loop: Header=BB255_811 Depth=1
	s_or_b64 exec, exec, s[24:25]
	v_or_b32_e32 v7, v11, v9
	v_or_b32_e32 v6, v10, v8
	v_pk_mul_f32 v[6:7], v[50:51], v[6:7]
	buffer_store_dword v6, off, s[0:3], s32 offset:244 ; 4-byte Folded Spill
	s_nop 0
	buffer_store_dword v7, off, s[0:3], s32 offset:248 ; 4-byte Folded Spill
	v_or_b32_e32 v7, v15, v13
	v_or_b32_e32 v6, v14, v12
	v_pk_mul_f32 v[6:7], v[50:51], v[6:7]
	buffer_store_dword v6, off, s[0:3], s32 offset:252 ; 4-byte Folded Spill
	s_nop 0
	buffer_store_dword v7, off, s[0:3], s32 offset:256 ; 4-byte Folded Spill
	s_and_saveexec_b64 s[24:25], vcc
	s_cbranch_execz .LBB255_915
; %bb.914:                              ;   in Loop: Header=BB255_811 Depth=1
	buffer_load_dword v8, off, s[0:3], s32 offset:244 ; 4-byte Folded Reload
	buffer_load_dword v9, off, s[0:3], s32 offset:248 ; 4-byte Folded Reload
	v_accvgpr_read_b32 v6, a9
	v_cmp_lt_i32_e64 s[4:5], v6, v62
	v_accvgpr_read_b32 v6, a53
	s_waitcnt vmcnt(1)
	v_cndmask_b32_e64 v8, 0, v8, s[4:5]
	v_cmp_lt_i32_e64 s[4:5], v6, v62
	s_waitcnt vmcnt(0)
	v_cndmask_b32_e64 v9, 0, v9, s[4:5]
	buffer_store_dword v8, off, s[0:3], s32 offset:244 ; 4-byte Folded Spill
	s_nop 0
	buffer_store_dword v9, off, s[0:3], s32 offset:248 ; 4-byte Folded Spill
	v_accvgpr_read_b32 v6, a51
	v_cmp_lt_i32_e64 s[4:5], v6, v62
	buffer_load_dword v6, off, s[0:3], s32 offset:252 ; 4-byte Folded Reload
	buffer_load_dword v7, off, s[0:3], s32 offset:256 ; 4-byte Folded Reload
	s_waitcnt vmcnt(1)
	v_cndmask_b32_e64 v6, 0, v6, s[4:5]
	v_cmp_lt_i32_e64 s[4:5], v42, v62
	s_waitcnt vmcnt(0)
	v_cndmask_b32_e64 v7, 0, v7, s[4:5]
	buffer_store_dword v6, off, s[0:3], s32 offset:252 ; 4-byte Folded Spill
	s_nop 0
	buffer_store_dword v7, off, s[0:3], s32 offset:256 ; 4-byte Folded Spill
.LBB255_915:                            ;   in Loop: Header=BB255_811 Depth=1
	s_or_b64 exec, exec, s[24:25]
	flat_load_dword v6, v[4:5] offset:1024
	v_pk_mov_b32 v[10:11], 0, 0
	v_pk_mov_b32 v[8:9], v[10:11], v[10:11] op_sel:[0,1]
	s_waitcnt vmcnt(0) lgkmcnt(0)
	v_cmp_ne_u16_sdwa s[4:5], v6, v23 src0_sel:BYTE_0 src1_sel:DWORD
	s_and_saveexec_b64 s[24:25], s[4:5]
	s_cbranch_execz .LBB255_921
; %bb.916:                              ;   in Loop: Header=BB255_811 Depth=1
	v_bfrev_b32_e32 v8, 1
	v_cmp_ne_u16_sdwa s[4:5], v6, s7 src0_sel:BYTE_0 src1_sel:DWORD
	v_mov_b32_e32 v9, 0
	s_and_saveexec_b64 s[26:27], s[4:5]
	s_cbranch_execz .LBB255_920
; %bb.917:                              ;   in Loop: Header=BB255_811 Depth=1
	v_and_b32_e32 v7, 0x7f, v6
	v_mov_b32_e32 v8, 0x7f800001
	v_cmp_ne_u32_e64 s[4:5], s15, v7
	v_mov_b32_e32 v9, 0
	s_and_saveexec_b64 s[28:29], s[4:5]
	s_cbranch_execz .LBB255_919
; %bb.918:                              ;   in Loop: Header=BB255_811 Depth=1
	v_and_b32_e32 v12, 7, v6
	v_ffbh_u32_e32 v8, v12
	v_min_u32_e32 v14, 32, v8
	v_subrev_u32_e32 v8, 28, v14
	v_lshlrev_b64 v[8:9], v8, v[6:7]
	v_lshrrev_b32_e32 v13, 3, v7
	v_sub_u32_e32 v9, 29, v14
	v_and_b32_e32 v8, 7, v8
	v_cmp_gt_u32_e64 s[4:5], 8, v7
	v_cndmask_b32_e64 v7, v13, v9, s[4:5]
	v_cndmask_b32_e64 v8, v12, v8, s[4:5]
	v_bfrev_b32_e32 v12, 60
	v_lshlrev_b32_e32 v8, 20, v8
	v_and_b32_sdwa v9, sext(v6), s11 dst_sel:DWORD dst_unused:UNUSED_PAD src0_sel:BYTE_0 src1_sel:DWORD
	v_lshl_add_u32 v7, v7, 23, v12
	v_or3_b32 v22, v9, v7, v8
	v_pk_mov_b32 v[8:9], v[22:23], v[22:23] op_sel:[0,1]
.LBB255_919:                            ;   in Loop: Header=BB255_811 Depth=1
	s_or_b64 exec, exec, s[28:29]
.LBB255_920:                            ;   in Loop: Header=BB255_811 Depth=1
	s_or_b64 exec, exec, s[26:27]
.LBB255_921:                            ;   in Loop: Header=BB255_811 Depth=1
	s_or_b64 exec, exec, s[24:25]
	v_cmp_ne_u16_sdwa s[4:5], v6, v23 src0_sel:BYTE_1 src1_sel:DWORD
	s_and_saveexec_b64 s[24:25], s[4:5]
	s_cbranch_execz .LBB255_927
; %bb.922:                              ;   in Loop: Header=BB255_811 Depth=1
	v_cmp_ne_u16_sdwa s[4:5], v6, s7 src0_sel:BYTE_1 src1_sel:DWORD
	v_pk_mov_b32 v[10:11], s[10:11], s[10:11] op_sel:[0,1]
	s_and_saveexec_b64 s[26:27], s[4:5]
	s_cbranch_execz .LBB255_926
; %bb.923:                              ;   in Loop: Header=BB255_811 Depth=1
	v_and_b32_sdwa v7, v6, s15 dst_sel:DWORD dst_unused:UNUSED_PAD src0_sel:BYTE_1 src1_sel:DWORD
	s_mov_b32 s22, s10
	v_cmp_ne_u32_e64 s[4:5], s15, v7
	v_pk_mov_b32 v[10:11], s[22:23], s[22:23] op_sel:[0,1]
	s_and_saveexec_b64 s[28:29], s[4:5]
	s_cbranch_execz .LBB255_925
; %bb.924:                              ;   in Loop: Header=BB255_811 Depth=1
	v_mov_b32_e32 v10, 7
	v_and_b32_sdwa v22, v6, v10 dst_sel:DWORD dst_unused:UNUSED_PAD src0_sel:BYTE_1 src1_sel:DWORD
	v_ffbh_u32_e32 v10, v22
	v_min_u32_e32 v13, 32, v10
	v_subrev_u32_e32 v10, 28, v13
	v_lshlrev_b64 v[10:11], v10, v[22:23]
	v_lshrrev_b32_e32 v12, 3, v7
	v_sub_u32_e32 v11, 29, v13
	v_cmp_gt_u32_e64 s[4:5], 8, v7
	v_and_b32_e32 v10, 7, v10
	v_cndmask_b32_e64 v7, v12, v11, s[4:5]
	v_bfrev_b32_e32 v12, 60
	v_cndmask_b32_e64 v10, v22, v10, s[4:5]
	v_lshlrev_b32_e32 v11, 16, v6
	v_lshl_add_u32 v7, v7, 23, v12
	v_and_or_b32 v7, v11, s11, v7
	v_lshlrev_b32_e32 v10, 20, v10
	v_or_b32_e32 v11, v7, v10
	v_mov_b32_e32 v10, v23
.LBB255_925:                            ;   in Loop: Header=BB255_811 Depth=1
	s_or_b64 exec, exec, s[28:29]
.LBB255_926:                            ;   in Loop: Header=BB255_811 Depth=1
	s_or_b64 exec, exec, s[26:27]
.LBB255_927:                            ;   in Loop: Header=BB255_811 Depth=1
	s_or_b64 exec, exec, s[24:25]
	v_lshrrev_b32_e32 v16, 16, v6
	v_pk_mov_b32 v[14:15], 0, 0
	v_cmp_ne_u16_sdwa s[4:5], v16, v23 src0_sel:BYTE_0 src1_sel:DWORD
	v_pk_mov_b32 v[12:13], v[14:15], v[14:15] op_sel:[0,1]
	s_and_saveexec_b64 s[24:25], s[4:5]
	s_cbranch_execz .LBB255_933
; %bb.928:                              ;   in Loop: Header=BB255_811 Depth=1
	v_bfrev_b32_e32 v12, 1
	v_cmp_ne_u16_sdwa s[4:5], v16, s7 src0_sel:BYTE_0 src1_sel:DWORD
	v_mov_b32_e32 v13, 0
	s_and_saveexec_b64 s[26:27], s[4:5]
	s_cbranch_execz .LBB255_932
; %bb.929:                              ;   in Loop: Header=BB255_811 Depth=1
	v_bfe_u32 v7, v6, 16, 7
	v_mov_b32_e32 v12, 0x7f800001
	v_cmp_ne_u32_e64 s[4:5], s15, v7
	v_mov_b32_e32 v13, 0
	s_and_saveexec_b64 s[28:29], s[4:5]
	s_cbranch_execz .LBB255_931
; %bb.930:                              ;   in Loop: Header=BB255_811 Depth=1
	v_and_b32_e32 v17, 7, v16
	v_ffbh_u32_e32 v12, v17
	v_min_u32_e32 v19, 32, v12
	v_subrev_u32_e32 v12, 28, v19
	v_lshlrev_b64 v[12:13], v12, v[16:17]
	v_lshrrev_b32_e32 v18, 3, v7
	v_sub_u32_e32 v13, 29, v19
	v_and_b32_e32 v12, 7, v12
	v_cmp_gt_u32_e64 s[4:5], 8, v7
	v_cndmask_b32_e64 v7, v18, v13, s[4:5]
	v_cndmask_b32_e64 v12, v17, v12, s[4:5]
	v_and_b32_sdwa v13, sext(v16), s11 dst_sel:DWORD dst_unused:UNUSED_PAD src0_sel:BYTE_0 src1_sel:DWORD
	v_bfrev_b32_e32 v16, 60
	v_lshlrev_b32_e32 v12, 20, v12
	v_lshl_add_u32 v7, v7, 23, v16
	v_or3_b32 v22, v13, v7, v12
	v_pk_mov_b32 v[12:13], v[22:23], v[22:23] op_sel:[0,1]
.LBB255_931:                            ;   in Loop: Header=BB255_811 Depth=1
	s_or_b64 exec, exec, s[28:29]
.LBB255_932:                            ;   in Loop: Header=BB255_811 Depth=1
	s_or_b64 exec, exec, s[26:27]
.LBB255_933:                            ;   in Loop: Header=BB255_811 Depth=1
	s_or_b64 exec, exec, s[24:25]
	v_cmp_lt_u32_e64 s[4:5], s30, v6
	s_and_saveexec_b64 s[24:25], s[4:5]
	s_cbranch_execz .LBB255_939
; %bb.934:                              ;   in Loop: Header=BB255_811 Depth=1
	v_cmp_ne_u32_sdwa s[4:5], v6, s7 src0_sel:BYTE_3 src1_sel:DWORD
	v_pk_mov_b32 v[14:15], s[10:11], s[10:11] op_sel:[0,1]
	s_and_saveexec_b64 s[26:27], s[4:5]
	s_cbranch_execz .LBB255_938
; %bb.935:                              ;   in Loop: Header=BB255_811 Depth=1
	v_bfe_u32 v7, v6, 24, 7
	s_mov_b32 s22, s10
	v_cmp_ne_u32_e64 s[4:5], s15, v7
	v_pk_mov_b32 v[14:15], s[22:23], s[22:23] op_sel:[0,1]
	s_and_saveexec_b64 s[28:29], s[4:5]
	s_cbranch_execz .LBB255_937
; %bb.936:                              ;   in Loop: Header=BB255_811 Depth=1
	v_mov_b32_e32 v14, 7
	v_and_b32_sdwa v22, v6, v14 dst_sel:DWORD dst_unused:UNUSED_PAD src0_sel:BYTE_3 src1_sel:DWORD
	v_ffbh_u32_e32 v14, v22
	v_min_u32_e32 v17, 32, v14
	v_subrev_u32_e32 v14, 28, v17
	v_lshlrev_b64 v[14:15], v14, v[22:23]
	v_lshrrev_b32_e32 v16, 3, v7
	v_sub_u32_e32 v15, 29, v17
	v_cmp_gt_u32_e64 s[4:5], 8, v7
	v_cndmask_b32_e64 v7, v16, v15, s[4:5]
	v_mov_b32_e32 v15, 24
	v_and_b32_e32 v14, 7, v14
	v_lshlrev_b32_sdwa v6, v15, v6 dst_sel:DWORD dst_unused:UNUSED_PAD src0_sel:DWORD src1_sel:BYTE_3
	v_bfrev_b32_e32 v15, 60
	v_cndmask_b32_e64 v14, v22, v14, s[4:5]
	v_lshl_add_u32 v7, v7, 23, v15
	v_and_or_b32 v6, v6, s11, v7
	v_lshlrev_b32_e32 v7, 20, v14
	v_or_b32_e32 v15, v6, v7
	v_mov_b32_e32 v14, v23
.LBB255_937:                            ;   in Loop: Header=BB255_811 Depth=1
	s_or_b64 exec, exec, s[28:29]
.LBB255_938:                            ;   in Loop: Header=BB255_811 Depth=1
	s_or_b64 exec, exec, s[26:27]
.LBB255_939:                            ;   in Loop: Header=BB255_811 Depth=1
	s_or_b64 exec, exec, s[24:25]
	v_or_b32_e32 v7, v11, v9
	v_or_b32_e32 v6, v10, v8
	v_pk_mul_f32 v[6:7], v[50:51], v[6:7]
	buffer_store_dword v6, off, s[0:3], s32 offset:260 ; 4-byte Folded Spill
	s_nop 0
	buffer_store_dword v7, off, s[0:3], s32 offset:264 ; 4-byte Folded Spill
	v_or_b32_e32 v7, v15, v13
	v_or_b32_e32 v6, v14, v12
	v_pk_mul_f32 v[6:7], v[50:51], v[6:7]
	buffer_store_dword v6, off, s[0:3], s32 offset:268 ; 4-byte Folded Spill
	s_nop 0
	buffer_store_dword v7, off, s[0:3], s32 offset:272 ; 4-byte Folded Spill
	s_and_saveexec_b64 s[24:25], vcc
	s_cbranch_execz .LBB255_941
; %bb.940:                              ;   in Loop: Header=BB255_811 Depth=1
	buffer_load_dword v8, off, s[0:3], s32 offset:260 ; 4-byte Folded Reload
	buffer_load_dword v9, off, s[0:3], s32 offset:264 ; 4-byte Folded Reload
	v_accvgpr_read_b32 v6, a9
	v_cmp_lt_i32_e64 s[4:5], v6, v62
	v_accvgpr_read_b32 v6, a53
	s_waitcnt vmcnt(1)
	v_cndmask_b32_e64 v8, 0, v8, s[4:5]
	v_cmp_lt_i32_e64 s[4:5], v6, v62
	s_waitcnt vmcnt(0)
	v_cndmask_b32_e64 v9, 0, v9, s[4:5]
	buffer_store_dword v8, off, s[0:3], s32 offset:260 ; 4-byte Folded Spill
	s_nop 0
	buffer_store_dword v9, off, s[0:3], s32 offset:264 ; 4-byte Folded Spill
	v_accvgpr_read_b32 v6, a51
	v_cmp_lt_i32_e64 s[4:5], v6, v62
	buffer_load_dword v6, off, s[0:3], s32 offset:268 ; 4-byte Folded Reload
	buffer_load_dword v7, off, s[0:3], s32 offset:272 ; 4-byte Folded Reload
	s_waitcnt vmcnt(1)
	v_cndmask_b32_e64 v6, 0, v6, s[4:5]
	v_cmp_lt_i32_e64 s[4:5], v42, v62
	s_waitcnt vmcnt(0)
	v_cndmask_b32_e64 v7, 0, v7, s[4:5]
	buffer_store_dword v6, off, s[0:3], s32 offset:268 ; 4-byte Folded Spill
	s_nop 0
	buffer_store_dword v7, off, s[0:3], s32 offset:272 ; 4-byte Folded Spill
.LBB255_941:                            ;   in Loop: Header=BB255_811 Depth=1
	s_or_b64 exec, exec, s[24:25]
	flat_load_dword v6, v[4:5] offset:1280
	v_pk_mov_b32 v[10:11], 0, 0
	v_pk_mov_b32 v[8:9], v[10:11], v[10:11] op_sel:[0,1]
	s_waitcnt vmcnt(0) lgkmcnt(0)
	v_cmp_ne_u16_sdwa s[4:5], v6, v23 src0_sel:BYTE_0 src1_sel:DWORD
	s_and_saveexec_b64 s[24:25], s[4:5]
	s_cbranch_execz .LBB255_947
; %bb.942:                              ;   in Loop: Header=BB255_811 Depth=1
	v_bfrev_b32_e32 v8, 1
	v_cmp_ne_u16_sdwa s[4:5], v6, s7 src0_sel:BYTE_0 src1_sel:DWORD
	v_mov_b32_e32 v9, 0
	s_and_saveexec_b64 s[26:27], s[4:5]
	s_cbranch_execz .LBB255_946
; %bb.943:                              ;   in Loop: Header=BB255_811 Depth=1
	v_and_b32_e32 v7, 0x7f, v6
	v_mov_b32_e32 v8, 0x7f800001
	v_cmp_ne_u32_e64 s[4:5], s15, v7
	v_mov_b32_e32 v9, 0
	s_and_saveexec_b64 s[28:29], s[4:5]
	s_cbranch_execz .LBB255_945
; %bb.944:                              ;   in Loop: Header=BB255_811 Depth=1
	v_and_b32_e32 v12, 7, v6
	v_ffbh_u32_e32 v8, v12
	v_min_u32_e32 v14, 32, v8
	v_subrev_u32_e32 v8, 28, v14
	v_lshlrev_b64 v[8:9], v8, v[6:7]
	v_lshrrev_b32_e32 v13, 3, v7
	v_sub_u32_e32 v9, 29, v14
	v_and_b32_e32 v8, 7, v8
	v_cmp_gt_u32_e64 s[4:5], 8, v7
	v_cndmask_b32_e64 v7, v13, v9, s[4:5]
	v_cndmask_b32_e64 v8, v12, v8, s[4:5]
	v_bfrev_b32_e32 v12, 60
	v_lshlrev_b32_e32 v8, 20, v8
	v_and_b32_sdwa v9, sext(v6), s11 dst_sel:DWORD dst_unused:UNUSED_PAD src0_sel:BYTE_0 src1_sel:DWORD
	v_lshl_add_u32 v7, v7, 23, v12
	v_or3_b32 v22, v9, v7, v8
	v_pk_mov_b32 v[8:9], v[22:23], v[22:23] op_sel:[0,1]
.LBB255_945:                            ;   in Loop: Header=BB255_811 Depth=1
	s_or_b64 exec, exec, s[28:29]
.LBB255_946:                            ;   in Loop: Header=BB255_811 Depth=1
	s_or_b64 exec, exec, s[26:27]
.LBB255_947:                            ;   in Loop: Header=BB255_811 Depth=1
	s_or_b64 exec, exec, s[24:25]
	v_cmp_ne_u16_sdwa s[4:5], v6, v23 src0_sel:BYTE_1 src1_sel:DWORD
	s_and_saveexec_b64 s[24:25], s[4:5]
	s_cbranch_execz .LBB255_953
; %bb.948:                              ;   in Loop: Header=BB255_811 Depth=1
	v_cmp_ne_u16_sdwa s[4:5], v6, s7 src0_sel:BYTE_1 src1_sel:DWORD
	v_pk_mov_b32 v[10:11], s[10:11], s[10:11] op_sel:[0,1]
	s_and_saveexec_b64 s[26:27], s[4:5]
	s_cbranch_execz .LBB255_952
; %bb.949:                              ;   in Loop: Header=BB255_811 Depth=1
	v_and_b32_sdwa v7, v6, s15 dst_sel:DWORD dst_unused:UNUSED_PAD src0_sel:BYTE_1 src1_sel:DWORD
	s_mov_b32 s22, s10
	v_cmp_ne_u32_e64 s[4:5], s15, v7
	v_pk_mov_b32 v[10:11], s[22:23], s[22:23] op_sel:[0,1]
	s_and_saveexec_b64 s[28:29], s[4:5]
	s_cbranch_execz .LBB255_951
; %bb.950:                              ;   in Loop: Header=BB255_811 Depth=1
	v_mov_b32_e32 v10, 7
	v_and_b32_sdwa v22, v6, v10 dst_sel:DWORD dst_unused:UNUSED_PAD src0_sel:BYTE_1 src1_sel:DWORD
	v_ffbh_u32_e32 v10, v22
	v_min_u32_e32 v13, 32, v10
	v_subrev_u32_e32 v10, 28, v13
	v_lshlrev_b64 v[10:11], v10, v[22:23]
	v_lshrrev_b32_e32 v12, 3, v7
	v_sub_u32_e32 v11, 29, v13
	v_cmp_gt_u32_e64 s[4:5], 8, v7
	v_and_b32_e32 v10, 7, v10
	v_cndmask_b32_e64 v7, v12, v11, s[4:5]
	v_bfrev_b32_e32 v12, 60
	v_cndmask_b32_e64 v10, v22, v10, s[4:5]
	v_lshlrev_b32_e32 v11, 16, v6
	v_lshl_add_u32 v7, v7, 23, v12
	v_and_or_b32 v7, v11, s11, v7
	v_lshlrev_b32_e32 v10, 20, v10
	v_or_b32_e32 v11, v7, v10
	v_mov_b32_e32 v10, v23
.LBB255_951:                            ;   in Loop: Header=BB255_811 Depth=1
	s_or_b64 exec, exec, s[28:29]
.LBB255_952:                            ;   in Loop: Header=BB255_811 Depth=1
	s_or_b64 exec, exec, s[26:27]
.LBB255_953:                            ;   in Loop: Header=BB255_811 Depth=1
	s_or_b64 exec, exec, s[24:25]
	v_lshrrev_b32_e32 v16, 16, v6
	v_pk_mov_b32 v[14:15], 0, 0
	v_cmp_ne_u16_sdwa s[4:5], v16, v23 src0_sel:BYTE_0 src1_sel:DWORD
	v_pk_mov_b32 v[12:13], v[14:15], v[14:15] op_sel:[0,1]
	s_and_saveexec_b64 s[24:25], s[4:5]
	s_cbranch_execz .LBB255_959
; %bb.954:                              ;   in Loop: Header=BB255_811 Depth=1
	v_bfrev_b32_e32 v12, 1
	v_cmp_ne_u16_sdwa s[4:5], v16, s7 src0_sel:BYTE_0 src1_sel:DWORD
	v_mov_b32_e32 v13, 0
	s_and_saveexec_b64 s[26:27], s[4:5]
	s_cbranch_execz .LBB255_958
; %bb.955:                              ;   in Loop: Header=BB255_811 Depth=1
	v_bfe_u32 v7, v6, 16, 7
	v_mov_b32_e32 v12, 0x7f800001
	v_cmp_ne_u32_e64 s[4:5], s15, v7
	v_mov_b32_e32 v13, 0
	s_and_saveexec_b64 s[28:29], s[4:5]
	s_cbranch_execz .LBB255_957
; %bb.956:                              ;   in Loop: Header=BB255_811 Depth=1
	v_and_b32_e32 v17, 7, v16
	v_ffbh_u32_e32 v12, v17
	v_min_u32_e32 v19, 32, v12
	v_subrev_u32_e32 v12, 28, v19
	v_lshlrev_b64 v[12:13], v12, v[16:17]
	v_lshrrev_b32_e32 v18, 3, v7
	v_sub_u32_e32 v13, 29, v19
	v_and_b32_e32 v12, 7, v12
	v_cmp_gt_u32_e64 s[4:5], 8, v7
	v_cndmask_b32_e64 v7, v18, v13, s[4:5]
	v_cndmask_b32_e64 v12, v17, v12, s[4:5]
	v_and_b32_sdwa v13, sext(v16), s11 dst_sel:DWORD dst_unused:UNUSED_PAD src0_sel:BYTE_0 src1_sel:DWORD
	v_bfrev_b32_e32 v16, 60
	v_lshlrev_b32_e32 v12, 20, v12
	v_lshl_add_u32 v7, v7, 23, v16
	v_or3_b32 v22, v13, v7, v12
	v_pk_mov_b32 v[12:13], v[22:23], v[22:23] op_sel:[0,1]
.LBB255_957:                            ;   in Loop: Header=BB255_811 Depth=1
	s_or_b64 exec, exec, s[28:29]
.LBB255_958:                            ;   in Loop: Header=BB255_811 Depth=1
	s_or_b64 exec, exec, s[26:27]
.LBB255_959:                            ;   in Loop: Header=BB255_811 Depth=1
	s_or_b64 exec, exec, s[24:25]
	v_cmp_lt_u32_e64 s[4:5], s30, v6
	s_and_saveexec_b64 s[24:25], s[4:5]
	s_cbranch_execz .LBB255_965
; %bb.960:                              ;   in Loop: Header=BB255_811 Depth=1
	v_cmp_ne_u32_sdwa s[4:5], v6, s7 src0_sel:BYTE_3 src1_sel:DWORD
	v_pk_mov_b32 v[14:15], s[10:11], s[10:11] op_sel:[0,1]
	s_and_saveexec_b64 s[26:27], s[4:5]
	s_cbranch_execz .LBB255_964
; %bb.961:                              ;   in Loop: Header=BB255_811 Depth=1
	v_bfe_u32 v7, v6, 24, 7
	s_mov_b32 s22, s10
	v_cmp_ne_u32_e64 s[4:5], s15, v7
	v_pk_mov_b32 v[14:15], s[22:23], s[22:23] op_sel:[0,1]
	s_and_saveexec_b64 s[28:29], s[4:5]
	s_cbranch_execz .LBB255_963
; %bb.962:                              ;   in Loop: Header=BB255_811 Depth=1
	v_mov_b32_e32 v14, 7
	v_and_b32_sdwa v22, v6, v14 dst_sel:DWORD dst_unused:UNUSED_PAD src0_sel:BYTE_3 src1_sel:DWORD
	v_ffbh_u32_e32 v14, v22
	v_min_u32_e32 v17, 32, v14
	v_subrev_u32_e32 v14, 28, v17
	v_lshlrev_b64 v[14:15], v14, v[22:23]
	v_lshrrev_b32_e32 v16, 3, v7
	v_sub_u32_e32 v15, 29, v17
	v_cmp_gt_u32_e64 s[4:5], 8, v7
	v_cndmask_b32_e64 v7, v16, v15, s[4:5]
	v_mov_b32_e32 v15, 24
	v_and_b32_e32 v14, 7, v14
	v_lshlrev_b32_sdwa v6, v15, v6 dst_sel:DWORD dst_unused:UNUSED_PAD src0_sel:DWORD src1_sel:BYTE_3
	v_bfrev_b32_e32 v15, 60
	v_cndmask_b32_e64 v14, v22, v14, s[4:5]
	v_lshl_add_u32 v7, v7, 23, v15
	v_and_or_b32 v6, v6, s11, v7
	v_lshlrev_b32_e32 v7, 20, v14
	v_or_b32_e32 v15, v6, v7
	v_mov_b32_e32 v14, v23
.LBB255_963:                            ;   in Loop: Header=BB255_811 Depth=1
	s_or_b64 exec, exec, s[28:29]
.LBB255_964:                            ;   in Loop: Header=BB255_811 Depth=1
	s_or_b64 exec, exec, s[26:27]
.LBB255_965:                            ;   in Loop: Header=BB255_811 Depth=1
	s_or_b64 exec, exec, s[24:25]
	v_or_b32_e32 v7, v11, v9
	v_or_b32_e32 v6, v10, v8
	v_pk_mul_f32 v[6:7], v[50:51], v[6:7]
	buffer_store_dword v6, off, s[0:3], s32 offset:276 ; 4-byte Folded Spill
	s_nop 0
	buffer_store_dword v7, off, s[0:3], s32 offset:280 ; 4-byte Folded Spill
	v_or_b32_e32 v7, v15, v13
	v_or_b32_e32 v6, v14, v12
	v_pk_mul_f32 v[6:7], v[50:51], v[6:7]
	buffer_store_dword v6, off, s[0:3], s32 offset:284 ; 4-byte Folded Spill
	s_nop 0
	buffer_store_dword v7, off, s[0:3], s32 offset:288 ; 4-byte Folded Spill
	s_and_saveexec_b64 s[24:25], vcc
	s_cbranch_execz .LBB255_967
; %bb.966:                              ;   in Loop: Header=BB255_811 Depth=1
	buffer_load_dword v8, off, s[0:3], s32 offset:276 ; 4-byte Folded Reload
	buffer_load_dword v9, off, s[0:3], s32 offset:280 ; 4-byte Folded Reload
	v_accvgpr_read_b32 v6, a9
	v_cmp_lt_i32_e64 s[4:5], v6, v62
	v_accvgpr_read_b32 v6, a53
	s_waitcnt vmcnt(1)
	v_cndmask_b32_e64 v8, 0, v8, s[4:5]
	v_cmp_lt_i32_e64 s[4:5], v6, v62
	s_waitcnt vmcnt(0)
	v_cndmask_b32_e64 v9, 0, v9, s[4:5]
	buffer_store_dword v8, off, s[0:3], s32 offset:276 ; 4-byte Folded Spill
	s_nop 0
	buffer_store_dword v9, off, s[0:3], s32 offset:280 ; 4-byte Folded Spill
	v_accvgpr_read_b32 v6, a51
	v_cmp_lt_i32_e64 s[4:5], v6, v62
	buffer_load_dword v6, off, s[0:3], s32 offset:284 ; 4-byte Folded Reload
	buffer_load_dword v7, off, s[0:3], s32 offset:288 ; 4-byte Folded Reload
	s_waitcnt vmcnt(1)
	v_cndmask_b32_e64 v6, 0, v6, s[4:5]
	v_cmp_lt_i32_e64 s[4:5], v42, v62
	s_waitcnt vmcnt(0)
	v_cndmask_b32_e64 v7, 0, v7, s[4:5]
	buffer_store_dword v6, off, s[0:3], s32 offset:284 ; 4-byte Folded Spill
	s_nop 0
	buffer_store_dword v7, off, s[0:3], s32 offset:288 ; 4-byte Folded Spill
.LBB255_967:                            ;   in Loop: Header=BB255_811 Depth=1
	s_or_b64 exec, exec, s[24:25]
	flat_load_dword v6, v[4:5] offset:1536
	v_pk_mov_b32 v[10:11], 0, 0
	v_pk_mov_b32 v[8:9], v[10:11], v[10:11] op_sel:[0,1]
	s_waitcnt vmcnt(0) lgkmcnt(0)
	v_cmp_ne_u16_sdwa s[4:5], v6, v23 src0_sel:BYTE_0 src1_sel:DWORD
	s_and_saveexec_b64 s[24:25], s[4:5]
	s_cbranch_execz .LBB255_973
; %bb.968:                              ;   in Loop: Header=BB255_811 Depth=1
	v_bfrev_b32_e32 v8, 1
	v_cmp_ne_u16_sdwa s[4:5], v6, s7 src0_sel:BYTE_0 src1_sel:DWORD
	v_mov_b32_e32 v9, 0
	s_and_saveexec_b64 s[26:27], s[4:5]
	s_cbranch_execz .LBB255_972
; %bb.969:                              ;   in Loop: Header=BB255_811 Depth=1
	v_and_b32_e32 v7, 0x7f, v6
	v_mov_b32_e32 v8, 0x7f800001
	v_cmp_ne_u32_e64 s[4:5], s15, v7
	v_mov_b32_e32 v9, 0
	s_and_saveexec_b64 s[28:29], s[4:5]
	s_cbranch_execz .LBB255_971
; %bb.970:                              ;   in Loop: Header=BB255_811 Depth=1
	v_and_b32_e32 v12, 7, v6
	v_ffbh_u32_e32 v8, v12
	v_min_u32_e32 v14, 32, v8
	v_subrev_u32_e32 v8, 28, v14
	v_lshlrev_b64 v[8:9], v8, v[6:7]
	v_lshrrev_b32_e32 v13, 3, v7
	v_sub_u32_e32 v9, 29, v14
	v_and_b32_e32 v8, 7, v8
	v_cmp_gt_u32_e64 s[4:5], 8, v7
	v_cndmask_b32_e64 v7, v13, v9, s[4:5]
	v_cndmask_b32_e64 v8, v12, v8, s[4:5]
	v_bfrev_b32_e32 v12, 60
	v_lshlrev_b32_e32 v8, 20, v8
	v_and_b32_sdwa v9, sext(v6), s11 dst_sel:DWORD dst_unused:UNUSED_PAD src0_sel:BYTE_0 src1_sel:DWORD
	v_lshl_add_u32 v7, v7, 23, v12
	v_or3_b32 v22, v9, v7, v8
	v_pk_mov_b32 v[8:9], v[22:23], v[22:23] op_sel:[0,1]
.LBB255_971:                            ;   in Loop: Header=BB255_811 Depth=1
	s_or_b64 exec, exec, s[28:29]
.LBB255_972:                            ;   in Loop: Header=BB255_811 Depth=1
	s_or_b64 exec, exec, s[26:27]
.LBB255_973:                            ;   in Loop: Header=BB255_811 Depth=1
	s_or_b64 exec, exec, s[24:25]
	v_cmp_ne_u16_sdwa s[4:5], v6, v23 src0_sel:BYTE_1 src1_sel:DWORD
	s_and_saveexec_b64 s[24:25], s[4:5]
	s_cbranch_execz .LBB255_979
; %bb.974:                              ;   in Loop: Header=BB255_811 Depth=1
	v_cmp_ne_u16_sdwa s[4:5], v6, s7 src0_sel:BYTE_1 src1_sel:DWORD
	v_pk_mov_b32 v[10:11], s[10:11], s[10:11] op_sel:[0,1]
	s_and_saveexec_b64 s[26:27], s[4:5]
	s_cbranch_execz .LBB255_978
; %bb.975:                              ;   in Loop: Header=BB255_811 Depth=1
	v_and_b32_sdwa v7, v6, s15 dst_sel:DWORD dst_unused:UNUSED_PAD src0_sel:BYTE_1 src1_sel:DWORD
	s_mov_b32 s22, s10
	v_cmp_ne_u32_e64 s[4:5], s15, v7
	v_pk_mov_b32 v[10:11], s[22:23], s[22:23] op_sel:[0,1]
	s_and_saveexec_b64 s[28:29], s[4:5]
	s_cbranch_execz .LBB255_977
; %bb.976:                              ;   in Loop: Header=BB255_811 Depth=1
	v_mov_b32_e32 v10, 7
	v_and_b32_sdwa v22, v6, v10 dst_sel:DWORD dst_unused:UNUSED_PAD src0_sel:BYTE_1 src1_sel:DWORD
	v_ffbh_u32_e32 v10, v22
	v_min_u32_e32 v13, 32, v10
	v_subrev_u32_e32 v10, 28, v13
	v_lshlrev_b64 v[10:11], v10, v[22:23]
	v_lshrrev_b32_e32 v12, 3, v7
	v_sub_u32_e32 v11, 29, v13
	v_cmp_gt_u32_e64 s[4:5], 8, v7
	v_and_b32_e32 v10, 7, v10
	v_cndmask_b32_e64 v7, v12, v11, s[4:5]
	v_bfrev_b32_e32 v12, 60
	v_cndmask_b32_e64 v10, v22, v10, s[4:5]
	v_lshlrev_b32_e32 v11, 16, v6
	v_lshl_add_u32 v7, v7, 23, v12
	v_and_or_b32 v7, v11, s11, v7
	v_lshlrev_b32_e32 v10, 20, v10
	v_or_b32_e32 v11, v7, v10
	v_mov_b32_e32 v10, v23
.LBB255_977:                            ;   in Loop: Header=BB255_811 Depth=1
	s_or_b64 exec, exec, s[28:29]
.LBB255_978:                            ;   in Loop: Header=BB255_811 Depth=1
	s_or_b64 exec, exec, s[26:27]
.LBB255_979:                            ;   in Loop: Header=BB255_811 Depth=1
	s_or_b64 exec, exec, s[24:25]
	v_lshrrev_b32_e32 v16, 16, v6
	v_pk_mov_b32 v[14:15], 0, 0
	v_cmp_ne_u16_sdwa s[4:5], v16, v23 src0_sel:BYTE_0 src1_sel:DWORD
	v_pk_mov_b32 v[12:13], v[14:15], v[14:15] op_sel:[0,1]
	s_and_saveexec_b64 s[24:25], s[4:5]
	s_cbranch_execz .LBB255_985
; %bb.980:                              ;   in Loop: Header=BB255_811 Depth=1
	v_bfrev_b32_e32 v12, 1
	v_cmp_ne_u16_sdwa s[4:5], v16, s7 src0_sel:BYTE_0 src1_sel:DWORD
	v_mov_b32_e32 v13, 0
	s_and_saveexec_b64 s[26:27], s[4:5]
	s_cbranch_execz .LBB255_984
; %bb.981:                              ;   in Loop: Header=BB255_811 Depth=1
	v_bfe_u32 v7, v6, 16, 7
	v_mov_b32_e32 v12, 0x7f800001
	v_cmp_ne_u32_e64 s[4:5], s15, v7
	v_mov_b32_e32 v13, 0
	s_and_saveexec_b64 s[28:29], s[4:5]
	s_cbranch_execz .LBB255_983
; %bb.982:                              ;   in Loop: Header=BB255_811 Depth=1
	v_and_b32_e32 v17, 7, v16
	v_ffbh_u32_e32 v12, v17
	v_min_u32_e32 v19, 32, v12
	v_subrev_u32_e32 v12, 28, v19
	v_lshlrev_b64 v[12:13], v12, v[16:17]
	v_lshrrev_b32_e32 v18, 3, v7
	v_sub_u32_e32 v13, 29, v19
	v_and_b32_e32 v12, 7, v12
	v_cmp_gt_u32_e64 s[4:5], 8, v7
	v_cndmask_b32_e64 v7, v18, v13, s[4:5]
	v_cndmask_b32_e64 v12, v17, v12, s[4:5]
	v_and_b32_sdwa v13, sext(v16), s11 dst_sel:DWORD dst_unused:UNUSED_PAD src0_sel:BYTE_0 src1_sel:DWORD
	v_bfrev_b32_e32 v16, 60
	v_lshlrev_b32_e32 v12, 20, v12
	v_lshl_add_u32 v7, v7, 23, v16
	v_or3_b32 v22, v13, v7, v12
	v_pk_mov_b32 v[12:13], v[22:23], v[22:23] op_sel:[0,1]
.LBB255_983:                            ;   in Loop: Header=BB255_811 Depth=1
	s_or_b64 exec, exec, s[28:29]
.LBB255_984:                            ;   in Loop: Header=BB255_811 Depth=1
	s_or_b64 exec, exec, s[26:27]
.LBB255_985:                            ;   in Loop: Header=BB255_811 Depth=1
	s_or_b64 exec, exec, s[24:25]
	v_cmp_lt_u32_e64 s[4:5], s30, v6
	s_and_saveexec_b64 s[24:25], s[4:5]
	s_cbranch_execz .LBB255_991
; %bb.986:                              ;   in Loop: Header=BB255_811 Depth=1
	v_cmp_ne_u32_sdwa s[4:5], v6, s7 src0_sel:BYTE_3 src1_sel:DWORD
	v_pk_mov_b32 v[14:15], s[10:11], s[10:11] op_sel:[0,1]
	s_and_saveexec_b64 s[26:27], s[4:5]
	s_cbranch_execz .LBB255_990
; %bb.987:                              ;   in Loop: Header=BB255_811 Depth=1
	v_bfe_u32 v7, v6, 24, 7
	s_mov_b32 s22, s10
	v_cmp_ne_u32_e64 s[4:5], s15, v7
	v_pk_mov_b32 v[14:15], s[22:23], s[22:23] op_sel:[0,1]
	s_and_saveexec_b64 s[28:29], s[4:5]
	s_cbranch_execz .LBB255_989
; %bb.988:                              ;   in Loop: Header=BB255_811 Depth=1
	v_mov_b32_e32 v14, 7
	v_and_b32_sdwa v22, v6, v14 dst_sel:DWORD dst_unused:UNUSED_PAD src0_sel:BYTE_3 src1_sel:DWORD
	v_ffbh_u32_e32 v14, v22
	v_min_u32_e32 v17, 32, v14
	v_subrev_u32_e32 v14, 28, v17
	v_lshlrev_b64 v[14:15], v14, v[22:23]
	v_lshrrev_b32_e32 v16, 3, v7
	v_sub_u32_e32 v15, 29, v17
	v_cmp_gt_u32_e64 s[4:5], 8, v7
	v_cndmask_b32_e64 v7, v16, v15, s[4:5]
	v_mov_b32_e32 v15, 24
	v_and_b32_e32 v14, 7, v14
	v_lshlrev_b32_sdwa v6, v15, v6 dst_sel:DWORD dst_unused:UNUSED_PAD src0_sel:DWORD src1_sel:BYTE_3
	v_bfrev_b32_e32 v15, 60
	v_cndmask_b32_e64 v14, v22, v14, s[4:5]
	v_lshl_add_u32 v7, v7, 23, v15
	v_and_or_b32 v6, v6, s11, v7
	v_lshlrev_b32_e32 v7, 20, v14
	v_or_b32_e32 v15, v6, v7
	v_mov_b32_e32 v14, v23
.LBB255_989:                            ;   in Loop: Header=BB255_811 Depth=1
	s_or_b64 exec, exec, s[28:29]
.LBB255_990:                            ;   in Loop: Header=BB255_811 Depth=1
	s_or_b64 exec, exec, s[26:27]
.LBB255_991:                            ;   in Loop: Header=BB255_811 Depth=1
	s_or_b64 exec, exec, s[24:25]
	v_or_b32_e32 v7, v11, v9
	v_or_b32_e32 v6, v10, v8
	v_pk_mul_f32 v[6:7], v[50:51], v[6:7]
	buffer_store_dword v6, off, s[0:3], s32 offset:292 ; 4-byte Folded Spill
	s_nop 0
	buffer_store_dword v7, off, s[0:3], s32 offset:296 ; 4-byte Folded Spill
	v_or_b32_e32 v7, v15, v13
	v_or_b32_e32 v6, v14, v12
	v_pk_mul_f32 v[6:7], v[50:51], v[6:7]
	buffer_store_dword v6, off, s[0:3], s32 offset:300 ; 4-byte Folded Spill
	s_nop 0
	buffer_store_dword v7, off, s[0:3], s32 offset:304 ; 4-byte Folded Spill
	s_and_saveexec_b64 s[24:25], vcc
	s_cbranch_execz .LBB255_993
; %bb.992:                              ;   in Loop: Header=BB255_811 Depth=1
	buffer_load_dword v8, off, s[0:3], s32 offset:292 ; 4-byte Folded Reload
	buffer_load_dword v9, off, s[0:3], s32 offset:296 ; 4-byte Folded Reload
	v_accvgpr_read_b32 v6, a9
	v_cmp_lt_i32_e64 s[4:5], v6, v62
	v_accvgpr_read_b32 v6, a53
	s_waitcnt vmcnt(1)
	v_cndmask_b32_e64 v8, 0, v8, s[4:5]
	v_cmp_lt_i32_e64 s[4:5], v6, v62
	s_waitcnt vmcnt(0)
	v_cndmask_b32_e64 v9, 0, v9, s[4:5]
	buffer_store_dword v8, off, s[0:3], s32 offset:292 ; 4-byte Folded Spill
	s_nop 0
	buffer_store_dword v9, off, s[0:3], s32 offset:296 ; 4-byte Folded Spill
	v_accvgpr_read_b32 v6, a51
	v_cmp_lt_i32_e64 s[4:5], v6, v62
	buffer_load_dword v6, off, s[0:3], s32 offset:300 ; 4-byte Folded Reload
	buffer_load_dword v7, off, s[0:3], s32 offset:304 ; 4-byte Folded Reload
	s_waitcnt vmcnt(1)
	v_cndmask_b32_e64 v6, 0, v6, s[4:5]
	v_cmp_lt_i32_e64 s[4:5], v42, v62
	s_waitcnt vmcnt(0)
	v_cndmask_b32_e64 v7, 0, v7, s[4:5]
	buffer_store_dword v6, off, s[0:3], s32 offset:300 ; 4-byte Folded Spill
	s_nop 0
	buffer_store_dword v7, off, s[0:3], s32 offset:304 ; 4-byte Folded Spill
.LBB255_993:                            ;   in Loop: Header=BB255_811 Depth=1
	s_or_b64 exec, exec, s[24:25]
	flat_load_dword v6, v[4:5] offset:1792
	v_pk_mov_b32 v[10:11], 0, 0
	v_pk_mov_b32 v[8:9], v[10:11], v[10:11] op_sel:[0,1]
	s_waitcnt vmcnt(0) lgkmcnt(0)
	v_cmp_ne_u16_sdwa s[4:5], v6, v23 src0_sel:BYTE_0 src1_sel:DWORD
	s_and_saveexec_b64 s[24:25], s[4:5]
	s_cbranch_execz .LBB255_999
; %bb.994:                              ;   in Loop: Header=BB255_811 Depth=1
	v_bfrev_b32_e32 v8, 1
	v_cmp_ne_u16_sdwa s[4:5], v6, s7 src0_sel:BYTE_0 src1_sel:DWORD
	v_mov_b32_e32 v9, 0
	s_and_saveexec_b64 s[26:27], s[4:5]
	s_cbranch_execz .LBB255_998
; %bb.995:                              ;   in Loop: Header=BB255_811 Depth=1
	v_and_b32_e32 v7, 0x7f, v6
	v_mov_b32_e32 v8, 0x7f800001
	v_cmp_ne_u32_e64 s[4:5], s15, v7
	v_mov_b32_e32 v9, 0
	s_and_saveexec_b64 s[28:29], s[4:5]
	s_cbranch_execz .LBB255_997
; %bb.996:                              ;   in Loop: Header=BB255_811 Depth=1
	v_and_b32_e32 v12, 7, v6
	v_ffbh_u32_e32 v8, v12
	v_min_u32_e32 v14, 32, v8
	v_subrev_u32_e32 v8, 28, v14
	v_lshlrev_b64 v[8:9], v8, v[6:7]
	v_lshrrev_b32_e32 v13, 3, v7
	v_sub_u32_e32 v9, 29, v14
	v_and_b32_e32 v8, 7, v8
	v_cmp_gt_u32_e64 s[4:5], 8, v7
	v_cndmask_b32_e64 v7, v13, v9, s[4:5]
	v_cndmask_b32_e64 v8, v12, v8, s[4:5]
	v_bfrev_b32_e32 v12, 60
	v_lshlrev_b32_e32 v8, 20, v8
	v_and_b32_sdwa v9, sext(v6), s11 dst_sel:DWORD dst_unused:UNUSED_PAD src0_sel:BYTE_0 src1_sel:DWORD
	v_lshl_add_u32 v7, v7, 23, v12
	v_or3_b32 v22, v9, v7, v8
	v_pk_mov_b32 v[8:9], v[22:23], v[22:23] op_sel:[0,1]
.LBB255_997:                            ;   in Loop: Header=BB255_811 Depth=1
	s_or_b64 exec, exec, s[28:29]
.LBB255_998:                            ;   in Loop: Header=BB255_811 Depth=1
	s_or_b64 exec, exec, s[26:27]
.LBB255_999:                            ;   in Loop: Header=BB255_811 Depth=1
	s_or_b64 exec, exec, s[24:25]
	v_cmp_ne_u16_sdwa s[4:5], v6, v23 src0_sel:BYTE_1 src1_sel:DWORD
	s_and_saveexec_b64 s[24:25], s[4:5]
	s_cbranch_execz .LBB255_1005
; %bb.1000:                             ;   in Loop: Header=BB255_811 Depth=1
	v_cmp_ne_u16_sdwa s[4:5], v6, s7 src0_sel:BYTE_1 src1_sel:DWORD
	v_pk_mov_b32 v[10:11], s[10:11], s[10:11] op_sel:[0,1]
	s_and_saveexec_b64 s[26:27], s[4:5]
	s_cbranch_execz .LBB255_1004
; %bb.1001:                             ;   in Loop: Header=BB255_811 Depth=1
	v_and_b32_sdwa v7, v6, s15 dst_sel:DWORD dst_unused:UNUSED_PAD src0_sel:BYTE_1 src1_sel:DWORD
	s_mov_b32 s22, s10
	v_cmp_ne_u32_e64 s[4:5], s15, v7
	v_pk_mov_b32 v[10:11], s[22:23], s[22:23] op_sel:[0,1]
	s_and_saveexec_b64 s[28:29], s[4:5]
	s_cbranch_execz .LBB255_1003
; %bb.1002:                             ;   in Loop: Header=BB255_811 Depth=1
	v_mov_b32_e32 v10, 7
	v_and_b32_sdwa v22, v6, v10 dst_sel:DWORD dst_unused:UNUSED_PAD src0_sel:BYTE_1 src1_sel:DWORD
	v_ffbh_u32_e32 v10, v22
	v_min_u32_e32 v13, 32, v10
	v_subrev_u32_e32 v10, 28, v13
	v_lshlrev_b64 v[10:11], v10, v[22:23]
	v_lshrrev_b32_e32 v12, 3, v7
	v_sub_u32_e32 v11, 29, v13
	v_cmp_gt_u32_e64 s[4:5], 8, v7
	v_and_b32_e32 v10, 7, v10
	v_cndmask_b32_e64 v7, v12, v11, s[4:5]
	v_bfrev_b32_e32 v12, 60
	v_cndmask_b32_e64 v10, v22, v10, s[4:5]
	v_lshlrev_b32_e32 v11, 16, v6
	v_lshl_add_u32 v7, v7, 23, v12
	v_and_or_b32 v7, v11, s11, v7
	v_lshlrev_b32_e32 v10, 20, v10
	v_or_b32_e32 v11, v7, v10
	v_mov_b32_e32 v10, v23
.LBB255_1003:                           ;   in Loop: Header=BB255_811 Depth=1
	s_or_b64 exec, exec, s[28:29]
.LBB255_1004:                           ;   in Loop: Header=BB255_811 Depth=1
	s_or_b64 exec, exec, s[26:27]
.LBB255_1005:                           ;   in Loop: Header=BB255_811 Depth=1
	s_or_b64 exec, exec, s[24:25]
	v_lshrrev_b32_e32 v16, 16, v6
	v_pk_mov_b32 v[12:13], 0, 0
	v_cmp_ne_u16_sdwa s[4:5], v16, v23 src0_sel:BYTE_0 src1_sel:DWORD
	v_pk_mov_b32 v[14:15], v[12:13], v[12:13] op_sel:[0,1]
	s_and_saveexec_b64 s[24:25], s[4:5]
	s_cbranch_execz .LBB255_1011
; %bb.1006:                             ;   in Loop: Header=BB255_811 Depth=1
	v_bfrev_b32_e32 v14, 1
	v_cmp_ne_u16_sdwa s[4:5], v16, s7 src0_sel:BYTE_0 src1_sel:DWORD
	v_mov_b32_e32 v15, 0
	s_and_saveexec_b64 s[26:27], s[4:5]
	s_cbranch_execz .LBB255_1010
; %bb.1007:                             ;   in Loop: Header=BB255_811 Depth=1
	v_bfe_u32 v7, v6, 16, 7
	v_mov_b32_e32 v14, 0x7f800001
	v_cmp_ne_u32_e64 s[4:5], s15, v7
	v_mov_b32_e32 v15, 0
	s_and_saveexec_b64 s[28:29], s[4:5]
	s_cbranch_execz .LBB255_1009
; %bb.1008:                             ;   in Loop: Header=BB255_811 Depth=1
	v_and_b32_e32 v17, 7, v16
	v_lshrrev_b32_e32 v18, 3, v7
	v_cmp_gt_u32_e64 s[4:5], 8, v7
	v_ffbh_u32_e32 v7, v17
	v_min_u32_e32 v7, 32, v7
	v_subrev_u32_e32 v14, 28, v7
	v_lshlrev_b64 v[14:15], v14, v[16:17]
	v_sub_u32_e32 v7, 29, v7
	v_and_b32_e32 v14, 7, v14
	v_cndmask_b32_e64 v7, v18, v7, s[4:5]
	v_cndmask_b32_e64 v14, v17, v14, s[4:5]
	v_and_b32_sdwa v15, sext(v16), s11 dst_sel:DWORD dst_unused:UNUSED_PAD src0_sel:BYTE_0 src1_sel:DWORD
	v_bfrev_b32_e32 v16, 60
	v_lshlrev_b32_e32 v14, 20, v14
	v_lshl_add_u32 v7, v7, 23, v16
	v_or3_b32 v22, v15, v7, v14
	v_pk_mov_b32 v[14:15], v[22:23], v[22:23] op_sel:[0,1]
.LBB255_1009:                           ;   in Loop: Header=BB255_811 Depth=1
	s_or_b64 exec, exec, s[28:29]
.LBB255_1010:                           ;   in Loop: Header=BB255_811 Depth=1
	s_or_b64 exec, exec, s[26:27]
.LBB255_1011:                           ;   in Loop: Header=BB255_811 Depth=1
	s_or_b64 exec, exec, s[24:25]
	v_cmp_lt_u32_e64 s[4:5], s30, v6
	s_and_saveexec_b64 s[24:25], s[4:5]
	s_cbranch_execz .LBB255_1017
; %bb.1012:                             ;   in Loop: Header=BB255_811 Depth=1
	v_cmp_ne_u32_sdwa s[4:5], v6, s7 src0_sel:BYTE_3 src1_sel:DWORD
	v_pk_mov_b32 v[12:13], s[10:11], s[10:11] op_sel:[0,1]
	s_and_saveexec_b64 s[26:27], s[4:5]
	s_cbranch_execz .LBB255_1016
; %bb.1013:                             ;   in Loop: Header=BB255_811 Depth=1
	v_bfe_u32 v7, v6, 24, 7
	s_mov_b32 s22, s10
	v_cmp_ne_u32_e64 s[4:5], s15, v7
	v_pk_mov_b32 v[12:13], s[22:23], s[22:23] op_sel:[0,1]
	s_and_saveexec_b64 s[28:29], s[4:5]
	s_cbranch_execz .LBB255_1015
; %bb.1014:                             ;   in Loop: Header=BB255_811 Depth=1
	v_mov_b32_e32 v12, 7
	v_and_b32_sdwa v22, v6, v12 dst_sel:DWORD dst_unused:UNUSED_PAD src0_sel:BYTE_3 src1_sel:DWORD
	v_ffbh_u32_e32 v12, v22
	v_min_u32_e32 v17, 32, v12
	v_subrev_u32_e32 v12, 28, v17
	v_lshlrev_b64 v[12:13], v12, v[22:23]
	v_lshrrev_b32_e32 v16, 3, v7
	v_sub_u32_e32 v13, 29, v17
	v_cmp_gt_u32_e64 s[4:5], 8, v7
	v_cndmask_b32_e64 v7, v16, v13, s[4:5]
	v_mov_b32_e32 v13, 24
	v_and_b32_e32 v12, 7, v12
	v_lshlrev_b32_sdwa v6, v13, v6 dst_sel:DWORD dst_unused:UNUSED_PAD src0_sel:DWORD src1_sel:BYTE_3
	v_bfrev_b32_e32 v13, 60
	v_cndmask_b32_e64 v12, v22, v12, s[4:5]
	v_lshl_add_u32 v7, v7, 23, v13
	v_and_or_b32 v6, v6, s11, v7
	v_lshlrev_b32_e32 v7, 20, v12
	v_or_b32_e32 v13, v6, v7
	v_mov_b32_e32 v12, v23
.LBB255_1015:                           ;   in Loop: Header=BB255_811 Depth=1
	s_or_b64 exec, exec, s[28:29]
.LBB255_1016:                           ;   in Loop: Header=BB255_811 Depth=1
	s_or_b64 exec, exec, s[26:27]
.LBB255_1017:                           ;   in Loop: Header=BB255_811 Depth=1
	s_or_b64 exec, exec, s[24:25]
	v_or_b32_e32 v7, v11, v9
	v_or_b32_e32 v6, v10, v8
	v_pk_mul_f32 v[6:7], v[50:51], v[6:7]
	buffer_store_dword v6, off, s[0:3], s32 offset:308 ; 4-byte Folded Spill
	s_nop 0
	buffer_store_dword v7, off, s[0:3], s32 offset:312 ; 4-byte Folded Spill
	v_or_b32_e32 v7, v13, v15
	v_or_b32_e32 v6, v12, v14
	v_pk_mul_f32 v[6:7], v[50:51], v[6:7]
	buffer_store_dword v6, off, s[0:3], s32 offset:316 ; 4-byte Folded Spill
	s_nop 0
	buffer_store_dword v7, off, s[0:3], s32 offset:320 ; 4-byte Folded Spill
	s_and_saveexec_b64 s[24:25], vcc
	s_cbranch_execz .LBB255_1019
; %bb.1018:                             ;   in Loop: Header=BB255_811 Depth=1
	buffer_load_dword v8, off, s[0:3], s32 offset:308 ; 4-byte Folded Reload
	buffer_load_dword v9, off, s[0:3], s32 offset:312 ; 4-byte Folded Reload
	v_accvgpr_read_b32 v6, a9
	v_cmp_lt_i32_e64 s[4:5], v6, v62
	v_accvgpr_read_b32 v6, a53
	s_waitcnt vmcnt(1)
	v_cndmask_b32_e64 v8, 0, v8, s[4:5]
	v_cmp_lt_i32_e64 s[4:5], v6, v62
	s_waitcnt vmcnt(0)
	v_cndmask_b32_e64 v9, 0, v9, s[4:5]
	buffer_store_dword v8, off, s[0:3], s32 offset:308 ; 4-byte Folded Spill
	s_nop 0
	buffer_store_dword v9, off, s[0:3], s32 offset:312 ; 4-byte Folded Spill
	v_accvgpr_read_b32 v6, a51
	v_cmp_lt_i32_e64 s[4:5], v6, v62
	buffer_load_dword v6, off, s[0:3], s32 offset:316 ; 4-byte Folded Reload
	buffer_load_dword v7, off, s[0:3], s32 offset:320 ; 4-byte Folded Reload
	s_waitcnt vmcnt(1)
	v_cndmask_b32_e64 v6, 0, v6, s[4:5]
	v_cmp_lt_i32_e64 s[4:5], v42, v62
	s_waitcnt vmcnt(0)
	v_cndmask_b32_e64 v7, 0, v7, s[4:5]
	buffer_store_dword v6, off, s[0:3], s32 offset:316 ; 4-byte Folded Spill
	s_nop 0
	buffer_store_dword v7, off, s[0:3], s32 offset:320 ; 4-byte Folded Spill
.LBB255_1019:                           ;   in Loop: Header=BB255_811 Depth=1
	s_or_b64 exec, exec, s[24:25]
	flat_load_dword v6, v[4:5] offset:2048
	v_pk_mov_b32 v[10:11], 0, 0
	v_pk_mov_b32 v[8:9], v[10:11], v[10:11] op_sel:[0,1]
	s_waitcnt vmcnt(0) lgkmcnt(0)
	v_cmp_ne_u16_sdwa s[4:5], v6, v23 src0_sel:BYTE_0 src1_sel:DWORD
	s_and_saveexec_b64 s[24:25], s[4:5]
	s_cbranch_execz .LBB255_1025
; %bb.1020:                             ;   in Loop: Header=BB255_811 Depth=1
	v_bfrev_b32_e32 v8, 1
	v_cmp_ne_u16_sdwa s[4:5], v6, s7 src0_sel:BYTE_0 src1_sel:DWORD
	v_mov_b32_e32 v9, 0
	s_and_saveexec_b64 s[26:27], s[4:5]
	s_cbranch_execz .LBB255_1024
; %bb.1021:                             ;   in Loop: Header=BB255_811 Depth=1
	v_and_b32_e32 v7, 0x7f, v6
	v_mov_b32_e32 v8, 0x7f800001
	v_cmp_ne_u32_e64 s[4:5], s15, v7
	v_mov_b32_e32 v9, 0
	s_and_saveexec_b64 s[28:29], s[4:5]
	s_cbranch_execz .LBB255_1023
; %bb.1022:                             ;   in Loop: Header=BB255_811 Depth=1
	v_and_b32_e32 v12, 7, v6
	v_ffbh_u32_e32 v8, v12
	v_min_u32_e32 v14, 32, v8
	v_subrev_u32_e32 v8, 28, v14
	v_lshlrev_b64 v[8:9], v8, v[6:7]
	v_lshrrev_b32_e32 v13, 3, v7
	v_sub_u32_e32 v9, 29, v14
	v_and_b32_e32 v8, 7, v8
	v_cmp_gt_u32_e64 s[4:5], 8, v7
	v_cndmask_b32_e64 v7, v13, v9, s[4:5]
	v_cndmask_b32_e64 v8, v12, v8, s[4:5]
	v_bfrev_b32_e32 v12, 60
	v_lshlrev_b32_e32 v8, 20, v8
	v_and_b32_sdwa v9, sext(v6), s11 dst_sel:DWORD dst_unused:UNUSED_PAD src0_sel:BYTE_0 src1_sel:DWORD
	v_lshl_add_u32 v7, v7, 23, v12
	v_or3_b32 v22, v9, v7, v8
	v_pk_mov_b32 v[8:9], v[22:23], v[22:23] op_sel:[0,1]
.LBB255_1023:                           ;   in Loop: Header=BB255_811 Depth=1
	s_or_b64 exec, exec, s[28:29]
.LBB255_1024:                           ;   in Loop: Header=BB255_811 Depth=1
	s_or_b64 exec, exec, s[26:27]
.LBB255_1025:                           ;   in Loop: Header=BB255_811 Depth=1
	s_or_b64 exec, exec, s[24:25]
	v_cmp_ne_u16_sdwa s[4:5], v6, v23 src0_sel:BYTE_1 src1_sel:DWORD
	s_and_saveexec_b64 s[24:25], s[4:5]
	s_cbranch_execz .LBB255_1031
; %bb.1026:                             ;   in Loop: Header=BB255_811 Depth=1
	v_cmp_ne_u16_sdwa s[4:5], v6, s7 src0_sel:BYTE_1 src1_sel:DWORD
	v_pk_mov_b32 v[10:11], s[10:11], s[10:11] op_sel:[0,1]
	s_and_saveexec_b64 s[26:27], s[4:5]
	s_cbranch_execz .LBB255_1030
; %bb.1027:                             ;   in Loop: Header=BB255_811 Depth=1
	v_and_b32_sdwa v7, v6, s15 dst_sel:DWORD dst_unused:UNUSED_PAD src0_sel:BYTE_1 src1_sel:DWORD
	s_mov_b32 s22, s10
	v_cmp_ne_u32_e64 s[4:5], s15, v7
	v_pk_mov_b32 v[10:11], s[22:23], s[22:23] op_sel:[0,1]
	s_and_saveexec_b64 s[28:29], s[4:5]
	s_cbranch_execz .LBB255_1029
; %bb.1028:                             ;   in Loop: Header=BB255_811 Depth=1
	v_mov_b32_e32 v10, 7
	v_and_b32_sdwa v22, v6, v10 dst_sel:DWORD dst_unused:UNUSED_PAD src0_sel:BYTE_1 src1_sel:DWORD
	v_ffbh_u32_e32 v10, v22
	v_min_u32_e32 v13, 32, v10
	v_subrev_u32_e32 v10, 28, v13
	v_lshlrev_b64 v[10:11], v10, v[22:23]
	v_lshrrev_b32_e32 v12, 3, v7
	v_sub_u32_e32 v11, 29, v13
	v_cmp_gt_u32_e64 s[4:5], 8, v7
	v_and_b32_e32 v10, 7, v10
	v_cndmask_b32_e64 v7, v12, v11, s[4:5]
	v_bfrev_b32_e32 v12, 60
	v_cndmask_b32_e64 v10, v22, v10, s[4:5]
	v_lshlrev_b32_e32 v11, 16, v6
	v_lshl_add_u32 v7, v7, 23, v12
	v_and_or_b32 v7, v11, s11, v7
	v_lshlrev_b32_e32 v10, 20, v10
	v_or_b32_e32 v11, v7, v10
	v_mov_b32_e32 v10, v23
.LBB255_1029:                           ;   in Loop: Header=BB255_811 Depth=1
	s_or_b64 exec, exec, s[28:29]
.LBB255_1030:                           ;   in Loop: Header=BB255_811 Depth=1
	s_or_b64 exec, exec, s[26:27]
.LBB255_1031:                           ;   in Loop: Header=BB255_811 Depth=1
	s_or_b64 exec, exec, s[24:25]
	v_lshrrev_b32_e32 v16, 16, v6
	v_pk_mov_b32 v[14:15], 0, 0
	v_cmp_ne_u16_sdwa s[4:5], v16, v23 src0_sel:BYTE_0 src1_sel:DWORD
	v_pk_mov_b32 v[12:13], v[14:15], v[14:15] op_sel:[0,1]
	s_and_saveexec_b64 s[24:25], s[4:5]
	s_cbranch_execz .LBB255_1037
; %bb.1032:                             ;   in Loop: Header=BB255_811 Depth=1
	v_bfrev_b32_e32 v12, 1
	v_cmp_ne_u16_sdwa s[4:5], v16, s7 src0_sel:BYTE_0 src1_sel:DWORD
	v_mov_b32_e32 v13, 0
	s_and_saveexec_b64 s[26:27], s[4:5]
	s_cbranch_execz .LBB255_1036
; %bb.1033:                             ;   in Loop: Header=BB255_811 Depth=1
	v_bfe_u32 v7, v6, 16, 7
	v_mov_b32_e32 v12, 0x7f800001
	v_cmp_ne_u32_e64 s[4:5], s15, v7
	v_mov_b32_e32 v13, 0
	s_and_saveexec_b64 s[28:29], s[4:5]
	s_cbranch_execz .LBB255_1035
; %bb.1034:                             ;   in Loop: Header=BB255_811 Depth=1
	v_and_b32_e32 v17, 7, v16
	v_lshrrev_b32_e32 v18, 3, v7
	v_cmp_gt_u32_e64 s[4:5], 8, v7
	v_ffbh_u32_e32 v7, v17
	v_min_u32_e32 v7, 32, v7
	v_subrev_u32_e32 v12, 28, v7
	v_lshlrev_b64 v[12:13], v12, v[16:17]
	v_sub_u32_e32 v7, 29, v7
	v_and_b32_e32 v12, 7, v12
	v_cndmask_b32_e64 v7, v18, v7, s[4:5]
	v_cndmask_b32_e64 v12, v17, v12, s[4:5]
	v_and_b32_sdwa v13, sext(v16), s11 dst_sel:DWORD dst_unused:UNUSED_PAD src0_sel:BYTE_0 src1_sel:DWORD
	v_bfrev_b32_e32 v16, 60
	v_lshlrev_b32_e32 v12, 20, v12
	v_lshl_add_u32 v7, v7, 23, v16
	v_or3_b32 v22, v13, v7, v12
	v_pk_mov_b32 v[12:13], v[22:23], v[22:23] op_sel:[0,1]
.LBB255_1035:                           ;   in Loop: Header=BB255_811 Depth=1
	s_or_b64 exec, exec, s[28:29]
.LBB255_1036:                           ;   in Loop: Header=BB255_811 Depth=1
	s_or_b64 exec, exec, s[26:27]
.LBB255_1037:                           ;   in Loop: Header=BB255_811 Depth=1
	s_or_b64 exec, exec, s[24:25]
	v_cmp_lt_u32_e64 s[4:5], s30, v6
	s_and_saveexec_b64 s[24:25], s[4:5]
	s_cbranch_execz .LBB255_1043
; %bb.1038:                             ;   in Loop: Header=BB255_811 Depth=1
	v_cmp_ne_u32_sdwa s[4:5], v6, s7 src0_sel:BYTE_3 src1_sel:DWORD
	v_pk_mov_b32 v[14:15], s[10:11], s[10:11] op_sel:[0,1]
	s_and_saveexec_b64 s[26:27], s[4:5]
	s_cbranch_execz .LBB255_1042
; %bb.1039:                             ;   in Loop: Header=BB255_811 Depth=1
	v_bfe_u32 v7, v6, 24, 7
	s_mov_b32 s22, s10
	v_cmp_ne_u32_e64 s[4:5], s15, v7
	v_pk_mov_b32 v[14:15], s[22:23], s[22:23] op_sel:[0,1]
	s_and_saveexec_b64 s[28:29], s[4:5]
	s_cbranch_execz .LBB255_1041
; %bb.1040:                             ;   in Loop: Header=BB255_811 Depth=1
	v_mov_b32_e32 v14, 7
	v_and_b32_sdwa v22, v6, v14 dst_sel:DWORD dst_unused:UNUSED_PAD src0_sel:BYTE_3 src1_sel:DWORD
	v_lshrrev_b32_e32 v16, 3, v7
	v_cmp_gt_u32_e64 s[4:5], 8, v7
	v_ffbh_u32_e32 v7, v22
	v_min_u32_e32 v7, 32, v7
	v_subrev_u32_e32 v14, 28, v7
	v_lshlrev_b64 v[14:15], v14, v[22:23]
	v_sub_u32_e32 v7, 29, v7
	v_mov_b32_e32 v15, 24
	v_and_b32_e32 v14, 7, v14
	v_cndmask_b32_e64 v7, v16, v7, s[4:5]
	v_lshlrev_b32_sdwa v6, v15, v6 dst_sel:DWORD dst_unused:UNUSED_PAD src0_sel:DWORD src1_sel:BYTE_3
	v_bfrev_b32_e32 v15, 60
	v_cndmask_b32_e64 v14, v22, v14, s[4:5]
	v_lshl_add_u32 v7, v7, 23, v15
	v_and_or_b32 v6, v6, s11, v7
	v_lshlrev_b32_e32 v7, 20, v14
	v_or_b32_e32 v15, v6, v7
	v_mov_b32_e32 v14, v23
.LBB255_1041:                           ;   in Loop: Header=BB255_811 Depth=1
	s_or_b64 exec, exec, s[28:29]
.LBB255_1042:                           ;   in Loop: Header=BB255_811 Depth=1
	s_or_b64 exec, exec, s[26:27]
.LBB255_1043:                           ;   in Loop: Header=BB255_811 Depth=1
	s_or_b64 exec, exec, s[24:25]
	v_or_b32_e32 v7, v11, v9
	v_or_b32_e32 v6, v10, v8
	v_pk_mul_f32 v[6:7], v[50:51], v[6:7]
	v_accvgpr_write_b32 a6, v6
	v_accvgpr_write_b32 a7, v7
	v_or_b32_e32 v7, v15, v13
	v_or_b32_e32 v6, v14, v12
	v_pk_mul_f32 v[6:7], v[50:51], v[6:7]
	v_accvgpr_write_b32 a47, v7
	v_accvgpr_write_b32 a46, v6
	s_and_saveexec_b64 s[24:25], vcc
	s_cbranch_execz .LBB255_1045
; %bb.1044:                             ;   in Loop: Header=BB255_811 Depth=1
	v_accvgpr_read_b32 v6, a9
	v_accvgpr_read_b32 v9, a7
	v_cmp_lt_i32_e64 s[4:5], v6, v62
	v_accvgpr_read_b32 v8, a6
	v_accvgpr_read_b32 v6, a53
	v_cndmask_b32_e64 v8, 0, v8, s[4:5]
	v_cmp_lt_i32_e64 s[4:5], v6, v62
	v_accvgpr_read_b32 v6, a51
	v_cndmask_b32_e64 v9, 0, v9, s[4:5]
	v_cmp_lt_i32_e64 s[4:5], v6, v62
	v_accvgpr_read_b32 v6, a46
	v_accvgpr_read_b32 v7, a47
	v_cndmask_b32_e64 v6, 0, v6, s[4:5]
	v_cmp_lt_i32_e64 s[4:5], v42, v62
	v_cndmask_b32_e64 v7, 0, v7, s[4:5]
	v_accvgpr_write_b32 a6, v8
	v_accvgpr_write_b32 a47, v7
	;; [unrolled: 1-line block ×4, first 2 shown]
.LBB255_1045:                           ;   in Loop: Header=BB255_811 Depth=1
	s_or_b64 exec, exec, s[24:25]
	flat_load_dword v6, v[4:5] offset:2304
	v_pk_mov_b32 v[10:11], 0, 0
	v_pk_mov_b32 v[8:9], v[10:11], v[10:11] op_sel:[0,1]
	s_waitcnt vmcnt(0) lgkmcnt(0)
	v_cmp_ne_u16_sdwa s[4:5], v6, v23 src0_sel:BYTE_0 src1_sel:DWORD
	s_and_saveexec_b64 s[24:25], s[4:5]
	s_cbranch_execz .LBB255_1051
; %bb.1046:                             ;   in Loop: Header=BB255_811 Depth=1
	v_bfrev_b32_e32 v8, 1
	v_cmp_ne_u16_sdwa s[4:5], v6, s7 src0_sel:BYTE_0 src1_sel:DWORD
	v_mov_b32_e32 v9, 0
	s_and_saveexec_b64 s[26:27], s[4:5]
	s_cbranch_execz .LBB255_1050
; %bb.1047:                             ;   in Loop: Header=BB255_811 Depth=1
	v_and_b32_e32 v7, 0x7f, v6
	v_mov_b32_e32 v8, 0x7f800001
	v_cmp_ne_u32_e64 s[4:5], s15, v7
	v_mov_b32_e32 v9, 0
	s_and_saveexec_b64 s[28:29], s[4:5]
	s_cbranch_execz .LBB255_1049
; %bb.1048:                             ;   in Loop: Header=BB255_811 Depth=1
	v_and_b32_e32 v12, 7, v6
	v_lshrrev_b32_e32 v13, 3, v7
	v_cmp_gt_u32_e64 s[4:5], 8, v7
	v_ffbh_u32_e32 v7, v12
	v_min_u32_e32 v7, 32, v7
	v_subrev_u32_e32 v8, 28, v7
	v_lshlrev_b64 v[8:9], v8, v[6:7]
	v_sub_u32_e32 v7, 29, v7
	v_and_b32_e32 v8, 7, v8
	v_cndmask_b32_e64 v7, v13, v7, s[4:5]
	v_cndmask_b32_e64 v8, v12, v8, s[4:5]
	v_bfrev_b32_e32 v12, 60
	v_lshlrev_b32_e32 v8, 20, v8
	v_and_b32_sdwa v9, sext(v6), s11 dst_sel:DWORD dst_unused:UNUSED_PAD src0_sel:BYTE_0 src1_sel:DWORD
	v_lshl_add_u32 v7, v7, 23, v12
	v_or3_b32 v22, v9, v7, v8
	v_pk_mov_b32 v[8:9], v[22:23], v[22:23] op_sel:[0,1]
.LBB255_1049:                           ;   in Loop: Header=BB255_811 Depth=1
	s_or_b64 exec, exec, s[28:29]
.LBB255_1050:                           ;   in Loop: Header=BB255_811 Depth=1
	s_or_b64 exec, exec, s[26:27]
.LBB255_1051:                           ;   in Loop: Header=BB255_811 Depth=1
	s_or_b64 exec, exec, s[24:25]
	v_cmp_ne_u16_sdwa s[4:5], v6, v23 src0_sel:BYTE_1 src1_sel:DWORD
	s_and_saveexec_b64 s[24:25], s[4:5]
	s_cbranch_execz .LBB255_1057
; %bb.1052:                             ;   in Loop: Header=BB255_811 Depth=1
	v_cmp_ne_u16_sdwa s[4:5], v6, s7 src0_sel:BYTE_1 src1_sel:DWORD
	v_pk_mov_b32 v[10:11], s[10:11], s[10:11] op_sel:[0,1]
	s_and_saveexec_b64 s[26:27], s[4:5]
	s_cbranch_execz .LBB255_1056
; %bb.1053:                             ;   in Loop: Header=BB255_811 Depth=1
	v_and_b32_sdwa v7, v6, s15 dst_sel:DWORD dst_unused:UNUSED_PAD src0_sel:BYTE_1 src1_sel:DWORD
	s_mov_b32 s22, s10
	v_cmp_ne_u32_e64 s[4:5], s15, v7
	v_pk_mov_b32 v[10:11], s[22:23], s[22:23] op_sel:[0,1]
	s_and_saveexec_b64 s[28:29], s[4:5]
	s_cbranch_execz .LBB255_1055
; %bb.1054:                             ;   in Loop: Header=BB255_811 Depth=1
	v_mov_b32_e32 v10, 7
	v_and_b32_sdwa v22, v6, v10 dst_sel:DWORD dst_unused:UNUSED_PAD src0_sel:BYTE_1 src1_sel:DWORD
	v_lshrrev_b32_e32 v12, 3, v7
	v_cmp_gt_u32_e64 s[4:5], 8, v7
	v_ffbh_u32_e32 v7, v22
	v_min_u32_e32 v7, 32, v7
	v_subrev_u32_e32 v10, 28, v7
	v_lshlrev_b64 v[10:11], v10, v[22:23]
	v_sub_u32_e32 v7, 29, v7
	v_and_b32_e32 v10, 7, v10
	v_cndmask_b32_e64 v7, v12, v7, s[4:5]
	v_bfrev_b32_e32 v12, 60
	v_cndmask_b32_e64 v10, v22, v10, s[4:5]
	v_lshlrev_b32_e32 v11, 16, v6
	v_lshl_add_u32 v7, v7, 23, v12
	v_and_or_b32 v7, v11, s11, v7
	v_lshlrev_b32_e32 v10, 20, v10
	v_or_b32_e32 v11, v7, v10
	v_mov_b32_e32 v10, v23
.LBB255_1055:                           ;   in Loop: Header=BB255_811 Depth=1
	s_or_b64 exec, exec, s[28:29]
.LBB255_1056:                           ;   in Loop: Header=BB255_811 Depth=1
	s_or_b64 exec, exec, s[26:27]
.LBB255_1057:                           ;   in Loop: Header=BB255_811 Depth=1
	s_or_b64 exec, exec, s[24:25]
	v_lshrrev_b32_e32 v16, 16, v6
	v_pk_mov_b32 v[14:15], 0, 0
	v_cmp_ne_u16_sdwa s[4:5], v16, v23 src0_sel:BYTE_0 src1_sel:DWORD
	v_pk_mov_b32 v[12:13], v[14:15], v[14:15] op_sel:[0,1]
	s_and_saveexec_b64 s[24:25], s[4:5]
	s_cbranch_execz .LBB255_1063
; %bb.1058:                             ;   in Loop: Header=BB255_811 Depth=1
	v_bfrev_b32_e32 v12, 1
	v_cmp_ne_u16_sdwa s[4:5], v16, s7 src0_sel:BYTE_0 src1_sel:DWORD
	v_mov_b32_e32 v13, 0
	s_and_saveexec_b64 s[26:27], s[4:5]
	s_cbranch_execz .LBB255_1062
; %bb.1059:                             ;   in Loop: Header=BB255_811 Depth=1
	v_bfe_u32 v7, v6, 16, 7
	v_mov_b32_e32 v12, 0x7f800001
	v_cmp_ne_u32_e64 s[4:5], s15, v7
	v_mov_b32_e32 v13, 0
	s_and_saveexec_b64 s[28:29], s[4:5]
	s_cbranch_execz .LBB255_1061
; %bb.1060:                             ;   in Loop: Header=BB255_811 Depth=1
	v_and_b32_e32 v17, 7, v16
	v_lshrrev_b32_e32 v18, 3, v7
	v_cmp_gt_u32_e64 s[4:5], 8, v7
	v_ffbh_u32_e32 v7, v17
	v_min_u32_e32 v7, 32, v7
	v_subrev_u32_e32 v12, 28, v7
	v_lshlrev_b64 v[12:13], v12, v[16:17]
	v_sub_u32_e32 v7, 29, v7
	v_and_b32_e32 v12, 7, v12
	v_cndmask_b32_e64 v7, v18, v7, s[4:5]
	v_cndmask_b32_e64 v12, v17, v12, s[4:5]
	v_and_b32_sdwa v13, sext(v16), s11 dst_sel:DWORD dst_unused:UNUSED_PAD src0_sel:BYTE_0 src1_sel:DWORD
	v_bfrev_b32_e32 v16, 60
	v_lshlrev_b32_e32 v12, 20, v12
	v_lshl_add_u32 v7, v7, 23, v16
	v_or3_b32 v22, v13, v7, v12
	v_pk_mov_b32 v[12:13], v[22:23], v[22:23] op_sel:[0,1]
.LBB255_1061:                           ;   in Loop: Header=BB255_811 Depth=1
	s_or_b64 exec, exec, s[28:29]
.LBB255_1062:                           ;   in Loop: Header=BB255_811 Depth=1
	s_or_b64 exec, exec, s[26:27]
.LBB255_1063:                           ;   in Loop: Header=BB255_811 Depth=1
	s_or_b64 exec, exec, s[24:25]
	v_cmp_lt_u32_e64 s[4:5], s30, v6
	s_and_saveexec_b64 s[24:25], s[4:5]
	s_cbranch_execz .LBB255_1069
; %bb.1064:                             ;   in Loop: Header=BB255_811 Depth=1
	v_cmp_ne_u32_sdwa s[4:5], v6, s7 src0_sel:BYTE_3 src1_sel:DWORD
	v_pk_mov_b32 v[14:15], s[10:11], s[10:11] op_sel:[0,1]
	s_and_saveexec_b64 s[26:27], s[4:5]
	s_cbranch_execz .LBB255_1068
; %bb.1065:                             ;   in Loop: Header=BB255_811 Depth=1
	v_bfe_u32 v7, v6, 24, 7
	s_mov_b32 s22, s10
	v_cmp_ne_u32_e64 s[4:5], s15, v7
	v_pk_mov_b32 v[14:15], s[22:23], s[22:23] op_sel:[0,1]
	s_and_saveexec_b64 s[28:29], s[4:5]
	s_cbranch_execz .LBB255_1067
; %bb.1066:                             ;   in Loop: Header=BB255_811 Depth=1
	v_mov_b32_e32 v14, 7
	v_and_b32_sdwa v22, v6, v14 dst_sel:DWORD dst_unused:UNUSED_PAD src0_sel:BYTE_3 src1_sel:DWORD
	v_lshrrev_b32_e32 v16, 3, v7
	v_cmp_gt_u32_e64 s[4:5], 8, v7
	v_ffbh_u32_e32 v7, v22
	v_min_u32_e32 v7, 32, v7
	v_subrev_u32_e32 v14, 28, v7
	v_lshlrev_b64 v[14:15], v14, v[22:23]
	v_sub_u32_e32 v7, 29, v7
	v_mov_b32_e32 v15, 24
	v_and_b32_e32 v14, 7, v14
	v_cndmask_b32_e64 v7, v16, v7, s[4:5]
	v_lshlrev_b32_sdwa v6, v15, v6 dst_sel:DWORD dst_unused:UNUSED_PAD src0_sel:DWORD src1_sel:BYTE_3
	v_bfrev_b32_e32 v15, 60
	v_cndmask_b32_e64 v14, v22, v14, s[4:5]
	v_lshl_add_u32 v7, v7, 23, v15
	v_and_or_b32 v6, v6, s11, v7
	v_lshlrev_b32_e32 v7, 20, v14
	v_or_b32_e32 v15, v6, v7
	v_mov_b32_e32 v14, v23
.LBB255_1067:                           ;   in Loop: Header=BB255_811 Depth=1
	s_or_b64 exec, exec, s[28:29]
.LBB255_1068:                           ;   in Loop: Header=BB255_811 Depth=1
	s_or_b64 exec, exec, s[26:27]
.LBB255_1069:                           ;   in Loop: Header=BB255_811 Depth=1
	s_or_b64 exec, exec, s[24:25]
	v_or_b32_e32 v7, v11, v9
	v_or_b32_e32 v6, v10, v8
	v_pk_mul_f32 v[6:7], v[50:51], v[6:7]
	v_accvgpr_write_b32 a55, v7
	v_accvgpr_write_b32 a54, v6
	v_or_b32_e32 v7, v15, v13
	v_or_b32_e32 v6, v14, v12
	v_pk_mul_f32 v[6:7], v[50:51], v[6:7]
	v_accvgpr_write_b32 a59, v7
	v_accvgpr_write_b32 a58, v6
	s_and_saveexec_b64 s[24:25], vcc
	s_cbranch_execz .LBB255_1071
; %bb.1070:                             ;   in Loop: Header=BB255_811 Depth=1
	v_accvgpr_read_b32 v6, a9
	v_cmp_lt_i32_e64 s[4:5], v6, v62
	v_accvgpr_read_b32 v8, a54
	v_accvgpr_read_b32 v6, a53
	;; [unrolled: 1-line block ×3, first 2 shown]
	v_cndmask_b32_e64 v8, 0, v8, s[4:5]
	v_cmp_lt_i32_e64 s[4:5], v6, v62
	v_accvgpr_read_b32 v6, a51
	v_cndmask_b32_e64 v9, 0, v9, s[4:5]
	v_cmp_lt_i32_e64 s[4:5], v6, v62
	v_accvgpr_read_b32 v6, a58
	v_accvgpr_read_b32 v7, a59
	v_cndmask_b32_e64 v6, 0, v6, s[4:5]
	v_cmp_lt_i32_e64 s[4:5], v42, v62
	v_cndmask_b32_e64 v7, 0, v7, s[4:5]
	v_accvgpr_write_b32 a55, v9
	v_accvgpr_write_b32 a59, v7
	;; [unrolled: 1-line block ×4, first 2 shown]
.LBB255_1071:                           ;   in Loop: Header=BB255_811 Depth=1
	s_or_b64 exec, exec, s[24:25]
	flat_load_dword v6, v[4:5] offset:2560
	v_pk_mov_b32 v[10:11], 0, 0
	v_pk_mov_b32 v[8:9], v[10:11], v[10:11] op_sel:[0,1]
	s_waitcnt vmcnt(0) lgkmcnt(0)
	v_cmp_ne_u16_sdwa s[4:5], v6, v23 src0_sel:BYTE_0 src1_sel:DWORD
	s_and_saveexec_b64 s[24:25], s[4:5]
	s_cbranch_execz .LBB255_1077
; %bb.1072:                             ;   in Loop: Header=BB255_811 Depth=1
	v_bfrev_b32_e32 v8, 1
	v_cmp_ne_u16_sdwa s[4:5], v6, s7 src0_sel:BYTE_0 src1_sel:DWORD
	v_mov_b32_e32 v9, 0
	s_and_saveexec_b64 s[26:27], s[4:5]
	s_cbranch_execz .LBB255_1076
; %bb.1073:                             ;   in Loop: Header=BB255_811 Depth=1
	v_and_b32_e32 v7, 0x7f, v6
	v_mov_b32_e32 v8, 0x7f800001
	v_cmp_ne_u32_e64 s[4:5], s15, v7
	v_mov_b32_e32 v9, 0
	s_and_saveexec_b64 s[28:29], s[4:5]
	s_cbranch_execz .LBB255_1075
; %bb.1074:                             ;   in Loop: Header=BB255_811 Depth=1
	v_and_b32_e32 v12, 7, v6
	v_lshrrev_b32_e32 v13, 3, v7
	v_cmp_gt_u32_e64 s[4:5], 8, v7
	v_ffbh_u32_e32 v7, v12
	v_min_u32_e32 v7, 32, v7
	v_subrev_u32_e32 v8, 28, v7
	v_lshlrev_b64 v[8:9], v8, v[6:7]
	v_sub_u32_e32 v7, 29, v7
	v_and_b32_e32 v8, 7, v8
	v_cndmask_b32_e64 v7, v13, v7, s[4:5]
	v_cndmask_b32_e64 v8, v12, v8, s[4:5]
	v_bfrev_b32_e32 v12, 60
	v_lshlrev_b32_e32 v8, 20, v8
	v_and_b32_sdwa v9, sext(v6), s11 dst_sel:DWORD dst_unused:UNUSED_PAD src0_sel:BYTE_0 src1_sel:DWORD
	v_lshl_add_u32 v7, v7, 23, v12
	v_or3_b32 v22, v9, v7, v8
	v_pk_mov_b32 v[8:9], v[22:23], v[22:23] op_sel:[0,1]
.LBB255_1075:                           ;   in Loop: Header=BB255_811 Depth=1
	s_or_b64 exec, exec, s[28:29]
.LBB255_1076:                           ;   in Loop: Header=BB255_811 Depth=1
	s_or_b64 exec, exec, s[26:27]
.LBB255_1077:                           ;   in Loop: Header=BB255_811 Depth=1
	s_or_b64 exec, exec, s[24:25]
	v_cmp_ne_u16_sdwa s[4:5], v6, v23 src0_sel:BYTE_1 src1_sel:DWORD
	s_and_saveexec_b64 s[24:25], s[4:5]
	s_cbranch_execz .LBB255_1083
; %bb.1078:                             ;   in Loop: Header=BB255_811 Depth=1
	v_cmp_ne_u16_sdwa s[4:5], v6, s7 src0_sel:BYTE_1 src1_sel:DWORD
	v_pk_mov_b32 v[10:11], s[10:11], s[10:11] op_sel:[0,1]
	s_and_saveexec_b64 s[26:27], s[4:5]
	s_cbranch_execz .LBB255_1082
; %bb.1079:                             ;   in Loop: Header=BB255_811 Depth=1
	v_and_b32_sdwa v7, v6, s15 dst_sel:DWORD dst_unused:UNUSED_PAD src0_sel:BYTE_1 src1_sel:DWORD
	s_mov_b32 s22, s10
	v_cmp_ne_u32_e64 s[4:5], s15, v7
	v_pk_mov_b32 v[10:11], s[22:23], s[22:23] op_sel:[0,1]
	s_and_saveexec_b64 s[28:29], s[4:5]
	s_cbranch_execz .LBB255_1081
; %bb.1080:                             ;   in Loop: Header=BB255_811 Depth=1
	v_mov_b32_e32 v10, 7
	v_and_b32_sdwa v22, v6, v10 dst_sel:DWORD dst_unused:UNUSED_PAD src0_sel:BYTE_1 src1_sel:DWORD
	v_lshrrev_b32_e32 v12, 3, v7
	v_cmp_gt_u32_e64 s[4:5], 8, v7
	v_ffbh_u32_e32 v7, v22
	v_min_u32_e32 v7, 32, v7
	v_subrev_u32_e32 v10, 28, v7
	v_lshlrev_b64 v[10:11], v10, v[22:23]
	v_sub_u32_e32 v7, 29, v7
	v_and_b32_e32 v10, 7, v10
	v_cndmask_b32_e64 v7, v12, v7, s[4:5]
	v_bfrev_b32_e32 v12, 60
	v_cndmask_b32_e64 v10, v22, v10, s[4:5]
	v_lshlrev_b32_e32 v11, 16, v6
	v_lshl_add_u32 v7, v7, 23, v12
	v_and_or_b32 v7, v11, s11, v7
	v_lshlrev_b32_e32 v10, 20, v10
	v_or_b32_e32 v11, v7, v10
	v_mov_b32_e32 v10, v23
.LBB255_1081:                           ;   in Loop: Header=BB255_811 Depth=1
	s_or_b64 exec, exec, s[28:29]
.LBB255_1082:                           ;   in Loop: Header=BB255_811 Depth=1
	s_or_b64 exec, exec, s[26:27]
.LBB255_1083:                           ;   in Loop: Header=BB255_811 Depth=1
	s_or_b64 exec, exec, s[24:25]
	v_lshrrev_b32_e32 v16, 16, v6
	v_pk_mov_b32 v[14:15], 0, 0
	v_cmp_ne_u16_sdwa s[4:5], v16, v23 src0_sel:BYTE_0 src1_sel:DWORD
	v_pk_mov_b32 v[12:13], v[14:15], v[14:15] op_sel:[0,1]
	s_and_saveexec_b64 s[24:25], s[4:5]
	s_cbranch_execz .LBB255_1089
; %bb.1084:                             ;   in Loop: Header=BB255_811 Depth=1
	v_bfrev_b32_e32 v12, 1
	v_cmp_ne_u16_sdwa s[4:5], v16, s7 src0_sel:BYTE_0 src1_sel:DWORD
	v_mov_b32_e32 v13, 0
	s_and_saveexec_b64 s[26:27], s[4:5]
	s_cbranch_execz .LBB255_1088
; %bb.1085:                             ;   in Loop: Header=BB255_811 Depth=1
	v_bfe_u32 v7, v6, 16, 7
	v_mov_b32_e32 v12, 0x7f800001
	v_cmp_ne_u32_e64 s[4:5], s15, v7
	v_mov_b32_e32 v13, 0
	s_and_saveexec_b64 s[28:29], s[4:5]
	s_cbranch_execz .LBB255_1087
; %bb.1086:                             ;   in Loop: Header=BB255_811 Depth=1
	v_and_b32_e32 v17, 7, v16
	v_lshrrev_b32_e32 v18, 3, v7
	v_cmp_gt_u32_e64 s[4:5], 8, v7
	v_ffbh_u32_e32 v7, v17
	v_min_u32_e32 v7, 32, v7
	v_subrev_u32_e32 v12, 28, v7
	v_lshlrev_b64 v[12:13], v12, v[16:17]
	v_sub_u32_e32 v7, 29, v7
	v_and_b32_e32 v12, 7, v12
	v_cndmask_b32_e64 v7, v18, v7, s[4:5]
	v_cndmask_b32_e64 v12, v17, v12, s[4:5]
	v_and_b32_sdwa v13, sext(v16), s11 dst_sel:DWORD dst_unused:UNUSED_PAD src0_sel:BYTE_0 src1_sel:DWORD
	v_bfrev_b32_e32 v16, 60
	v_lshlrev_b32_e32 v12, 20, v12
	v_lshl_add_u32 v7, v7, 23, v16
	v_or3_b32 v22, v13, v7, v12
	v_pk_mov_b32 v[12:13], v[22:23], v[22:23] op_sel:[0,1]
.LBB255_1087:                           ;   in Loop: Header=BB255_811 Depth=1
	s_or_b64 exec, exec, s[28:29]
.LBB255_1088:                           ;   in Loop: Header=BB255_811 Depth=1
	s_or_b64 exec, exec, s[26:27]
.LBB255_1089:                           ;   in Loop: Header=BB255_811 Depth=1
	s_or_b64 exec, exec, s[24:25]
	v_cmp_lt_u32_e64 s[4:5], s30, v6
	s_and_saveexec_b64 s[24:25], s[4:5]
	s_cbranch_execz .LBB255_1095
; %bb.1090:                             ;   in Loop: Header=BB255_811 Depth=1
	v_cmp_ne_u32_sdwa s[4:5], v6, s7 src0_sel:BYTE_3 src1_sel:DWORD
	v_pk_mov_b32 v[14:15], s[10:11], s[10:11] op_sel:[0,1]
	s_and_saveexec_b64 s[26:27], s[4:5]
	s_cbranch_execz .LBB255_1094
; %bb.1091:                             ;   in Loop: Header=BB255_811 Depth=1
	v_bfe_u32 v7, v6, 24, 7
	s_mov_b32 s22, s10
	v_cmp_ne_u32_e64 s[4:5], s15, v7
	v_pk_mov_b32 v[14:15], s[22:23], s[22:23] op_sel:[0,1]
	s_and_saveexec_b64 s[28:29], s[4:5]
	s_cbranch_execz .LBB255_1093
; %bb.1092:                             ;   in Loop: Header=BB255_811 Depth=1
	v_mov_b32_e32 v14, 7
	v_and_b32_sdwa v22, v6, v14 dst_sel:DWORD dst_unused:UNUSED_PAD src0_sel:BYTE_3 src1_sel:DWORD
	v_lshrrev_b32_e32 v16, 3, v7
	v_cmp_gt_u32_e64 s[4:5], 8, v7
	v_ffbh_u32_e32 v7, v22
	v_min_u32_e32 v7, 32, v7
	v_subrev_u32_e32 v14, 28, v7
	v_lshlrev_b64 v[14:15], v14, v[22:23]
	v_sub_u32_e32 v7, 29, v7
	v_mov_b32_e32 v15, 24
	v_and_b32_e32 v14, 7, v14
	v_cndmask_b32_e64 v7, v16, v7, s[4:5]
	v_lshlrev_b32_sdwa v6, v15, v6 dst_sel:DWORD dst_unused:UNUSED_PAD src0_sel:DWORD src1_sel:BYTE_3
	v_bfrev_b32_e32 v15, 60
	v_cndmask_b32_e64 v14, v22, v14, s[4:5]
	v_lshl_add_u32 v7, v7, 23, v15
	v_and_or_b32 v6, v6, s11, v7
	v_lshlrev_b32_e32 v7, 20, v14
	v_or_b32_e32 v15, v6, v7
	v_mov_b32_e32 v14, v23
.LBB255_1093:                           ;   in Loop: Header=BB255_811 Depth=1
	s_or_b64 exec, exec, s[28:29]
.LBB255_1094:                           ;   in Loop: Header=BB255_811 Depth=1
	s_or_b64 exec, exec, s[26:27]
.LBB255_1095:                           ;   in Loop: Header=BB255_811 Depth=1
	s_or_b64 exec, exec, s[24:25]
	v_or_b32_e32 v7, v11, v9
	v_or_b32_e32 v6, v10, v8
	v_pk_mul_f32 v[6:7], v[50:51], v[6:7]
	v_accvgpr_write_b32 a61, v7
	v_accvgpr_write_b32 a60, v6
	v_or_b32_e32 v7, v15, v13
	v_or_b32_e32 v6, v14, v12
	v_pk_mul_f32 v[6:7], v[50:51], v[6:7]
	v_accvgpr_write_b32 a49, v7
	v_accvgpr_write_b32 a48, v6
	s_and_saveexec_b64 s[24:25], vcc
	s_cbranch_execz .LBB255_1097
; %bb.1096:                             ;   in Loop: Header=BB255_811 Depth=1
	v_accvgpr_read_b32 v6, a9
	v_cmp_lt_i32_e64 s[4:5], v6, v62
	v_accvgpr_read_b32 v8, a60
	v_accvgpr_read_b32 v6, a53
	v_accvgpr_read_b32 v9, a61
	v_cndmask_b32_e64 v8, 0, v8, s[4:5]
	v_cmp_lt_i32_e64 s[4:5], v6, v62
	v_accvgpr_read_b32 v6, a51
	v_cndmask_b32_e64 v9, 0, v9, s[4:5]
	v_cmp_lt_i32_e64 s[4:5], v6, v62
	v_accvgpr_read_b32 v6, a48
	v_accvgpr_read_b32 v7, a49
	v_cndmask_b32_e64 v6, 0, v6, s[4:5]
	v_cmp_lt_i32_e64 s[4:5], v42, v62
	v_cndmask_b32_e64 v7, 0, v7, s[4:5]
	v_accvgpr_write_b32 a61, v9
	v_accvgpr_write_b32 a49, v7
	;; [unrolled: 1-line block ×4, first 2 shown]
.LBB255_1097:                           ;   in Loop: Header=BB255_811 Depth=1
	s_or_b64 exec, exec, s[24:25]
	flat_load_dword v6, v[4:5] offset:2816
	v_pk_mov_b32 v[10:11], 0, 0
	v_pk_mov_b32 v[8:9], v[10:11], v[10:11] op_sel:[0,1]
	s_waitcnt vmcnt(0) lgkmcnt(0)
	v_cmp_ne_u16_sdwa s[4:5], v6, v23 src0_sel:BYTE_0 src1_sel:DWORD
	s_and_saveexec_b64 s[24:25], s[4:5]
	s_cbranch_execz .LBB255_1103
; %bb.1098:                             ;   in Loop: Header=BB255_811 Depth=1
	v_bfrev_b32_e32 v8, 1
	v_cmp_ne_u16_sdwa s[4:5], v6, s7 src0_sel:BYTE_0 src1_sel:DWORD
	v_mov_b32_e32 v9, 0
	s_and_saveexec_b64 s[26:27], s[4:5]
	s_cbranch_execz .LBB255_1102
; %bb.1099:                             ;   in Loop: Header=BB255_811 Depth=1
	v_and_b32_e32 v7, 0x7f, v6
	v_mov_b32_e32 v8, 0x7f800001
	v_cmp_ne_u32_e64 s[4:5], s15, v7
	v_mov_b32_e32 v9, 0
	s_and_saveexec_b64 s[28:29], s[4:5]
	s_cbranch_execz .LBB255_1101
; %bb.1100:                             ;   in Loop: Header=BB255_811 Depth=1
	v_and_b32_e32 v12, 7, v6
	v_lshrrev_b32_e32 v13, 3, v7
	v_cmp_gt_u32_e64 s[4:5], 8, v7
	v_ffbh_u32_e32 v7, v12
	v_min_u32_e32 v7, 32, v7
	v_subrev_u32_e32 v8, 28, v7
	v_lshlrev_b64 v[8:9], v8, v[6:7]
	v_sub_u32_e32 v7, 29, v7
	v_and_b32_e32 v8, 7, v8
	v_cndmask_b32_e64 v7, v13, v7, s[4:5]
	v_cndmask_b32_e64 v8, v12, v8, s[4:5]
	v_bfrev_b32_e32 v12, 60
	v_lshlrev_b32_e32 v8, 20, v8
	v_and_b32_sdwa v9, sext(v6), s11 dst_sel:DWORD dst_unused:UNUSED_PAD src0_sel:BYTE_0 src1_sel:DWORD
	v_lshl_add_u32 v7, v7, 23, v12
	v_or3_b32 v22, v9, v7, v8
	v_pk_mov_b32 v[8:9], v[22:23], v[22:23] op_sel:[0,1]
.LBB255_1101:                           ;   in Loop: Header=BB255_811 Depth=1
	s_or_b64 exec, exec, s[28:29]
.LBB255_1102:                           ;   in Loop: Header=BB255_811 Depth=1
	s_or_b64 exec, exec, s[26:27]
.LBB255_1103:                           ;   in Loop: Header=BB255_811 Depth=1
	s_or_b64 exec, exec, s[24:25]
	v_cmp_ne_u16_sdwa s[4:5], v6, v23 src0_sel:BYTE_1 src1_sel:DWORD
	s_and_saveexec_b64 s[24:25], s[4:5]
	s_cbranch_execz .LBB255_1109
; %bb.1104:                             ;   in Loop: Header=BB255_811 Depth=1
	v_cmp_ne_u16_sdwa s[4:5], v6, s7 src0_sel:BYTE_1 src1_sel:DWORD
	v_pk_mov_b32 v[10:11], s[10:11], s[10:11] op_sel:[0,1]
	s_and_saveexec_b64 s[26:27], s[4:5]
	s_cbranch_execz .LBB255_1108
; %bb.1105:                             ;   in Loop: Header=BB255_811 Depth=1
	v_and_b32_sdwa v7, v6, s15 dst_sel:DWORD dst_unused:UNUSED_PAD src0_sel:BYTE_1 src1_sel:DWORD
	s_mov_b32 s22, s10
	v_cmp_ne_u32_e64 s[4:5], s15, v7
	v_pk_mov_b32 v[10:11], s[22:23], s[22:23] op_sel:[0,1]
	s_and_saveexec_b64 s[28:29], s[4:5]
	s_cbranch_execz .LBB255_1107
; %bb.1106:                             ;   in Loop: Header=BB255_811 Depth=1
	v_mov_b32_e32 v10, 7
	v_and_b32_sdwa v22, v6, v10 dst_sel:DWORD dst_unused:UNUSED_PAD src0_sel:BYTE_1 src1_sel:DWORD
	v_lshrrev_b32_e32 v12, 3, v7
	v_cmp_gt_u32_e64 s[4:5], 8, v7
	v_ffbh_u32_e32 v7, v22
	v_min_u32_e32 v7, 32, v7
	v_subrev_u32_e32 v10, 28, v7
	v_lshlrev_b64 v[10:11], v10, v[22:23]
	v_sub_u32_e32 v7, 29, v7
	v_and_b32_e32 v10, 7, v10
	v_cndmask_b32_e64 v7, v12, v7, s[4:5]
	v_bfrev_b32_e32 v12, 60
	v_cndmask_b32_e64 v10, v22, v10, s[4:5]
	v_lshlrev_b32_e32 v11, 16, v6
	v_lshl_add_u32 v7, v7, 23, v12
	v_and_or_b32 v7, v11, s11, v7
	v_lshlrev_b32_e32 v10, 20, v10
	v_or_b32_e32 v11, v7, v10
	v_mov_b32_e32 v10, v23
.LBB255_1107:                           ;   in Loop: Header=BB255_811 Depth=1
	s_or_b64 exec, exec, s[28:29]
.LBB255_1108:                           ;   in Loop: Header=BB255_811 Depth=1
	s_or_b64 exec, exec, s[26:27]
.LBB255_1109:                           ;   in Loop: Header=BB255_811 Depth=1
	s_or_b64 exec, exec, s[24:25]
	v_lshrrev_b32_e32 v16, 16, v6
	v_pk_mov_b32 v[14:15], 0, 0
	v_cmp_ne_u16_sdwa s[4:5], v16, v23 src0_sel:BYTE_0 src1_sel:DWORD
	v_pk_mov_b32 v[12:13], v[14:15], v[14:15] op_sel:[0,1]
	s_and_saveexec_b64 s[24:25], s[4:5]
	s_cbranch_execz .LBB255_1115
; %bb.1110:                             ;   in Loop: Header=BB255_811 Depth=1
	v_bfrev_b32_e32 v12, 1
	v_cmp_ne_u16_sdwa s[4:5], v16, s7 src0_sel:BYTE_0 src1_sel:DWORD
	v_mov_b32_e32 v13, 0
	s_and_saveexec_b64 s[26:27], s[4:5]
	s_cbranch_execz .LBB255_1114
; %bb.1111:                             ;   in Loop: Header=BB255_811 Depth=1
	v_bfe_u32 v7, v6, 16, 7
	v_mov_b32_e32 v12, 0x7f800001
	v_cmp_ne_u32_e64 s[4:5], s15, v7
	v_mov_b32_e32 v13, 0
	s_and_saveexec_b64 s[28:29], s[4:5]
	s_cbranch_execz .LBB255_1113
; %bb.1112:                             ;   in Loop: Header=BB255_811 Depth=1
	v_and_b32_e32 v17, 7, v16
	v_lshrrev_b32_e32 v18, 3, v7
	v_cmp_gt_u32_e64 s[4:5], 8, v7
	v_ffbh_u32_e32 v7, v17
	v_min_u32_e32 v7, 32, v7
	v_subrev_u32_e32 v12, 28, v7
	v_lshlrev_b64 v[12:13], v12, v[16:17]
	v_sub_u32_e32 v7, 29, v7
	v_and_b32_e32 v12, 7, v12
	v_cndmask_b32_e64 v7, v18, v7, s[4:5]
	v_cndmask_b32_e64 v12, v17, v12, s[4:5]
	v_and_b32_sdwa v13, sext(v16), s11 dst_sel:DWORD dst_unused:UNUSED_PAD src0_sel:BYTE_0 src1_sel:DWORD
	v_bfrev_b32_e32 v16, 60
	v_lshlrev_b32_e32 v12, 20, v12
	v_lshl_add_u32 v7, v7, 23, v16
	v_or3_b32 v22, v13, v7, v12
	v_pk_mov_b32 v[12:13], v[22:23], v[22:23] op_sel:[0,1]
.LBB255_1113:                           ;   in Loop: Header=BB255_811 Depth=1
	s_or_b64 exec, exec, s[28:29]
.LBB255_1114:                           ;   in Loop: Header=BB255_811 Depth=1
	s_or_b64 exec, exec, s[26:27]
.LBB255_1115:                           ;   in Loop: Header=BB255_811 Depth=1
	s_or_b64 exec, exec, s[24:25]
	v_cmp_lt_u32_e64 s[4:5], s30, v6
	s_and_saveexec_b64 s[24:25], s[4:5]
	s_cbranch_execz .LBB255_1121
; %bb.1116:                             ;   in Loop: Header=BB255_811 Depth=1
	v_cmp_ne_u32_sdwa s[4:5], v6, s7 src0_sel:BYTE_3 src1_sel:DWORD
	v_pk_mov_b32 v[14:15], s[10:11], s[10:11] op_sel:[0,1]
	s_and_saveexec_b64 s[26:27], s[4:5]
	s_cbranch_execz .LBB255_1120
; %bb.1117:                             ;   in Loop: Header=BB255_811 Depth=1
	v_bfe_u32 v7, v6, 24, 7
	s_mov_b32 s22, s10
	v_cmp_ne_u32_e64 s[4:5], s15, v7
	v_pk_mov_b32 v[14:15], s[22:23], s[22:23] op_sel:[0,1]
	s_and_saveexec_b64 s[28:29], s[4:5]
	s_cbranch_execz .LBB255_1119
; %bb.1118:                             ;   in Loop: Header=BB255_811 Depth=1
	v_mov_b32_e32 v14, 7
	v_and_b32_sdwa v22, v6, v14 dst_sel:DWORD dst_unused:UNUSED_PAD src0_sel:BYTE_3 src1_sel:DWORD
	v_lshrrev_b32_e32 v16, 3, v7
	v_cmp_gt_u32_e64 s[4:5], 8, v7
	v_ffbh_u32_e32 v7, v22
	v_min_u32_e32 v7, 32, v7
	v_subrev_u32_e32 v14, 28, v7
	v_lshlrev_b64 v[14:15], v14, v[22:23]
	v_sub_u32_e32 v7, 29, v7
	v_mov_b32_e32 v15, 24
	v_and_b32_e32 v14, 7, v14
	v_cndmask_b32_e64 v7, v16, v7, s[4:5]
	v_lshlrev_b32_sdwa v6, v15, v6 dst_sel:DWORD dst_unused:UNUSED_PAD src0_sel:DWORD src1_sel:BYTE_3
	v_bfrev_b32_e32 v15, 60
	v_cndmask_b32_e64 v14, v22, v14, s[4:5]
	v_lshl_add_u32 v7, v7, 23, v15
	v_and_or_b32 v6, v6, s11, v7
	v_lshlrev_b32_e32 v7, 20, v14
	v_or_b32_e32 v15, v6, v7
	v_mov_b32_e32 v14, v23
.LBB255_1119:                           ;   in Loop: Header=BB255_811 Depth=1
	s_or_b64 exec, exec, s[28:29]
.LBB255_1120:                           ;   in Loop: Header=BB255_811 Depth=1
	s_or_b64 exec, exec, s[26:27]
.LBB255_1121:                           ;   in Loop: Header=BB255_811 Depth=1
	s_or_b64 exec, exec, s[24:25]
	v_or_b32_e32 v7, v11, v9
	v_or_b32_e32 v6, v10, v8
	v_pk_mul_f32 v[6:7], v[50:51], v[6:7]
	v_accvgpr_write_b32 a57, v7
	v_accvgpr_write_b32 a56, v6
	v_or_b32_e32 v7, v15, v13
	v_or_b32_e32 v6, v14, v12
	v_pk_mul_f32 v[6:7], v[50:51], v[6:7]
	v_accvgpr_write_b32 a11, v7
	v_accvgpr_write_b32 a10, v6
	s_and_saveexec_b64 s[24:25], vcc
	s_cbranch_execz .LBB255_1123
; %bb.1122:                             ;   in Loop: Header=BB255_811 Depth=1
	v_accvgpr_read_b32 v6, a9
	v_cmp_lt_i32_e64 s[4:5], v6, v62
	v_accvgpr_read_b32 v8, a56
	v_accvgpr_read_b32 v6, a53
	;; [unrolled: 1-line block ×3, first 2 shown]
	v_cndmask_b32_e64 v8, 0, v8, s[4:5]
	v_cmp_lt_i32_e64 s[4:5], v6, v62
	v_accvgpr_read_b32 v6, a51
	v_cndmask_b32_e64 v9, 0, v9, s[4:5]
	v_cmp_lt_i32_e64 s[4:5], v6, v62
	v_accvgpr_read_b32 v6, a10
	v_accvgpr_read_b32 v7, a11
	v_cndmask_b32_e64 v6, 0, v6, s[4:5]
	v_cmp_lt_i32_e64 s[4:5], v42, v62
	v_cndmask_b32_e64 v7, 0, v7, s[4:5]
	v_accvgpr_write_b32 a57, v9
	v_accvgpr_write_b32 a11, v7
	;; [unrolled: 1-line block ×4, first 2 shown]
.LBB255_1123:                           ;   in Loop: Header=BB255_811 Depth=1
	s_or_b64 exec, exec, s[24:25]
	flat_load_dword v6, v[4:5] offset:3072
	v_pk_mov_b32 v[10:11], 0, 0
	v_pk_mov_b32 v[8:9], v[10:11], v[10:11] op_sel:[0,1]
	s_waitcnt vmcnt(0) lgkmcnt(0)
	v_cmp_ne_u16_sdwa s[4:5], v6, v23 src0_sel:BYTE_0 src1_sel:DWORD
	s_and_saveexec_b64 s[24:25], s[4:5]
	s_cbranch_execz .LBB255_1129
; %bb.1124:                             ;   in Loop: Header=BB255_811 Depth=1
	v_bfrev_b32_e32 v8, 1
	v_cmp_ne_u16_sdwa s[4:5], v6, s7 src0_sel:BYTE_0 src1_sel:DWORD
	v_mov_b32_e32 v9, 0
	s_and_saveexec_b64 s[26:27], s[4:5]
	s_cbranch_execz .LBB255_1128
; %bb.1125:                             ;   in Loop: Header=BB255_811 Depth=1
	v_and_b32_e32 v7, 0x7f, v6
	v_mov_b32_e32 v8, 0x7f800001
	v_cmp_ne_u32_e64 s[4:5], s15, v7
	v_mov_b32_e32 v9, 0
	s_and_saveexec_b64 s[28:29], s[4:5]
	s_cbranch_execz .LBB255_1127
; %bb.1126:                             ;   in Loop: Header=BB255_811 Depth=1
	v_and_b32_e32 v12, 7, v6
	v_lshrrev_b32_e32 v13, 3, v7
	v_cmp_gt_u32_e64 s[4:5], 8, v7
	v_ffbh_u32_e32 v7, v12
	v_min_u32_e32 v7, 32, v7
	v_subrev_u32_e32 v8, 28, v7
	v_lshlrev_b64 v[8:9], v8, v[6:7]
	v_sub_u32_e32 v7, 29, v7
	v_and_b32_e32 v8, 7, v8
	v_cndmask_b32_e64 v7, v13, v7, s[4:5]
	v_cndmask_b32_e64 v8, v12, v8, s[4:5]
	v_bfrev_b32_e32 v12, 60
	v_lshlrev_b32_e32 v8, 20, v8
	v_and_b32_sdwa v9, sext(v6), s11 dst_sel:DWORD dst_unused:UNUSED_PAD src0_sel:BYTE_0 src1_sel:DWORD
	v_lshl_add_u32 v7, v7, 23, v12
	v_or3_b32 v22, v9, v7, v8
	v_pk_mov_b32 v[8:9], v[22:23], v[22:23] op_sel:[0,1]
.LBB255_1127:                           ;   in Loop: Header=BB255_811 Depth=1
	s_or_b64 exec, exec, s[28:29]
.LBB255_1128:                           ;   in Loop: Header=BB255_811 Depth=1
	s_or_b64 exec, exec, s[26:27]
.LBB255_1129:                           ;   in Loop: Header=BB255_811 Depth=1
	s_or_b64 exec, exec, s[24:25]
	v_cmp_ne_u16_sdwa s[4:5], v6, v23 src0_sel:BYTE_1 src1_sel:DWORD
	s_and_saveexec_b64 s[24:25], s[4:5]
	s_cbranch_execz .LBB255_1135
; %bb.1130:                             ;   in Loop: Header=BB255_811 Depth=1
	v_cmp_ne_u16_sdwa s[4:5], v6, s7 src0_sel:BYTE_1 src1_sel:DWORD
	v_pk_mov_b32 v[10:11], s[10:11], s[10:11] op_sel:[0,1]
	s_and_saveexec_b64 s[26:27], s[4:5]
	s_cbranch_execz .LBB255_1134
; %bb.1131:                             ;   in Loop: Header=BB255_811 Depth=1
	v_and_b32_sdwa v7, v6, s15 dst_sel:DWORD dst_unused:UNUSED_PAD src0_sel:BYTE_1 src1_sel:DWORD
	s_mov_b32 s22, s10
	v_cmp_ne_u32_e64 s[4:5], s15, v7
	v_pk_mov_b32 v[10:11], s[22:23], s[22:23] op_sel:[0,1]
	s_and_saveexec_b64 s[28:29], s[4:5]
	s_cbranch_execz .LBB255_1133
; %bb.1132:                             ;   in Loop: Header=BB255_811 Depth=1
	v_mov_b32_e32 v10, 7
	v_and_b32_sdwa v22, v6, v10 dst_sel:DWORD dst_unused:UNUSED_PAD src0_sel:BYTE_1 src1_sel:DWORD
	v_lshrrev_b32_e32 v12, 3, v7
	v_cmp_gt_u32_e64 s[4:5], 8, v7
	v_ffbh_u32_e32 v7, v22
	v_min_u32_e32 v7, 32, v7
	v_subrev_u32_e32 v10, 28, v7
	v_lshlrev_b64 v[10:11], v10, v[22:23]
	v_sub_u32_e32 v7, 29, v7
	v_and_b32_e32 v10, 7, v10
	v_cndmask_b32_e64 v7, v12, v7, s[4:5]
	v_bfrev_b32_e32 v12, 60
	v_cndmask_b32_e64 v10, v22, v10, s[4:5]
	v_lshlrev_b32_e32 v11, 16, v6
	v_lshl_add_u32 v7, v7, 23, v12
	v_and_or_b32 v7, v11, s11, v7
	v_lshlrev_b32_e32 v10, 20, v10
	v_or_b32_e32 v11, v7, v10
	v_mov_b32_e32 v10, v23
.LBB255_1133:                           ;   in Loop: Header=BB255_811 Depth=1
	s_or_b64 exec, exec, s[28:29]
.LBB255_1134:                           ;   in Loop: Header=BB255_811 Depth=1
	s_or_b64 exec, exec, s[26:27]
.LBB255_1135:                           ;   in Loop: Header=BB255_811 Depth=1
	s_or_b64 exec, exec, s[24:25]
	v_lshrrev_b32_e32 v16, 16, v6
	v_pk_mov_b32 v[14:15], 0, 0
	v_cmp_ne_u16_sdwa s[4:5], v16, v23 src0_sel:BYTE_0 src1_sel:DWORD
	v_pk_mov_b32 v[12:13], v[14:15], v[14:15] op_sel:[0,1]
	s_and_saveexec_b64 s[24:25], s[4:5]
	s_cbranch_execz .LBB255_1141
; %bb.1136:                             ;   in Loop: Header=BB255_811 Depth=1
	v_bfrev_b32_e32 v12, 1
	v_cmp_ne_u16_sdwa s[4:5], v16, s7 src0_sel:BYTE_0 src1_sel:DWORD
	v_mov_b32_e32 v13, 0
	s_and_saveexec_b64 s[26:27], s[4:5]
	s_cbranch_execz .LBB255_1140
; %bb.1137:                             ;   in Loop: Header=BB255_811 Depth=1
	v_bfe_u32 v7, v6, 16, 7
	v_mov_b32_e32 v12, 0x7f800001
	v_cmp_ne_u32_e64 s[4:5], s15, v7
	v_mov_b32_e32 v13, 0
	s_and_saveexec_b64 s[28:29], s[4:5]
	s_cbranch_execz .LBB255_1139
; %bb.1138:                             ;   in Loop: Header=BB255_811 Depth=1
	v_and_b32_e32 v17, 7, v16
	v_lshrrev_b32_e32 v18, 3, v7
	v_cmp_gt_u32_e64 s[4:5], 8, v7
	v_ffbh_u32_e32 v7, v17
	v_min_u32_e32 v7, 32, v7
	v_subrev_u32_e32 v12, 28, v7
	v_lshlrev_b64 v[12:13], v12, v[16:17]
	v_sub_u32_e32 v7, 29, v7
	v_and_b32_e32 v12, 7, v12
	v_cndmask_b32_e64 v7, v18, v7, s[4:5]
	v_cndmask_b32_e64 v12, v17, v12, s[4:5]
	v_and_b32_sdwa v13, sext(v16), s11 dst_sel:DWORD dst_unused:UNUSED_PAD src0_sel:BYTE_0 src1_sel:DWORD
	v_bfrev_b32_e32 v16, 60
	v_lshlrev_b32_e32 v12, 20, v12
	v_lshl_add_u32 v7, v7, 23, v16
	v_or3_b32 v22, v13, v7, v12
	v_pk_mov_b32 v[12:13], v[22:23], v[22:23] op_sel:[0,1]
.LBB255_1139:                           ;   in Loop: Header=BB255_811 Depth=1
	s_or_b64 exec, exec, s[28:29]
.LBB255_1140:                           ;   in Loop: Header=BB255_811 Depth=1
	s_or_b64 exec, exec, s[26:27]
.LBB255_1141:                           ;   in Loop: Header=BB255_811 Depth=1
	s_or_b64 exec, exec, s[24:25]
	v_cmp_lt_u32_e64 s[4:5], s30, v6
	s_and_saveexec_b64 s[24:25], s[4:5]
	s_cbranch_execz .LBB255_1147
; %bb.1142:                             ;   in Loop: Header=BB255_811 Depth=1
	v_cmp_ne_u32_sdwa s[4:5], v6, s7 src0_sel:BYTE_3 src1_sel:DWORD
	v_pk_mov_b32 v[14:15], s[10:11], s[10:11] op_sel:[0,1]
	s_and_saveexec_b64 s[26:27], s[4:5]
	s_cbranch_execz .LBB255_1146
; %bb.1143:                             ;   in Loop: Header=BB255_811 Depth=1
	v_bfe_u32 v7, v6, 24, 7
	s_mov_b32 s22, s10
	v_cmp_ne_u32_e64 s[4:5], s15, v7
	v_pk_mov_b32 v[14:15], s[22:23], s[22:23] op_sel:[0,1]
	s_and_saveexec_b64 s[28:29], s[4:5]
	s_cbranch_execz .LBB255_1145
; %bb.1144:                             ;   in Loop: Header=BB255_811 Depth=1
	v_mov_b32_e32 v14, 7
	v_and_b32_sdwa v22, v6, v14 dst_sel:DWORD dst_unused:UNUSED_PAD src0_sel:BYTE_3 src1_sel:DWORD
	v_lshrrev_b32_e32 v16, 3, v7
	v_cmp_gt_u32_e64 s[4:5], 8, v7
	v_ffbh_u32_e32 v7, v22
	v_min_u32_e32 v7, 32, v7
	v_subrev_u32_e32 v14, 28, v7
	v_lshlrev_b64 v[14:15], v14, v[22:23]
	v_sub_u32_e32 v7, 29, v7
	v_mov_b32_e32 v15, 24
	v_and_b32_e32 v14, 7, v14
	v_cndmask_b32_e64 v7, v16, v7, s[4:5]
	v_lshlrev_b32_sdwa v6, v15, v6 dst_sel:DWORD dst_unused:UNUSED_PAD src0_sel:DWORD src1_sel:BYTE_3
	v_bfrev_b32_e32 v15, 60
	v_cndmask_b32_e64 v14, v22, v14, s[4:5]
	v_lshl_add_u32 v7, v7, 23, v15
	v_and_or_b32 v6, v6, s11, v7
	v_lshlrev_b32_e32 v7, 20, v14
	v_or_b32_e32 v15, v6, v7
	v_mov_b32_e32 v14, v23
.LBB255_1145:                           ;   in Loop: Header=BB255_811 Depth=1
	s_or_b64 exec, exec, s[28:29]
.LBB255_1146:                           ;   in Loop: Header=BB255_811 Depth=1
	s_or_b64 exec, exec, s[26:27]
.LBB255_1147:                           ;   in Loop: Header=BB255_811 Depth=1
	s_or_b64 exec, exec, s[24:25]
	v_or_b32_e32 v7, v11, v9
	v_or_b32_e32 v6, v10, v8
	v_pk_mul_f32 v[6:7], v[50:51], v[6:7]
	v_accvgpr_write_b32 a15, v7
	v_accvgpr_write_b32 a14, v6
	v_or_b32_e32 v7, v15, v13
	v_or_b32_e32 v6, v14, v12
	v_pk_mul_f32 v[6:7], v[50:51], v[6:7]
	v_accvgpr_write_b32 a13, v7
	v_accvgpr_write_b32 a12, v6
	s_and_saveexec_b64 s[24:25], vcc
	s_cbranch_execz .LBB255_1149
; %bb.1148:                             ;   in Loop: Header=BB255_811 Depth=1
	v_accvgpr_read_b32 v6, a9
	v_cmp_lt_i32_e64 s[4:5], v6, v62
	v_accvgpr_read_b32 v8, a14
	v_accvgpr_read_b32 v6, a53
	;; [unrolled: 1-line block ×3, first 2 shown]
	v_cndmask_b32_e64 v8, 0, v8, s[4:5]
	v_cmp_lt_i32_e64 s[4:5], v6, v62
	v_accvgpr_read_b32 v6, a51
	v_cndmask_b32_e64 v9, 0, v9, s[4:5]
	v_cmp_lt_i32_e64 s[4:5], v6, v62
	v_accvgpr_read_b32 v6, a12
	v_accvgpr_read_b32 v7, a13
	v_cndmask_b32_e64 v6, 0, v6, s[4:5]
	v_cmp_lt_i32_e64 s[4:5], v42, v62
	v_cndmask_b32_e64 v7, 0, v7, s[4:5]
	v_accvgpr_write_b32 a15, v9
	v_accvgpr_write_b32 a13, v7
	;; [unrolled: 1-line block ×4, first 2 shown]
.LBB255_1149:                           ;   in Loop: Header=BB255_811 Depth=1
	s_or_b64 exec, exec, s[24:25]
	flat_load_dword v6, v[4:5] offset:3328
	v_pk_mov_b32 v[10:11], 0, 0
	v_pk_mov_b32 v[8:9], v[10:11], v[10:11] op_sel:[0,1]
	s_waitcnt vmcnt(0) lgkmcnt(0)
	v_cmp_ne_u16_sdwa s[4:5], v6, v23 src0_sel:BYTE_0 src1_sel:DWORD
	s_and_saveexec_b64 s[24:25], s[4:5]
	s_cbranch_execz .LBB255_1155
; %bb.1150:                             ;   in Loop: Header=BB255_811 Depth=1
	v_bfrev_b32_e32 v8, 1
	v_cmp_ne_u16_sdwa s[4:5], v6, s7 src0_sel:BYTE_0 src1_sel:DWORD
	v_mov_b32_e32 v9, 0
	s_and_saveexec_b64 s[26:27], s[4:5]
	s_cbranch_execz .LBB255_1154
; %bb.1151:                             ;   in Loop: Header=BB255_811 Depth=1
	v_and_b32_e32 v7, 0x7f, v6
	v_mov_b32_e32 v8, 0x7f800001
	v_cmp_ne_u32_e64 s[4:5], s15, v7
	v_mov_b32_e32 v9, 0
	s_and_saveexec_b64 s[28:29], s[4:5]
	s_cbranch_execz .LBB255_1153
; %bb.1152:                             ;   in Loop: Header=BB255_811 Depth=1
	v_and_b32_e32 v12, 7, v6
	v_lshrrev_b32_e32 v13, 3, v7
	v_cmp_gt_u32_e64 s[4:5], 8, v7
	v_ffbh_u32_e32 v7, v12
	v_min_u32_e32 v7, 32, v7
	v_subrev_u32_e32 v8, 28, v7
	v_lshlrev_b64 v[8:9], v8, v[6:7]
	v_sub_u32_e32 v7, 29, v7
	v_and_b32_e32 v8, 7, v8
	v_cndmask_b32_e64 v7, v13, v7, s[4:5]
	v_cndmask_b32_e64 v8, v12, v8, s[4:5]
	v_bfrev_b32_e32 v12, 60
	v_lshlrev_b32_e32 v8, 20, v8
	v_and_b32_sdwa v9, sext(v6), s11 dst_sel:DWORD dst_unused:UNUSED_PAD src0_sel:BYTE_0 src1_sel:DWORD
	v_lshl_add_u32 v7, v7, 23, v12
	v_or3_b32 v22, v9, v7, v8
	v_pk_mov_b32 v[8:9], v[22:23], v[22:23] op_sel:[0,1]
.LBB255_1153:                           ;   in Loop: Header=BB255_811 Depth=1
	s_or_b64 exec, exec, s[28:29]
.LBB255_1154:                           ;   in Loop: Header=BB255_811 Depth=1
	s_or_b64 exec, exec, s[26:27]
.LBB255_1155:                           ;   in Loop: Header=BB255_811 Depth=1
	s_or_b64 exec, exec, s[24:25]
	v_cmp_ne_u16_sdwa s[4:5], v6, v23 src0_sel:BYTE_1 src1_sel:DWORD
	s_and_saveexec_b64 s[24:25], s[4:5]
	s_cbranch_execz .LBB255_1161
; %bb.1156:                             ;   in Loop: Header=BB255_811 Depth=1
	v_cmp_ne_u16_sdwa s[4:5], v6, s7 src0_sel:BYTE_1 src1_sel:DWORD
	v_pk_mov_b32 v[10:11], s[10:11], s[10:11] op_sel:[0,1]
	s_and_saveexec_b64 s[26:27], s[4:5]
	s_cbranch_execz .LBB255_1160
; %bb.1157:                             ;   in Loop: Header=BB255_811 Depth=1
	v_and_b32_sdwa v7, v6, s15 dst_sel:DWORD dst_unused:UNUSED_PAD src0_sel:BYTE_1 src1_sel:DWORD
	s_mov_b32 s22, s10
	v_cmp_ne_u32_e64 s[4:5], s15, v7
	v_pk_mov_b32 v[10:11], s[22:23], s[22:23] op_sel:[0,1]
	s_and_saveexec_b64 s[28:29], s[4:5]
	s_cbranch_execz .LBB255_1159
; %bb.1158:                             ;   in Loop: Header=BB255_811 Depth=1
	v_mov_b32_e32 v10, 7
	v_and_b32_sdwa v22, v6, v10 dst_sel:DWORD dst_unused:UNUSED_PAD src0_sel:BYTE_1 src1_sel:DWORD
	v_lshrrev_b32_e32 v12, 3, v7
	v_cmp_gt_u32_e64 s[4:5], 8, v7
	v_ffbh_u32_e32 v7, v22
	v_min_u32_e32 v7, 32, v7
	v_subrev_u32_e32 v10, 28, v7
	v_lshlrev_b64 v[10:11], v10, v[22:23]
	v_sub_u32_e32 v7, 29, v7
	v_and_b32_e32 v10, 7, v10
	v_cndmask_b32_e64 v7, v12, v7, s[4:5]
	v_bfrev_b32_e32 v12, 60
	v_cndmask_b32_e64 v10, v22, v10, s[4:5]
	v_lshlrev_b32_e32 v11, 16, v6
	v_lshl_add_u32 v7, v7, 23, v12
	v_and_or_b32 v7, v11, s11, v7
	v_lshlrev_b32_e32 v10, 20, v10
	v_or_b32_e32 v11, v7, v10
	v_mov_b32_e32 v10, v23
.LBB255_1159:                           ;   in Loop: Header=BB255_811 Depth=1
	s_or_b64 exec, exec, s[28:29]
.LBB255_1160:                           ;   in Loop: Header=BB255_811 Depth=1
	s_or_b64 exec, exec, s[26:27]
.LBB255_1161:                           ;   in Loop: Header=BB255_811 Depth=1
	s_or_b64 exec, exec, s[24:25]
	v_lshrrev_b32_e32 v16, 16, v6
	v_pk_mov_b32 v[14:15], 0, 0
	v_cmp_ne_u16_sdwa s[4:5], v16, v23 src0_sel:BYTE_0 src1_sel:DWORD
	v_pk_mov_b32 v[12:13], v[14:15], v[14:15] op_sel:[0,1]
	s_and_saveexec_b64 s[24:25], s[4:5]
	s_cbranch_execz .LBB255_1167
; %bb.1162:                             ;   in Loop: Header=BB255_811 Depth=1
	v_bfrev_b32_e32 v12, 1
	v_cmp_ne_u16_sdwa s[4:5], v16, s7 src0_sel:BYTE_0 src1_sel:DWORD
	v_mov_b32_e32 v13, 0
	s_and_saveexec_b64 s[26:27], s[4:5]
	s_cbranch_execz .LBB255_1166
; %bb.1163:                             ;   in Loop: Header=BB255_811 Depth=1
	v_bfe_u32 v7, v6, 16, 7
	v_mov_b32_e32 v12, 0x7f800001
	v_cmp_ne_u32_e64 s[4:5], s15, v7
	v_mov_b32_e32 v13, 0
	s_and_saveexec_b64 s[28:29], s[4:5]
	s_cbranch_execz .LBB255_1165
; %bb.1164:                             ;   in Loop: Header=BB255_811 Depth=1
	v_and_b32_e32 v17, 7, v16
	v_lshrrev_b32_e32 v18, 3, v7
	v_cmp_gt_u32_e64 s[4:5], 8, v7
	v_ffbh_u32_e32 v7, v17
	v_min_u32_e32 v7, 32, v7
	v_subrev_u32_e32 v12, 28, v7
	v_lshlrev_b64 v[12:13], v12, v[16:17]
	v_sub_u32_e32 v7, 29, v7
	v_and_b32_e32 v12, 7, v12
	v_cndmask_b32_e64 v7, v18, v7, s[4:5]
	v_cndmask_b32_e64 v12, v17, v12, s[4:5]
	v_and_b32_sdwa v13, sext(v16), s11 dst_sel:DWORD dst_unused:UNUSED_PAD src0_sel:BYTE_0 src1_sel:DWORD
	v_bfrev_b32_e32 v16, 60
	v_lshlrev_b32_e32 v12, 20, v12
	v_lshl_add_u32 v7, v7, 23, v16
	v_or3_b32 v22, v13, v7, v12
	v_pk_mov_b32 v[12:13], v[22:23], v[22:23] op_sel:[0,1]
.LBB255_1165:                           ;   in Loop: Header=BB255_811 Depth=1
	s_or_b64 exec, exec, s[28:29]
.LBB255_1166:                           ;   in Loop: Header=BB255_811 Depth=1
	s_or_b64 exec, exec, s[26:27]
.LBB255_1167:                           ;   in Loop: Header=BB255_811 Depth=1
	s_or_b64 exec, exec, s[24:25]
	v_cmp_lt_u32_e64 s[4:5], s30, v6
	s_and_saveexec_b64 s[24:25], s[4:5]
	s_cbranch_execz .LBB255_1173
; %bb.1168:                             ;   in Loop: Header=BB255_811 Depth=1
	v_cmp_ne_u32_sdwa s[4:5], v6, s7 src0_sel:BYTE_3 src1_sel:DWORD
	v_pk_mov_b32 v[14:15], s[10:11], s[10:11] op_sel:[0,1]
	s_and_saveexec_b64 s[26:27], s[4:5]
	s_cbranch_execz .LBB255_1172
; %bb.1169:                             ;   in Loop: Header=BB255_811 Depth=1
	v_bfe_u32 v7, v6, 24, 7
	s_mov_b32 s22, s10
	v_cmp_ne_u32_e64 s[4:5], s15, v7
	v_pk_mov_b32 v[14:15], s[22:23], s[22:23] op_sel:[0,1]
	s_and_saveexec_b64 s[28:29], s[4:5]
	s_cbranch_execz .LBB255_1171
; %bb.1170:                             ;   in Loop: Header=BB255_811 Depth=1
	v_mov_b32_e32 v14, 7
	v_and_b32_sdwa v22, v6, v14 dst_sel:DWORD dst_unused:UNUSED_PAD src0_sel:BYTE_3 src1_sel:DWORD
	v_lshrrev_b32_e32 v16, 3, v7
	v_cmp_gt_u32_e64 s[4:5], 8, v7
	v_ffbh_u32_e32 v7, v22
	v_min_u32_e32 v7, 32, v7
	v_subrev_u32_e32 v14, 28, v7
	v_lshlrev_b64 v[14:15], v14, v[22:23]
	v_sub_u32_e32 v7, 29, v7
	v_mov_b32_e32 v15, 24
	v_and_b32_e32 v14, 7, v14
	v_cndmask_b32_e64 v7, v16, v7, s[4:5]
	v_lshlrev_b32_sdwa v6, v15, v6 dst_sel:DWORD dst_unused:UNUSED_PAD src0_sel:DWORD src1_sel:BYTE_3
	v_bfrev_b32_e32 v15, 60
	v_cndmask_b32_e64 v14, v22, v14, s[4:5]
	v_lshl_add_u32 v7, v7, 23, v15
	v_and_or_b32 v6, v6, s11, v7
	v_lshlrev_b32_e32 v7, 20, v14
	v_or_b32_e32 v15, v6, v7
	v_mov_b32_e32 v14, v23
.LBB255_1171:                           ;   in Loop: Header=BB255_811 Depth=1
	s_or_b64 exec, exec, s[28:29]
.LBB255_1172:                           ;   in Loop: Header=BB255_811 Depth=1
	s_or_b64 exec, exec, s[26:27]
.LBB255_1173:                           ;   in Loop: Header=BB255_811 Depth=1
	s_or_b64 exec, exec, s[24:25]
	v_or_b32_e32 v7, v11, v9
	v_or_b32_e32 v6, v10, v8
	v_pk_mul_f32 v[6:7], v[50:51], v[6:7]
	v_accvgpr_write_b32 a2, v6
	v_accvgpr_write_b32 a3, v7
	v_or_b32_e32 v7, v15, v13
	v_or_b32_e32 v6, v14, v12
	v_pk_mul_f32 v[6:7], v[50:51], v[6:7]
	v_accvgpr_write_b32 a0, v6
	v_accvgpr_write_b32 a1, v7
	s_and_saveexec_b64 s[24:25], vcc
	s_cbranch_execz .LBB255_1175
; %bb.1174:                             ;   in Loop: Header=BB255_811 Depth=1
	v_accvgpr_read_b32 v6, a9
	v_accvgpr_read_b32 v9, a3
	v_cmp_lt_i32_e64 s[4:5], v6, v62
	v_accvgpr_read_b32 v8, a2
	v_accvgpr_read_b32 v6, a53
	v_cndmask_b32_e64 v8, 0, v8, s[4:5]
	v_cmp_lt_i32_e64 s[4:5], v6, v62
	v_accvgpr_read_b32 v6, a51
	v_cndmask_b32_e64 v9, 0, v9, s[4:5]
	v_cmp_lt_i32_e64 s[4:5], v6, v62
	v_accvgpr_read_b32 v7, a1
	v_accvgpr_read_b32 v6, a0
	v_cndmask_b32_e64 v6, 0, v6, s[4:5]
	v_cmp_lt_i32_e64 s[4:5], v42, v62
	v_accvgpr_write_b32 a2, v8
	v_cndmask_b32_e64 v7, 0, v7, s[4:5]
	v_accvgpr_write_b32 a0, v6
	v_accvgpr_write_b32 a3, v9
	;; [unrolled: 1-line block ×3, first 2 shown]
.LBB255_1175:                           ;   in Loop: Header=BB255_811 Depth=1
	s_or_b64 exec, exec, s[24:25]
	flat_load_dword v4, v[4:5] offset:3584
	v_pk_mov_b32 v[8:9], 0, 0
	v_pk_mov_b32 v[6:7], v[8:9], v[8:9] op_sel:[0,1]
	s_waitcnt vmcnt(0) lgkmcnt(0)
	v_cmp_ne_u16_sdwa s[4:5], v4, v23 src0_sel:BYTE_0 src1_sel:DWORD
	s_and_saveexec_b64 s[24:25], s[4:5]
	s_cbranch_execz .LBB255_1181
; %bb.1176:                             ;   in Loop: Header=BB255_811 Depth=1
	v_bfrev_b32_e32 v6, 1
	v_cmp_ne_u16_sdwa s[4:5], v4, s7 src0_sel:BYTE_0 src1_sel:DWORD
	v_mov_b32_e32 v7, 0
	s_and_saveexec_b64 s[26:27], s[4:5]
	s_cbranch_execz .LBB255_1180
; %bb.1177:                             ;   in Loop: Header=BB255_811 Depth=1
	v_and_b32_e32 v5, 0x7f, v4
	v_mov_b32_e32 v6, 0x7f800001
	v_cmp_ne_u32_e64 s[4:5], s15, v5
	v_mov_b32_e32 v7, 0
	s_and_saveexec_b64 s[28:29], s[4:5]
	s_cbranch_execz .LBB255_1179
; %bb.1178:                             ;   in Loop: Header=BB255_811 Depth=1
	v_and_b32_e32 v10, 7, v4
	v_lshrrev_b32_e32 v11, 3, v5
	v_cmp_gt_u32_e64 s[4:5], 8, v5
	v_ffbh_u32_e32 v5, v10
	v_min_u32_e32 v5, 32, v5
	v_subrev_u32_e32 v6, 28, v5
	v_lshlrev_b64 v[6:7], v6, v[4:5]
	v_sub_u32_e32 v5, 29, v5
	v_and_b32_e32 v6, 7, v6
	v_cndmask_b32_e64 v5, v11, v5, s[4:5]
	v_cndmask_b32_e64 v6, v10, v6, s[4:5]
	v_bfrev_b32_e32 v10, 60
	v_lshlrev_b32_e32 v6, 20, v6
	v_and_b32_sdwa v7, sext(v4), s11 dst_sel:DWORD dst_unused:UNUSED_PAD src0_sel:BYTE_0 src1_sel:DWORD
	v_lshl_add_u32 v5, v5, 23, v10
	v_or3_b32 v22, v7, v5, v6
	v_pk_mov_b32 v[6:7], v[22:23], v[22:23] op_sel:[0,1]
.LBB255_1179:                           ;   in Loop: Header=BB255_811 Depth=1
	s_or_b64 exec, exec, s[28:29]
.LBB255_1180:                           ;   in Loop: Header=BB255_811 Depth=1
	s_or_b64 exec, exec, s[26:27]
.LBB255_1181:                           ;   in Loop: Header=BB255_811 Depth=1
	s_or_b64 exec, exec, s[24:25]
	v_cmp_ne_u16_sdwa s[4:5], v4, v23 src0_sel:BYTE_1 src1_sel:DWORD
	s_and_saveexec_b64 s[24:25], s[4:5]
	s_cbranch_execz .LBB255_1187
; %bb.1182:                             ;   in Loop: Header=BB255_811 Depth=1
	v_cmp_ne_u16_sdwa s[4:5], v4, s7 src0_sel:BYTE_1 src1_sel:DWORD
	v_pk_mov_b32 v[8:9], s[10:11], s[10:11] op_sel:[0,1]
	s_and_saveexec_b64 s[26:27], s[4:5]
	s_cbranch_execz .LBB255_1186
; %bb.1183:                             ;   in Loop: Header=BB255_811 Depth=1
	v_and_b32_sdwa v5, v4, s15 dst_sel:DWORD dst_unused:UNUSED_PAD src0_sel:BYTE_1 src1_sel:DWORD
	s_mov_b32 s22, s10
	v_cmp_ne_u32_e64 s[4:5], s15, v5
	v_pk_mov_b32 v[8:9], s[22:23], s[22:23] op_sel:[0,1]
	s_and_saveexec_b64 s[28:29], s[4:5]
	s_cbranch_execz .LBB255_1185
; %bb.1184:                             ;   in Loop: Header=BB255_811 Depth=1
	v_mov_b32_e32 v8, 7
	v_and_b32_sdwa v22, v4, v8 dst_sel:DWORD dst_unused:UNUSED_PAD src0_sel:BYTE_1 src1_sel:DWORD
	v_lshrrev_b32_e32 v10, 3, v5
	v_cmp_gt_u32_e64 s[4:5], 8, v5
	v_ffbh_u32_e32 v5, v22
	v_min_u32_e32 v5, 32, v5
	v_subrev_u32_e32 v8, 28, v5
	v_lshlrev_b64 v[8:9], v8, v[22:23]
	v_sub_u32_e32 v5, 29, v5
	v_and_b32_e32 v8, 7, v8
	v_cndmask_b32_e64 v5, v10, v5, s[4:5]
	v_bfrev_b32_e32 v10, 60
	v_cndmask_b32_e64 v8, v22, v8, s[4:5]
	v_lshlrev_b32_e32 v9, 16, v4
	v_lshl_add_u32 v5, v5, 23, v10
	v_and_or_b32 v5, v9, s11, v5
	v_lshlrev_b32_e32 v8, 20, v8
	v_or_b32_e32 v9, v5, v8
	v_mov_b32_e32 v8, v23
.LBB255_1185:                           ;   in Loop: Header=BB255_811 Depth=1
	s_or_b64 exec, exec, s[28:29]
.LBB255_1186:                           ;   in Loop: Header=BB255_811 Depth=1
	s_or_b64 exec, exec, s[26:27]
.LBB255_1187:                           ;   in Loop: Header=BB255_811 Depth=1
	s_or_b64 exec, exec, s[24:25]
	v_lshrrev_b32_e32 v14, 16, v4
	v_pk_mov_b32 v[12:13], 0, 0
	v_cmp_ne_u16_sdwa s[4:5], v14, v23 src0_sel:BYTE_0 src1_sel:DWORD
	v_pk_mov_b32 v[10:11], v[12:13], v[12:13] op_sel:[0,1]
	s_and_saveexec_b64 s[24:25], s[4:5]
	s_cbranch_execz .LBB255_1193
; %bb.1188:                             ;   in Loop: Header=BB255_811 Depth=1
	v_bfrev_b32_e32 v10, 1
	v_cmp_ne_u16_sdwa s[4:5], v14, s7 src0_sel:BYTE_0 src1_sel:DWORD
	v_mov_b32_e32 v11, 0
	s_and_saveexec_b64 s[26:27], s[4:5]
	s_cbranch_execz .LBB255_1192
; %bb.1189:                             ;   in Loop: Header=BB255_811 Depth=1
	v_bfe_u32 v5, v4, 16, 7
	v_mov_b32_e32 v10, 0x7f800001
	v_cmp_ne_u32_e64 s[4:5], s15, v5
	v_mov_b32_e32 v11, 0
	s_and_saveexec_b64 s[28:29], s[4:5]
	s_cbranch_execz .LBB255_1191
; %bb.1190:                             ;   in Loop: Header=BB255_811 Depth=1
	v_and_b32_e32 v15, 7, v14
	v_lshrrev_b32_e32 v16, 3, v5
	v_cmp_gt_u32_e64 s[4:5], 8, v5
	v_ffbh_u32_e32 v5, v15
	v_min_u32_e32 v5, 32, v5
	v_subrev_u32_e32 v10, 28, v5
	v_lshlrev_b64 v[10:11], v10, v[14:15]
	v_sub_u32_e32 v5, 29, v5
	v_and_b32_e32 v10, 7, v10
	v_cndmask_b32_e64 v5, v16, v5, s[4:5]
	v_cndmask_b32_e64 v10, v15, v10, s[4:5]
	v_and_b32_sdwa v11, sext(v14), s11 dst_sel:DWORD dst_unused:UNUSED_PAD src0_sel:BYTE_0 src1_sel:DWORD
	v_bfrev_b32_e32 v14, 60
	v_lshlrev_b32_e32 v10, 20, v10
	v_lshl_add_u32 v5, v5, 23, v14
	v_or3_b32 v22, v11, v5, v10
	v_pk_mov_b32 v[10:11], v[22:23], v[22:23] op_sel:[0,1]
.LBB255_1191:                           ;   in Loop: Header=BB255_811 Depth=1
	s_or_b64 exec, exec, s[28:29]
.LBB255_1192:                           ;   in Loop: Header=BB255_811 Depth=1
	s_or_b64 exec, exec, s[26:27]
.LBB255_1193:                           ;   in Loop: Header=BB255_811 Depth=1
	s_or_b64 exec, exec, s[24:25]
	v_cmp_lt_u32_e64 s[4:5], s30, v4
	s_and_saveexec_b64 s[24:25], s[4:5]
	s_cbranch_execz .LBB255_1199
; %bb.1194:                             ;   in Loop: Header=BB255_811 Depth=1
	v_cmp_ne_u32_sdwa s[4:5], v4, s7 src0_sel:BYTE_3 src1_sel:DWORD
	v_pk_mov_b32 v[12:13], s[10:11], s[10:11] op_sel:[0,1]
	s_and_saveexec_b64 s[26:27], s[4:5]
	s_cbranch_execz .LBB255_1198
; %bb.1195:                             ;   in Loop: Header=BB255_811 Depth=1
	v_bfe_u32 v5, v4, 24, 7
	s_mov_b32 s22, s10
	v_cmp_ne_u32_e64 s[4:5], s15, v5
	v_pk_mov_b32 v[12:13], s[22:23], s[22:23] op_sel:[0,1]
	s_and_saveexec_b64 s[28:29], s[4:5]
	s_cbranch_execz .LBB255_1197
; %bb.1196:                             ;   in Loop: Header=BB255_811 Depth=1
	v_mov_b32_e32 v12, 7
	v_and_b32_sdwa v22, v4, v12 dst_sel:DWORD dst_unused:UNUSED_PAD src0_sel:BYTE_3 src1_sel:DWORD
	v_lshrrev_b32_e32 v14, 3, v5
	v_cmp_gt_u32_e64 s[4:5], 8, v5
	v_ffbh_u32_e32 v5, v22
	v_min_u32_e32 v5, 32, v5
	v_subrev_u32_e32 v12, 28, v5
	v_lshlrev_b64 v[12:13], v12, v[22:23]
	v_sub_u32_e32 v5, 29, v5
	v_mov_b32_e32 v13, 24
	v_and_b32_e32 v12, 7, v12
	v_cndmask_b32_e64 v5, v14, v5, s[4:5]
	v_lshlrev_b32_sdwa v4, v13, v4 dst_sel:DWORD dst_unused:UNUSED_PAD src0_sel:DWORD src1_sel:BYTE_3
	v_bfrev_b32_e32 v13, 60
	v_cndmask_b32_e64 v12, v22, v12, s[4:5]
	v_lshl_add_u32 v5, v5, 23, v13
	v_and_or_b32 v4, v4, s11, v5
	v_lshlrev_b32_e32 v5, 20, v12
	v_or_b32_e32 v13, v4, v5
	v_mov_b32_e32 v12, v23
.LBB255_1197:                           ;   in Loop: Header=BB255_811 Depth=1
	s_or_b64 exec, exec, s[28:29]
.LBB255_1198:                           ;   in Loop: Header=BB255_811 Depth=1
	s_or_b64 exec, exec, s[26:27]
.LBB255_1199:                           ;   in Loop: Header=BB255_811 Depth=1
	s_or_b64 exec, exec, s[24:25]
	v_or_b32_e32 v5, v9, v7
	v_or_b32_e32 v4, v8, v6
	v_pk_mul_f32 v[4:5], v[50:51], v[4:5]
	v_accvgpr_write_b32 a63, v5
	v_accvgpr_write_b32 a62, v4
	v_or_b32_e32 v5, v13, v11
	v_or_b32_e32 v4, v12, v10
	v_pk_mul_f32 v[4:5], v[50:51], v[4:5]
	v_accvgpr_write_b32 a19, v5
	v_accvgpr_write_b32 a18, v4
	s_and_saveexec_b64 s[24:25], vcc
	s_cbranch_execz .LBB255_1201
; %bb.1200:                             ;   in Loop: Header=BB255_811 Depth=1
	v_accvgpr_read_b32 v4, a9
	v_cmp_lt_i32_e64 s[4:5], v4, v62
	v_accvgpr_read_b32 v6, a62
	v_accvgpr_read_b32 v4, a53
	v_accvgpr_read_b32 v7, a63
	v_cndmask_b32_e64 v6, 0, v6, s[4:5]
	v_cmp_lt_i32_e64 s[4:5], v4, v62
	v_accvgpr_read_b32 v4, a51
	v_cndmask_b32_e64 v7, 0, v7, s[4:5]
	v_cmp_lt_i32_e64 s[4:5], v4, v62
	v_accvgpr_read_b32 v4, a18
	v_accvgpr_read_b32 v5, a19
	v_cndmask_b32_e64 v4, 0, v4, s[4:5]
	v_cmp_lt_i32_e64 s[4:5], v42, v62
	v_cndmask_b32_e64 v5, 0, v5, s[4:5]
	v_accvgpr_write_b32 a63, v7
	v_accvgpr_write_b32 a19, v5
	;; [unrolled: 1-line block ×4, first 2 shown]
.LBB255_1201:                           ;   in Loop: Header=BB255_811 Depth=1
	s_or_b64 exec, exec, s[24:25]
	buffer_load_dword v4, off, s[0:3], s32 offset:452 ; 4-byte Folded Reload
	buffer_load_dword v5, off, s[0:3], s32 offset:456 ; 4-byte Folded Reload
	v_pk_mov_b32 v[8:9], 0, 0
	v_pk_mov_b32 v[6:7], v[8:9], v[8:9] op_sel:[0,1]
	s_waitcnt vmcnt(1)
	v_add_co_u32_e64 v4, s[4:5], v40, v4
	s_waitcnt vmcnt(0)
	v_addc_co_u32_e64 v5, s[4:5], 0, v41, s[4:5]
	flat_load_dword v4, v[4:5]
	s_waitcnt vmcnt(0) lgkmcnt(0)
	v_cmp_ne_u16_sdwa s[4:5], v4, v23 src0_sel:BYTE_0 src1_sel:DWORD
	s_and_saveexec_b64 s[24:25], s[4:5]
	s_cbranch_execz .LBB255_1207
; %bb.1202:                             ;   in Loop: Header=BB255_811 Depth=1
	v_bfrev_b32_e32 v6, 1
	v_cmp_ne_u16_sdwa s[4:5], v4, s7 src0_sel:BYTE_0 src1_sel:DWORD
	v_mov_b32_e32 v7, 0
	s_and_saveexec_b64 s[26:27], s[4:5]
	s_cbranch_execz .LBB255_1206
; %bb.1203:                             ;   in Loop: Header=BB255_811 Depth=1
	v_and_b32_e32 v5, 0x7f, v4
	v_mov_b32_e32 v6, 0x7f800001
	v_cmp_ne_u32_e64 s[4:5], s15, v5
	v_mov_b32_e32 v7, 0
	s_and_saveexec_b64 s[28:29], s[4:5]
	s_cbranch_execz .LBB255_1205
; %bb.1204:                             ;   in Loop: Header=BB255_811 Depth=1
	v_and_b32_e32 v10, 7, v4
	v_lshrrev_b32_e32 v11, 3, v5
	v_cmp_gt_u32_e64 s[4:5], 8, v5
	v_ffbh_u32_e32 v5, v10
	v_min_u32_e32 v5, 32, v5
	v_subrev_u32_e32 v6, 28, v5
	v_lshlrev_b64 v[6:7], v6, v[4:5]
	v_sub_u32_e32 v5, 29, v5
	v_and_b32_e32 v6, 7, v6
	v_cndmask_b32_e64 v5, v11, v5, s[4:5]
	v_cndmask_b32_e64 v6, v10, v6, s[4:5]
	v_bfrev_b32_e32 v10, 60
	v_lshlrev_b32_e32 v6, 20, v6
	v_and_b32_sdwa v7, sext(v4), s11 dst_sel:DWORD dst_unused:UNUSED_PAD src0_sel:BYTE_0 src1_sel:DWORD
	v_lshl_add_u32 v5, v5, 23, v10
	v_or3_b32 v22, v7, v5, v6
	v_pk_mov_b32 v[6:7], v[22:23], v[22:23] op_sel:[0,1]
.LBB255_1205:                           ;   in Loop: Header=BB255_811 Depth=1
	s_or_b64 exec, exec, s[28:29]
.LBB255_1206:                           ;   in Loop: Header=BB255_811 Depth=1
	s_or_b64 exec, exec, s[26:27]
.LBB255_1207:                           ;   in Loop: Header=BB255_811 Depth=1
	s_or_b64 exec, exec, s[24:25]
	v_cmp_ne_u16_sdwa s[4:5], v4, v23 src0_sel:BYTE_1 src1_sel:DWORD
	s_and_saveexec_b64 s[24:25], s[4:5]
	s_cbranch_execz .LBB255_1213
; %bb.1208:                             ;   in Loop: Header=BB255_811 Depth=1
	v_cmp_ne_u16_sdwa s[4:5], v4, s7 src0_sel:BYTE_1 src1_sel:DWORD
	v_pk_mov_b32 v[8:9], s[10:11], s[10:11] op_sel:[0,1]
	s_and_saveexec_b64 s[26:27], s[4:5]
	s_cbranch_execz .LBB255_1212
; %bb.1209:                             ;   in Loop: Header=BB255_811 Depth=1
	v_and_b32_sdwa v5, v4, s15 dst_sel:DWORD dst_unused:UNUSED_PAD src0_sel:BYTE_1 src1_sel:DWORD
	s_mov_b32 s22, s10
	v_cmp_ne_u32_e64 s[4:5], s15, v5
	v_pk_mov_b32 v[8:9], s[22:23], s[22:23] op_sel:[0,1]
	s_and_saveexec_b64 s[28:29], s[4:5]
	s_cbranch_execz .LBB255_1211
; %bb.1210:                             ;   in Loop: Header=BB255_811 Depth=1
	v_mov_b32_e32 v8, 7
	v_and_b32_sdwa v22, v4, v8 dst_sel:DWORD dst_unused:UNUSED_PAD src0_sel:BYTE_1 src1_sel:DWORD
	v_lshrrev_b32_e32 v10, 3, v5
	v_cmp_gt_u32_e64 s[4:5], 8, v5
	v_ffbh_u32_e32 v5, v22
	v_min_u32_e32 v5, 32, v5
	v_subrev_u32_e32 v8, 28, v5
	v_lshlrev_b64 v[8:9], v8, v[22:23]
	v_sub_u32_e32 v5, 29, v5
	v_and_b32_e32 v8, 7, v8
	v_cndmask_b32_e64 v5, v10, v5, s[4:5]
	v_bfrev_b32_e32 v10, 60
	v_cndmask_b32_e64 v8, v22, v8, s[4:5]
	v_lshlrev_b32_e32 v9, 16, v4
	v_lshl_add_u32 v5, v5, 23, v10
	v_and_or_b32 v5, v9, s11, v5
	v_lshlrev_b32_e32 v8, 20, v8
	v_or_b32_e32 v9, v5, v8
	v_mov_b32_e32 v8, v23
.LBB255_1211:                           ;   in Loop: Header=BB255_811 Depth=1
	s_or_b64 exec, exec, s[28:29]
.LBB255_1212:                           ;   in Loop: Header=BB255_811 Depth=1
	s_or_b64 exec, exec, s[26:27]
.LBB255_1213:                           ;   in Loop: Header=BB255_811 Depth=1
	s_or_b64 exec, exec, s[24:25]
	v_lshrrev_b32_e32 v14, 16, v4
	v_pk_mov_b32 v[12:13], 0, 0
	v_cmp_ne_u16_sdwa s[4:5], v14, v23 src0_sel:BYTE_0 src1_sel:DWORD
	v_pk_mov_b32 v[10:11], v[12:13], v[12:13] op_sel:[0,1]
	s_and_saveexec_b64 s[24:25], s[4:5]
	s_cbranch_execz .LBB255_1219
; %bb.1214:                             ;   in Loop: Header=BB255_811 Depth=1
	v_bfrev_b32_e32 v10, 1
	v_cmp_ne_u16_sdwa s[4:5], v14, s7 src0_sel:BYTE_0 src1_sel:DWORD
	v_mov_b32_e32 v11, 0
	s_and_saveexec_b64 s[26:27], s[4:5]
	s_cbranch_execz .LBB255_1218
; %bb.1215:                             ;   in Loop: Header=BB255_811 Depth=1
	v_bfe_u32 v5, v4, 16, 7
	v_mov_b32_e32 v10, 0x7f800001
	v_cmp_ne_u32_e64 s[4:5], s15, v5
	v_mov_b32_e32 v11, 0
	s_and_saveexec_b64 s[28:29], s[4:5]
	s_cbranch_execz .LBB255_1217
; %bb.1216:                             ;   in Loop: Header=BB255_811 Depth=1
	v_and_b32_e32 v15, 7, v14
	v_lshrrev_b32_e32 v16, 3, v5
	v_cmp_gt_u32_e64 s[4:5], 8, v5
	v_ffbh_u32_e32 v5, v15
	v_min_u32_e32 v5, 32, v5
	v_subrev_u32_e32 v10, 28, v5
	v_lshlrev_b64 v[10:11], v10, v[14:15]
	v_sub_u32_e32 v5, 29, v5
	v_and_b32_e32 v10, 7, v10
	v_cndmask_b32_e64 v5, v16, v5, s[4:5]
	v_cndmask_b32_e64 v10, v15, v10, s[4:5]
	v_and_b32_sdwa v11, sext(v14), s11 dst_sel:DWORD dst_unused:UNUSED_PAD src0_sel:BYTE_0 src1_sel:DWORD
	v_bfrev_b32_e32 v14, 60
	v_lshlrev_b32_e32 v10, 20, v10
	v_lshl_add_u32 v5, v5, 23, v14
	v_or3_b32 v22, v11, v5, v10
	v_pk_mov_b32 v[10:11], v[22:23], v[22:23] op_sel:[0,1]
.LBB255_1217:                           ;   in Loop: Header=BB255_811 Depth=1
	s_or_b64 exec, exec, s[28:29]
.LBB255_1218:                           ;   in Loop: Header=BB255_811 Depth=1
	s_or_b64 exec, exec, s[26:27]
.LBB255_1219:                           ;   in Loop: Header=BB255_811 Depth=1
	s_or_b64 exec, exec, s[24:25]
	v_cmp_lt_u32_e64 s[4:5], s30, v4
	s_and_saveexec_b64 s[24:25], s[4:5]
	s_cbranch_execz .LBB255_1225
; %bb.1220:                             ;   in Loop: Header=BB255_811 Depth=1
	v_cmp_ne_u32_sdwa s[4:5], v4, s7 src0_sel:BYTE_3 src1_sel:DWORD
	v_pk_mov_b32 v[12:13], s[10:11], s[10:11] op_sel:[0,1]
	s_and_saveexec_b64 s[26:27], s[4:5]
	s_cbranch_execz .LBB255_1224
; %bb.1221:                             ;   in Loop: Header=BB255_811 Depth=1
	v_bfe_u32 v5, v4, 24, 7
	s_mov_b32 s22, s10
	v_cmp_ne_u32_e64 s[4:5], s15, v5
	v_pk_mov_b32 v[12:13], s[22:23], s[22:23] op_sel:[0,1]
	s_and_saveexec_b64 s[28:29], s[4:5]
	s_cbranch_execz .LBB255_1223
; %bb.1222:                             ;   in Loop: Header=BB255_811 Depth=1
	v_mov_b32_e32 v12, 7
	v_and_b32_sdwa v22, v4, v12 dst_sel:DWORD dst_unused:UNUSED_PAD src0_sel:BYTE_3 src1_sel:DWORD
	v_lshrrev_b32_e32 v14, 3, v5
	v_cmp_gt_u32_e64 s[4:5], 8, v5
	v_ffbh_u32_e32 v5, v22
	v_min_u32_e32 v5, 32, v5
	v_subrev_u32_e32 v12, 28, v5
	v_lshlrev_b64 v[12:13], v12, v[22:23]
	v_sub_u32_e32 v5, 29, v5
	v_mov_b32_e32 v13, 24
	v_and_b32_e32 v12, 7, v12
	v_cndmask_b32_e64 v5, v14, v5, s[4:5]
	v_lshlrev_b32_sdwa v4, v13, v4 dst_sel:DWORD dst_unused:UNUSED_PAD src0_sel:DWORD src1_sel:BYTE_3
	v_bfrev_b32_e32 v13, 60
	v_cndmask_b32_e64 v12, v22, v12, s[4:5]
	v_lshl_add_u32 v5, v5, 23, v13
	v_and_or_b32 v4, v4, s11, v5
	v_lshlrev_b32_e32 v5, 20, v12
	v_or_b32_e32 v13, v4, v5
	v_mov_b32_e32 v12, v23
.LBB255_1223:                           ;   in Loop: Header=BB255_811 Depth=1
	s_or_b64 exec, exec, s[28:29]
.LBB255_1224:                           ;   in Loop: Header=BB255_811 Depth=1
	s_or_b64 exec, exec, s[26:27]
.LBB255_1225:                           ;   in Loop: Header=BB255_811 Depth=1
	s_or_b64 exec, exec, s[24:25]
	v_or_b32_e32 v5, v9, v7
	v_or_b32_e32 v4, v8, v6
	v_pk_mul_f32 v[4:5], v[50:51], v[4:5]
	v_accvgpr_write_b32 a21, v5
	v_accvgpr_write_b32 a20, v4
	v_or_b32_e32 v5, v13, v11
	v_or_b32_e32 v4, v12, v10
	v_pk_mul_f32 v[4:5], v[50:51], v[4:5]
	v_accvgpr_write_b32 a23, v5
	v_accvgpr_write_b32 a22, v4
	s_and_saveexec_b64 s[24:25], vcc
	s_cbranch_execz .LBB255_1227
; %bb.1226:                             ;   in Loop: Header=BB255_811 Depth=1
	v_accvgpr_read_b32 v4, a9
	v_cmp_lt_i32_e64 s[4:5], v4, v62
	v_accvgpr_read_b32 v6, a20
	v_accvgpr_read_b32 v4, a53
	v_accvgpr_read_b32 v7, a21
	v_cndmask_b32_e64 v6, 0, v6, s[4:5]
	v_cmp_lt_i32_e64 s[4:5], v4, v62
	v_accvgpr_read_b32 v4, a51
	v_cndmask_b32_e64 v7, 0, v7, s[4:5]
	v_cmp_lt_i32_e64 s[4:5], v4, v62
	v_accvgpr_read_b32 v4, a22
	v_accvgpr_read_b32 v5, a23
	v_cndmask_b32_e64 v4, 0, v4, s[4:5]
	v_cmp_lt_i32_e64 s[4:5], v42, v62
	v_cndmask_b32_e64 v5, 0, v5, s[4:5]
	v_accvgpr_write_b32 a21, v7
	v_accvgpr_write_b32 a23, v5
	;; [unrolled: 1-line block ×4, first 2 shown]
.LBB255_1227:                           ;   in Loop: Header=BB255_811 Depth=1
	s_or_b64 exec, exec, s[24:25]
	buffer_load_dword v4, off, s[0:3], s32 offset:468 ; 4-byte Folded Reload
	buffer_load_dword v5, off, s[0:3], s32 offset:472 ; 4-byte Folded Reload
	v_pk_mov_b32 v[8:9], 0, 0
	v_pk_mov_b32 v[6:7], v[8:9], v[8:9] op_sel:[0,1]
	s_waitcnt vmcnt(1)
	v_add_co_u32_e64 v4, s[4:5], v40, v4
	s_waitcnt vmcnt(0)
	v_addc_co_u32_e64 v5, s[4:5], 0, v41, s[4:5]
	flat_load_dword v4, v[4:5]
	s_waitcnt vmcnt(0) lgkmcnt(0)
	v_cmp_ne_u16_sdwa s[4:5], v4, v23 src0_sel:BYTE_0 src1_sel:DWORD
	s_and_saveexec_b64 s[24:25], s[4:5]
	s_cbranch_execz .LBB255_1233
; %bb.1228:                             ;   in Loop: Header=BB255_811 Depth=1
	v_bfrev_b32_e32 v6, 1
	v_cmp_ne_u16_sdwa s[4:5], v4, s7 src0_sel:BYTE_0 src1_sel:DWORD
	v_mov_b32_e32 v7, 0
	s_and_saveexec_b64 s[26:27], s[4:5]
	s_cbranch_execz .LBB255_1232
; %bb.1229:                             ;   in Loop: Header=BB255_811 Depth=1
	v_and_b32_e32 v5, 0x7f, v4
	v_mov_b32_e32 v6, 0x7f800001
	v_cmp_ne_u32_e64 s[4:5], s15, v5
	v_mov_b32_e32 v7, 0
	s_and_saveexec_b64 s[28:29], s[4:5]
	s_cbranch_execz .LBB255_1231
; %bb.1230:                             ;   in Loop: Header=BB255_811 Depth=1
	v_and_b32_e32 v10, 7, v4
	v_lshrrev_b32_e32 v11, 3, v5
	v_cmp_gt_u32_e64 s[4:5], 8, v5
	v_ffbh_u32_e32 v5, v10
	v_min_u32_e32 v5, 32, v5
	v_subrev_u32_e32 v6, 28, v5
	v_lshlrev_b64 v[6:7], v6, v[4:5]
	v_sub_u32_e32 v5, 29, v5
	v_and_b32_e32 v6, 7, v6
	v_cndmask_b32_e64 v5, v11, v5, s[4:5]
	v_cndmask_b32_e64 v6, v10, v6, s[4:5]
	v_bfrev_b32_e32 v10, 60
	v_lshlrev_b32_e32 v6, 20, v6
	v_and_b32_sdwa v7, sext(v4), s11 dst_sel:DWORD dst_unused:UNUSED_PAD src0_sel:BYTE_0 src1_sel:DWORD
	v_lshl_add_u32 v5, v5, 23, v10
	v_or3_b32 v22, v7, v5, v6
	v_pk_mov_b32 v[6:7], v[22:23], v[22:23] op_sel:[0,1]
.LBB255_1231:                           ;   in Loop: Header=BB255_811 Depth=1
	s_or_b64 exec, exec, s[28:29]
.LBB255_1232:                           ;   in Loop: Header=BB255_811 Depth=1
	s_or_b64 exec, exec, s[26:27]
.LBB255_1233:                           ;   in Loop: Header=BB255_811 Depth=1
	s_or_b64 exec, exec, s[24:25]
	v_cmp_ne_u16_sdwa s[4:5], v4, v23 src0_sel:BYTE_1 src1_sel:DWORD
	s_and_saveexec_b64 s[24:25], s[4:5]
	s_cbranch_execz .LBB255_1239
; %bb.1234:                             ;   in Loop: Header=BB255_811 Depth=1
	v_cmp_ne_u16_sdwa s[4:5], v4, s7 src0_sel:BYTE_1 src1_sel:DWORD
	v_pk_mov_b32 v[8:9], s[10:11], s[10:11] op_sel:[0,1]
	s_and_saveexec_b64 s[26:27], s[4:5]
	s_cbranch_execz .LBB255_1238
; %bb.1235:                             ;   in Loop: Header=BB255_811 Depth=1
	v_and_b32_sdwa v5, v4, s15 dst_sel:DWORD dst_unused:UNUSED_PAD src0_sel:BYTE_1 src1_sel:DWORD
	s_mov_b32 s22, s10
	v_cmp_ne_u32_e64 s[4:5], s15, v5
	v_pk_mov_b32 v[8:9], s[22:23], s[22:23] op_sel:[0,1]
	s_and_saveexec_b64 s[28:29], s[4:5]
	s_cbranch_execz .LBB255_1237
; %bb.1236:                             ;   in Loop: Header=BB255_811 Depth=1
	v_mov_b32_e32 v8, 7
	v_and_b32_sdwa v22, v4, v8 dst_sel:DWORD dst_unused:UNUSED_PAD src0_sel:BYTE_1 src1_sel:DWORD
	v_lshrrev_b32_e32 v10, 3, v5
	v_cmp_gt_u32_e64 s[4:5], 8, v5
	v_ffbh_u32_e32 v5, v22
	v_min_u32_e32 v5, 32, v5
	v_subrev_u32_e32 v8, 28, v5
	v_lshlrev_b64 v[8:9], v8, v[22:23]
	v_sub_u32_e32 v5, 29, v5
	v_and_b32_e32 v8, 7, v8
	v_cndmask_b32_e64 v5, v10, v5, s[4:5]
	v_bfrev_b32_e32 v10, 60
	v_cndmask_b32_e64 v8, v22, v8, s[4:5]
	v_lshlrev_b32_e32 v9, 16, v4
	v_lshl_add_u32 v5, v5, 23, v10
	v_and_or_b32 v5, v9, s11, v5
	v_lshlrev_b32_e32 v8, 20, v8
	v_or_b32_e32 v9, v5, v8
	v_mov_b32_e32 v8, v23
.LBB255_1237:                           ;   in Loop: Header=BB255_811 Depth=1
	s_or_b64 exec, exec, s[28:29]
.LBB255_1238:                           ;   in Loop: Header=BB255_811 Depth=1
	s_or_b64 exec, exec, s[26:27]
.LBB255_1239:                           ;   in Loop: Header=BB255_811 Depth=1
	s_or_b64 exec, exec, s[24:25]
	v_lshrrev_b32_e32 v14, 16, v4
	v_pk_mov_b32 v[12:13], 0, 0
	v_cmp_ne_u16_sdwa s[4:5], v14, v23 src0_sel:BYTE_0 src1_sel:DWORD
	v_pk_mov_b32 v[10:11], v[12:13], v[12:13] op_sel:[0,1]
	s_and_saveexec_b64 s[24:25], s[4:5]
	s_cbranch_execz .LBB255_1245
; %bb.1240:                             ;   in Loop: Header=BB255_811 Depth=1
	v_bfrev_b32_e32 v10, 1
	v_cmp_ne_u16_sdwa s[4:5], v14, s7 src0_sel:BYTE_0 src1_sel:DWORD
	v_mov_b32_e32 v11, 0
	s_and_saveexec_b64 s[26:27], s[4:5]
	s_cbranch_execz .LBB255_1244
; %bb.1241:                             ;   in Loop: Header=BB255_811 Depth=1
	v_bfe_u32 v5, v4, 16, 7
	v_mov_b32_e32 v10, 0x7f800001
	v_cmp_ne_u32_e64 s[4:5], s15, v5
	v_mov_b32_e32 v11, 0
	s_and_saveexec_b64 s[28:29], s[4:5]
	s_cbranch_execz .LBB255_1243
; %bb.1242:                             ;   in Loop: Header=BB255_811 Depth=1
	v_and_b32_e32 v15, 7, v14
	v_lshrrev_b32_e32 v16, 3, v5
	v_cmp_gt_u32_e64 s[4:5], 8, v5
	v_ffbh_u32_e32 v5, v15
	v_min_u32_e32 v5, 32, v5
	v_subrev_u32_e32 v10, 28, v5
	v_lshlrev_b64 v[10:11], v10, v[14:15]
	v_sub_u32_e32 v5, 29, v5
	v_and_b32_e32 v10, 7, v10
	v_cndmask_b32_e64 v5, v16, v5, s[4:5]
	v_cndmask_b32_e64 v10, v15, v10, s[4:5]
	v_and_b32_sdwa v11, sext(v14), s11 dst_sel:DWORD dst_unused:UNUSED_PAD src0_sel:BYTE_0 src1_sel:DWORD
	v_bfrev_b32_e32 v14, 60
	v_lshlrev_b32_e32 v10, 20, v10
	v_lshl_add_u32 v5, v5, 23, v14
	v_or3_b32 v22, v11, v5, v10
	v_pk_mov_b32 v[10:11], v[22:23], v[22:23] op_sel:[0,1]
.LBB255_1243:                           ;   in Loop: Header=BB255_811 Depth=1
	s_or_b64 exec, exec, s[28:29]
.LBB255_1244:                           ;   in Loop: Header=BB255_811 Depth=1
	s_or_b64 exec, exec, s[26:27]
.LBB255_1245:                           ;   in Loop: Header=BB255_811 Depth=1
	s_or_b64 exec, exec, s[24:25]
	v_cmp_lt_u32_e64 s[4:5], s30, v4
	s_and_saveexec_b64 s[24:25], s[4:5]
	s_cbranch_execz .LBB255_1251
; %bb.1246:                             ;   in Loop: Header=BB255_811 Depth=1
	v_cmp_ne_u32_sdwa s[4:5], v4, s7 src0_sel:BYTE_3 src1_sel:DWORD
	v_pk_mov_b32 v[12:13], s[10:11], s[10:11] op_sel:[0,1]
	s_and_saveexec_b64 s[26:27], s[4:5]
	s_cbranch_execz .LBB255_1250
; %bb.1247:                             ;   in Loop: Header=BB255_811 Depth=1
	v_bfe_u32 v5, v4, 24, 7
	s_mov_b32 s22, s10
	v_cmp_ne_u32_e64 s[4:5], s15, v5
	v_pk_mov_b32 v[12:13], s[22:23], s[22:23] op_sel:[0,1]
	s_and_saveexec_b64 s[28:29], s[4:5]
	s_cbranch_execz .LBB255_1249
; %bb.1248:                             ;   in Loop: Header=BB255_811 Depth=1
	v_mov_b32_e32 v12, 7
	v_and_b32_sdwa v22, v4, v12 dst_sel:DWORD dst_unused:UNUSED_PAD src0_sel:BYTE_3 src1_sel:DWORD
	v_lshrrev_b32_e32 v14, 3, v5
	v_cmp_gt_u32_e64 s[4:5], 8, v5
	v_ffbh_u32_e32 v5, v22
	v_min_u32_e32 v5, 32, v5
	v_subrev_u32_e32 v12, 28, v5
	v_lshlrev_b64 v[12:13], v12, v[22:23]
	v_sub_u32_e32 v5, 29, v5
	v_mov_b32_e32 v13, 24
	v_and_b32_e32 v12, 7, v12
	v_cndmask_b32_e64 v5, v14, v5, s[4:5]
	v_lshlrev_b32_sdwa v4, v13, v4 dst_sel:DWORD dst_unused:UNUSED_PAD src0_sel:DWORD src1_sel:BYTE_3
	v_bfrev_b32_e32 v13, 60
	v_cndmask_b32_e64 v12, v22, v12, s[4:5]
	v_lshl_add_u32 v5, v5, 23, v13
	v_and_or_b32 v4, v4, s11, v5
	v_lshlrev_b32_e32 v5, 20, v12
	v_or_b32_e32 v13, v4, v5
	v_mov_b32_e32 v12, v23
.LBB255_1249:                           ;   in Loop: Header=BB255_811 Depth=1
	s_or_b64 exec, exec, s[28:29]
.LBB255_1250:                           ;   in Loop: Header=BB255_811 Depth=1
	s_or_b64 exec, exec, s[26:27]
.LBB255_1251:                           ;   in Loop: Header=BB255_811 Depth=1
	s_or_b64 exec, exec, s[24:25]
	v_or_b32_e32 v5, v9, v7
	v_or_b32_e32 v4, v8, v6
	v_pk_mul_f32 v[4:5], v[50:51], v[4:5]
	v_accvgpr_write_b32 a25, v5
	v_accvgpr_write_b32 a24, v4
	v_or_b32_e32 v5, v13, v11
	v_or_b32_e32 v4, v12, v10
	v_pk_mul_f32 v[4:5], v[50:51], v[4:5]
	v_accvgpr_write_b32 a27, v5
	v_accvgpr_write_b32 a26, v4
	s_and_saveexec_b64 s[24:25], vcc
	s_cbranch_execz .LBB255_1253
; %bb.1252:                             ;   in Loop: Header=BB255_811 Depth=1
	v_accvgpr_read_b32 v4, a9
	v_cmp_lt_i32_e64 s[4:5], v4, v62
	v_accvgpr_read_b32 v6, a24
	v_accvgpr_read_b32 v4, a53
	;; [unrolled: 1-line block ×3, first 2 shown]
	v_cndmask_b32_e64 v6, 0, v6, s[4:5]
	v_cmp_lt_i32_e64 s[4:5], v4, v62
	v_accvgpr_read_b32 v4, a51
	v_cndmask_b32_e64 v7, 0, v7, s[4:5]
	v_cmp_lt_i32_e64 s[4:5], v4, v62
	v_accvgpr_read_b32 v4, a26
	v_accvgpr_read_b32 v5, a27
	v_cndmask_b32_e64 v4, 0, v4, s[4:5]
	v_cmp_lt_i32_e64 s[4:5], v42, v62
	v_cndmask_b32_e64 v5, 0, v5, s[4:5]
	v_accvgpr_write_b32 a25, v7
	v_accvgpr_write_b32 a27, v5
	;; [unrolled: 1-line block ×4, first 2 shown]
.LBB255_1253:                           ;   in Loop: Header=BB255_811 Depth=1
	s_or_b64 exec, exec, s[24:25]
	buffer_load_dword v4, off, s[0:3], s32 offset:476 ; 4-byte Folded Reload
	buffer_load_dword v5, off, s[0:3], s32 offset:480 ; 4-byte Folded Reload
	v_pk_mov_b32 v[8:9], 0, 0
	v_pk_mov_b32 v[6:7], v[8:9], v[8:9] op_sel:[0,1]
	s_waitcnt vmcnt(1)
	v_add_co_u32_e64 v4, s[4:5], v40, v4
	s_waitcnt vmcnt(0)
	v_addc_co_u32_e64 v5, s[4:5], 0, v41, s[4:5]
	flat_load_dword v4, v[4:5]
	s_waitcnt vmcnt(0) lgkmcnt(0)
	v_cmp_ne_u16_sdwa s[4:5], v4, v23 src0_sel:BYTE_0 src1_sel:DWORD
	s_and_saveexec_b64 s[24:25], s[4:5]
	s_cbranch_execz .LBB255_1259
; %bb.1254:                             ;   in Loop: Header=BB255_811 Depth=1
	v_bfrev_b32_e32 v6, 1
	v_cmp_ne_u16_sdwa s[4:5], v4, s7 src0_sel:BYTE_0 src1_sel:DWORD
	v_mov_b32_e32 v7, 0
	s_and_saveexec_b64 s[26:27], s[4:5]
	s_cbranch_execz .LBB255_1258
; %bb.1255:                             ;   in Loop: Header=BB255_811 Depth=1
	v_and_b32_e32 v5, 0x7f, v4
	v_mov_b32_e32 v6, 0x7f800001
	v_cmp_ne_u32_e64 s[4:5], s15, v5
	v_mov_b32_e32 v7, 0
	s_and_saveexec_b64 s[28:29], s[4:5]
	s_cbranch_execz .LBB255_1257
; %bb.1256:                             ;   in Loop: Header=BB255_811 Depth=1
	v_and_b32_e32 v10, 7, v4
	v_lshrrev_b32_e32 v11, 3, v5
	v_cmp_gt_u32_e64 s[4:5], 8, v5
	v_ffbh_u32_e32 v5, v10
	v_min_u32_e32 v5, 32, v5
	v_subrev_u32_e32 v6, 28, v5
	v_lshlrev_b64 v[6:7], v6, v[4:5]
	v_sub_u32_e32 v5, 29, v5
	v_and_b32_e32 v6, 7, v6
	v_cndmask_b32_e64 v5, v11, v5, s[4:5]
	v_cndmask_b32_e64 v6, v10, v6, s[4:5]
	v_bfrev_b32_e32 v10, 60
	v_lshlrev_b32_e32 v6, 20, v6
	v_and_b32_sdwa v7, sext(v4), s11 dst_sel:DWORD dst_unused:UNUSED_PAD src0_sel:BYTE_0 src1_sel:DWORD
	v_lshl_add_u32 v5, v5, 23, v10
	v_or3_b32 v22, v7, v5, v6
	v_pk_mov_b32 v[6:7], v[22:23], v[22:23] op_sel:[0,1]
.LBB255_1257:                           ;   in Loop: Header=BB255_811 Depth=1
	s_or_b64 exec, exec, s[28:29]
.LBB255_1258:                           ;   in Loop: Header=BB255_811 Depth=1
	s_or_b64 exec, exec, s[26:27]
.LBB255_1259:                           ;   in Loop: Header=BB255_811 Depth=1
	s_or_b64 exec, exec, s[24:25]
	v_cmp_ne_u16_sdwa s[4:5], v4, v23 src0_sel:BYTE_1 src1_sel:DWORD
	s_and_saveexec_b64 s[24:25], s[4:5]
	s_cbranch_execz .LBB255_1265
; %bb.1260:                             ;   in Loop: Header=BB255_811 Depth=1
	v_cmp_ne_u16_sdwa s[4:5], v4, s7 src0_sel:BYTE_1 src1_sel:DWORD
	v_pk_mov_b32 v[8:9], s[10:11], s[10:11] op_sel:[0,1]
	s_and_saveexec_b64 s[26:27], s[4:5]
	s_cbranch_execz .LBB255_1264
; %bb.1261:                             ;   in Loop: Header=BB255_811 Depth=1
	v_and_b32_sdwa v5, v4, s15 dst_sel:DWORD dst_unused:UNUSED_PAD src0_sel:BYTE_1 src1_sel:DWORD
	s_mov_b32 s22, s10
	v_cmp_ne_u32_e64 s[4:5], s15, v5
	v_pk_mov_b32 v[8:9], s[22:23], s[22:23] op_sel:[0,1]
	s_and_saveexec_b64 s[28:29], s[4:5]
	s_cbranch_execz .LBB255_1263
; %bb.1262:                             ;   in Loop: Header=BB255_811 Depth=1
	v_mov_b32_e32 v8, 7
	v_and_b32_sdwa v22, v4, v8 dst_sel:DWORD dst_unused:UNUSED_PAD src0_sel:BYTE_1 src1_sel:DWORD
	v_lshrrev_b32_e32 v10, 3, v5
	v_cmp_gt_u32_e64 s[4:5], 8, v5
	v_ffbh_u32_e32 v5, v22
	v_min_u32_e32 v5, 32, v5
	v_subrev_u32_e32 v8, 28, v5
	v_lshlrev_b64 v[8:9], v8, v[22:23]
	v_sub_u32_e32 v5, 29, v5
	v_and_b32_e32 v8, 7, v8
	v_cndmask_b32_e64 v5, v10, v5, s[4:5]
	v_bfrev_b32_e32 v10, 60
	v_cndmask_b32_e64 v8, v22, v8, s[4:5]
	v_lshlrev_b32_e32 v9, 16, v4
	v_lshl_add_u32 v5, v5, 23, v10
	v_and_or_b32 v5, v9, s11, v5
	v_lshlrev_b32_e32 v8, 20, v8
	v_or_b32_e32 v9, v5, v8
	v_mov_b32_e32 v8, v23
.LBB255_1263:                           ;   in Loop: Header=BB255_811 Depth=1
	s_or_b64 exec, exec, s[28:29]
.LBB255_1264:                           ;   in Loop: Header=BB255_811 Depth=1
	s_or_b64 exec, exec, s[26:27]
.LBB255_1265:                           ;   in Loop: Header=BB255_811 Depth=1
	s_or_b64 exec, exec, s[24:25]
	v_lshrrev_b32_e32 v14, 16, v4
	v_pk_mov_b32 v[12:13], 0, 0
	v_cmp_ne_u16_sdwa s[4:5], v14, v23 src0_sel:BYTE_0 src1_sel:DWORD
	v_pk_mov_b32 v[10:11], v[12:13], v[12:13] op_sel:[0,1]
	s_and_saveexec_b64 s[24:25], s[4:5]
	s_cbranch_execz .LBB255_1271
; %bb.1266:                             ;   in Loop: Header=BB255_811 Depth=1
	v_bfrev_b32_e32 v10, 1
	v_cmp_ne_u16_sdwa s[4:5], v14, s7 src0_sel:BYTE_0 src1_sel:DWORD
	v_mov_b32_e32 v11, 0
	s_and_saveexec_b64 s[26:27], s[4:5]
	s_cbranch_execz .LBB255_1270
; %bb.1267:                             ;   in Loop: Header=BB255_811 Depth=1
	v_bfe_u32 v5, v4, 16, 7
	v_mov_b32_e32 v10, 0x7f800001
	v_cmp_ne_u32_e64 s[4:5], s15, v5
	v_mov_b32_e32 v11, 0
	s_and_saveexec_b64 s[28:29], s[4:5]
	s_cbranch_execz .LBB255_1269
; %bb.1268:                             ;   in Loop: Header=BB255_811 Depth=1
	v_and_b32_e32 v15, 7, v14
	v_lshrrev_b32_e32 v16, 3, v5
	v_cmp_gt_u32_e64 s[4:5], 8, v5
	v_ffbh_u32_e32 v5, v15
	v_min_u32_e32 v5, 32, v5
	v_subrev_u32_e32 v10, 28, v5
	v_lshlrev_b64 v[10:11], v10, v[14:15]
	v_sub_u32_e32 v5, 29, v5
	v_and_b32_e32 v10, 7, v10
	v_cndmask_b32_e64 v5, v16, v5, s[4:5]
	v_cndmask_b32_e64 v10, v15, v10, s[4:5]
	v_and_b32_sdwa v11, sext(v14), s11 dst_sel:DWORD dst_unused:UNUSED_PAD src0_sel:BYTE_0 src1_sel:DWORD
	v_bfrev_b32_e32 v14, 60
	v_lshlrev_b32_e32 v10, 20, v10
	v_lshl_add_u32 v5, v5, 23, v14
	v_or3_b32 v22, v11, v5, v10
	v_pk_mov_b32 v[10:11], v[22:23], v[22:23] op_sel:[0,1]
.LBB255_1269:                           ;   in Loop: Header=BB255_811 Depth=1
	s_or_b64 exec, exec, s[28:29]
.LBB255_1270:                           ;   in Loop: Header=BB255_811 Depth=1
	s_or_b64 exec, exec, s[26:27]
.LBB255_1271:                           ;   in Loop: Header=BB255_811 Depth=1
	s_or_b64 exec, exec, s[24:25]
	v_cmp_lt_u32_e64 s[4:5], s30, v4
	s_and_saveexec_b64 s[24:25], s[4:5]
	s_cbranch_execz .LBB255_1277
; %bb.1272:                             ;   in Loop: Header=BB255_811 Depth=1
	v_cmp_ne_u32_sdwa s[4:5], v4, s7 src0_sel:BYTE_3 src1_sel:DWORD
	v_pk_mov_b32 v[12:13], s[10:11], s[10:11] op_sel:[0,1]
	s_and_saveexec_b64 s[26:27], s[4:5]
	s_cbranch_execz .LBB255_1276
; %bb.1273:                             ;   in Loop: Header=BB255_811 Depth=1
	v_bfe_u32 v5, v4, 24, 7
	s_mov_b32 s22, s10
	v_cmp_ne_u32_e64 s[4:5], s15, v5
	v_pk_mov_b32 v[12:13], s[22:23], s[22:23] op_sel:[0,1]
	s_and_saveexec_b64 s[28:29], s[4:5]
	s_cbranch_execz .LBB255_1275
; %bb.1274:                             ;   in Loop: Header=BB255_811 Depth=1
	v_mov_b32_e32 v12, 7
	v_and_b32_sdwa v22, v4, v12 dst_sel:DWORD dst_unused:UNUSED_PAD src0_sel:BYTE_3 src1_sel:DWORD
	v_lshrrev_b32_e32 v14, 3, v5
	v_cmp_gt_u32_e64 s[4:5], 8, v5
	v_ffbh_u32_e32 v5, v22
	v_min_u32_e32 v5, 32, v5
	v_subrev_u32_e32 v12, 28, v5
	v_lshlrev_b64 v[12:13], v12, v[22:23]
	v_sub_u32_e32 v5, 29, v5
	v_mov_b32_e32 v13, 24
	v_and_b32_e32 v12, 7, v12
	v_cndmask_b32_e64 v5, v14, v5, s[4:5]
	v_lshlrev_b32_sdwa v4, v13, v4 dst_sel:DWORD dst_unused:UNUSED_PAD src0_sel:DWORD src1_sel:BYTE_3
	v_bfrev_b32_e32 v13, 60
	v_cndmask_b32_e64 v12, v22, v12, s[4:5]
	v_lshl_add_u32 v5, v5, 23, v13
	v_and_or_b32 v4, v4, s11, v5
	v_lshlrev_b32_e32 v5, 20, v12
	v_or_b32_e32 v13, v4, v5
	v_mov_b32_e32 v12, v23
.LBB255_1275:                           ;   in Loop: Header=BB255_811 Depth=1
	s_or_b64 exec, exec, s[28:29]
.LBB255_1276:                           ;   in Loop: Header=BB255_811 Depth=1
	s_or_b64 exec, exec, s[26:27]
.LBB255_1277:                           ;   in Loop: Header=BB255_811 Depth=1
	s_or_b64 exec, exec, s[24:25]
	v_or_b32_e32 v5, v9, v7
	v_or_b32_e32 v4, v8, v6
	v_pk_mul_f32 v[4:5], v[50:51], v[4:5]
	v_accvgpr_write_b32 a29, v5
	v_accvgpr_write_b32 a28, v4
	v_or_b32_e32 v5, v13, v11
	v_or_b32_e32 v4, v12, v10
	v_pk_mul_f32 v[4:5], v[50:51], v[4:5]
	v_accvgpr_write_b32 a31, v5
	v_accvgpr_write_b32 a30, v4
	s_and_saveexec_b64 s[24:25], vcc
	s_cbranch_execz .LBB255_1279
; %bb.1278:                             ;   in Loop: Header=BB255_811 Depth=1
	v_accvgpr_read_b32 v4, a9
	v_cmp_lt_i32_e64 s[4:5], v4, v62
	v_accvgpr_read_b32 v6, a28
	v_accvgpr_read_b32 v4, a53
	;; [unrolled: 1-line block ×3, first 2 shown]
	v_cndmask_b32_e64 v6, 0, v6, s[4:5]
	v_cmp_lt_i32_e64 s[4:5], v4, v62
	v_accvgpr_read_b32 v4, a51
	v_cndmask_b32_e64 v7, 0, v7, s[4:5]
	v_cmp_lt_i32_e64 s[4:5], v4, v62
	v_accvgpr_read_b32 v4, a30
	v_accvgpr_read_b32 v5, a31
	v_cndmask_b32_e64 v4, 0, v4, s[4:5]
	v_cmp_lt_i32_e64 s[4:5], v42, v62
	v_cndmask_b32_e64 v5, 0, v5, s[4:5]
	v_accvgpr_write_b32 a29, v7
	v_accvgpr_write_b32 a31, v5
	;; [unrolled: 1-line block ×4, first 2 shown]
.LBB255_1279:                           ;   in Loop: Header=BB255_811 Depth=1
	s_or_b64 exec, exec, s[24:25]
	buffer_load_dword v4, off, s[0:3], s32 offset:484 ; 4-byte Folded Reload
	buffer_load_dword v5, off, s[0:3], s32 offset:488 ; 4-byte Folded Reload
	v_pk_mov_b32 v[8:9], 0, 0
	v_pk_mov_b32 v[6:7], v[8:9], v[8:9] op_sel:[0,1]
	s_waitcnt vmcnt(1)
	v_add_co_u32_e64 v4, s[4:5], v40, v4
	s_waitcnt vmcnt(0)
	v_addc_co_u32_e64 v5, s[4:5], 0, v41, s[4:5]
	flat_load_dword v4, v[4:5]
	s_waitcnt vmcnt(0) lgkmcnt(0)
	v_cmp_ne_u16_sdwa s[4:5], v4, v23 src0_sel:BYTE_0 src1_sel:DWORD
	s_and_saveexec_b64 s[24:25], s[4:5]
	s_cbranch_execz .LBB255_1285
; %bb.1280:                             ;   in Loop: Header=BB255_811 Depth=1
	v_bfrev_b32_e32 v6, 1
	v_cmp_ne_u16_sdwa s[4:5], v4, s7 src0_sel:BYTE_0 src1_sel:DWORD
	v_mov_b32_e32 v7, 0
	s_and_saveexec_b64 s[26:27], s[4:5]
	s_cbranch_execz .LBB255_1284
; %bb.1281:                             ;   in Loop: Header=BB255_811 Depth=1
	v_and_b32_e32 v5, 0x7f, v4
	v_mov_b32_e32 v6, 0x7f800001
	v_cmp_ne_u32_e64 s[4:5], s15, v5
	v_mov_b32_e32 v7, 0
	s_and_saveexec_b64 s[28:29], s[4:5]
	s_cbranch_execz .LBB255_1283
; %bb.1282:                             ;   in Loop: Header=BB255_811 Depth=1
	v_and_b32_e32 v10, 7, v4
	v_lshrrev_b32_e32 v11, 3, v5
	v_cmp_gt_u32_e64 s[4:5], 8, v5
	v_ffbh_u32_e32 v5, v10
	v_min_u32_e32 v5, 32, v5
	v_subrev_u32_e32 v6, 28, v5
	v_lshlrev_b64 v[6:7], v6, v[4:5]
	v_sub_u32_e32 v5, 29, v5
	v_and_b32_e32 v6, 7, v6
	v_cndmask_b32_e64 v5, v11, v5, s[4:5]
	v_cndmask_b32_e64 v6, v10, v6, s[4:5]
	v_bfrev_b32_e32 v10, 60
	v_lshlrev_b32_e32 v6, 20, v6
	v_and_b32_sdwa v7, sext(v4), s11 dst_sel:DWORD dst_unused:UNUSED_PAD src0_sel:BYTE_0 src1_sel:DWORD
	v_lshl_add_u32 v5, v5, 23, v10
	v_or3_b32 v22, v7, v5, v6
	v_pk_mov_b32 v[6:7], v[22:23], v[22:23] op_sel:[0,1]
.LBB255_1283:                           ;   in Loop: Header=BB255_811 Depth=1
	s_or_b64 exec, exec, s[28:29]
.LBB255_1284:                           ;   in Loop: Header=BB255_811 Depth=1
	s_or_b64 exec, exec, s[26:27]
.LBB255_1285:                           ;   in Loop: Header=BB255_811 Depth=1
	s_or_b64 exec, exec, s[24:25]
	v_cmp_ne_u16_sdwa s[4:5], v4, v23 src0_sel:BYTE_1 src1_sel:DWORD
	s_and_saveexec_b64 s[24:25], s[4:5]
	s_cbranch_execz .LBB255_1291
; %bb.1286:                             ;   in Loop: Header=BB255_811 Depth=1
	v_cmp_ne_u16_sdwa s[4:5], v4, s7 src0_sel:BYTE_1 src1_sel:DWORD
	v_pk_mov_b32 v[8:9], s[10:11], s[10:11] op_sel:[0,1]
	s_and_saveexec_b64 s[26:27], s[4:5]
	s_cbranch_execz .LBB255_1290
; %bb.1287:                             ;   in Loop: Header=BB255_811 Depth=1
	v_and_b32_sdwa v5, v4, s15 dst_sel:DWORD dst_unused:UNUSED_PAD src0_sel:BYTE_1 src1_sel:DWORD
	s_mov_b32 s22, s10
	v_cmp_ne_u32_e64 s[4:5], s15, v5
	v_pk_mov_b32 v[8:9], s[22:23], s[22:23] op_sel:[0,1]
	s_and_saveexec_b64 s[28:29], s[4:5]
	s_cbranch_execz .LBB255_1289
; %bb.1288:                             ;   in Loop: Header=BB255_811 Depth=1
	v_mov_b32_e32 v8, 7
	v_and_b32_sdwa v22, v4, v8 dst_sel:DWORD dst_unused:UNUSED_PAD src0_sel:BYTE_1 src1_sel:DWORD
	v_lshrrev_b32_e32 v10, 3, v5
	v_cmp_gt_u32_e64 s[4:5], 8, v5
	v_ffbh_u32_e32 v5, v22
	v_min_u32_e32 v5, 32, v5
	v_subrev_u32_e32 v8, 28, v5
	v_lshlrev_b64 v[8:9], v8, v[22:23]
	v_sub_u32_e32 v5, 29, v5
	v_and_b32_e32 v8, 7, v8
	v_cndmask_b32_e64 v5, v10, v5, s[4:5]
	v_bfrev_b32_e32 v10, 60
	v_cndmask_b32_e64 v8, v22, v8, s[4:5]
	v_lshlrev_b32_e32 v9, 16, v4
	v_lshl_add_u32 v5, v5, 23, v10
	v_and_or_b32 v5, v9, s11, v5
	v_lshlrev_b32_e32 v8, 20, v8
	v_or_b32_e32 v9, v5, v8
	v_mov_b32_e32 v8, v23
.LBB255_1289:                           ;   in Loop: Header=BB255_811 Depth=1
	s_or_b64 exec, exec, s[28:29]
.LBB255_1290:                           ;   in Loop: Header=BB255_811 Depth=1
	s_or_b64 exec, exec, s[26:27]
.LBB255_1291:                           ;   in Loop: Header=BB255_811 Depth=1
	s_or_b64 exec, exec, s[24:25]
	v_lshrrev_b32_e32 v14, 16, v4
	v_pk_mov_b32 v[12:13], 0, 0
	v_cmp_ne_u16_sdwa s[4:5], v14, v23 src0_sel:BYTE_0 src1_sel:DWORD
	v_pk_mov_b32 v[10:11], v[12:13], v[12:13] op_sel:[0,1]
	s_and_saveexec_b64 s[24:25], s[4:5]
	s_cbranch_execz .LBB255_1297
; %bb.1292:                             ;   in Loop: Header=BB255_811 Depth=1
	v_bfrev_b32_e32 v10, 1
	v_cmp_ne_u16_sdwa s[4:5], v14, s7 src0_sel:BYTE_0 src1_sel:DWORD
	v_mov_b32_e32 v11, 0
	s_and_saveexec_b64 s[26:27], s[4:5]
	s_cbranch_execz .LBB255_1296
; %bb.1293:                             ;   in Loop: Header=BB255_811 Depth=1
	v_bfe_u32 v5, v4, 16, 7
	v_mov_b32_e32 v10, 0x7f800001
	v_cmp_ne_u32_e64 s[4:5], s15, v5
	v_mov_b32_e32 v11, 0
	s_and_saveexec_b64 s[28:29], s[4:5]
	s_cbranch_execz .LBB255_1295
; %bb.1294:                             ;   in Loop: Header=BB255_811 Depth=1
	v_and_b32_e32 v15, 7, v14
	v_lshrrev_b32_e32 v16, 3, v5
	v_cmp_gt_u32_e64 s[4:5], 8, v5
	v_ffbh_u32_e32 v5, v15
	v_min_u32_e32 v5, 32, v5
	v_subrev_u32_e32 v10, 28, v5
	v_lshlrev_b64 v[10:11], v10, v[14:15]
	v_sub_u32_e32 v5, 29, v5
	v_and_b32_e32 v10, 7, v10
	v_cndmask_b32_e64 v5, v16, v5, s[4:5]
	v_cndmask_b32_e64 v10, v15, v10, s[4:5]
	v_and_b32_sdwa v11, sext(v14), s11 dst_sel:DWORD dst_unused:UNUSED_PAD src0_sel:BYTE_0 src1_sel:DWORD
	v_bfrev_b32_e32 v14, 60
	v_lshlrev_b32_e32 v10, 20, v10
	v_lshl_add_u32 v5, v5, 23, v14
	v_or3_b32 v22, v11, v5, v10
	v_pk_mov_b32 v[10:11], v[22:23], v[22:23] op_sel:[0,1]
.LBB255_1295:                           ;   in Loop: Header=BB255_811 Depth=1
	s_or_b64 exec, exec, s[28:29]
.LBB255_1296:                           ;   in Loop: Header=BB255_811 Depth=1
	s_or_b64 exec, exec, s[26:27]
.LBB255_1297:                           ;   in Loop: Header=BB255_811 Depth=1
	s_or_b64 exec, exec, s[24:25]
	v_cmp_lt_u32_e64 s[4:5], s30, v4
	s_and_saveexec_b64 s[24:25], s[4:5]
	s_cbranch_execz .LBB255_1303
; %bb.1298:                             ;   in Loop: Header=BB255_811 Depth=1
	v_cmp_ne_u32_sdwa s[4:5], v4, s7 src0_sel:BYTE_3 src1_sel:DWORD
	v_pk_mov_b32 v[12:13], s[10:11], s[10:11] op_sel:[0,1]
	s_and_saveexec_b64 s[26:27], s[4:5]
	s_cbranch_execz .LBB255_1302
; %bb.1299:                             ;   in Loop: Header=BB255_811 Depth=1
	v_bfe_u32 v5, v4, 24, 7
	s_mov_b32 s22, s10
	v_cmp_ne_u32_e64 s[4:5], s15, v5
	v_pk_mov_b32 v[12:13], s[22:23], s[22:23] op_sel:[0,1]
	s_and_saveexec_b64 s[28:29], s[4:5]
	s_cbranch_execz .LBB255_1301
; %bb.1300:                             ;   in Loop: Header=BB255_811 Depth=1
	v_mov_b32_e32 v12, 7
	v_and_b32_sdwa v22, v4, v12 dst_sel:DWORD dst_unused:UNUSED_PAD src0_sel:BYTE_3 src1_sel:DWORD
	v_lshrrev_b32_e32 v14, 3, v5
	v_cmp_gt_u32_e64 s[4:5], 8, v5
	v_ffbh_u32_e32 v5, v22
	v_min_u32_e32 v5, 32, v5
	v_subrev_u32_e32 v12, 28, v5
	v_lshlrev_b64 v[12:13], v12, v[22:23]
	v_sub_u32_e32 v5, 29, v5
	v_mov_b32_e32 v13, 24
	v_and_b32_e32 v12, 7, v12
	v_cndmask_b32_e64 v5, v14, v5, s[4:5]
	v_lshlrev_b32_sdwa v4, v13, v4 dst_sel:DWORD dst_unused:UNUSED_PAD src0_sel:DWORD src1_sel:BYTE_3
	v_bfrev_b32_e32 v13, 60
	v_cndmask_b32_e64 v12, v22, v12, s[4:5]
	v_lshl_add_u32 v5, v5, 23, v13
	v_and_or_b32 v4, v4, s11, v5
	v_lshlrev_b32_e32 v5, 20, v12
	v_or_b32_e32 v13, v4, v5
	v_mov_b32_e32 v12, v23
.LBB255_1301:                           ;   in Loop: Header=BB255_811 Depth=1
	s_or_b64 exec, exec, s[28:29]
.LBB255_1302:                           ;   in Loop: Header=BB255_811 Depth=1
	s_or_b64 exec, exec, s[26:27]
.LBB255_1303:                           ;   in Loop: Header=BB255_811 Depth=1
	s_or_b64 exec, exec, s[24:25]
	v_or_b32_e32 v5, v9, v7
	v_or_b32_e32 v4, v8, v6
	v_pk_mul_f32 v[4:5], v[50:51], v[4:5]
	v_accvgpr_write_b32 a33, v5
	v_accvgpr_write_b32 a32, v4
	v_or_b32_e32 v5, v13, v11
	v_or_b32_e32 v4, v12, v10
	v_pk_mul_f32 v[4:5], v[50:51], v[4:5]
	v_accvgpr_write_b32 a35, v5
	v_accvgpr_write_b32 a34, v4
	s_and_saveexec_b64 s[24:25], vcc
	s_cbranch_execz .LBB255_1305
; %bb.1304:                             ;   in Loop: Header=BB255_811 Depth=1
	v_accvgpr_read_b32 v4, a9
	v_cmp_lt_i32_e64 s[4:5], v4, v62
	v_accvgpr_read_b32 v6, a32
	v_accvgpr_read_b32 v4, a53
	;; [unrolled: 1-line block ×3, first 2 shown]
	v_cndmask_b32_e64 v6, 0, v6, s[4:5]
	v_cmp_lt_i32_e64 s[4:5], v4, v62
	v_accvgpr_read_b32 v4, a51
	v_cndmask_b32_e64 v7, 0, v7, s[4:5]
	v_cmp_lt_i32_e64 s[4:5], v4, v62
	v_accvgpr_read_b32 v4, a34
	v_accvgpr_read_b32 v5, a35
	v_cndmask_b32_e64 v4, 0, v4, s[4:5]
	v_cmp_lt_i32_e64 s[4:5], v42, v62
	v_cndmask_b32_e64 v5, 0, v5, s[4:5]
	v_accvgpr_write_b32 a33, v7
	v_accvgpr_write_b32 a35, v5
	;; [unrolled: 1-line block ×4, first 2 shown]
.LBB255_1305:                           ;   in Loop: Header=BB255_811 Depth=1
	s_or_b64 exec, exec, s[24:25]
	buffer_load_dword v4, off, s[0:3], s32 offset:492 ; 4-byte Folded Reload
	buffer_load_dword v5, off, s[0:3], s32 offset:496 ; 4-byte Folded Reload
	v_pk_mov_b32 v[8:9], 0, 0
	v_pk_mov_b32 v[6:7], v[8:9], v[8:9] op_sel:[0,1]
	s_waitcnt vmcnt(1)
	v_add_co_u32_e64 v4, s[4:5], v40, v4
	s_waitcnt vmcnt(0)
	v_addc_co_u32_e64 v5, s[4:5], 0, v41, s[4:5]
	flat_load_dword v4, v[4:5]
	s_waitcnt vmcnt(0) lgkmcnt(0)
	v_cmp_ne_u16_sdwa s[4:5], v4, v23 src0_sel:BYTE_0 src1_sel:DWORD
	s_and_saveexec_b64 s[24:25], s[4:5]
	s_cbranch_execz .LBB255_1311
; %bb.1306:                             ;   in Loop: Header=BB255_811 Depth=1
	v_bfrev_b32_e32 v6, 1
	v_cmp_ne_u16_sdwa s[4:5], v4, s7 src0_sel:BYTE_0 src1_sel:DWORD
	v_mov_b32_e32 v7, 0
	s_and_saveexec_b64 s[26:27], s[4:5]
	s_cbranch_execz .LBB255_1310
; %bb.1307:                             ;   in Loop: Header=BB255_811 Depth=1
	v_and_b32_e32 v5, 0x7f, v4
	v_mov_b32_e32 v6, 0x7f800001
	v_cmp_ne_u32_e64 s[4:5], s15, v5
	v_mov_b32_e32 v7, 0
	s_and_saveexec_b64 s[28:29], s[4:5]
	s_cbranch_execz .LBB255_1309
; %bb.1308:                             ;   in Loop: Header=BB255_811 Depth=1
	v_and_b32_e32 v10, 7, v4
	v_lshrrev_b32_e32 v11, 3, v5
	v_cmp_gt_u32_e64 s[4:5], 8, v5
	v_ffbh_u32_e32 v5, v10
	v_min_u32_e32 v5, 32, v5
	v_subrev_u32_e32 v6, 28, v5
	v_lshlrev_b64 v[6:7], v6, v[4:5]
	v_sub_u32_e32 v5, 29, v5
	v_and_b32_e32 v6, 7, v6
	v_cndmask_b32_e64 v5, v11, v5, s[4:5]
	v_cndmask_b32_e64 v6, v10, v6, s[4:5]
	v_bfrev_b32_e32 v10, 60
	v_lshlrev_b32_e32 v6, 20, v6
	v_and_b32_sdwa v7, sext(v4), s11 dst_sel:DWORD dst_unused:UNUSED_PAD src0_sel:BYTE_0 src1_sel:DWORD
	v_lshl_add_u32 v5, v5, 23, v10
	v_or3_b32 v22, v7, v5, v6
	v_pk_mov_b32 v[6:7], v[22:23], v[22:23] op_sel:[0,1]
.LBB255_1309:                           ;   in Loop: Header=BB255_811 Depth=1
	s_or_b64 exec, exec, s[28:29]
.LBB255_1310:                           ;   in Loop: Header=BB255_811 Depth=1
	s_or_b64 exec, exec, s[26:27]
.LBB255_1311:                           ;   in Loop: Header=BB255_811 Depth=1
	s_or_b64 exec, exec, s[24:25]
	v_cmp_ne_u16_sdwa s[4:5], v4, v23 src0_sel:BYTE_1 src1_sel:DWORD
	s_and_saveexec_b64 s[24:25], s[4:5]
	s_cbranch_execz .LBB255_1317
; %bb.1312:                             ;   in Loop: Header=BB255_811 Depth=1
	v_cmp_ne_u16_sdwa s[4:5], v4, s7 src0_sel:BYTE_1 src1_sel:DWORD
	v_pk_mov_b32 v[8:9], s[10:11], s[10:11] op_sel:[0,1]
	s_and_saveexec_b64 s[26:27], s[4:5]
	s_cbranch_execz .LBB255_1316
; %bb.1313:                             ;   in Loop: Header=BB255_811 Depth=1
	v_and_b32_sdwa v5, v4, s15 dst_sel:DWORD dst_unused:UNUSED_PAD src0_sel:BYTE_1 src1_sel:DWORD
	s_mov_b32 s22, s10
	v_cmp_ne_u32_e64 s[4:5], s15, v5
	v_pk_mov_b32 v[8:9], s[22:23], s[22:23] op_sel:[0,1]
	s_and_saveexec_b64 s[28:29], s[4:5]
	s_cbranch_execz .LBB255_1315
; %bb.1314:                             ;   in Loop: Header=BB255_811 Depth=1
	v_mov_b32_e32 v8, 7
	v_and_b32_sdwa v22, v4, v8 dst_sel:DWORD dst_unused:UNUSED_PAD src0_sel:BYTE_1 src1_sel:DWORD
	v_lshrrev_b32_e32 v10, 3, v5
	v_cmp_gt_u32_e64 s[4:5], 8, v5
	v_ffbh_u32_e32 v5, v22
	v_min_u32_e32 v5, 32, v5
	v_subrev_u32_e32 v8, 28, v5
	v_lshlrev_b64 v[8:9], v8, v[22:23]
	v_sub_u32_e32 v5, 29, v5
	v_and_b32_e32 v8, 7, v8
	v_cndmask_b32_e64 v5, v10, v5, s[4:5]
	v_bfrev_b32_e32 v10, 60
	v_cndmask_b32_e64 v8, v22, v8, s[4:5]
	v_lshlrev_b32_e32 v9, 16, v4
	v_lshl_add_u32 v5, v5, 23, v10
	v_and_or_b32 v5, v9, s11, v5
	v_lshlrev_b32_e32 v8, 20, v8
	v_or_b32_e32 v9, v5, v8
	v_mov_b32_e32 v8, v23
.LBB255_1315:                           ;   in Loop: Header=BB255_811 Depth=1
	s_or_b64 exec, exec, s[28:29]
.LBB255_1316:                           ;   in Loop: Header=BB255_811 Depth=1
	s_or_b64 exec, exec, s[26:27]
.LBB255_1317:                           ;   in Loop: Header=BB255_811 Depth=1
	s_or_b64 exec, exec, s[24:25]
	v_lshrrev_b32_e32 v14, 16, v4
	v_pk_mov_b32 v[12:13], 0, 0
	v_cmp_ne_u16_sdwa s[4:5], v14, v23 src0_sel:BYTE_0 src1_sel:DWORD
	v_pk_mov_b32 v[10:11], v[12:13], v[12:13] op_sel:[0,1]
	s_and_saveexec_b64 s[24:25], s[4:5]
	s_cbranch_execz .LBB255_1323
; %bb.1318:                             ;   in Loop: Header=BB255_811 Depth=1
	v_bfrev_b32_e32 v10, 1
	v_cmp_ne_u16_sdwa s[4:5], v14, s7 src0_sel:BYTE_0 src1_sel:DWORD
	v_mov_b32_e32 v11, 0
	s_and_saveexec_b64 s[26:27], s[4:5]
	s_cbranch_execz .LBB255_1322
; %bb.1319:                             ;   in Loop: Header=BB255_811 Depth=1
	v_bfe_u32 v5, v4, 16, 7
	v_mov_b32_e32 v10, 0x7f800001
	v_cmp_ne_u32_e64 s[4:5], s15, v5
	v_mov_b32_e32 v11, 0
	s_and_saveexec_b64 s[28:29], s[4:5]
	s_cbranch_execz .LBB255_1321
; %bb.1320:                             ;   in Loop: Header=BB255_811 Depth=1
	v_and_b32_e32 v15, 7, v14
	v_lshrrev_b32_e32 v16, 3, v5
	v_cmp_gt_u32_e64 s[4:5], 8, v5
	v_ffbh_u32_e32 v5, v15
	v_min_u32_e32 v5, 32, v5
	v_subrev_u32_e32 v10, 28, v5
	v_lshlrev_b64 v[10:11], v10, v[14:15]
	v_sub_u32_e32 v5, 29, v5
	v_and_b32_e32 v10, 7, v10
	v_cndmask_b32_e64 v5, v16, v5, s[4:5]
	v_cndmask_b32_e64 v10, v15, v10, s[4:5]
	v_and_b32_sdwa v11, sext(v14), s11 dst_sel:DWORD dst_unused:UNUSED_PAD src0_sel:BYTE_0 src1_sel:DWORD
	v_bfrev_b32_e32 v14, 60
	v_lshlrev_b32_e32 v10, 20, v10
	v_lshl_add_u32 v5, v5, 23, v14
	v_or3_b32 v22, v11, v5, v10
	v_pk_mov_b32 v[10:11], v[22:23], v[22:23] op_sel:[0,1]
.LBB255_1321:                           ;   in Loop: Header=BB255_811 Depth=1
	s_or_b64 exec, exec, s[28:29]
.LBB255_1322:                           ;   in Loop: Header=BB255_811 Depth=1
	s_or_b64 exec, exec, s[26:27]
.LBB255_1323:                           ;   in Loop: Header=BB255_811 Depth=1
	s_or_b64 exec, exec, s[24:25]
	v_cmp_lt_u32_e64 s[4:5], s30, v4
	s_and_saveexec_b64 s[24:25], s[4:5]
	s_cbranch_execz .LBB255_1329
; %bb.1324:                             ;   in Loop: Header=BB255_811 Depth=1
	v_cmp_ne_u32_sdwa s[4:5], v4, s7 src0_sel:BYTE_3 src1_sel:DWORD
	v_pk_mov_b32 v[12:13], s[10:11], s[10:11] op_sel:[0,1]
	s_and_saveexec_b64 s[26:27], s[4:5]
	s_cbranch_execz .LBB255_1328
; %bb.1325:                             ;   in Loop: Header=BB255_811 Depth=1
	v_bfe_u32 v5, v4, 24, 7
	s_mov_b32 s22, s10
	v_cmp_ne_u32_e64 s[4:5], s15, v5
	v_pk_mov_b32 v[12:13], s[22:23], s[22:23] op_sel:[0,1]
	s_and_saveexec_b64 s[28:29], s[4:5]
	s_cbranch_execz .LBB255_1327
; %bb.1326:                             ;   in Loop: Header=BB255_811 Depth=1
	v_mov_b32_e32 v12, 7
	v_and_b32_sdwa v22, v4, v12 dst_sel:DWORD dst_unused:UNUSED_PAD src0_sel:BYTE_3 src1_sel:DWORD
	v_lshrrev_b32_e32 v14, 3, v5
	v_cmp_gt_u32_e64 s[4:5], 8, v5
	v_ffbh_u32_e32 v5, v22
	v_min_u32_e32 v5, 32, v5
	v_subrev_u32_e32 v12, 28, v5
	v_lshlrev_b64 v[12:13], v12, v[22:23]
	v_sub_u32_e32 v5, 29, v5
	v_mov_b32_e32 v13, 24
	v_and_b32_e32 v12, 7, v12
	v_cndmask_b32_e64 v5, v14, v5, s[4:5]
	v_lshlrev_b32_sdwa v4, v13, v4 dst_sel:DWORD dst_unused:UNUSED_PAD src0_sel:DWORD src1_sel:BYTE_3
	v_bfrev_b32_e32 v13, 60
	v_cndmask_b32_e64 v12, v22, v12, s[4:5]
	v_lshl_add_u32 v5, v5, 23, v13
	v_and_or_b32 v4, v4, s11, v5
	v_lshlrev_b32_e32 v5, 20, v12
	v_or_b32_e32 v13, v4, v5
	v_mov_b32_e32 v12, v23
.LBB255_1327:                           ;   in Loop: Header=BB255_811 Depth=1
	s_or_b64 exec, exec, s[28:29]
.LBB255_1328:                           ;   in Loop: Header=BB255_811 Depth=1
	s_or_b64 exec, exec, s[26:27]
.LBB255_1329:                           ;   in Loop: Header=BB255_811 Depth=1
	s_or_b64 exec, exec, s[24:25]
	v_or_b32_e32 v5, v9, v7
	v_or_b32_e32 v4, v8, v6
	v_pk_mul_f32 v[4:5], v[50:51], v[4:5]
	v_accvgpr_write_b32 a39, v5
	v_accvgpr_write_b32 a38, v4
	v_or_b32_e32 v5, v13, v11
	v_or_b32_e32 v4, v12, v10
	v_pk_mul_f32 v[4:5], v[50:51], v[4:5]
	v_accvgpr_write_b32 a41, v5
	v_accvgpr_write_b32 a40, v4
	s_and_saveexec_b64 s[24:25], vcc
	s_cbranch_execz .LBB255_1331
; %bb.1330:                             ;   in Loop: Header=BB255_811 Depth=1
	v_accvgpr_read_b32 v4, a9
	v_cmp_lt_i32_e64 s[4:5], v4, v62
	v_accvgpr_read_b32 v6, a38
	v_accvgpr_read_b32 v4, a53
	;; [unrolled: 1-line block ×3, first 2 shown]
	v_cndmask_b32_e64 v6, 0, v6, s[4:5]
	v_cmp_lt_i32_e64 s[4:5], v4, v62
	v_accvgpr_read_b32 v4, a51
	v_cndmask_b32_e64 v7, 0, v7, s[4:5]
	v_cmp_lt_i32_e64 s[4:5], v4, v62
	v_accvgpr_read_b32 v4, a40
	v_accvgpr_read_b32 v5, a41
	v_cndmask_b32_e64 v4, 0, v4, s[4:5]
	v_cmp_lt_i32_e64 s[4:5], v42, v62
	v_cndmask_b32_e64 v5, 0, v5, s[4:5]
	v_accvgpr_write_b32 a39, v7
	v_accvgpr_write_b32 a41, v5
	;; [unrolled: 1-line block ×4, first 2 shown]
.LBB255_1331:                           ;   in Loop: Header=BB255_811 Depth=1
	s_or_b64 exec, exec, s[24:25]
	buffer_load_dword v4, off, s[0:3], s32 offset:500 ; 4-byte Folded Reload
	buffer_load_dword v5, off, s[0:3], s32 offset:504 ; 4-byte Folded Reload
	v_pk_mov_b32 v[8:9], 0, 0
	v_pk_mov_b32 v[6:7], v[8:9], v[8:9] op_sel:[0,1]
	s_waitcnt vmcnt(1)
	v_add_co_u32_e64 v4, s[4:5], v40, v4
	s_waitcnt vmcnt(0)
	v_addc_co_u32_e64 v5, s[4:5], 0, v41, s[4:5]
	flat_load_dword v4, v[4:5]
	s_waitcnt vmcnt(0) lgkmcnt(0)
	v_cmp_ne_u16_sdwa s[4:5], v4, v23 src0_sel:BYTE_0 src1_sel:DWORD
	s_and_saveexec_b64 s[24:25], s[4:5]
	s_cbranch_execz .LBB255_1337
; %bb.1332:                             ;   in Loop: Header=BB255_811 Depth=1
	v_bfrev_b32_e32 v6, 1
	v_cmp_ne_u16_sdwa s[4:5], v4, s7 src0_sel:BYTE_0 src1_sel:DWORD
	v_mov_b32_e32 v7, 0
	s_and_saveexec_b64 s[26:27], s[4:5]
	s_cbranch_execz .LBB255_1336
; %bb.1333:                             ;   in Loop: Header=BB255_811 Depth=1
	v_and_b32_e32 v5, 0x7f, v4
	v_mov_b32_e32 v6, 0x7f800001
	v_cmp_ne_u32_e64 s[4:5], s15, v5
	v_mov_b32_e32 v7, 0
	s_and_saveexec_b64 s[28:29], s[4:5]
	s_cbranch_execz .LBB255_1335
; %bb.1334:                             ;   in Loop: Header=BB255_811 Depth=1
	v_and_b32_e32 v10, 7, v4
	v_lshrrev_b32_e32 v11, 3, v5
	v_cmp_gt_u32_e64 s[4:5], 8, v5
	v_ffbh_u32_e32 v5, v10
	v_min_u32_e32 v5, 32, v5
	v_subrev_u32_e32 v6, 28, v5
	v_lshlrev_b64 v[6:7], v6, v[4:5]
	v_sub_u32_e32 v5, 29, v5
	v_and_b32_e32 v6, 7, v6
	v_cndmask_b32_e64 v5, v11, v5, s[4:5]
	v_cndmask_b32_e64 v6, v10, v6, s[4:5]
	v_bfrev_b32_e32 v10, 60
	v_lshlrev_b32_e32 v6, 20, v6
	v_and_b32_sdwa v7, sext(v4), s11 dst_sel:DWORD dst_unused:UNUSED_PAD src0_sel:BYTE_0 src1_sel:DWORD
	v_lshl_add_u32 v5, v5, 23, v10
	v_or3_b32 v22, v7, v5, v6
	v_pk_mov_b32 v[6:7], v[22:23], v[22:23] op_sel:[0,1]
.LBB255_1335:                           ;   in Loop: Header=BB255_811 Depth=1
	s_or_b64 exec, exec, s[28:29]
.LBB255_1336:                           ;   in Loop: Header=BB255_811 Depth=1
	s_or_b64 exec, exec, s[26:27]
.LBB255_1337:                           ;   in Loop: Header=BB255_811 Depth=1
	s_or_b64 exec, exec, s[24:25]
	v_cmp_ne_u16_sdwa s[4:5], v4, v23 src0_sel:BYTE_1 src1_sel:DWORD
	s_and_saveexec_b64 s[24:25], s[4:5]
	s_cbranch_execz .LBB255_1343
; %bb.1338:                             ;   in Loop: Header=BB255_811 Depth=1
	v_cmp_ne_u16_sdwa s[4:5], v4, s7 src0_sel:BYTE_1 src1_sel:DWORD
	v_pk_mov_b32 v[8:9], s[10:11], s[10:11] op_sel:[0,1]
	s_and_saveexec_b64 s[26:27], s[4:5]
	s_cbranch_execz .LBB255_1342
; %bb.1339:                             ;   in Loop: Header=BB255_811 Depth=1
	v_and_b32_sdwa v5, v4, s15 dst_sel:DWORD dst_unused:UNUSED_PAD src0_sel:BYTE_1 src1_sel:DWORD
	s_mov_b32 s22, s10
	v_cmp_ne_u32_e64 s[4:5], s15, v5
	v_pk_mov_b32 v[8:9], s[22:23], s[22:23] op_sel:[0,1]
	s_and_saveexec_b64 s[28:29], s[4:5]
	s_cbranch_execz .LBB255_1341
; %bb.1340:                             ;   in Loop: Header=BB255_811 Depth=1
	v_mov_b32_e32 v8, 7
	v_and_b32_sdwa v22, v4, v8 dst_sel:DWORD dst_unused:UNUSED_PAD src0_sel:BYTE_1 src1_sel:DWORD
	v_lshrrev_b32_e32 v10, 3, v5
	v_cmp_gt_u32_e64 s[4:5], 8, v5
	v_ffbh_u32_e32 v5, v22
	v_min_u32_e32 v5, 32, v5
	v_subrev_u32_e32 v8, 28, v5
	v_lshlrev_b64 v[8:9], v8, v[22:23]
	v_sub_u32_e32 v5, 29, v5
	v_and_b32_e32 v8, 7, v8
	v_cndmask_b32_e64 v5, v10, v5, s[4:5]
	v_bfrev_b32_e32 v10, 60
	v_cndmask_b32_e64 v8, v22, v8, s[4:5]
	v_lshlrev_b32_e32 v9, 16, v4
	v_lshl_add_u32 v5, v5, 23, v10
	v_and_or_b32 v5, v9, s11, v5
	v_lshlrev_b32_e32 v8, 20, v8
	v_or_b32_e32 v9, v5, v8
	v_mov_b32_e32 v8, v23
.LBB255_1341:                           ;   in Loop: Header=BB255_811 Depth=1
	s_or_b64 exec, exec, s[28:29]
.LBB255_1342:                           ;   in Loop: Header=BB255_811 Depth=1
	s_or_b64 exec, exec, s[26:27]
.LBB255_1343:                           ;   in Loop: Header=BB255_811 Depth=1
	s_or_b64 exec, exec, s[24:25]
	v_lshrrev_b32_e32 v14, 16, v4
	v_pk_mov_b32 v[12:13], 0, 0
	v_cmp_ne_u16_sdwa s[4:5], v14, v23 src0_sel:BYTE_0 src1_sel:DWORD
	v_pk_mov_b32 v[10:11], v[12:13], v[12:13] op_sel:[0,1]
	s_and_saveexec_b64 s[24:25], s[4:5]
	s_cbranch_execz .LBB255_1349
; %bb.1344:                             ;   in Loop: Header=BB255_811 Depth=1
	v_bfrev_b32_e32 v10, 1
	v_cmp_ne_u16_sdwa s[4:5], v14, s7 src0_sel:BYTE_0 src1_sel:DWORD
	v_mov_b32_e32 v11, 0
	s_and_saveexec_b64 s[26:27], s[4:5]
	s_cbranch_execz .LBB255_1348
; %bb.1345:                             ;   in Loop: Header=BB255_811 Depth=1
	v_bfe_u32 v5, v4, 16, 7
	v_mov_b32_e32 v10, 0x7f800001
	v_cmp_ne_u32_e64 s[4:5], s15, v5
	v_mov_b32_e32 v11, 0
	s_and_saveexec_b64 s[28:29], s[4:5]
	s_cbranch_execz .LBB255_1347
; %bb.1346:                             ;   in Loop: Header=BB255_811 Depth=1
	v_and_b32_e32 v15, 7, v14
	v_lshrrev_b32_e32 v16, 3, v5
	v_cmp_gt_u32_e64 s[4:5], 8, v5
	v_ffbh_u32_e32 v5, v15
	v_min_u32_e32 v5, 32, v5
	v_subrev_u32_e32 v10, 28, v5
	v_lshlrev_b64 v[10:11], v10, v[14:15]
	v_sub_u32_e32 v5, 29, v5
	v_and_b32_e32 v10, 7, v10
	v_cndmask_b32_e64 v5, v16, v5, s[4:5]
	v_cndmask_b32_e64 v10, v15, v10, s[4:5]
	v_and_b32_sdwa v11, sext(v14), s11 dst_sel:DWORD dst_unused:UNUSED_PAD src0_sel:BYTE_0 src1_sel:DWORD
	v_bfrev_b32_e32 v14, 60
	v_lshlrev_b32_e32 v10, 20, v10
	v_lshl_add_u32 v5, v5, 23, v14
	v_or3_b32 v22, v11, v5, v10
	v_pk_mov_b32 v[10:11], v[22:23], v[22:23] op_sel:[0,1]
.LBB255_1347:                           ;   in Loop: Header=BB255_811 Depth=1
	s_or_b64 exec, exec, s[28:29]
.LBB255_1348:                           ;   in Loop: Header=BB255_811 Depth=1
	s_or_b64 exec, exec, s[26:27]
.LBB255_1349:                           ;   in Loop: Header=BB255_811 Depth=1
	s_or_b64 exec, exec, s[24:25]
	v_cmp_lt_u32_e64 s[4:5], s30, v4
	s_and_saveexec_b64 s[24:25], s[4:5]
	s_cbranch_execz .LBB255_1355
; %bb.1350:                             ;   in Loop: Header=BB255_811 Depth=1
	v_cmp_ne_u32_sdwa s[4:5], v4, s7 src0_sel:BYTE_3 src1_sel:DWORD
	v_pk_mov_b32 v[12:13], s[10:11], s[10:11] op_sel:[0,1]
	s_and_saveexec_b64 s[26:27], s[4:5]
	s_cbranch_execz .LBB255_1354
; %bb.1351:                             ;   in Loop: Header=BB255_811 Depth=1
	v_bfe_u32 v5, v4, 24, 7
	s_mov_b32 s22, s10
	v_cmp_ne_u32_e64 s[4:5], s15, v5
	v_pk_mov_b32 v[12:13], s[22:23], s[22:23] op_sel:[0,1]
	s_and_saveexec_b64 s[28:29], s[4:5]
	s_cbranch_execz .LBB255_1353
; %bb.1352:                             ;   in Loop: Header=BB255_811 Depth=1
	v_mov_b32_e32 v12, 7
	v_and_b32_sdwa v22, v4, v12 dst_sel:DWORD dst_unused:UNUSED_PAD src0_sel:BYTE_3 src1_sel:DWORD
	v_lshrrev_b32_e32 v14, 3, v5
	v_cmp_gt_u32_e64 s[4:5], 8, v5
	v_ffbh_u32_e32 v5, v22
	v_min_u32_e32 v5, 32, v5
	v_subrev_u32_e32 v12, 28, v5
	v_lshlrev_b64 v[12:13], v12, v[22:23]
	v_sub_u32_e32 v5, 29, v5
	v_mov_b32_e32 v13, 24
	v_and_b32_e32 v12, 7, v12
	v_cndmask_b32_e64 v5, v14, v5, s[4:5]
	v_lshlrev_b32_sdwa v4, v13, v4 dst_sel:DWORD dst_unused:UNUSED_PAD src0_sel:DWORD src1_sel:BYTE_3
	v_bfrev_b32_e32 v13, 60
	v_cndmask_b32_e64 v12, v22, v12, s[4:5]
	v_lshl_add_u32 v5, v5, 23, v13
	v_and_or_b32 v4, v4, s11, v5
	v_lshlrev_b32_e32 v5, 20, v12
	v_or_b32_e32 v13, v4, v5
	v_mov_b32_e32 v12, v23
.LBB255_1353:                           ;   in Loop: Header=BB255_811 Depth=1
	s_or_b64 exec, exec, s[28:29]
.LBB255_1354:                           ;   in Loop: Header=BB255_811 Depth=1
	s_or_b64 exec, exec, s[26:27]
.LBB255_1355:                           ;   in Loop: Header=BB255_811 Depth=1
	s_or_b64 exec, exec, s[24:25]
	v_or_b32_e32 v5, v9, v7
	v_or_b32_e32 v4, v8, v6
	v_pk_mul_f32 v[4:5], v[50:51], v[4:5]
	v_accvgpr_write_b32 a43, v5
	v_accvgpr_write_b32 a42, v4
	v_or_b32_e32 v5, v13, v11
	v_or_b32_e32 v4, v12, v10
	v_pk_mul_f32 v[4:5], v[50:51], v[4:5]
	v_accvgpr_write_b32 a37, v5
	v_accvgpr_write_b32 a36, v4
	s_and_saveexec_b64 s[24:25], vcc
	s_cbranch_execz .LBB255_1357
; %bb.1356:                             ;   in Loop: Header=BB255_811 Depth=1
	v_accvgpr_read_b32 v4, a9
	v_cmp_lt_i32_e64 s[4:5], v4, v62
	v_accvgpr_read_b32 v6, a42
	v_accvgpr_read_b32 v4, a53
	;; [unrolled: 1-line block ×3, first 2 shown]
	v_cndmask_b32_e64 v6, 0, v6, s[4:5]
	v_cmp_lt_i32_e64 s[4:5], v4, v62
	v_accvgpr_read_b32 v4, a51
	v_cndmask_b32_e64 v7, 0, v7, s[4:5]
	v_cmp_lt_i32_e64 s[4:5], v4, v62
	v_accvgpr_read_b32 v4, a36
	v_accvgpr_read_b32 v5, a37
	v_cndmask_b32_e64 v4, 0, v4, s[4:5]
	v_cmp_lt_i32_e64 s[4:5], v42, v62
	v_cndmask_b32_e64 v5, 0, v5, s[4:5]
	v_accvgpr_write_b32 a43, v7
	v_accvgpr_write_b32 a37, v5
	;; [unrolled: 1-line block ×4, first 2 shown]
.LBB255_1357:                           ;   in Loop: Header=BB255_811 Depth=1
	s_or_b64 exec, exec, s[24:25]
	buffer_load_dword v4, off, s[0:3], s32 offset:508 ; 4-byte Folded Reload
	buffer_load_dword v5, off, s[0:3], s32 offset:512 ; 4-byte Folded Reload
	v_pk_mov_b32 v[10:11], 0, 0
	v_pk_mov_b32 v[8:9], v[10:11], v[10:11] op_sel:[0,1]
	s_waitcnt vmcnt(1)
	v_add_co_u32_e64 v6, s[4:5], v40, v4
	v_addc_co_u32_e64 v7, s[4:5], 0, v41, s[4:5]
	flat_load_dword v6, v[6:7]
	s_waitcnt vmcnt(0) lgkmcnt(0)
	v_cmp_ne_u16_sdwa s[4:5], v6, v23 src0_sel:BYTE_0 src1_sel:DWORD
	s_and_saveexec_b64 s[24:25], s[4:5]
	s_cbranch_execz .LBB255_1363
; %bb.1358:                             ;   in Loop: Header=BB255_811 Depth=1
	v_bfrev_b32_e32 v8, 1
	v_cmp_ne_u16_sdwa s[4:5], v6, s7 src0_sel:BYTE_0 src1_sel:DWORD
	v_mov_b32_e32 v9, 0
	s_and_saveexec_b64 s[26:27], s[4:5]
	s_cbranch_execz .LBB255_1362
; %bb.1359:                             ;   in Loop: Header=BB255_811 Depth=1
	v_and_b32_e32 v7, 0x7f, v6
	v_mov_b32_e32 v8, 0x7f800001
	v_cmp_ne_u32_e64 s[4:5], s15, v7
	v_mov_b32_e32 v9, 0
	s_and_saveexec_b64 s[28:29], s[4:5]
	s_cbranch_execz .LBB255_1361
; %bb.1360:                             ;   in Loop: Header=BB255_811 Depth=1
	v_and_b32_e32 v12, 7, v6
	v_lshrrev_b32_e32 v13, 3, v7
	v_cmp_gt_u32_e64 s[4:5], 8, v7
	v_ffbh_u32_e32 v7, v12
	v_min_u32_e32 v7, 32, v7
	v_subrev_u32_e32 v8, 28, v7
	v_lshlrev_b64 v[8:9], v8, v[6:7]
	v_sub_u32_e32 v7, 29, v7
	v_and_b32_e32 v8, 7, v8
	v_cndmask_b32_e64 v7, v13, v7, s[4:5]
	v_cndmask_b32_e64 v8, v12, v8, s[4:5]
	v_bfrev_b32_e32 v4, 60
	v_lshlrev_b32_e32 v8, 20, v8
	v_and_b32_sdwa v9, sext(v6), s11 dst_sel:DWORD dst_unused:UNUSED_PAD src0_sel:BYTE_0 src1_sel:DWORD
	v_lshl_add_u32 v7, v7, 23, v4
	v_or3_b32 v22, v9, v7, v8
	v_pk_mov_b32 v[8:9], v[22:23], v[22:23] op_sel:[0,1]
.LBB255_1361:                           ;   in Loop: Header=BB255_811 Depth=1
	s_or_b64 exec, exec, s[28:29]
.LBB255_1362:                           ;   in Loop: Header=BB255_811 Depth=1
	s_or_b64 exec, exec, s[26:27]
.LBB255_1363:                           ;   in Loop: Header=BB255_811 Depth=1
	s_or_b64 exec, exec, s[24:25]
	v_cmp_ne_u16_sdwa s[4:5], v6, v23 src0_sel:BYTE_1 src1_sel:DWORD
	s_and_saveexec_b64 s[24:25], s[4:5]
	s_cbranch_execz .LBB255_1369
; %bb.1364:                             ;   in Loop: Header=BB255_811 Depth=1
	v_cmp_ne_u16_sdwa s[4:5], v6, s7 src0_sel:BYTE_1 src1_sel:DWORD
	v_pk_mov_b32 v[10:11], s[10:11], s[10:11] op_sel:[0,1]
	s_and_saveexec_b64 s[26:27], s[4:5]
	s_cbranch_execz .LBB255_1368
; %bb.1365:                             ;   in Loop: Header=BB255_811 Depth=1
	v_and_b32_sdwa v7, v6, s15 dst_sel:DWORD dst_unused:UNUSED_PAD src0_sel:BYTE_1 src1_sel:DWORD
	s_mov_b32 s22, s10
	v_cmp_ne_u32_e64 s[4:5], s15, v7
	v_pk_mov_b32 v[10:11], s[22:23], s[22:23] op_sel:[0,1]
	s_and_saveexec_b64 s[28:29], s[4:5]
	s_cbranch_execz .LBB255_1367
; %bb.1366:                             ;   in Loop: Header=BB255_811 Depth=1
	v_mov_b32_e32 v4, 7
	v_and_b32_sdwa v22, v6, v4 dst_sel:DWORD dst_unused:UNUSED_PAD src0_sel:BYTE_1 src1_sel:DWORD
	v_lshrrev_b32_e32 v12, 3, v7
	v_cmp_gt_u32_e64 s[4:5], 8, v7
	v_ffbh_u32_e32 v7, v22
	v_min_u32_e32 v7, 32, v7
	v_subrev_u32_e32 v10, 28, v7
	v_lshlrev_b64 v[10:11], v10, v[22:23]
	v_sub_u32_e32 v7, 29, v7
	v_and_b32_e32 v10, 7, v10
	v_cndmask_b32_e64 v7, v12, v7, s[4:5]
	v_bfrev_b32_e32 v4, 60
	v_cndmask_b32_e64 v10, v22, v10, s[4:5]
	v_lshlrev_b32_e32 v11, 16, v6
	v_lshl_add_u32 v7, v7, 23, v4
	v_and_or_b32 v7, v11, s11, v7
	v_lshlrev_b32_e32 v10, 20, v10
	v_or_b32_e32 v11, v7, v10
	v_mov_b32_e32 v10, v23
.LBB255_1367:                           ;   in Loop: Header=BB255_811 Depth=1
	s_or_b64 exec, exec, s[28:29]
.LBB255_1368:                           ;   in Loop: Header=BB255_811 Depth=1
	s_or_b64 exec, exec, s[26:27]
.LBB255_1369:                           ;   in Loop: Header=BB255_811 Depth=1
	s_or_b64 exec, exec, s[24:25]
	v_lshrrev_b32_e32 v16, 16, v6
	v_pk_mov_b32 v[14:15], 0, 0
	v_cmp_ne_u16_sdwa s[4:5], v16, v23 src0_sel:BYTE_0 src1_sel:DWORD
	v_pk_mov_b32 v[12:13], v[14:15], v[14:15] op_sel:[0,1]
	s_and_saveexec_b64 s[24:25], s[4:5]
	s_cbranch_execz .LBB255_1375
; %bb.1370:                             ;   in Loop: Header=BB255_811 Depth=1
	v_bfrev_b32_e32 v12, 1
	v_cmp_ne_u16_sdwa s[4:5], v16, s7 src0_sel:BYTE_0 src1_sel:DWORD
	v_mov_b32_e32 v13, 0
	s_and_saveexec_b64 s[26:27], s[4:5]
	s_cbranch_execz .LBB255_1374
; %bb.1371:                             ;   in Loop: Header=BB255_811 Depth=1
	v_bfe_u32 v7, v6, 16, 7
	v_mov_b32_e32 v12, 0x7f800001
	v_cmp_ne_u32_e64 s[4:5], s15, v7
	v_mov_b32_e32 v13, 0
	s_and_saveexec_b64 s[28:29], s[4:5]
	s_cbranch_execz .LBB255_1373
; %bb.1372:                             ;   in Loop: Header=BB255_811 Depth=1
	v_and_b32_e32 v17, 7, v16
	v_lshrrev_b32_e32 v18, 3, v7
	v_cmp_gt_u32_e64 s[4:5], 8, v7
	v_ffbh_u32_e32 v7, v17
	v_min_u32_e32 v7, 32, v7
	v_subrev_u32_e32 v12, 28, v7
	v_lshlrev_b64 v[12:13], v12, v[16:17]
	v_sub_u32_e32 v7, 29, v7
	v_and_b32_e32 v12, 7, v12
	v_cndmask_b32_e64 v7, v18, v7, s[4:5]
	v_cndmask_b32_e64 v12, v17, v12, s[4:5]
	v_bfrev_b32_e32 v4, 60
	v_lshlrev_b32_e32 v12, 20, v12
	v_and_b32_sdwa v13, sext(v16), s11 dst_sel:DWORD dst_unused:UNUSED_PAD src0_sel:BYTE_0 src1_sel:DWORD
	v_lshl_add_u32 v7, v7, 23, v4
	v_or3_b32 v22, v13, v7, v12
	v_pk_mov_b32 v[12:13], v[22:23], v[22:23] op_sel:[0,1]
.LBB255_1373:                           ;   in Loop: Header=BB255_811 Depth=1
	s_or_b64 exec, exec, s[28:29]
.LBB255_1374:                           ;   in Loop: Header=BB255_811 Depth=1
	s_or_b64 exec, exec, s[26:27]
.LBB255_1375:                           ;   in Loop: Header=BB255_811 Depth=1
	s_or_b64 exec, exec, s[24:25]
	v_cmp_lt_u32_e64 s[4:5], s30, v6
	s_and_saveexec_b64 s[24:25], s[4:5]
	s_cbranch_execz .LBB255_1381
; %bb.1376:                             ;   in Loop: Header=BB255_811 Depth=1
	v_cmp_ne_u32_sdwa s[4:5], v6, s7 src0_sel:BYTE_3 src1_sel:DWORD
	v_pk_mov_b32 v[14:15], s[10:11], s[10:11] op_sel:[0,1]
	s_and_saveexec_b64 s[26:27], s[4:5]
	s_cbranch_execz .LBB255_1380
; %bb.1377:                             ;   in Loop: Header=BB255_811 Depth=1
	v_bfe_u32 v7, v6, 24, 7
	s_mov_b32 s22, s10
	v_cmp_ne_u32_e64 s[4:5], s15, v7
	v_pk_mov_b32 v[14:15], s[22:23], s[22:23] op_sel:[0,1]
	s_and_saveexec_b64 s[28:29], s[4:5]
	s_cbranch_execz .LBB255_1379
; %bb.1378:                             ;   in Loop: Header=BB255_811 Depth=1
	v_mov_b32_e32 v4, 7
	v_and_b32_sdwa v22, v6, v4 dst_sel:DWORD dst_unused:UNUSED_PAD src0_sel:BYTE_3 src1_sel:DWORD
	v_lshrrev_b32_e32 v16, 3, v7
	v_cmp_gt_u32_e64 s[4:5], 8, v7
	v_ffbh_u32_e32 v7, v22
	v_min_u32_e32 v7, 32, v7
	v_subrev_u32_e32 v14, 28, v7
	v_lshlrev_b64 v[14:15], v14, v[22:23]
	v_sub_u32_e32 v7, 29, v7
	v_mov_b32_e32 v4, 24
	v_and_b32_e32 v14, 7, v14
	v_cndmask_b32_e64 v7, v16, v7, s[4:5]
	v_lshlrev_b32_sdwa v6, v4, v6 dst_sel:DWORD dst_unused:UNUSED_PAD src0_sel:DWORD src1_sel:BYTE_3
	v_bfrev_b32_e32 v4, 60
	v_cndmask_b32_e64 v14, v22, v14, s[4:5]
	v_lshl_add_u32 v7, v7, 23, v4
	v_and_or_b32 v6, v6, s11, v7
	v_lshlrev_b32_e32 v7, 20, v14
	v_or_b32_e32 v15, v6, v7
	v_mov_b32_e32 v14, v23
.LBB255_1379:                           ;   in Loop: Header=BB255_811 Depth=1
	s_or_b64 exec, exec, s[28:29]
.LBB255_1380:                           ;   in Loop: Header=BB255_811 Depth=1
	s_or_b64 exec, exec, s[26:27]
.LBB255_1381:                           ;   in Loop: Header=BB255_811 Depth=1
	s_or_b64 exec, exec, s[24:25]
	v_or_b32_e32 v7, v11, v9
	v_or_b32_e32 v6, v10, v8
	v_pk_mul_f32 v[60:61], v[50:51], v[6:7]
	v_or_b32_e32 v7, v15, v13
	v_or_b32_e32 v6, v14, v12
	v_pk_mul_f32 v[52:53], v[50:51], v[6:7]
	s_and_saveexec_b64 s[24:25], vcc
; %bb.1382:                             ;   in Loop: Header=BB255_811 Depth=1
	v_accvgpr_read_b32 v4, a9
	v_cmp_lt_i32_e64 s[4:5], v4, v62
	v_accvgpr_read_b32 v4, a53
	v_cndmask_b32_e64 v60, 0, v60, s[4:5]
	v_cmp_lt_i32_e64 s[4:5], v4, v62
	v_accvgpr_read_b32 v4, a51
	v_cndmask_b32_e64 v61, 0, v61, s[4:5]
	v_cmp_lt_i32_e64 s[4:5], v4, v62
	v_cndmask_b32_e64 v52, 0, v52, s[4:5]
	v_cmp_lt_i32_e64 s[4:5], v42, v62
	v_cndmask_b32_e64 v53, 0, v53, s[4:5]
; %bb.1383:                             ;   in Loop: Header=BB255_811 Depth=1
	s_or_b64 exec, exec, s[24:25]
	buffer_load_dword v4, off, s[0:3], s32 offset:556 ; 4-byte Folded Reload
	buffer_load_dword v5, off, s[0:3], s32 offset:560 ; 4-byte Folded Reload
	v_pk_mov_b32 v[10:11], 0, 0
	v_pk_mov_b32 v[8:9], v[10:11], v[10:11] op_sel:[0,1]
	s_waitcnt vmcnt(1)
	v_add_co_u32_e64 v6, s[4:5], v40, v4
	v_addc_co_u32_e64 v7, s[4:5], 0, v41, s[4:5]
	flat_load_dword v6, v[6:7]
	s_waitcnt vmcnt(0) lgkmcnt(0)
	v_cmp_ne_u16_sdwa s[4:5], v6, v23 src0_sel:BYTE_0 src1_sel:DWORD
	s_and_saveexec_b64 s[24:25], s[4:5]
	s_cbranch_execz .LBB255_1389
; %bb.1384:                             ;   in Loop: Header=BB255_811 Depth=1
	v_bfrev_b32_e32 v8, 1
	v_cmp_ne_u16_sdwa s[4:5], v6, s7 src0_sel:BYTE_0 src1_sel:DWORD
	v_mov_b32_e32 v9, 0
	s_and_saveexec_b64 s[26:27], s[4:5]
	s_cbranch_execz .LBB255_1388
; %bb.1385:                             ;   in Loop: Header=BB255_811 Depth=1
	v_and_b32_e32 v7, 0x7f, v6
	v_mov_b32_e32 v8, 0x7f800001
	v_cmp_ne_u32_e64 s[4:5], s15, v7
	v_mov_b32_e32 v9, 0
	s_and_saveexec_b64 s[28:29], s[4:5]
	s_cbranch_execz .LBB255_1387
; %bb.1386:                             ;   in Loop: Header=BB255_811 Depth=1
	v_and_b32_e32 v12, 7, v6
	v_lshrrev_b32_e32 v13, 3, v7
	v_cmp_gt_u32_e64 s[4:5], 8, v7
	v_ffbh_u32_e32 v7, v12
	v_min_u32_e32 v7, 32, v7
	v_subrev_u32_e32 v8, 28, v7
	v_lshlrev_b64 v[8:9], v8, v[6:7]
	v_sub_u32_e32 v7, 29, v7
	v_and_b32_e32 v8, 7, v8
	v_cndmask_b32_e64 v7, v13, v7, s[4:5]
	v_cndmask_b32_e64 v8, v12, v8, s[4:5]
	v_bfrev_b32_e32 v4, 60
	v_lshlrev_b32_e32 v8, 20, v8
	v_and_b32_sdwa v9, sext(v6), s11 dst_sel:DWORD dst_unused:UNUSED_PAD src0_sel:BYTE_0 src1_sel:DWORD
	v_lshl_add_u32 v7, v7, 23, v4
	v_or3_b32 v22, v9, v7, v8
	v_pk_mov_b32 v[8:9], v[22:23], v[22:23] op_sel:[0,1]
.LBB255_1387:                           ;   in Loop: Header=BB255_811 Depth=1
	s_or_b64 exec, exec, s[28:29]
.LBB255_1388:                           ;   in Loop: Header=BB255_811 Depth=1
	s_or_b64 exec, exec, s[26:27]
.LBB255_1389:                           ;   in Loop: Header=BB255_811 Depth=1
	s_or_b64 exec, exec, s[24:25]
	v_cmp_ne_u16_sdwa s[4:5], v6, v23 src0_sel:BYTE_1 src1_sel:DWORD
	s_and_saveexec_b64 s[24:25], s[4:5]
	s_cbranch_execz .LBB255_1395
; %bb.1390:                             ;   in Loop: Header=BB255_811 Depth=1
	v_cmp_ne_u16_sdwa s[4:5], v6, s7 src0_sel:BYTE_1 src1_sel:DWORD
	v_pk_mov_b32 v[10:11], s[10:11], s[10:11] op_sel:[0,1]
	s_and_saveexec_b64 s[26:27], s[4:5]
	s_cbranch_execz .LBB255_1394
; %bb.1391:                             ;   in Loop: Header=BB255_811 Depth=1
	v_and_b32_sdwa v7, v6, s15 dst_sel:DWORD dst_unused:UNUSED_PAD src0_sel:BYTE_1 src1_sel:DWORD
	s_mov_b32 s22, s10
	v_cmp_ne_u32_e64 s[4:5], s15, v7
	v_pk_mov_b32 v[10:11], s[22:23], s[22:23] op_sel:[0,1]
	s_and_saveexec_b64 s[28:29], s[4:5]
	s_cbranch_execz .LBB255_1393
; %bb.1392:                             ;   in Loop: Header=BB255_811 Depth=1
	v_mov_b32_e32 v4, 7
	v_and_b32_sdwa v22, v6, v4 dst_sel:DWORD dst_unused:UNUSED_PAD src0_sel:BYTE_1 src1_sel:DWORD
	v_lshrrev_b32_e32 v12, 3, v7
	v_cmp_gt_u32_e64 s[4:5], 8, v7
	v_ffbh_u32_e32 v7, v22
	v_min_u32_e32 v7, 32, v7
	v_subrev_u32_e32 v10, 28, v7
	v_lshlrev_b64 v[10:11], v10, v[22:23]
	v_sub_u32_e32 v7, 29, v7
	v_and_b32_e32 v10, 7, v10
	v_cndmask_b32_e64 v7, v12, v7, s[4:5]
	v_bfrev_b32_e32 v4, 60
	v_cndmask_b32_e64 v10, v22, v10, s[4:5]
	v_lshlrev_b32_e32 v11, 16, v6
	v_lshl_add_u32 v7, v7, 23, v4
	v_and_or_b32 v7, v11, s11, v7
	v_lshlrev_b32_e32 v10, 20, v10
	v_or_b32_e32 v11, v7, v10
	v_mov_b32_e32 v10, v23
.LBB255_1393:                           ;   in Loop: Header=BB255_811 Depth=1
	s_or_b64 exec, exec, s[28:29]
.LBB255_1394:                           ;   in Loop: Header=BB255_811 Depth=1
	s_or_b64 exec, exec, s[26:27]
.LBB255_1395:                           ;   in Loop: Header=BB255_811 Depth=1
	s_or_b64 exec, exec, s[24:25]
	v_lshrrev_b32_e32 v16, 16, v6
	v_pk_mov_b32 v[14:15], 0, 0
	v_cmp_ne_u16_sdwa s[4:5], v16, v23 src0_sel:BYTE_0 src1_sel:DWORD
	v_pk_mov_b32 v[12:13], v[14:15], v[14:15] op_sel:[0,1]
	s_and_saveexec_b64 s[24:25], s[4:5]
	s_cbranch_execz .LBB255_1401
; %bb.1396:                             ;   in Loop: Header=BB255_811 Depth=1
	v_bfrev_b32_e32 v12, 1
	v_cmp_ne_u16_sdwa s[4:5], v16, s7 src0_sel:BYTE_0 src1_sel:DWORD
	v_mov_b32_e32 v13, 0
	s_and_saveexec_b64 s[26:27], s[4:5]
	s_cbranch_execz .LBB255_1400
; %bb.1397:                             ;   in Loop: Header=BB255_811 Depth=1
	v_bfe_u32 v7, v6, 16, 7
	v_mov_b32_e32 v12, 0x7f800001
	v_cmp_ne_u32_e64 s[4:5], s15, v7
	v_mov_b32_e32 v13, 0
	s_and_saveexec_b64 s[28:29], s[4:5]
	s_cbranch_execz .LBB255_1399
; %bb.1398:                             ;   in Loop: Header=BB255_811 Depth=1
	v_and_b32_e32 v17, 7, v16
	v_lshrrev_b32_e32 v18, 3, v7
	v_cmp_gt_u32_e64 s[4:5], 8, v7
	v_ffbh_u32_e32 v7, v17
	v_min_u32_e32 v7, 32, v7
	v_subrev_u32_e32 v12, 28, v7
	v_lshlrev_b64 v[12:13], v12, v[16:17]
	v_sub_u32_e32 v7, 29, v7
	v_and_b32_e32 v12, 7, v12
	v_cndmask_b32_e64 v7, v18, v7, s[4:5]
	v_cndmask_b32_e64 v12, v17, v12, s[4:5]
	v_bfrev_b32_e32 v4, 60
	v_lshlrev_b32_e32 v12, 20, v12
	v_and_b32_sdwa v13, sext(v16), s11 dst_sel:DWORD dst_unused:UNUSED_PAD src0_sel:BYTE_0 src1_sel:DWORD
	v_lshl_add_u32 v7, v7, 23, v4
	v_or3_b32 v22, v13, v7, v12
	v_pk_mov_b32 v[12:13], v[22:23], v[22:23] op_sel:[0,1]
.LBB255_1399:                           ;   in Loop: Header=BB255_811 Depth=1
	s_or_b64 exec, exec, s[28:29]
.LBB255_1400:                           ;   in Loop: Header=BB255_811 Depth=1
	s_or_b64 exec, exec, s[26:27]
.LBB255_1401:                           ;   in Loop: Header=BB255_811 Depth=1
	s_or_b64 exec, exec, s[24:25]
	v_cmp_lt_u32_e64 s[4:5], s30, v6
	s_and_saveexec_b64 s[24:25], s[4:5]
	s_cbranch_execz .LBB255_1407
; %bb.1402:                             ;   in Loop: Header=BB255_811 Depth=1
	v_cmp_ne_u32_sdwa s[4:5], v6, s7 src0_sel:BYTE_3 src1_sel:DWORD
	v_pk_mov_b32 v[14:15], s[10:11], s[10:11] op_sel:[0,1]
	s_and_saveexec_b64 s[26:27], s[4:5]
	s_cbranch_execz .LBB255_1406
; %bb.1403:                             ;   in Loop: Header=BB255_811 Depth=1
	v_bfe_u32 v7, v6, 24, 7
	s_mov_b32 s22, s10
	v_cmp_ne_u32_e64 s[4:5], s15, v7
	v_pk_mov_b32 v[14:15], s[22:23], s[22:23] op_sel:[0,1]
	s_and_saveexec_b64 s[28:29], s[4:5]
	s_cbranch_execz .LBB255_1405
; %bb.1404:                             ;   in Loop: Header=BB255_811 Depth=1
	v_mov_b32_e32 v4, 7
	v_and_b32_sdwa v22, v6, v4 dst_sel:DWORD dst_unused:UNUSED_PAD src0_sel:BYTE_3 src1_sel:DWORD
	v_lshrrev_b32_e32 v16, 3, v7
	v_cmp_gt_u32_e64 s[4:5], 8, v7
	v_ffbh_u32_e32 v7, v22
	v_min_u32_e32 v7, 32, v7
	v_subrev_u32_e32 v14, 28, v7
	v_lshlrev_b64 v[14:15], v14, v[22:23]
	v_sub_u32_e32 v7, 29, v7
	v_mov_b32_e32 v4, 24
	v_and_b32_e32 v14, 7, v14
	v_cndmask_b32_e64 v7, v16, v7, s[4:5]
	v_lshlrev_b32_sdwa v6, v4, v6 dst_sel:DWORD dst_unused:UNUSED_PAD src0_sel:DWORD src1_sel:BYTE_3
	v_bfrev_b32_e32 v4, 60
	v_cndmask_b32_e64 v14, v22, v14, s[4:5]
	v_lshl_add_u32 v7, v7, 23, v4
	v_and_or_b32 v6, v6, s11, v7
	v_lshlrev_b32_e32 v7, 20, v14
	v_or_b32_e32 v15, v6, v7
	v_mov_b32_e32 v14, v23
.LBB255_1405:                           ;   in Loop: Header=BB255_811 Depth=1
	s_or_b64 exec, exec, s[28:29]
.LBB255_1406:                           ;   in Loop: Header=BB255_811 Depth=1
	s_or_b64 exec, exec, s[26:27]
.LBB255_1407:                           ;   in Loop: Header=BB255_811 Depth=1
	s_or_b64 exec, exec, s[24:25]
	v_or_b32_e32 v7, v11, v9
	v_or_b32_e32 v6, v10, v8
	v_pk_mul_f32 v[10:11], v[50:51], v[6:7]
	v_or_b32_e32 v7, v15, v13
	v_or_b32_e32 v6, v14, v12
	v_pk_mul_f32 v[6:7], v[50:51], v[6:7]
	s_and_saveexec_b64 s[24:25], vcc
; %bb.1408:                             ;   in Loop: Header=BB255_811 Depth=1
	v_accvgpr_read_b32 v4, a9
	v_cmp_lt_i32_e64 s[4:5], v4, v62
	v_accvgpr_read_b32 v4, a53
	v_cndmask_b32_e64 v10, 0, v10, s[4:5]
	v_cmp_lt_i32_e64 s[4:5], v4, v62
	v_accvgpr_read_b32 v4, a51
	v_cndmask_b32_e64 v11, 0, v11, s[4:5]
	v_cmp_lt_i32_e64 s[4:5], v4, v62
	v_cndmask_b32_e64 v6, 0, v6, s[4:5]
	v_cmp_lt_i32_e64 s[4:5], v42, v62
	v_cndmask_b32_e64 v7, 0, v7, s[4:5]
; %bb.1409:                             ;   in Loop: Header=BB255_811 Depth=1
	s_or_b64 exec, exec, s[24:25]
	buffer_load_dword v4, off, s[0:3], s32 offset:564 ; 4-byte Folded Reload
	buffer_load_dword v5, off, s[0:3], s32 offset:568 ; 4-byte Folded Reload
	v_pk_mov_b32 v[16:17], 0, 0
	v_pk_mov_b32 v[12:13], v[16:17], v[16:17] op_sel:[0,1]
	s_waitcnt vmcnt(1)
	v_add_co_u32_e64 v8, s[4:5], v40, v4
	v_addc_co_u32_e64 v9, s[4:5], 0, v41, s[4:5]
	flat_load_dword v8, v[8:9]
	s_waitcnt vmcnt(0) lgkmcnt(0)
	v_cmp_ne_u16_sdwa s[4:5], v8, v23 src0_sel:BYTE_0 src1_sel:DWORD
	s_and_saveexec_b64 s[24:25], s[4:5]
	s_cbranch_execz .LBB255_1415
; %bb.1410:                             ;   in Loop: Header=BB255_811 Depth=1
	v_bfrev_b32_e32 v12, 1
	v_cmp_ne_u16_sdwa s[4:5], v8, s7 src0_sel:BYTE_0 src1_sel:DWORD
	v_mov_b32_e32 v13, 0
	s_and_saveexec_b64 s[26:27], s[4:5]
	s_cbranch_execz .LBB255_1414
; %bb.1411:                             ;   in Loop: Header=BB255_811 Depth=1
	v_and_b32_e32 v9, 0x7f, v8
	v_mov_b32_e32 v12, 0x7f800001
	v_cmp_ne_u32_e64 s[4:5], s15, v9
	v_mov_b32_e32 v13, 0
	s_and_saveexec_b64 s[28:29], s[4:5]
	s_cbranch_execz .LBB255_1413
; %bb.1412:                             ;   in Loop: Header=BB255_811 Depth=1
	v_and_b32_e32 v14, 7, v8
	v_lshrrev_b32_e32 v15, 3, v9
	v_cmp_gt_u32_e64 s[4:5], 8, v9
	v_ffbh_u32_e32 v9, v14
	v_min_u32_e32 v9, 32, v9
	v_subrev_u32_e32 v12, 28, v9
	v_lshlrev_b64 v[12:13], v12, v[8:9]
	v_sub_u32_e32 v9, 29, v9
	v_and_b32_e32 v12, 7, v12
	v_cndmask_b32_e64 v9, v15, v9, s[4:5]
	v_cndmask_b32_e64 v12, v14, v12, s[4:5]
	v_bfrev_b32_e32 v4, 60
	v_lshlrev_b32_e32 v12, 20, v12
	v_and_b32_sdwa v13, sext(v8), s11 dst_sel:DWORD dst_unused:UNUSED_PAD src0_sel:BYTE_0 src1_sel:DWORD
	v_lshl_add_u32 v9, v9, 23, v4
	v_or3_b32 v22, v13, v9, v12
	v_pk_mov_b32 v[12:13], v[22:23], v[22:23] op_sel:[0,1]
.LBB255_1413:                           ;   in Loop: Header=BB255_811 Depth=1
	s_or_b64 exec, exec, s[28:29]
.LBB255_1414:                           ;   in Loop: Header=BB255_811 Depth=1
	s_or_b64 exec, exec, s[26:27]
.LBB255_1415:                           ;   in Loop: Header=BB255_811 Depth=1
	s_or_b64 exec, exec, s[24:25]
	v_cmp_ne_u16_sdwa s[4:5], v8, v23 src0_sel:BYTE_1 src1_sel:DWORD
	s_and_saveexec_b64 s[24:25], s[4:5]
	s_cbranch_execz .LBB255_1421
; %bb.1416:                             ;   in Loop: Header=BB255_811 Depth=1
	v_cmp_ne_u16_sdwa s[4:5], v8, s7 src0_sel:BYTE_1 src1_sel:DWORD
	v_pk_mov_b32 v[16:17], s[10:11], s[10:11] op_sel:[0,1]
	s_and_saveexec_b64 s[26:27], s[4:5]
	s_cbranch_execz .LBB255_1420
; %bb.1417:                             ;   in Loop: Header=BB255_811 Depth=1
	v_and_b32_sdwa v9, v8, s15 dst_sel:DWORD dst_unused:UNUSED_PAD src0_sel:BYTE_1 src1_sel:DWORD
	s_mov_b32 s22, s10
	v_cmp_ne_u32_e64 s[4:5], s15, v9
	v_pk_mov_b32 v[16:17], s[22:23], s[22:23] op_sel:[0,1]
	s_and_saveexec_b64 s[28:29], s[4:5]
	s_cbranch_execz .LBB255_1419
; %bb.1418:                             ;   in Loop: Header=BB255_811 Depth=1
	v_mov_b32_e32 v4, 7
	v_and_b32_sdwa v22, v8, v4 dst_sel:DWORD dst_unused:UNUSED_PAD src0_sel:BYTE_1 src1_sel:DWORD
	v_lshrrev_b32_e32 v16, 3, v9
	v_cmp_gt_u32_e64 s[4:5], 8, v9
	v_ffbh_u32_e32 v9, v22
	v_min_u32_e32 v9, 32, v9
	v_subrev_u32_e32 v14, 28, v9
	v_lshlrev_b64 v[14:15], v14, v[22:23]
	v_sub_u32_e32 v9, 29, v9
	v_and_b32_e32 v14, 7, v14
	v_cndmask_b32_e64 v9, v16, v9, s[4:5]
	v_bfrev_b32_e32 v4, 60
	v_cndmask_b32_e64 v14, v22, v14, s[4:5]
	v_lshlrev_b32_e32 v15, 16, v8
	v_lshl_add_u32 v9, v9, 23, v4
	v_and_or_b32 v9, v15, s11, v9
	v_lshlrev_b32_e32 v14, 20, v14
	v_or_b32_e32 v17, v9, v14
	v_mov_b32_e32 v16, v23
.LBB255_1419:                           ;   in Loop: Header=BB255_811 Depth=1
	s_or_b64 exec, exec, s[28:29]
.LBB255_1420:                           ;   in Loop: Header=BB255_811 Depth=1
	s_or_b64 exec, exec, s[26:27]
.LBB255_1421:                           ;   in Loop: Header=BB255_811 Depth=1
	s_or_b64 exec, exec, s[24:25]
	v_lshrrev_b32_e32 v18, 16, v8
	v_pk_mov_b32 v[20:21], 0, 0
	v_cmp_ne_u16_sdwa s[4:5], v18, v23 src0_sel:BYTE_0 src1_sel:DWORD
	v_pk_mov_b32 v[14:15], v[20:21], v[20:21] op_sel:[0,1]
	s_and_saveexec_b64 s[24:25], s[4:5]
	s_cbranch_execz .LBB255_1427
; %bb.1422:                             ;   in Loop: Header=BB255_811 Depth=1
	v_bfrev_b32_e32 v14, 1
	v_cmp_ne_u16_sdwa s[4:5], v18, s7 src0_sel:BYTE_0 src1_sel:DWORD
	v_mov_b32_e32 v15, 0
	s_and_saveexec_b64 s[26:27], s[4:5]
	s_cbranch_execz .LBB255_1426
; %bb.1423:                             ;   in Loop: Header=BB255_811 Depth=1
	v_bfe_u32 v9, v8, 16, 7
	v_mov_b32_e32 v14, 0x7f800001
	v_cmp_ne_u32_e64 s[4:5], s15, v9
	v_mov_b32_e32 v15, 0
	s_and_saveexec_b64 s[28:29], s[4:5]
	s_cbranch_execz .LBB255_1425
; %bb.1424:                             ;   in Loop: Header=BB255_811 Depth=1
	v_and_b32_e32 v19, 7, v18
	v_lshrrev_b32_e32 v22, 3, v9
	v_cmp_gt_u32_e64 s[4:5], 8, v9
	v_ffbh_u32_e32 v9, v19
	v_min_u32_e32 v9, 32, v9
	v_subrev_u32_e32 v14, 28, v9
	v_lshlrev_b64 v[14:15], v14, v[18:19]
	v_sub_u32_e32 v9, 29, v9
	v_and_b32_e32 v14, 7, v14
	v_cndmask_b32_e64 v9, v22, v9, s[4:5]
	v_cndmask_b32_e64 v14, v19, v14, s[4:5]
	v_bfrev_b32_e32 v4, 60
	v_lshlrev_b32_e32 v14, 20, v14
	v_and_b32_sdwa v15, sext(v18), s11 dst_sel:DWORD dst_unused:UNUSED_PAD src0_sel:BYTE_0 src1_sel:DWORD
	v_lshl_add_u32 v9, v9, 23, v4
	v_or3_b32 v22, v15, v9, v14
	v_pk_mov_b32 v[14:15], v[22:23], v[22:23] op_sel:[0,1]
.LBB255_1425:                           ;   in Loop: Header=BB255_811 Depth=1
	s_or_b64 exec, exec, s[28:29]
.LBB255_1426:                           ;   in Loop: Header=BB255_811 Depth=1
	s_or_b64 exec, exec, s[26:27]
.LBB255_1427:                           ;   in Loop: Header=BB255_811 Depth=1
	s_or_b64 exec, exec, s[24:25]
	v_cmp_lt_u32_e64 s[4:5], s30, v8
	s_and_saveexec_b64 s[24:25], s[4:5]
	s_cbranch_execz .LBB255_1433
; %bb.1428:                             ;   in Loop: Header=BB255_811 Depth=1
	v_cmp_ne_u32_sdwa s[4:5], v8, s7 src0_sel:BYTE_3 src1_sel:DWORD
	v_pk_mov_b32 v[20:21], s[10:11], s[10:11] op_sel:[0,1]
	s_and_saveexec_b64 s[26:27], s[4:5]
	s_cbranch_execz .LBB255_1432
; %bb.1429:                             ;   in Loop: Header=BB255_811 Depth=1
	v_bfe_u32 v9, v8, 24, 7
	s_mov_b32 s22, s10
	v_cmp_ne_u32_e64 s[4:5], s15, v9
	v_pk_mov_b32 v[20:21], s[22:23], s[22:23] op_sel:[0,1]
	s_and_saveexec_b64 s[28:29], s[4:5]
	s_cbranch_execz .LBB255_1431
; %bb.1430:                             ;   in Loop: Header=BB255_811 Depth=1
	v_mov_b32_e32 v4, 7
	v_and_b32_sdwa v22, v8, v4 dst_sel:DWORD dst_unused:UNUSED_PAD src0_sel:BYTE_3 src1_sel:DWORD
	v_lshrrev_b32_e32 v20, 3, v9
	v_cmp_gt_u32_e64 s[4:5], 8, v9
	v_ffbh_u32_e32 v9, v22
	v_min_u32_e32 v9, 32, v9
	v_subrev_u32_e32 v18, 28, v9
	v_lshlrev_b64 v[18:19], v18, v[22:23]
	v_sub_u32_e32 v9, 29, v9
	v_mov_b32_e32 v4, 24
	v_and_b32_e32 v18, 7, v18
	v_cndmask_b32_e64 v9, v20, v9, s[4:5]
	v_lshlrev_b32_sdwa v8, v4, v8 dst_sel:DWORD dst_unused:UNUSED_PAD src0_sel:DWORD src1_sel:BYTE_3
	v_bfrev_b32_e32 v4, 60
	v_cndmask_b32_e64 v18, v22, v18, s[4:5]
	v_lshl_add_u32 v9, v9, 23, v4
	v_and_or_b32 v8, v8, s11, v9
	v_lshlrev_b32_e32 v9, 20, v18
	v_or_b32_e32 v21, v8, v9
	v_mov_b32_e32 v20, v23
.LBB255_1431:                           ;   in Loop: Header=BB255_811 Depth=1
	s_or_b64 exec, exec, s[28:29]
.LBB255_1432:                           ;   in Loop: Header=BB255_811 Depth=1
	s_or_b64 exec, exec, s[26:27]
.LBB255_1433:                           ;   in Loop: Header=BB255_811 Depth=1
	s_or_b64 exec, exec, s[24:25]
	v_or_b32_e32 v9, v17, v13
	v_or_b32_e32 v8, v16, v12
	;; [unrolled: 1-line block ×4, first 2 shown]
	v_pk_mul_f32 v[8:9], v[50:51], v[8:9]
	v_pk_mul_f32 v[12:13], v[50:51], v[12:13]
	s_and_saveexec_b64 s[24:25], vcc
; %bb.1434:                             ;   in Loop: Header=BB255_811 Depth=1
	v_accvgpr_read_b32 v4, a9
	v_cmp_lt_i32_e64 s[4:5], v4, v62
	v_accvgpr_read_b32 v4, a53
	v_cndmask_b32_e64 v8, 0, v8, s[4:5]
	v_cmp_lt_i32_e64 s[4:5], v4, v62
	v_accvgpr_read_b32 v4, a51
	v_cndmask_b32_e64 v9, 0, v9, s[4:5]
	v_cmp_lt_i32_e64 s[4:5], v4, v62
	v_cndmask_b32_e64 v12, 0, v12, s[4:5]
	v_cmp_lt_i32_e64 s[4:5], v42, v62
	v_cndmask_b32_e64 v13, 0, v13, s[4:5]
; %bb.1435:                             ;   in Loop: Header=BB255_811 Depth=1
	s_or_b64 exec, exec, s[24:25]
	buffer_load_dword v4, off, s[0:3], s32 offset:516 ; 4-byte Folded Reload
	buffer_load_dword v5, off, s[0:3], s32 offset:520 ; 4-byte Folded Reload
	v_pk_mov_b32 v[20:21], 0, 0
	v_pk_mov_b32 v[18:19], v[20:21], v[20:21] op_sel:[0,1]
	s_waitcnt vmcnt(1)
	v_add_co_u32_e64 v14, s[4:5], v40, v4
	v_addc_co_u32_e64 v15, s[4:5], 0, v41, s[4:5]
	flat_load_dword v16, v[14:15]
	s_waitcnt vmcnt(0) lgkmcnt(0)
	v_cmp_ne_u16_sdwa s[4:5], v16, v23 src0_sel:BYTE_0 src1_sel:DWORD
	s_and_saveexec_b64 s[24:25], s[4:5]
	s_cbranch_execz .LBB255_1441
; %bb.1436:                             ;   in Loop: Header=BB255_811 Depth=1
	v_bfrev_b32_e32 v18, 1
	v_cmp_ne_u16_sdwa s[4:5], v16, s7 src0_sel:BYTE_0 src1_sel:DWORD
	v_mov_b32_e32 v19, 0
	s_and_saveexec_b64 s[26:27], s[4:5]
	s_cbranch_execz .LBB255_1440
; %bb.1437:                             ;   in Loop: Header=BB255_811 Depth=1
	v_and_b32_e32 v14, 0x7f, v16
	v_mov_b32_e32 v18, 0x7f800001
	v_cmp_ne_u32_e64 s[4:5], s15, v14
	v_mov_b32_e32 v19, 0
	s_and_saveexec_b64 s[28:29], s[4:5]
	s_cbranch_execz .LBB255_1439
; %bb.1438:                             ;   in Loop: Header=BB255_811 Depth=1
	v_and_b32_e32 v17, 7, v16
	v_lshrrev_b32_e32 v18, 3, v14
	v_cmp_gt_u32_e64 s[4:5], 8, v14
	v_ffbh_u32_e32 v14, v17
	v_min_u32_e32 v19, 32, v14
	v_subrev_u32_e32 v14, 28, v19
	v_lshlrev_b64 v[14:15], v14, v[16:17]
	v_sub_u32_e32 v15, 29, v19
	v_and_b32_e32 v14, 7, v14
	v_cndmask_b32_e64 v15, v18, v15, s[4:5]
	v_cndmask_b32_e64 v14, v17, v14, s[4:5]
	v_bfrev_b32_e32 v4, 60
	v_lshlrev_b32_e32 v14, 20, v14
	v_and_b32_sdwa v17, sext(v16), s11 dst_sel:DWORD dst_unused:UNUSED_PAD src0_sel:BYTE_0 src1_sel:DWORD
	v_lshl_add_u32 v15, v15, 23, v4
	v_or3_b32 v22, v17, v15, v14
	v_pk_mov_b32 v[18:19], v[22:23], v[22:23] op_sel:[0,1]
.LBB255_1439:                           ;   in Loop: Header=BB255_811 Depth=1
	s_or_b64 exec, exec, s[28:29]
.LBB255_1440:                           ;   in Loop: Header=BB255_811 Depth=1
	s_or_b64 exec, exec, s[26:27]
.LBB255_1441:                           ;   in Loop: Header=BB255_811 Depth=1
	s_or_b64 exec, exec, s[24:25]
	v_cmp_ne_u16_sdwa s[4:5], v16, v23 src0_sel:BYTE_1 src1_sel:DWORD
	s_and_saveexec_b64 s[24:25], s[4:5]
	s_cbranch_execz .LBB255_1447
; %bb.1442:                             ;   in Loop: Header=BB255_811 Depth=1
	v_cmp_ne_u16_sdwa s[4:5], v16, s7 src0_sel:BYTE_1 src1_sel:DWORD
	v_pk_mov_b32 v[20:21], s[10:11], s[10:11] op_sel:[0,1]
	s_and_saveexec_b64 s[26:27], s[4:5]
	s_cbranch_execz .LBB255_1446
; %bb.1443:                             ;   in Loop: Header=BB255_811 Depth=1
	v_and_b32_sdwa v14, v16, s15 dst_sel:DWORD dst_unused:UNUSED_PAD src0_sel:BYTE_1 src1_sel:DWORD
	s_mov_b32 s22, s10
	v_cmp_ne_u32_e64 s[4:5], s15, v14
	v_pk_mov_b32 v[20:21], s[22:23], s[22:23] op_sel:[0,1]
	s_and_saveexec_b64 s[28:29], s[4:5]
	s_cbranch_execz .LBB255_1445
; %bb.1444:                             ;   in Loop: Header=BB255_811 Depth=1
	v_mov_b32_e32 v4, 7
	v_and_b32_sdwa v22, v16, v4 dst_sel:DWORD dst_unused:UNUSED_PAD src0_sel:BYTE_1 src1_sel:DWORD
	v_lshrrev_b32_e32 v17, 3, v14
	v_cmp_gt_u32_e64 s[4:5], 8, v14
	v_ffbh_u32_e32 v14, v22
	v_min_u32_e32 v20, 32, v14
	v_subrev_u32_e32 v14, 28, v20
	v_lshlrev_b64 v[14:15], v14, v[22:23]
	v_sub_u32_e32 v15, 29, v20
	v_and_b32_e32 v14, 7, v14
	v_cndmask_b32_e64 v15, v17, v15, s[4:5]
	v_bfrev_b32_e32 v4, 60
	v_cndmask_b32_e64 v14, v22, v14, s[4:5]
	v_lshlrev_b32_e32 v17, 16, v16
	v_lshl_add_u32 v15, v15, 23, v4
	v_and_or_b32 v15, v17, s11, v15
	v_lshlrev_b32_e32 v14, 20, v14
	v_or_b32_e32 v21, v15, v14
	v_mov_b32_e32 v20, v23
.LBB255_1445:                           ;   in Loop: Header=BB255_811 Depth=1
	s_or_b64 exec, exec, s[28:29]
.LBB255_1446:                           ;   in Loop: Header=BB255_811 Depth=1
	s_or_b64 exec, exec, s[26:27]
.LBB255_1447:                           ;   in Loop: Header=BB255_811 Depth=1
	s_or_b64 exec, exec, s[24:25]
	v_lshrrev_b32_e32 v22, 16, v16
	v_pk_mov_b32 v[24:25], 0, 0
	v_cmp_ne_u16_sdwa s[4:5], v22, v23 src0_sel:BYTE_0 src1_sel:DWORD
	v_pk_mov_b32 v[14:15], v[24:25], v[24:25] op_sel:[0,1]
	s_and_saveexec_b64 s[24:25], s[4:5]
	s_cbranch_execz .LBB255_1453
; %bb.1448:                             ;   in Loop: Header=BB255_811 Depth=1
	v_bfrev_b32_e32 v14, 1
	v_cmp_ne_u16_sdwa s[4:5], v22, s7 src0_sel:BYTE_0 src1_sel:DWORD
	v_mov_b32_e32 v15, 0
	s_and_saveexec_b64 s[26:27], s[4:5]
	s_cbranch_execz .LBB255_1452
; %bb.1449:                             ;   in Loop: Header=BB255_811 Depth=1
	v_bfe_u32 v17, v16, 16, 7
	v_mov_b32_e32 v14, 0x7f800001
	v_cmp_ne_u32_e64 s[4:5], s15, v17
	v_mov_b32_e32 v15, 0
	s_and_saveexec_b64 s[28:29], s[4:5]
	s_cbranch_execz .LBB255_1451
; %bb.1450:                             ;   in Loop: Header=BB255_811 Depth=1
	v_and_b32_e32 v26, 7, v22
	v_ffbh_u32_e32 v14, v26
	v_lshrrev_b32_e32 v27, 3, v17
	v_cmp_gt_u32_e64 s[4:5], 8, v17
	v_min_u32_e32 v17, 32, v14
	v_subrev_u32_e32 v14, 28, v17
	v_lshlrev_b64 v[14:15], v14, v[22:23]
	v_sub_u32_e32 v15, 29, v17
	v_and_b32_e32 v14, 7, v14
	v_cndmask_b32_e64 v15, v27, v15, s[4:5]
	v_cndmask_b32_e64 v14, v26, v14, s[4:5]
	v_bfrev_b32_e32 v4, 60
	v_lshlrev_b32_e32 v14, 20, v14
	v_and_b32_sdwa v17, sext(v22), s11 dst_sel:DWORD dst_unused:UNUSED_PAD src0_sel:BYTE_0 src1_sel:DWORD
	v_lshl_add_u32 v15, v15, 23, v4
	v_or3_b32 v22, v17, v15, v14
	v_pk_mov_b32 v[14:15], v[22:23], v[22:23] op_sel:[0,1]
.LBB255_1451:                           ;   in Loop: Header=BB255_811 Depth=1
	s_or_b64 exec, exec, s[28:29]
.LBB255_1452:                           ;   in Loop: Header=BB255_811 Depth=1
	s_or_b64 exec, exec, s[26:27]
.LBB255_1453:                           ;   in Loop: Header=BB255_811 Depth=1
	s_or_b64 exec, exec, s[24:25]
	v_cmp_lt_u32_e64 s[4:5], s30, v16
	s_and_saveexec_b64 s[24:25], s[4:5]
	s_cbranch_execz .LBB255_1459
; %bb.1454:                             ;   in Loop: Header=BB255_811 Depth=1
	v_cmp_ne_u32_sdwa s[4:5], v16, s7 src0_sel:BYTE_3 src1_sel:DWORD
	v_pk_mov_b32 v[24:25], s[10:11], s[10:11] op_sel:[0,1]
	s_and_saveexec_b64 s[26:27], s[4:5]
	s_cbranch_execz .LBB255_1458
; %bb.1455:                             ;   in Loop: Header=BB255_811 Depth=1
	v_bfe_u32 v17, v16, 24, 7
	s_mov_b32 s22, s10
	v_cmp_ne_u32_e64 s[4:5], s15, v17
	v_pk_mov_b32 v[24:25], s[22:23], s[22:23] op_sel:[0,1]
	s_and_saveexec_b64 s[28:29], s[4:5]
	s_cbranch_execz .LBB255_1457
; %bb.1456:                             ;   in Loop: Header=BB255_811 Depth=1
	v_mov_b32_e32 v4, 7
	v_and_b32_sdwa v22, v16, v4 dst_sel:DWORD dst_unused:UNUSED_PAD src0_sel:BYTE_3 src1_sel:DWORD
	v_lshrrev_b32_e32 v26, 3, v17
	v_cmp_gt_u32_e64 s[4:5], 8, v17
	v_ffbh_u32_e32 v17, v22
	v_min_u32_e32 v17, 32, v17
	v_subrev_u32_e32 v24, 28, v17
	v_lshlrev_b64 v[24:25], v24, v[22:23]
	v_sub_u32_e32 v17, 29, v17
	v_mov_b32_e32 v4, 24
	v_and_b32_e32 v24, 7, v24
	v_cndmask_b32_e64 v17, v26, v17, s[4:5]
	v_lshlrev_b32_sdwa v16, v4, v16 dst_sel:DWORD dst_unused:UNUSED_PAD src0_sel:DWORD src1_sel:BYTE_3
	v_bfrev_b32_e32 v4, 60
	v_cndmask_b32_e64 v22, v22, v24, s[4:5]
	v_lshl_add_u32 v17, v17, 23, v4
	v_and_or_b32 v16, v16, s11, v17
	v_lshlrev_b32_e32 v17, 20, v22
	v_or_b32_e32 v25, v16, v17
	v_mov_b32_e32 v24, v23
.LBB255_1457:                           ;   in Loop: Header=BB255_811 Depth=1
	s_or_b64 exec, exec, s[28:29]
.LBB255_1458:                           ;   in Loop: Header=BB255_811 Depth=1
	s_or_b64 exec, exec, s[26:27]
.LBB255_1459:                           ;   in Loop: Header=BB255_811 Depth=1
	s_or_b64 exec, exec, s[24:25]
	v_or_b32_e32 v17, v21, v19
	v_or_b32_e32 v16, v20, v18
	;; [unrolled: 1-line block ×4, first 2 shown]
	v_pk_mul_f32 v[16:17], v[50:51], v[16:17]
	v_pk_mul_f32 v[56:57], v[50:51], v[14:15]
	s_and_saveexec_b64 s[24:25], vcc
; %bb.1460:                             ;   in Loop: Header=BB255_811 Depth=1
	v_accvgpr_read_b32 v4, a9
	v_cmp_lt_i32_e64 s[4:5], v4, v62
	v_accvgpr_read_b32 v4, a53
	v_cndmask_b32_e64 v16, 0, v16, s[4:5]
	v_cmp_lt_i32_e64 s[4:5], v4, v62
	v_accvgpr_read_b32 v4, a51
	v_cndmask_b32_e64 v17, 0, v17, s[4:5]
	v_cmp_lt_i32_e64 s[4:5], v4, v62
	v_cndmask_b32_e64 v56, 0, v56, s[4:5]
	v_cmp_lt_i32_e64 s[4:5], v42, v62
	v_cndmask_b32_e64 v57, 0, v57, s[4:5]
; %bb.1461:                             ;   in Loop: Header=BB255_811 Depth=1
	s_or_b64 exec, exec, s[24:25]
	v_accvgpr_read_b32 v4, a50
	v_add_co_u32_e64 v14, s[4:5], v40, v4
	v_addc_co_u32_e64 v15, s[4:5], 0, v41, s[4:5]
	flat_load_dword v20, v[14:15]
	v_pk_mov_b32 v[24:25], 0, 0
	v_pk_mov_b32 v[18:19], v[24:25], v[24:25] op_sel:[0,1]
	s_waitcnt vmcnt(0) lgkmcnt(0)
	v_cmp_ne_u16_sdwa s[4:5], v20, v23 src0_sel:BYTE_0 src1_sel:DWORD
	s_and_saveexec_b64 s[24:25], s[4:5]
	s_cbranch_execz .LBB255_1467
; %bb.1462:                             ;   in Loop: Header=BB255_811 Depth=1
	v_bfrev_b32_e32 v18, 1
	v_cmp_ne_u16_sdwa s[4:5], v20, s7 src0_sel:BYTE_0 src1_sel:DWORD
	v_mov_b32_e32 v19, 0
	s_and_saveexec_b64 s[26:27], s[4:5]
	s_cbranch_execz .LBB255_1466
; %bb.1463:                             ;   in Loop: Header=BB255_811 Depth=1
	v_and_b32_e32 v14, 0x7f, v20
	v_mov_b32_e32 v18, 0x7f800001
	v_cmp_ne_u32_e64 s[4:5], s15, v14
	v_mov_b32_e32 v19, 0
	s_and_saveexec_b64 s[28:29], s[4:5]
	s_cbranch_execz .LBB255_1465
; %bb.1464:                             ;   in Loop: Header=BB255_811 Depth=1
	v_and_b32_e32 v18, 7, v20
	v_lshrrev_b32_e32 v19, 3, v14
	v_cmp_gt_u32_e64 s[4:5], 8, v14
	v_ffbh_u32_e32 v14, v18
	v_min_u32_e32 v21, 32, v14
	v_subrev_u32_e32 v14, 28, v21
	v_lshlrev_b64 v[14:15], v14, v[20:21]
	v_sub_u32_e32 v15, 29, v21
	v_and_b32_e32 v14, 7, v14
	v_cndmask_b32_e64 v15, v19, v15, s[4:5]
	v_cndmask_b32_e64 v14, v18, v14, s[4:5]
	v_bfrev_b32_e32 v4, 60
	v_lshlrev_b32_e32 v14, 20, v14
	v_and_b32_sdwa v18, sext(v20), s11 dst_sel:DWORD dst_unused:UNUSED_PAD src0_sel:BYTE_0 src1_sel:DWORD
	v_lshl_add_u32 v15, v15, 23, v4
	v_or3_b32 v22, v18, v15, v14
	v_pk_mov_b32 v[18:19], v[22:23], v[22:23] op_sel:[0,1]
.LBB255_1465:                           ;   in Loop: Header=BB255_811 Depth=1
	s_or_b64 exec, exec, s[28:29]
.LBB255_1466:                           ;   in Loop: Header=BB255_811 Depth=1
	s_or_b64 exec, exec, s[26:27]
.LBB255_1467:                           ;   in Loop: Header=BB255_811 Depth=1
	s_or_b64 exec, exec, s[24:25]
	v_cmp_ne_u16_sdwa s[4:5], v20, v23 src0_sel:BYTE_1 src1_sel:DWORD
	s_and_saveexec_b64 s[24:25], s[4:5]
	s_cbranch_execz .LBB255_1473
; %bb.1468:                             ;   in Loop: Header=BB255_811 Depth=1
	v_cmp_ne_u16_sdwa s[4:5], v20, s7 src0_sel:BYTE_1 src1_sel:DWORD
	v_pk_mov_b32 v[24:25], s[10:11], s[10:11] op_sel:[0,1]
	s_and_saveexec_b64 s[26:27], s[4:5]
	s_cbranch_execz .LBB255_1472
; %bb.1469:                             ;   in Loop: Header=BB255_811 Depth=1
	v_and_b32_sdwa v14, v20, s15 dst_sel:DWORD dst_unused:UNUSED_PAD src0_sel:BYTE_1 src1_sel:DWORD
	s_mov_b32 s22, s10
	v_cmp_ne_u32_e64 s[4:5], s15, v14
	v_pk_mov_b32 v[24:25], s[22:23], s[22:23] op_sel:[0,1]
	s_and_saveexec_b64 s[28:29], s[4:5]
	s_cbranch_execz .LBB255_1471
; %bb.1470:                             ;   in Loop: Header=BB255_811 Depth=1
	v_mov_b32_e32 v4, 7
	v_and_b32_sdwa v22, v20, v4 dst_sel:DWORD dst_unused:UNUSED_PAD src0_sel:BYTE_1 src1_sel:DWORD
	v_lshrrev_b32_e32 v21, 3, v14
	v_cmp_gt_u32_e64 s[4:5], 8, v14
	v_ffbh_u32_e32 v14, v22
	v_min_u32_e32 v24, 32, v14
	v_subrev_u32_e32 v14, 28, v24
	v_lshlrev_b64 v[14:15], v14, v[22:23]
	v_sub_u32_e32 v15, 29, v24
	v_and_b32_e32 v14, 7, v14
	v_cndmask_b32_e64 v15, v21, v15, s[4:5]
	v_bfrev_b32_e32 v4, 60
	v_cndmask_b32_e64 v14, v22, v14, s[4:5]
	v_lshlrev_b32_e32 v21, 16, v20
	v_lshl_add_u32 v15, v15, 23, v4
	v_and_or_b32 v15, v21, s11, v15
	v_lshlrev_b32_e32 v14, 20, v14
	v_or_b32_e32 v25, v15, v14
	v_mov_b32_e32 v24, v23
.LBB255_1471:                           ;   in Loop: Header=BB255_811 Depth=1
	s_or_b64 exec, exec, s[28:29]
.LBB255_1472:                           ;   in Loop: Header=BB255_811 Depth=1
	s_or_b64 exec, exec, s[26:27]
.LBB255_1473:                           ;   in Loop: Header=BB255_811 Depth=1
	s_or_b64 exec, exec, s[24:25]
	v_lshrrev_b32_e32 v22, 16, v20
	v_pk_mov_b32 v[26:27], 0, 0
	v_cmp_ne_u16_sdwa s[4:5], v22, v23 src0_sel:BYTE_0 src1_sel:DWORD
	v_pk_mov_b32 v[14:15], v[26:27], v[26:27] op_sel:[0,1]
	s_and_saveexec_b64 s[24:25], s[4:5]
	s_cbranch_execz .LBB255_1479
; %bb.1474:                             ;   in Loop: Header=BB255_811 Depth=1
	v_bfrev_b32_e32 v14, 1
	v_cmp_ne_u16_sdwa s[4:5], v22, s7 src0_sel:BYTE_0 src1_sel:DWORD
	v_mov_b32_e32 v15, 0
	s_and_saveexec_b64 s[26:27], s[4:5]
	s_cbranch_execz .LBB255_1478
; %bb.1475:                             ;   in Loop: Header=BB255_811 Depth=1
	v_bfe_u32 v21, v20, 16, 7
	v_mov_b32_e32 v14, 0x7f800001
	v_cmp_ne_u32_e64 s[4:5], s15, v21
	v_mov_b32_e32 v15, 0
	s_and_saveexec_b64 s[28:29], s[4:5]
	s_cbranch_execz .LBB255_1477
; %bb.1476:                             ;   in Loop: Header=BB255_811 Depth=1
	v_and_b32_e32 v28, 7, v22
	v_ffbh_u32_e32 v14, v28
	v_lshrrev_b32_e32 v29, 3, v21
	v_cmp_gt_u32_e64 s[4:5], 8, v21
	v_min_u32_e32 v21, 32, v14
	v_subrev_u32_e32 v14, 28, v21
	v_lshlrev_b64 v[14:15], v14, v[22:23]
	v_sub_u32_e32 v15, 29, v21
	v_and_b32_e32 v14, 7, v14
	v_cndmask_b32_e64 v15, v29, v15, s[4:5]
	v_cndmask_b32_e64 v14, v28, v14, s[4:5]
	v_bfrev_b32_e32 v4, 60
	v_lshlrev_b32_e32 v14, 20, v14
	v_and_b32_sdwa v21, sext(v22), s11 dst_sel:DWORD dst_unused:UNUSED_PAD src0_sel:BYTE_0 src1_sel:DWORD
	v_lshl_add_u32 v15, v15, 23, v4
	v_or3_b32 v22, v21, v15, v14
	v_pk_mov_b32 v[14:15], v[22:23], v[22:23] op_sel:[0,1]
.LBB255_1477:                           ;   in Loop: Header=BB255_811 Depth=1
	s_or_b64 exec, exec, s[28:29]
.LBB255_1478:                           ;   in Loop: Header=BB255_811 Depth=1
	s_or_b64 exec, exec, s[26:27]
.LBB255_1479:                           ;   in Loop: Header=BB255_811 Depth=1
	s_or_b64 exec, exec, s[24:25]
	v_cmp_lt_u32_e64 s[4:5], s30, v20
	s_and_saveexec_b64 s[24:25], s[4:5]
	s_cbranch_execz .LBB255_1485
; %bb.1480:                             ;   in Loop: Header=BB255_811 Depth=1
	v_cmp_ne_u32_sdwa s[4:5], v20, s7 src0_sel:BYTE_3 src1_sel:DWORD
	v_pk_mov_b32 v[26:27], s[10:11], s[10:11] op_sel:[0,1]
	s_and_saveexec_b64 s[26:27], s[4:5]
	s_cbranch_execz .LBB255_1484
; %bb.1481:                             ;   in Loop: Header=BB255_811 Depth=1
	v_bfe_u32 v21, v20, 24, 7
	s_mov_b32 s22, s10
	v_cmp_ne_u32_e64 s[4:5], s15, v21
	v_pk_mov_b32 v[26:27], s[22:23], s[22:23] op_sel:[0,1]
	s_and_saveexec_b64 s[28:29], s[4:5]
	s_cbranch_execz .LBB255_1483
; %bb.1482:                             ;   in Loop: Header=BB255_811 Depth=1
	v_mov_b32_e32 v4, 7
	v_and_b32_sdwa v22, v20, v4 dst_sel:DWORD dst_unused:UNUSED_PAD src0_sel:BYTE_3 src1_sel:DWORD
	v_lshrrev_b32_e32 v28, 3, v21
	v_cmp_gt_u32_e64 s[4:5], 8, v21
	v_ffbh_u32_e32 v21, v22
	v_min_u32_e32 v21, 32, v21
	v_subrev_u32_e32 v26, 28, v21
	v_lshlrev_b64 v[26:27], v26, v[22:23]
	v_sub_u32_e32 v21, 29, v21
	v_mov_b32_e32 v4, 24
	v_and_b32_e32 v26, 7, v26
	v_cndmask_b32_e64 v21, v28, v21, s[4:5]
	v_lshlrev_b32_sdwa v20, v4, v20 dst_sel:DWORD dst_unused:UNUSED_PAD src0_sel:DWORD src1_sel:BYTE_3
	v_bfrev_b32_e32 v4, 60
	v_cndmask_b32_e64 v22, v22, v26, s[4:5]
	v_lshl_add_u32 v21, v21, 23, v4
	v_and_or_b32 v20, v20, s11, v21
	v_lshlrev_b32_e32 v21, 20, v22
	v_or_b32_e32 v27, v20, v21
	v_mov_b32_e32 v26, v23
.LBB255_1483:                           ;   in Loop: Header=BB255_811 Depth=1
	s_or_b64 exec, exec, s[28:29]
.LBB255_1484:                           ;   in Loop: Header=BB255_811 Depth=1
	s_or_b64 exec, exec, s[26:27]
.LBB255_1485:                           ;   in Loop: Header=BB255_811 Depth=1
	s_or_b64 exec, exec, s[24:25]
	v_or_b32_e32 v19, v25, v19
	v_or_b32_e32 v18, v24, v18
	;; [unrolled: 1-line block ×4, first 2 shown]
	v_pk_mul_f32 v[20:21], v[50:51], v[18:19]
	v_pk_mul_f32 v[58:59], v[50:51], v[14:15]
	s_and_saveexec_b64 s[24:25], vcc
; %bb.1486:                             ;   in Loop: Header=BB255_811 Depth=1
	v_accvgpr_read_b32 v4, a9
	v_cmp_lt_i32_e64 s[4:5], v4, v62
	v_accvgpr_read_b32 v4, a53
	v_cndmask_b32_e64 v20, 0, v20, s[4:5]
	v_cmp_lt_i32_e64 s[4:5], v4, v62
	v_accvgpr_read_b32 v4, a51
	v_cndmask_b32_e64 v21, 0, v21, s[4:5]
	v_cmp_lt_i32_e64 s[4:5], v4, v62
	v_cndmask_b32_e64 v58, 0, v58, s[4:5]
	v_cmp_lt_i32_e64 s[4:5], v42, v62
	v_cndmask_b32_e64 v59, 0, v59, s[4:5]
; %bb.1487:                             ;   in Loop: Header=BB255_811 Depth=1
	s_or_b64 exec, exec, s[24:25]
	v_accvgpr_read_b32 v4, a52
	v_add_co_u32_e64 v14, s[4:5], v40, v4
	v_addc_co_u32_e64 v15, s[4:5], 0, v41, s[4:5]
	flat_load_dword v24, v[14:15]
	v_pk_mov_b32 v[28:29], 0, 0
	v_pk_mov_b32 v[26:27], v[28:29], v[28:29] op_sel:[0,1]
	s_waitcnt vmcnt(0) lgkmcnt(0)
	v_cmp_ne_u16_sdwa s[4:5], v24, v23 src0_sel:BYTE_0 src1_sel:DWORD
	s_and_saveexec_b64 s[24:25], s[4:5]
	s_cbranch_execz .LBB255_1493
; %bb.1488:                             ;   in Loop: Header=BB255_811 Depth=1
	v_bfrev_b32_e32 v26, 1
	v_cmp_ne_u16_sdwa s[4:5], v24, s7 src0_sel:BYTE_0 src1_sel:DWORD
	v_mov_b32_e32 v27, 0
	s_and_saveexec_b64 s[26:27], s[4:5]
	s_cbranch_execz .LBB255_1492
; %bb.1489:                             ;   in Loop: Header=BB255_811 Depth=1
	v_and_b32_e32 v14, 0x7f, v24
	v_mov_b32_e32 v26, 0x7f800001
	v_cmp_ne_u32_e64 s[4:5], s15, v14
	v_mov_b32_e32 v27, 0
	s_and_saveexec_b64 s[28:29], s[4:5]
	s_cbranch_execz .LBB255_1491
; %bb.1490:                             ;   in Loop: Header=BB255_811 Depth=1
	v_and_b32_e32 v18, 7, v24
	v_lshrrev_b32_e32 v19, 3, v14
	v_cmp_gt_u32_e64 s[4:5], 8, v14
	v_ffbh_u32_e32 v14, v18
	v_min_u32_e32 v22, 32, v14
	v_subrev_u32_e32 v14, 28, v22
	v_lshlrev_b64 v[14:15], v14, v[24:25]
	v_sub_u32_e32 v15, 29, v22
	v_and_b32_e32 v14, 7, v14
	v_cndmask_b32_e64 v15, v19, v15, s[4:5]
	v_cndmask_b32_e64 v14, v18, v14, s[4:5]
	v_bfrev_b32_e32 v4, 60
	v_lshlrev_b32_e32 v14, 20, v14
	v_and_b32_sdwa v18, sext(v24), s11 dst_sel:DWORD dst_unused:UNUSED_PAD src0_sel:BYTE_0 src1_sel:DWORD
	v_lshl_add_u32 v15, v15, 23, v4
	v_or3_b32 v22, v18, v15, v14
	v_pk_mov_b32 v[26:27], v[22:23], v[22:23] op_sel:[0,1]
.LBB255_1491:                           ;   in Loop: Header=BB255_811 Depth=1
	s_or_b64 exec, exec, s[28:29]
.LBB255_1492:                           ;   in Loop: Header=BB255_811 Depth=1
	s_or_b64 exec, exec, s[26:27]
.LBB255_1493:                           ;   in Loop: Header=BB255_811 Depth=1
	s_or_b64 exec, exec, s[24:25]
	v_cmp_ne_u16_sdwa s[4:5], v24, v23 src0_sel:BYTE_1 src1_sel:DWORD
	s_and_saveexec_b64 s[24:25], s[4:5]
	s_cbranch_execz .LBB255_1499
; %bb.1494:                             ;   in Loop: Header=BB255_811 Depth=1
	v_cmp_ne_u16_sdwa s[4:5], v24, s7 src0_sel:BYTE_1 src1_sel:DWORD
	v_pk_mov_b32 v[28:29], s[10:11], s[10:11] op_sel:[0,1]
	s_and_saveexec_b64 s[26:27], s[4:5]
	s_cbranch_execz .LBB255_1498
; %bb.1495:                             ;   in Loop: Header=BB255_811 Depth=1
	v_and_b32_sdwa v14, v24, s15 dst_sel:DWORD dst_unused:UNUSED_PAD src0_sel:BYTE_1 src1_sel:DWORD
	s_mov_b32 s22, s10
	v_cmp_ne_u32_e64 s[4:5], s15, v14
	v_pk_mov_b32 v[28:29], s[22:23], s[22:23] op_sel:[0,1]
	s_and_saveexec_b64 s[28:29], s[4:5]
	s_cbranch_execz .LBB255_1497
; %bb.1496:                             ;   in Loop: Header=BB255_811 Depth=1
	v_mov_b32_e32 v4, 7
	v_and_b32_sdwa v22, v24, v4 dst_sel:DWORD dst_unused:UNUSED_PAD src0_sel:BYTE_1 src1_sel:DWORD
	v_lshrrev_b32_e32 v18, 3, v14
	v_cmp_gt_u32_e64 s[4:5], 8, v14
	v_ffbh_u32_e32 v14, v22
	v_min_u32_e32 v19, 32, v14
	v_subrev_u32_e32 v14, 28, v19
	v_lshlrev_b64 v[14:15], v14, v[22:23]
	v_sub_u32_e32 v15, 29, v19
	v_and_b32_e32 v14, 7, v14
	v_cndmask_b32_e64 v15, v18, v15, s[4:5]
	v_bfrev_b32_e32 v4, 60
	v_cndmask_b32_e64 v14, v22, v14, s[4:5]
	v_lshlrev_b32_e32 v18, 16, v24
	v_lshl_add_u32 v15, v15, 23, v4
	v_and_or_b32 v15, v18, s11, v15
	v_lshlrev_b32_e32 v14, 20, v14
	v_or_b32_e32 v29, v15, v14
	v_mov_b32_e32 v28, v23
.LBB255_1497:                           ;   in Loop: Header=BB255_811 Depth=1
	s_or_b64 exec, exec, s[28:29]
.LBB255_1498:                           ;   in Loop: Header=BB255_811 Depth=1
	s_or_b64 exec, exec, s[26:27]
.LBB255_1499:                           ;   in Loop: Header=BB255_811 Depth=1
	s_or_b64 exec, exec, s[24:25]
	v_lshrrev_b32_e32 v18, 16, v24
	v_pk_mov_b32 v[30:31], 0, 0
	v_cmp_ne_u16_sdwa s[4:5], v18, v23 src0_sel:BYTE_0 src1_sel:DWORD
	v_pk_mov_b32 v[14:15], v[30:31], v[30:31] op_sel:[0,1]
	s_and_saveexec_b64 s[24:25], s[4:5]
	s_cbranch_execz .LBB255_1505
; %bb.1500:                             ;   in Loop: Header=BB255_811 Depth=1
	v_bfrev_b32_e32 v14, 1
	v_cmp_ne_u16_sdwa s[4:5], v18, s7 src0_sel:BYTE_0 src1_sel:DWORD
	v_mov_b32_e32 v15, 0
	s_and_saveexec_b64 s[26:27], s[4:5]
	s_cbranch_execz .LBB255_1504
; %bb.1501:                             ;   in Loop: Header=BB255_811 Depth=1
	v_bfe_u32 v19, v24, 16, 7
	v_mov_b32_e32 v14, 0x7f800001
	v_cmp_ne_u32_e64 s[4:5], s15, v19
	v_mov_b32_e32 v15, 0
	s_and_saveexec_b64 s[28:29], s[4:5]
	s_cbranch_execz .LBB255_1503
; %bb.1502:                             ;   in Loop: Header=BB255_811 Depth=1
	v_and_b32_e32 v22, 7, v18
	v_ffbh_u32_e32 v14, v22
	v_lshrrev_b32_e32 v25, 3, v19
	v_cmp_gt_u32_e64 s[4:5], 8, v19
	v_min_u32_e32 v19, 32, v14
	v_subrev_u32_e32 v14, 28, v19
	v_lshlrev_b64 v[14:15], v14, v[18:19]
	v_sub_u32_e32 v15, 29, v19
	v_and_b32_e32 v14, 7, v14
	v_cndmask_b32_e64 v15, v25, v15, s[4:5]
	v_cndmask_b32_e64 v14, v22, v14, s[4:5]
	v_bfrev_b32_e32 v4, 60
	v_lshlrev_b32_e32 v14, 20, v14
	v_and_b32_sdwa v18, sext(v18), s11 dst_sel:DWORD dst_unused:UNUSED_PAD src0_sel:BYTE_0 src1_sel:DWORD
	v_lshl_add_u32 v15, v15, 23, v4
	v_or3_b32 v22, v18, v15, v14
	v_pk_mov_b32 v[14:15], v[22:23], v[22:23] op_sel:[0,1]
.LBB255_1503:                           ;   in Loop: Header=BB255_811 Depth=1
	s_or_b64 exec, exec, s[28:29]
.LBB255_1504:                           ;   in Loop: Header=BB255_811 Depth=1
	s_or_b64 exec, exec, s[26:27]
.LBB255_1505:                           ;   in Loop: Header=BB255_811 Depth=1
	s_or_b64 exec, exec, s[24:25]
	v_cmp_lt_u32_e64 s[4:5], s30, v24
	s_and_saveexec_b64 s[24:25], s[4:5]
	s_cbranch_execz .LBB255_1511
; %bb.1506:                             ;   in Loop: Header=BB255_811 Depth=1
	v_cmp_ne_u32_sdwa s[4:5], v24, s7 src0_sel:BYTE_3 src1_sel:DWORD
	v_pk_mov_b32 v[30:31], s[10:11], s[10:11] op_sel:[0,1]
	s_and_saveexec_b64 s[26:27], s[4:5]
	s_cbranch_execz .LBB255_1510
; %bb.1507:                             ;   in Loop: Header=BB255_811 Depth=1
	v_bfe_u32 v18, v24, 24, 7
	s_mov_b32 s22, s10
	v_cmp_ne_u32_e64 s[4:5], s15, v18
	v_pk_mov_b32 v[30:31], s[22:23], s[22:23] op_sel:[0,1]
	s_and_saveexec_b64 s[28:29], s[4:5]
	s_cbranch_execz .LBB255_1509
; %bb.1508:                             ;   in Loop: Header=BB255_811 Depth=1
	v_mov_b32_e32 v4, 7
	v_and_b32_sdwa v22, v24, v4 dst_sel:DWORD dst_unused:UNUSED_PAD src0_sel:BYTE_3 src1_sel:DWORD
	v_lshrrev_b32_e32 v25, 3, v18
	v_cmp_gt_u32_e64 s[4:5], 8, v18
	v_ffbh_u32_e32 v18, v22
	v_min_u32_e32 v30, 32, v18
	v_subrev_u32_e32 v18, 28, v30
	v_lshlrev_b64 v[18:19], v18, v[22:23]
	v_sub_u32_e32 v19, 29, v30
	v_and_b32_e32 v18, 7, v18
	v_mov_b32_e32 v4, 24
	v_cndmask_b32_e64 v19, v25, v19, s[4:5]
	v_cndmask_b32_e64 v18, v22, v18, s[4:5]
	v_lshlrev_b32_sdwa v22, v4, v24 dst_sel:DWORD dst_unused:UNUSED_PAD src0_sel:DWORD src1_sel:BYTE_3
	v_bfrev_b32_e32 v4, 60
	v_lshl_add_u32 v19, v19, 23, v4
	v_and_or_b32 v19, v22, s11, v19
	v_lshlrev_b32_e32 v18, 20, v18
	v_or_b32_e32 v31, v19, v18
	v_mov_b32_e32 v30, v23
.LBB255_1509:                           ;   in Loop: Header=BB255_811 Depth=1
	s_or_b64 exec, exec, s[28:29]
.LBB255_1510:                           ;   in Loop: Header=BB255_811 Depth=1
	s_or_b64 exec, exec, s[26:27]
.LBB255_1511:                           ;   in Loop: Header=BB255_811 Depth=1
	s_or_b64 exec, exec, s[24:25]
	v_or_b32_e32 v19, v29, v27
	v_or_b32_e32 v18, v28, v26
	;; [unrolled: 1-line block ×4, first 2 shown]
	v_pk_mul_f32 v[24:25], v[50:51], v[18:19]
	v_pk_mul_f32 v[26:27], v[50:51], v[14:15]
	s_and_saveexec_b64 s[24:25], vcc
; %bb.1512:                             ;   in Loop: Header=BB255_811 Depth=1
	v_accvgpr_read_b32 v4, a9
	v_cmp_lt_i32_e64 s[4:5], v4, v62
	v_accvgpr_read_b32 v4, a53
	v_cndmask_b32_e64 v24, 0, v24, s[4:5]
	v_cmp_lt_i32_e64 s[4:5], v4, v62
	v_accvgpr_read_b32 v4, a51
	v_cndmask_b32_e64 v25, 0, v25, s[4:5]
	v_cmp_lt_i32_e64 s[4:5], v4, v62
	v_cndmask_b32_e64 v26, 0, v26, s[4:5]
	v_cmp_lt_i32_e64 s[4:5], v42, v62
	v_cndmask_b32_e64 v27, 0, v27, s[4:5]
; %bb.1513:                             ;   in Loop: Header=BB255_811 Depth=1
	s_or_b64 exec, exec, s[24:25]
	buffer_load_dword v4, off, s[0:3], s32 offset:524 ; 4-byte Folded Reload
	buffer_load_dword v5, off, s[0:3], s32 offset:528 ; 4-byte Folded Reload
	v_pk_mov_b32 v[32:33], 0, 0
	v_pk_mov_b32 v[30:31], v[32:33], v[32:33] op_sel:[0,1]
	s_waitcnt vmcnt(1)
	v_add_co_u32_e64 v14, s[4:5], v40, v4
	v_addc_co_u32_e64 v15, s[4:5], 0, v41, s[4:5]
	flat_load_dword v28, v[14:15]
	s_waitcnt vmcnt(0) lgkmcnt(0)
	v_cmp_ne_u16_sdwa s[4:5], v28, v23 src0_sel:BYTE_0 src1_sel:DWORD
	s_and_saveexec_b64 s[24:25], s[4:5]
	s_cbranch_execz .LBB255_1519
; %bb.1514:                             ;   in Loop: Header=BB255_811 Depth=1
	v_bfrev_b32_e32 v30, 1
	v_cmp_ne_u16_sdwa s[4:5], v28, s7 src0_sel:BYTE_0 src1_sel:DWORD
	v_mov_b32_e32 v31, 0
	s_and_saveexec_b64 s[26:27], s[4:5]
	s_cbranch_execz .LBB255_1518
; %bb.1515:                             ;   in Loop: Header=BB255_811 Depth=1
	v_and_b32_e32 v14, 0x7f, v28
	v_mov_b32_e32 v30, 0x7f800001
	v_cmp_ne_u32_e64 s[4:5], s15, v14
	v_mov_b32_e32 v31, 0
	s_and_saveexec_b64 s[28:29], s[4:5]
	s_cbranch_execz .LBB255_1517
; %bb.1516:                             ;   in Loop: Header=BB255_811 Depth=1
	v_and_b32_e32 v18, 7, v28
	v_lshrrev_b32_e32 v19, 3, v14
	v_cmp_gt_u32_e64 s[4:5], 8, v14
	v_ffbh_u32_e32 v14, v18
	v_min_u32_e32 v22, 32, v14
	v_subrev_u32_e32 v14, 28, v22
	v_lshlrev_b64 v[14:15], v14, v[28:29]
	v_sub_u32_e32 v15, 29, v22
	v_and_b32_e32 v14, 7, v14
	v_cndmask_b32_e64 v15, v19, v15, s[4:5]
	v_cndmask_b32_e64 v14, v18, v14, s[4:5]
	v_bfrev_b32_e32 v4, 60
	v_lshlrev_b32_e32 v14, 20, v14
	v_and_b32_sdwa v18, sext(v28), s11 dst_sel:DWORD dst_unused:UNUSED_PAD src0_sel:BYTE_0 src1_sel:DWORD
	v_lshl_add_u32 v15, v15, 23, v4
	v_or3_b32 v22, v18, v15, v14
	v_pk_mov_b32 v[30:31], v[22:23], v[22:23] op_sel:[0,1]
.LBB255_1517:                           ;   in Loop: Header=BB255_811 Depth=1
	s_or_b64 exec, exec, s[28:29]
.LBB255_1518:                           ;   in Loop: Header=BB255_811 Depth=1
	s_or_b64 exec, exec, s[26:27]
.LBB255_1519:                           ;   in Loop: Header=BB255_811 Depth=1
	s_or_b64 exec, exec, s[24:25]
	v_cmp_ne_u16_sdwa s[4:5], v28, v23 src0_sel:BYTE_1 src1_sel:DWORD
	s_and_saveexec_b64 s[24:25], s[4:5]
	s_cbranch_execz .LBB255_1525
; %bb.1520:                             ;   in Loop: Header=BB255_811 Depth=1
	v_cmp_ne_u16_sdwa s[4:5], v28, s7 src0_sel:BYTE_1 src1_sel:DWORD
	v_pk_mov_b32 v[32:33], s[10:11], s[10:11] op_sel:[0,1]
	s_and_saveexec_b64 s[26:27], s[4:5]
	s_cbranch_execz .LBB255_1524
; %bb.1521:                             ;   in Loop: Header=BB255_811 Depth=1
	v_and_b32_sdwa v14, v28, s15 dst_sel:DWORD dst_unused:UNUSED_PAD src0_sel:BYTE_1 src1_sel:DWORD
	s_mov_b32 s22, s10
	v_cmp_ne_u32_e64 s[4:5], s15, v14
	v_pk_mov_b32 v[32:33], s[22:23], s[22:23] op_sel:[0,1]
	s_and_saveexec_b64 s[28:29], s[4:5]
	s_cbranch_execz .LBB255_1523
; %bb.1522:                             ;   in Loop: Header=BB255_811 Depth=1
	v_mov_b32_e32 v4, 7
	v_and_b32_sdwa v22, v28, v4 dst_sel:DWORD dst_unused:UNUSED_PAD src0_sel:BYTE_1 src1_sel:DWORD
	v_lshrrev_b32_e32 v18, 3, v14
	v_cmp_gt_u32_e64 s[4:5], 8, v14
	v_ffbh_u32_e32 v14, v22
	v_min_u32_e32 v19, 32, v14
	v_subrev_u32_e32 v14, 28, v19
	v_lshlrev_b64 v[14:15], v14, v[22:23]
	v_sub_u32_e32 v15, 29, v19
	v_and_b32_e32 v14, 7, v14
	v_cndmask_b32_e64 v15, v18, v15, s[4:5]
	v_bfrev_b32_e32 v4, 60
	v_cndmask_b32_e64 v14, v22, v14, s[4:5]
	v_lshlrev_b32_e32 v18, 16, v28
	v_lshl_add_u32 v15, v15, 23, v4
	v_and_or_b32 v15, v18, s11, v15
	v_lshlrev_b32_e32 v14, 20, v14
	v_or_b32_e32 v33, v15, v14
	v_mov_b32_e32 v32, v23
.LBB255_1523:                           ;   in Loop: Header=BB255_811 Depth=1
	s_or_b64 exec, exec, s[28:29]
.LBB255_1524:                           ;   in Loop: Header=BB255_811 Depth=1
	s_or_b64 exec, exec, s[26:27]
.LBB255_1525:                           ;   in Loop: Header=BB255_811 Depth=1
	s_or_b64 exec, exec, s[24:25]
	v_lshrrev_b32_e32 v18, 16, v28
	v_pk_mov_b32 v[34:35], 0, 0
	v_cmp_ne_u16_sdwa s[4:5], v18, v23 src0_sel:BYTE_0 src1_sel:DWORD
	v_pk_mov_b32 v[14:15], v[34:35], v[34:35] op_sel:[0,1]
	s_and_saveexec_b64 s[24:25], s[4:5]
	s_cbranch_execz .LBB255_1531
; %bb.1526:                             ;   in Loop: Header=BB255_811 Depth=1
	v_bfrev_b32_e32 v14, 1
	v_cmp_ne_u16_sdwa s[4:5], v18, s7 src0_sel:BYTE_0 src1_sel:DWORD
	v_mov_b32_e32 v15, 0
	s_and_saveexec_b64 s[26:27], s[4:5]
	s_cbranch_execz .LBB255_1530
; %bb.1527:                             ;   in Loop: Header=BB255_811 Depth=1
	v_bfe_u32 v19, v28, 16, 7
	v_mov_b32_e32 v14, 0x7f800001
	v_cmp_ne_u32_e64 s[4:5], s15, v19
	v_mov_b32_e32 v15, 0
	s_and_saveexec_b64 s[28:29], s[4:5]
	s_cbranch_execz .LBB255_1529
; %bb.1528:                             ;   in Loop: Header=BB255_811 Depth=1
	v_and_b32_e32 v22, 7, v18
	v_ffbh_u32_e32 v14, v22
	v_lshrrev_b32_e32 v29, 3, v19
	v_cmp_gt_u32_e64 s[4:5], 8, v19
	v_min_u32_e32 v19, 32, v14
	v_subrev_u32_e32 v14, 28, v19
	v_lshlrev_b64 v[14:15], v14, v[18:19]
	v_sub_u32_e32 v15, 29, v19
	v_and_b32_e32 v14, 7, v14
	v_cndmask_b32_e64 v15, v29, v15, s[4:5]
	v_cndmask_b32_e64 v14, v22, v14, s[4:5]
	v_bfrev_b32_e32 v4, 60
	v_lshlrev_b32_e32 v14, 20, v14
	v_and_b32_sdwa v18, sext(v18), s11 dst_sel:DWORD dst_unused:UNUSED_PAD src0_sel:BYTE_0 src1_sel:DWORD
	v_lshl_add_u32 v15, v15, 23, v4
	v_or3_b32 v22, v18, v15, v14
	v_pk_mov_b32 v[14:15], v[22:23], v[22:23] op_sel:[0,1]
.LBB255_1529:                           ;   in Loop: Header=BB255_811 Depth=1
	s_or_b64 exec, exec, s[28:29]
.LBB255_1530:                           ;   in Loop: Header=BB255_811 Depth=1
	s_or_b64 exec, exec, s[26:27]
.LBB255_1531:                           ;   in Loop: Header=BB255_811 Depth=1
	s_or_b64 exec, exec, s[24:25]
	v_cmp_lt_u32_e64 s[4:5], s30, v28
	s_and_saveexec_b64 s[24:25], s[4:5]
	s_cbranch_execz .LBB255_1537
; %bb.1532:                             ;   in Loop: Header=BB255_811 Depth=1
	v_cmp_ne_u32_sdwa s[4:5], v28, s7 src0_sel:BYTE_3 src1_sel:DWORD
	v_pk_mov_b32 v[34:35], s[10:11], s[10:11] op_sel:[0,1]
	s_and_saveexec_b64 s[26:27], s[4:5]
	s_cbranch_execz .LBB255_1536
; %bb.1533:                             ;   in Loop: Header=BB255_811 Depth=1
	v_bfe_u32 v18, v28, 24, 7
	s_mov_b32 s22, s10
	v_cmp_ne_u32_e64 s[4:5], s15, v18
	v_pk_mov_b32 v[34:35], s[22:23], s[22:23] op_sel:[0,1]
	s_and_saveexec_b64 s[28:29], s[4:5]
	s_cbranch_execz .LBB255_1535
; %bb.1534:                             ;   in Loop: Header=BB255_811 Depth=1
	v_mov_b32_e32 v4, 7
	v_and_b32_sdwa v22, v28, v4 dst_sel:DWORD dst_unused:UNUSED_PAD src0_sel:BYTE_3 src1_sel:DWORD
	v_lshrrev_b32_e32 v29, 3, v18
	v_cmp_gt_u32_e64 s[4:5], 8, v18
	v_ffbh_u32_e32 v18, v22
	v_min_u32_e32 v34, 32, v18
	v_subrev_u32_e32 v18, 28, v34
	v_lshlrev_b64 v[18:19], v18, v[22:23]
	v_sub_u32_e32 v19, 29, v34
	v_and_b32_e32 v18, 7, v18
	v_mov_b32_e32 v4, 24
	v_cndmask_b32_e64 v19, v29, v19, s[4:5]
	v_cndmask_b32_e64 v18, v22, v18, s[4:5]
	v_lshlrev_b32_sdwa v22, v4, v28 dst_sel:DWORD dst_unused:UNUSED_PAD src0_sel:DWORD src1_sel:BYTE_3
	v_bfrev_b32_e32 v4, 60
	v_lshl_add_u32 v19, v19, 23, v4
	v_and_or_b32 v19, v22, s11, v19
	v_lshlrev_b32_e32 v18, 20, v18
	v_or_b32_e32 v35, v19, v18
	v_mov_b32_e32 v34, v23
.LBB255_1535:                           ;   in Loop: Header=BB255_811 Depth=1
	s_or_b64 exec, exec, s[28:29]
.LBB255_1536:                           ;   in Loop: Header=BB255_811 Depth=1
	s_or_b64 exec, exec, s[26:27]
.LBB255_1537:                           ;   in Loop: Header=BB255_811 Depth=1
	s_or_b64 exec, exec, s[24:25]
	v_or_b32_e32 v19, v33, v31
	v_or_b32_e32 v18, v32, v30
	;; [unrolled: 1-line block ×4, first 2 shown]
	v_pk_mul_f32 v[28:29], v[50:51], v[18:19]
	v_pk_mul_f32 v[30:31], v[50:51], v[14:15]
	s_and_saveexec_b64 s[24:25], vcc
; %bb.1538:                             ;   in Loop: Header=BB255_811 Depth=1
	v_accvgpr_read_b32 v4, a9
	v_cmp_lt_i32_e64 s[4:5], v4, v62
	v_accvgpr_read_b32 v4, a53
	v_cndmask_b32_e64 v28, 0, v28, s[4:5]
	v_cmp_lt_i32_e64 s[4:5], v4, v62
	v_accvgpr_read_b32 v4, a51
	v_cndmask_b32_e64 v29, 0, v29, s[4:5]
	v_cmp_lt_i32_e64 s[4:5], v4, v62
	v_cndmask_b32_e64 v30, 0, v30, s[4:5]
	v_cmp_lt_i32_e64 s[4:5], v42, v62
	v_cndmask_b32_e64 v31, 0, v31, s[4:5]
; %bb.1539:                             ;   in Loop: Header=BB255_811 Depth=1
	s_or_b64 exec, exec, s[24:25]
	buffer_load_dword v4, off, s[0:3], s32 offset:532 ; 4-byte Folded Reload
	buffer_load_dword v5, off, s[0:3], s32 offset:536 ; 4-byte Folded Reload
	v_pk_mov_b32 v[36:37], 0, 0
	v_pk_mov_b32 v[34:35], v[36:37], v[36:37] op_sel:[0,1]
	s_waitcnt vmcnt(1)
	v_add_co_u32_e64 v14, s[4:5], v40, v4
	v_addc_co_u32_e64 v15, s[4:5], 0, v41, s[4:5]
	flat_load_dword v32, v[14:15]
	s_waitcnt vmcnt(0) lgkmcnt(0)
	v_cmp_ne_u16_sdwa s[4:5], v32, v23 src0_sel:BYTE_0 src1_sel:DWORD
	s_and_saveexec_b64 s[24:25], s[4:5]
	s_cbranch_execz .LBB255_1545
; %bb.1540:                             ;   in Loop: Header=BB255_811 Depth=1
	v_bfrev_b32_e32 v34, 1
	v_cmp_ne_u16_sdwa s[4:5], v32, s7 src0_sel:BYTE_0 src1_sel:DWORD
	v_mov_b32_e32 v35, 0
	s_and_saveexec_b64 s[26:27], s[4:5]
	s_cbranch_execz .LBB255_1544
; %bb.1541:                             ;   in Loop: Header=BB255_811 Depth=1
	v_and_b32_e32 v14, 0x7f, v32
	v_mov_b32_e32 v34, 0x7f800001
	v_cmp_ne_u32_e64 s[4:5], s15, v14
	v_mov_b32_e32 v35, 0
	s_and_saveexec_b64 s[28:29], s[4:5]
	s_cbranch_execz .LBB255_1543
; %bb.1542:                             ;   in Loop: Header=BB255_811 Depth=1
	v_and_b32_e32 v18, 7, v32
	v_lshrrev_b32_e32 v19, 3, v14
	v_cmp_gt_u32_e64 s[4:5], 8, v14
	v_ffbh_u32_e32 v14, v18
	v_min_u32_e32 v22, 32, v14
	v_subrev_u32_e32 v14, 28, v22
	v_lshlrev_b64 v[14:15], v14, v[32:33]
	v_sub_u32_e32 v15, 29, v22
	v_and_b32_e32 v14, 7, v14
	v_cndmask_b32_e64 v15, v19, v15, s[4:5]
	v_cndmask_b32_e64 v14, v18, v14, s[4:5]
	v_bfrev_b32_e32 v4, 60
	v_lshlrev_b32_e32 v14, 20, v14
	v_and_b32_sdwa v18, sext(v32), s11 dst_sel:DWORD dst_unused:UNUSED_PAD src0_sel:BYTE_0 src1_sel:DWORD
	v_lshl_add_u32 v15, v15, 23, v4
	v_or3_b32 v22, v18, v15, v14
	v_pk_mov_b32 v[34:35], v[22:23], v[22:23] op_sel:[0,1]
.LBB255_1543:                           ;   in Loop: Header=BB255_811 Depth=1
	s_or_b64 exec, exec, s[28:29]
.LBB255_1544:                           ;   in Loop: Header=BB255_811 Depth=1
	s_or_b64 exec, exec, s[26:27]
.LBB255_1545:                           ;   in Loop: Header=BB255_811 Depth=1
	s_or_b64 exec, exec, s[24:25]
	v_cmp_ne_u16_sdwa s[4:5], v32, v23 src0_sel:BYTE_1 src1_sel:DWORD
	s_and_saveexec_b64 s[24:25], s[4:5]
	s_cbranch_execz .LBB255_1551
; %bb.1546:                             ;   in Loop: Header=BB255_811 Depth=1
	v_cmp_ne_u16_sdwa s[4:5], v32, s7 src0_sel:BYTE_1 src1_sel:DWORD
	v_pk_mov_b32 v[36:37], s[10:11], s[10:11] op_sel:[0,1]
	s_and_saveexec_b64 s[26:27], s[4:5]
	s_cbranch_execz .LBB255_1550
; %bb.1547:                             ;   in Loop: Header=BB255_811 Depth=1
	v_and_b32_sdwa v14, v32, s15 dst_sel:DWORD dst_unused:UNUSED_PAD src0_sel:BYTE_1 src1_sel:DWORD
	s_mov_b32 s22, s10
	v_cmp_ne_u32_e64 s[4:5], s15, v14
	v_pk_mov_b32 v[36:37], s[22:23], s[22:23] op_sel:[0,1]
	s_and_saveexec_b64 s[28:29], s[4:5]
	s_cbranch_execz .LBB255_1549
; %bb.1548:                             ;   in Loop: Header=BB255_811 Depth=1
	v_mov_b32_e32 v4, 7
	v_and_b32_sdwa v22, v32, v4 dst_sel:DWORD dst_unused:UNUSED_PAD src0_sel:BYTE_1 src1_sel:DWORD
	v_lshrrev_b32_e32 v18, 3, v14
	v_cmp_gt_u32_e64 s[4:5], 8, v14
	v_ffbh_u32_e32 v14, v22
	v_min_u32_e32 v19, 32, v14
	v_subrev_u32_e32 v14, 28, v19
	v_lshlrev_b64 v[14:15], v14, v[22:23]
	v_sub_u32_e32 v15, 29, v19
	v_and_b32_e32 v14, 7, v14
	v_cndmask_b32_e64 v15, v18, v15, s[4:5]
	v_bfrev_b32_e32 v4, 60
	v_cndmask_b32_e64 v14, v22, v14, s[4:5]
	v_lshlrev_b32_e32 v18, 16, v32
	v_lshl_add_u32 v15, v15, 23, v4
	v_and_or_b32 v15, v18, s11, v15
	v_lshlrev_b32_e32 v14, 20, v14
	v_or_b32_e32 v37, v15, v14
	v_mov_b32_e32 v36, v23
.LBB255_1549:                           ;   in Loop: Header=BB255_811 Depth=1
	s_or_b64 exec, exec, s[28:29]
.LBB255_1550:                           ;   in Loop: Header=BB255_811 Depth=1
	s_or_b64 exec, exec, s[26:27]
.LBB255_1551:                           ;   in Loop: Header=BB255_811 Depth=1
	s_or_b64 exec, exec, s[24:25]
	v_lshrrev_b32_e32 v18, 16, v32
	v_pk_mov_b32 v[38:39], 0, 0
	v_cmp_ne_u16_sdwa s[4:5], v18, v23 src0_sel:BYTE_0 src1_sel:DWORD
	v_pk_mov_b32 v[14:15], v[38:39], v[38:39] op_sel:[0,1]
	s_and_saveexec_b64 s[24:25], s[4:5]
	s_cbranch_execz .LBB255_1557
; %bb.1552:                             ;   in Loop: Header=BB255_811 Depth=1
	v_bfrev_b32_e32 v14, 1
	v_cmp_ne_u16_sdwa s[4:5], v18, s7 src0_sel:BYTE_0 src1_sel:DWORD
	v_mov_b32_e32 v15, 0
	s_and_saveexec_b64 s[26:27], s[4:5]
	s_cbranch_execz .LBB255_1556
; %bb.1553:                             ;   in Loop: Header=BB255_811 Depth=1
	v_bfe_u32 v19, v32, 16, 7
	v_mov_b32_e32 v14, 0x7f800001
	v_cmp_ne_u32_e64 s[4:5], s15, v19
	v_mov_b32_e32 v15, 0
	s_and_saveexec_b64 s[28:29], s[4:5]
	s_cbranch_execz .LBB255_1555
; %bb.1554:                             ;   in Loop: Header=BB255_811 Depth=1
	v_and_b32_e32 v22, 7, v18
	v_ffbh_u32_e32 v14, v22
	v_lshrrev_b32_e32 v33, 3, v19
	v_cmp_gt_u32_e64 s[4:5], 8, v19
	v_min_u32_e32 v19, 32, v14
	v_subrev_u32_e32 v14, 28, v19
	v_lshlrev_b64 v[14:15], v14, v[18:19]
	v_sub_u32_e32 v15, 29, v19
	v_and_b32_e32 v14, 7, v14
	v_cndmask_b32_e64 v15, v33, v15, s[4:5]
	v_cndmask_b32_e64 v14, v22, v14, s[4:5]
	v_bfrev_b32_e32 v4, 60
	v_lshlrev_b32_e32 v14, 20, v14
	v_and_b32_sdwa v18, sext(v18), s11 dst_sel:DWORD dst_unused:UNUSED_PAD src0_sel:BYTE_0 src1_sel:DWORD
	v_lshl_add_u32 v15, v15, 23, v4
	v_or3_b32 v22, v18, v15, v14
	v_pk_mov_b32 v[14:15], v[22:23], v[22:23] op_sel:[0,1]
.LBB255_1555:                           ;   in Loop: Header=BB255_811 Depth=1
	s_or_b64 exec, exec, s[28:29]
.LBB255_1556:                           ;   in Loop: Header=BB255_811 Depth=1
	s_or_b64 exec, exec, s[26:27]
.LBB255_1557:                           ;   in Loop: Header=BB255_811 Depth=1
	s_or_b64 exec, exec, s[24:25]
	v_cmp_lt_u32_e64 s[4:5], s30, v32
	s_and_saveexec_b64 s[24:25], s[4:5]
	s_cbranch_execz .LBB255_1563
; %bb.1558:                             ;   in Loop: Header=BB255_811 Depth=1
	v_cmp_ne_u32_sdwa s[4:5], v32, s7 src0_sel:BYTE_3 src1_sel:DWORD
	v_pk_mov_b32 v[38:39], s[10:11], s[10:11] op_sel:[0,1]
	s_and_saveexec_b64 s[26:27], s[4:5]
	s_cbranch_execz .LBB255_1562
; %bb.1559:                             ;   in Loop: Header=BB255_811 Depth=1
	v_bfe_u32 v18, v32, 24, 7
	s_mov_b32 s22, s10
	v_cmp_ne_u32_e64 s[4:5], s15, v18
	v_pk_mov_b32 v[38:39], s[22:23], s[22:23] op_sel:[0,1]
	s_and_saveexec_b64 s[28:29], s[4:5]
	s_cbranch_execz .LBB255_1561
; %bb.1560:                             ;   in Loop: Header=BB255_811 Depth=1
	v_mov_b32_e32 v4, 7
	v_and_b32_sdwa v22, v32, v4 dst_sel:DWORD dst_unused:UNUSED_PAD src0_sel:BYTE_3 src1_sel:DWORD
	v_lshrrev_b32_e32 v33, 3, v18
	v_cmp_gt_u32_e64 s[4:5], 8, v18
	v_ffbh_u32_e32 v18, v22
	v_min_u32_e32 v38, 32, v18
	v_subrev_u32_e32 v18, 28, v38
	v_lshlrev_b64 v[18:19], v18, v[22:23]
	v_sub_u32_e32 v19, 29, v38
	v_and_b32_e32 v18, 7, v18
	v_mov_b32_e32 v4, 24
	v_cndmask_b32_e64 v19, v33, v19, s[4:5]
	v_cndmask_b32_e64 v18, v22, v18, s[4:5]
	v_lshlrev_b32_sdwa v22, v4, v32 dst_sel:DWORD dst_unused:UNUSED_PAD src0_sel:DWORD src1_sel:BYTE_3
	v_bfrev_b32_e32 v4, 60
	v_lshl_add_u32 v19, v19, 23, v4
	v_and_or_b32 v19, v22, s11, v19
	v_lshlrev_b32_e32 v18, 20, v18
	v_or_b32_e32 v39, v19, v18
	v_mov_b32_e32 v38, v23
.LBB255_1561:                           ;   in Loop: Header=BB255_811 Depth=1
	s_or_b64 exec, exec, s[28:29]
.LBB255_1562:                           ;   in Loop: Header=BB255_811 Depth=1
	s_or_b64 exec, exec, s[26:27]
.LBB255_1563:                           ;   in Loop: Header=BB255_811 Depth=1
	s_or_b64 exec, exec, s[24:25]
	v_or_b32_e32 v19, v37, v35
	v_or_b32_e32 v18, v36, v34
	;; [unrolled: 1-line block ×4, first 2 shown]
	v_pk_mul_f32 v[32:33], v[50:51], v[18:19]
	v_pk_mul_f32 v[44:45], v[50:51], v[14:15]
	s_and_saveexec_b64 s[24:25], vcc
; %bb.1564:                             ;   in Loop: Header=BB255_811 Depth=1
	v_accvgpr_read_b32 v4, a9
	v_cmp_lt_i32_e64 s[4:5], v4, v62
	v_accvgpr_read_b32 v4, a53
	v_cndmask_b32_e64 v32, 0, v32, s[4:5]
	v_cmp_lt_i32_e64 s[4:5], v4, v62
	v_accvgpr_read_b32 v4, a51
	v_cndmask_b32_e64 v33, 0, v33, s[4:5]
	v_cmp_lt_i32_e64 s[4:5], v4, v62
	v_cndmask_b32_e64 v44, 0, v44, s[4:5]
	v_cmp_lt_i32_e64 s[4:5], v42, v62
	v_cndmask_b32_e64 v45, 0, v45, s[4:5]
; %bb.1565:                             ;   in Loop: Header=BB255_811 Depth=1
	s_or_b64 exec, exec, s[24:25]
	buffer_load_dword v4, off, s[0:3], s32 offset:540 ; 4-byte Folded Reload
	buffer_load_dword v5, off, s[0:3], s32 offset:544 ; 4-byte Folded Reload
	v_pk_mov_b32 v[38:39], 0, 0
	v_pk_mov_b32 v[36:37], v[38:39], v[38:39] op_sel:[0,1]
	s_waitcnt vmcnt(1)
	v_add_co_u32_e64 v14, s[4:5], v40, v4
	v_addc_co_u32_e64 v15, s[4:5], 0, v41, s[4:5]
	flat_load_dword v34, v[14:15]
	s_waitcnt vmcnt(0) lgkmcnt(0)
	v_cmp_ne_u16_sdwa s[4:5], v34, v23 src0_sel:BYTE_0 src1_sel:DWORD
	s_and_saveexec_b64 s[24:25], s[4:5]
	s_cbranch_execz .LBB255_1571
; %bb.1566:                             ;   in Loop: Header=BB255_811 Depth=1
	v_bfrev_b32_e32 v36, 1
	v_cmp_ne_u16_sdwa s[4:5], v34, s7 src0_sel:BYTE_0 src1_sel:DWORD
	v_mov_b32_e32 v37, 0
	s_and_saveexec_b64 s[26:27], s[4:5]
	s_cbranch_execz .LBB255_1570
; %bb.1567:                             ;   in Loop: Header=BB255_811 Depth=1
	v_and_b32_e32 v14, 0x7f, v34
	v_mov_b32_e32 v36, 0x7f800001
	v_cmp_ne_u32_e64 s[4:5], s15, v14
	v_mov_b32_e32 v37, 0
	s_and_saveexec_b64 s[28:29], s[4:5]
	s_cbranch_execz .LBB255_1569
; %bb.1568:                             ;   in Loop: Header=BB255_811 Depth=1
	v_and_b32_e32 v18, 7, v34
	v_lshrrev_b32_e32 v19, 3, v14
	v_cmp_gt_u32_e64 s[4:5], 8, v14
	v_ffbh_u32_e32 v14, v18
	v_min_u32_e32 v22, 32, v14
	v_subrev_u32_e32 v14, 28, v22
	v_lshlrev_b64 v[14:15], v14, v[34:35]
	v_sub_u32_e32 v15, 29, v22
	v_and_b32_e32 v14, 7, v14
	v_cndmask_b32_e64 v15, v19, v15, s[4:5]
	v_cndmask_b32_e64 v14, v18, v14, s[4:5]
	v_bfrev_b32_e32 v4, 60
	v_lshlrev_b32_e32 v14, 20, v14
	v_and_b32_sdwa v18, sext(v34), s11 dst_sel:DWORD dst_unused:UNUSED_PAD src0_sel:BYTE_0 src1_sel:DWORD
	v_lshl_add_u32 v15, v15, 23, v4
	v_or3_b32 v22, v18, v15, v14
	v_pk_mov_b32 v[36:37], v[22:23], v[22:23] op_sel:[0,1]
.LBB255_1569:                           ;   in Loop: Header=BB255_811 Depth=1
	s_or_b64 exec, exec, s[28:29]
.LBB255_1570:                           ;   in Loop: Header=BB255_811 Depth=1
	s_or_b64 exec, exec, s[26:27]
.LBB255_1571:                           ;   in Loop: Header=BB255_811 Depth=1
	s_or_b64 exec, exec, s[24:25]
	v_cmp_ne_u16_sdwa s[4:5], v34, v23 src0_sel:BYTE_1 src1_sel:DWORD
	s_and_saveexec_b64 s[24:25], s[4:5]
	s_cbranch_execz .LBB255_1577
; %bb.1572:                             ;   in Loop: Header=BB255_811 Depth=1
	v_cmp_ne_u16_sdwa s[4:5], v34, s7 src0_sel:BYTE_1 src1_sel:DWORD
	v_pk_mov_b32 v[38:39], s[10:11], s[10:11] op_sel:[0,1]
	s_and_saveexec_b64 s[26:27], s[4:5]
	s_cbranch_execz .LBB255_1576
; %bb.1573:                             ;   in Loop: Header=BB255_811 Depth=1
	v_and_b32_sdwa v14, v34, s15 dst_sel:DWORD dst_unused:UNUSED_PAD src0_sel:BYTE_1 src1_sel:DWORD
	s_mov_b32 s22, s10
	v_cmp_ne_u32_e64 s[4:5], s15, v14
	v_pk_mov_b32 v[38:39], s[22:23], s[22:23] op_sel:[0,1]
	s_and_saveexec_b64 s[28:29], s[4:5]
	s_cbranch_execz .LBB255_1575
; %bb.1574:                             ;   in Loop: Header=BB255_811 Depth=1
	v_mov_b32_e32 v4, 7
	v_and_b32_sdwa v22, v34, v4 dst_sel:DWORD dst_unused:UNUSED_PAD src0_sel:BYTE_1 src1_sel:DWORD
	v_lshrrev_b32_e32 v18, 3, v14
	v_cmp_gt_u32_e64 s[4:5], 8, v14
	v_ffbh_u32_e32 v14, v22
	v_min_u32_e32 v19, 32, v14
	v_subrev_u32_e32 v14, 28, v19
	v_lshlrev_b64 v[14:15], v14, v[22:23]
	v_sub_u32_e32 v15, 29, v19
	v_and_b32_e32 v14, 7, v14
	v_cndmask_b32_e64 v15, v18, v15, s[4:5]
	v_bfrev_b32_e32 v4, 60
	v_cndmask_b32_e64 v14, v22, v14, s[4:5]
	v_lshlrev_b32_e32 v18, 16, v34
	v_lshl_add_u32 v15, v15, 23, v4
	v_and_or_b32 v15, v18, s11, v15
	v_lshlrev_b32_e32 v14, 20, v14
	v_or_b32_e32 v39, v15, v14
	v_mov_b32_e32 v38, v23
.LBB255_1575:                           ;   in Loop: Header=BB255_811 Depth=1
	s_or_b64 exec, exec, s[28:29]
.LBB255_1576:                           ;   in Loop: Header=BB255_811 Depth=1
	s_or_b64 exec, exec, s[26:27]
.LBB255_1577:                           ;   in Loop: Header=BB255_811 Depth=1
	s_or_b64 exec, exec, s[24:25]
	v_lshrrev_b32_e32 v18, 16, v34
	v_pk_mov_b32 v[48:49], 0, 0
	v_cmp_ne_u16_sdwa s[4:5], v18, v23 src0_sel:BYTE_0 src1_sel:DWORD
	v_pk_mov_b32 v[14:15], v[48:49], v[48:49] op_sel:[0,1]
	s_and_saveexec_b64 s[24:25], s[4:5]
	s_cbranch_execz .LBB255_1583
; %bb.1578:                             ;   in Loop: Header=BB255_811 Depth=1
	v_bfrev_b32_e32 v14, 1
	v_cmp_ne_u16_sdwa s[4:5], v18, s7 src0_sel:BYTE_0 src1_sel:DWORD
	v_mov_b32_e32 v15, 0
	s_and_saveexec_b64 s[26:27], s[4:5]
	s_cbranch_execz .LBB255_1582
; %bb.1579:                             ;   in Loop: Header=BB255_811 Depth=1
	v_bfe_u32 v19, v34, 16, 7
	v_mov_b32_e32 v14, 0x7f800001
	v_cmp_ne_u32_e64 s[4:5], s15, v19
	v_mov_b32_e32 v15, 0
	s_and_saveexec_b64 s[28:29], s[4:5]
	s_cbranch_execz .LBB255_1581
; %bb.1580:                             ;   in Loop: Header=BB255_811 Depth=1
	v_and_b32_e32 v22, 7, v18
	v_ffbh_u32_e32 v14, v22
	v_lshrrev_b32_e32 v35, 3, v19
	v_cmp_gt_u32_e64 s[4:5], 8, v19
	v_min_u32_e32 v19, 32, v14
	v_subrev_u32_e32 v14, 28, v19
	v_lshlrev_b64 v[14:15], v14, v[18:19]
	v_sub_u32_e32 v15, 29, v19
	v_and_b32_e32 v14, 7, v14
	v_cndmask_b32_e64 v15, v35, v15, s[4:5]
	v_cndmask_b32_e64 v14, v22, v14, s[4:5]
	v_bfrev_b32_e32 v4, 60
	v_lshlrev_b32_e32 v14, 20, v14
	v_and_b32_sdwa v18, sext(v18), s11 dst_sel:DWORD dst_unused:UNUSED_PAD src0_sel:BYTE_0 src1_sel:DWORD
	v_lshl_add_u32 v15, v15, 23, v4
	v_or3_b32 v22, v18, v15, v14
	v_pk_mov_b32 v[14:15], v[22:23], v[22:23] op_sel:[0,1]
.LBB255_1581:                           ;   in Loop: Header=BB255_811 Depth=1
	s_or_b64 exec, exec, s[28:29]
.LBB255_1582:                           ;   in Loop: Header=BB255_811 Depth=1
	s_or_b64 exec, exec, s[26:27]
.LBB255_1583:                           ;   in Loop: Header=BB255_811 Depth=1
	s_or_b64 exec, exec, s[24:25]
	v_cmp_lt_u32_e64 s[4:5], s30, v34
	s_and_saveexec_b64 s[24:25], s[4:5]
	s_cbranch_execz .LBB255_1589
; %bb.1584:                             ;   in Loop: Header=BB255_811 Depth=1
	v_cmp_ne_u32_sdwa s[4:5], v34, s7 src0_sel:BYTE_3 src1_sel:DWORD
	v_pk_mov_b32 v[48:49], s[10:11], s[10:11] op_sel:[0,1]
	s_and_saveexec_b64 s[26:27], s[4:5]
	s_cbranch_execz .LBB255_1588
; %bb.1585:                             ;   in Loop: Header=BB255_811 Depth=1
	v_bfe_u32 v18, v34, 24, 7
	s_mov_b32 s22, s10
	v_cmp_ne_u32_e64 s[4:5], s15, v18
	v_pk_mov_b32 v[48:49], s[22:23], s[22:23] op_sel:[0,1]
	s_and_saveexec_b64 s[28:29], s[4:5]
	s_cbranch_execz .LBB255_1587
; %bb.1586:                             ;   in Loop: Header=BB255_811 Depth=1
	v_mov_b32_e32 v4, 7
	v_and_b32_sdwa v22, v34, v4 dst_sel:DWORD dst_unused:UNUSED_PAD src0_sel:BYTE_3 src1_sel:DWORD
	v_lshrrev_b32_e32 v35, 3, v18
	v_cmp_gt_u32_e64 s[4:5], 8, v18
	v_ffbh_u32_e32 v18, v22
	v_min_u32_e32 v48, 32, v18
	v_subrev_u32_e32 v18, 28, v48
	v_lshlrev_b64 v[18:19], v18, v[22:23]
	v_sub_u32_e32 v19, 29, v48
	v_and_b32_e32 v18, 7, v18
	v_mov_b32_e32 v4, 24
	v_cndmask_b32_e64 v19, v35, v19, s[4:5]
	v_cndmask_b32_e64 v18, v22, v18, s[4:5]
	v_lshlrev_b32_sdwa v22, v4, v34 dst_sel:DWORD dst_unused:UNUSED_PAD src0_sel:DWORD src1_sel:BYTE_3
	v_bfrev_b32_e32 v4, 60
	v_lshl_add_u32 v19, v19, 23, v4
	v_and_or_b32 v19, v22, s11, v19
	v_lshlrev_b32_e32 v18, 20, v18
	v_or_b32_e32 v49, v19, v18
	v_mov_b32_e32 v48, v23
.LBB255_1587:                           ;   in Loop: Header=BB255_811 Depth=1
	s_or_b64 exec, exec, s[28:29]
.LBB255_1588:                           ;   in Loop: Header=BB255_811 Depth=1
	s_or_b64 exec, exec, s[26:27]
.LBB255_1589:                           ;   in Loop: Header=BB255_811 Depth=1
	s_or_b64 exec, exec, s[24:25]
	v_or_b32_e32 v19, v39, v37
	v_or_b32_e32 v18, v38, v36
	;; [unrolled: 1-line block ×4, first 2 shown]
	v_pk_mul_f32 v[46:47], v[50:51], v[18:19]
	v_pk_mul_f32 v[34:35], v[50:51], v[14:15]
	s_and_saveexec_b64 s[24:25], vcc
; %bb.1590:                             ;   in Loop: Header=BB255_811 Depth=1
	v_accvgpr_read_b32 v4, a9
	v_cmp_lt_i32_e64 s[4:5], v4, v62
	v_accvgpr_read_b32 v4, a53
	v_cndmask_b32_e64 v46, 0, v46, s[4:5]
	v_cmp_lt_i32_e64 s[4:5], v4, v62
	v_accvgpr_read_b32 v4, a51
	v_cndmask_b32_e64 v47, 0, v47, s[4:5]
	v_cmp_lt_i32_e64 s[4:5], v4, v62
	v_cndmask_b32_e64 v34, 0, v34, s[4:5]
	v_cmp_lt_i32_e64 s[4:5], v42, v62
	v_cndmask_b32_e64 v35, 0, v35, s[4:5]
; %bb.1591:                             ;   in Loop: Header=BB255_811 Depth=1
	s_or_b64 exec, exec, s[24:25]
	v_accvgpr_read_b32 v4, a4
	v_add_co_u32_e64 v14, s[4:5], v40, v4
	v_addc_co_u32_e64 v15, s[4:5], 0, v41, s[4:5]
	flat_load_dword v36, v[14:15]
	v_pk_mov_b32 v[48:49], 0, 0
	v_pk_mov_b32 v[38:39], v[48:49], v[48:49] op_sel:[0,1]
	s_waitcnt vmcnt(0) lgkmcnt(0)
	v_cmp_ne_u16_sdwa s[4:5], v36, v23 src0_sel:BYTE_0 src1_sel:DWORD
	s_and_saveexec_b64 s[24:25], s[4:5]
	s_cbranch_execz .LBB255_1597
; %bb.1592:                             ;   in Loop: Header=BB255_811 Depth=1
	v_bfrev_b32_e32 v38, 1
	v_cmp_ne_u16_sdwa s[4:5], v36, s7 src0_sel:BYTE_0 src1_sel:DWORD
	v_mov_b32_e32 v39, 0
	s_and_saveexec_b64 s[26:27], s[4:5]
	s_cbranch_execz .LBB255_1596
; %bb.1593:                             ;   in Loop: Header=BB255_811 Depth=1
	v_and_b32_e32 v14, 0x7f, v36
	v_mov_b32_e32 v38, 0x7f800001
	v_cmp_ne_u32_e64 s[4:5], s15, v14
	v_mov_b32_e32 v39, 0
	s_and_saveexec_b64 s[28:29], s[4:5]
	s_cbranch_execz .LBB255_1595
; %bb.1594:                             ;   in Loop: Header=BB255_811 Depth=1
	v_and_b32_e32 v18, 7, v36
	v_lshrrev_b32_e32 v19, 3, v14
	v_cmp_gt_u32_e64 s[4:5], 8, v14
	v_ffbh_u32_e32 v14, v18
	v_min_u32_e32 v22, 32, v14
	v_subrev_u32_e32 v14, 28, v22
	v_lshlrev_b64 v[14:15], v14, v[36:37]
	v_sub_u32_e32 v15, 29, v22
	v_and_b32_e32 v14, 7, v14
	v_cndmask_b32_e64 v15, v19, v15, s[4:5]
	v_cndmask_b32_e64 v14, v18, v14, s[4:5]
	v_bfrev_b32_e32 v4, 60
	v_lshlrev_b32_e32 v14, 20, v14
	v_and_b32_sdwa v18, sext(v36), s11 dst_sel:DWORD dst_unused:UNUSED_PAD src0_sel:BYTE_0 src1_sel:DWORD
	v_lshl_add_u32 v15, v15, 23, v4
	v_or3_b32 v22, v18, v15, v14
	v_pk_mov_b32 v[38:39], v[22:23], v[22:23] op_sel:[0,1]
.LBB255_1595:                           ;   in Loop: Header=BB255_811 Depth=1
	s_or_b64 exec, exec, s[28:29]
.LBB255_1596:                           ;   in Loop: Header=BB255_811 Depth=1
	s_or_b64 exec, exec, s[26:27]
.LBB255_1597:                           ;   in Loop: Header=BB255_811 Depth=1
	s_or_b64 exec, exec, s[24:25]
	v_cmp_ne_u16_sdwa s[4:5], v36, v23 src0_sel:BYTE_1 src1_sel:DWORD
	s_and_saveexec_b64 s[24:25], s[4:5]
	s_cbranch_execz .LBB255_1603
; %bb.1598:                             ;   in Loop: Header=BB255_811 Depth=1
	v_cmp_ne_u16_sdwa s[4:5], v36, s7 src0_sel:BYTE_1 src1_sel:DWORD
	v_pk_mov_b32 v[48:49], s[10:11], s[10:11] op_sel:[0,1]
	s_and_saveexec_b64 s[26:27], s[4:5]
	s_cbranch_execz .LBB255_1602
; %bb.1599:                             ;   in Loop: Header=BB255_811 Depth=1
	v_and_b32_sdwa v14, v36, s15 dst_sel:DWORD dst_unused:UNUSED_PAD src0_sel:BYTE_1 src1_sel:DWORD
	s_mov_b32 s22, s10
	v_cmp_ne_u32_e64 s[4:5], s15, v14
	v_pk_mov_b32 v[48:49], s[22:23], s[22:23] op_sel:[0,1]
	s_and_saveexec_b64 s[28:29], s[4:5]
	s_cbranch_execz .LBB255_1601
; %bb.1600:                             ;   in Loop: Header=BB255_811 Depth=1
	v_mov_b32_e32 v4, 7
	v_and_b32_sdwa v22, v36, v4 dst_sel:DWORD dst_unused:UNUSED_PAD src0_sel:BYTE_1 src1_sel:DWORD
	v_lshrrev_b32_e32 v18, 3, v14
	v_cmp_gt_u32_e64 s[4:5], 8, v14
	v_ffbh_u32_e32 v14, v22
	v_min_u32_e32 v19, 32, v14
	v_subrev_u32_e32 v14, 28, v19
	v_lshlrev_b64 v[14:15], v14, v[22:23]
	v_sub_u32_e32 v15, 29, v19
	v_and_b32_e32 v14, 7, v14
	v_cndmask_b32_e64 v15, v18, v15, s[4:5]
	v_bfrev_b32_e32 v4, 60
	v_cndmask_b32_e64 v14, v22, v14, s[4:5]
	v_lshlrev_b32_e32 v18, 16, v36
	v_lshl_add_u32 v15, v15, 23, v4
	v_and_or_b32 v15, v18, s11, v15
	v_lshlrev_b32_e32 v14, 20, v14
	v_or_b32_e32 v49, v15, v14
	v_mov_b32_e32 v48, v23
.LBB255_1601:                           ;   in Loop: Header=BB255_811 Depth=1
	s_or_b64 exec, exec, s[28:29]
.LBB255_1602:                           ;   in Loop: Header=BB255_811 Depth=1
	s_or_b64 exec, exec, s[26:27]
.LBB255_1603:                           ;   in Loop: Header=BB255_811 Depth=1
	s_or_b64 exec, exec, s[24:25]
	v_lshrrev_b32_e32 v18, 16, v36
	v_pk_mov_b32 v[54:55], 0, 0
	v_cmp_ne_u16_sdwa s[4:5], v18, v23 src0_sel:BYTE_0 src1_sel:DWORD
	v_pk_mov_b32 v[14:15], v[54:55], v[54:55] op_sel:[0,1]
	s_and_saveexec_b64 s[24:25], s[4:5]
	s_cbranch_execz .LBB255_1609
; %bb.1604:                             ;   in Loop: Header=BB255_811 Depth=1
	v_bfrev_b32_e32 v14, 1
	v_cmp_ne_u16_sdwa s[4:5], v18, s7 src0_sel:BYTE_0 src1_sel:DWORD
	v_mov_b32_e32 v15, 0
	s_and_saveexec_b64 s[26:27], s[4:5]
	s_cbranch_execz .LBB255_1608
; %bb.1605:                             ;   in Loop: Header=BB255_811 Depth=1
	v_bfe_u32 v19, v36, 16, 7
	v_mov_b32_e32 v14, 0x7f800001
	v_cmp_ne_u32_e64 s[4:5], s15, v19
	v_mov_b32_e32 v15, 0
	s_and_saveexec_b64 s[28:29], s[4:5]
	s_cbranch_execz .LBB255_1607
; %bb.1606:                             ;   in Loop: Header=BB255_811 Depth=1
	v_and_b32_e32 v22, 7, v18
	v_ffbh_u32_e32 v14, v22
	v_lshrrev_b32_e32 v37, 3, v19
	v_cmp_gt_u32_e64 s[4:5], 8, v19
	v_min_u32_e32 v19, 32, v14
	v_subrev_u32_e32 v14, 28, v19
	v_lshlrev_b64 v[14:15], v14, v[18:19]
	v_sub_u32_e32 v15, 29, v19
	v_and_b32_e32 v14, 7, v14
	v_cndmask_b32_e64 v15, v37, v15, s[4:5]
	v_cndmask_b32_e64 v14, v22, v14, s[4:5]
	v_bfrev_b32_e32 v4, 60
	v_lshlrev_b32_e32 v14, 20, v14
	v_and_b32_sdwa v18, sext(v18), s11 dst_sel:DWORD dst_unused:UNUSED_PAD src0_sel:BYTE_0 src1_sel:DWORD
	v_lshl_add_u32 v15, v15, 23, v4
	v_or3_b32 v22, v18, v15, v14
	v_pk_mov_b32 v[14:15], v[22:23], v[22:23] op_sel:[0,1]
.LBB255_1607:                           ;   in Loop: Header=BB255_811 Depth=1
	s_or_b64 exec, exec, s[28:29]
.LBB255_1608:                           ;   in Loop: Header=BB255_811 Depth=1
	s_or_b64 exec, exec, s[26:27]
.LBB255_1609:                           ;   in Loop: Header=BB255_811 Depth=1
	s_or_b64 exec, exec, s[24:25]
	v_cmp_lt_u32_e64 s[4:5], s30, v36
	s_and_saveexec_b64 s[24:25], s[4:5]
	s_cbranch_execz .LBB255_1615
; %bb.1610:                             ;   in Loop: Header=BB255_811 Depth=1
	v_cmp_ne_u32_sdwa s[4:5], v36, s7 src0_sel:BYTE_3 src1_sel:DWORD
	v_pk_mov_b32 v[54:55], s[10:11], s[10:11] op_sel:[0,1]
	s_and_saveexec_b64 s[26:27], s[4:5]
	s_cbranch_execz .LBB255_1614
; %bb.1611:                             ;   in Loop: Header=BB255_811 Depth=1
	v_bfe_u32 v18, v36, 24, 7
	s_mov_b32 s22, s10
	v_cmp_ne_u32_e64 s[4:5], s15, v18
	v_pk_mov_b32 v[54:55], s[22:23], s[22:23] op_sel:[0,1]
	s_and_saveexec_b64 s[28:29], s[4:5]
	s_cbranch_execz .LBB255_1613
; %bb.1612:                             ;   in Loop: Header=BB255_811 Depth=1
	v_mov_b32_e32 v4, 7
	v_and_b32_sdwa v22, v36, v4 dst_sel:DWORD dst_unused:UNUSED_PAD src0_sel:BYTE_3 src1_sel:DWORD
	v_lshrrev_b32_e32 v37, 3, v18
	v_cmp_gt_u32_e64 s[4:5], 8, v18
	v_ffbh_u32_e32 v18, v22
	v_min_u32_e32 v54, 32, v18
	v_subrev_u32_e32 v18, 28, v54
	v_lshlrev_b64 v[18:19], v18, v[22:23]
	v_sub_u32_e32 v19, 29, v54
	v_and_b32_e32 v18, 7, v18
	v_mov_b32_e32 v4, 24
	v_cndmask_b32_e64 v19, v37, v19, s[4:5]
	v_cndmask_b32_e64 v18, v22, v18, s[4:5]
	v_lshlrev_b32_sdwa v22, v4, v36 dst_sel:DWORD dst_unused:UNUSED_PAD src0_sel:DWORD src1_sel:BYTE_3
	v_bfrev_b32_e32 v4, 60
	v_lshl_add_u32 v19, v19, 23, v4
	v_and_or_b32 v19, v22, s11, v19
	v_lshlrev_b32_e32 v18, 20, v18
	v_or_b32_e32 v55, v19, v18
	v_mov_b32_e32 v54, v23
.LBB255_1613:                           ;   in Loop: Header=BB255_811 Depth=1
	s_or_b64 exec, exec, s[28:29]
.LBB255_1614:                           ;   in Loop: Header=BB255_811 Depth=1
	s_or_b64 exec, exec, s[26:27]
.LBB255_1615:                           ;   in Loop: Header=BB255_811 Depth=1
	s_or_b64 exec, exec, s[24:25]
	v_or_b32_e32 v19, v49, v39
	v_or_b32_e32 v18, v48, v38
	;; [unrolled: 1-line block ×4, first 2 shown]
	v_pk_mul_f32 v[38:39], v[50:51], v[18:19]
	v_pk_mul_f32 v[48:49], v[50:51], v[14:15]
	s_and_saveexec_b64 s[24:25], vcc
; %bb.1616:                             ;   in Loop: Header=BB255_811 Depth=1
	v_accvgpr_read_b32 v4, a9
	v_cmp_lt_i32_e64 s[4:5], v4, v62
	v_accvgpr_read_b32 v4, a53
	v_cndmask_b32_e64 v38, 0, v38, s[4:5]
	v_cmp_lt_i32_e64 s[4:5], v4, v62
	v_accvgpr_read_b32 v4, a51
	v_cndmask_b32_e64 v39, 0, v39, s[4:5]
	v_cmp_lt_i32_e64 s[4:5], v4, v62
	v_cndmask_b32_e64 v48, 0, v48, s[4:5]
	v_cmp_lt_i32_e64 s[4:5], v42, v62
	v_cndmask_b32_e64 v49, 0, v49, s[4:5]
; %bb.1617:                             ;   in Loop: Header=BB255_811 Depth=1
	s_or_b64 exec, exec, s[24:25]
	buffer_load_dword v4, off, s[0:3], s32 offset:460 ; 4-byte Folded Reload
	buffer_load_dword v5, off, s[0:3], s32 offset:464 ; 4-byte Folded Reload
	s_waitcnt vmcnt(1)
	v_add_co_u32_e64 v14, s[4:5], v40, v4
	v_addc_co_u32_e64 v15, s[4:5], 0, v41, s[4:5]
	flat_load_dword v36, v[14:15]
	v_pk_mov_b32 v[40:41], 0, 0
	v_pk_mov_b32 v[14:15], v[40:41], v[40:41] op_sel:[0,1]
	s_waitcnt vmcnt(0) lgkmcnt(0)
	v_cmp_ne_u16_sdwa s[4:5], v36, v23 src0_sel:BYTE_0 src1_sel:DWORD
	s_and_saveexec_b64 s[24:25], s[4:5]
	s_cbranch_execz .LBB255_1623
; %bb.1618:                             ;   in Loop: Header=BB255_811 Depth=1
	v_bfrev_b32_e32 v14, 1
	v_cmp_ne_u16_sdwa s[4:5], v36, s7 src0_sel:BYTE_0 src1_sel:DWORD
	v_mov_b32_e32 v15, 0
	s_and_saveexec_b64 s[26:27], s[4:5]
	s_cbranch_execz .LBB255_1622
; %bb.1619:                             ;   in Loop: Header=BB255_811 Depth=1
	v_and_b32_e32 v18, 0x7f, v36
	v_mov_b32_e32 v14, 0x7f800001
	v_cmp_ne_u32_e64 s[4:5], s15, v18
	v_mov_b32_e32 v15, 0
	s_and_saveexec_b64 s[28:29], s[4:5]
	s_cbranch_execz .LBB255_1621
; %bb.1620:                             ;   in Loop: Header=BB255_811 Depth=1
	v_and_b32_e32 v19, 7, v36
	v_ffbh_u32_e32 v14, v19
	v_lshrrev_b32_e32 v22, 3, v18
	v_cmp_gt_u32_e64 s[4:5], 8, v18
	v_min_u32_e32 v18, 32, v14
	v_subrev_u32_e32 v14, 28, v18
	v_lshlrev_b64 v[14:15], v14, v[36:37]
	v_sub_u32_e32 v15, 29, v18
	v_and_b32_e32 v14, 7, v14
	v_cndmask_b32_e64 v15, v22, v15, s[4:5]
	v_cndmask_b32_e64 v14, v19, v14, s[4:5]
	v_bfrev_b32_e32 v4, 60
	v_lshlrev_b32_e32 v14, 20, v14
	v_and_b32_sdwa v18, sext(v36), s11 dst_sel:DWORD dst_unused:UNUSED_PAD src0_sel:BYTE_0 src1_sel:DWORD
	v_lshl_add_u32 v15, v15, 23, v4
	v_or3_b32 v22, v18, v15, v14
	v_pk_mov_b32 v[14:15], v[22:23], v[22:23] op_sel:[0,1]
.LBB255_1621:                           ;   in Loop: Header=BB255_811 Depth=1
	s_or_b64 exec, exec, s[28:29]
.LBB255_1622:                           ;   in Loop: Header=BB255_811 Depth=1
	s_or_b64 exec, exec, s[26:27]
.LBB255_1623:                           ;   in Loop: Header=BB255_811 Depth=1
	s_or_b64 exec, exec, s[24:25]
	v_cmp_ne_u16_sdwa s[4:5], v36, v23 src0_sel:BYTE_1 src1_sel:DWORD
	s_and_saveexec_b64 s[24:25], s[4:5]
	s_cbranch_execz .LBB255_1629
; %bb.1624:                             ;   in Loop: Header=BB255_811 Depth=1
	v_cmp_ne_u16_sdwa s[4:5], v36, s7 src0_sel:BYTE_1 src1_sel:DWORD
	v_pk_mov_b32 v[40:41], s[10:11], s[10:11] op_sel:[0,1]
	s_and_saveexec_b64 s[26:27], s[4:5]
	s_cbranch_execz .LBB255_1628
; %bb.1625:                             ;   in Loop: Header=BB255_811 Depth=1
	v_and_b32_sdwa v18, v36, s15 dst_sel:DWORD dst_unused:UNUSED_PAD src0_sel:BYTE_1 src1_sel:DWORD
	s_mov_b32 s22, s10
	v_cmp_ne_u32_e64 s[4:5], s15, v18
	v_pk_mov_b32 v[40:41], s[22:23], s[22:23] op_sel:[0,1]
	s_and_saveexec_b64 s[28:29], s[4:5]
	s_cbranch_execz .LBB255_1627
; %bb.1626:                             ;   in Loop: Header=BB255_811 Depth=1
	v_mov_b32_e32 v4, 7
	v_and_b32_sdwa v22, v36, v4 dst_sel:DWORD dst_unused:UNUSED_PAD src0_sel:BYTE_1 src1_sel:DWORD
	v_lshrrev_b32_e32 v37, 3, v18
	v_cmp_gt_u32_e64 s[4:5], 8, v18
	v_ffbh_u32_e32 v18, v22
	v_min_u32_e32 v54, 32, v18
	v_subrev_u32_e32 v18, 28, v54
	v_lshlrev_b64 v[18:19], v18, v[22:23]
	v_sub_u32_e32 v19, 29, v54
	v_and_b32_e32 v18, 7, v18
	v_cndmask_b32_e64 v19, v37, v19, s[4:5]
	v_bfrev_b32_e32 v4, 60
	v_cndmask_b32_e64 v18, v22, v18, s[4:5]
	v_lshlrev_b32_e32 v22, 16, v36
	v_lshl_add_u32 v19, v19, 23, v4
	v_and_or_b32 v19, v22, s11, v19
	v_lshlrev_b32_e32 v18, 20, v18
	v_or_b32_e32 v41, v19, v18
	v_mov_b32_e32 v40, v23
.LBB255_1627:                           ;   in Loop: Header=BB255_811 Depth=1
	s_or_b64 exec, exec, s[28:29]
.LBB255_1628:                           ;   in Loop: Header=BB255_811 Depth=1
	s_or_b64 exec, exec, s[26:27]
.LBB255_1629:                           ;   in Loop: Header=BB255_811 Depth=1
	s_or_b64 exec, exec, s[24:25]
	v_lshrrev_b32_e32 v22, 16, v36
	v_pk_mov_b32 v[54:55], 0, 0
	v_cmp_ne_u16_sdwa s[4:5], v22, v23 src0_sel:BYTE_0 src1_sel:DWORD
	v_pk_mov_b32 v[18:19], v[54:55], v[54:55] op_sel:[0,1]
	s_and_saveexec_b64 s[24:25], s[4:5]
	s_cbranch_execz .LBB255_1635
; %bb.1630:                             ;   in Loop: Header=BB255_811 Depth=1
	v_bfrev_b32_e32 v18, 1
	v_cmp_ne_u16_sdwa s[4:5], v22, s7 src0_sel:BYTE_0 src1_sel:DWORD
	v_mov_b32_e32 v19, 0
	s_and_saveexec_b64 s[26:27], s[4:5]
	s_cbranch_execz .LBB255_1634
; %bb.1631:                             ;   in Loop: Header=BB255_811 Depth=1
	v_bfe_u32 v37, v36, 16, 7
	v_mov_b32_e32 v18, 0x7f800001
	v_cmp_ne_u32_e64 s[4:5], s15, v37
	v_mov_b32_e32 v19, 0
	s_and_saveexec_b64 s[28:29], s[4:5]
	s_cbranch_execz .LBB255_1633
; %bb.1632:                             ;   in Loop: Header=BB255_811 Depth=1
	v_accvgpr_write_b32 a5, v43
	v_and_b32_e32 v43, 7, v22
	v_ffbh_u32_e32 v5, v43
	v_min_u32_e32 v5, 32, v5
	v_subrev_u32_e32 v18, 28, v5
	v_lshlrev_b64 v[18:19], v18, v[22:23]
	v_lshrrev_b32_e32 v4, 3, v37
	v_cmp_gt_u32_e64 s[4:5], 8, v37
	v_sub_u32_e32 v5, 29, v5
	v_and_b32_e32 v18, 7, v18
	v_cndmask_b32_e64 v4, v4, v5, s[4:5]
	v_cndmask_b32_e64 v5, v43, v18, s[4:5]
	v_bfrev_b32_e32 v19, 60
	v_lshlrev_b32_e32 v5, 20, v5
	v_and_b32_sdwa v18, sext(v22), s11 dst_sel:DWORD dst_unused:UNUSED_PAD src0_sel:BYTE_0 src1_sel:DWORD
	v_lshl_add_u32 v4, v4, 23, v19
	v_or3_b32 v22, v18, v4, v5
	v_accvgpr_read_b32 v43, a5
	v_pk_mov_b32 v[18:19], v[22:23], v[22:23] op_sel:[0,1]
.LBB255_1633:                           ;   in Loop: Header=BB255_811 Depth=1
	s_or_b64 exec, exec, s[28:29]
.LBB255_1634:                           ;   in Loop: Header=BB255_811 Depth=1
	s_or_b64 exec, exec, s[26:27]
.LBB255_1635:                           ;   in Loop: Header=BB255_811 Depth=1
	s_or_b64 exec, exec, s[24:25]
	v_cmp_lt_u32_e64 s[4:5], s30, v36
	s_and_saveexec_b64 s[24:25], s[4:5]
	s_cbranch_execz .LBB255_1641
; %bb.1636:                             ;   in Loop: Header=BB255_811 Depth=1
	v_cmp_ne_u32_sdwa s[4:5], v36, s7 src0_sel:BYTE_3 src1_sel:DWORD
	v_pk_mov_b32 v[54:55], s[10:11], s[10:11] op_sel:[0,1]
	s_and_saveexec_b64 s[26:27], s[4:5]
	s_cbranch_execz .LBB255_1640
; %bb.1637:                             ;   in Loop: Header=BB255_811 Depth=1
	v_bfe_u32 v37, v36, 24, 7
	s_mov_b32 s22, s10
	v_cmp_ne_u32_e64 s[4:5], s15, v37
	v_pk_mov_b32 v[54:55], s[22:23], s[22:23] op_sel:[0,1]
	s_and_saveexec_b64 s[28:29], s[4:5]
	s_cbranch_execz .LBB255_1639
; %bb.1638:                             ;   in Loop: Header=BB255_811 Depth=1
	v_mov_b32_e32 v4, 7
	v_and_b32_sdwa v22, v36, v4 dst_sel:DWORD dst_unused:UNUSED_PAD src0_sel:BYTE_3 src1_sel:DWORD
	v_ffbh_u32_e32 v5, v22
	v_min_u32_e32 v5, 32, v5
	v_lshrrev_b32_e32 v4, 3, v37
	v_cmp_gt_u32_e64 s[4:5], 8, v37
	v_subrev_u32_e32 v37, 28, v5
	v_lshlrev_b64 v[54:55], v37, v[22:23]
	v_sub_u32_e32 v5, 29, v5
	v_and_b32_e32 v37, 7, v54
	v_cndmask_b32_e64 v4, v4, v5, s[4:5]
	v_cndmask_b32_e64 v5, v22, v37, s[4:5]
	v_mov_b32_e32 v22, 24
	v_lshlrev_b32_sdwa v22, v22, v36 dst_sel:DWORD dst_unused:UNUSED_PAD src0_sel:DWORD src1_sel:BYTE_3
	v_bfrev_b32_e32 v36, 60
	v_lshl_add_u32 v4, v4, 23, v36
	v_and_or_b32 v4, v22, s11, v4
	v_lshlrev_b32_e32 v5, 20, v5
	v_or_b32_e32 v55, v4, v5
	v_mov_b32_e32 v54, v23
.LBB255_1639:                           ;   in Loop: Header=BB255_811 Depth=1
	s_or_b64 exec, exec, s[28:29]
.LBB255_1640:                           ;   in Loop: Header=BB255_811 Depth=1
	s_or_b64 exec, exec, s[26:27]
.LBB255_1641:                           ;   in Loop: Header=BB255_811 Depth=1
	s_or_b64 exec, exec, s[24:25]
	v_or_b32_e32 v15, v41, v15
	v_or_b32_e32 v14, v40, v14
	v_pk_mul_f32 v[40:41], v[50:51], v[14:15]
	v_or_b32_e32 v15, v55, v19
	v_or_b32_e32 v14, v54, v18
	v_pk_mul_f32 v[36:37], v[50:51], v[14:15]
	s_and_saveexec_b64 s[4:5], vcc
	s_cbranch_execz .LBB255_810
; %bb.1642:                             ;   in Loop: Header=BB255_811 Depth=1
	v_accvgpr_read_b32 v4, a9
	v_cmp_lt_i32_e32 vcc, v4, v62
	v_accvgpr_read_b32 v4, a53
	v_cndmask_b32_e32 v40, 0, v40, vcc
	v_cmp_lt_i32_e32 vcc, v4, v62
	v_accvgpr_read_b32 v4, a51
	v_cndmask_b32_e32 v41, 0, v41, vcc
	v_cmp_lt_i32_e32 vcc, v4, v62
	v_cndmask_b32_e32 v36, 0, v36, vcc
	v_cmp_lt_i32_e32 vcc, v42, v62
	v_cndmask_b32_e32 v37, 0, v37, vcc
	s_branch .LBB255_810
.LBB255_1643:
	s_or_b64 exec, exec, s[12:13]
	buffer_load_dword v52, off, s[0:3], s32 offset:596 ; 4-byte Folded Reload
	buffer_load_dword v51, off, s[0:3], s32 offset:588 ; 4-byte Folded Reload
	;; [unrolled: 1-line block ×31, first 2 shown]
	v_accvgpr_read_b32 v41, a17
	v_accvgpr_read_b32 v6, a44
	;; [unrolled: 1-line block ×4, first 2 shown]
.LBB255_1644:
	s_or_b64 exec, exec, s[8:9]
	s_waitcnt vmcnt(0)
	ds_bpermute_b32 v0, v37, v2
	ds_bpermute_b32 v1, v37, v3
	v_pk_mov_b32 v[4:5], v[2:3], v[2:3] op_sel:[0,1]
	ds_bpermute_b32 v2, v37, v6
	ds_bpermute_b32 v3, v37, v7
	v_pk_mov_b32 v[10:11], v[8:9], v[8:9] op_sel:[0,1]
	ds_bpermute_b32 v8, v37, v10
	ds_bpermute_b32 v9, v37, v11
	s_waitcnt lgkmcnt(0)
	v_pk_add_f32 v[0:1], v[4:5], v[0:1]
	v_pk_add_f32 v[2:3], v[6:7], v[2:3]
	ds_bpermute_b32 v6, v51, v2
	ds_bpermute_b32 v7, v51, v3
	;; [unrolled: 1-line block ×6, first 2 shown]
	s_waitcnt lgkmcnt(4)
	v_pk_add_f32 v[2:3], v[2:3], v[6:7]
	v_pk_add_f32 v[6:7], v[10:11], v[8:9]
	ds_bpermute_b32 v8, v51, v6
	ds_bpermute_b32 v9, v51, v7
	s_waitcnt lgkmcnt(4)
	v_pk_add_f32 v[0:1], v[0:1], v[4:5]
	s_waitcnt lgkmcnt(2)
	v_pk_add_f32 v[12:13], v[22:23], v[12:13]
	ds_bpermute_b32 v4, v53, v0
	ds_bpermute_b32 v5, v53, v1
	s_waitcnt lgkmcnt(2)
	v_pk_add_f32 v[6:7], v[6:7], v[8:9]
	ds_bpermute_b32 v8, v53, v6
	ds_bpermute_b32 v9, v53, v7
	ds_bpermute_b32 v14, v51, v12
	ds_bpermute_b32 v15, v51, v13
	ds_bpermute_b32 v10, v53, v2
	ds_bpermute_b32 v11, v53, v3
	s_waitcnt lgkmcnt(6)
	v_pk_add_f32 v[4:5], v[0:1], v[4:5]
	s_waitcnt lgkmcnt(4)
	v_pk_add_f32 v[0:1], v[6:7], v[8:9]
	;; [unrolled: 2-line block ×3, first 2 shown]
	ds_bpermute_b32 v12, v37, v16
	ds_bpermute_b32 v13, v37, v17
	s_waitcnt lgkmcnt(2)
	v_pk_add_f32 v[2:3], v[2:3], v[10:11]
	ds_bpermute_b32 v10, v37, v18
	ds_bpermute_b32 v11, v37, v19
	;; [unrolled: 1-line block ×3, first 2 shown]
	s_waitcnt lgkmcnt(3)
	v_pk_add_f32 v[12:13], v[16:17], v[12:13]
	ds_bpermute_b32 v16, v51, v12
	ds_bpermute_b32 v17, v51, v13
	s_waitcnt lgkmcnt(3)
	v_pk_add_f32 v[10:11], v[18:19], v[10:11]
	ds_bpermute_b32 v18, v37, v20
	ds_bpermute_b32 v19, v37, v21
	;; [unrolled: 1-line block ×3, first 2 shown]
	s_waitcnt lgkmcnt(3)
	v_pk_add_f32 v[16:17], v[12:13], v[16:17]
	ds_bpermute_b32 v14, v51, v10
	ds_bpermute_b32 v15, v51, v11
	s_waitcnt lgkmcnt(3)
	v_pk_add_f32 v[12:13], v[20:21], v[18:19]
	ds_bpermute_b32 v18, v51, v12
	ds_bpermute_b32 v19, v51, v13
	;; [unrolled: 1-line block ×6, first 2 shown]
	s_waitcnt lgkmcnt(6)
	v_pk_add_f32 v[10:11], v[10:11], v[14:15]
	s_waitcnt lgkmcnt(4)
	v_pk_add_f32 v[18:19], v[12:13], v[18:19]
	v_pk_add_f32 v[12:13], v[6:7], v[8:9]
	s_waitcnt lgkmcnt(1)
	v_pk_add_f32 v[22:23], v[26:27], v[22:23]
	s_waitcnt lgkmcnt(0)
	v_pk_add_f32 v[8:9], v[16:17], v[20:21]
	ds_bpermute_b32 v20, v37, v30
	ds_bpermute_b32 v21, v37, v31
	;; [unrolled: 1-line block ×8, first 2 shown]
	s_waitcnt lgkmcnt(6)
	v_pk_add_f32 v[20:21], v[30:31], v[20:21]
	s_waitcnt lgkmcnt(4)
	v_pk_add_f32 v[10:11], v[10:11], v[14:15]
	;; [unrolled: 2-line block ×3, first 2 shown]
	ds_bpermute_b32 v18, v37, v32
	s_waitcnt lgkmcnt(1)
	v_pk_add_f32 v[14:15], v[22:23], v[26:27]
	ds_bpermute_b32 v19, v37, v33
	ds_bpermute_b32 v24, v51, v20
	;; [unrolled: 1-line block ×5, first 2 shown]
	s_waitcnt lgkmcnt(4)
	v_pk_add_f32 v[18:19], v[32:33], v[18:19]
	ds_bpermute_b32 v16, v53, v14
	s_waitcnt lgkmcnt(3)
	v_pk_add_f32 v[24:25], v[20:21], v[24:25]
	ds_bpermute_b32 v17, v53, v15
	;; [unrolled: 3-line block ×3, first 2 shown]
	ds_bpermute_b32 v23, v51, v19
	ds_bpermute_b32 v26, v51, v20
	ds_bpermute_b32 v27, v51, v21
	ds_bpermute_b32 v28, v53, v24
	ds_bpermute_b32 v30, v37, v34
	ds_bpermute_b32 v31, v37, v35
	ds_bpermute_b32 v29, v53, v25
	s_waitcnt lgkmcnt(6)
	v_pk_add_f32 v[18:19], v[18:19], v[22:23]
	s_waitcnt lgkmcnt(4)
	v_pk_add_f32 v[26:27], v[20:21], v[26:27]
	v_pk_add_f32 v[20:21], v[14:15], v[16:17]
	s_waitcnt lgkmcnt(1)
	v_pk_add_f32 v[30:31], v[34:35], v[30:31]
	s_waitcnt lgkmcnt(0)
	v_pk_add_f32 v[16:17], v[24:25], v[28:29]
	ds_bpermute_b32 v28, v37, v48
	ds_bpermute_b32 v29, v37, v49
	;; [unrolled: 1-line block ×8, first 2 shown]
	s_waitcnt lgkmcnt(6)
	v_pk_add_f32 v[28:29], v[48:49], v[28:29]
	s_waitcnt lgkmcnt(4)
	v_pk_add_f32 v[18:19], v[18:19], v[22:23]
	;; [unrolled: 2-line block ×3, first 2 shown]
	ds_bpermute_b32 v32, v51, v28
	s_waitcnt lgkmcnt(1)
	v_pk_add_f32 v[22:23], v[30:31], v[34:35]
	ds_bpermute_b32 v33, v51, v29
	ds_bpermute_b32 v34, v37, v38
	;; [unrolled: 1-line block ×5, first 2 shown]
	s_waitcnt lgkmcnt(4)
	v_pk_add_f32 v[32:33], v[28:29], v[32:33]
	s_waitcnt lgkmcnt(0)
	v_pk_add_f32 v[28:29], v[38:39], v[34:35]
	ds_bpermute_b32 v34, v51, v28
	ds_bpermute_b32 v35, v51, v29
	s_barrier
	s_waitcnt lgkmcnt(0)
	ds_bpermute_b32 v26, v37, v42
	ds_bpermute_b32 v27, v37, v43
	v_pk_add_f32 v[34:35], v[28:29], v[34:35]
	ds_bpermute_b32 v48, v53, v34
	ds_bpermute_b32 v49, v53, v35
	v_pk_add_f32 v[28:29], v[22:23], v[24:25]
	s_waitcnt lgkmcnt(2)
	v_pk_add_f32 v[26:27], v[42:43], v[26:27]
	ds_bpermute_b32 v30, v51, v26
	ds_bpermute_b32 v31, v51, v27
	s_waitcnt lgkmcnt(2)
	v_pk_add_f32 v[22:23], v[34:35], v[48:49]
	buffer_load_dword v35, off, s[0:3], s32 offset:1480 ; 4-byte Folded Reload
	ds_bpermute_b32 v38, v37, v40
	ds_bpermute_b32 v39, v37, v41
	s_waitcnt lgkmcnt(2)
	v_pk_add_f32 v[26:27], v[26:27], v[30:31]
	ds_bpermute_b32 v30, v53, v26
	ds_bpermute_b32 v31, v53, v27
	;; [unrolled: 1-line block ×3, first 2 shown]
	s_waitcnt lgkmcnt(3)
	v_pk_add_f32 v[38:39], v[40:41], v[38:39]
	ds_bpermute_b32 v50, v51, v38
	ds_bpermute_b32 v51, v51, v39
	;; [unrolled: 1-line block ×3, first 2 shown]
	s_waitcnt lgkmcnt(4)
	v_pk_add_f32 v[26:27], v[26:27], v[30:31]
	s_waitcnt lgkmcnt(1)
	v_pk_add_f32 v[30:31], v[38:39], v[50:51]
	;; [unrolled: 2-line block ×3, first 2 shown]
	ds_bpermute_b32 v32, v53, v30
	ds_bpermute_b32 v33, v53, v31
	s_waitcnt vmcnt(0)
	v_and_b32_e32 v34, 0x3c7, v35
	v_cmp_ne_u32_e32 vcc, 64, v34
	s_and_saveexec_b64 s[4:5], vcc
	s_xor_b64 s[4:5], exec, s[4:5]
; %bb.1645:
                                        ; implicit-def: $vgpr52
; %bb.1646:
	s_or_saveexec_b64 s[4:5], s[4:5]
	s_waitcnt lgkmcnt(0)
	v_pk_add_f32 v[30:31], v[30:31], v[32:33]
	s_xor_b64 exec, exec, s[4:5]
	s_cbranch_execz .LBB255_1648
; %bb.1647:
	s_ashr_i32 s19, s18, 31
	s_lshl_b64 s[8:9], s[18:19], 2
	s_getpc_b64 s[10:11]
	s_add_u32 s10, s10, llvm.amdgcn.dynlds.offset.table@rel32@lo+4
	s_addc_u32 s11, s11, llvm.amdgcn.dynlds.offset.table@rel32@hi+12
	s_add_u32 s8, s8, s10
	s_addc_u32 s9, s9, s11
	s_load_dword s7, s[8:9], 0x0
	v_lshrrev_b32_e32 v32, 1, v52
	s_waitcnt lgkmcnt(0)
	v_add_u32_e32 v32, s7, v32
	ds_write2_b32 v32, v4, v5 offset1:8
	ds_write2_b32 v32, v2, v3 offset0:16 offset1:24
	ds_write2_b32 v32, v0, v1 offset0:32 offset1:40
	;; [unrolled: 1-line block ×15, first 2 shown]
.LBB255_1648:
	s_or_b64 exec, exec, s[4:5]
	v_cmp_gt_u32_e32 vcc, 64, v35
	s_waitcnt lgkmcnt(0)
	s_barrier
	s_and_saveexec_b64 s[4:5], vcc
	s_cbranch_execz .LBB255_1683
; %bb.1649:
	v_cmp_eq_u32_e32 vcc, 0, v54
	v_lshrrev_b32_e32 v32, 3, v35
	s_and_saveexec_b64 s[8:9], vcc
	s_cbranch_execnz .LBB255_1686
; %bb.1650:
	s_or_b64 exec, exec, s[8:9]
	s_and_saveexec_b64 s[8:9], vcc
	s_cbranch_execnz .LBB255_1687
.LBB255_1651:
	s_or_b64 exec, exec, s[8:9]
	s_and_saveexec_b64 s[8:9], vcc
	s_cbranch_execnz .LBB255_1688
.LBB255_1652:
	s_or_b64 exec, exec, s[8:9]
	s_and_saveexec_b64 s[8:9], vcc
	s_cbranch_execnz .LBB255_1689
.LBB255_1653:
	s_or_b64 exec, exec, s[8:9]
	s_and_saveexec_b64 s[8:9], vcc
	s_cbranch_execnz .LBB255_1690
.LBB255_1654:
	s_or_b64 exec, exec, s[8:9]
	s_and_saveexec_b64 s[8:9], vcc
	s_cbranch_execnz .LBB255_1691
.LBB255_1655:
	s_or_b64 exec, exec, s[8:9]
	s_and_saveexec_b64 s[8:9], vcc
	s_cbranch_execnz .LBB255_1692
.LBB255_1656:
	s_or_b64 exec, exec, s[8:9]
	s_and_saveexec_b64 s[8:9], vcc
	s_cbranch_execnz .LBB255_1693
.LBB255_1657:
	s_or_b64 exec, exec, s[8:9]
	s_and_saveexec_b64 s[8:9], vcc
	s_cbranch_execnz .LBB255_1694
.LBB255_1658:
	s_or_b64 exec, exec, s[8:9]
	s_and_saveexec_b64 s[8:9], vcc
	s_cbranch_execnz .LBB255_1695
.LBB255_1659:
	s_or_b64 exec, exec, s[8:9]
	s_and_saveexec_b64 s[8:9], vcc
	s_cbranch_execnz .LBB255_1696
.LBB255_1660:
	s_or_b64 exec, exec, s[8:9]
	s_and_saveexec_b64 s[8:9], vcc
	s_cbranch_execnz .LBB255_1697
.LBB255_1661:
	s_or_b64 exec, exec, s[8:9]
	s_and_saveexec_b64 s[8:9], vcc
	s_cbranch_execnz .LBB255_1698
.LBB255_1662:
	s_or_b64 exec, exec, s[8:9]
	s_and_saveexec_b64 s[8:9], vcc
	s_cbranch_execnz .LBB255_1699
.LBB255_1663:
	s_or_b64 exec, exec, s[8:9]
	s_and_saveexec_b64 s[8:9], vcc
	s_cbranch_execnz .LBB255_1700
.LBB255_1664:
	s_or_b64 exec, exec, s[8:9]
	s_and_saveexec_b64 s[8:9], vcc
	s_cbranch_execnz .LBB255_1701
.LBB255_1665:
	s_or_b64 exec, exec, s[8:9]
	s_and_saveexec_b64 s[8:9], vcc
	s_cbranch_execnz .LBB255_1702
.LBB255_1666:
	s_or_b64 exec, exec, s[8:9]
	s_and_saveexec_b64 s[8:9], vcc
	s_cbranch_execnz .LBB255_1703
.LBB255_1667:
	s_or_b64 exec, exec, s[8:9]
	s_and_saveexec_b64 s[8:9], vcc
	s_cbranch_execnz .LBB255_1704
.LBB255_1668:
	s_or_b64 exec, exec, s[8:9]
	s_and_saveexec_b64 s[8:9], vcc
	s_cbranch_execnz .LBB255_1705
.LBB255_1669:
	s_or_b64 exec, exec, s[8:9]
	s_and_saveexec_b64 s[8:9], vcc
	s_cbranch_execnz .LBB255_1706
.LBB255_1670:
	s_or_b64 exec, exec, s[8:9]
	s_and_saveexec_b64 s[8:9], vcc
	s_cbranch_execnz .LBB255_1707
.LBB255_1671:
	s_or_b64 exec, exec, s[8:9]
	s_and_saveexec_b64 s[8:9], vcc
	s_cbranch_execnz .LBB255_1708
.LBB255_1672:
	s_or_b64 exec, exec, s[8:9]
	s_and_saveexec_b64 s[8:9], vcc
	s_cbranch_execnz .LBB255_1709
.LBB255_1673:
	s_or_b64 exec, exec, s[8:9]
	s_and_saveexec_b64 s[8:9], vcc
	s_cbranch_execnz .LBB255_1710
.LBB255_1674:
	s_or_b64 exec, exec, s[8:9]
	s_and_saveexec_b64 s[8:9], vcc
	s_cbranch_execnz .LBB255_1711
.LBB255_1675:
	s_or_b64 exec, exec, s[8:9]
	s_and_saveexec_b64 s[8:9], vcc
	s_cbranch_execnz .LBB255_1712
.LBB255_1676:
	s_or_b64 exec, exec, s[8:9]
	s_and_saveexec_b64 s[8:9], vcc
	s_cbranch_execnz .LBB255_1713
.LBB255_1677:
	s_or_b64 exec, exec, s[8:9]
	s_and_saveexec_b64 s[8:9], vcc
	s_cbranch_execnz .LBB255_1714
.LBB255_1678:
	s_or_b64 exec, exec, s[8:9]
	s_and_saveexec_b64 s[8:9], vcc
	s_cbranch_execnz .LBB255_1715
.LBB255_1679:
	s_or_b64 exec, exec, s[8:9]
	s_and_saveexec_b64 s[8:9], vcc
	s_cbranch_execnz .LBB255_1716
.LBB255_1680:
	s_or_b64 exec, exec, s[8:9]
	s_and_saveexec_b64 s[8:9], vcc
	s_cbranch_execz .LBB255_1682
.LBB255_1681:
	s_ashr_i32 s19, s18, 31
	s_lshl_b64 s[10:11], s[18:19], 2
	s_getpc_b64 s[12:13]
	s_add_u32 s12, s12, llvm.amdgcn.dynlds.offset.table@rel32@lo+4
	s_addc_u32 s13, s13, llvm.amdgcn.dynlds.offset.table@rel32@hi+12
	s_add_u32 s10, s10, s12
	s_addc_u32 s11, s11, s13
	s_load_dword s7, s[10:11], 0x0
	s_waitcnt lgkmcnt(0)
	v_lshl_add_u32 v32, v32, 2, s7
	ds_read_b32 v32, v32 offset:992
	s_waitcnt lgkmcnt(0)
	v_add_f32_e32 v31, v32, v31
.LBB255_1682:
	s_or_b64 exec, exec, s[8:9]
.LBB255_1683:
	s_or_b64 exec, exec, s[4:5]
	v_cmp_eq_u32_e32 vcc, 0, v34
	s_barrier
	s_and_b64 exec, exec, vcc
	s_cbranch_execz .LBB255_1685
; %bb.1684:
	buffer_load_dword v33, off, s[0:3], s32 offset:1496 ; 4-byte Folded Reload
	buffer_load_dword v34, off, s[0:3], s32 offset:1492 ; 4-byte Folded Reload
	s_lshl_b32 s4, s6, 8
	s_mul_i32 s6, s20, s21
	s_lshl_b32 s8, s14, 8
	s_ashr_i32 s5, s4, 31
	s_ashr_i32 s7, s6, 31
	s_ashr_i32 s9, s8, 31
	s_lshl_b64 s[4:5], s[4:5], 2
	s_lshl_b64 s[6:7], s[6:7], 2
	;; [unrolled: 1-line block ×3, first 2 shown]
	s_add_u32 s6, s8, s6
	s_addc_u32 s7, s9, s7
	s_add_u32 s4, s6, s4
	s_addc_u32 s5, s7, s5
	v_mov_b32_e32 v32, s5
	s_waitcnt vmcnt(1)
	v_add_co_u32_e32 v33, vcc, s4, v33
	s_waitcnt vmcnt(0)
	v_addc_co_u32_e32 v34, vcc, v32, v34, vcc
	v_lshrrev_b32_e32 v32, 1, v35
	v_add_co_u32_e32 v32, vcc, v33, v32
	v_addc_co_u32_e32 v33, vcc, 0, v34, vcc
	flat_store_dword v[32:33], v4
	flat_store_dword v[32:33], v5 offset:32
	flat_store_dword v[32:33], v2 offset:64
	flat_store_dword v[32:33], v3 offset:96
	flat_store_dword v[32:33], v0 offset:128
	flat_store_dword v[32:33], v1 offset:160
	flat_store_dword v[32:33], v12 offset:192
	flat_store_dword v[32:33], v13 offset:224
	flat_store_dword v[32:33], v10 offset:256
	flat_store_dword v[32:33], v11 offset:288
	flat_store_dword v[32:33], v8 offset:320
	flat_store_dword v[32:33], v9 offset:352
	flat_store_dword v[32:33], v6 offset:384
	flat_store_dword v[32:33], v7 offset:416
	flat_store_dword v[32:33], v20 offset:448
	flat_store_dword v[32:33], v21 offset:480
	flat_store_dword v[32:33], v18 offset:512
	flat_store_dword v[32:33], v19 offset:544
	flat_store_dword v[32:33], v16 offset:576
	flat_store_dword v[32:33], v17 offset:608
	flat_store_dword v[32:33], v14 offset:640
	flat_store_dword v[32:33], v15 offset:672
	flat_store_dword v[32:33], v28 offset:704
	flat_store_dword v[32:33], v29 offset:736
	flat_store_dword v[32:33], v26 offset:768
	flat_store_dword v[32:33], v27 offset:800
	flat_store_dword v[32:33], v24 offset:832
	flat_store_dword v[32:33], v25 offset:864
	flat_store_dword v[32:33], v22 offset:896
	flat_store_dword v[32:33], v23 offset:928
	flat_store_dword v[32:33], v30 offset:960
	flat_store_dword v[32:33], v31 offset:992
.LBB255_1685:
	s_or_b64 exec, exec, s[16:17]
	buffer_load_dword a63, off, s[0:3], s32 ; 4-byte Folded Reload
	buffer_load_dword a62, off, s[0:3], s32 offset:4 ; 4-byte Folded Reload
	buffer_load_dword a61, off, s[0:3], s32 offset:8 ; 4-byte Folded Reload
	;; [unrolled: 1-line block ×46, first 2 shown]
	v_readlane_b32 s30, v63, 8
	v_readlane_b32 s31, v63, 9
	v_readlane_b32 s41, v63, 7
	v_readlane_b32 s40, v63, 6
	v_readlane_b32 s39, v63, 5
	v_readlane_b32 s38, v63, 4
	v_readlane_b32 s37, v63, 3
	v_readlane_b32 s36, v63, 2
	v_readlane_b32 s35, v63, 1
	v_readlane_b32 s34, v63, 0
	s_or_saveexec_b64 s[4:5], -1
	buffer_load_dword v63, off, s[0:3], s32 offset:1568 ; 4-byte Folded Reload
	s_mov_b64 exec, s[4:5]
	s_waitcnt vmcnt(0) lgkmcnt(0)
	s_setpc_b64 s[30:31]
.LBB255_1686:
	s_ashr_i32 s19, s18, 31
	s_lshl_b64 s[10:11], s[18:19], 2
	s_getpc_b64 s[12:13]
	s_add_u32 s12, s12, llvm.amdgcn.dynlds.offset.table@rel32@lo+4
	s_addc_u32 s13, s13, llvm.amdgcn.dynlds.offset.table@rel32@hi+12
	s_add_u32 s10, s10, s12
	s_addc_u32 s11, s11, s13
	s_load_dword s7, s[10:11], 0x0
	s_waitcnt lgkmcnt(0)
	v_lshl_add_u32 v33, v32, 2, s7
	ds_read_b32 v33, v33
	s_waitcnt lgkmcnt(0)
	v_add_f32_e32 v4, v33, v4
	s_or_b64 exec, exec, s[8:9]
	s_and_saveexec_b64 s[8:9], vcc
	s_cbranch_execz .LBB255_1651
.LBB255_1687:
	s_ashr_i32 s19, s18, 31
	s_lshl_b64 s[10:11], s[18:19], 2
	s_getpc_b64 s[12:13]
	s_add_u32 s12, s12, llvm.amdgcn.dynlds.offset.table@rel32@lo+4
	s_addc_u32 s13, s13, llvm.amdgcn.dynlds.offset.table@rel32@hi+12
	s_add_u32 s10, s10, s12
	s_addc_u32 s11, s11, s13
	s_load_dword s7, s[10:11], 0x0
	s_waitcnt lgkmcnt(0)
	v_lshl_add_u32 v33, v32, 2, s7
	ds_read_b32 v33, v33 offset:32
	s_waitcnt lgkmcnt(0)
	v_add_f32_e32 v5, v33, v5
	s_or_b64 exec, exec, s[8:9]
	s_and_saveexec_b64 s[8:9], vcc
	s_cbranch_execz .LBB255_1652
.LBB255_1688:
	s_ashr_i32 s19, s18, 31
	s_lshl_b64 s[10:11], s[18:19], 2
	s_getpc_b64 s[12:13]
	s_add_u32 s12, s12, llvm.amdgcn.dynlds.offset.table@rel32@lo+4
	s_addc_u32 s13, s13, llvm.amdgcn.dynlds.offset.table@rel32@hi+12
	s_add_u32 s10, s10, s12
	s_addc_u32 s11, s11, s13
	s_load_dword s7, s[10:11], 0x0
	s_waitcnt lgkmcnt(0)
	v_lshl_add_u32 v33, v32, 2, s7
	ds_read_b32 v33, v33 offset:64
	s_waitcnt lgkmcnt(0)
	v_add_f32_e32 v2, v33, v2
	s_or_b64 exec, exec, s[8:9]
	s_and_saveexec_b64 s[8:9], vcc
	s_cbranch_execz .LBB255_1653
.LBB255_1689:
	s_ashr_i32 s19, s18, 31
	s_lshl_b64 s[10:11], s[18:19], 2
	s_getpc_b64 s[12:13]
	s_add_u32 s12, s12, llvm.amdgcn.dynlds.offset.table@rel32@lo+4
	s_addc_u32 s13, s13, llvm.amdgcn.dynlds.offset.table@rel32@hi+12
	s_add_u32 s10, s10, s12
	s_addc_u32 s11, s11, s13
	s_load_dword s7, s[10:11], 0x0
	s_waitcnt lgkmcnt(0)
	v_lshl_add_u32 v33, v32, 2, s7
	ds_read_b32 v33, v33 offset:96
	s_waitcnt lgkmcnt(0)
	v_add_f32_e32 v3, v33, v3
	s_or_b64 exec, exec, s[8:9]
	s_and_saveexec_b64 s[8:9], vcc
	s_cbranch_execz .LBB255_1654
.LBB255_1690:
	s_ashr_i32 s19, s18, 31
	s_lshl_b64 s[10:11], s[18:19], 2
	s_getpc_b64 s[12:13]
	s_add_u32 s12, s12, llvm.amdgcn.dynlds.offset.table@rel32@lo+4
	s_addc_u32 s13, s13, llvm.amdgcn.dynlds.offset.table@rel32@hi+12
	s_add_u32 s10, s10, s12
	s_addc_u32 s11, s11, s13
	s_load_dword s7, s[10:11], 0x0
	s_waitcnt lgkmcnt(0)
	v_lshl_add_u32 v33, v32, 2, s7
	ds_read_b32 v33, v33 offset:128
	s_waitcnt lgkmcnt(0)
	v_add_f32_e32 v0, v33, v0
	s_or_b64 exec, exec, s[8:9]
	s_and_saveexec_b64 s[8:9], vcc
	s_cbranch_execz .LBB255_1655
.LBB255_1691:
	s_ashr_i32 s19, s18, 31
	s_lshl_b64 s[10:11], s[18:19], 2
	s_getpc_b64 s[12:13]
	s_add_u32 s12, s12, llvm.amdgcn.dynlds.offset.table@rel32@lo+4
	s_addc_u32 s13, s13, llvm.amdgcn.dynlds.offset.table@rel32@hi+12
	s_add_u32 s10, s10, s12
	s_addc_u32 s11, s11, s13
	s_load_dword s7, s[10:11], 0x0
	s_waitcnt lgkmcnt(0)
	v_lshl_add_u32 v33, v32, 2, s7
	ds_read_b32 v33, v33 offset:160
	s_waitcnt lgkmcnt(0)
	v_add_f32_e32 v1, v33, v1
	s_or_b64 exec, exec, s[8:9]
	s_and_saveexec_b64 s[8:9], vcc
	s_cbranch_execz .LBB255_1656
.LBB255_1692:
	s_ashr_i32 s19, s18, 31
	s_lshl_b64 s[10:11], s[18:19], 2
	s_getpc_b64 s[12:13]
	s_add_u32 s12, s12, llvm.amdgcn.dynlds.offset.table@rel32@lo+4
	s_addc_u32 s13, s13, llvm.amdgcn.dynlds.offset.table@rel32@hi+12
	s_add_u32 s10, s10, s12
	s_addc_u32 s11, s11, s13
	s_load_dword s7, s[10:11], 0x0
	s_waitcnt lgkmcnt(0)
	v_lshl_add_u32 v33, v32, 2, s7
	ds_read_b32 v33, v33 offset:192
	s_waitcnt lgkmcnt(0)
	v_add_f32_e32 v12, v33, v12
	s_or_b64 exec, exec, s[8:9]
	s_and_saveexec_b64 s[8:9], vcc
	s_cbranch_execz .LBB255_1657
.LBB255_1693:
	s_ashr_i32 s19, s18, 31
	s_lshl_b64 s[10:11], s[18:19], 2
	s_getpc_b64 s[12:13]
	s_add_u32 s12, s12, llvm.amdgcn.dynlds.offset.table@rel32@lo+4
	s_addc_u32 s13, s13, llvm.amdgcn.dynlds.offset.table@rel32@hi+12
	s_add_u32 s10, s10, s12
	s_addc_u32 s11, s11, s13
	s_load_dword s7, s[10:11], 0x0
	s_waitcnt lgkmcnt(0)
	v_lshl_add_u32 v33, v32, 2, s7
	ds_read_b32 v33, v33 offset:224
	s_waitcnt lgkmcnt(0)
	v_add_f32_e32 v13, v33, v13
	s_or_b64 exec, exec, s[8:9]
	s_and_saveexec_b64 s[8:9], vcc
	s_cbranch_execz .LBB255_1658
.LBB255_1694:
	s_ashr_i32 s19, s18, 31
	s_lshl_b64 s[10:11], s[18:19], 2
	s_getpc_b64 s[12:13]
	s_add_u32 s12, s12, llvm.amdgcn.dynlds.offset.table@rel32@lo+4
	s_addc_u32 s13, s13, llvm.amdgcn.dynlds.offset.table@rel32@hi+12
	s_add_u32 s10, s10, s12
	s_addc_u32 s11, s11, s13
	s_load_dword s7, s[10:11], 0x0
	s_waitcnt lgkmcnt(0)
	v_lshl_add_u32 v33, v32, 2, s7
	ds_read_b32 v33, v33 offset:256
	s_waitcnt lgkmcnt(0)
	v_add_f32_e32 v10, v33, v10
	s_or_b64 exec, exec, s[8:9]
	s_and_saveexec_b64 s[8:9], vcc
	s_cbranch_execz .LBB255_1659
.LBB255_1695:
	s_ashr_i32 s19, s18, 31
	s_lshl_b64 s[10:11], s[18:19], 2
	s_getpc_b64 s[12:13]
	s_add_u32 s12, s12, llvm.amdgcn.dynlds.offset.table@rel32@lo+4
	s_addc_u32 s13, s13, llvm.amdgcn.dynlds.offset.table@rel32@hi+12
	s_add_u32 s10, s10, s12
	s_addc_u32 s11, s11, s13
	s_load_dword s7, s[10:11], 0x0
	s_waitcnt lgkmcnt(0)
	v_lshl_add_u32 v33, v32, 2, s7
	ds_read_b32 v33, v33 offset:288
	s_waitcnt lgkmcnt(0)
	v_add_f32_e32 v11, v33, v11
	s_or_b64 exec, exec, s[8:9]
	s_and_saveexec_b64 s[8:9], vcc
	s_cbranch_execz .LBB255_1660
.LBB255_1696:
	s_ashr_i32 s19, s18, 31
	s_lshl_b64 s[10:11], s[18:19], 2
	s_getpc_b64 s[12:13]
	s_add_u32 s12, s12, llvm.amdgcn.dynlds.offset.table@rel32@lo+4
	s_addc_u32 s13, s13, llvm.amdgcn.dynlds.offset.table@rel32@hi+12
	s_add_u32 s10, s10, s12
	s_addc_u32 s11, s11, s13
	s_load_dword s7, s[10:11], 0x0
	s_waitcnt lgkmcnt(0)
	v_lshl_add_u32 v33, v32, 2, s7
	ds_read_b32 v33, v33 offset:320
	s_waitcnt lgkmcnt(0)
	v_add_f32_e32 v8, v33, v8
	s_or_b64 exec, exec, s[8:9]
	s_and_saveexec_b64 s[8:9], vcc
	s_cbranch_execz .LBB255_1661
.LBB255_1697:
	s_ashr_i32 s19, s18, 31
	s_lshl_b64 s[10:11], s[18:19], 2
	s_getpc_b64 s[12:13]
	s_add_u32 s12, s12, llvm.amdgcn.dynlds.offset.table@rel32@lo+4
	s_addc_u32 s13, s13, llvm.amdgcn.dynlds.offset.table@rel32@hi+12
	s_add_u32 s10, s10, s12
	s_addc_u32 s11, s11, s13
	s_load_dword s7, s[10:11], 0x0
	s_waitcnt lgkmcnt(0)
	v_lshl_add_u32 v33, v32, 2, s7
	ds_read_b32 v33, v33 offset:352
	s_waitcnt lgkmcnt(0)
	v_add_f32_e32 v9, v33, v9
	s_or_b64 exec, exec, s[8:9]
	s_and_saveexec_b64 s[8:9], vcc
	s_cbranch_execz .LBB255_1662
.LBB255_1698:
	s_ashr_i32 s19, s18, 31
	s_lshl_b64 s[10:11], s[18:19], 2
	s_getpc_b64 s[12:13]
	s_add_u32 s12, s12, llvm.amdgcn.dynlds.offset.table@rel32@lo+4
	s_addc_u32 s13, s13, llvm.amdgcn.dynlds.offset.table@rel32@hi+12
	s_add_u32 s10, s10, s12
	s_addc_u32 s11, s11, s13
	s_load_dword s7, s[10:11], 0x0
	s_waitcnt lgkmcnt(0)
	v_lshl_add_u32 v33, v32, 2, s7
	ds_read_b32 v33, v33 offset:384
	s_waitcnt lgkmcnt(0)
	v_add_f32_e32 v6, v33, v6
	s_or_b64 exec, exec, s[8:9]
	s_and_saveexec_b64 s[8:9], vcc
	s_cbranch_execz .LBB255_1663
.LBB255_1699:
	s_ashr_i32 s19, s18, 31
	s_lshl_b64 s[10:11], s[18:19], 2
	s_getpc_b64 s[12:13]
	s_add_u32 s12, s12, llvm.amdgcn.dynlds.offset.table@rel32@lo+4
	s_addc_u32 s13, s13, llvm.amdgcn.dynlds.offset.table@rel32@hi+12
	s_add_u32 s10, s10, s12
	s_addc_u32 s11, s11, s13
	s_load_dword s7, s[10:11], 0x0
	s_waitcnt lgkmcnt(0)
	v_lshl_add_u32 v33, v32, 2, s7
	ds_read_b32 v33, v33 offset:416
	s_waitcnt lgkmcnt(0)
	v_add_f32_e32 v7, v33, v7
	s_or_b64 exec, exec, s[8:9]
	s_and_saveexec_b64 s[8:9], vcc
	s_cbranch_execz .LBB255_1664
.LBB255_1700:
	s_ashr_i32 s19, s18, 31
	s_lshl_b64 s[10:11], s[18:19], 2
	s_getpc_b64 s[12:13]
	s_add_u32 s12, s12, llvm.amdgcn.dynlds.offset.table@rel32@lo+4
	s_addc_u32 s13, s13, llvm.amdgcn.dynlds.offset.table@rel32@hi+12
	s_add_u32 s10, s10, s12
	s_addc_u32 s11, s11, s13
	s_load_dword s7, s[10:11], 0x0
	s_waitcnt lgkmcnt(0)
	v_lshl_add_u32 v33, v32, 2, s7
	ds_read_b32 v33, v33 offset:448
	s_waitcnt lgkmcnt(0)
	v_add_f32_e32 v20, v33, v20
	s_or_b64 exec, exec, s[8:9]
	s_and_saveexec_b64 s[8:9], vcc
	s_cbranch_execz .LBB255_1665
.LBB255_1701:
	s_ashr_i32 s19, s18, 31
	s_lshl_b64 s[10:11], s[18:19], 2
	s_getpc_b64 s[12:13]
	s_add_u32 s12, s12, llvm.amdgcn.dynlds.offset.table@rel32@lo+4
	s_addc_u32 s13, s13, llvm.amdgcn.dynlds.offset.table@rel32@hi+12
	s_add_u32 s10, s10, s12
	s_addc_u32 s11, s11, s13
	s_load_dword s7, s[10:11], 0x0
	s_waitcnt lgkmcnt(0)
	v_lshl_add_u32 v33, v32, 2, s7
	ds_read_b32 v33, v33 offset:480
	s_waitcnt lgkmcnt(0)
	v_add_f32_e32 v21, v33, v21
	s_or_b64 exec, exec, s[8:9]
	s_and_saveexec_b64 s[8:9], vcc
	s_cbranch_execz .LBB255_1666
.LBB255_1702:
	s_ashr_i32 s19, s18, 31
	s_lshl_b64 s[10:11], s[18:19], 2
	s_getpc_b64 s[12:13]
	s_add_u32 s12, s12, llvm.amdgcn.dynlds.offset.table@rel32@lo+4
	s_addc_u32 s13, s13, llvm.amdgcn.dynlds.offset.table@rel32@hi+12
	s_add_u32 s10, s10, s12
	s_addc_u32 s11, s11, s13
	s_load_dword s7, s[10:11], 0x0
	s_waitcnt lgkmcnt(0)
	v_lshl_add_u32 v33, v32, 2, s7
	ds_read_b32 v33, v33 offset:512
	s_waitcnt lgkmcnt(0)
	v_add_f32_e32 v18, v33, v18
	s_or_b64 exec, exec, s[8:9]
	s_and_saveexec_b64 s[8:9], vcc
	s_cbranch_execz .LBB255_1667
.LBB255_1703:
	s_ashr_i32 s19, s18, 31
	s_lshl_b64 s[10:11], s[18:19], 2
	s_getpc_b64 s[12:13]
	s_add_u32 s12, s12, llvm.amdgcn.dynlds.offset.table@rel32@lo+4
	s_addc_u32 s13, s13, llvm.amdgcn.dynlds.offset.table@rel32@hi+12
	s_add_u32 s10, s10, s12
	s_addc_u32 s11, s11, s13
	s_load_dword s7, s[10:11], 0x0
	s_waitcnt lgkmcnt(0)
	v_lshl_add_u32 v33, v32, 2, s7
	ds_read_b32 v33, v33 offset:544
	s_waitcnt lgkmcnt(0)
	v_add_f32_e32 v19, v33, v19
	s_or_b64 exec, exec, s[8:9]
	s_and_saveexec_b64 s[8:9], vcc
	s_cbranch_execz .LBB255_1668
.LBB255_1704:
	s_ashr_i32 s19, s18, 31
	s_lshl_b64 s[10:11], s[18:19], 2
	s_getpc_b64 s[12:13]
	s_add_u32 s12, s12, llvm.amdgcn.dynlds.offset.table@rel32@lo+4
	s_addc_u32 s13, s13, llvm.amdgcn.dynlds.offset.table@rel32@hi+12
	s_add_u32 s10, s10, s12
	s_addc_u32 s11, s11, s13
	s_load_dword s7, s[10:11], 0x0
	s_waitcnt lgkmcnt(0)
	v_lshl_add_u32 v33, v32, 2, s7
	ds_read_b32 v33, v33 offset:576
	s_waitcnt lgkmcnt(0)
	v_add_f32_e32 v16, v33, v16
	s_or_b64 exec, exec, s[8:9]
	s_and_saveexec_b64 s[8:9], vcc
	s_cbranch_execz .LBB255_1669
.LBB255_1705:
	s_ashr_i32 s19, s18, 31
	s_lshl_b64 s[10:11], s[18:19], 2
	s_getpc_b64 s[12:13]
	s_add_u32 s12, s12, llvm.amdgcn.dynlds.offset.table@rel32@lo+4
	s_addc_u32 s13, s13, llvm.amdgcn.dynlds.offset.table@rel32@hi+12
	s_add_u32 s10, s10, s12
	s_addc_u32 s11, s11, s13
	s_load_dword s7, s[10:11], 0x0
	s_waitcnt lgkmcnt(0)
	v_lshl_add_u32 v33, v32, 2, s7
	ds_read_b32 v33, v33 offset:608
	s_waitcnt lgkmcnt(0)
	v_add_f32_e32 v17, v33, v17
	s_or_b64 exec, exec, s[8:9]
	s_and_saveexec_b64 s[8:9], vcc
	s_cbranch_execz .LBB255_1670
.LBB255_1706:
	s_ashr_i32 s19, s18, 31
	s_lshl_b64 s[10:11], s[18:19], 2
	s_getpc_b64 s[12:13]
	s_add_u32 s12, s12, llvm.amdgcn.dynlds.offset.table@rel32@lo+4
	s_addc_u32 s13, s13, llvm.amdgcn.dynlds.offset.table@rel32@hi+12
	s_add_u32 s10, s10, s12
	s_addc_u32 s11, s11, s13
	s_load_dword s7, s[10:11], 0x0
	s_waitcnt lgkmcnt(0)
	v_lshl_add_u32 v33, v32, 2, s7
	ds_read_b32 v33, v33 offset:640
	s_waitcnt lgkmcnt(0)
	v_add_f32_e32 v14, v33, v14
	s_or_b64 exec, exec, s[8:9]
	s_and_saveexec_b64 s[8:9], vcc
	s_cbranch_execz .LBB255_1671
.LBB255_1707:
	s_ashr_i32 s19, s18, 31
	s_lshl_b64 s[10:11], s[18:19], 2
	s_getpc_b64 s[12:13]
	s_add_u32 s12, s12, llvm.amdgcn.dynlds.offset.table@rel32@lo+4
	s_addc_u32 s13, s13, llvm.amdgcn.dynlds.offset.table@rel32@hi+12
	s_add_u32 s10, s10, s12
	s_addc_u32 s11, s11, s13
	s_load_dword s7, s[10:11], 0x0
	s_waitcnt lgkmcnt(0)
	v_lshl_add_u32 v33, v32, 2, s7
	ds_read_b32 v33, v33 offset:672
	s_waitcnt lgkmcnt(0)
	v_add_f32_e32 v15, v33, v15
	s_or_b64 exec, exec, s[8:9]
	s_and_saveexec_b64 s[8:9], vcc
	s_cbranch_execz .LBB255_1672
.LBB255_1708:
	s_ashr_i32 s19, s18, 31
	s_lshl_b64 s[10:11], s[18:19], 2
	s_getpc_b64 s[12:13]
	s_add_u32 s12, s12, llvm.amdgcn.dynlds.offset.table@rel32@lo+4
	s_addc_u32 s13, s13, llvm.amdgcn.dynlds.offset.table@rel32@hi+12
	s_add_u32 s10, s10, s12
	s_addc_u32 s11, s11, s13
	s_load_dword s7, s[10:11], 0x0
	s_waitcnt lgkmcnt(0)
	v_lshl_add_u32 v33, v32, 2, s7
	ds_read_b32 v33, v33 offset:704
	s_waitcnt lgkmcnt(0)
	v_add_f32_e32 v28, v33, v28
	s_or_b64 exec, exec, s[8:9]
	s_and_saveexec_b64 s[8:9], vcc
	s_cbranch_execz .LBB255_1673
.LBB255_1709:
	s_ashr_i32 s19, s18, 31
	s_lshl_b64 s[10:11], s[18:19], 2
	s_getpc_b64 s[12:13]
	s_add_u32 s12, s12, llvm.amdgcn.dynlds.offset.table@rel32@lo+4
	s_addc_u32 s13, s13, llvm.amdgcn.dynlds.offset.table@rel32@hi+12
	s_add_u32 s10, s10, s12
	s_addc_u32 s11, s11, s13
	s_load_dword s7, s[10:11], 0x0
	s_waitcnt lgkmcnt(0)
	v_lshl_add_u32 v33, v32, 2, s7
	ds_read_b32 v33, v33 offset:736
	s_waitcnt lgkmcnt(0)
	v_add_f32_e32 v29, v33, v29
	s_or_b64 exec, exec, s[8:9]
	s_and_saveexec_b64 s[8:9], vcc
	s_cbranch_execz .LBB255_1674
.LBB255_1710:
	s_ashr_i32 s19, s18, 31
	s_lshl_b64 s[10:11], s[18:19], 2
	s_getpc_b64 s[12:13]
	s_add_u32 s12, s12, llvm.amdgcn.dynlds.offset.table@rel32@lo+4
	s_addc_u32 s13, s13, llvm.amdgcn.dynlds.offset.table@rel32@hi+12
	s_add_u32 s10, s10, s12
	s_addc_u32 s11, s11, s13
	s_load_dword s7, s[10:11], 0x0
	s_waitcnt lgkmcnt(0)
	v_lshl_add_u32 v33, v32, 2, s7
	ds_read_b32 v33, v33 offset:768
	s_waitcnt lgkmcnt(0)
	v_add_f32_e32 v26, v33, v26
	s_or_b64 exec, exec, s[8:9]
	s_and_saveexec_b64 s[8:9], vcc
	s_cbranch_execz .LBB255_1675
.LBB255_1711:
	s_ashr_i32 s19, s18, 31
	s_lshl_b64 s[10:11], s[18:19], 2
	s_getpc_b64 s[12:13]
	s_add_u32 s12, s12, llvm.amdgcn.dynlds.offset.table@rel32@lo+4
	s_addc_u32 s13, s13, llvm.amdgcn.dynlds.offset.table@rel32@hi+12
	s_add_u32 s10, s10, s12
	s_addc_u32 s11, s11, s13
	s_load_dword s7, s[10:11], 0x0
	s_waitcnt lgkmcnt(0)
	v_lshl_add_u32 v33, v32, 2, s7
	ds_read_b32 v33, v33 offset:800
	s_waitcnt lgkmcnt(0)
	v_add_f32_e32 v27, v33, v27
	s_or_b64 exec, exec, s[8:9]
	s_and_saveexec_b64 s[8:9], vcc
	s_cbranch_execz .LBB255_1676
.LBB255_1712:
	s_ashr_i32 s19, s18, 31
	s_lshl_b64 s[10:11], s[18:19], 2
	s_getpc_b64 s[12:13]
	s_add_u32 s12, s12, llvm.amdgcn.dynlds.offset.table@rel32@lo+4
	s_addc_u32 s13, s13, llvm.amdgcn.dynlds.offset.table@rel32@hi+12
	s_add_u32 s10, s10, s12
	s_addc_u32 s11, s11, s13
	s_load_dword s7, s[10:11], 0x0
	s_waitcnt lgkmcnt(0)
	v_lshl_add_u32 v33, v32, 2, s7
	ds_read_b32 v33, v33 offset:832
	s_waitcnt lgkmcnt(0)
	v_add_f32_e32 v24, v33, v24
	s_or_b64 exec, exec, s[8:9]
	s_and_saveexec_b64 s[8:9], vcc
	s_cbranch_execz .LBB255_1677
.LBB255_1713:
	s_ashr_i32 s19, s18, 31
	s_lshl_b64 s[10:11], s[18:19], 2
	s_getpc_b64 s[12:13]
	s_add_u32 s12, s12, llvm.amdgcn.dynlds.offset.table@rel32@lo+4
	s_addc_u32 s13, s13, llvm.amdgcn.dynlds.offset.table@rel32@hi+12
	s_add_u32 s10, s10, s12
	s_addc_u32 s11, s11, s13
	s_load_dword s7, s[10:11], 0x0
	s_waitcnt lgkmcnt(0)
	v_lshl_add_u32 v33, v32, 2, s7
	ds_read_b32 v33, v33 offset:864
	s_waitcnt lgkmcnt(0)
	v_add_f32_e32 v25, v33, v25
	s_or_b64 exec, exec, s[8:9]
	s_and_saveexec_b64 s[8:9], vcc
	s_cbranch_execz .LBB255_1678
.LBB255_1714:
	s_ashr_i32 s19, s18, 31
	s_lshl_b64 s[10:11], s[18:19], 2
	s_getpc_b64 s[12:13]
	s_add_u32 s12, s12, llvm.amdgcn.dynlds.offset.table@rel32@lo+4
	s_addc_u32 s13, s13, llvm.amdgcn.dynlds.offset.table@rel32@hi+12
	s_add_u32 s10, s10, s12
	s_addc_u32 s11, s11, s13
	s_load_dword s7, s[10:11], 0x0
	s_waitcnt lgkmcnt(0)
	v_lshl_add_u32 v33, v32, 2, s7
	ds_read_b32 v33, v33 offset:896
	s_waitcnt lgkmcnt(0)
	v_add_f32_e32 v22, v33, v22
	s_or_b64 exec, exec, s[8:9]
	s_and_saveexec_b64 s[8:9], vcc
	s_cbranch_execz .LBB255_1679
.LBB255_1715:
	s_ashr_i32 s19, s18, 31
	s_lshl_b64 s[10:11], s[18:19], 2
	s_getpc_b64 s[12:13]
	s_add_u32 s12, s12, llvm.amdgcn.dynlds.offset.table@rel32@lo+4
	s_addc_u32 s13, s13, llvm.amdgcn.dynlds.offset.table@rel32@hi+12
	s_add_u32 s10, s10, s12
	s_addc_u32 s11, s11, s13
	s_load_dword s7, s[10:11], 0x0
	s_waitcnt lgkmcnt(0)
	v_lshl_add_u32 v33, v32, 2, s7
	ds_read_b32 v33, v33 offset:928
	s_waitcnt lgkmcnt(0)
	v_add_f32_e32 v23, v33, v23
	s_or_b64 exec, exec, s[8:9]
	s_and_saveexec_b64 s[8:9], vcc
	s_cbranch_execz .LBB255_1680
.LBB255_1716:
	s_ashr_i32 s19, s18, 31
	s_lshl_b64 s[10:11], s[18:19], 2
	s_getpc_b64 s[12:13]
	s_add_u32 s12, s12, llvm.amdgcn.dynlds.offset.table@rel32@lo+4
	s_addc_u32 s13, s13, llvm.amdgcn.dynlds.offset.table@rel32@hi+12
	s_add_u32 s10, s10, s12
	s_addc_u32 s11, s11, s13
	s_load_dword s7, s[10:11], 0x0
	s_waitcnt lgkmcnt(0)
	v_lshl_add_u32 v33, v32, 2, s7
	ds_read_b32 v33, v33 offset:960
	s_waitcnt lgkmcnt(0)
	v_add_f32_e32 v30, v33, v30
	s_or_b64 exec, exec, s[8:9]
	s_and_saveexec_b64 s[8:9], vcc
	s_cbranch_execnz .LBB255_1681
	s_branch .LBB255_1682
.Lfunc_end255:
	.size	_ZN4vllm22paged_attention_kernelIfhLi256ELi32ELi128ELNS_18Fp8KVCacheDataTypeE1ELb0ELi512EEEvPfS2_PT_PKS3_PKT0_S9_ifPKiSB_iPKfiiiSD_SD_iiiii, .Lfunc_end255-_ZN4vllm22paged_attention_kernelIfhLi256ELi32ELi128ELNS_18Fp8KVCacheDataTypeE1ELb0ELi512EEEvPfS2_PT_PKS3_PKT0_S9_ifPKiSB_iPKfiiiSD_SD_iiiii
                                        ; -- End function
	.section	.AMDGPU.csdata,"",@progbits
; Function info:
; codeLenInByte = 87972
; NumSgprs: 46
; NumVgprs: 64
; NumAgprs: 64
; TotalNumVgprs: 128
; ScratchSize: 1576
; MemoryBound: 0
	.section	.text._ZN4vllm25paged_attention_v2_kernelIfhLi256ELi32ELi128ELNS_18Fp8KVCacheDataTypeE1ELb0ELi512EEEvPfS2_PT_PKS3_PKT0_S9_ifPKiSB_iPKfiiiSD_SD_iiiii,"axG",@progbits,_ZN4vllm25paged_attention_v2_kernelIfhLi256ELi32ELi128ELNS_18Fp8KVCacheDataTypeE1ELb0ELi512EEEvPfS2_PT_PKS3_PKT0_S9_ifPKiSB_iPKfiiiSD_SD_iiiii,comdat
	.protected	_ZN4vllm25paged_attention_v2_kernelIfhLi256ELi32ELi128ELNS_18Fp8KVCacheDataTypeE1ELb0ELi512EEEvPfS2_PT_PKS3_PKT0_S9_ifPKiSB_iPKfiiiSD_SD_iiiii ; -- Begin function _ZN4vllm25paged_attention_v2_kernelIfhLi256ELi32ELi128ELNS_18Fp8KVCacheDataTypeE1ELb0ELi512EEEvPfS2_PT_PKS3_PKT0_S9_ifPKiSB_iPKfiiiSD_SD_iiiii
	.globl	_ZN4vllm25paged_attention_v2_kernelIfhLi256ELi32ELi128ELNS_18Fp8KVCacheDataTypeE1ELb0ELi512EEEvPfS2_PT_PKS3_PKT0_S9_ifPKiSB_iPKfiiiSD_SD_iiiii
	.p2align	8
	.type	_ZN4vllm25paged_attention_v2_kernelIfhLi256ELi32ELi128ELNS_18Fp8KVCacheDataTypeE1ELb0ELi512EEEvPfS2_PT_PKS3_PKT0_S9_ifPKiSB_iPKfiiiSD_SD_iiiii,@function
_ZN4vllm25paged_attention_v2_kernelIfhLi256ELi32ELi128ELNS_18Fp8KVCacheDataTypeE1ELb0ELi512EEEvPfS2_PT_PKS3_PKT0_S9_ifPKiSB_iPKfiiiSD_SD_iiiii: ; @_ZN4vllm25paged_attention_v2_kernelIfhLi256ELi32ELi128ELNS_18Fp8KVCacheDataTypeE1ELb0ELi512EEEvPfS2_PT_PKS3_PKT0_S9_ifPKiSB_iPKfiiiSD_SD_iiiii
; %bb.0:
	s_add_u32 flat_scratch_lo, s6, s11
	s_addc_u32 flat_scratch_hi, s7, 0
	s_add_u32 s0, s0, s11
	s_load_dwordx8 s[24:31], s[4:5], 0x0
	s_load_dwordx8 s[16:23], s[4:5], 0x20
	s_load_dwordx2 s[6:7], s[4:5], 0x40
	s_load_dwordx2 s[34:35], s[4:5], 0x50
	s_load_dword s11, s[4:5], 0x48
	s_load_dwordx8 s[36:43], s[4:5], 0x58
	s_addc_u32 s1, s1, 0
	s_mov_b32 s12, s8
	s_add_u32 s8, s4, 0x90
	s_mov_b32 s13, s9
	s_addc_u32 s9, s5, 0
	s_mov_b32 s14, s10
	s_mov_b32 s15, 38
	v_mov_b32_e32 v31, v0
	s_waitcnt lgkmcnt(0)
	v_mov_b32_e32 v0, s24
	v_mov_b32_e32 v1, s25
	;; [unrolled: 1-line block ×28, first 2 shown]
	s_mov_b32 s32, 0
	s_getpc_b64 s[4:5]
	s_add_u32 s4, s4, _ZN4vllm22paged_attention_kernelIfhLi256ELi32ELi128ELNS_18Fp8KVCacheDataTypeE1ELb0ELi512EEEvPfS2_PT_PKS3_PKT0_S9_ifPKiSB_iPKfiiiSD_SD_iiiii@rel32@lo+4
	s_addc_u32 s5, s5, _ZN4vllm22paged_attention_kernelIfhLi256ELi32ELi128ELNS_18Fp8KVCacheDataTypeE1ELb0ELi512EEEvPfS2_PT_PKS3_PKT0_S9_ifPKiSB_iPKfiiiSD_SD_iiiii@rel32@hi+12
	s_swappc_b64 s[30:31], s[4:5]
	s_endpgm
	.section	.rodata,"a",@progbits
	.p2align	6, 0x0
	.amdhsa_kernel _ZN4vllm25paged_attention_v2_kernelIfhLi256ELi32ELi128ELNS_18Fp8KVCacheDataTypeE1ELb0ELi512EEEvPfS2_PT_PKS3_PKT0_S9_ifPKiSB_iPKfiiiSD_SD_iiiii
		.amdhsa_group_segment_fixed_size 1040
		.amdhsa_private_segment_fixed_size 1576
		.amdhsa_kernarg_size 400
		.amdhsa_user_sgpr_count 8
		.amdhsa_user_sgpr_private_segment_buffer 1
		.amdhsa_user_sgpr_dispatch_ptr 0
		.amdhsa_user_sgpr_queue_ptr 0
		.amdhsa_user_sgpr_kernarg_segment_ptr 1
		.amdhsa_user_sgpr_dispatch_id 0
		.amdhsa_user_sgpr_flat_scratch_init 1
		.amdhsa_user_sgpr_kernarg_preload_length 0
		.amdhsa_user_sgpr_kernarg_preload_offset 0
		.amdhsa_user_sgpr_private_segment_size 0
		.amdhsa_uses_dynamic_stack 0
		.amdhsa_system_sgpr_private_segment_wavefront_offset 1
		.amdhsa_system_sgpr_workgroup_id_x 1
		.amdhsa_system_sgpr_workgroup_id_y 1
		.amdhsa_system_sgpr_workgroup_id_z 1
		.amdhsa_system_sgpr_workgroup_info 0
		.amdhsa_system_vgpr_workitem_id 0
		.amdhsa_next_free_vgpr 128
		.amdhsa_next_free_sgpr 44
		.amdhsa_accum_offset 64
		.amdhsa_reserve_vcc 1
		.amdhsa_reserve_flat_scratch 1
		.amdhsa_float_round_mode_32 0
		.amdhsa_float_round_mode_16_64 0
		.amdhsa_float_denorm_mode_32 3
		.amdhsa_float_denorm_mode_16_64 3
		.amdhsa_dx10_clamp 1
		.amdhsa_ieee_mode 1
		.amdhsa_fp16_overflow 0
		.amdhsa_tg_split 0
		.amdhsa_exception_fp_ieee_invalid_op 0
		.amdhsa_exception_fp_denorm_src 0
		.amdhsa_exception_fp_ieee_div_zero 0
		.amdhsa_exception_fp_ieee_overflow 0
		.amdhsa_exception_fp_ieee_underflow 0
		.amdhsa_exception_fp_ieee_inexact 0
		.amdhsa_exception_int_div_zero 0
	.end_amdhsa_kernel
	.section	.text._ZN4vllm25paged_attention_v2_kernelIfhLi256ELi32ELi128ELNS_18Fp8KVCacheDataTypeE1ELb0ELi512EEEvPfS2_PT_PKS3_PKT0_S9_ifPKiSB_iPKfiiiSD_SD_iiiii,"axG",@progbits,_ZN4vllm25paged_attention_v2_kernelIfhLi256ELi32ELi128ELNS_18Fp8KVCacheDataTypeE1ELb0ELi512EEEvPfS2_PT_PKS3_PKT0_S9_ifPKiSB_iPKfiiiSD_SD_iiiii,comdat
.Lfunc_end256:
	.size	_ZN4vllm25paged_attention_v2_kernelIfhLi256ELi32ELi128ELNS_18Fp8KVCacheDataTypeE1ELb0ELi512EEEvPfS2_PT_PKS3_PKT0_S9_ifPKiSB_iPKfiiiSD_SD_iiiii, .Lfunc_end256-_ZN4vllm25paged_attention_v2_kernelIfhLi256ELi32ELi128ELNS_18Fp8KVCacheDataTypeE1ELb0ELi512EEEvPfS2_PT_PKS3_PKT0_S9_ifPKiSB_iPKfiiiSD_SD_iiiii
                                        ; -- End function
	.section	.AMDGPU.csdata,"",@progbits
; Kernel info:
; codeLenInByte = 244
; NumSgprs: 50
; NumVgprs: 64
; NumAgprs: 64
; TotalNumVgprs: 128
; ScratchSize: 1576
; MemoryBound: 0
; FloatMode: 240
; IeeeMode: 1
; LDSByteSize: 1040 bytes/workgroup (compile time only)
; SGPRBlocks: 6
; VGPRBlocks: 15
; NumSGPRsForWavesPerEU: 50
; NumVGPRsForWavesPerEU: 128
; AccumOffset: 64
; Occupancy: 4
; WaveLimiterHint : 1
; COMPUTE_PGM_RSRC2:SCRATCH_EN: 1
; COMPUTE_PGM_RSRC2:USER_SGPR: 8
; COMPUTE_PGM_RSRC2:TRAP_HANDLER: 0
; COMPUTE_PGM_RSRC2:TGID_X_EN: 1
; COMPUTE_PGM_RSRC2:TGID_Y_EN: 1
; COMPUTE_PGM_RSRC2:TGID_Z_EN: 1
; COMPUTE_PGM_RSRC2:TIDIG_COMP_CNT: 0
; COMPUTE_PGM_RSRC3_GFX90A:ACCUM_OFFSET: 15
; COMPUTE_PGM_RSRC3_GFX90A:TG_SPLIT: 0
	.section	.text._ZN4vllm25paged_attention_v2_kernelIthLi32ELi8ELi128ELNS_18Fp8KVCacheDataTypeE1ELb1ELi512EEEvPfS2_PT_PKS3_PKT0_S9_ifPKiSB_iPKfiiiSD_SD_iiiii,"axG",@progbits,_ZN4vllm25paged_attention_v2_kernelIthLi32ELi8ELi128ELNS_18Fp8KVCacheDataTypeE1ELb1ELi512EEEvPfS2_PT_PKS3_PKT0_S9_ifPKiSB_iPKfiiiSD_SD_iiiii,comdat
	.protected	_ZN4vllm25paged_attention_v2_kernelIthLi32ELi8ELi128ELNS_18Fp8KVCacheDataTypeE1ELb1ELi512EEEvPfS2_PT_PKS3_PKT0_S9_ifPKiSB_iPKfiiiSD_SD_iiiii ; -- Begin function _ZN4vllm25paged_attention_v2_kernelIthLi32ELi8ELi128ELNS_18Fp8KVCacheDataTypeE1ELb1ELi512EEEvPfS2_PT_PKS3_PKT0_S9_ifPKiSB_iPKfiiiSD_SD_iiiii
	.globl	_ZN4vllm25paged_attention_v2_kernelIthLi32ELi8ELi128ELNS_18Fp8KVCacheDataTypeE1ELb1ELi512EEEvPfS2_PT_PKS3_PKT0_S9_ifPKiSB_iPKfiiiSD_SD_iiiii
	.p2align	8
	.type	_ZN4vllm25paged_attention_v2_kernelIthLi32ELi8ELi128ELNS_18Fp8KVCacheDataTypeE1ELb1ELi512EEEvPfS2_PT_PKS3_PKT0_S9_ifPKiSB_iPKfiiiSD_SD_iiiii,@function
_ZN4vllm25paged_attention_v2_kernelIthLi32ELi8ELi128ELNS_18Fp8KVCacheDataTypeE1ELb1ELi512EEEvPfS2_PT_PKS3_PKT0_S9_ifPKiSB_iPKfiiiSD_SD_iiiii: ; @_ZN4vllm25paged_attention_v2_kernelIthLi32ELi8ELi128ELNS_18Fp8KVCacheDataTypeE1ELb1ELi512EEEvPfS2_PT_PKS3_PKT0_S9_ifPKiSB_iPKfiiiSD_SD_iiiii
; %bb.0:
	s_load_dwordx2 s[0:1], s[4:5], 0x40
	s_mov_b32 s34, s7
	s_ashr_i32 s35, s7, 31
	s_lshl_b64 s[2:3], s[34:35], 2
	s_waitcnt lgkmcnt(0)
	s_add_u32 s0, s0, s2
	s_addc_u32 s1, s1, s3
	s_load_dword s33, s[0:1], 0x0
	s_lshl_b32 s55, s8, 9
	s_waitcnt lgkmcnt(0)
	s_cmp_ge_i32 s55, s33
	s_cbranch_scc1 .LBB257_135
; %bb.1:
	s_load_dword s9, s[4:5], 0x90
	s_load_dwordx2 s[42:43], s[4:5], 0x30
	s_waitcnt lgkmcnt(0)
	s_abs_i32 s2, s9
	s_abs_i32 s0, s42
	v_cvt_f32_u32_e32 v1, s0
	s_sub_i32 s3, 0, s0
	s_xor_b32 s1, s9, s42
	s_ashr_i32 s1, s1, 31
	v_rcp_iflag_f32_e32 v1, v1
	v_mul_f32_e32 v1, 0x4f7ffffe, v1
	v_cvt_u32_f32_e32 v1, v1
	v_readfirstlane_b32 s7, v1
	s_mul_i32 s3, s3, s7
	s_mul_hi_u32 s3, s7, s3
	s_add_i32 s7, s7, s3
	s_mul_hi_u32 s3, s2, s7
	s_mul_i32 s7, s3, s0
	s_sub_i32 s2, s2, s7
	s_add_i32 s10, s3, 1
	s_sub_i32 s7, s2, s0
	s_cmp_ge_u32 s2, s0
	s_cselect_b32 s3, s10, s3
	s_cselect_b32 s2, s7, s2
	s_add_i32 s7, s3, 1
	s_cmp_ge_u32 s2, s0
	s_cselect_b32 s0, s7, s3
	s_xor_b32 s0, s0, s1
	s_sub_i32 s11, s0, s1
	s_abs_i32 s2, s11
	v_cvt_f32_u32_e32 v1, s2
	s_load_dwordx2 s[0:1], s[4:5], 0x50
	s_sub_i32 s10, 0, s2
	s_abs_i32 s3, s6
	v_rcp_iflag_f32_e32 v1, v1
	s_mov_b32 s7, 0
	v_mul_f32_e32 v1, 0x4f7ffffe, v1
	v_cvt_u32_f32_e32 v1, v1
	v_readfirstlane_b32 s12, v1
	s_mul_i32 s10, s10, s12
	s_mul_hi_u32 s10, s12, s10
	s_add_i32 s12, s12, s10
	s_waitcnt lgkmcnt(0)
	s_cmp_eq_u64 s[0:1], 0
	s_mul_hi_u32 s10, s3, s12
	s_cbranch_scc1 .LBB257_3
; %bb.2:
	s_ashr_i32 s7, s6, 31
	s_lshl_b64 s[12:13], s[6:7], 2
	s_add_u32 s0, s0, s12
	s_addc_u32 s1, s1, s13
	s_load_dword s7, s[0:1], 0x0
.LBB257_3:
	s_load_dwordx4 s[16:19], s[4:5], 0x58
	s_ashr_i32 s12, s6, 31
	s_ashr_i32 s11, s11, 31
	v_and_b32_e32 v4, 7, v0
	s_lshl_b32 s28, s6, 5
	v_cmp_gt_u32_e32 vcc, 32, v0
	s_and_saveexec_b64 s[0:1], vcc
	s_cbranch_execz .LBB257_5
; %bb.4:
	s_load_dwordx2 s[14:15], s[4:5], 0x18
	s_waitcnt lgkmcnt(0)
	s_mul_i32 s20, s34, s16
	s_ashr_i32 s21, s20, 31
	s_lshl_b64 s[20:21], s[20:21], 1
	v_lshlrev_b32_e32 v1, 1, v0
	s_add_u32 s13, s14, s20
	s_addc_u32 s16, s15, s21
	s_ashr_i32 s29, s28, 31
	s_lshl_b64 s[14:15], s[28:29], 1
	s_add_u32 s14, s13, s14
	s_addc_u32 s15, s16, s15
	global_load_ushort v1, v1, s[14:15]
	v_lshrrev_b32_e32 v2, 2, v0
	v_and_b32_e32 v2, 0xfe, v2
	v_lshl_add_u32 v2, v4, 3, v2
	s_waitcnt vmcnt(0)
	ds_write_b16 v2, v1
.LBB257_5:
	s_or_b64 exec, exec, s[0:1]
	s_mul_i32 s1, s10, s2
	s_sub_i32 s1, s3, s1
	s_xor_b32 s0, s12, s11
	s_add_i32 s3, s10, 1
	s_sub_i32 s11, s1, s2
	s_load_dwordx4 s[20:23], s[4:5], 0x78
	s_cmp_ge_u32 s1, s2
	s_cselect_b32 s3, s3, s10
	s_cselect_b32 s1, s11, s1
	s_load_dword s11, s[4:5], 0x88
	s_add_i32 s10, s3, 1
	s_cmp_ge_u32 s1, s2
	s_cselect_b32 s1, s10, s3
	s_waitcnt lgkmcnt(0)
	s_abs_i32 s29, s23
	v_cvt_f32_u32_e32 v1, s29
	s_xor_b32 s1, s1, s0
	s_sub_i32 s2, s1, s0
	s_sub_i32 s0, 0, s29
	v_rcp_iflag_f32_e32 v1, v1
	s_add_i32 s12, s33, -1
	s_abs_i32 s3, s12
	v_mul_f32_e32 v1, 0x4f7ffffe, v1
	v_cvt_u32_f32_e32 v1, v1
	s_barrier
	v_readfirstlane_b32 s52, v1
	s_mul_i32 s0, s0, s52
	s_mul_hi_u32 s0, s52, s0
	s_add_i32 s52, s52, s0
	s_cmp_lt_i32 s11, 0
	s_mul_hi_u32 s10, s3, s52
	s_cbranch_scc0 .LBB257_7
; %bb.6:
	s_mul_i32 s0, s20, s42
	s_add_i32 s0, s2, s0
	s_mul_i32 s0, s0, s11
	s_sub_i32 s42, 1, s0
	s_mov_b64 s[0:1], 0
	s_branch .LBB257_8
.LBB257_7:
	s_mov_b64 s[0:1], -1
                                        ; implicit-def: $sgpr42
.LBB257_8:
	s_load_dwordx2 s[36:37], s[4:5], 0x38
	s_ashr_i32 s16, s12, 31
	s_andn2_b64 vcc, exec, s[0:1]
	s_ashr_i32 s53, s23, 31
	s_cbranch_vccnz .LBB257_10
; %bb.9:
	s_mul_i32 s0, s9, s20
	s_add_i32 s0, s0, s6
	s_mul_i32 s0, s0, s11
	s_add_i32 s42, s0, 1
.LBB257_10:
	s_load_dwordx2 s[40:41], s[4:5], 0x28
	s_load_dword s0, s[4:5], 0x48
	s_load_dwordx4 s[24:27], s[4:5], 0x0
	s_load_dwordx2 s[30:31], s[4:5], 0x10
	s_load_dword s35, s[4:5], 0x98
	s_load_dwordx4 s[12:15], s[4:5], 0x68
	s_mul_i32 s1, s10, s29
	s_waitcnt lgkmcnt(0)
	s_mul_i32 s38, s34, s0
	s_sub_i32 s1, s3, s1
	s_ashr_i32 s39, s38, 31
	s_xor_b32 s0, s16, s53
	s_add_i32 s3, s10, 1
	s_sub_i32 s11, s1, s29
	s_cmp_ge_u32 s1, s29
	s_cselect_b32 s3, s3, s10
	s_cselect_b32 s1, s11, s1
	s_add_i32 s10, s3, 1
	s_cmp_ge_u32 s1, s29
	s_cselect_b32 s1, s10, s3
	s_xor_b32 s1, s1, s0
	s_sub_i32 s20, s1, s0
	s_add_i32 s0, s33, 7
	s_ashr_i32 s1, s0, 31
	s_lshr_b32 s1, s1, 29
	s_add_i32 s0, s0, s1
	s_lshl_b32 s56, s8, 6
	s_ashr_i32 s16, s0, 3
	s_add_i32 s0, s56, 64
	v_lshrrev_b32_e32 v13, 6, v0
	s_min_i32 s54, s0, s16
	v_or_b32_e32 v2, s56, v13
	v_cmp_gt_i32_e64 s[0:1], s54, v2
	v_mov_b32_e32 v17, 0xff7fffff
	s_mul_i32 s23, s2, s18
	v_ashrrev_i32_e32 v3, 31, v2
	v_lshl_add_u32 v1, v13, 3, s55
	v_mbcnt_lo_u32_b32 v5, -1, 0
	s_and_saveexec_b64 s[18:19], s[0:1]
	s_cbranch_execz .LBB257_44
; %bb.11:
	s_load_dwordx2 s[2:3], s[4:5], 0x20
	s_sub_i32 s57, s20, s21
	s_ashr_i32 s4, s23, 31
	v_bfe_u32 v14, v0, 3, 3
	v_lshlrev_b32_e32 v7, 4, v14
	s_waitcnt lgkmcnt(0)
	s_add_u32 s2, s2, s23
	s_addc_u32 s3, s3, s4
	s_abs_i32 s59, s22
	v_cvt_f32_u32_e32 v6, s59
	v_mov_b32_e32 v8, s3
	s_sub_i32 s4, 0, s59
	v_cmp_eq_u32_e32 vcc, 0, v4
	v_rcp_iflag_f32_e32 v9, v6
	v_add_co_u32_e64 v6, s[2:3], s2, v7
	v_addc_co_u32_e64 v7, s[2:3], 0, v8, s[2:3]
	v_mul_f32_e32 v8, 0x4f7ffffe, v9
	v_cvt_u32_f32_e32 v8, v8
	s_mov_b32 s58, s17
	v_mov_b32_e32 v15, 0
	v_lshlrev_b32_e32 v16, 3, v4
	v_mul_lo_u32 v9, s4, v8
	s_lshl_b64 s[4:5], s[38:39], 2
	v_mul_hi_u32 v9, v8, v9
	s_add_u32 s4, s36, s4
	v_add_u32_e32 v18, v8, v9
	v_lshlrev_b64 v[8:9], 2, v[2:3]
	s_addc_u32 s5, s37, s5
	v_mov_b32_e32 v10, s5
	v_add_co_u32_e64 v8, s[4:5], s4, v8
	v_addc_co_u32_e64 v9, s[4:5], v10, v9, s[4:5]
	v_lshlrev_b32_e32 v10, 2, v14
	v_lshl_or_b32 v10, v13, 5, v10
	v_add_u32_e32 v20, 0x50, v10
	v_subrev_u32_e32 v10, s33, v14
	v_cmp_neq_f32_e64 s[2:3], s7, 0
	v_lshl_add_u32 v19, v13, 3, s55
	v_add_u32_e32 v21, 1, v10
	s_mov_b64 s[44:45], 0
	v_mov_b32_e32 v22, 0xff7fffff
	s_movk_i32 s60, 0x80
	s_movk_i32 s61, 0x7f
	v_bfrev_b32_e32 v23, 60
	v_mbcnt_hi_u32_b32 v24, -1, v5
	v_mov_b32_e32 v17, 0xff7fffff
	v_mov_b32_e32 v25, v2
	s_branch .LBB257_14
.LBB257_12:                             ;   in Loop: Header=BB257_14 Depth=1
	s_or_b64 exec, exec, s[46:47]
.LBB257_13:                             ;   in Loop: Header=BB257_14 Depth=1
	s_or_b64 exec, exec, s[10:11]
	v_add_co_u32_e64 v8, s[4:5], 8, v8
	v_add_u32_e32 v25, 2, v25
	v_addc_co_u32_e64 v9, s[4:5], 0, v9, s[4:5]
	v_cmp_le_i32_e64 s[4:5], s54, v25
	v_add_u32_e32 v19, 16, v19
	s_or_b64 s[44:45], s[4:5], s[44:45]
	v_add_u32_e32 v20, 64, v20
	s_andn2_b64 exec, exec, s[44:45]
	s_cbranch_execz .LBB257_43
.LBB257_14:                             ; =>This Inner Loop Header: Depth=1
	s_waitcnt lgkmcnt(0)
	v_sub_u32_e32 v11, 0, v19
	v_max_i32_e32 v11, v19, v11
	v_mul_hi_u32 v12, v11, s52
	v_mul_lo_u32 v26, v12, s29
	v_sub_u32_e32 v11, v11, v26
	v_add_u32_e32 v26, 1, v12
	v_cmp_le_u32_e64 s[4:5], s29, v11
	v_cndmask_b32_e64 v12, v12, v26, s[4:5]
	v_subrev_u32_e32 v26, s29, v11
	v_cndmask_b32_e64 v11, v11, v26, s[4:5]
	v_ashrrev_i32_e32 v10, 31, v19
	v_add_u32_e32 v26, 1, v12
	v_cmp_le_u32_e64 s[4:5], s29, v11
	v_xor_b32_e32 v10, s53, v10
	v_cndmask_b32_e64 v11, v12, v26, s[4:5]
	v_xor_b32_e32 v11, v11, v10
	v_sub_u32_e32 v10, v11, v10
	v_add_u32_e32 v11, s42, v10
	v_sub_u32_e32 v26, 0, v11
	v_ashrrev_i32_e32 v12, 31, v11
	v_max_i32_e32 v11, v11, v26
	v_mul_hi_u32 v26, v11, v18
	v_mul_lo_u32 v26, v26, s59
	v_sub_u32_e32 v11, v11, v26
	v_subrev_u32_e32 v26, s59, v11
	v_cmp_le_u32_e64 s[4:5], s59, v11
	v_cndmask_b32_e64 v11, v11, v26, s[4:5]
	v_subrev_u32_e32 v26, s59, v11
	v_cmp_le_u32_e64 s[4:5], s59, v11
	v_cndmask_b32_e64 v11, v11, v26, s[4:5]
	v_xor_b32_e32 v11, v11, v12
	v_sub_u32_e32 v11, v11, v12
	v_cmp_ne_u32_e64 s[4:5], 0, v11
	v_cmp_ge_i32_e64 s[10:11], s57, v10
	s_and_b64 s[4:5], s[4:5], s[10:11]
	s_and_b64 s[46:47], vcc, s[4:5]
	s_and_saveexec_b64 s[10:11], s[46:47]
	s_cbranch_execz .LBB257_16
; %bb.15:                               ;   in Loop: Header=BB257_14 Depth=1
	ds_write_b32 v20, v22
.LBB257_16:                             ;   in Loop: Header=BB257_14 Depth=1
	s_or_b64 exec, exec, s[10:11]
	s_xor_b64 s[4:5], s[4:5], -1
	s_and_saveexec_b64 s[10:11], s[4:5]
	s_cbranch_execz .LBB257_13
; %bb.17:                               ;   in Loop: Header=BB257_14 Depth=1
	global_load_dword v10, v[8:9], off
	v_mov_b32_e32 v27, 0
	v_mov_b32_e32 v28, 0
	s_waitcnt vmcnt(0)
	v_mad_i64_i32 v[10:11], s[4:5], v10, s58, v[6:7]
	v_add_co_u32_e64 v10, s[4:5], v10, v4
	v_addc_co_u32_e64 v11, s[4:5], 0, v11, s[4:5]
	global_load_ubyte v29, v[10:11], off
	global_load_dword v26, v15, s[12:13]
	s_waitcnt vmcnt(1)
	v_cmp_ne_u16_e64 s[4:5], 0, v29
	s_and_saveexec_b64 s[46:47], s[4:5]
	s_cbranch_execz .LBB257_23
; %bb.18:                               ;   in Loop: Header=BB257_14 Depth=1
	v_cmp_ne_u16_e64 s[4:5], s60, v29
	v_bfrev_b32_e32 v28, 1
	s_and_saveexec_b64 s[48:49], s[4:5]
	s_cbranch_execz .LBB257_22
; %bb.19:                               ;   in Loop: Header=BB257_14 Depth=1
	v_and_b32_e32 v12, 0xffff, v29
	v_and_b32_e32 v30, 0x7f, v12
	v_cmp_ne_u32_e64 s[4:5], s61, v30
	v_mov_b32_e32 v28, 0x7f800001
	s_and_saveexec_b64 s[50:51], s[4:5]
	s_cbranch_execz .LBB257_21
; %bb.20:                               ;   in Loop: Header=BB257_14 Depth=1
	v_and_b32_e32 v28, 7, v12
	v_ffbh_u32_e32 v32, v28
	v_min_u32_e32 v34, 32, v32
	v_subrev_u32_e32 v32, 28, v34
	v_lshlrev_b64 v[32:33], v32, v[12:13]
	v_lshrrev_b32_e32 v31, 3, v30
	v_sub_u32_e32 v12, 29, v34
	v_and_b32_e32 v32, 7, v32
	v_cmp_gt_u32_e64 s[4:5], 8, v30
	v_cndmask_b32_e64 v12, v31, v12, s[4:5]
	v_cndmask_b32_e64 v28, v28, v32, s[4:5]
	v_lshlrev_b32_e32 v29, 24, v29
	v_lshlrev_b32_e32 v28, 20, v28
	v_and_b32_e32 v29, 0x80000000, v29
	v_lshl_add_u32 v12, v12, 23, v23
	v_or3_b32 v28, v29, v12, v28
.LBB257_21:                             ;   in Loop: Header=BB257_14 Depth=1
	s_or_b64 exec, exec, s[50:51]
.LBB257_22:                             ;   in Loop: Header=BB257_14 Depth=1
	s_or_b64 exec, exec, s[48:49]
.LBB257_23:                             ;   in Loop: Header=BB257_14 Depth=1
	s_or_b64 exec, exec, s[46:47]
	global_load_ubyte v29, v[10:11], off offset:8
	s_waitcnt vmcnt(0)
	v_cmp_ne_u16_e64 s[4:5], 0, v29
	s_and_saveexec_b64 s[46:47], s[4:5]
	s_cbranch_execz .LBB257_29
; %bb.24:                               ;   in Loop: Header=BB257_14 Depth=1
	v_cmp_ne_u16_e64 s[4:5], s60, v29
	v_bfrev_b32_e32 v27, 1
	s_and_saveexec_b64 s[48:49], s[4:5]
	s_cbranch_execz .LBB257_28
; %bb.25:                               ;   in Loop: Header=BB257_14 Depth=1
	v_and_b32_e32 v12, 0xffff, v29
	v_and_b32_e32 v30, 0x7f, v12
	v_cmp_ne_u32_e64 s[4:5], s61, v30
	v_mov_b32_e32 v27, 0x7f800001
	s_and_saveexec_b64 s[50:51], s[4:5]
	s_cbranch_execz .LBB257_27
; %bb.26:                               ;   in Loop: Header=BB257_14 Depth=1
	v_and_b32_e32 v27, 7, v12
	v_ffbh_u32_e32 v32, v27
	v_min_u32_e32 v34, 32, v32
	v_subrev_u32_e32 v32, 28, v34
	v_lshlrev_b64 v[32:33], v32, v[12:13]
	v_lshrrev_b32_e32 v31, 3, v30
	v_sub_u32_e32 v12, 29, v34
	v_and_b32_e32 v32, 7, v32
	v_cmp_gt_u32_e64 s[4:5], 8, v30
	v_cndmask_b32_e64 v12, v31, v12, s[4:5]
	v_cndmask_b32_e64 v27, v27, v32, s[4:5]
	v_lshlrev_b32_e32 v29, 24, v29
	v_lshlrev_b32_e32 v27, 20, v27
	v_and_b32_e32 v29, 0x80000000, v29
	v_lshl_add_u32 v12, v12, 23, v23
	v_or3_b32 v27, v29, v12, v27
.LBB257_27:                             ;   in Loop: Header=BB257_14 Depth=1
	s_or_b64 exec, exec, s[50:51]
.LBB257_28:                             ;   in Loop: Header=BB257_14 Depth=1
	s_or_b64 exec, exec, s[48:49]
.LBB257_29:                             ;   in Loop: Header=BB257_14 Depth=1
	s_or_b64 exec, exec, s[46:47]
	global_load_ubyte v31, v[10:11], off offset:128
	v_mov_b32_e32 v29, 0
	v_mov_b32_e32 v30, 0
	s_waitcnt vmcnt(0)
	v_cmp_ne_u16_e64 s[4:5], 0, v31
	s_and_saveexec_b64 s[46:47], s[4:5]
	s_cbranch_execz .LBB257_35
; %bb.30:                               ;   in Loop: Header=BB257_14 Depth=1
	v_cmp_ne_u16_e64 s[4:5], s60, v31
	v_bfrev_b32_e32 v30, 1
	s_and_saveexec_b64 s[48:49], s[4:5]
	s_cbranch_execz .LBB257_34
; %bb.31:                               ;   in Loop: Header=BB257_14 Depth=1
	v_and_b32_e32 v12, 0xffff, v31
	v_and_b32_e32 v32, 0x7f, v12
	v_cmp_ne_u32_e64 s[4:5], s61, v32
	v_mov_b32_e32 v30, 0x7f800001
	s_and_saveexec_b64 s[50:51], s[4:5]
	s_cbranch_execz .LBB257_33
; %bb.32:                               ;   in Loop: Header=BB257_14 Depth=1
	v_and_b32_e32 v30, 7, v12
	v_ffbh_u32_e32 v34, v30
	v_min_u32_e32 v36, 32, v34
	v_subrev_u32_e32 v34, 28, v36
	v_lshlrev_b64 v[34:35], v34, v[12:13]
	v_lshrrev_b32_e32 v33, 3, v32
	v_sub_u32_e32 v12, 29, v36
	v_and_b32_e32 v34, 7, v34
	v_cmp_gt_u32_e64 s[4:5], 8, v32
	v_cndmask_b32_e64 v12, v33, v12, s[4:5]
	v_cndmask_b32_e64 v30, v30, v34, s[4:5]
	v_lshlrev_b32_e32 v31, 24, v31
	v_lshlrev_b32_e32 v30, 20, v30
	v_and_b32_e32 v31, 0x80000000, v31
	v_lshl_add_u32 v12, v12, 23, v23
	v_or3_b32 v30, v31, v12, v30
.LBB257_33:                             ;   in Loop: Header=BB257_14 Depth=1
	s_or_b64 exec, exec, s[50:51]
.LBB257_34:                             ;   in Loop: Header=BB257_14 Depth=1
	s_or_b64 exec, exec, s[48:49]
.LBB257_35:                             ;   in Loop: Header=BB257_14 Depth=1
	s_or_b64 exec, exec, s[46:47]
	global_load_ubyte v11, v[10:11], off offset:136
	s_waitcnt vmcnt(0)
	v_cmp_ne_u16_e64 s[4:5], 0, v11
	s_and_saveexec_b64 s[46:47], s[4:5]
	s_cbranch_execz .LBB257_41
; %bb.36:                               ;   in Loop: Header=BB257_14 Depth=1
	v_cmp_ne_u16_e64 s[4:5], s60, v11
	v_bfrev_b32_e32 v29, 1
	s_and_saveexec_b64 s[48:49], s[4:5]
	s_cbranch_execz .LBB257_40
; %bb.37:                               ;   in Loop: Header=BB257_14 Depth=1
	v_and_b32_e32 v10, 0xffff, v11
	v_and_b32_e32 v12, 0x7f, v10
	v_cmp_ne_u32_e64 s[4:5], s61, v12
	v_mov_b32_e32 v29, 0x7f800001
	s_and_saveexec_b64 s[50:51], s[4:5]
	s_cbranch_execz .LBB257_39
; %bb.38:                               ;   in Loop: Header=BB257_14 Depth=1
	v_and_b32_e32 v29, 7, v10
	v_ffbh_u32_e32 v32, v29
	v_min_u32_e32 v34, 32, v32
	v_subrev_u32_e32 v32, 28, v34
	v_lshlrev_b64 v[32:33], v32, v[10:11]
	v_lshrrev_b32_e32 v31, 3, v12
	v_sub_u32_e32 v10, 29, v34
	v_and_b32_e32 v32, 7, v32
	v_cmp_gt_u32_e64 s[4:5], 8, v12
	v_cndmask_b32_e64 v10, v31, v10, s[4:5]
	v_cndmask_b32_e64 v12, v29, v32, s[4:5]
	v_lshlrev_b32_e32 v11, 24, v11
	v_lshlrev_b32_e32 v12, 20, v12
	v_and_b32_e32 v11, 0x80000000, v11
	v_lshl_add_u32 v10, v10, 23, v23
	v_or3_b32 v29, v11, v10, v12
.LBB257_39:                             ;   in Loop: Header=BB257_14 Depth=1
	s_or_b64 exec, exec, s[50:51]
.LBB257_40:                             ;   in Loop: Header=BB257_14 Depth=1
	s_or_b64 exec, exec, s[48:49]
.LBB257_41:                             ;   in Loop: Header=BB257_14 Depth=1
	s_or_b64 exec, exec, s[46:47]
	v_fma_mixlo_f16 v11, v26, v28, 0
	ds_read_u16 v10, v16
	v_and_b32_e32 v11, 0xffff, v11
	s_waitcnt lgkmcnt(0)
	;;#ASMSTART
	v_cvt_f32_f16 v10, v10;
	;;#ASMEND
	;;#ASMSTART
	v_cvt_f32_f16 v11, v11;
	;;#ASMEND
	ds_read_u16 v12, v16 offset:2
	v_fma_mixlo_f16 v27, v26, v27, 0
	v_and_b32_e32 v27, 0xffff, v27
	s_waitcnt lgkmcnt(0)
	;;#ASMSTART
	v_cvt_f32_f16 v12, v12;
	;;#ASMEND
	;;#ASMSTART
	v_cvt_f32_f16 v27, v27;
	;;#ASMEND
	v_fma_mixlo_f16 v30, v26, v30, 0
	v_mul_f32_e32 v12, v12, v27
	ds_read_u16 v28, v16 offset:4
	v_and_b32_e32 v30, 0xffff, v30
	v_fma_mixlo_f16 v26, v26, v29, 0
	v_fmac_f32_e32 v12, v10, v11
	s_waitcnt lgkmcnt(0)
	;;#ASMSTART
	v_cvt_f32_f16 v28, v28;
	;;#ASMEND
	;;#ASMSTART
	v_cvt_f32_f16 v30, v30;
	;;#ASMEND
	ds_read_u16 v31, v16 offset:6
	v_fmac_f32_e32 v12, v28, v30
	s_waitcnt lgkmcnt(0)
	;;#ASMSTART
	v_cvt_f32_f16 v10, v31;
	;;#ASMEND
	v_and_b32_e32 v11, 0xffff, v26
	;;#ASMSTART
	v_cvt_f32_f16 v11, v11;
	;;#ASMEND
	v_fmac_f32_e32 v12, v10, v11
	v_and_b32_e32 v10, 64, v24
	v_add_u32_e32 v11, 64, v10
	v_xor_b32_e32 v10, 4, v24
	v_cmp_lt_i32_e64 s[4:5], v10, v11
	v_cndmask_b32_e64 v10, v24, v10, s[4:5]
	v_lshlrev_b32_e32 v10, 2, v10
	ds_bpermute_b32 v10, v10, v12
	s_waitcnt lgkmcnt(0)
	v_add_f32_e32 v10, v12, v10
	v_xor_b32_e32 v12, 2, v24
	v_cmp_lt_i32_e64 s[4:5], v12, v11
	v_cndmask_b32_e64 v12, v24, v12, s[4:5]
	v_lshlrev_b32_e32 v12, 2, v12
	ds_bpermute_b32 v12, v12, v10
	s_waitcnt lgkmcnt(0)
	v_add_f32_e32 v10, v10, v12
	v_xor_b32_e32 v12, 1, v24
	v_cmp_lt_i32_e64 s[4:5], v12, v11
	v_cndmask_b32_e64 v11, v24, v12, s[4:5]
	v_lshlrev_b32_e32 v11, 2, v11
	ds_bpermute_b32 v11, v11, v10
	s_and_saveexec_b64 s[46:47], vcc
	s_cbranch_execz .LBB257_12
; %bb.42:                               ;   in Loop: Header=BB257_14 Depth=1
	v_add_u32_e32 v12, v21, v19
	v_cvt_f32_i32_e32 v12, v12
	s_waitcnt lgkmcnt(0)
	v_add_f32_e32 v10, v10, v11
	v_add_u32_e32 v26, v14, v19
	v_cmp_gt_i32_e64 s[4:5], s33, v26
	v_mul_f32_e32 v11, s7, v12
	v_cndmask_b32_e64 v11, 0, v11, s[2:3]
	v_fmac_f32_e32 v11, s43, v10
	v_cndmask_b32_e64 v10, 0, v11, s[4:5]
	ds_write_b32 v20, v10
	v_max_f32_e32 v10, v17, v17
	v_max_f32_e32 v10, v10, v11
	v_cndmask_b32_e64 v17, v17, v10, s[4:5]
	s_branch .LBB257_12
.LBB257_43:
	s_or_b64 exec, exec, s[44:45]
.LBB257_44:
	s_or_b64 exec, exec, s[18:19]
	v_mbcnt_hi_u32_b32 v4, -1, v5
	v_and_b32_e32 v5, 64, v4
	v_add_u32_e32 v5, 64, v5
	v_xor_b32_e32 v6, 32, v4
	v_cmp_lt_i32_e32 vcc, v6, v5
	v_cndmask_b32_e32 v6, v4, v6, vcc
	v_lshlrev_b32_e32 v8, 2, v6
	ds_bpermute_b32 v6, v8, v17
	v_xor_b32_e32 v9, 16, v4
	v_max_f32_e32 v7, v17, v17
	v_cmp_lt_i32_e32 vcc, v9, v5
	s_waitcnt lgkmcnt(1)
	v_and_b32_e32 v11, 63, v0
	s_waitcnt lgkmcnt(0)
	v_max_f32_e32 v6, v6, v6
	v_max_f32_e32 v6, v7, v6
	v_cndmask_b32_e32 v7, v4, v9, vcc
	v_lshlrev_b32_e32 v10, 2, v7
	ds_bpermute_b32 v7, v10, v6
	v_xor_b32_e32 v9, 8, v4
	v_cmp_lt_i32_e32 vcc, v9, v5
	s_waitcnt lgkmcnt(0)
	v_max_f32_e32 v7, v7, v7
	v_max_f32_e32 v6, v6, v7
	v_cndmask_b32_e32 v7, v4, v9, vcc
	v_lshlrev_b32_e32 v12, 2, v7
	ds_bpermute_b32 v9, v12, v6
	v_cmp_eq_u32_e32 vcc, 0, v11
	v_lshlrev_b32_e32 v7, 2, v13
	s_and_saveexec_b64 s[2:3], vcc
	s_cbranch_execz .LBB257_46
; %bb.45:
	s_waitcnt lgkmcnt(0)
	v_max_f32_e32 v9, v9, v9
	v_max_f32_e32 v6, v6, v6
	;; [unrolled: 1-line block ×3, first 2 shown]
	ds_write_b32 v7, v6 offset:64
.LBB257_46:
	s_or_b64 exec, exec, s[2:3]
	v_cmp_gt_u32_e64 s[2:3], 2, v11
	v_mov_b32_e32 v6, 0xff7fffff
	s_waitcnt lgkmcnt(0)
	v_lshlrev_b32_e32 v9, 2, v11
	s_barrier
	s_and_saveexec_b64 s[4:5], s[2:3]
	s_cbranch_execz .LBB257_48
; %bb.47:
	ds_read_b32 v6, v9 offset:64
.LBB257_48:
	s_or_b64 exec, exec, s[4:5]
	v_xor_b32_e32 v14, 1, v4
	v_cmp_lt_i32_e64 s[4:5], v14, v5
	v_cndmask_b32_e64 v14, v4, v14, s[4:5]
	v_lshlrev_b32_e32 v14, 2, v14
	s_waitcnt lgkmcnt(0)
	ds_bpermute_b32 v15, v14, v6
	v_max_f32_e32 v6, v6, v6
	s_sub_i32 s4, s54, s56
	s_lshl_b32 s4, s4, 3
	s_add_i32 s4, s4, s55
	s_waitcnt lgkmcnt(0)
	v_max_f32_e32 v15, v15, v15
	v_max_f32_e32 v6, v6, v15
	v_lshlrev_b32_e32 v15, 2, v4
	v_and_b32_e32 v15, 0x100, v15
	ds_bpermute_b32 v6, v15, v6
	s_min_i32 s43, s4, s33
	s_sub_i32 s7, s43, s55
	v_cmp_gt_i32_e64 s[4:5], s7, v0
	v_mov_b32_e32 v16, 0
	s_and_saveexec_b64 s[12:13], s[4:5]
	s_cbranch_execz .LBB257_52
; %bb.49:
	v_mov_b32_e32 v16, 0x50
	v_lshl_add_u32 v17, v0, 2, v16
	s_mov_b64 s[18:19], 0
	v_mov_b32_e32 v16, 0
	v_mov_b32_e32 v18, v0
.LBB257_50:                             ; =>This Inner Loop Header: Depth=1
	ds_read_b32 v19, v17
	v_add_u32_e32 v18, 0x80, v18
	v_cmp_le_i32_e64 s[10:11], s7, v18
	s_or_b64 s[18:19], s[10:11], s[18:19]
	s_waitcnt lgkmcnt(0)
	v_sub_f32_e32 v19, v19, v6
	v_mul_f32_e32 v19, 0x3fb8aa3b, v19
	v_exp_f32_e32 v19, v19
	ds_write_b32 v17, v19
	v_add_f32_e32 v16, v16, v19
	v_add_u32_e32 v17, 0x200, v17
	s_andn2_b64 exec, exec, s[18:19]
	s_cbranch_execnz .LBB257_50
; %bb.51:
	s_or_b64 exec, exec, s[18:19]
.LBB257_52:
	s_or_b64 exec, exec, s[12:13]
	ds_bpermute_b32 v8, v8, v16
	s_waitcnt lgkmcnt(0)
	v_add_f32_e32 v8, v16, v8
	ds_bpermute_b32 v10, v10, v8
	s_waitcnt lgkmcnt(0)
	v_add_f32_e32 v8, v8, v10
	ds_bpermute_b32 v10, v12, v8
	v_xor_b32_e32 v12, 4, v4
	v_cmp_lt_i32_e64 s[10:11], v12, v5
	v_cndmask_b32_e64 v12, v4, v12, s[10:11]
	v_lshlrev_b32_e32 v12, 2, v12
	s_waitcnt lgkmcnt(0)
	v_add_f32_e32 v8, v8, v10
	ds_bpermute_b32 v10, v12, v8
	v_xor_b32_e32 v12, 2, v4
	v_cmp_lt_i32_e64 s[10:11], v12, v5
	v_cndmask_b32_e64 v4, v4, v12, s[10:11]
	v_lshlrev_b32_e32 v4, 2, v4
	s_waitcnt lgkmcnt(0)
	v_add_f32_e32 v5, v8, v10
	ds_bpermute_b32 v4, v4, v5
	s_waitcnt lgkmcnt(0)
	v_add_f32_e32 v4, v5, v4
	ds_bpermute_b32 v5, v14, v4
	s_waitcnt lgkmcnt(0)
	v_add_f32_e32 v4, v4, v5
	s_and_saveexec_b64 s[10:11], vcc
	s_cbranch_execz .LBB257_54
; %bb.53:
	ds_write_b32 v7, v4 offset:72
.LBB257_54:
	s_or_b64 exec, exec, s[10:11]
	s_waitcnt lgkmcnt(0)
	s_barrier
	s_and_saveexec_b64 s[10:11], s[2:3]
	s_cbranch_execz .LBB257_56
; %bb.55:
	ds_read_b32 v4, v9 offset:72
.LBB257_56:
	s_or_b64 exec, exec, s[10:11]
	s_waitcnt lgkmcnt(0)
	ds_bpermute_b32 v5, v14, v4
	s_waitcnt lgkmcnt(0)
	v_add_f32_e32 v4, v4, v5
	ds_bpermute_b32 v7, v15, v4
	s_and_saveexec_b64 s[2:3], s[4:5]
	s_cbranch_execz .LBB257_69
; %bb.57:
	s_waitcnt lgkmcnt(0)
	v_add_f32_e32 v4, 0x358637bd, v7
	v_div_scale_f32 v5, s[4:5], v4, v4, 1.0
	v_rcp_f32_e32 v8, v5
	v_div_scale_f32 v9, vcc, 1.0, v4, 1.0
	s_movk_i32 s4, 0x7f
	v_fma_f32 v10, -v5, v8, 1.0
	v_fmac_f32_e32 v8, v10, v8
	v_mul_f32_e32 v10, v9, v8
	v_fma_f32 v12, -v5, v10, v9
	v_fmac_f32_e32 v10, v12, v8
	v_fma_f32 v5, -v5, v10, v9
	v_div_fmas_f32 v5, v5, v8, v10
	v_div_fixup_f32 v4, v5, v4, 1.0
	v_xad_u32 v5, v0, -1, s43
	v_subrev_u32_e32 v8, s55, v5
	v_cmp_lt_u32_e32 vcc, s4, v8
	s_mov_b64 s[10:11], -1
	v_mov_b32_e32 v5, v0
	s_and_saveexec_b64 s[4:5], vcc
	s_cbranch_execz .LBB257_66
; %bb.58:
	v_lshrrev_b32_e32 v8, 7, v8
	v_add_u32_e32 v10, -1, v8
	v_lshrrev_b32_e32 v9, 1, v10
	v_mov_b32_e32 v5, v4
	v_add_u32_e32 v9, 1, v9
	v_cmp_lt_u32_e32 vcc, 13, v10
	v_mov_b32_e32 v14, 0
	s_and_saveexec_b64 s[10:11], vcc
	s_cbranch_execz .LBB257_62
; %bb.59:
	v_mov_b32_e32 v12, 0x50
	v_and_b32_e32 v10, -8, v9
	v_lshl_add_u32 v12, v0, 2, v12
	s_mov_b32 s18, 0
	s_mov_b64 s[12:13], 0
.LBB257_60:                             ; =>This Inner Loop Header: Depth=1
	ds_read2st64_b32 v[14:15], v12 offset1:2
	ds_read2st64_b32 v[16:17], v12 offset0:4 offset1:6
	ds_read2st64_b32 v[18:19], v12 offset0:8 offset1:10
	;; [unrolled: 1-line block ×3, first 2 shown]
	v_add_u32_e32 v10, -8, v10
	s_waitcnt lgkmcnt(3)
	v_pk_mul_f32 v[14:15], v[4:5], v[14:15]
	s_waitcnt lgkmcnt(2)
	v_pk_mul_f32 v[16:17], v[4:5], v[16:17]
	ds_write2st64_b32 v12, v14, v15 offset1:2
	ds_write2st64_b32 v12, v16, v17 offset0:4 offset1:6
	ds_read2st64_b32 v[16:17], v12 offset0:16 offset1:18
	s_waitcnt lgkmcnt(4)
	v_pk_mul_f32 v[14:15], v[4:5], v[18:19]
	ds_write2st64_b32 v12, v14, v15 offset0:8 offset1:10
	s_waitcnt lgkmcnt(4)
	v_pk_mul_f32 v[14:15], v[4:5], v[20:21]
	ds_write2st64_b32 v12, v14, v15 offset0:12 offset1:14
	ds_read2st64_b32 v[14:15], v12 offset0:20 offset1:22
	s_waitcnt lgkmcnt(3)
	v_pk_mul_f32 v[16:17], v[4:5], v[16:17]
	ds_read2st64_b32 v[18:19], v12 offset0:24 offset1:26
	ds_write2st64_b32 v12, v16, v17 offset0:16 offset1:18
	ds_read2st64_b32 v[16:17], v12 offset0:28 offset1:30
	s_waitcnt lgkmcnt(3)
	v_pk_mul_f32 v[14:15], v[4:5], v[14:15]
	ds_write2st64_b32 v12, v14, v15 offset0:20 offset1:22
	s_waitcnt lgkmcnt(3)
	v_pk_mul_f32 v[14:15], v[4:5], v[18:19]
	ds_write2st64_b32 v12, v14, v15 offset0:24 offset1:26
	s_waitcnt lgkmcnt(2)
	v_pk_mul_f32 v[14:15], v[4:5], v[16:17]
	s_add_i32 s18, s18, 16
	v_cmp_eq_u32_e32 vcc, 0, v10
	ds_write2st64_b32 v12, v14, v15 offset0:28 offset1:30
	v_add_u32_e32 v12, 0x2000, v12
	s_or_b64 s[12:13], vcc, s[12:13]
	v_mov_b32_e32 v14, s18
	s_andn2_b64 exec, exec, s[12:13]
	s_cbranch_execnz .LBB257_60
; %bb.61:
	s_or_b64 exec, exec, s[12:13]
.LBB257_62:
	s_or_b64 exec, exec, s[10:11]
	v_and_b32_e32 v9, 7, v9
	v_cmp_ne_u32_e32 vcc, 0, v9
	s_and_saveexec_b64 s[10:11], vcc
	s_cbranch_execz .LBB257_65
; %bb.63:
	v_lshlrev_b32_e32 v10, 9, v14
	v_lshlrev_b32_e32 v12, 2, v0
	s_movk_i32 s12, 0x50
	v_add3_u32 v10, v10, v12, s12
	s_mov_b64 s[12:13], 0
.LBB257_64:                             ; =>This Inner Loop Header: Depth=1
	ds_read2st64_b32 v[14:15], v10 offset1:2
	v_add_u32_e32 v9, -1, v9
	v_cmp_eq_u32_e32 vcc, 0, v9
	s_or_b64 s[12:13], vcc, s[12:13]
	s_waitcnt lgkmcnt(0)
	v_pk_mul_f32 v[14:15], v[4:5], v[14:15]
	ds_write2st64_b32 v10, v14, v15 offset1:2
	v_add_u32_e32 v10, 0x400, v10
	s_andn2_b64 exec, exec, s[12:13]
	s_cbranch_execnz .LBB257_64
.LBB257_65:
	s_or_b64 exec, exec, s[10:11]
	v_add_u32_e32 v8, 1, v8
	v_and_b32_e32 v9, 0x3fffffe, v8
	v_cmp_ne_u32_e32 vcc, v8, v9
	v_lshl_add_u32 v5, v9, 7, v0
	s_orn2_b64 s[10:11], vcc, exec
.LBB257_66:
	s_or_b64 exec, exec, s[4:5]
	s_and_b64 exec, exec, s[10:11]
	s_cbranch_execz .LBB257_69
; %bb.67:
	v_mov_b32_e32 v8, 0x50
	v_lshl_add_u32 v8, v5, 2, v8
	s_mov_b64 s[4:5], 0
.LBB257_68:                             ; =>This Inner Loop Header: Depth=1
	ds_read_b32 v9, v8
	v_add_u32_e32 v5, 0x80, v5
	v_cmp_le_i32_e32 vcc, s7, v5
	s_or_b64 s[4:5], vcc, s[4:5]
	s_waitcnt lgkmcnt(0)
	v_mul_f32_e32 v9, v4, v9
	ds_write_b32 v8, v9
	v_add_u32_e32 v8, 0x200, v8
	s_andn2_b64 exec, exec, s[4:5]
	s_cbranch_execnz .LBB257_68
.LBB257_69:
	s_or_b64 exec, exec, s[2:3]
	s_mul_i32 s2, s35, s34
	v_cmp_eq_u32_e32 vcc, 0, v0
	s_mul_i32 s4, s2, s9
	s_waitcnt lgkmcnt(0)
	s_barrier
	s_and_saveexec_b64 s[2:3], vcc
	s_cbranch_execz .LBB257_71
; %bb.70:
	s_ashr_i32 s5, s4, 31
	s_lshl_b64 s[10:11], s[4:5], 2
	s_add_u32 s5, s26, s10
	s_mul_i32 s6, s35, s6
	s_addc_u32 s9, s27, s11
	s_ashr_i32 s7, s6, 31
	s_lshl_b64 s[6:7], s[6:7], 2
	s_add_u32 s5, s5, s6
	s_addc_u32 s19, s9, s7
	s_ashr_i32 s9, s8, 31
	s_lshl_b64 s[12:13], s[8:9], 2
	s_add_u32 s18, s5, s12
	s_addc_u32 s19, s19, s13
	s_add_u32 s5, s24, s10
	s_addc_u32 s9, s25, s11
	;; [unrolled: 2-line block ×3, first 2 shown]
	s_add_u32 s6, s5, s12
	v_mov_b32_e32 v4, 0
	s_addc_u32 s7, s7, s13
	global_store_dword v4, v6, s[18:19]
	global_store_dword v4, v7, s[6:7]
.LBB257_71:
	s_or_b64 exec, exec, s[2:3]
	v_mov_b32_e32 v18, 0
	s_and_saveexec_b64 s[6:7], s[0:1]
	s_cbranch_execz .LBB257_129
; %bb.72:
	s_sub_i32 s5, s20, s21
	s_ashr_i32 s0, s23, 31
	s_add_u32 s1, s40, s23
	s_addc_u32 s0, s41, s0
	s_abs_i32 s9, s22
	v_cvt_f32_u32_e32 v4, s9
	v_lshlrev_b32_e32 v5, 3, v11
	v_mov_b32_e32 v6, s0
	s_add_i32 s25, s16, -1
	v_rcp_iflag_f32_e32 v7, v4
	v_add_co_u32_e64 v4, s[0:1], s1, v5
	v_addc_co_u32_e64 v5, s[0:1], 0, v6, s[0:1]
	v_mul_f32_e32 v6, 0x4f7ffffe, v7
	v_cvt_u32_f32_e32 v6, v6
	s_sub_i32 s0, 0, s9
	s_mov_b32 s10, -1
	v_cmp_gt_u32_e32 vcc, 32, v11
	v_mul_lo_u32 v7, s0, v6
	s_lshl_b64 s[0:1], s[38:39], 2
	v_mul_hi_u32 v7, v6, v7
	s_add_u32 s0, s36, s0
	v_add_u32_e32 v19, v6, v7
	v_lshlrev_b64 v[6:7], 2, v[2:3]
	s_addc_u32 s1, s37, s1
	v_mov_b32_e32 v3, s1
	v_add_co_u32_e64 v6, s[0:1], s0, v6
	v_addc_co_u32_e64 v7, s[0:1], v3, v7, s[0:1]
	v_mov_b32_e32 v3, 0x50
	s_mov_b32 s24, s17
	s_mov_b32 s11, 0xffffff
	;; [unrolled: 1-line block ×3, first 2 shown]
	v_lshl_add_u32 v3, v13, 5, v3
	s_mov_b64 s[12:13], 0
	v_mov_b32_e32 v9, 0
	s_movk_i32 s27, 0x80
	s_movk_i32 s34, 0x7f
	s_mov_b32 s36, 0x8000
	s_movk_i32 s37, 0x380
	s_mov_b32 s38, 0x3020706
	s_mov_b32 s39, 0x1000504
	;; [unrolled: 1-line block ×3, first 2 shown]
	v_mov_b32_e32 v20, 0x2000
	v_mov_b32_e32 v18, 0
	s_branch .LBB257_76
.LBB257_73:                             ;   in Loop: Header=BB257_76 Depth=1
	s_or_b64 exec, exec, s[18:19]
	v_and_b32_e32 v14, 0xffff, v21
	v_and_b32_e32 v15, 0xffff, v23
	v_lshl_or_b32 v14, v22, 16, v14
	v_lshl_or_b32 v15, v24, 16, v15
	v_and_b32_e32 v16, 0xffff, v25
	v_and_b32_e32 v17, 0xffff, v27
	;;#ASMSTART
	v_pk_mul_f16 v12, v14, v12;

	;;#ASMEND
	;;#ASMSTART
	v_pk_mul_f16 v8, v15, v8;

	;;#ASMEND
	v_lshl_or_b32 v16, v26, 16, v16
	v_lshl_or_b32 v17, v28, 16, v17
	;;#ASMSTART
	v_pk_mul_f16 v13, v16, v13;

	;;#ASMEND
	;;#ASMSTART
	v_pk_mul_f16 v10, v17, v10;

	;;#ASMEND
	;;#ASMSTART
	v_pk_add_f16 v8, v12, v8;

	;;#ASMEND
	;;#ASMSTART
	v_pk_add_f16 v8, v8, v13;
	;; [unrolled: 4-line block ×3, first 2 shown]

	;;#ASMEND
	v_lshrrev_b32_e32 v10, 16, v8
	v_and_b32_e32 v8, 0xffff, v8
	;;#ASMSTART
	v_cvt_f32_f16 v8, v8;
	;;#ASMEND
	;;#ASMSTART
	v_cvt_f32_f16 v10, v10;
	;;#ASMEND
	v_add_f32_e32 v8, v8, v10
	v_add_f32_e32 v18, v18, v8
.LBB257_74:                             ;   in Loop: Header=BB257_76 Depth=1
	s_or_b64 exec, exec, s[16:17]
.LBB257_75:                             ;   in Loop: Header=BB257_76 Depth=1
	s_or_b64 exec, exec, s[2:3]
	v_add_co_u32_e64 v6, s[0:1], 8, v6
	v_add_u32_e32 v2, 2, v2
	v_addc_co_u32_e64 v7, s[0:1], 0, v7, s[0:1]
	v_cmp_le_i32_e64 s[0:1], s54, v2
	v_add_u32_e32 v1, 16, v1
	s_or_b64 s[12:13], s[0:1], s[12:13]
	v_add_u32_e32 v3, 64, v3
	s_andn2_b64 exec, exec, s[12:13]
	s_cbranch_execz .LBB257_128
.LBB257_76:                             ; =>This Inner Loop Header: Depth=1
	v_sub_u32_e32 v10, 0, v1
	v_max_i32_e32 v10, v1, v10
	v_mul_hi_u32 v12, v10, s52
	v_mul_lo_u32 v13, v12, s29
	v_sub_u32_e32 v10, v10, v13
	v_add_u32_e32 v13, 1, v12
	v_cmp_le_u32_e64 s[0:1], s29, v10
	v_cndmask_b32_e64 v12, v12, v13, s[0:1]
	v_subrev_u32_e32 v13, s29, v10
	v_cndmask_b32_e64 v10, v10, v13, s[0:1]
	v_ashrrev_i32_e32 v8, 31, v1
	v_add_u32_e32 v13, 1, v12
	v_cmp_le_u32_e64 s[0:1], s29, v10
	v_xor_b32_e32 v8, s53, v8
	v_cndmask_b32_e64 v10, v12, v13, s[0:1]
	v_xor_b32_e32 v10, v10, v8
	v_sub_u32_e32 v8, v10, v8
	v_add_u32_e32 v10, s42, v8
	v_sub_u32_e32 v13, 0, v10
	v_ashrrev_i32_e32 v12, 31, v10
	v_max_i32_e32 v10, v10, v13
	v_mul_hi_u32 v13, v10, v19
	v_mul_lo_u32 v13, v13, s9
	v_sub_u32_e32 v10, v10, v13
	v_subrev_u32_e32 v13, s9, v10
	v_cmp_le_u32_e64 s[0:1], s9, v10
	v_cndmask_b32_e64 v10, v10, v13, s[0:1]
	v_subrev_u32_e32 v13, s9, v10
	v_cmp_le_u32_e64 s[0:1], s9, v10
	v_cndmask_b32_e64 v10, v10, v13, s[0:1]
	v_xor_b32_e32 v10, v10, v12
	v_sub_u32_e32 v10, v10, v12
	v_cmp_eq_u32_e64 s[0:1], 0, v10
	v_cmp_lt_i32_e64 s[2:3], s5, v8
	s_or_b64 s[0:1], s[0:1], s[2:3]
	s_and_saveexec_b64 s[2:3], s[0:1]
	s_cbranch_execz .LBB257_75
; %bb.77:                               ;   in Loop: Header=BB257_76 Depth=1
	ds_read2_b64 v[12:15], v3 offset1:1
	ds_read2_b64 v[26:29], v3 offset0:2 offset1:3
	s_waitcnt lgkmcnt(1)
	;;#ASMSTART
	v_cvt_f16_f32 v21, v12;

	;;#ASMEND
	;;#ASMSTART
	v_cvt_f16_f32 v22, v13;

	;;#ASMEND
	;; [unrolled: 4-line block ×4, first 2 shown]
	s_waitcnt lgkmcnt(0)
	;;#ASMSTART
	v_cvt_f16_f32 v25, v26;

	;;#ASMEND
	;;#ASMSTART
	v_cvt_f16_f32 v26, v27;

	;;#ASMEND
	;; [unrolled: 4-line block ×4, first 2 shown]
	s_and_saveexec_b64 s[16:17], vcc
	s_cbranch_execz .LBB257_74
; %bb.78:                               ;   in Loop: Header=BB257_76 Depth=1
	global_load_dword v8, v[6:7], off
	v_mov_b32_e32 v14, 0
	s_waitcnt vmcnt(0)
	v_mad_i64_i32 v[12:13], s[0:1], v8, s24, v[4:5]
	global_load_dwordx2 v[16:17], v[12:13], off
	global_load_dword v10, v9, s[14:15]
	v_mov_b32_e32 v12, 0
	s_waitcnt vmcnt(1)
	v_cmp_ne_u16_sdwa s[0:1], v16, v9 src0_sel:BYTE_0 src1_sel:DWORD
	s_and_saveexec_b64 s[18:19], s[0:1]
	s_cbranch_execz .LBB257_84
; %bb.79:                               ;   in Loop: Header=BB257_76 Depth=1
	v_cmp_ne_u16_sdwa s[0:1], v16, s27 src0_sel:BYTE_0 src1_sel:DWORD
	v_bfrev_b32_e32 v12, 1
	s_and_saveexec_b64 s[20:21], s[0:1]
	s_cbranch_execz .LBB257_83
; %bb.80:                               ;   in Loop: Header=BB257_76 Depth=1
	v_and_b32_e32 v8, 0x7f, v16
	v_cmp_ne_u32_e64 s[0:1], s34, v8
	v_mov_b32_e32 v12, 0x7fc02000
	s_and_saveexec_b64 s[22:23], s[0:1]
	s_cbranch_execz .LBB257_82
; %bb.81:                               ;   in Loop: Header=BB257_76 Depth=1
	v_and_b32_e32 v12, 7, v16
	v_ffbh_u32_e32 v12, v12
	v_min_u32_e32 v12, 32, v12
	v_subrev_u32_e32 v13, 28, v12
	v_cmp_gt_u32_e64 s[0:1], 8, v8
	v_lshrrev_b32_e32 v15, 3, v8
	v_sub_u32_e32 v29, 29, v12
	v_cndmask_b32_e64 v8, 0, v13, s[0:1]
	v_lshlrev_b64 v[12:13], v8, v[16:17]
	v_cndmask_b32_e64 v8, v15, v29, s[0:1]
	v_lshlrev_b32_e32 v13, 8, v16
	v_lshl_add_u32 v8, v8, 10, v20
	v_lshlrev_b32_e32 v12, 7, v12
	v_and_or_b32 v8, v13, s36, v8
	v_and_or_b32 v8, v12, s37, v8
	v_cvt_f32_f16_e32 v12, v8
.LBB257_82:                             ;   in Loop: Header=BB257_76 Depth=1
	s_or_b64 exec, exec, s[22:23]
.LBB257_83:                             ;   in Loop: Header=BB257_76 Depth=1
	s_or_b64 exec, exec, s[20:21]
.LBB257_84:                             ;   in Loop: Header=BB257_76 Depth=1
	s_or_b64 exec, exec, s[18:19]
	v_lshrrev_b16_e32 v8, 8, v16
	v_cmp_ne_u16_e64 s[0:1], 0, v8
	s_and_saveexec_b64 s[18:19], s[0:1]
	s_cbranch_execz .LBB257_90
; %bb.85:                               ;   in Loop: Header=BB257_76 Depth=1
	v_cmp_ne_u16_e64 s[0:1], s27, v8
	v_bfrev_b32_e32 v14, 1
	s_and_saveexec_b64 s[20:21], s[0:1]
	s_cbranch_execz .LBB257_89
; %bb.86:                               ;   in Loop: Header=BB257_76 Depth=1
	v_and_b32_e32 v13, 0x7f, v8
	v_cmp_ne_u32_e64 s[0:1], s34, v13
	v_mov_b32_e32 v14, 0x7fc02000
	s_and_saveexec_b64 s[22:23], s[0:1]
	s_cbranch_execz .LBB257_88
; %bb.87:                               ;   in Loop: Header=BB257_76 Depth=1
	v_and_b32_e32 v29, 7, v8
	v_ffbh_u32_e32 v14, v29
	v_min_u32_e32 v31, 32, v14
	v_subrev_u32_e32 v14, 28, v31
	v_lshlrev_b64 v[14:15], v14, v[8:9]
	v_lshrrev_b32_e32 v30, 3, v13
	v_sub_u32_e32 v15, 29, v31
	v_cmp_gt_u32_e64 s[0:1], 8, v13
	v_cndmask_b32_e64 v13, v30, v15, s[0:1]
	v_and_b32_e32 v14, 7, v14
	v_lshlrev_b32_e32 v8, 8, v8
	v_lshl_add_u32 v13, v13, 10, v20
	v_cndmask_b32_e64 v14, v29, v14, s[0:1]
	v_and_or_b32 v8, v8, s36, v13
	v_lshl_or_b32 v8, v14, 7, v8
	v_cvt_f32_f16_e32 v14, v8
.LBB257_88:                             ;   in Loop: Header=BB257_76 Depth=1
	s_or_b64 exec, exec, s[22:23]
.LBB257_89:                             ;   in Loop: Header=BB257_76 Depth=1
	s_or_b64 exec, exec, s[20:21]
.LBB257_90:                             ;   in Loop: Header=BB257_76 Depth=1
	s_or_b64 exec, exec, s[18:19]
	v_lshrrev_b32_e32 v8, 16, v16
	v_cmp_ne_u16_sdwa s[0:1], v8, v9 src0_sel:BYTE_0 src1_sel:DWORD
	v_mov_b32_e32 v15, 0
	v_mov_b32_e32 v13, 0
	s_and_saveexec_b64 s[18:19], s[0:1]
	s_cbranch_execz .LBB257_96
; %bb.91:                               ;   in Loop: Header=BB257_76 Depth=1
	v_cmp_ne_u16_sdwa s[0:1], v8, s27 src0_sel:BYTE_0 src1_sel:DWORD
	v_bfrev_b32_e32 v13, 1
	s_and_saveexec_b64 s[20:21], s[0:1]
	s_cbranch_execz .LBB257_95
; %bb.92:                               ;   in Loop: Header=BB257_76 Depth=1
	v_bfe_u32 v29, v16, 16, 7
	v_cmp_ne_u32_e64 s[0:1], s34, v29
	v_mov_b32_e32 v13, 0x7fc02000
	s_and_saveexec_b64 s[22:23], s[0:1]
	s_cbranch_execz .LBB257_94
; %bb.93:                               ;   in Loop: Header=BB257_76 Depth=1
	v_and_b32_e32 v13, 7, v8
	v_ffbh_u32_e32 v30, v13
	v_min_u32_e32 v33, 32, v30
	v_subrev_u32_e32 v30, 28, v33
	v_lshlrev_b64 v[30:31], v30, v[8:9]
	v_lshrrev_b32_e32 v32, 3, v29
	v_sub_u32_e32 v31, 29, v33
	v_cmp_gt_u32_e64 s[0:1], 8, v29
	v_cndmask_b32_e64 v29, v32, v31, s[0:1]
	v_and_b32_e32 v30, 7, v30
	v_lshlrev_b32_e32 v8, 8, v8
	v_lshl_add_u32 v29, v29, 10, v20
	v_cndmask_b32_e64 v13, v13, v30, s[0:1]
	v_and_or_b32 v8, v8, s36, v29
	v_lshl_or_b32 v8, v13, 7, v8
	v_cvt_f32_f16_e32 v13, v8
.LBB257_94:                             ;   in Loop: Header=BB257_76 Depth=1
	s_or_b64 exec, exec, s[22:23]
.LBB257_95:                             ;   in Loop: Header=BB257_76 Depth=1
	s_or_b64 exec, exec, s[20:21]
.LBB257_96:                             ;   in Loop: Header=BB257_76 Depth=1
	s_or_b64 exec, exec, s[18:19]
	v_cmp_lt_u32_e64 s[0:1], s11, v16
	s_and_saveexec_b64 s[18:19], s[0:1]
	s_cbranch_execz .LBB257_102
; %bb.97:                               ;   in Loop: Header=BB257_76 Depth=1
	v_lshrrev_b32_e32 v8, 24, v16
	v_cmp_ne_u32_e64 s[0:1], s27, v8
	v_bfrev_b32_e32 v15, 1
	s_and_saveexec_b64 s[20:21], s[0:1]
	s_cbranch_execz .LBB257_101
; %bb.98:                               ;   in Loop: Header=BB257_76 Depth=1
	v_and_b32_e32 v29, 0x7f, v8
	v_cmp_ne_u32_e64 s[0:1], s34, v29
	v_mov_b32_e32 v15, 0x7fc02000
	s_and_saveexec_b64 s[22:23], s[0:1]
	s_cbranch_execz .LBB257_100
; %bb.99:                               ;   in Loop: Header=BB257_76 Depth=1
	v_and_b32_e32 v15, 7, v8
	v_ffbh_u32_e32 v30, v15
	v_min_u32_e32 v33, 32, v30
	v_subrev_u32_e32 v30, 28, v33
	v_lshlrev_b64 v[30:31], v30, v[8:9]
	v_lshrrev_b32_e32 v32, 3, v29
	v_sub_u32_e32 v31, 29, v33
	v_cmp_gt_u32_e64 s[0:1], 8, v29
	v_cndmask_b32_e64 v29, v32, v31, s[0:1]
	v_and_b32_e32 v30, 7, v30
	v_lshlrev_b32_e32 v8, 8, v8
	v_lshl_add_u32 v29, v29, 10, v20
	v_cndmask_b32_e64 v15, v15, v30, s[0:1]
	v_and_or_b32 v8, v8, s36, v29
	v_lshl_or_b32 v8, v15, 7, v8
	v_cvt_f32_f16_e32 v15, v8
.LBB257_100:                            ;   in Loop: Header=BB257_76 Depth=1
	s_or_b64 exec, exec, s[22:23]
.LBB257_101:                            ;   in Loop: Header=BB257_76 Depth=1
	s_or_b64 exec, exec, s[20:21]
.LBB257_102:                            ;   in Loop: Header=BB257_76 Depth=1
	s_or_b64 exec, exec, s[18:19]
	v_mov_b32_e32 v8, v17
	v_cmp_ne_u16_sdwa s[0:1], v17, v9 src0_sel:BYTE_0 src1_sel:DWORD
	v_mov_b32_e32 v30, 0
	v_mov_b32_e32 v29, 0
	s_and_saveexec_b64 s[18:19], s[0:1]
	s_cbranch_execz .LBB257_108
; %bb.103:                              ;   in Loop: Header=BB257_76 Depth=1
	v_cmp_ne_u16_sdwa s[0:1], v17, s27 src0_sel:BYTE_0 src1_sel:DWORD
	v_bfrev_b32_e32 v29, 1
	s_and_saveexec_b64 s[20:21], s[0:1]
	s_cbranch_execz .LBB257_107
; %bb.104:                              ;   in Loop: Header=BB257_76 Depth=1
	v_and_b32_e32 v31, 0x7f, v17
	v_cmp_ne_u32_e64 s[0:1], s34, v31
	v_mov_b32_e32 v29, 0x7fc02000
	s_and_saveexec_b64 s[22:23], s[0:1]
	s_cbranch_execz .LBB257_106
; %bb.105:                              ;   in Loop: Header=BB257_76 Depth=1
	v_and_b32_e32 v29, 7, v17
	v_ffbh_u32_e32 v29, v29
	v_min_u32_e32 v29, 32, v29
	v_subrev_u32_e32 v32, 28, v29
	v_cmp_gt_u32_e64 s[0:1], 8, v31
	v_lshrrev_b32_e32 v34, 3, v31
	v_sub_u32_e32 v29, 29, v29
	v_cndmask_b32_e64 v31, 0, v32, s[0:1]
	v_lshlrev_b64 v[32:33], v31, v[8:9]
	v_cndmask_b32_e64 v29, v34, v29, s[0:1]
	v_lshlrev_b32_e32 v31, 7, v32
	v_lshlrev_b32_e32 v32, 8, v17
	v_lshl_add_u32 v29, v29, 10, v20
	v_and_or_b32 v29, v32, s36, v29
	v_and_or_b32 v29, v31, s37, v29
	v_cvt_f32_f16_e32 v29, v29
.LBB257_106:                            ;   in Loop: Header=BB257_76 Depth=1
	s_or_b64 exec, exec, s[22:23]
.LBB257_107:                            ;   in Loop: Header=BB257_76 Depth=1
	s_or_b64 exec, exec, s[20:21]
.LBB257_108:                            ;   in Loop: Header=BB257_76 Depth=1
	s_or_b64 exec, exec, s[18:19]
	v_lshrrev_b16_e32 v8, 8, v8
	v_cmp_ne_u16_e64 s[0:1], 0, v8
	s_and_saveexec_b64 s[18:19], s[0:1]
	s_cbranch_execz .LBB257_114
; %bb.109:                              ;   in Loop: Header=BB257_76 Depth=1
	v_cmp_ne_u16_e64 s[0:1], s27, v8
	v_bfrev_b32_e32 v30, 1
	s_and_saveexec_b64 s[20:21], s[0:1]
	s_cbranch_execz .LBB257_113
; %bb.110:                              ;   in Loop: Header=BB257_76 Depth=1
	v_and_b32_e32 v31, 0x7f, v8
	v_cmp_ne_u32_e64 s[0:1], s34, v31
	v_mov_b32_e32 v30, 0x7fc02000
	s_and_saveexec_b64 s[22:23], s[0:1]
	s_cbranch_execz .LBB257_112
; %bb.111:                              ;   in Loop: Header=BB257_76 Depth=1
	v_and_b32_e32 v30, 7, v8
	v_ffbh_u32_e32 v32, v30
	v_min_u32_e32 v35, 32, v32
	v_subrev_u32_e32 v32, 28, v35
	v_lshlrev_b64 v[32:33], v32, v[8:9]
	v_lshrrev_b32_e32 v34, 3, v31
	v_sub_u32_e32 v33, 29, v35
	v_cmp_gt_u32_e64 s[0:1], 8, v31
	v_cndmask_b32_e64 v31, v34, v33, s[0:1]
	v_and_b32_e32 v32, 7, v32
	v_lshlrev_b32_e32 v8, 8, v8
	v_lshl_add_u32 v31, v31, 10, v20
	v_cndmask_b32_e64 v30, v30, v32, s[0:1]
	v_and_or_b32 v8, v8, s36, v31
	v_lshl_or_b32 v8, v30, 7, v8
	v_cvt_f32_f16_e32 v30, v8
.LBB257_112:                            ;   in Loop: Header=BB257_76 Depth=1
	s_or_b64 exec, exec, s[22:23]
.LBB257_113:                            ;   in Loop: Header=BB257_76 Depth=1
	s_or_b64 exec, exec, s[20:21]
.LBB257_114:                            ;   in Loop: Header=BB257_76 Depth=1
	s_or_b64 exec, exec, s[18:19]
	v_lshrrev_b32_e32 v8, 16, v17
	v_cmp_ne_u16_sdwa s[0:1], v8, v9 src0_sel:BYTE_0 src1_sel:DWORD
	v_mov_b32_e32 v31, 0
	v_mov_b32_e32 v32, 0
	s_and_saveexec_b64 s[18:19], s[0:1]
	s_cbranch_execz .LBB257_120
; %bb.115:                              ;   in Loop: Header=BB257_76 Depth=1
	v_cmp_ne_u16_sdwa s[0:1], v8, s27 src0_sel:BYTE_0 src1_sel:DWORD
	v_bfrev_b32_e32 v32, 1
	s_and_saveexec_b64 s[20:21], s[0:1]
	s_cbranch_execz .LBB257_119
; %bb.116:                              ;   in Loop: Header=BB257_76 Depth=1
	v_bfe_u32 v33, v17, 16, 7
	v_cmp_ne_u32_e64 s[0:1], s34, v33
	v_mov_b32_e32 v32, 0x7fc02000
	s_and_saveexec_b64 s[22:23], s[0:1]
	s_cbranch_execz .LBB257_118
; %bb.117:                              ;   in Loop: Header=BB257_76 Depth=1
	v_and_b32_e32 v32, 7, v8
	v_ffbh_u32_e32 v34, v32
	v_min_u32_e32 v37, 32, v34
	v_subrev_u32_e32 v34, 28, v37
	v_lshlrev_b64 v[34:35], v34, v[8:9]
	v_lshrrev_b32_e32 v36, 3, v33
	v_sub_u32_e32 v35, 29, v37
	v_cmp_gt_u32_e64 s[0:1], 8, v33
	v_cndmask_b32_e64 v33, v36, v35, s[0:1]
	v_and_b32_e32 v34, 7, v34
	v_lshlrev_b32_e32 v8, 8, v8
	v_lshl_add_u32 v33, v33, 10, v20
	v_cndmask_b32_e64 v32, v32, v34, s[0:1]
	v_and_or_b32 v8, v8, s36, v33
	v_lshl_or_b32 v8, v32, 7, v8
	v_cvt_f32_f16_e32 v32, v8
.LBB257_118:                            ;   in Loop: Header=BB257_76 Depth=1
	s_or_b64 exec, exec, s[22:23]
.LBB257_119:                            ;   in Loop: Header=BB257_76 Depth=1
	s_or_b64 exec, exec, s[20:21]
.LBB257_120:                            ;   in Loop: Header=BB257_76 Depth=1
	s_or_b64 exec, exec, s[18:19]
	v_cmp_lt_u64_e64 s[0:1], s[10:11], v[16:17]
	s_and_saveexec_b64 s[18:19], s[0:1]
	s_cbranch_execz .LBB257_126
; %bb.121:                              ;   in Loop: Header=BB257_76 Depth=1
	v_lshrrev_b32_e32 v8, 24, v17
	v_cmp_ne_u32_e64 s[0:1], s27, v8
	v_bfrev_b32_e32 v31, 1
	s_and_saveexec_b64 s[20:21], s[0:1]
	s_cbranch_execz .LBB257_125
; %bb.122:                              ;   in Loop: Header=BB257_76 Depth=1
	v_and_b32_e32 v16, 0x7f, v8
	v_cmp_ne_u32_e64 s[0:1], s34, v16
	v_mov_b32_e32 v31, 0x7fc02000
	s_and_saveexec_b64 s[22:23], s[0:1]
	s_cbranch_execz .LBB257_124
; %bb.123:                              ;   in Loop: Header=BB257_76 Depth=1
	v_and_b32_e32 v17, 7, v8
	v_ffbh_u32_e32 v33, v17
	v_min_u32_e32 v33, 32, v33
	v_lshrrev_b32_e32 v31, 3, v16
	v_subrev_u32_e32 v34, 28, v33
	v_sub_u32_e32 v33, 29, v33
	v_cmp_gt_u32_e64 s[0:1], 8, v16
	v_lshlrev_b64 v[34:35], v34, v[8:9]
	v_cndmask_b32_e64 v16, v31, v33, s[0:1]
	v_and_b32_e32 v34, 7, v34
	v_lshlrev_b32_e32 v8, 8, v8
	v_lshl_add_u32 v16, v16, 10, v20
	v_cndmask_b32_e64 v17, v17, v34, s[0:1]
	v_and_or_b32 v8, v8, s36, v16
	v_lshl_or_b32 v8, v17, 7, v8
	v_cvt_f32_f16_e32 v31, v8
.LBB257_124:                            ;   in Loop: Header=BB257_76 Depth=1
	s_or_b64 exec, exec, s[22:23]
.LBB257_125:                            ;   in Loop: Header=BB257_76 Depth=1
	s_or_b64 exec, exec, s[20:21]
.LBB257_126:                            ;   in Loop: Header=BB257_76 Depth=1
	s_or_b64 exec, exec, s[18:19]
	s_waitcnt vmcnt(0)
	v_pk_mul_f32 v[14:15], v[10:11], v[14:15] op_sel_hi:[0,1]
	v_pk_mul_f32 v[12:13], v[10:11], v[12:13] op_sel_hi:[0,1]
	v_cvt_f16_f32_e32 v8, v15
	v_cvt_f16_f32_e32 v14, v14
	;; [unrolled: 1-line block ×4, first 2 shown]
	v_cmp_eq_u32_e64 s[0:1], s25, v2
	v_pack_b32_f16 v14, v14, v8
	v_pack_b32_f16 v12, v12, v13
	v_fma_mixlo_f16 v13, v10, v30, 0
	v_perm_b32 v8, v12, v14, s38
	v_perm_b32 v12, v12, v14, s39
	v_lshlrev_b32_e32 v13, 16, v13
	v_fma_mixlo_f16 v14, v10, v29, 0
	v_or_b32_sdwa v13, v13, v14 dst_sel:DWORD dst_unused:UNUSED_PAD src0_sel:DWORD src1_sel:WORD_0
	v_fma_mixlo_f16 v14, v10, v32, 0
	v_fma_mixlo_f16 v10, v10, v31, 0
	v_lshlrev_b32_e32 v10, 16, v10
	v_or_b32_sdwa v10, v10, v14 dst_sel:DWORD dst_unused:UNUSED_PAD src0_sel:DWORD src1_sel:WORD_0
	s_and_saveexec_b64 s[18:19], s[0:1]
	s_cbranch_execz .LBB257_73
; %bb.127:                              ;   in Loop: Header=BB257_76 Depth=1
	v_add_u32_e32 v15, 1, v1
	v_lshrrev_b32_e32 v16, 16, v12
	v_cmp_gt_i32_e64 s[0:1], s26, v15
	v_cndmask_b32_e64 v15, 0, v16, s[0:1]
	v_cmp_gt_i32_e64 s[0:1], s33, v1
	v_cndmask_b32_e64 v12, 0, v12, s[0:1]
	v_perm_b32 v12, v15, v12, s40
	v_or_b32_e32 v15, 3, v1
	v_or_b32_e32 v16, 2, v1
	v_lshrrev_b32_e32 v17, 16, v8
	v_cmp_gt_i32_e64 s[0:1], s26, v15
	v_cndmask_b32_e64 v15, 0, v17, s[0:1]
	v_cmp_gt_i32_e64 s[0:1], s33, v16
	v_cndmask_b32_e64 v8, 0, v8, s[0:1]
	v_perm_b32 v8, v15, v8, s40
	v_or_b32_e32 v15, 5, v1
	v_or_b32_e32 v16, 4, v1
	;; [unrolled: 8-line block ×3, first 2 shown]
	v_lshrrev_b32_e32 v10, 16, v10
	v_cmp_gt_i32_e64 s[0:1], s26, v15
	v_cndmask_b32_e64 v10, 0, v10, s[0:1]
	v_cmp_gt_i32_e64 s[0:1], s33, v16
	v_cndmask_b32_e64 v14, 0, v14, s[0:1]
	v_perm_b32 v10, v10, v14, s40
	s_branch .LBB257_73
.LBB257_128:
	s_or_b64 exec, exec, s[12:13]
.LBB257_129:
	s_or_b64 exec, exec, s[6:7]
	v_and_b32_e32 v1, 0x3c0, v0
	v_cmp_eq_u32_e64 s[0:1], 64, v1
	v_cmp_gt_u32_e32 vcc, 32, v11
	s_and_b64 s[2:3], s[0:1], vcc
	s_barrier
	s_and_saveexec_b64 s[0:1], s[2:3]
	s_cbranch_execz .LBB257_131
; %bb.130:
	v_mov_b32_e32 v1, 0x50
	v_lshl_add_u32 v1, v11, 2, v1
	ds_write_b32 v1, v18
.LBB257_131:
	s_or_b64 exec, exec, s[0:1]
	v_cmp_gt_u32_e64 s[0:1], 64, v0
	s_and_b64 s[0:1], s[0:1], vcc
	s_waitcnt lgkmcnt(0)
	s_barrier
	s_and_saveexec_b64 s[2:3], s[0:1]
	s_cbranch_execz .LBB257_133
; %bb.132:
	v_mov_b32_e32 v0, 0x50
	v_lshl_add_u32 v0, v11, 2, v0
	ds_read_b32 v0, v0
	s_waitcnt lgkmcnt(0)
	v_add_f32_e32 v18, v18, v0
.LBB257_133:
	s_or_b64 exec, exec, s[2:3]
	s_barrier
	s_and_saveexec_b64 s[2:3], s[0:1]
	s_cbranch_execz .LBB257_135
; %bb.134:
	s_lshl_b32 s0, s4, 5
	s_ashr_i32 s1, s0, 31
	s_lshl_b64 s[0:1], s[0:1], 1
	s_add_u32 s2, s30, s0
	s_mul_i32 s0, s35, s28
	s_addc_u32 s3, s31, s1
	s_ashr_i32 s1, s0, 31
	s_lshl_b64 s[0:1], s[0:1], 1
	s_add_u32 s2, s2, s0
	s_addc_u32 s3, s3, s1
	s_lshl_b32 s0, s8, 5
	s_ashr_i32 s1, s0, 31
	s_lshl_b64 s[0:1], s[0:1], 1
	s_add_u32 s0, s2, s0
	s_addc_u32 s1, s3, s1
	v_lshlrev_b32_e32 v0, 1, v11
	;;#ASMSTART
	v_cvt_f16_f32 v1, v18;

	;;#ASMEND
	global_store_short v0, v1, s[0:1]
.LBB257_135:
	s_endpgm
	.section	.rodata,"a",@progbits
	.p2align	6, 0x0
	.amdhsa_kernel _ZN4vllm25paged_attention_v2_kernelIthLi32ELi8ELi128ELNS_18Fp8KVCacheDataTypeE1ELb1ELi512EEEvPfS2_PT_PKS3_PKT0_S9_ifPKiSB_iPKfiiiSD_SD_iiiii
		.amdhsa_group_segment_fixed_size 80
		.amdhsa_private_segment_fixed_size 0
		.amdhsa_kernarg_size 400
		.amdhsa_user_sgpr_count 6
		.amdhsa_user_sgpr_private_segment_buffer 1
		.amdhsa_user_sgpr_dispatch_ptr 0
		.amdhsa_user_sgpr_queue_ptr 0
		.amdhsa_user_sgpr_kernarg_segment_ptr 1
		.amdhsa_user_sgpr_dispatch_id 0
		.amdhsa_user_sgpr_flat_scratch_init 0
		.amdhsa_user_sgpr_kernarg_preload_length 0
		.amdhsa_user_sgpr_kernarg_preload_offset 0
		.amdhsa_user_sgpr_private_segment_size 0
		.amdhsa_uses_dynamic_stack 0
		.amdhsa_system_sgpr_private_segment_wavefront_offset 0
		.amdhsa_system_sgpr_workgroup_id_x 1
		.amdhsa_system_sgpr_workgroup_id_y 1
		.amdhsa_system_sgpr_workgroup_id_z 1
		.amdhsa_system_sgpr_workgroup_info 0
		.amdhsa_system_vgpr_workitem_id 0
		.amdhsa_next_free_vgpr 38
		.amdhsa_next_free_sgpr 62
		.amdhsa_accum_offset 40
		.amdhsa_reserve_vcc 1
		.amdhsa_reserve_flat_scratch 0
		.amdhsa_float_round_mode_32 0
		.amdhsa_float_round_mode_16_64 0
		.amdhsa_float_denorm_mode_32 3
		.amdhsa_float_denorm_mode_16_64 3
		.amdhsa_dx10_clamp 1
		.amdhsa_ieee_mode 1
		.amdhsa_fp16_overflow 0
		.amdhsa_tg_split 0
		.amdhsa_exception_fp_ieee_invalid_op 0
		.amdhsa_exception_fp_denorm_src 0
		.amdhsa_exception_fp_ieee_div_zero 0
		.amdhsa_exception_fp_ieee_overflow 0
		.amdhsa_exception_fp_ieee_underflow 0
		.amdhsa_exception_fp_ieee_inexact 0
		.amdhsa_exception_int_div_zero 0
	.end_amdhsa_kernel
	.section	.text._ZN4vllm25paged_attention_v2_kernelIthLi32ELi8ELi128ELNS_18Fp8KVCacheDataTypeE1ELb1ELi512EEEvPfS2_PT_PKS3_PKT0_S9_ifPKiSB_iPKfiiiSD_SD_iiiii,"axG",@progbits,_ZN4vllm25paged_attention_v2_kernelIthLi32ELi8ELi128ELNS_18Fp8KVCacheDataTypeE1ELb1ELi512EEEvPfS2_PT_PKS3_PKT0_S9_ifPKiSB_iPKfiiiSD_SD_iiiii,comdat
.Lfunc_end257:
	.size	_ZN4vllm25paged_attention_v2_kernelIthLi32ELi8ELi128ELNS_18Fp8KVCacheDataTypeE1ELb1ELi512EEEvPfS2_PT_PKS3_PKT0_S9_ifPKiSB_iPKfiiiSD_SD_iiiii, .Lfunc_end257-_ZN4vllm25paged_attention_v2_kernelIthLi32ELi8ELi128ELNS_18Fp8KVCacheDataTypeE1ELb1ELi512EEEvPfS2_PT_PKS3_PKT0_S9_ifPKiSB_iPKfiiiSD_SD_iiiii
                                        ; -- End function
	.section	.AMDGPU.csdata,"",@progbits
; Kernel info:
; codeLenInByte = 6908
; NumSgprs: 66
; NumVgprs: 38
; NumAgprs: 0
; TotalNumVgprs: 38
; ScratchSize: 0
; MemoryBound: 0
; FloatMode: 240
; IeeeMode: 1
; LDSByteSize: 80 bytes/workgroup (compile time only)
; SGPRBlocks: 8
; VGPRBlocks: 4
; NumSGPRsForWavesPerEU: 66
; NumVGPRsForWavesPerEU: 38
; AccumOffset: 40
; Occupancy: 8
; WaveLimiterHint : 1
; COMPUTE_PGM_RSRC2:SCRATCH_EN: 0
; COMPUTE_PGM_RSRC2:USER_SGPR: 6
; COMPUTE_PGM_RSRC2:TRAP_HANDLER: 0
; COMPUTE_PGM_RSRC2:TGID_X_EN: 1
; COMPUTE_PGM_RSRC2:TGID_Y_EN: 1
; COMPUTE_PGM_RSRC2:TGID_Z_EN: 1
; COMPUTE_PGM_RSRC2:TIDIG_COMP_CNT: 0
; COMPUTE_PGM_RSRC3_GFX90A:ACCUM_OFFSET: 9
; COMPUTE_PGM_RSRC3_GFX90A:TG_SPLIT: 0
	.section	.text._ZN4vllm25paged_attention_v2_kernelIthLi64ELi8ELi128ELNS_18Fp8KVCacheDataTypeE1ELb1ELi512EEEvPfS2_PT_PKS3_PKT0_S9_ifPKiSB_iPKfiiiSD_SD_iiiii,"axG",@progbits,_ZN4vllm25paged_attention_v2_kernelIthLi64ELi8ELi128ELNS_18Fp8KVCacheDataTypeE1ELb1ELi512EEEvPfS2_PT_PKS3_PKT0_S9_ifPKiSB_iPKfiiiSD_SD_iiiii,comdat
	.protected	_ZN4vllm25paged_attention_v2_kernelIthLi64ELi8ELi128ELNS_18Fp8KVCacheDataTypeE1ELb1ELi512EEEvPfS2_PT_PKS3_PKT0_S9_ifPKiSB_iPKfiiiSD_SD_iiiii ; -- Begin function _ZN4vllm25paged_attention_v2_kernelIthLi64ELi8ELi128ELNS_18Fp8KVCacheDataTypeE1ELb1ELi512EEEvPfS2_PT_PKS3_PKT0_S9_ifPKiSB_iPKfiiiSD_SD_iiiii
	.globl	_ZN4vllm25paged_attention_v2_kernelIthLi64ELi8ELi128ELNS_18Fp8KVCacheDataTypeE1ELb1ELi512EEEvPfS2_PT_PKS3_PKT0_S9_ifPKiSB_iPKfiiiSD_SD_iiiii
	.p2align	8
	.type	_ZN4vllm25paged_attention_v2_kernelIthLi64ELi8ELi128ELNS_18Fp8KVCacheDataTypeE1ELb1ELi512EEEvPfS2_PT_PKS3_PKT0_S9_ifPKiSB_iPKfiiiSD_SD_iiiii,@function
_ZN4vllm25paged_attention_v2_kernelIthLi64ELi8ELi128ELNS_18Fp8KVCacheDataTypeE1ELb1ELi512EEEvPfS2_PT_PKS3_PKT0_S9_ifPKiSB_iPKfiiiSD_SD_iiiii: ; @_ZN4vllm25paged_attention_v2_kernelIthLi64ELi8ELi128ELNS_18Fp8KVCacheDataTypeE1ELb1ELi512EEEvPfS2_PT_PKS3_PKT0_S9_ifPKiSB_iPKfiiiSD_SD_iiiii
; %bb.0:
	s_load_dwordx2 s[0:1], s[4:5], 0x40
	s_mov_b32 s36, s7
	s_ashr_i32 s37, s7, 31
	s_lshl_b64 s[2:3], s[36:37], 2
	s_waitcnt lgkmcnt(0)
	s_add_u32 s0, s0, s2
	s_addc_u32 s1, s1, s3
	s_load_dword s33, s[0:1], 0x0
	s_lshl_b32 s58, s8, 9
	s_waitcnt lgkmcnt(0)
	s_cmp_ge_i32 s58, s33
	s_cbranch_scc1 .LBB258_157
; %bb.1:
	s_load_dword s9, s[4:5], 0x90
	s_load_dwordx2 s[44:45], s[4:5], 0x30
	s_waitcnt lgkmcnt(0)
	s_abs_i32 s2, s9
	s_abs_i32 s0, s44
	v_cvt_f32_u32_e32 v1, s0
	s_sub_i32 s3, 0, s0
	s_xor_b32 s1, s9, s44
	s_ashr_i32 s1, s1, 31
	v_rcp_iflag_f32_e32 v1, v1
	v_mul_f32_e32 v1, 0x4f7ffffe, v1
	v_cvt_u32_f32_e32 v1, v1
	v_readfirstlane_b32 s7, v1
	s_mul_i32 s3, s3, s7
	s_mul_hi_u32 s3, s7, s3
	s_add_i32 s7, s7, s3
	s_mul_hi_u32 s3, s2, s7
	s_mul_i32 s7, s3, s0
	s_sub_i32 s2, s2, s7
	s_add_i32 s10, s3, 1
	s_sub_i32 s7, s2, s0
	s_cmp_ge_u32 s2, s0
	s_cselect_b32 s3, s10, s3
	s_cselect_b32 s2, s7, s2
	s_add_i32 s7, s3, 1
	s_cmp_ge_u32 s2, s0
	s_cselect_b32 s0, s7, s3
	s_xor_b32 s0, s0, s1
	s_sub_i32 s2, s0, s1
	s_abs_i32 s10, s2
	v_cvt_f32_u32_e32 v1, s10
	s_load_dwordx2 s[0:1], s[4:5], 0x50
	s_sub_i32 s3, 0, s10
	s_abs_i32 s11, s6
	v_rcp_iflag_f32_e32 v1, v1
	s_mov_b32 s7, 0
	v_mul_f32_e32 v1, 0x4f7ffffe, v1
	v_cvt_u32_f32_e32 v1, v1
	v_readfirstlane_b32 s12, v1
	s_mul_i32 s3, s3, s12
	s_mul_hi_u32 s3, s12, s3
	s_add_i32 s12, s12, s3
	s_waitcnt lgkmcnt(0)
	s_cmp_eq_u64 s[0:1], 0
	s_mul_hi_u32 s12, s11, s12
	s_cbranch_scc1 .LBB258_3
; %bb.2:
	s_ashr_i32 s7, s6, 31
	s_lshl_b64 s[14:15], s[6:7], 2
	s_add_u32 s0, s0, s14
	s_addc_u32 s1, s1, s15
	s_load_dword s7, s[0:1], 0x0
.LBB258_3:
	s_load_dwordx4 s[20:23], s[4:5], 0x58
	s_ashr_i32 s13, s6, 31
	s_ashr_i32 s16, s2, 31
	v_and_b32_e32 v4, 7, v0
	s_lshl_b32 s14, s6, 6
	v_cmp_gt_u32_e64 s[0:1], 64, v0
	s_and_saveexec_b64 s[2:3], s[0:1]
	s_cbranch_execz .LBB258_5
; %bb.4:
	s_load_dwordx2 s[18:19], s[4:5], 0x18
	s_waitcnt lgkmcnt(0)
	s_mul_i32 s24, s36, s20
	s_ashr_i32 s25, s24, 31
	s_lshl_b64 s[24:25], s[24:25], 1
	v_lshlrev_b32_e32 v1, 1, v0
	s_add_u32 s17, s18, s24
	s_addc_u32 s20, s19, s25
	s_ashr_i32 s15, s14, 31
	s_lshl_b64 s[18:19], s[14:15], 1
	s_add_u32 s18, s17, s18
	s_addc_u32 s19, s20, s19
	global_load_ushort v1, v1, s[18:19]
	v_lshrrev_b32_e32 v2, 2, v0
	v_and_b32_e32 v2, 0xfe, v2
	v_lshl_add_u32 v2, v4, 4, v2
	s_waitcnt vmcnt(0)
	ds_write_b16 v2, v1
.LBB258_5:
	s_or_b64 exec, exec, s[2:3]
	s_mul_i32 s3, s12, s10
	s_sub_i32 s3, s11, s3
	s_xor_b32 s2, s13, s16
	s_add_i32 s11, s12, 1
	s_sub_i32 s13, s3, s10
	s_load_dwordx4 s[24:27], s[4:5], 0x78
	s_cmp_ge_u32 s3, s10
	s_cselect_b32 s11, s11, s12
	s_cselect_b32 s3, s13, s3
	s_add_i32 s12, s11, 1
	s_cmp_ge_u32 s3, s10
	s_cselect_b32 s3, s12, s11
	s_load_dword s12, s[4:5], 0x88
	s_waitcnt lgkmcnt(0)
	s_abs_i32 s15, s27
	v_cvt_f32_u32_e32 v1, s15
	s_xor_b32 s3, s3, s2
	s_sub_i32 s57, s3, s2
	s_sub_i32 s2, 0, s15
	v_rcp_iflag_f32_e32 v1, v1
	s_add_i32 s13, s33, -1
	s_abs_i32 s10, s13
	v_mul_f32_e32 v1, 0x4f7ffffe, v1
	v_cvt_u32_f32_e32 v1, v1
	s_barrier
	v_readfirstlane_b32 s37, v1
	s_mul_i32 s2, s2, s37
	s_mul_hi_u32 s2, s37, s2
	s_add_i32 s37, s37, s2
	s_cmp_lt_i32 s12, 0
	s_mul_hi_u32 s11, s10, s37
	s_cbranch_scc0 .LBB258_7
; %bb.6:
	s_mul_i32 s2, s24, s44
	s_add_i32 s2, s57, s2
	s_mul_i32 s2, s2, s12
	s_sub_i32 s44, 1, s2
	s_mov_b64 s[2:3], 0
	s_branch .LBB258_8
.LBB258_7:
	s_mov_b64 s[2:3], -1
                                        ; implicit-def: $sgpr44
.LBB258_8:
	s_load_dwordx2 s[38:39], s[4:5], 0x38
	s_ashr_i32 s13, s13, 31
	s_andn2_b64 vcc, exec, s[2:3]
	s_ashr_i32 s27, s27, 31
	s_cbranch_vccnz .LBB258_10
; %bb.9:
	s_mul_i32 s2, s9, s24
	s_add_i32 s2, s2, s6
	s_mul_i32 s2, s2, s12
	s_add_i32 s44, s2, 1
.LBB258_10:
	s_load_dwordx2 s[42:43], s[4:5], 0x28
	s_load_dword s2, s[4:5], 0x48
	s_load_dwordx4 s[28:31], s[4:5], 0x0
	s_load_dwordx2 s[34:35], s[4:5], 0x10
	s_load_dword s24, s[4:5], 0x98
	s_load_dwordx4 s[16:19], s[4:5], 0x68
	s_mul_i32 s3, s11, s15
	s_waitcnt lgkmcnt(0)
	s_mul_i32 s40, s36, s2
	s_sub_i32 s3, s10, s3
	s_ashr_i32 s41, s40, 31
	s_xor_b32 s2, s13, s27
	s_add_i32 s10, s11, 1
	s_sub_i32 s12, s3, s15
	s_cmp_ge_u32 s3, s15
	s_cselect_b32 s10, s10, s11
	s_cselect_b32 s3, s12, s3
	s_add_i32 s11, s10, 1
	s_cmp_ge_u32 s3, s15
	s_cselect_b32 s3, s11, s10
	s_xor_b32 s3, s3, s2
	s_sub_i32 s56, s3, s2
	s_add_i32 s2, s33, 7
	s_ashr_i32 s3, s2, 31
	s_lshr_b32 s3, s3, 29
	s_add_i32 s2, s2, s3
	s_lshl_b32 s20, s8, 6
	s_ashr_i32 s55, s2, 3
	s_add_i32 s2, s20, 64
	v_lshrrev_b32_e32 v13, 6, v0
	s_min_i32 s54, s2, s55
	v_or_b32_e32 v2, s20, v13
	v_cmp_gt_i32_e64 s[2:3], s54, v2
	v_mov_b32_e32 v17, 0xff7fffff
	s_mul_i32 s57, s57, s22
	v_ashrrev_i32_e32 v3, 31, v2
	v_lshl_add_u32 v1, v13, 3, s58
	v_mbcnt_lo_u32_b32 v5, -1, 0
	s_and_saveexec_b64 s[22:23], s[2:3]
	s_cbranch_execz .LBB258_68
; %bb.11:
	s_load_dwordx2 s[4:5], s[4:5], 0x20
	s_sub_i32 s59, s56, s25
	s_ashr_i32 s10, s57, 31
	v_bfe_u32 v14, v0, 3, 3
	v_lshlrev_b32_e32 v7, 4, v14
	s_waitcnt lgkmcnt(0)
	s_add_u32 s4, s4, s57
	s_addc_u32 s5, s5, s10
	s_abs_i32 s61, s26
	v_cvt_f32_u32_e32 v6, s61
	v_mov_b32_e32 v8, s5
	s_sub_i32 s10, 0, s61
	v_cmp_eq_u32_e32 vcc, 0, v4
	v_rcp_iflag_f32_e32 v9, v6
	v_add_co_u32_e64 v6, s[4:5], s4, v7
	v_addc_co_u32_e64 v7, s[4:5], 0, v8, s[4:5]
	v_mul_f32_e32 v8, 0x4f7ffffe, v9
	v_cvt_u32_f32_e32 v8, v8
	s_mov_b32 s60, s21
	v_mov_b32_e32 v15, 0
	v_lshlrev_b32_e32 v16, 4, v4
	v_mul_lo_u32 v9, s10, v8
	s_lshl_b64 s[10:11], s[40:41], 2
	v_mul_hi_u32 v9, v8, v9
	s_add_u32 s10, s38, s10
	v_add_u32_e32 v18, v8, v9
	v_lshlrev_b64 v[8:9], 2, v[2:3]
	s_addc_u32 s11, s39, s11
	v_mov_b32_e32 v10, s11
	v_add_co_u32_e64 v8, s[10:11], s10, v8
	v_addc_co_u32_e64 v9, s[10:11], v10, v9, s[10:11]
	v_lshlrev_b32_e32 v10, 2, v14
	v_lshl_or_b32 v10, v13, 5, v10
	v_add_u32_e32 v20, 0x90, v10
	v_subrev_u32_e32 v10, s33, v14
	v_cmp_neq_f32_e64 s[4:5], s7, 0
	v_lshl_add_u32 v19, v13, 3, s58
	v_add_u32_e32 v21, 1, v10
	s_mov_b64 s[46:47], 0
	v_mov_b32_e32 v22, 0xff7fffff
	s_movk_i32 s62, 0x80
	s_movk_i32 s63, 0x7f
	v_bfrev_b32_e32 v23, 60
	v_mbcnt_hi_u32_b32 v24, -1, v5
	v_mov_b32_e32 v17, 0xff7fffff
	v_mov_b32_e32 v25, v2
	s_branch .LBB258_14
.LBB258_12:                             ;   in Loop: Header=BB258_14 Depth=1
	s_or_b64 exec, exec, s[48:49]
.LBB258_13:                             ;   in Loop: Header=BB258_14 Depth=1
	s_or_b64 exec, exec, s[12:13]
	v_add_co_u32_e64 v8, s[10:11], 8, v8
	v_add_u32_e32 v25, 2, v25
	v_addc_co_u32_e64 v9, s[10:11], 0, v9, s[10:11]
	v_cmp_le_i32_e64 s[10:11], s54, v25
	v_add_u32_e32 v19, 16, v19
	s_or_b64 s[46:47], s[10:11], s[46:47]
	v_add_u32_e32 v20, 64, v20
	s_andn2_b64 exec, exec, s[46:47]
	s_cbranch_execz .LBB258_67
.LBB258_14:                             ; =>This Inner Loop Header: Depth=1
	s_waitcnt lgkmcnt(0)
	v_sub_u32_e32 v11, 0, v19
	v_max_i32_e32 v11, v19, v11
	v_mul_hi_u32 v12, v11, s37
	v_mul_lo_u32 v26, v12, s15
	v_sub_u32_e32 v11, v11, v26
	v_add_u32_e32 v26, 1, v12
	v_cmp_le_u32_e64 s[10:11], s15, v11
	v_cndmask_b32_e64 v12, v12, v26, s[10:11]
	v_subrev_u32_e32 v26, s15, v11
	v_cndmask_b32_e64 v11, v11, v26, s[10:11]
	v_ashrrev_i32_e32 v10, 31, v19
	v_add_u32_e32 v26, 1, v12
	v_cmp_le_u32_e64 s[10:11], s15, v11
	v_xor_b32_e32 v10, s27, v10
	v_cndmask_b32_e64 v11, v12, v26, s[10:11]
	v_xor_b32_e32 v11, v11, v10
	v_sub_u32_e32 v10, v11, v10
	v_add_u32_e32 v11, s44, v10
	v_sub_u32_e32 v26, 0, v11
	v_ashrrev_i32_e32 v12, 31, v11
	v_max_i32_e32 v11, v11, v26
	v_mul_hi_u32 v26, v11, v18
	v_mul_lo_u32 v26, v26, s61
	v_sub_u32_e32 v11, v11, v26
	v_subrev_u32_e32 v26, s61, v11
	v_cmp_le_u32_e64 s[10:11], s61, v11
	v_cndmask_b32_e64 v11, v11, v26, s[10:11]
	v_subrev_u32_e32 v26, s61, v11
	v_cmp_le_u32_e64 s[10:11], s61, v11
	v_cndmask_b32_e64 v11, v11, v26, s[10:11]
	v_xor_b32_e32 v11, v11, v12
	v_sub_u32_e32 v11, v11, v12
	v_cmp_ne_u32_e64 s[10:11], 0, v11
	v_cmp_ge_i32_e64 s[12:13], s59, v10
	s_and_b64 s[10:11], s[10:11], s[12:13]
	s_and_b64 s[48:49], vcc, s[10:11]
	s_and_saveexec_b64 s[12:13], s[48:49]
	s_cbranch_execz .LBB258_16
; %bb.15:                               ;   in Loop: Header=BB258_14 Depth=1
	ds_write_b32 v20, v22
.LBB258_16:                             ;   in Loop: Header=BB258_14 Depth=1
	s_or_b64 exec, exec, s[12:13]
	s_xor_b64 s[10:11], s[10:11], -1
	s_and_saveexec_b64 s[12:13], s[10:11]
	s_cbranch_execz .LBB258_13
; %bb.17:                               ;   in Loop: Header=BB258_14 Depth=1
	global_load_dword v10, v[8:9], off
	v_mov_b32_e32 v27, 0
	v_mov_b32_e32 v28, 0
	s_waitcnt vmcnt(0)
	v_mad_i64_i32 v[10:11], s[10:11], v10, s60, v[6:7]
	v_add_co_u32_e64 v10, s[10:11], v10, v4
	v_addc_co_u32_e64 v11, s[10:11], 0, v11, s[10:11]
	global_load_ubyte v29, v[10:11], off
	global_load_dword v26, v15, s[16:17]
	s_waitcnt vmcnt(1)
	v_cmp_ne_u16_e64 s[10:11], 0, v29
	s_and_saveexec_b64 s[48:49], s[10:11]
	s_cbranch_execz .LBB258_23
; %bb.18:                               ;   in Loop: Header=BB258_14 Depth=1
	v_cmp_ne_u16_e64 s[10:11], s62, v29
	v_bfrev_b32_e32 v28, 1
	s_and_saveexec_b64 s[50:51], s[10:11]
	s_cbranch_execz .LBB258_22
; %bb.19:                               ;   in Loop: Header=BB258_14 Depth=1
	v_and_b32_e32 v12, 0xffff, v29
	v_and_b32_e32 v30, 0x7f, v12
	v_cmp_ne_u32_e64 s[10:11], s63, v30
	v_mov_b32_e32 v28, 0x7f800001
	s_and_saveexec_b64 s[52:53], s[10:11]
	s_cbranch_execz .LBB258_21
; %bb.20:                               ;   in Loop: Header=BB258_14 Depth=1
	v_and_b32_e32 v28, 7, v12
	v_ffbh_u32_e32 v32, v28
	v_min_u32_e32 v34, 32, v32
	v_subrev_u32_e32 v32, 28, v34
	v_lshlrev_b64 v[32:33], v32, v[12:13]
	v_lshrrev_b32_e32 v31, 3, v30
	v_sub_u32_e32 v12, 29, v34
	v_and_b32_e32 v32, 7, v32
	v_cmp_gt_u32_e64 s[10:11], 8, v30
	v_cndmask_b32_e64 v12, v31, v12, s[10:11]
	v_cndmask_b32_e64 v28, v28, v32, s[10:11]
	v_lshlrev_b32_e32 v29, 24, v29
	v_lshlrev_b32_e32 v28, 20, v28
	v_and_b32_e32 v29, 0x80000000, v29
	v_lshl_add_u32 v12, v12, 23, v23
	v_or3_b32 v28, v29, v12, v28
.LBB258_21:                             ;   in Loop: Header=BB258_14 Depth=1
	s_or_b64 exec, exec, s[52:53]
.LBB258_22:                             ;   in Loop: Header=BB258_14 Depth=1
	s_or_b64 exec, exec, s[50:51]
.LBB258_23:                             ;   in Loop: Header=BB258_14 Depth=1
	s_or_b64 exec, exec, s[48:49]
	global_load_ubyte v29, v[10:11], off offset:8
	s_waitcnt vmcnt(0)
	v_cmp_ne_u16_e64 s[10:11], 0, v29
	s_and_saveexec_b64 s[48:49], s[10:11]
	s_cbranch_execz .LBB258_29
; %bb.24:                               ;   in Loop: Header=BB258_14 Depth=1
	v_cmp_ne_u16_e64 s[10:11], s62, v29
	v_bfrev_b32_e32 v27, 1
	s_and_saveexec_b64 s[50:51], s[10:11]
	s_cbranch_execz .LBB258_28
; %bb.25:                               ;   in Loop: Header=BB258_14 Depth=1
	v_and_b32_e32 v12, 0xffff, v29
	v_and_b32_e32 v30, 0x7f, v12
	v_cmp_ne_u32_e64 s[10:11], s63, v30
	v_mov_b32_e32 v27, 0x7f800001
	s_and_saveexec_b64 s[52:53], s[10:11]
	s_cbranch_execz .LBB258_27
; %bb.26:                               ;   in Loop: Header=BB258_14 Depth=1
	v_and_b32_e32 v27, 7, v12
	v_ffbh_u32_e32 v32, v27
	v_min_u32_e32 v34, 32, v32
	v_subrev_u32_e32 v32, 28, v34
	v_lshlrev_b64 v[32:33], v32, v[12:13]
	v_lshrrev_b32_e32 v31, 3, v30
	v_sub_u32_e32 v12, 29, v34
	v_and_b32_e32 v32, 7, v32
	v_cmp_gt_u32_e64 s[10:11], 8, v30
	v_cndmask_b32_e64 v12, v31, v12, s[10:11]
	v_cndmask_b32_e64 v27, v27, v32, s[10:11]
	v_lshlrev_b32_e32 v29, 24, v29
	v_lshlrev_b32_e32 v27, 20, v27
	v_and_b32_e32 v29, 0x80000000, v29
	v_lshl_add_u32 v12, v12, 23, v23
	v_or3_b32 v27, v29, v12, v27
.LBB258_27:                             ;   in Loop: Header=BB258_14 Depth=1
	s_or_b64 exec, exec, s[52:53]
.LBB258_28:                             ;   in Loop: Header=BB258_14 Depth=1
	s_or_b64 exec, exec, s[50:51]
.LBB258_29:                             ;   in Loop: Header=BB258_14 Depth=1
	s_or_b64 exec, exec, s[48:49]
	global_load_ubyte v31, v[10:11], off offset:128
	v_mov_b32_e32 v29, 0
	v_mov_b32_e32 v30, 0
	s_waitcnt vmcnt(0)
	v_cmp_ne_u16_e64 s[10:11], 0, v31
	s_and_saveexec_b64 s[48:49], s[10:11]
	s_cbranch_execz .LBB258_35
; %bb.30:                               ;   in Loop: Header=BB258_14 Depth=1
	v_cmp_ne_u16_e64 s[10:11], s62, v31
	v_bfrev_b32_e32 v30, 1
	s_and_saveexec_b64 s[50:51], s[10:11]
	s_cbranch_execz .LBB258_34
; %bb.31:                               ;   in Loop: Header=BB258_14 Depth=1
	v_and_b32_e32 v12, 0xffff, v31
	v_and_b32_e32 v32, 0x7f, v12
	v_cmp_ne_u32_e64 s[10:11], s63, v32
	v_mov_b32_e32 v30, 0x7f800001
	s_and_saveexec_b64 s[52:53], s[10:11]
	s_cbranch_execz .LBB258_33
; %bb.32:                               ;   in Loop: Header=BB258_14 Depth=1
	v_and_b32_e32 v30, 7, v12
	v_ffbh_u32_e32 v34, v30
	v_min_u32_e32 v36, 32, v34
	v_subrev_u32_e32 v34, 28, v36
	v_lshlrev_b64 v[34:35], v34, v[12:13]
	v_lshrrev_b32_e32 v33, 3, v32
	v_sub_u32_e32 v12, 29, v36
	v_and_b32_e32 v34, 7, v34
	v_cmp_gt_u32_e64 s[10:11], 8, v32
	v_cndmask_b32_e64 v12, v33, v12, s[10:11]
	v_cndmask_b32_e64 v30, v30, v34, s[10:11]
	v_lshlrev_b32_e32 v31, 24, v31
	v_lshlrev_b32_e32 v30, 20, v30
	v_and_b32_e32 v31, 0x80000000, v31
	v_lshl_add_u32 v12, v12, 23, v23
	v_or3_b32 v30, v31, v12, v30
.LBB258_33:                             ;   in Loop: Header=BB258_14 Depth=1
	s_or_b64 exec, exec, s[52:53]
.LBB258_34:                             ;   in Loop: Header=BB258_14 Depth=1
	s_or_b64 exec, exec, s[50:51]
.LBB258_35:                             ;   in Loop: Header=BB258_14 Depth=1
	s_or_b64 exec, exec, s[48:49]
	global_load_ubyte v31, v[10:11], off offset:136
	s_waitcnt vmcnt(0)
	v_cmp_ne_u16_e64 s[10:11], 0, v31
	s_and_saveexec_b64 s[48:49], s[10:11]
	s_cbranch_execz .LBB258_41
; %bb.36:                               ;   in Loop: Header=BB258_14 Depth=1
	v_cmp_ne_u16_e64 s[10:11], s62, v31
	v_bfrev_b32_e32 v29, 1
	s_and_saveexec_b64 s[50:51], s[10:11]
	s_cbranch_execz .LBB258_40
; %bb.37:                               ;   in Loop: Header=BB258_14 Depth=1
	v_and_b32_e32 v12, 0xffff, v31
	v_and_b32_e32 v32, 0x7f, v12
	v_cmp_ne_u32_e64 s[10:11], s63, v32
	v_mov_b32_e32 v29, 0x7f800001
	s_and_saveexec_b64 s[52:53], s[10:11]
	s_cbranch_execz .LBB258_39
; %bb.38:                               ;   in Loop: Header=BB258_14 Depth=1
	v_and_b32_e32 v29, 7, v12
	v_ffbh_u32_e32 v34, v29
	v_min_u32_e32 v36, 32, v34
	v_subrev_u32_e32 v34, 28, v36
	v_lshlrev_b64 v[34:35], v34, v[12:13]
	v_lshrrev_b32_e32 v33, 3, v32
	v_sub_u32_e32 v12, 29, v36
	v_and_b32_e32 v34, 7, v34
	v_cmp_gt_u32_e64 s[10:11], 8, v32
	v_cndmask_b32_e64 v12, v33, v12, s[10:11]
	v_cndmask_b32_e64 v29, v29, v34, s[10:11]
	v_lshlrev_b32_e32 v31, 24, v31
	v_lshlrev_b32_e32 v29, 20, v29
	v_and_b32_e32 v31, 0x80000000, v31
	v_lshl_add_u32 v12, v12, 23, v23
	v_or3_b32 v29, v31, v12, v29
.LBB258_39:                             ;   in Loop: Header=BB258_14 Depth=1
	s_or_b64 exec, exec, s[52:53]
.LBB258_40:                             ;   in Loop: Header=BB258_14 Depth=1
	s_or_b64 exec, exec, s[50:51]
.LBB258_41:                             ;   in Loop: Header=BB258_14 Depth=1
	s_or_b64 exec, exec, s[48:49]
	global_load_ubyte v33, v[10:11], off offset:256
	v_mov_b32_e32 v31, 0
	v_mov_b32_e32 v32, 0
	s_waitcnt vmcnt(0)
	v_cmp_ne_u16_e64 s[10:11], 0, v33
	s_and_saveexec_b64 s[48:49], s[10:11]
	s_cbranch_execz .LBB258_47
; %bb.42:                               ;   in Loop: Header=BB258_14 Depth=1
	v_cmp_ne_u16_e64 s[10:11], s62, v33
	v_bfrev_b32_e32 v32, 1
	s_and_saveexec_b64 s[50:51], s[10:11]
	s_cbranch_execz .LBB258_46
; %bb.43:                               ;   in Loop: Header=BB258_14 Depth=1
	v_and_b32_e32 v12, 0xffff, v33
	v_and_b32_e32 v34, 0x7f, v12
	v_cmp_ne_u32_e64 s[10:11], s63, v34
	v_mov_b32_e32 v32, 0x7f800001
	s_and_saveexec_b64 s[52:53], s[10:11]
	s_cbranch_execz .LBB258_45
; %bb.44:                               ;   in Loop: Header=BB258_14 Depth=1
	v_and_b32_e32 v32, 7, v12
	v_ffbh_u32_e32 v36, v32
	v_min_u32_e32 v38, 32, v36
	v_subrev_u32_e32 v36, 28, v38
	v_lshlrev_b64 v[36:37], v36, v[12:13]
	v_lshrrev_b32_e32 v35, 3, v34
	v_sub_u32_e32 v12, 29, v38
	v_and_b32_e32 v36, 7, v36
	v_cmp_gt_u32_e64 s[10:11], 8, v34
	v_cndmask_b32_e64 v12, v35, v12, s[10:11]
	v_cndmask_b32_e64 v32, v32, v36, s[10:11]
	v_lshlrev_b32_e32 v33, 24, v33
	v_lshlrev_b32_e32 v32, 20, v32
	v_and_b32_e32 v33, 0x80000000, v33
	v_lshl_add_u32 v12, v12, 23, v23
	v_or3_b32 v32, v33, v12, v32
.LBB258_45:                             ;   in Loop: Header=BB258_14 Depth=1
	s_or_b64 exec, exec, s[52:53]
.LBB258_46:                             ;   in Loop: Header=BB258_14 Depth=1
	s_or_b64 exec, exec, s[50:51]
.LBB258_47:                             ;   in Loop: Header=BB258_14 Depth=1
	s_or_b64 exec, exec, s[48:49]
	global_load_ubyte v33, v[10:11], off offset:264
	s_waitcnt vmcnt(0)
	v_cmp_ne_u16_e64 s[10:11], 0, v33
	s_and_saveexec_b64 s[48:49], s[10:11]
	s_cbranch_execz .LBB258_53
; %bb.48:                               ;   in Loop: Header=BB258_14 Depth=1
	v_cmp_ne_u16_e64 s[10:11], s62, v33
	v_bfrev_b32_e32 v31, 1
	s_and_saveexec_b64 s[50:51], s[10:11]
	s_cbranch_execz .LBB258_52
; %bb.49:                               ;   in Loop: Header=BB258_14 Depth=1
	v_and_b32_e32 v12, 0xffff, v33
	v_and_b32_e32 v34, 0x7f, v12
	v_cmp_ne_u32_e64 s[10:11], s63, v34
	v_mov_b32_e32 v31, 0x7f800001
	s_and_saveexec_b64 s[52:53], s[10:11]
	s_cbranch_execz .LBB258_51
; %bb.50:                               ;   in Loop: Header=BB258_14 Depth=1
	v_and_b32_e32 v31, 7, v12
	v_ffbh_u32_e32 v36, v31
	v_min_u32_e32 v38, 32, v36
	v_subrev_u32_e32 v36, 28, v38
	v_lshlrev_b64 v[36:37], v36, v[12:13]
	v_lshrrev_b32_e32 v35, 3, v34
	v_sub_u32_e32 v12, 29, v38
	v_and_b32_e32 v36, 7, v36
	v_cmp_gt_u32_e64 s[10:11], 8, v34
	v_cndmask_b32_e64 v12, v35, v12, s[10:11]
	v_cndmask_b32_e64 v31, v31, v36, s[10:11]
	v_lshlrev_b32_e32 v33, 24, v33
	v_lshlrev_b32_e32 v31, 20, v31
	v_and_b32_e32 v33, 0x80000000, v33
	v_lshl_add_u32 v12, v12, 23, v23
	v_or3_b32 v31, v33, v12, v31
.LBB258_51:                             ;   in Loop: Header=BB258_14 Depth=1
	s_or_b64 exec, exec, s[52:53]
.LBB258_52:                             ;   in Loop: Header=BB258_14 Depth=1
	s_or_b64 exec, exec, s[50:51]
.LBB258_53:                             ;   in Loop: Header=BB258_14 Depth=1
	s_or_b64 exec, exec, s[48:49]
	global_load_ubyte v35, v[10:11], off offset:384
	v_mov_b32_e32 v33, 0
	v_mov_b32_e32 v34, 0
	s_waitcnt vmcnt(0)
	v_cmp_ne_u16_e64 s[10:11], 0, v35
	s_and_saveexec_b64 s[48:49], s[10:11]
	s_cbranch_execz .LBB258_59
; %bb.54:                               ;   in Loop: Header=BB258_14 Depth=1
	v_cmp_ne_u16_e64 s[10:11], s62, v35
	v_bfrev_b32_e32 v34, 1
	s_and_saveexec_b64 s[50:51], s[10:11]
	s_cbranch_execz .LBB258_58
; %bb.55:                               ;   in Loop: Header=BB258_14 Depth=1
	v_and_b32_e32 v12, 0xffff, v35
	v_and_b32_e32 v36, 0x7f, v12
	v_cmp_ne_u32_e64 s[10:11], s63, v36
	v_mov_b32_e32 v34, 0x7f800001
	s_and_saveexec_b64 s[52:53], s[10:11]
	s_cbranch_execz .LBB258_57
; %bb.56:                               ;   in Loop: Header=BB258_14 Depth=1
	v_and_b32_e32 v34, 7, v12
	v_ffbh_u32_e32 v38, v34
	v_min_u32_e32 v40, 32, v38
	v_subrev_u32_e32 v38, 28, v40
	v_lshlrev_b64 v[38:39], v38, v[12:13]
	v_lshrrev_b32_e32 v37, 3, v36
	v_sub_u32_e32 v12, 29, v40
	v_and_b32_e32 v38, 7, v38
	v_cmp_gt_u32_e64 s[10:11], 8, v36
	v_cndmask_b32_e64 v12, v37, v12, s[10:11]
	v_cndmask_b32_e64 v34, v34, v38, s[10:11]
	v_lshlrev_b32_e32 v35, 24, v35
	v_lshlrev_b32_e32 v34, 20, v34
	v_and_b32_e32 v35, 0x80000000, v35
	v_lshl_add_u32 v12, v12, 23, v23
	v_or3_b32 v34, v35, v12, v34
.LBB258_57:                             ;   in Loop: Header=BB258_14 Depth=1
	s_or_b64 exec, exec, s[52:53]
.LBB258_58:                             ;   in Loop: Header=BB258_14 Depth=1
	s_or_b64 exec, exec, s[50:51]
.LBB258_59:                             ;   in Loop: Header=BB258_14 Depth=1
	s_or_b64 exec, exec, s[48:49]
	global_load_ubyte v11, v[10:11], off offset:392
	s_waitcnt vmcnt(0)
	v_cmp_ne_u16_e64 s[10:11], 0, v11
	s_and_saveexec_b64 s[48:49], s[10:11]
	s_cbranch_execz .LBB258_65
; %bb.60:                               ;   in Loop: Header=BB258_14 Depth=1
	v_cmp_ne_u16_e64 s[10:11], s62, v11
	v_bfrev_b32_e32 v33, 1
	s_and_saveexec_b64 s[50:51], s[10:11]
	s_cbranch_execz .LBB258_64
; %bb.61:                               ;   in Loop: Header=BB258_14 Depth=1
	v_and_b32_e32 v10, 0xffff, v11
	v_and_b32_e32 v12, 0x7f, v10
	v_cmp_ne_u32_e64 s[10:11], s63, v12
	v_mov_b32_e32 v33, 0x7f800001
	s_and_saveexec_b64 s[52:53], s[10:11]
	s_cbranch_execz .LBB258_63
; %bb.62:                               ;   in Loop: Header=BB258_14 Depth=1
	v_and_b32_e32 v33, 7, v10
	v_ffbh_u32_e32 v36, v33
	v_min_u32_e32 v38, 32, v36
	v_subrev_u32_e32 v36, 28, v38
	v_lshlrev_b64 v[36:37], v36, v[10:11]
	v_lshrrev_b32_e32 v35, 3, v12
	v_sub_u32_e32 v10, 29, v38
	v_and_b32_e32 v36, 7, v36
	v_cmp_gt_u32_e64 s[10:11], 8, v12
	v_cndmask_b32_e64 v10, v35, v10, s[10:11]
	v_cndmask_b32_e64 v12, v33, v36, s[10:11]
	v_lshlrev_b32_e32 v11, 24, v11
	v_lshlrev_b32_e32 v12, 20, v12
	v_and_b32_e32 v11, 0x80000000, v11
	v_lshl_add_u32 v10, v10, 23, v23
	v_or3_b32 v33, v11, v10, v12
.LBB258_63:                             ;   in Loop: Header=BB258_14 Depth=1
	s_or_b64 exec, exec, s[52:53]
.LBB258_64:                             ;   in Loop: Header=BB258_14 Depth=1
	s_or_b64 exec, exec, s[50:51]
.LBB258_65:                             ;   in Loop: Header=BB258_14 Depth=1
	s_or_b64 exec, exec, s[48:49]
	v_fma_mixlo_f16 v11, v26, v28, 0
	ds_read_u16 v10, v16
	v_and_b32_e32 v11, 0xffff, v11
	s_waitcnt lgkmcnt(0)
	;;#ASMSTART
	v_cvt_f32_f16 v10, v10;
	;;#ASMEND
	;;#ASMSTART
	v_cvt_f32_f16 v11, v11;
	;;#ASMEND
	ds_read_u16 v12, v16 offset:2
	v_fma_mixlo_f16 v27, v26, v27, 0
	v_and_b32_e32 v27, 0xffff, v27
	s_waitcnt lgkmcnt(0)
	;;#ASMSTART
	v_cvt_f32_f16 v12, v12;
	;;#ASMEND
	;;#ASMSTART
	v_cvt_f32_f16 v27, v27;
	;;#ASMEND
	v_fma_mixlo_f16 v30, v26, v30, 0
	v_mul_f32_e32 v12, v12, v27
	ds_read_u16 v28, v16 offset:4
	v_and_b32_e32 v30, 0xffff, v30
	v_fma_mixlo_f16 v29, v26, v29, 0
	v_fmac_f32_e32 v12, v10, v11
	s_waitcnt lgkmcnt(0)
	;;#ASMSTART
	v_cvt_f32_f16 v28, v28;
	;;#ASMEND
	;;#ASMSTART
	v_cvt_f32_f16 v30, v30;
	;;#ASMEND
	ds_read_u16 v35, v16 offset:6
	v_and_b32_e32 v29, 0xffff, v29
	v_fma_mixlo_f16 v32, v26, v32, 0
	v_fmac_f32_e32 v12, v28, v30
	s_waitcnt lgkmcnt(0)
	;;#ASMSTART
	v_cvt_f32_f16 v35, v35;
	;;#ASMEND
	;;#ASMSTART
	v_cvt_f32_f16 v29, v29;
	;;#ASMEND
	ds_read_u16 v36, v16 offset:8
	v_and_b32_e32 v32, 0xffff, v32
	v_fma_mixlo_f16 v34, v26, v34, 0
	v_fma_mixlo_f16 v31, v26, v31, 0
	v_fmac_f32_e32 v12, v35, v29
	s_waitcnt lgkmcnt(0)
	;;#ASMSTART
	v_cvt_f32_f16 v36, v36;
	;;#ASMEND
	;;#ASMSTART
	v_cvt_f32_f16 v32, v32;
	;;#ASMEND
	ds_read_u16 v37, v16 offset:10
	v_and_b32_e32 v31, 0xffff, v31
	v_and_b32_e32 v11, 0xffff, v34
	v_fmac_f32_e32 v12, v36, v32
	s_waitcnt lgkmcnt(0)
	;;#ASMSTART
	v_cvt_f32_f16 v37, v37;
	;;#ASMEND
	;;#ASMSTART
	v_cvt_f32_f16 v31, v31;
	;;#ASMEND
	ds_read_u16 v38, v16 offset:12
	v_fma_mixlo_f16 v26, v26, v33, 0
	s_waitcnt lgkmcnt(0)
	;;#ASMSTART
	v_cvt_f32_f16 v10, v38;
	;;#ASMEND
	;;#ASMSTART
	v_cvt_f32_f16 v11, v11;
	;;#ASMEND
	v_fmac_f32_e32 v12, v37, v31
	ds_read_u16 v27, v16 offset:14
	v_fmac_f32_e32 v12, v10, v11
	s_waitcnt lgkmcnt(0)
	;;#ASMSTART
	v_cvt_f32_f16 v10, v27;
	;;#ASMEND
	v_and_b32_e32 v11, 0xffff, v26
	;;#ASMSTART
	v_cvt_f32_f16 v11, v11;
	;;#ASMEND
	v_fmac_f32_e32 v12, v10, v11
	v_and_b32_e32 v10, 64, v24
	v_add_u32_e32 v11, 64, v10
	v_xor_b32_e32 v10, 4, v24
	v_cmp_lt_i32_e64 s[10:11], v10, v11
	v_cndmask_b32_e64 v10, v24, v10, s[10:11]
	v_lshlrev_b32_e32 v10, 2, v10
	ds_bpermute_b32 v10, v10, v12
	s_waitcnt lgkmcnt(0)
	v_add_f32_e32 v10, v12, v10
	v_xor_b32_e32 v12, 2, v24
	v_cmp_lt_i32_e64 s[10:11], v12, v11
	v_cndmask_b32_e64 v12, v24, v12, s[10:11]
	v_lshlrev_b32_e32 v12, 2, v12
	ds_bpermute_b32 v12, v12, v10
	s_waitcnt lgkmcnt(0)
	v_add_f32_e32 v10, v10, v12
	v_xor_b32_e32 v12, 1, v24
	v_cmp_lt_i32_e64 s[10:11], v12, v11
	v_cndmask_b32_e64 v11, v24, v12, s[10:11]
	v_lshlrev_b32_e32 v11, 2, v11
	ds_bpermute_b32 v11, v11, v10
	s_and_saveexec_b64 s[48:49], vcc
	s_cbranch_execz .LBB258_12
; %bb.66:                               ;   in Loop: Header=BB258_14 Depth=1
	v_add_u32_e32 v12, v21, v19
	v_cvt_f32_i32_e32 v12, v12
	s_waitcnt lgkmcnt(0)
	v_add_f32_e32 v10, v10, v11
	v_add_u32_e32 v26, v14, v19
	v_cmp_gt_i32_e64 s[10:11], s33, v26
	v_mul_f32_e32 v11, s7, v12
	v_cndmask_b32_e64 v11, 0, v11, s[4:5]
	v_fmac_f32_e32 v11, s45, v10
	v_cndmask_b32_e64 v10, 0, v11, s[10:11]
	ds_write_b32 v20, v10
	v_max_f32_e32 v10, v17, v17
	v_max_f32_e32 v10, v10, v11
	v_cndmask_b32_e64 v17, v17, v10, s[10:11]
	s_branch .LBB258_12
.LBB258_67:
	s_or_b64 exec, exec, s[46:47]
.LBB258_68:
	s_or_b64 exec, exec, s[22:23]
	v_mbcnt_hi_u32_b32 v4, -1, v5
	v_and_b32_e32 v5, 64, v4
	v_add_u32_e32 v5, 64, v5
	v_xor_b32_e32 v6, 32, v4
	v_cmp_lt_i32_e32 vcc, v6, v5
	v_cndmask_b32_e32 v6, v4, v6, vcc
	v_lshlrev_b32_e32 v8, 2, v6
	ds_bpermute_b32 v6, v8, v17
	v_xor_b32_e32 v9, 16, v4
	v_max_f32_e32 v7, v17, v17
	v_cmp_lt_i32_e32 vcc, v9, v5
	s_waitcnt lgkmcnt(1)
	v_and_b32_e32 v11, 63, v0
	s_waitcnt lgkmcnt(0)
	v_max_f32_e32 v6, v6, v6
	v_max_f32_e32 v6, v7, v6
	v_cndmask_b32_e32 v7, v4, v9, vcc
	v_lshlrev_b32_e32 v10, 2, v7
	ds_bpermute_b32 v7, v10, v6
	v_xor_b32_e32 v9, 8, v4
	v_cmp_lt_i32_e32 vcc, v9, v5
	s_waitcnt lgkmcnt(0)
	v_max_f32_e32 v7, v7, v7
	v_max_f32_e32 v6, v6, v7
	v_cndmask_b32_e32 v7, v4, v9, vcc
	v_lshlrev_b32_e32 v12, 2, v7
	ds_bpermute_b32 v9, v12, v6
	v_cmp_eq_u32_e32 vcc, 0, v11
	v_lshlrev_b32_e32 v7, 2, v13
	s_and_saveexec_b64 s[4:5], vcc
	s_cbranch_execz .LBB258_70
; %bb.69:
	s_waitcnt lgkmcnt(0)
	v_max_f32_e32 v9, v9, v9
	v_max_f32_e32 v6, v6, v6
	;; [unrolled: 1-line block ×3, first 2 shown]
	ds_write_b32 v7, v6 offset:128
.LBB258_70:
	s_or_b64 exec, exec, s[4:5]
	v_cmp_gt_u32_e64 s[4:5], 2, v11
	v_mov_b32_e32 v6, 0xff7fffff
	s_waitcnt lgkmcnt(0)
	v_lshlrev_b32_e32 v9, 2, v11
	s_barrier
	s_and_saveexec_b64 s[10:11], s[4:5]
	s_cbranch_execz .LBB258_72
; %bb.71:
	ds_read_b32 v6, v9 offset:128
.LBB258_72:
	s_or_b64 exec, exec, s[10:11]
	v_xor_b32_e32 v14, 1, v4
	v_cmp_lt_i32_e64 s[10:11], v14, v5
	v_cndmask_b32_e64 v14, v4, v14, s[10:11]
	v_lshlrev_b32_e32 v14, 2, v14
	s_waitcnt lgkmcnt(0)
	ds_bpermute_b32 v15, v14, v6
	v_max_f32_e32 v6, v6, v6
	s_sub_i32 s7, s54, s20
	s_lshl_b32 s7, s7, 3
	s_add_i32 s7, s7, s58
	s_waitcnt lgkmcnt(0)
	v_max_f32_e32 v15, v15, v15
	v_max_f32_e32 v6, v6, v15
	v_lshlrev_b32_e32 v15, 2, v4
	v_and_b32_e32 v15, 0x100, v15
	ds_bpermute_b32 v6, v15, v6
	s_min_i32 s45, s7, s33
	s_sub_i32 s7, s45, s58
	v_cmp_gt_i32_e64 s[10:11], s7, v0
	v_mov_b32_e32 v16, 0
	s_and_saveexec_b64 s[16:17], s[10:11]
	s_cbranch_execz .LBB258_76
; %bb.73:
	v_mov_b32_e32 v16, 0x90
	v_lshl_add_u32 v17, v0, 2, v16
	s_mov_b64 s[22:23], 0
	v_mov_b32_e32 v16, 0
	v_mov_b32_e32 v18, v0
.LBB258_74:                             ; =>This Inner Loop Header: Depth=1
	ds_read_b32 v19, v17
	v_add_u32_e32 v18, 0x80, v18
	v_cmp_le_i32_e64 s[12:13], s7, v18
	s_or_b64 s[22:23], s[12:13], s[22:23]
	s_waitcnt lgkmcnt(0)
	v_sub_f32_e32 v19, v19, v6
	v_mul_f32_e32 v19, 0x3fb8aa3b, v19
	v_exp_f32_e32 v19, v19
	ds_write_b32 v17, v19
	v_add_f32_e32 v16, v16, v19
	v_add_u32_e32 v17, 0x200, v17
	s_andn2_b64 exec, exec, s[22:23]
	s_cbranch_execnz .LBB258_74
; %bb.75:
	s_or_b64 exec, exec, s[22:23]
.LBB258_76:
	s_or_b64 exec, exec, s[16:17]
	ds_bpermute_b32 v8, v8, v16
	s_waitcnt lgkmcnt(0)
	v_add_f32_e32 v8, v16, v8
	ds_bpermute_b32 v10, v10, v8
	s_waitcnt lgkmcnt(0)
	v_add_f32_e32 v8, v8, v10
	ds_bpermute_b32 v10, v12, v8
	v_xor_b32_e32 v12, 4, v4
	v_cmp_lt_i32_e64 s[12:13], v12, v5
	v_cndmask_b32_e64 v12, v4, v12, s[12:13]
	v_lshlrev_b32_e32 v12, 2, v12
	s_waitcnt lgkmcnt(0)
	v_add_f32_e32 v8, v8, v10
	ds_bpermute_b32 v10, v12, v8
	v_xor_b32_e32 v12, 2, v4
	v_cmp_lt_i32_e64 s[12:13], v12, v5
	v_cndmask_b32_e64 v4, v4, v12, s[12:13]
	v_lshlrev_b32_e32 v4, 2, v4
	s_waitcnt lgkmcnt(0)
	v_add_f32_e32 v5, v8, v10
	ds_bpermute_b32 v4, v4, v5
	s_waitcnt lgkmcnt(0)
	v_add_f32_e32 v4, v5, v4
	ds_bpermute_b32 v5, v14, v4
	s_waitcnt lgkmcnt(0)
	v_add_f32_e32 v4, v4, v5
	s_and_saveexec_b64 s[12:13], vcc
	s_cbranch_execz .LBB258_78
; %bb.77:
	ds_write_b32 v7, v4 offset:136
.LBB258_78:
	s_or_b64 exec, exec, s[12:13]
	s_waitcnt lgkmcnt(0)
	s_barrier
	s_and_saveexec_b64 s[12:13], s[4:5]
	s_cbranch_execz .LBB258_80
; %bb.79:
	ds_read_b32 v4, v9 offset:136
.LBB258_80:
	s_or_b64 exec, exec, s[12:13]
	s_waitcnt lgkmcnt(0)
	ds_bpermute_b32 v5, v14, v4
	s_waitcnt lgkmcnt(0)
	v_add_f32_e32 v4, v4, v5
	ds_bpermute_b32 v7, v15, v4
	s_and_saveexec_b64 s[4:5], s[10:11]
	s_cbranch_execz .LBB258_93
; %bb.81:
	s_waitcnt lgkmcnt(0)
	v_add_f32_e32 v4, 0x358637bd, v7
	v_div_scale_f32 v5, s[10:11], v4, v4, 1.0
	v_rcp_f32_e32 v8, v5
	v_div_scale_f32 v9, vcc, 1.0, v4, 1.0
	s_movk_i32 s10, 0x7f
	v_fma_f32 v10, -v5, v8, 1.0
	v_fmac_f32_e32 v8, v10, v8
	v_mul_f32_e32 v10, v9, v8
	v_fma_f32 v12, -v5, v10, v9
	v_fmac_f32_e32 v10, v12, v8
	v_fma_f32 v5, -v5, v10, v9
	v_div_fmas_f32 v5, v5, v8, v10
	v_div_fixup_f32 v4, v5, v4, 1.0
	v_xad_u32 v5, v0, -1, s45
	v_subrev_u32_e32 v8, s58, v5
	v_cmp_lt_u32_e32 vcc, s10, v8
	s_mov_b64 s[12:13], -1
	v_mov_b32_e32 v5, v0
	s_and_saveexec_b64 s[10:11], vcc
	s_cbranch_execz .LBB258_90
; %bb.82:
	v_lshrrev_b32_e32 v8, 7, v8
	v_add_u32_e32 v10, -1, v8
	v_lshrrev_b32_e32 v9, 1, v10
	v_mov_b32_e32 v5, v4
	v_add_u32_e32 v9, 1, v9
	v_cmp_lt_u32_e32 vcc, 13, v10
	v_mov_b32_e32 v14, 0
	s_and_saveexec_b64 s[12:13], vcc
	s_cbranch_execz .LBB258_86
; %bb.83:
	v_mov_b32_e32 v12, 0x90
	v_and_b32_e32 v10, -8, v9
	v_lshl_add_u32 v12, v0, 2, v12
	s_mov_b32 s22, 0
	s_mov_b64 s[16:17], 0
.LBB258_84:                             ; =>This Inner Loop Header: Depth=1
	ds_read2st64_b32 v[14:15], v12 offset1:2
	ds_read2st64_b32 v[16:17], v12 offset0:4 offset1:6
	ds_read2st64_b32 v[18:19], v12 offset0:8 offset1:10
	ds_read2st64_b32 v[20:21], v12 offset0:12 offset1:14
	v_add_u32_e32 v10, -8, v10
	s_waitcnt lgkmcnt(3)
	v_pk_mul_f32 v[14:15], v[4:5], v[14:15]
	s_waitcnt lgkmcnt(2)
	v_pk_mul_f32 v[16:17], v[4:5], v[16:17]
	ds_write2st64_b32 v12, v14, v15 offset1:2
	ds_write2st64_b32 v12, v16, v17 offset0:4 offset1:6
	ds_read2st64_b32 v[16:17], v12 offset0:16 offset1:18
	s_waitcnt lgkmcnt(4)
	v_pk_mul_f32 v[14:15], v[4:5], v[18:19]
	ds_write2st64_b32 v12, v14, v15 offset0:8 offset1:10
	s_waitcnt lgkmcnt(4)
	v_pk_mul_f32 v[14:15], v[4:5], v[20:21]
	ds_write2st64_b32 v12, v14, v15 offset0:12 offset1:14
	ds_read2st64_b32 v[14:15], v12 offset0:20 offset1:22
	s_waitcnt lgkmcnt(3)
	v_pk_mul_f32 v[16:17], v[4:5], v[16:17]
	ds_read2st64_b32 v[18:19], v12 offset0:24 offset1:26
	ds_write2st64_b32 v12, v16, v17 offset0:16 offset1:18
	ds_read2st64_b32 v[16:17], v12 offset0:28 offset1:30
	s_waitcnt lgkmcnt(3)
	v_pk_mul_f32 v[14:15], v[4:5], v[14:15]
	ds_write2st64_b32 v12, v14, v15 offset0:20 offset1:22
	s_waitcnt lgkmcnt(3)
	v_pk_mul_f32 v[14:15], v[4:5], v[18:19]
	ds_write2st64_b32 v12, v14, v15 offset0:24 offset1:26
	s_waitcnt lgkmcnt(2)
	v_pk_mul_f32 v[14:15], v[4:5], v[16:17]
	s_add_i32 s22, s22, 16
	v_cmp_eq_u32_e32 vcc, 0, v10
	ds_write2st64_b32 v12, v14, v15 offset0:28 offset1:30
	v_add_u32_e32 v12, 0x2000, v12
	s_or_b64 s[16:17], vcc, s[16:17]
	v_mov_b32_e32 v14, s22
	s_andn2_b64 exec, exec, s[16:17]
	s_cbranch_execnz .LBB258_84
; %bb.85:
	s_or_b64 exec, exec, s[16:17]
.LBB258_86:
	s_or_b64 exec, exec, s[12:13]
	v_and_b32_e32 v9, 7, v9
	v_cmp_ne_u32_e32 vcc, 0, v9
	s_and_saveexec_b64 s[12:13], vcc
	s_cbranch_execz .LBB258_89
; %bb.87:
	v_lshlrev_b32_e32 v10, 9, v14
	v_lshlrev_b32_e32 v12, 2, v0
	s_movk_i32 s16, 0x90
	v_add3_u32 v10, v10, v12, s16
	s_mov_b64 s[16:17], 0
.LBB258_88:                             ; =>This Inner Loop Header: Depth=1
	ds_read2st64_b32 v[14:15], v10 offset1:2
	v_add_u32_e32 v9, -1, v9
	v_cmp_eq_u32_e32 vcc, 0, v9
	s_or_b64 s[16:17], vcc, s[16:17]
	s_waitcnt lgkmcnt(0)
	v_pk_mul_f32 v[14:15], v[4:5], v[14:15]
	ds_write2st64_b32 v10, v14, v15 offset1:2
	v_add_u32_e32 v10, 0x400, v10
	s_andn2_b64 exec, exec, s[16:17]
	s_cbranch_execnz .LBB258_88
.LBB258_89:
	s_or_b64 exec, exec, s[12:13]
	v_add_u32_e32 v8, 1, v8
	v_and_b32_e32 v9, 0x3fffffe, v8
	v_cmp_ne_u32_e32 vcc, v8, v9
	v_lshl_add_u32 v5, v9, 7, v0
	s_orn2_b64 s[12:13], vcc, exec
.LBB258_90:
	s_or_b64 exec, exec, s[10:11]
	s_and_b64 exec, exec, s[12:13]
	s_cbranch_execz .LBB258_93
; %bb.91:
	v_mov_b32_e32 v8, 0x90
	v_lshl_add_u32 v8, v5, 2, v8
	s_mov_b64 s[10:11], 0
.LBB258_92:                             ; =>This Inner Loop Header: Depth=1
	ds_read_b32 v9, v8
	v_add_u32_e32 v5, 0x80, v5
	v_cmp_le_i32_e32 vcc, s7, v5
	s_or_b64 s[10:11], vcc, s[10:11]
	s_waitcnt lgkmcnt(0)
	v_mul_f32_e32 v9, v4, v9
	ds_write_b32 v8, v9
	v_add_u32_e32 v8, 0x200, v8
	s_andn2_b64 exec, exec, s[10:11]
	s_cbranch_execnz .LBB258_92
.LBB258_93:
	s_or_b64 exec, exec, s[4:5]
	s_mul_i32 s4, s24, s36
	v_cmp_eq_u32_e32 vcc, 0, v0
	s_mul_i32 s4, s4, s9
	s_waitcnt lgkmcnt(0)
	s_barrier
	s_and_saveexec_b64 s[10:11], vcc
	s_cbranch_execz .LBB258_95
; %bb.94:
	s_ashr_i32 s5, s4, 31
	s_lshl_b64 s[12:13], s[4:5], 2
	s_add_u32 s5, s30, s12
	s_mul_i32 s6, s24, s6
	s_addc_u32 s9, s31, s13
	s_ashr_i32 s7, s6, 31
	s_lshl_b64 s[6:7], s[6:7], 2
	s_add_u32 s5, s5, s6
	s_addc_u32 s17, s9, s7
	s_ashr_i32 s9, s8, 31
	s_lshl_b64 s[8:9], s[8:9], 2
	s_add_u32 s16, s5, s8
	s_addc_u32 s17, s17, s9
	s_add_u32 s5, s28, s12
	s_addc_u32 s12, s29, s13
	s_add_u32 s5, s5, s6
	s_addc_u32 s7, s12, s7
	s_add_u32 s6, s5, s8
	v_mov_b32_e32 v4, 0
	s_addc_u32 s7, s7, s9
	global_store_dword v4, v6, s[16:17]
	global_store_dword v4, v7, s[6:7]
.LBB258_95:
	s_or_b64 exec, exec, s[10:11]
	v_mov_b32_e32 v18, 0
	s_and_saveexec_b64 s[6:7], s[2:3]
	s_cbranch_execz .LBB258_151
; %bb.96:
	s_sub_i32 s5, s56, s25
	s_ashr_i32 s2, s57, 31
	s_add_u32 s3, s42, s57
	s_addc_u32 s2, s43, s2
	s_abs_i32 s25, s26
	v_cvt_f32_u32_e32 v4, s25
	v_lshlrev_b32_e32 v5, 3, v11
	v_mov_b32_e32 v6, s2
	s_sub_i32 s2, 0, s25
	v_rcp_iflag_f32_e32 v7, v4
	v_add_co_u32_e32 v4, vcc, s3, v5
	v_addc_co_u32_e32 v5, vcc, 0, v6, vcc
	v_mul_f32_e32 v6, 0x4f7ffffe, v7
	v_cvt_u32_f32_e32 v6, v6
	s_add_i32 s55, s55, -1
	s_mov_b32 s8, -1
	s_mov_b32 s9, 0xffffff
	v_mul_lo_u32 v7, s2, v6
	s_lshl_b64 s[2:3], s[40:41], 2
	v_mul_hi_u32 v7, v6, v7
	s_add_u32 s2, s38, s2
	v_add_u32_e32 v19, v6, v7
	v_lshlrev_b64 v[6:7], 2, v[2:3]
	s_addc_u32 s3, s39, s3
	v_mov_b32_e32 v3, s3
	v_add_co_u32_e32 v6, vcc, s2, v6
	v_addc_co_u32_e32 v7, vcc, v3, v7, vcc
	v_mov_b32_e32 v3, 0x90
	s_mov_b32 s26, s33
	v_lshl_add_u32 v3, v13, 5, v3
	s_mov_b64 s[10:11], 0
	v_mov_b32_e32 v9, 0
	s_movk_i32 s28, 0x80
	s_movk_i32 s29, 0x7f
	s_mov_b32 s30, 0x8000
	s_movk_i32 s31, 0x380
	s_mov_b32 s36, 0x3020706
	s_mov_b32 s38, 0x1000504
	;; [unrolled: 1-line block ×3, first 2 shown]
	v_mov_b32_e32 v20, 0x2000
	v_mov_b32_e32 v18, 0
	s_branch .LBB258_99
.LBB258_97:                             ;   in Loop: Header=BB258_99 Depth=1
	s_or_b64 exec, exec, s[12:13]
	v_and_b32_e32 v14, 0xffff, v21
	v_and_b32_e32 v15, 0xffff, v23
	v_lshl_or_b32 v14, v22, 16, v14
	v_lshl_or_b32 v15, v24, 16, v15
	v_and_b32_e32 v16, 0xffff, v25
	v_and_b32_e32 v17, 0xffff, v27
	;;#ASMSTART
	v_pk_mul_f16 v12, v14, v12;

	;;#ASMEND
	;;#ASMSTART
	v_pk_mul_f16 v8, v15, v8;

	;;#ASMEND
	v_lshl_or_b32 v16, v26, 16, v16
	v_lshl_or_b32 v17, v28, 16, v17
	;;#ASMSTART
	v_pk_mul_f16 v13, v16, v13;

	;;#ASMEND
	;;#ASMSTART
	v_pk_mul_f16 v10, v17, v10;

	;;#ASMEND
	;;#ASMSTART
	v_pk_add_f16 v8, v12, v8;

	;;#ASMEND
	;;#ASMSTART
	v_pk_add_f16 v8, v8, v13;
	;; [unrolled: 4-line block ×3, first 2 shown]

	;;#ASMEND
	v_lshrrev_b32_e32 v10, 16, v8
	v_and_b32_e32 v8, 0xffff, v8
	;;#ASMSTART
	v_cvt_f32_f16 v8, v8;
	;;#ASMEND
	;;#ASMSTART
	v_cvt_f32_f16 v10, v10;
	;;#ASMEND
	v_add_f32_e32 v8, v8, v10
	v_add_f32_e32 v18, v18, v8
.LBB258_98:                             ;   in Loop: Header=BB258_99 Depth=1
	s_or_b64 exec, exec, s[2:3]
	v_add_co_u32_e32 v6, vcc, 8, v6
	v_add_u32_e32 v2, 2, v2
	v_addc_co_u32_e32 v7, vcc, 0, v7, vcc
	v_cmp_le_i32_e32 vcc, s54, v2
	v_add_u32_e32 v1, 16, v1
	s_or_b64 s[10:11], vcc, s[10:11]
	v_add_u32_e32 v3, 64, v3
	s_andn2_b64 exec, exec, s[10:11]
	s_cbranch_execz .LBB258_150
.LBB258_99:                             ; =>This Inner Loop Header: Depth=1
	v_sub_u32_e32 v10, 0, v1
	v_max_i32_e32 v10, v1, v10
	v_mul_hi_u32 v12, v10, s37
	v_mul_lo_u32 v13, v12, s15
	v_sub_u32_e32 v10, v10, v13
	v_add_u32_e32 v13, 1, v12
	v_cmp_le_u32_e32 vcc, s15, v10
	v_cndmask_b32_e32 v12, v12, v13, vcc
	v_subrev_u32_e32 v13, s15, v10
	v_cndmask_b32_e32 v10, v10, v13, vcc
	v_ashrrev_i32_e32 v8, 31, v1
	v_add_u32_e32 v13, 1, v12
	v_cmp_le_u32_e32 vcc, s15, v10
	v_xor_b32_e32 v8, s27, v8
	v_cndmask_b32_e32 v10, v12, v13, vcc
	v_xor_b32_e32 v10, v10, v8
	v_sub_u32_e32 v8, v10, v8
	v_add_u32_e32 v10, s44, v8
	v_sub_u32_e32 v13, 0, v10
	v_ashrrev_i32_e32 v12, 31, v10
	v_max_i32_e32 v10, v10, v13
	v_mul_hi_u32 v13, v10, v19
	v_mul_lo_u32 v13, v13, s25
	v_sub_u32_e32 v10, v10, v13
	v_subrev_u32_e32 v13, s25, v10
	v_cmp_le_u32_e32 vcc, s25, v10
	v_cndmask_b32_e32 v10, v10, v13, vcc
	v_subrev_u32_e32 v13, s25, v10
	v_cmp_le_u32_e32 vcc, s25, v10
	v_cndmask_b32_e32 v10, v10, v13, vcc
	v_xor_b32_e32 v10, v10, v12
	v_sub_u32_e32 v10, v10, v12
	v_cmp_eq_u32_e32 vcc, 0, v10
	v_cmp_lt_i32_e64 s[2:3], s5, v8
	s_or_b64 s[12:13], vcc, s[2:3]
	s_and_saveexec_b64 s[2:3], s[12:13]
	s_cbranch_execz .LBB258_98
; %bb.100:                              ;   in Loop: Header=BB258_99 Depth=1
	global_load_dword v8, v[6:7], off
	ds_read2_b64 v[12:15], v3 offset1:1
	ds_read2_b64 v[26:29], v3 offset0:2 offset1:3
	s_waitcnt lgkmcnt(1)
	;;#ASMSTART
	v_cvt_f16_f32 v21, v12;

	;;#ASMEND
	;;#ASMSTART
	v_cvt_f16_f32 v22, v13;

	;;#ASMEND
	;; [unrolled: 4-line block ×4, first 2 shown]
	s_waitcnt lgkmcnt(0)
	;;#ASMSTART
	v_cvt_f16_f32 v25, v26;

	;;#ASMEND
	;;#ASMSTART
	v_cvt_f16_f32 v26, v27;

	;;#ASMEND
	;; [unrolled: 4-line block ×4, first 2 shown]
	v_mov_b32_e32 v14, 0
	s_waitcnt vmcnt(0)
	v_mad_i64_i32 v[12:13], s[12:13], v8, s21, v[4:5]
	global_load_dwordx2 v[16:17], v[12:13], off
	global_load_dword v10, v9, s[18:19]
	v_mov_b32_e32 v12, 0
	s_waitcnt vmcnt(1)
	v_cmp_ne_u16_sdwa s[16:17], v16, v9 src0_sel:BYTE_0 src1_sel:DWORD
	s_and_saveexec_b64 s[12:13], s[16:17]
	s_cbranch_execz .LBB258_106
; %bb.101:                              ;   in Loop: Header=BB258_99 Depth=1
	v_cmp_ne_u16_sdwa s[22:23], v16, s28 src0_sel:BYTE_0 src1_sel:DWORD
	v_bfrev_b32_e32 v12, 1
	s_and_saveexec_b64 s[16:17], s[22:23]
	s_cbranch_execz .LBB258_105
; %bb.102:                              ;   in Loop: Header=BB258_99 Depth=1
	v_and_b32_e32 v8, 0x7f, v16
	v_cmp_ne_u32_e32 vcc, s29, v8
	v_mov_b32_e32 v12, 0x7fc02000
	s_and_saveexec_b64 s[22:23], vcc
	s_cbranch_execz .LBB258_104
; %bb.103:                              ;   in Loop: Header=BB258_99 Depth=1
	v_and_b32_e32 v12, 7, v16
	v_ffbh_u32_e32 v12, v12
	v_min_u32_e32 v12, 32, v12
	v_subrev_u32_e32 v13, 28, v12
	v_cmp_gt_u32_e32 vcc, 8, v8
	v_lshrrev_b32_e32 v15, 3, v8
	v_sub_u32_e32 v29, 29, v12
	v_cndmask_b32_e32 v8, 0, v13, vcc
	v_lshlrev_b64 v[12:13], v8, v[16:17]
	v_cndmask_b32_e32 v8, v15, v29, vcc
	v_lshlrev_b32_e32 v13, 8, v16
	v_lshl_add_u32 v8, v8, 10, v20
	v_lshlrev_b32_e32 v12, 7, v12
	v_and_or_b32 v8, v13, s30, v8
	v_and_or_b32 v8, v12, s31, v8
	v_cvt_f32_f16_e32 v12, v8
.LBB258_104:                            ;   in Loop: Header=BB258_99 Depth=1
	s_or_b64 exec, exec, s[22:23]
.LBB258_105:                            ;   in Loop: Header=BB258_99 Depth=1
	s_or_b64 exec, exec, s[16:17]
.LBB258_106:                            ;   in Loop: Header=BB258_99 Depth=1
	s_or_b64 exec, exec, s[12:13]
	v_lshrrev_b16_e32 v8, 8, v16
	v_cmp_ne_u16_e32 vcc, 0, v8
	s_and_saveexec_b64 s[12:13], vcc
	s_cbranch_execz .LBB258_112
; %bb.107:                              ;   in Loop: Header=BB258_99 Depth=1
	v_cmp_ne_u16_e32 vcc, s28, v8
	v_bfrev_b32_e32 v14, 1
	s_and_saveexec_b64 s[16:17], vcc
	s_cbranch_execz .LBB258_111
; %bb.108:                              ;   in Loop: Header=BB258_99 Depth=1
	v_and_b32_e32 v13, 0x7f, v8
	v_cmp_ne_u32_e32 vcc, s29, v13
	v_mov_b32_e32 v14, 0x7fc02000
	s_and_saveexec_b64 s[22:23], vcc
	s_cbranch_execz .LBB258_110
; %bb.109:                              ;   in Loop: Header=BB258_99 Depth=1
	v_and_b32_e32 v29, 7, v8
	v_ffbh_u32_e32 v14, v29
	v_min_u32_e32 v31, 32, v14
	v_subrev_u32_e32 v14, 28, v31
	v_lshlrev_b64 v[14:15], v14, v[8:9]
	v_lshrrev_b32_e32 v30, 3, v13
	v_sub_u32_e32 v15, 29, v31
	v_cmp_gt_u32_e32 vcc, 8, v13
	v_cndmask_b32_e32 v13, v30, v15, vcc
	v_and_b32_e32 v14, 7, v14
	v_lshlrev_b32_e32 v8, 8, v8
	v_lshl_add_u32 v13, v13, 10, v20
	v_cndmask_b32_e32 v14, v29, v14, vcc
	v_and_or_b32 v8, v8, s30, v13
	v_lshl_or_b32 v8, v14, 7, v8
	v_cvt_f32_f16_e32 v14, v8
.LBB258_110:                            ;   in Loop: Header=BB258_99 Depth=1
	s_or_b64 exec, exec, s[22:23]
.LBB258_111:                            ;   in Loop: Header=BB258_99 Depth=1
	s_or_b64 exec, exec, s[16:17]
.LBB258_112:                            ;   in Loop: Header=BB258_99 Depth=1
	s_or_b64 exec, exec, s[12:13]
	v_lshrrev_b32_e32 v8, 16, v16
	v_cmp_ne_u16_sdwa s[16:17], v8, v9 src0_sel:BYTE_0 src1_sel:DWORD
	v_mov_b32_e32 v15, 0
	v_mov_b32_e32 v13, 0
	s_and_saveexec_b64 s[12:13], s[16:17]
	s_cbranch_execz .LBB258_118
; %bb.113:                              ;   in Loop: Header=BB258_99 Depth=1
	v_cmp_ne_u16_sdwa s[22:23], v8, s28 src0_sel:BYTE_0 src1_sel:DWORD
	v_bfrev_b32_e32 v13, 1
	s_and_saveexec_b64 s[16:17], s[22:23]
	s_cbranch_execz .LBB258_117
; %bb.114:                              ;   in Loop: Header=BB258_99 Depth=1
	v_bfe_u32 v29, v16, 16, 7
	v_cmp_ne_u32_e32 vcc, s29, v29
	v_mov_b32_e32 v13, 0x7fc02000
	s_and_saveexec_b64 s[22:23], vcc
	s_cbranch_execz .LBB258_116
; %bb.115:                              ;   in Loop: Header=BB258_99 Depth=1
	v_and_b32_e32 v13, 7, v8
	v_ffbh_u32_e32 v30, v13
	v_min_u32_e32 v33, 32, v30
	v_subrev_u32_e32 v30, 28, v33
	v_lshlrev_b64 v[30:31], v30, v[8:9]
	v_lshrrev_b32_e32 v32, 3, v29
	v_sub_u32_e32 v31, 29, v33
	v_cmp_gt_u32_e32 vcc, 8, v29
	v_cndmask_b32_e32 v29, v32, v31, vcc
	v_and_b32_e32 v30, 7, v30
	v_lshlrev_b32_e32 v8, 8, v8
	v_lshl_add_u32 v29, v29, 10, v20
	v_cndmask_b32_e32 v13, v13, v30, vcc
	v_and_or_b32 v8, v8, s30, v29
	v_lshl_or_b32 v8, v13, 7, v8
	v_cvt_f32_f16_e32 v13, v8
.LBB258_116:                            ;   in Loop: Header=BB258_99 Depth=1
	s_or_b64 exec, exec, s[22:23]
.LBB258_117:                            ;   in Loop: Header=BB258_99 Depth=1
	s_or_b64 exec, exec, s[16:17]
.LBB258_118:                            ;   in Loop: Header=BB258_99 Depth=1
	s_or_b64 exec, exec, s[12:13]
	v_cmp_lt_u32_e32 vcc, s9, v16
	s_and_saveexec_b64 s[12:13], vcc
	s_cbranch_execz .LBB258_124
; %bb.119:                              ;   in Loop: Header=BB258_99 Depth=1
	v_lshrrev_b32_e32 v8, 24, v16
	v_cmp_ne_u32_e32 vcc, s28, v8
	v_bfrev_b32_e32 v15, 1
	s_and_saveexec_b64 s[16:17], vcc
	s_cbranch_execz .LBB258_123
; %bb.120:                              ;   in Loop: Header=BB258_99 Depth=1
	v_and_b32_e32 v29, 0x7f, v8
	v_cmp_ne_u32_e32 vcc, s29, v29
	v_mov_b32_e32 v15, 0x7fc02000
	s_and_saveexec_b64 s[22:23], vcc
	s_cbranch_execz .LBB258_122
; %bb.121:                              ;   in Loop: Header=BB258_99 Depth=1
	v_and_b32_e32 v15, 7, v8
	v_ffbh_u32_e32 v30, v15
	v_min_u32_e32 v33, 32, v30
	v_subrev_u32_e32 v30, 28, v33
	v_lshlrev_b64 v[30:31], v30, v[8:9]
	v_lshrrev_b32_e32 v32, 3, v29
	v_sub_u32_e32 v31, 29, v33
	v_cmp_gt_u32_e32 vcc, 8, v29
	v_cndmask_b32_e32 v29, v32, v31, vcc
	v_and_b32_e32 v30, 7, v30
	v_lshlrev_b32_e32 v8, 8, v8
	v_lshl_add_u32 v29, v29, 10, v20
	v_cndmask_b32_e32 v15, v15, v30, vcc
	v_and_or_b32 v8, v8, s30, v29
	v_lshl_or_b32 v8, v15, 7, v8
	v_cvt_f32_f16_e32 v15, v8
.LBB258_122:                            ;   in Loop: Header=BB258_99 Depth=1
	s_or_b64 exec, exec, s[22:23]
.LBB258_123:                            ;   in Loop: Header=BB258_99 Depth=1
	s_or_b64 exec, exec, s[16:17]
.LBB258_124:                            ;   in Loop: Header=BB258_99 Depth=1
	s_or_b64 exec, exec, s[12:13]
	v_mov_b32_e32 v8, v17
	v_cmp_ne_u16_sdwa s[16:17], v17, v9 src0_sel:BYTE_0 src1_sel:DWORD
	v_mov_b32_e32 v30, 0
	v_mov_b32_e32 v29, 0
	s_and_saveexec_b64 s[12:13], s[16:17]
	s_cbranch_execz .LBB258_130
; %bb.125:                              ;   in Loop: Header=BB258_99 Depth=1
	v_cmp_ne_u16_sdwa s[22:23], v17, s28 src0_sel:BYTE_0 src1_sel:DWORD
	v_bfrev_b32_e32 v29, 1
	s_and_saveexec_b64 s[16:17], s[22:23]
	s_cbranch_execz .LBB258_129
; %bb.126:                              ;   in Loop: Header=BB258_99 Depth=1
	v_and_b32_e32 v31, 0x7f, v17
	v_cmp_ne_u32_e32 vcc, s29, v31
	v_mov_b32_e32 v29, 0x7fc02000
	s_and_saveexec_b64 s[22:23], vcc
	s_cbranch_execz .LBB258_128
; %bb.127:                              ;   in Loop: Header=BB258_99 Depth=1
	v_and_b32_e32 v29, 7, v17
	v_ffbh_u32_e32 v29, v29
	v_min_u32_e32 v29, 32, v29
	v_subrev_u32_e32 v32, 28, v29
	v_cmp_gt_u32_e32 vcc, 8, v31
	v_lshrrev_b32_e32 v34, 3, v31
	v_sub_u32_e32 v29, 29, v29
	v_cndmask_b32_e32 v31, 0, v32, vcc
	v_lshlrev_b64 v[32:33], v31, v[8:9]
	v_cndmask_b32_e32 v29, v34, v29, vcc
	v_lshlrev_b32_e32 v31, 7, v32
	v_lshlrev_b32_e32 v32, 8, v17
	v_lshl_add_u32 v29, v29, 10, v20
	v_and_or_b32 v29, v32, s30, v29
	v_and_or_b32 v29, v31, s31, v29
	v_cvt_f32_f16_e32 v29, v29
.LBB258_128:                            ;   in Loop: Header=BB258_99 Depth=1
	s_or_b64 exec, exec, s[22:23]
.LBB258_129:                            ;   in Loop: Header=BB258_99 Depth=1
	s_or_b64 exec, exec, s[16:17]
.LBB258_130:                            ;   in Loop: Header=BB258_99 Depth=1
	s_or_b64 exec, exec, s[12:13]
	v_lshrrev_b16_e32 v8, 8, v8
	v_cmp_ne_u16_e32 vcc, 0, v8
	s_and_saveexec_b64 s[12:13], vcc
	s_cbranch_execz .LBB258_136
; %bb.131:                              ;   in Loop: Header=BB258_99 Depth=1
	v_cmp_ne_u16_e32 vcc, s28, v8
	v_bfrev_b32_e32 v30, 1
	s_and_saveexec_b64 s[16:17], vcc
	s_cbranch_execz .LBB258_135
; %bb.132:                              ;   in Loop: Header=BB258_99 Depth=1
	v_and_b32_e32 v31, 0x7f, v8
	v_cmp_ne_u32_e32 vcc, s29, v31
	v_mov_b32_e32 v30, 0x7fc02000
	s_and_saveexec_b64 s[22:23], vcc
	s_cbranch_execz .LBB258_134
; %bb.133:                              ;   in Loop: Header=BB258_99 Depth=1
	v_and_b32_e32 v30, 7, v8
	v_ffbh_u32_e32 v32, v30
	v_min_u32_e32 v35, 32, v32
	v_subrev_u32_e32 v32, 28, v35
	v_lshlrev_b64 v[32:33], v32, v[8:9]
	v_lshrrev_b32_e32 v34, 3, v31
	v_sub_u32_e32 v33, 29, v35
	v_cmp_gt_u32_e32 vcc, 8, v31
	v_cndmask_b32_e32 v31, v34, v33, vcc
	v_and_b32_e32 v32, 7, v32
	v_lshlrev_b32_e32 v8, 8, v8
	v_lshl_add_u32 v31, v31, 10, v20
	v_cndmask_b32_e32 v30, v30, v32, vcc
	v_and_or_b32 v8, v8, s30, v31
	v_lshl_or_b32 v8, v30, 7, v8
	v_cvt_f32_f16_e32 v30, v8
.LBB258_134:                            ;   in Loop: Header=BB258_99 Depth=1
	s_or_b64 exec, exec, s[22:23]
.LBB258_135:                            ;   in Loop: Header=BB258_99 Depth=1
	s_or_b64 exec, exec, s[16:17]
.LBB258_136:                            ;   in Loop: Header=BB258_99 Depth=1
	s_or_b64 exec, exec, s[12:13]
	v_lshrrev_b32_e32 v8, 16, v17
	v_cmp_ne_u16_sdwa s[16:17], v8, v9 src0_sel:BYTE_0 src1_sel:DWORD
	v_mov_b32_e32 v31, 0
	v_mov_b32_e32 v32, 0
	s_and_saveexec_b64 s[12:13], s[16:17]
	s_cbranch_execz .LBB258_142
; %bb.137:                              ;   in Loop: Header=BB258_99 Depth=1
	v_cmp_ne_u16_sdwa s[22:23], v8, s28 src0_sel:BYTE_0 src1_sel:DWORD
	v_bfrev_b32_e32 v32, 1
	s_and_saveexec_b64 s[16:17], s[22:23]
	s_cbranch_execz .LBB258_141
; %bb.138:                              ;   in Loop: Header=BB258_99 Depth=1
	v_bfe_u32 v33, v17, 16, 7
	v_cmp_ne_u32_e32 vcc, s29, v33
	v_mov_b32_e32 v32, 0x7fc02000
	s_and_saveexec_b64 s[22:23], vcc
	s_cbranch_execz .LBB258_140
; %bb.139:                              ;   in Loop: Header=BB258_99 Depth=1
	v_and_b32_e32 v32, 7, v8
	v_ffbh_u32_e32 v34, v32
	v_min_u32_e32 v37, 32, v34
	v_subrev_u32_e32 v34, 28, v37
	v_lshlrev_b64 v[34:35], v34, v[8:9]
	v_lshrrev_b32_e32 v36, 3, v33
	v_sub_u32_e32 v35, 29, v37
	v_cmp_gt_u32_e32 vcc, 8, v33
	v_cndmask_b32_e32 v33, v36, v35, vcc
	v_and_b32_e32 v34, 7, v34
	v_lshlrev_b32_e32 v8, 8, v8
	v_lshl_add_u32 v33, v33, 10, v20
	v_cndmask_b32_e32 v32, v32, v34, vcc
	v_and_or_b32 v8, v8, s30, v33
	v_lshl_or_b32 v8, v32, 7, v8
	v_cvt_f32_f16_e32 v32, v8
.LBB258_140:                            ;   in Loop: Header=BB258_99 Depth=1
	s_or_b64 exec, exec, s[22:23]
.LBB258_141:                            ;   in Loop: Header=BB258_99 Depth=1
	s_or_b64 exec, exec, s[16:17]
.LBB258_142:                            ;   in Loop: Header=BB258_99 Depth=1
	s_or_b64 exec, exec, s[12:13]
	v_cmp_lt_u64_e32 vcc, s[8:9], v[16:17]
	s_and_saveexec_b64 s[12:13], vcc
	s_cbranch_execz .LBB258_148
; %bb.143:                              ;   in Loop: Header=BB258_99 Depth=1
	v_lshrrev_b32_e32 v8, 24, v17
	v_cmp_ne_u32_e32 vcc, s28, v8
	v_bfrev_b32_e32 v31, 1
	s_and_saveexec_b64 s[16:17], vcc
	s_cbranch_execz .LBB258_147
; %bb.144:                              ;   in Loop: Header=BB258_99 Depth=1
	v_and_b32_e32 v16, 0x7f, v8
	v_cmp_ne_u32_e32 vcc, s29, v16
	v_mov_b32_e32 v31, 0x7fc02000
	s_and_saveexec_b64 s[22:23], vcc
	s_cbranch_execz .LBB258_146
; %bb.145:                              ;   in Loop: Header=BB258_99 Depth=1
	v_and_b32_e32 v17, 7, v8
	v_ffbh_u32_e32 v33, v17
	v_min_u32_e32 v33, 32, v33
	v_lshrrev_b32_e32 v31, 3, v16
	v_subrev_u32_e32 v34, 28, v33
	v_sub_u32_e32 v33, 29, v33
	v_cmp_gt_u32_e32 vcc, 8, v16
	v_lshlrev_b64 v[34:35], v34, v[8:9]
	v_cndmask_b32_e32 v16, v31, v33, vcc
	v_and_b32_e32 v34, 7, v34
	v_lshlrev_b32_e32 v8, 8, v8
	v_lshl_add_u32 v16, v16, 10, v20
	v_cndmask_b32_e32 v17, v17, v34, vcc
	v_and_or_b32 v8, v8, s30, v16
	v_lshl_or_b32 v8, v17, 7, v8
	v_cvt_f32_f16_e32 v31, v8
.LBB258_146:                            ;   in Loop: Header=BB258_99 Depth=1
	s_or_b64 exec, exec, s[22:23]
.LBB258_147:                            ;   in Loop: Header=BB258_99 Depth=1
	s_or_b64 exec, exec, s[16:17]
.LBB258_148:                            ;   in Loop: Header=BB258_99 Depth=1
	s_or_b64 exec, exec, s[12:13]
	s_waitcnt vmcnt(0)
	v_pk_mul_f32 v[14:15], v[10:11], v[14:15] op_sel_hi:[0,1]
	v_pk_mul_f32 v[12:13], v[10:11], v[12:13] op_sel_hi:[0,1]
	v_cvt_f16_f32_e32 v8, v15
	v_cvt_f16_f32_e32 v14, v14
	;; [unrolled: 1-line block ×4, first 2 shown]
	v_cmp_eq_u32_e32 vcc, s55, v2
	v_pack_b32_f16 v14, v14, v8
	v_pack_b32_f16 v12, v12, v13
	v_fma_mixlo_f16 v13, v10, v30, 0
	v_perm_b32 v8, v12, v14, s36
	v_perm_b32 v12, v12, v14, s38
	v_lshlrev_b32_e32 v13, 16, v13
	v_fma_mixlo_f16 v14, v10, v29, 0
	v_or_b32_sdwa v13, v13, v14 dst_sel:DWORD dst_unused:UNUSED_PAD src0_sel:DWORD src1_sel:WORD_0
	v_fma_mixlo_f16 v14, v10, v32, 0
	v_fma_mixlo_f16 v10, v10, v31, 0
	v_lshlrev_b32_e32 v10, 16, v10
	v_or_b32_sdwa v10, v10, v14 dst_sel:DWORD dst_unused:UNUSED_PAD src0_sel:DWORD src1_sel:WORD_0
	s_and_saveexec_b64 s[12:13], vcc
	s_cbranch_execz .LBB258_97
; %bb.149:                              ;   in Loop: Header=BB258_99 Depth=1
	v_add_u32_e32 v15, 1, v1
	v_lshrrev_b32_e32 v16, 16, v12
	v_cmp_gt_i32_e32 vcc, s26, v15
	v_cndmask_b32_e32 v15, 0, v16, vcc
	v_cmp_gt_i32_e32 vcc, s33, v1
	v_cndmask_b32_e32 v12, 0, v12, vcc
	v_perm_b32 v12, v15, v12, s39
	v_or_b32_e32 v15, 3, v1
	v_or_b32_e32 v16, 2, v1
	v_lshrrev_b32_e32 v17, 16, v8
	v_cmp_gt_i32_e32 vcc, s26, v15
	v_cndmask_b32_e32 v15, 0, v17, vcc
	v_cmp_gt_i32_e32 vcc, s33, v16
	v_cndmask_b32_e32 v8, 0, v8, vcc
	v_perm_b32 v8, v15, v8, s39
	v_or_b32_e32 v15, 5, v1
	v_or_b32_e32 v16, 4, v1
	;; [unrolled: 8-line block ×3, first 2 shown]
	v_lshrrev_b32_e32 v10, 16, v10
	v_cmp_gt_i32_e32 vcc, s26, v15
	v_cndmask_b32_e32 v10, 0, v10, vcc
	v_cmp_gt_i32_e32 vcc, s33, v16
	v_cndmask_b32_e32 v14, 0, v14, vcc
	v_perm_b32 v10, v10, v14, s39
	s_branch .LBB258_97
.LBB258_150:
	s_or_b64 exec, exec, s[10:11]
.LBB258_151:
	s_or_b64 exec, exec, s[6:7]
	v_and_b32_e32 v0, 0x3c0, v0
	v_cmp_eq_u32_e32 vcc, 64, v0
	s_barrier
	s_and_saveexec_b64 s[2:3], vcc
	s_cbranch_execz .LBB258_153
; %bb.152:
	v_mov_b32_e32 v0, 0x90
	v_lshl_add_u32 v0, v11, 2, v0
	ds_write_b32 v0, v18
.LBB258_153:
	s_or_b64 exec, exec, s[2:3]
	s_waitcnt lgkmcnt(0)
	s_barrier
	s_and_saveexec_b64 s[2:3], s[0:1]
	s_cbranch_execz .LBB258_155
; %bb.154:
	v_mov_b32_e32 v0, 0x90
	v_lshl_add_u32 v0, v11, 2, v0
	ds_read_b32 v0, v0
	s_waitcnt lgkmcnt(0)
	v_add_f32_e32 v18, v18, v0
.LBB258_155:
	s_or_b64 exec, exec, s[2:3]
	s_barrier
	s_and_saveexec_b64 s[2:3], s[0:1]
	s_cbranch_execz .LBB258_157
; %bb.156:
	s_lshl_b32 s0, s4, 6
	s_ashr_i32 s1, s0, 31
	s_lshl_b64 s[0:1], s[0:1], 1
	s_add_u32 s2, s34, s0
	s_mul_i32 s0, s24, s14
	s_addc_u32 s3, s35, s1
	s_ashr_i32 s1, s0, 31
	s_lshl_b64 s[0:1], s[0:1], 1
	s_add_u32 s2, s2, s0
	s_addc_u32 s3, s3, s1
	s_ashr_i32 s21, s20, 31
	s_lshl_b64 s[0:1], s[20:21], 1
	s_add_u32 s0, s2, s0
	s_addc_u32 s1, s3, s1
	v_lshlrev_b32_e32 v0, 1, v11
	;;#ASMSTART
	v_cvt_f16_f32 v1, v18;

	;;#ASMEND
	global_store_short v0, v1, s[0:1]
.LBB258_157:
	s_endpgm
	.section	.rodata,"a",@progbits
	.p2align	6, 0x0
	.amdhsa_kernel _ZN4vllm25paged_attention_v2_kernelIthLi64ELi8ELi128ELNS_18Fp8KVCacheDataTypeE1ELb1ELi512EEEvPfS2_PT_PKS3_PKT0_S9_ifPKiSB_iPKfiiiSD_SD_iiiii
		.amdhsa_group_segment_fixed_size 144
		.amdhsa_private_segment_fixed_size 0
		.amdhsa_kernarg_size 400
		.amdhsa_user_sgpr_count 6
		.amdhsa_user_sgpr_private_segment_buffer 1
		.amdhsa_user_sgpr_dispatch_ptr 0
		.amdhsa_user_sgpr_queue_ptr 0
		.amdhsa_user_sgpr_kernarg_segment_ptr 1
		.amdhsa_user_sgpr_dispatch_id 0
		.amdhsa_user_sgpr_flat_scratch_init 0
		.amdhsa_user_sgpr_kernarg_preload_length 0
		.amdhsa_user_sgpr_kernarg_preload_offset 0
		.amdhsa_user_sgpr_private_segment_size 0
		.amdhsa_uses_dynamic_stack 0
		.amdhsa_system_sgpr_private_segment_wavefront_offset 0
		.amdhsa_system_sgpr_workgroup_id_x 1
		.amdhsa_system_sgpr_workgroup_id_y 1
		.amdhsa_system_sgpr_workgroup_id_z 1
		.amdhsa_system_sgpr_workgroup_info 0
		.amdhsa_system_vgpr_workitem_id 0
		.amdhsa_next_free_vgpr 41
		.amdhsa_next_free_sgpr 64
		.amdhsa_accum_offset 44
		.amdhsa_reserve_vcc 1
		.amdhsa_reserve_flat_scratch 0
		.amdhsa_float_round_mode_32 0
		.amdhsa_float_round_mode_16_64 0
		.amdhsa_float_denorm_mode_32 3
		.amdhsa_float_denorm_mode_16_64 3
		.amdhsa_dx10_clamp 1
		.amdhsa_ieee_mode 1
		.amdhsa_fp16_overflow 0
		.amdhsa_tg_split 0
		.amdhsa_exception_fp_ieee_invalid_op 0
		.amdhsa_exception_fp_denorm_src 0
		.amdhsa_exception_fp_ieee_div_zero 0
		.amdhsa_exception_fp_ieee_overflow 0
		.amdhsa_exception_fp_ieee_underflow 0
		.amdhsa_exception_fp_ieee_inexact 0
		.amdhsa_exception_int_div_zero 0
	.end_amdhsa_kernel
	.section	.text._ZN4vllm25paged_attention_v2_kernelIthLi64ELi8ELi128ELNS_18Fp8KVCacheDataTypeE1ELb1ELi512EEEvPfS2_PT_PKS3_PKT0_S9_ifPKiSB_iPKfiiiSD_SD_iiiii,"axG",@progbits,_ZN4vllm25paged_attention_v2_kernelIthLi64ELi8ELi128ELNS_18Fp8KVCacheDataTypeE1ELb1ELi512EEEvPfS2_PT_PKS3_PKT0_S9_ifPKiSB_iPKfiiiSD_SD_iiiii,comdat
.Lfunc_end258:
	.size	_ZN4vllm25paged_attention_v2_kernelIthLi64ELi8ELi128ELNS_18Fp8KVCacheDataTypeE1ELb1ELi512EEEvPfS2_PT_PKS3_PKT0_S9_ifPKiSB_iPKfiiiSD_SD_iiiii, .Lfunc_end258-_ZN4vllm25paged_attention_v2_kernelIthLi64ELi8ELi128ELNS_18Fp8KVCacheDataTypeE1ELb1ELi512EEEvPfS2_PT_PKS3_PKT0_S9_ifPKiSB_iPKfiiiSD_SD_iiiii
                                        ; -- End function
	.section	.AMDGPU.csdata,"",@progbits
; Kernel info:
; codeLenInByte = 7544
; NumSgprs: 68
; NumVgprs: 41
; NumAgprs: 0
; TotalNumVgprs: 41
; ScratchSize: 0
; MemoryBound: 0
; FloatMode: 240
; IeeeMode: 1
; LDSByteSize: 144 bytes/workgroup (compile time only)
; SGPRBlocks: 8
; VGPRBlocks: 5
; NumSGPRsForWavesPerEU: 68
; NumVGPRsForWavesPerEU: 41
; AccumOffset: 44
; Occupancy: 8
; WaveLimiterHint : 1
; COMPUTE_PGM_RSRC2:SCRATCH_EN: 0
; COMPUTE_PGM_RSRC2:USER_SGPR: 6
; COMPUTE_PGM_RSRC2:TRAP_HANDLER: 0
; COMPUTE_PGM_RSRC2:TGID_X_EN: 1
; COMPUTE_PGM_RSRC2:TGID_Y_EN: 1
; COMPUTE_PGM_RSRC2:TGID_Z_EN: 1
; COMPUTE_PGM_RSRC2:TIDIG_COMP_CNT: 0
; COMPUTE_PGM_RSRC3_GFX90A:ACCUM_OFFSET: 10
; COMPUTE_PGM_RSRC3_GFX90A:TG_SPLIT: 0
	.section	.text._ZN4vllm25paged_attention_v2_kernelIthLi80ELi8ELi128ELNS_18Fp8KVCacheDataTypeE1ELb1ELi512EEEvPfS2_PT_PKS3_PKT0_S9_ifPKiSB_iPKfiiiSD_SD_iiiii,"axG",@progbits,_ZN4vllm25paged_attention_v2_kernelIthLi80ELi8ELi128ELNS_18Fp8KVCacheDataTypeE1ELb1ELi512EEEvPfS2_PT_PKS3_PKT0_S9_ifPKiSB_iPKfiiiSD_SD_iiiii,comdat
	.protected	_ZN4vllm25paged_attention_v2_kernelIthLi80ELi8ELi128ELNS_18Fp8KVCacheDataTypeE1ELb1ELi512EEEvPfS2_PT_PKS3_PKT0_S9_ifPKiSB_iPKfiiiSD_SD_iiiii ; -- Begin function _ZN4vllm25paged_attention_v2_kernelIthLi80ELi8ELi128ELNS_18Fp8KVCacheDataTypeE1ELb1ELi512EEEvPfS2_PT_PKS3_PKT0_S9_ifPKiSB_iPKfiiiSD_SD_iiiii
	.globl	_ZN4vllm25paged_attention_v2_kernelIthLi80ELi8ELi128ELNS_18Fp8KVCacheDataTypeE1ELb1ELi512EEEvPfS2_PT_PKS3_PKT0_S9_ifPKiSB_iPKfiiiSD_SD_iiiii
	.p2align	8
	.type	_ZN4vllm25paged_attention_v2_kernelIthLi80ELi8ELi128ELNS_18Fp8KVCacheDataTypeE1ELb1ELi512EEEvPfS2_PT_PKS3_PKT0_S9_ifPKiSB_iPKfiiiSD_SD_iiiii,@function
_ZN4vllm25paged_attention_v2_kernelIthLi80ELi8ELi128ELNS_18Fp8KVCacheDataTypeE1ELb1ELi512EEEvPfS2_PT_PKS3_PKT0_S9_ifPKiSB_iPKfiiiSD_SD_iiiii: ; @_ZN4vllm25paged_attention_v2_kernelIthLi80ELi8ELi128ELNS_18Fp8KVCacheDataTypeE1ELb1ELi512EEEvPfS2_PT_PKS3_PKT0_S9_ifPKiSB_iPKfiiiSD_SD_iiiii
; %bb.0:
	s_load_dwordx2 s[0:1], s[4:5], 0x40
	s_mov_b32 s36, s7
	s_ashr_i32 s37, s7, 31
	s_lshl_b64 s[2:3], s[36:37], 2
	s_waitcnt lgkmcnt(0)
	s_add_u32 s0, s0, s2
	s_addc_u32 s1, s1, s3
	s_load_dword s33, s[0:1], 0x0
	s_lshl_b32 s57, s8, 9
	s_waitcnt lgkmcnt(0)
	s_cmp_ge_i32 s57, s33
	s_cbranch_scc1 .LBB259_225
; %bb.1:
	s_load_dword s9, s[4:5], 0x90
	s_load_dwordx2 s[44:45], s[4:5], 0x30
	s_waitcnt lgkmcnt(0)
	s_abs_i32 s2, s9
	s_abs_i32 s0, s44
	v_cvt_f32_u32_e32 v1, s0
	s_sub_i32 s3, 0, s0
	s_xor_b32 s1, s9, s44
	s_ashr_i32 s1, s1, 31
	v_rcp_iflag_f32_e32 v1, v1
	v_mul_f32_e32 v1, 0x4f7ffffe, v1
	v_cvt_u32_f32_e32 v1, v1
	v_readfirstlane_b32 s7, v1
	s_mul_i32 s3, s3, s7
	s_mul_hi_u32 s3, s7, s3
	s_add_i32 s7, s7, s3
	s_mul_hi_u32 s3, s2, s7
	s_mul_i32 s7, s3, s0
	s_sub_i32 s2, s2, s7
	s_add_i32 s10, s3, 1
	s_sub_i32 s7, s2, s0
	s_cmp_ge_u32 s2, s0
	s_cselect_b32 s3, s10, s3
	s_cselect_b32 s2, s7, s2
	s_add_i32 s7, s3, 1
	s_cmp_ge_u32 s2, s0
	s_cselect_b32 s0, s7, s3
	s_xor_b32 s0, s0, s1
	s_sub_i32 s2, s0, s1
	s_abs_i32 s10, s2
	v_cvt_f32_u32_e32 v1, s10
	s_load_dwordx2 s[0:1], s[4:5], 0x50
	s_sub_i32 s3, 0, s10
	s_abs_i32 s11, s6
	v_rcp_iflag_f32_e32 v1, v1
	s_mov_b32 s7, 0
	v_mul_f32_e32 v1, 0x4f7ffffe, v1
	v_cvt_u32_f32_e32 v1, v1
	v_readfirstlane_b32 s12, v1
	s_mul_i32 s3, s3, s12
	s_mul_hi_u32 s3, s12, s3
	s_add_i32 s12, s12, s3
	s_waitcnt lgkmcnt(0)
	s_cmp_eq_u64 s[0:1], 0
	s_mul_hi_u32 s12, s11, s12
	s_cbranch_scc1 .LBB259_3
; %bb.2:
	s_ashr_i32 s7, s6, 31
	s_lshl_b64 s[14:15], s[6:7], 2
	s_add_u32 s0, s0, s14
	s_addc_u32 s1, s1, s15
	s_load_dword s7, s[0:1], 0x0
.LBB259_3:
	s_load_dwordx4 s[20:23], s[4:5], 0x58
	s_movk_i32 s0, 0x50
	s_ashr_i32 s13, s6, 31
	s_ashr_i32 s16, s2, 31
	v_and_b32_e32 v4, 7, v0
	s_mul_i32 s14, s6, 0x50
	v_cmp_gt_u32_e64 s[0:1], s0, v0
	v_lshlrev_b32_e32 v1, 1, v0
	s_and_saveexec_b64 s[2:3], s[0:1]
	s_cbranch_execz .LBB259_5
; %bb.4:
	s_load_dwordx2 s[18:19], s[4:5], 0x18
	s_waitcnt lgkmcnt(0)
	s_mul_i32 s24, s36, s20
	s_ashr_i32 s25, s24, 31
	s_lshl_b64 s[24:25], s[24:25], 1
	v_lshrrev_b32_e32 v3, 2, v0
	s_add_u32 s17, s18, s24
	s_addc_u32 s20, s19, s25
	s_ashr_i32 s15, s14, 31
	s_lshl_b64 s[18:19], s[14:15], 1
	s_add_u32 s18, s17, s18
	s_addc_u32 s19, s20, s19
	global_load_ushort v2, v1, s[18:19]
	v_and_b32_e32 v3, 0xfe, v3
	v_mad_u32_u24 v3, v4, 20, v3
	s_waitcnt vmcnt(0)
	ds_write_b16 v3, v2
.LBB259_5:
	s_or_b64 exec, exec, s[2:3]
	s_mul_i32 s3, s12, s10
	s_sub_i32 s3, s11, s3
	s_xor_b32 s2, s13, s16
	s_add_i32 s11, s12, 1
	s_sub_i32 s13, s3, s10
	s_load_dwordx4 s[24:27], s[4:5], 0x78
	s_cmp_ge_u32 s3, s10
	s_cselect_b32 s11, s11, s12
	s_cselect_b32 s3, s13, s3
	s_load_dword s13, s[4:5], 0x88
	s_add_i32 s12, s11, 1
	s_cmp_ge_u32 s3, s10
	s_cselect_b32 s3, s12, s11
	s_waitcnt lgkmcnt(0)
	s_abs_i32 s37, s27
	v_cvt_f32_u32_e32 v2, s37
	s_xor_b32 s3, s3, s2
	s_sub_i32 s10, s3, s2
	s_sub_i32 s2, 0, s37
	v_rcp_iflag_f32_e32 v2, v2
	s_add_i32 s15, s33, -1
	s_abs_i32 s11, s15
	v_mul_f32_e32 v2, 0x4f7ffffe, v2
	v_cvt_u32_f32_e32 v2, v2
	s_barrier
	v_readfirstlane_b32 s54, v2
	s_mul_i32 s2, s2, s54
	s_mul_hi_u32 s2, s54, s2
	s_add_i32 s54, s54, s2
	s_cmp_lt_i32 s13, 0
	s_mul_hi_u32 s12, s11, s54
	s_cbranch_scc0 .LBB259_7
; %bb.6:
	s_mul_i32 s2, s24, s44
	s_add_i32 s2, s10, s2
	s_mul_i32 s2, s2, s13
	s_sub_i32 s44, 1, s2
	s_mov_b64 s[2:3], 0
	s_branch .LBB259_8
.LBB259_7:
	s_mov_b64 s[2:3], -1
                                        ; implicit-def: $sgpr44
.LBB259_8:
	s_load_dwordx2 s[38:39], s[4:5], 0x38
	s_ashr_i32 s20, s15, 31
	s_andn2_b64 vcc, exec, s[2:3]
	s_ashr_i32 s55, s27, 31
	s_cbranch_vccnz .LBB259_10
; %bb.9:
	s_mul_i32 s2, s9, s24
	s_add_i32 s2, s2, s6
	s_mul_i32 s2, s2, s13
	s_add_i32 s44, s2, 1
.LBB259_10:
	s_load_dwordx2 s[42:43], s[4:5], 0x28
	s_load_dword s2, s[4:5], 0x48
	s_load_dwordx4 s[28:31], s[4:5], 0x0
	s_load_dwordx2 s[34:35], s[4:5], 0x10
	s_load_dword s15, s[4:5], 0x98
	s_load_dwordx4 s[16:19], s[4:5], 0x68
	s_mul_i32 s3, s12, s37
	s_waitcnt lgkmcnt(0)
	s_mul_i32 s40, s36, s2
	s_sub_i32 s3, s11, s3
	s_ashr_i32 s41, s40, 31
	s_xor_b32 s2, s20, s55
	s_add_i32 s11, s12, 1
	s_sub_i32 s13, s3, s37
	s_cmp_ge_u32 s3, s37
	s_cselect_b32 s11, s11, s12
	s_cselect_b32 s3, s13, s3
	s_add_i32 s12, s11, 1
	s_cmp_ge_u32 s3, s37
	s_cselect_b32 s3, s12, s11
	s_xor_b32 s3, s3, s2
	s_sub_i32 s24, s3, s2
	s_add_i32 s2, s33, 7
	s_ashr_i32 s3, s2, 31
	s_lshr_b32 s3, s3, 29
	s_add_i32 s2, s2, s3
	s_lshl_b32 s58, s8, 6
	s_ashr_i32 s20, s2, 3
	s_add_i32 s2, s58, 64
	v_lshrrev_b32_e32 v14, 6, v0
	s_min_i32 s56, s2, s20
	v_or_b32_e32 v2, s58, v14
	v_cmp_gt_i32_e64 s[2:3], s56, v2
	v_mov_b32_e32 v17, 0xff7fffff
	s_mul_i32 s27, s10, s22
	v_ashrrev_i32_e32 v3, 31, v2
	v_lshl_add_u32 v24, v14, 3, s57
	v_mbcnt_lo_u32_b32 v5, -1, 0
	s_and_saveexec_b64 s[22:23], s[2:3]
	s_cbranch_execz .LBB259_80
; %bb.11:
	s_load_dwordx2 s[4:5], s[4:5], 0x20
	s_sub_i32 s59, s24, s25
	s_ashr_i32 s10, s27, 31
	v_bfe_u32 v13, v0, 3, 3
	v_lshlrev_b32_e32 v7, 4, v13
	s_waitcnt lgkmcnt(0)
	s_add_u32 s4, s4, s27
	s_addc_u32 s5, s5, s10
	s_abs_i32 s61, s26
	v_cvt_f32_u32_e32 v6, s61
	v_mov_b32_e32 v8, s5
	s_sub_i32 s10, 0, s61
	v_cmp_eq_u32_e32 vcc, 0, v4
	v_rcp_iflag_f32_e32 v9, v6
	v_add_co_u32_e64 v6, s[4:5], s4, v7
	v_addc_co_u32_e64 v7, s[4:5], 0, v8, s[4:5]
	v_mul_f32_e32 v8, 0x4f7ffffe, v9
	v_cvt_u32_f32_e32 v8, v8
	s_mov_b32 s60, s21
	v_mov_b32_e32 v15, 0
	v_mul_u32_u24_e32 v16, 20, v4
	v_mul_lo_u32 v9, s10, v8
	s_lshl_b64 s[10:11], s[40:41], 2
	v_mul_hi_u32 v9, v8, v9
	s_add_u32 s10, s38, s10
	v_add_u32_e32 v18, v8, v9
	v_lshlrev_b64 v[8:9], 2, v[2:3]
	s_addc_u32 s11, s39, s11
	v_mov_b32_e32 v10, s11
	v_add_co_u32_e64 v8, s[10:11], s10, v8
	v_addc_co_u32_e64 v9, s[10:11], v10, v9, s[10:11]
	v_lshlrev_b32_e32 v10, 2, v13
	v_lshl_or_b32 v10, v14, 5, v10
	v_add_u32_e32 v20, 0xb0, v10
	v_subrev_u32_e32 v10, s33, v13
	v_cmp_neq_f32_e64 s[4:5], s7, 0
	v_lshl_add_u32 v19, v14, 3, s57
	v_add_u32_e32 v21, 1, v10
	s_mov_b64 s[46:47], 0
	v_mov_b32_e32 v22, 0xff7fffff
	s_movk_i32 s62, 0x80
	s_movk_i32 s63, 0x7f
	v_bfrev_b32_e32 v23, 60
	v_mbcnt_hi_u32_b32 v25, -1, v5
	v_mov_b32_e32 v17, 0xff7fffff
	v_mov_b32_e32 v26, v2
	s_branch .LBB259_14
.LBB259_12:                             ;   in Loop: Header=BB259_14 Depth=1
	s_or_b64 exec, exec, s[48:49]
.LBB259_13:                             ;   in Loop: Header=BB259_14 Depth=1
	s_or_b64 exec, exec, s[12:13]
	v_add_co_u32_e64 v8, s[10:11], 8, v8
	v_add_u32_e32 v26, 2, v26
	v_addc_co_u32_e64 v9, s[10:11], 0, v9, s[10:11]
	v_cmp_le_i32_e64 s[10:11], s56, v26
	v_add_u32_e32 v19, 16, v19
	s_or_b64 s[46:47], s[10:11], s[46:47]
	v_add_u32_e32 v20, 64, v20
	s_andn2_b64 exec, exec, s[46:47]
	s_cbranch_execz .LBB259_79
.LBB259_14:                             ; =>This Inner Loop Header: Depth=1
	s_waitcnt lgkmcnt(0)
	v_sub_u32_e32 v11, 0, v19
	v_max_i32_e32 v11, v19, v11
	v_mul_hi_u32 v12, v11, s54
	v_mul_lo_u32 v27, v12, s37
	v_sub_u32_e32 v11, v11, v27
	v_add_u32_e32 v27, 1, v12
	v_cmp_le_u32_e64 s[10:11], s37, v11
	v_cndmask_b32_e64 v12, v12, v27, s[10:11]
	v_subrev_u32_e32 v27, s37, v11
	v_cndmask_b32_e64 v11, v11, v27, s[10:11]
	v_ashrrev_i32_e32 v10, 31, v19
	v_add_u32_e32 v27, 1, v12
	v_cmp_le_u32_e64 s[10:11], s37, v11
	v_xor_b32_e32 v10, s55, v10
	v_cndmask_b32_e64 v11, v12, v27, s[10:11]
	v_xor_b32_e32 v11, v11, v10
	v_sub_u32_e32 v10, v11, v10
	v_add_u32_e32 v11, s44, v10
	v_sub_u32_e32 v27, 0, v11
	v_ashrrev_i32_e32 v12, 31, v11
	v_max_i32_e32 v11, v11, v27
	v_mul_hi_u32 v27, v11, v18
	v_mul_lo_u32 v27, v27, s61
	v_sub_u32_e32 v11, v11, v27
	v_subrev_u32_e32 v27, s61, v11
	v_cmp_le_u32_e64 s[10:11], s61, v11
	v_cndmask_b32_e64 v11, v11, v27, s[10:11]
	v_subrev_u32_e32 v27, s61, v11
	v_cmp_le_u32_e64 s[10:11], s61, v11
	v_cndmask_b32_e64 v11, v11, v27, s[10:11]
	v_xor_b32_e32 v11, v11, v12
	v_sub_u32_e32 v11, v11, v12
	v_cmp_ne_u32_e64 s[10:11], 0, v11
	v_cmp_ge_i32_e64 s[12:13], s59, v10
	s_and_b64 s[10:11], s[10:11], s[12:13]
	s_and_b64 s[48:49], vcc, s[10:11]
	s_and_saveexec_b64 s[12:13], s[48:49]
	s_cbranch_execz .LBB259_16
; %bb.15:                               ;   in Loop: Header=BB259_14 Depth=1
	ds_write_b32 v20, v22
.LBB259_16:                             ;   in Loop: Header=BB259_14 Depth=1
	s_or_b64 exec, exec, s[12:13]
	s_xor_b64 s[10:11], s[10:11], -1
	s_and_saveexec_b64 s[12:13], s[10:11]
	s_cbranch_execz .LBB259_13
; %bb.17:                               ;   in Loop: Header=BB259_14 Depth=1
	global_load_dword v10, v[8:9], off
	v_mov_b32_e32 v28, 0
	v_mov_b32_e32 v29, 0
	s_waitcnt vmcnt(0)
	v_mad_i64_i32 v[10:11], s[10:11], v10, s60, v[6:7]
	v_add_co_u32_e64 v10, s[10:11], v10, v4
	v_addc_co_u32_e64 v11, s[10:11], 0, v11, s[10:11]
	global_load_ubyte v30, v[10:11], off
	global_load_dword v27, v15, s[16:17]
	s_waitcnt vmcnt(1)
	v_cmp_ne_u16_e64 s[10:11], 0, v30
	s_and_saveexec_b64 s[48:49], s[10:11]
	s_cbranch_execz .LBB259_23
; %bb.18:                               ;   in Loop: Header=BB259_14 Depth=1
	v_cmp_ne_u16_e64 s[10:11], s62, v30
	v_bfrev_b32_e32 v29, 1
	s_and_saveexec_b64 s[50:51], s[10:11]
	s_cbranch_execz .LBB259_22
; %bb.19:                               ;   in Loop: Header=BB259_14 Depth=1
	v_and_b32_e32 v12, 0xffff, v30
	v_and_b32_e32 v31, 0x7f, v12
	v_cmp_ne_u32_e64 s[10:11], s63, v31
	v_mov_b32_e32 v29, 0x7f800001
	s_and_saveexec_b64 s[52:53], s[10:11]
	s_cbranch_execz .LBB259_21
; %bb.20:                               ;   in Loop: Header=BB259_14 Depth=1
	v_and_b32_e32 v29, 7, v12
	v_ffbh_u32_e32 v32, v29
	v_min_u32_e32 v35, 32, v32
	v_subrev_u32_e32 v32, 28, v35
	v_lshlrev_b64 v[32:33], v32, v[12:13]
	v_lshrrev_b32_e32 v34, 3, v31
	v_sub_u32_e32 v12, 29, v35
	v_and_b32_e32 v32, 7, v32
	v_cmp_gt_u32_e64 s[10:11], 8, v31
	v_cndmask_b32_e64 v12, v34, v12, s[10:11]
	v_cndmask_b32_e64 v29, v29, v32, s[10:11]
	v_lshlrev_b32_e32 v30, 24, v30
	v_lshlrev_b32_e32 v29, 20, v29
	v_and_b32_e32 v30, 0x80000000, v30
	v_lshl_add_u32 v12, v12, 23, v23
	v_or3_b32 v29, v30, v12, v29
.LBB259_21:                             ;   in Loop: Header=BB259_14 Depth=1
	s_or_b64 exec, exec, s[52:53]
.LBB259_22:                             ;   in Loop: Header=BB259_14 Depth=1
	s_or_b64 exec, exec, s[50:51]
.LBB259_23:                             ;   in Loop: Header=BB259_14 Depth=1
	s_or_b64 exec, exec, s[48:49]
	global_load_ubyte v30, v[10:11], off offset:8
	s_waitcnt vmcnt(0)
	v_cmp_ne_u16_e64 s[10:11], 0, v30
	s_and_saveexec_b64 s[48:49], s[10:11]
	s_cbranch_execz .LBB259_29
; %bb.24:                               ;   in Loop: Header=BB259_14 Depth=1
	v_cmp_ne_u16_e64 s[10:11], s62, v30
	v_bfrev_b32_e32 v28, 1
	s_and_saveexec_b64 s[50:51], s[10:11]
	s_cbranch_execz .LBB259_28
; %bb.25:                               ;   in Loop: Header=BB259_14 Depth=1
	v_and_b32_e32 v12, 0xffff, v30
	v_and_b32_e32 v31, 0x7f, v12
	v_cmp_ne_u32_e64 s[10:11], s63, v31
	v_mov_b32_e32 v28, 0x7f800001
	s_and_saveexec_b64 s[52:53], s[10:11]
	s_cbranch_execz .LBB259_27
; %bb.26:                               ;   in Loop: Header=BB259_14 Depth=1
	v_and_b32_e32 v28, 7, v12
	v_ffbh_u32_e32 v32, v28
	v_min_u32_e32 v35, 32, v32
	v_subrev_u32_e32 v32, 28, v35
	v_lshlrev_b64 v[32:33], v32, v[12:13]
	v_lshrrev_b32_e32 v34, 3, v31
	v_sub_u32_e32 v12, 29, v35
	v_and_b32_e32 v32, 7, v32
	v_cmp_gt_u32_e64 s[10:11], 8, v31
	v_cndmask_b32_e64 v12, v34, v12, s[10:11]
	v_cndmask_b32_e64 v28, v28, v32, s[10:11]
	v_lshlrev_b32_e32 v30, 24, v30
	v_lshlrev_b32_e32 v28, 20, v28
	v_and_b32_e32 v30, 0x80000000, v30
	v_lshl_add_u32 v12, v12, 23, v23
	v_or3_b32 v28, v30, v12, v28
.LBB259_27:                             ;   in Loop: Header=BB259_14 Depth=1
	s_or_b64 exec, exec, s[52:53]
.LBB259_28:                             ;   in Loop: Header=BB259_14 Depth=1
	s_or_b64 exec, exec, s[50:51]
.LBB259_29:                             ;   in Loop: Header=BB259_14 Depth=1
	s_or_b64 exec, exec, s[48:49]
	global_load_ubyte v32, v[10:11], off offset:128
	v_mov_b32_e32 v30, 0
	v_mov_b32_e32 v31, 0
	s_waitcnt vmcnt(0)
	v_cmp_ne_u16_e64 s[10:11], 0, v32
	s_and_saveexec_b64 s[48:49], s[10:11]
	s_cbranch_execz .LBB259_35
; %bb.30:                               ;   in Loop: Header=BB259_14 Depth=1
	v_cmp_ne_u16_e64 s[10:11], s62, v32
	v_bfrev_b32_e32 v31, 1
	s_and_saveexec_b64 s[50:51], s[10:11]
	s_cbranch_execz .LBB259_34
; %bb.31:                               ;   in Loop: Header=BB259_14 Depth=1
	v_and_b32_e32 v12, 0xffff, v32
	v_and_b32_e32 v33, 0x7f, v12
	v_cmp_ne_u32_e64 s[10:11], s63, v33
	v_mov_b32_e32 v31, 0x7f800001
	s_and_saveexec_b64 s[52:53], s[10:11]
	s_cbranch_execz .LBB259_33
; %bb.32:                               ;   in Loop: Header=BB259_14 Depth=1
	v_and_b32_e32 v31, 7, v12
	v_ffbh_u32_e32 v34, v31
	v_min_u32_e32 v37, 32, v34
	v_subrev_u32_e32 v34, 28, v37
	v_lshlrev_b64 v[34:35], v34, v[12:13]
	v_lshrrev_b32_e32 v36, 3, v33
	v_sub_u32_e32 v12, 29, v37
	v_and_b32_e32 v34, 7, v34
	v_cmp_gt_u32_e64 s[10:11], 8, v33
	v_cndmask_b32_e64 v12, v36, v12, s[10:11]
	v_cndmask_b32_e64 v31, v31, v34, s[10:11]
	v_lshlrev_b32_e32 v32, 24, v32
	v_lshlrev_b32_e32 v31, 20, v31
	v_and_b32_e32 v32, 0x80000000, v32
	v_lshl_add_u32 v12, v12, 23, v23
	v_or3_b32 v31, v32, v12, v31
.LBB259_33:                             ;   in Loop: Header=BB259_14 Depth=1
	s_or_b64 exec, exec, s[52:53]
.LBB259_34:                             ;   in Loop: Header=BB259_14 Depth=1
	s_or_b64 exec, exec, s[50:51]
.LBB259_35:                             ;   in Loop: Header=BB259_14 Depth=1
	s_or_b64 exec, exec, s[48:49]
	global_load_ubyte v32, v[10:11], off offset:136
	s_waitcnt vmcnt(0)
	v_cmp_ne_u16_e64 s[10:11], 0, v32
	s_and_saveexec_b64 s[48:49], s[10:11]
	s_cbranch_execz .LBB259_41
; %bb.36:                               ;   in Loop: Header=BB259_14 Depth=1
	v_cmp_ne_u16_e64 s[10:11], s62, v32
	v_bfrev_b32_e32 v30, 1
	s_and_saveexec_b64 s[50:51], s[10:11]
	s_cbranch_execz .LBB259_40
; %bb.37:                               ;   in Loop: Header=BB259_14 Depth=1
	v_and_b32_e32 v12, 0xffff, v32
	v_and_b32_e32 v33, 0x7f, v12
	v_cmp_ne_u32_e64 s[10:11], s63, v33
	v_mov_b32_e32 v30, 0x7f800001
	s_and_saveexec_b64 s[52:53], s[10:11]
	s_cbranch_execz .LBB259_39
; %bb.38:                               ;   in Loop: Header=BB259_14 Depth=1
	v_and_b32_e32 v30, 7, v12
	v_ffbh_u32_e32 v34, v30
	v_min_u32_e32 v37, 32, v34
	v_subrev_u32_e32 v34, 28, v37
	v_lshlrev_b64 v[34:35], v34, v[12:13]
	v_lshrrev_b32_e32 v36, 3, v33
	v_sub_u32_e32 v12, 29, v37
	v_and_b32_e32 v34, 7, v34
	v_cmp_gt_u32_e64 s[10:11], 8, v33
	v_cndmask_b32_e64 v12, v36, v12, s[10:11]
	v_cndmask_b32_e64 v30, v30, v34, s[10:11]
	v_lshlrev_b32_e32 v32, 24, v32
	v_lshlrev_b32_e32 v30, 20, v30
	v_and_b32_e32 v32, 0x80000000, v32
	v_lshl_add_u32 v12, v12, 23, v23
	v_or3_b32 v30, v32, v12, v30
.LBB259_39:                             ;   in Loop: Header=BB259_14 Depth=1
	s_or_b64 exec, exec, s[52:53]
.LBB259_40:                             ;   in Loop: Header=BB259_14 Depth=1
	s_or_b64 exec, exec, s[50:51]
.LBB259_41:                             ;   in Loop: Header=BB259_14 Depth=1
	s_or_b64 exec, exec, s[48:49]
	global_load_ubyte v34, v[10:11], off offset:256
	v_mov_b32_e32 v32, 0
	v_mov_b32_e32 v33, 0
	s_waitcnt vmcnt(0)
	v_cmp_ne_u16_e64 s[10:11], 0, v34
	s_and_saveexec_b64 s[48:49], s[10:11]
	s_cbranch_execz .LBB259_47
; %bb.42:                               ;   in Loop: Header=BB259_14 Depth=1
	v_cmp_ne_u16_e64 s[10:11], s62, v34
	v_bfrev_b32_e32 v33, 1
	s_and_saveexec_b64 s[50:51], s[10:11]
	s_cbranch_execz .LBB259_46
; %bb.43:                               ;   in Loop: Header=BB259_14 Depth=1
	v_and_b32_e32 v12, 0xffff, v34
	v_and_b32_e32 v35, 0x7f, v12
	v_cmp_ne_u32_e64 s[10:11], s63, v35
	v_mov_b32_e32 v33, 0x7f800001
	s_and_saveexec_b64 s[52:53], s[10:11]
	s_cbranch_execz .LBB259_45
; %bb.44:                               ;   in Loop: Header=BB259_14 Depth=1
	v_and_b32_e32 v33, 7, v12
	v_ffbh_u32_e32 v36, v33
	v_min_u32_e32 v39, 32, v36
	v_subrev_u32_e32 v36, 28, v39
	v_lshlrev_b64 v[36:37], v36, v[12:13]
	v_lshrrev_b32_e32 v38, 3, v35
	v_sub_u32_e32 v12, 29, v39
	v_and_b32_e32 v36, 7, v36
	v_cmp_gt_u32_e64 s[10:11], 8, v35
	v_cndmask_b32_e64 v12, v38, v12, s[10:11]
	v_cndmask_b32_e64 v33, v33, v36, s[10:11]
	v_lshlrev_b32_e32 v34, 24, v34
	v_lshlrev_b32_e32 v33, 20, v33
	v_and_b32_e32 v34, 0x80000000, v34
	v_lshl_add_u32 v12, v12, 23, v23
	v_or3_b32 v33, v34, v12, v33
.LBB259_45:                             ;   in Loop: Header=BB259_14 Depth=1
	s_or_b64 exec, exec, s[52:53]
.LBB259_46:                             ;   in Loop: Header=BB259_14 Depth=1
	s_or_b64 exec, exec, s[50:51]
.LBB259_47:                             ;   in Loop: Header=BB259_14 Depth=1
	s_or_b64 exec, exec, s[48:49]
	global_load_ubyte v34, v[10:11], off offset:264
	s_waitcnt vmcnt(0)
	v_cmp_ne_u16_e64 s[10:11], 0, v34
	s_and_saveexec_b64 s[48:49], s[10:11]
	s_cbranch_execz .LBB259_53
; %bb.48:                               ;   in Loop: Header=BB259_14 Depth=1
	v_cmp_ne_u16_e64 s[10:11], s62, v34
	v_bfrev_b32_e32 v32, 1
	s_and_saveexec_b64 s[50:51], s[10:11]
	s_cbranch_execz .LBB259_52
; %bb.49:                               ;   in Loop: Header=BB259_14 Depth=1
	v_and_b32_e32 v12, 0xffff, v34
	v_and_b32_e32 v35, 0x7f, v12
	v_cmp_ne_u32_e64 s[10:11], s63, v35
	v_mov_b32_e32 v32, 0x7f800001
	s_and_saveexec_b64 s[52:53], s[10:11]
	s_cbranch_execz .LBB259_51
; %bb.50:                               ;   in Loop: Header=BB259_14 Depth=1
	v_and_b32_e32 v32, 7, v12
	v_ffbh_u32_e32 v36, v32
	v_min_u32_e32 v39, 32, v36
	v_subrev_u32_e32 v36, 28, v39
	v_lshlrev_b64 v[36:37], v36, v[12:13]
	v_lshrrev_b32_e32 v38, 3, v35
	v_sub_u32_e32 v12, 29, v39
	v_and_b32_e32 v36, 7, v36
	v_cmp_gt_u32_e64 s[10:11], 8, v35
	v_cndmask_b32_e64 v12, v38, v12, s[10:11]
	v_cndmask_b32_e64 v32, v32, v36, s[10:11]
	v_lshlrev_b32_e32 v34, 24, v34
	v_lshlrev_b32_e32 v32, 20, v32
	v_and_b32_e32 v34, 0x80000000, v34
	v_lshl_add_u32 v12, v12, 23, v23
	v_or3_b32 v32, v34, v12, v32
.LBB259_51:                             ;   in Loop: Header=BB259_14 Depth=1
	s_or_b64 exec, exec, s[52:53]
.LBB259_52:                             ;   in Loop: Header=BB259_14 Depth=1
	s_or_b64 exec, exec, s[50:51]
.LBB259_53:                             ;   in Loop: Header=BB259_14 Depth=1
	s_or_b64 exec, exec, s[48:49]
	global_load_ubyte v36, v[10:11], off offset:384
	v_mov_b32_e32 v34, 0
	v_mov_b32_e32 v35, 0
	s_waitcnt vmcnt(0)
	v_cmp_ne_u16_e64 s[10:11], 0, v36
	s_and_saveexec_b64 s[48:49], s[10:11]
	s_cbranch_execz .LBB259_59
; %bb.54:                               ;   in Loop: Header=BB259_14 Depth=1
	v_cmp_ne_u16_e64 s[10:11], s62, v36
	v_bfrev_b32_e32 v35, 1
	s_and_saveexec_b64 s[50:51], s[10:11]
	s_cbranch_execz .LBB259_58
; %bb.55:                               ;   in Loop: Header=BB259_14 Depth=1
	v_and_b32_e32 v12, 0xffff, v36
	v_and_b32_e32 v37, 0x7f, v12
	v_cmp_ne_u32_e64 s[10:11], s63, v37
	v_mov_b32_e32 v35, 0x7f800001
	s_and_saveexec_b64 s[52:53], s[10:11]
	s_cbranch_execz .LBB259_57
; %bb.56:                               ;   in Loop: Header=BB259_14 Depth=1
	v_and_b32_e32 v35, 7, v12
	v_ffbh_u32_e32 v38, v35
	v_min_u32_e32 v41, 32, v38
	v_subrev_u32_e32 v38, 28, v41
	v_lshlrev_b64 v[38:39], v38, v[12:13]
	v_lshrrev_b32_e32 v40, 3, v37
	v_sub_u32_e32 v12, 29, v41
	v_and_b32_e32 v38, 7, v38
	v_cmp_gt_u32_e64 s[10:11], 8, v37
	v_cndmask_b32_e64 v12, v40, v12, s[10:11]
	v_cndmask_b32_e64 v35, v35, v38, s[10:11]
	v_lshlrev_b32_e32 v36, 24, v36
	v_lshlrev_b32_e32 v35, 20, v35
	v_and_b32_e32 v36, 0x80000000, v36
	v_lshl_add_u32 v12, v12, 23, v23
	v_or3_b32 v35, v36, v12, v35
.LBB259_57:                             ;   in Loop: Header=BB259_14 Depth=1
	s_or_b64 exec, exec, s[52:53]
.LBB259_58:                             ;   in Loop: Header=BB259_14 Depth=1
	s_or_b64 exec, exec, s[50:51]
.LBB259_59:                             ;   in Loop: Header=BB259_14 Depth=1
	s_or_b64 exec, exec, s[48:49]
	global_load_ubyte v36, v[10:11], off offset:392
	s_waitcnt vmcnt(0)
	v_cmp_ne_u16_e64 s[10:11], 0, v36
	s_and_saveexec_b64 s[48:49], s[10:11]
	s_cbranch_execz .LBB259_65
; %bb.60:                               ;   in Loop: Header=BB259_14 Depth=1
	v_cmp_ne_u16_e64 s[10:11], s62, v36
	v_bfrev_b32_e32 v34, 1
	s_and_saveexec_b64 s[50:51], s[10:11]
	s_cbranch_execz .LBB259_64
; %bb.61:                               ;   in Loop: Header=BB259_14 Depth=1
	v_and_b32_e32 v12, 0xffff, v36
	v_and_b32_e32 v37, 0x7f, v12
	v_cmp_ne_u32_e64 s[10:11], s63, v37
	v_mov_b32_e32 v34, 0x7f800001
	s_and_saveexec_b64 s[52:53], s[10:11]
	s_cbranch_execz .LBB259_63
; %bb.62:                               ;   in Loop: Header=BB259_14 Depth=1
	v_and_b32_e32 v34, 7, v12
	v_ffbh_u32_e32 v38, v34
	v_min_u32_e32 v41, 32, v38
	v_subrev_u32_e32 v38, 28, v41
	v_lshlrev_b64 v[38:39], v38, v[12:13]
	v_lshrrev_b32_e32 v40, 3, v37
	v_sub_u32_e32 v12, 29, v41
	v_and_b32_e32 v38, 7, v38
	v_cmp_gt_u32_e64 s[10:11], 8, v37
	v_cndmask_b32_e64 v12, v40, v12, s[10:11]
	v_cndmask_b32_e64 v34, v34, v38, s[10:11]
	v_lshlrev_b32_e32 v36, 24, v36
	v_lshlrev_b32_e32 v34, 20, v34
	v_and_b32_e32 v36, 0x80000000, v36
	v_lshl_add_u32 v12, v12, 23, v23
	v_or3_b32 v34, v36, v12, v34
.LBB259_63:                             ;   in Loop: Header=BB259_14 Depth=1
	s_or_b64 exec, exec, s[52:53]
.LBB259_64:                             ;   in Loop: Header=BB259_14 Depth=1
	s_or_b64 exec, exec, s[50:51]
.LBB259_65:                             ;   in Loop: Header=BB259_14 Depth=1
	s_or_b64 exec, exec, s[48:49]
	global_load_ubyte v38, v[10:11], off offset:512
	v_mov_b32_e32 v36, 0
	v_mov_b32_e32 v37, 0
	s_waitcnt vmcnt(0)
	v_cmp_ne_u16_e64 s[10:11], 0, v38
	s_and_saveexec_b64 s[48:49], s[10:11]
	s_cbranch_execz .LBB259_71
; %bb.66:                               ;   in Loop: Header=BB259_14 Depth=1
	v_cmp_ne_u16_e64 s[10:11], s62, v38
	v_bfrev_b32_e32 v37, 1
	s_and_saveexec_b64 s[50:51], s[10:11]
	s_cbranch_execz .LBB259_70
; %bb.67:                               ;   in Loop: Header=BB259_14 Depth=1
	v_and_b32_e32 v12, 0xffff, v38
	v_and_b32_e32 v39, 0x7f, v12
	v_cmp_ne_u32_e64 s[10:11], s63, v39
	v_mov_b32_e32 v37, 0x7f800001
	s_and_saveexec_b64 s[52:53], s[10:11]
	s_cbranch_execz .LBB259_69
; %bb.68:                               ;   in Loop: Header=BB259_14 Depth=1
	v_and_b32_e32 v37, 7, v12
	v_ffbh_u32_e32 v40, v37
	v_min_u32_e32 v43, 32, v40
	v_subrev_u32_e32 v40, 28, v43
	v_lshlrev_b64 v[40:41], v40, v[12:13]
	v_lshrrev_b32_e32 v42, 3, v39
	v_sub_u32_e32 v12, 29, v43
	v_and_b32_e32 v40, 7, v40
	v_cmp_gt_u32_e64 s[10:11], 8, v39
	v_cndmask_b32_e64 v12, v42, v12, s[10:11]
	v_cndmask_b32_e64 v37, v37, v40, s[10:11]
	v_lshlrev_b32_e32 v38, 24, v38
	v_lshlrev_b32_e32 v37, 20, v37
	v_and_b32_e32 v38, 0x80000000, v38
	v_lshl_add_u32 v12, v12, 23, v23
	v_or3_b32 v37, v38, v12, v37
.LBB259_69:                             ;   in Loop: Header=BB259_14 Depth=1
	s_or_b64 exec, exec, s[52:53]
.LBB259_70:                             ;   in Loop: Header=BB259_14 Depth=1
	s_or_b64 exec, exec, s[50:51]
.LBB259_71:                             ;   in Loop: Header=BB259_14 Depth=1
	s_or_b64 exec, exec, s[48:49]
	global_load_ubyte v11, v[10:11], off offset:520
	s_waitcnt vmcnt(0)
	v_cmp_ne_u16_e64 s[10:11], 0, v11
	s_and_saveexec_b64 s[48:49], s[10:11]
	s_cbranch_execz .LBB259_77
; %bb.72:                               ;   in Loop: Header=BB259_14 Depth=1
	v_cmp_ne_u16_e64 s[10:11], s62, v11
	v_bfrev_b32_e32 v36, 1
	s_and_saveexec_b64 s[50:51], s[10:11]
	s_cbranch_execz .LBB259_76
; %bb.73:                               ;   in Loop: Header=BB259_14 Depth=1
	v_and_b32_e32 v10, 0xffff, v11
	v_and_b32_e32 v12, 0x7f, v10
	v_cmp_ne_u32_e64 s[10:11], s63, v12
	v_mov_b32_e32 v36, 0x7f800001
	s_and_saveexec_b64 s[52:53], s[10:11]
	s_cbranch_execz .LBB259_75
; %bb.74:                               ;   in Loop: Header=BB259_14 Depth=1
	v_and_b32_e32 v36, 7, v10
	v_ffbh_u32_e32 v38, v36
	v_min_u32_e32 v41, 32, v38
	v_subrev_u32_e32 v38, 28, v41
	v_lshlrev_b64 v[38:39], v38, v[10:11]
	v_lshrrev_b32_e32 v40, 3, v12
	v_sub_u32_e32 v10, 29, v41
	v_and_b32_e32 v38, 7, v38
	v_cmp_gt_u32_e64 s[10:11], 8, v12
	v_cndmask_b32_e64 v10, v40, v10, s[10:11]
	v_cndmask_b32_e64 v12, v36, v38, s[10:11]
	v_lshlrev_b32_e32 v11, 24, v11
	v_lshlrev_b32_e32 v12, 20, v12
	v_and_b32_e32 v11, 0x80000000, v11
	v_lshl_add_u32 v10, v10, 23, v23
	v_or3_b32 v36, v11, v10, v12
.LBB259_75:                             ;   in Loop: Header=BB259_14 Depth=1
	s_or_b64 exec, exec, s[52:53]
.LBB259_76:                             ;   in Loop: Header=BB259_14 Depth=1
	s_or_b64 exec, exec, s[50:51]
.LBB259_77:                             ;   in Loop: Header=BB259_14 Depth=1
	s_or_b64 exec, exec, s[48:49]
	v_fma_mixlo_f16 v11, v27, v29, 0
	ds_read_u16 v10, v16
	v_and_b32_e32 v11, 0xffff, v11
	s_waitcnt lgkmcnt(0)
	;;#ASMSTART
	v_cvt_f32_f16 v10, v10;
	;;#ASMEND
	;;#ASMSTART
	v_cvt_f32_f16 v11, v11;
	;;#ASMEND
	ds_read_u16 v12, v16 offset:2
	v_fma_mixlo_f16 v28, v27, v28, 0
	v_and_b32_e32 v28, 0xffff, v28
	s_waitcnt lgkmcnt(0)
	;;#ASMSTART
	v_cvt_f32_f16 v12, v12;
	;;#ASMEND
	;;#ASMSTART
	v_cvt_f32_f16 v28, v28;
	;;#ASMEND
	v_fma_mixlo_f16 v31, v27, v31, 0
	v_mul_f32_e32 v12, v12, v28
	ds_read_u16 v29, v16 offset:4
	v_and_b32_e32 v31, 0xffff, v31
	v_fma_mixlo_f16 v30, v27, v30, 0
	v_fmac_f32_e32 v12, v10, v11
	s_waitcnt lgkmcnt(0)
	;;#ASMSTART
	v_cvt_f32_f16 v29, v29;
	;;#ASMEND
	;;#ASMSTART
	v_cvt_f32_f16 v31, v31;
	;;#ASMEND
	ds_read_u16 v38, v16 offset:6
	v_and_b32_e32 v30, 0xffff, v30
	v_fma_mixlo_f16 v33, v27, v33, 0
	v_fmac_f32_e32 v12, v29, v31
	s_waitcnt lgkmcnt(0)
	;;#ASMSTART
	v_cvt_f32_f16 v38, v38;
	;;#ASMEND
	;;#ASMSTART
	v_cvt_f32_f16 v30, v30;
	;;#ASMEND
	;; [unrolled: 11-line block ×4, first 2 shown]
	ds_read_u16 v41, v16 offset:12
	v_and_b32_e32 v35, 0xffff, v35
	v_fma_mixlo_f16 v37, v27, v37, 0
	v_fma_mixlo_f16 v34, v27, v34, 0
	v_fmac_f32_e32 v12, v40, v32
	s_waitcnt lgkmcnt(0)
	;;#ASMSTART
	v_cvt_f32_f16 v41, v41;
	;;#ASMEND
	;;#ASMSTART
	v_cvt_f32_f16 v35, v35;
	;;#ASMEND
	v_and_b32_e32 v34, 0xffff, v34
	v_and_b32_e32 v11, 0xffff, v37
	v_fmac_f32_e32 v12, v41, v35
	ds_read_u16 v42, v16 offset:14
	v_fma_mixlo_f16 v27, v27, v36, 0
	s_waitcnt lgkmcnt(0)
	;;#ASMSTART
	v_cvt_f32_f16 v28, v42;
	;;#ASMEND
	;;#ASMSTART
	v_cvt_f32_f16 v34, v34;
	;;#ASMEND
	ds_read_u16 v36, v16 offset:16
	s_waitcnt lgkmcnt(0)
	;;#ASMSTART
	v_cvt_f32_f16 v10, v36;
	;;#ASMEND
	;;#ASMSTART
	v_cvt_f32_f16 v11, v11;
	;;#ASMEND
	v_fmac_f32_e32 v12, v28, v34
	ds_read_u16 v29, v16 offset:18
	v_fmac_f32_e32 v12, v10, v11
	s_waitcnt lgkmcnt(0)
	;;#ASMSTART
	v_cvt_f32_f16 v10, v29;
	;;#ASMEND
	v_and_b32_e32 v11, 0xffff, v27
	;;#ASMSTART
	v_cvt_f32_f16 v11, v11;
	;;#ASMEND
	v_fmac_f32_e32 v12, v10, v11
	v_and_b32_e32 v10, 64, v25
	v_add_u32_e32 v11, 64, v10
	v_xor_b32_e32 v10, 4, v25
	v_cmp_lt_i32_e64 s[10:11], v10, v11
	v_cndmask_b32_e64 v10, v25, v10, s[10:11]
	v_lshlrev_b32_e32 v10, 2, v10
	ds_bpermute_b32 v10, v10, v12
	s_waitcnt lgkmcnt(0)
	v_add_f32_e32 v10, v12, v10
	v_xor_b32_e32 v12, 2, v25
	v_cmp_lt_i32_e64 s[10:11], v12, v11
	v_cndmask_b32_e64 v12, v25, v12, s[10:11]
	v_lshlrev_b32_e32 v12, 2, v12
	ds_bpermute_b32 v12, v12, v10
	s_waitcnt lgkmcnt(0)
	v_add_f32_e32 v10, v10, v12
	v_xor_b32_e32 v12, 1, v25
	v_cmp_lt_i32_e64 s[10:11], v12, v11
	v_cndmask_b32_e64 v11, v25, v12, s[10:11]
	v_lshlrev_b32_e32 v11, 2, v11
	ds_bpermute_b32 v11, v11, v10
	s_and_saveexec_b64 s[48:49], vcc
	s_cbranch_execz .LBB259_12
; %bb.78:                               ;   in Loop: Header=BB259_14 Depth=1
	v_add_u32_e32 v12, v21, v19
	v_cvt_f32_i32_e32 v12, v12
	s_waitcnt lgkmcnt(0)
	v_add_f32_e32 v10, v10, v11
	v_add_u32_e32 v27, v13, v19
	v_cmp_gt_i32_e64 s[10:11], s33, v27
	v_mul_f32_e32 v11, s7, v12
	v_cndmask_b32_e64 v11, 0, v11, s[4:5]
	v_fmac_f32_e32 v11, s45, v10
	v_cndmask_b32_e64 v10, 0, v11, s[10:11]
	ds_write_b32 v20, v10
	v_max_f32_e32 v10, v17, v17
	v_max_f32_e32 v10, v10, v11
	v_cndmask_b32_e64 v17, v17, v10, s[10:11]
	s_branch .LBB259_12
.LBB259_79:
	s_or_b64 exec, exec, s[46:47]
.LBB259_80:
	s_or_b64 exec, exec, s[22:23]
	v_mbcnt_hi_u32_b32 v4, -1, v5
	v_and_b32_e32 v5, 64, v4
	v_add_u32_e32 v5, 64, v5
	v_xor_b32_e32 v6, 32, v4
	v_cmp_lt_i32_e32 vcc, v6, v5
	v_cndmask_b32_e32 v6, v4, v6, vcc
	v_lshlrev_b32_e32 v9, 2, v6
	ds_bpermute_b32 v6, v9, v17
	v_xor_b32_e32 v8, 16, v4
	v_max_f32_e32 v7, v17, v17
	v_cmp_lt_i32_e32 vcc, v8, v5
	s_waitcnt lgkmcnt(0)
	v_max_f32_e32 v6, v6, v6
	v_max_f32_e32 v6, v7, v6
	v_cndmask_b32_e32 v7, v4, v8, vcc
	v_lshlrev_b32_e32 v11, 2, v7
	ds_bpermute_b32 v7, v11, v6
	v_xor_b32_e32 v8, 8, v4
	v_cmp_lt_i32_e32 vcc, v8, v5
	s_waitcnt lgkmcnt(0)
	v_max_f32_e32 v7, v7, v7
	v_max_f32_e32 v6, v6, v7
	v_cndmask_b32_e32 v7, v4, v8, vcc
	v_lshlrev_b32_e32 v12, 2, v7
	ds_bpermute_b32 v10, v12, v6
	v_and_b32_e32 v7, 63, v0
	v_cmp_eq_u32_e32 vcc, 0, v7
	v_lshlrev_b32_e32 v8, 2, v14
	s_and_saveexec_b64 s[4:5], vcc
	s_cbranch_execz .LBB259_82
; %bb.81:
	s_waitcnt lgkmcnt(0)
	v_max_f32_e32 v10, v10, v10
	v_max_f32_e32 v6, v6, v6
	v_max_f32_e32 v6, v6, v10
	ds_write_b32 v8, v6 offset:160
.LBB259_82:
	s_or_b64 exec, exec, s[4:5]
	v_cmp_gt_u32_e64 s[4:5], 2, v7
	v_mov_b32_e32 v6, 0xff7fffff
	s_waitcnt lgkmcnt(0)
	v_lshlrev_b32_e32 v10, 2, v7
	s_barrier
	s_and_saveexec_b64 s[10:11], s[4:5]
	s_cbranch_execz .LBB259_84
; %bb.83:
	ds_read_b32 v6, v10 offset:160
.LBB259_84:
	s_or_b64 exec, exec, s[10:11]
	v_xor_b32_e32 v13, 1, v4
	v_cmp_lt_i32_e64 s[10:11], v13, v5
	v_cndmask_b32_e64 v13, v4, v13, s[10:11]
	v_lshlrev_b32_e32 v13, 2, v13
	s_waitcnt lgkmcnt(0)
	ds_bpermute_b32 v15, v13, v6
	v_max_f32_e32 v6, v6, v6
	s_sub_i32 s7, s56, s58
	s_lshl_b32 s7, s7, 3
	s_add_i32 s7, s7, s57
	s_waitcnt lgkmcnt(0)
	v_max_f32_e32 v15, v15, v15
	v_max_f32_e32 v6, v6, v15
	v_lshlrev_b32_e32 v15, 2, v4
	v_and_b32_e32 v15, 0x100, v15
	ds_bpermute_b32 v6, v15, v6
	s_min_i32 s45, s7, s33
	s_sub_i32 s7, s45, s57
	v_cmp_gt_i32_e64 s[10:11], s7, v0
	v_mov_b32_e32 v16, 0
	s_and_saveexec_b64 s[16:17], s[10:11]
	s_cbranch_execz .LBB259_88
; %bb.85:
	v_mov_b32_e32 v16, 0xb0
	v_lshl_add_u32 v17, v0, 2, v16
	s_mov_b64 s[22:23], 0
	v_mov_b32_e32 v16, 0
	v_mov_b32_e32 v18, v0
.LBB259_86:                             ; =>This Inner Loop Header: Depth=1
	ds_read_b32 v19, v17
	v_add_u32_e32 v18, 0x80, v18
	v_cmp_le_i32_e64 s[12:13], s7, v18
	s_or_b64 s[22:23], s[12:13], s[22:23]
	s_waitcnt lgkmcnt(0)
	v_sub_f32_e32 v19, v19, v6
	v_mul_f32_e32 v19, 0x3fb8aa3b, v19
	v_exp_f32_e32 v19, v19
	ds_write_b32 v17, v19
	v_add_f32_e32 v16, v16, v19
	v_add_u32_e32 v17, 0x200, v17
	s_andn2_b64 exec, exec, s[22:23]
	s_cbranch_execnz .LBB259_86
; %bb.87:
	s_or_b64 exec, exec, s[22:23]
.LBB259_88:
	s_or_b64 exec, exec, s[16:17]
	ds_bpermute_b32 v9, v9, v16
	s_waitcnt lgkmcnt(0)
	v_add_f32_e32 v9, v16, v9
	ds_bpermute_b32 v11, v11, v9
	s_waitcnt lgkmcnt(0)
	v_add_f32_e32 v9, v9, v11
	ds_bpermute_b32 v11, v12, v9
	v_xor_b32_e32 v12, 4, v4
	v_cmp_lt_i32_e64 s[12:13], v12, v5
	v_cndmask_b32_e64 v12, v4, v12, s[12:13]
	v_lshlrev_b32_e32 v12, 2, v12
	s_waitcnt lgkmcnt(0)
	v_add_f32_e32 v9, v9, v11
	ds_bpermute_b32 v11, v12, v9
	v_xor_b32_e32 v12, 2, v4
	v_cmp_lt_i32_e64 s[12:13], v12, v5
	v_cndmask_b32_e64 v4, v4, v12, s[12:13]
	v_lshlrev_b32_e32 v4, 2, v4
	s_waitcnt lgkmcnt(0)
	v_add_f32_e32 v5, v9, v11
	ds_bpermute_b32 v4, v4, v5
	s_waitcnt lgkmcnt(0)
	v_add_f32_e32 v4, v5, v4
	ds_bpermute_b32 v5, v13, v4
	s_waitcnt lgkmcnt(0)
	v_add_f32_e32 v4, v4, v5
	s_and_saveexec_b64 s[12:13], vcc
	s_cbranch_execz .LBB259_90
; %bb.89:
	ds_write_b32 v8, v4 offset:168
.LBB259_90:
	s_or_b64 exec, exec, s[12:13]
	s_waitcnt lgkmcnt(0)
	s_barrier
	s_and_saveexec_b64 s[12:13], s[4:5]
	s_cbranch_execz .LBB259_92
; %bb.91:
	ds_read_b32 v4, v10 offset:168
.LBB259_92:
	s_or_b64 exec, exec, s[12:13]
	s_waitcnt lgkmcnt(0)
	ds_bpermute_b32 v5, v13, v4
	s_waitcnt lgkmcnt(0)
	v_add_f32_e32 v4, v4, v5
	ds_bpermute_b32 v8, v15, v4
	s_and_saveexec_b64 s[4:5], s[10:11]
	s_cbranch_execz .LBB259_105
; %bb.93:
	s_waitcnt lgkmcnt(0)
	v_add_f32_e32 v4, 0x358637bd, v8
	v_div_scale_f32 v5, s[10:11], v4, v4, 1.0
	v_rcp_f32_e32 v9, v5
	v_div_scale_f32 v10, vcc, 1.0, v4, 1.0
	s_movk_i32 s10, 0x7f
	v_fma_f32 v11, -v5, v9, 1.0
	v_fmac_f32_e32 v9, v11, v9
	v_mul_f32_e32 v11, v10, v9
	v_fma_f32 v12, -v5, v11, v10
	v_fmac_f32_e32 v11, v12, v9
	v_fma_f32 v5, -v5, v11, v10
	v_div_fmas_f32 v5, v5, v9, v11
	v_div_fixup_f32 v4, v5, v4, 1.0
	v_xad_u32 v5, v0, -1, s45
	v_subrev_u32_e32 v9, s57, v5
	v_cmp_lt_u32_e32 vcc, s10, v9
	s_mov_b64 s[12:13], -1
	v_mov_b32_e32 v5, v0
	s_and_saveexec_b64 s[10:11], vcc
	s_cbranch_execz .LBB259_102
; %bb.94:
	v_lshrrev_b32_e32 v9, 7, v9
	v_add_u32_e32 v11, -1, v9
	v_lshrrev_b32_e32 v10, 1, v11
	v_mov_b32_e32 v5, v4
	v_add_u32_e32 v10, 1, v10
	v_cmp_lt_u32_e32 vcc, 13, v11
	v_mov_b32_e32 v13, 0
	s_and_saveexec_b64 s[12:13], vcc
	s_cbranch_execz .LBB259_98
; %bb.95:
	v_mov_b32_e32 v12, 0xb0
	v_and_b32_e32 v11, -8, v10
	v_lshl_add_u32 v12, v0, 2, v12
	s_mov_b32 s22, 0
	s_mov_b64 s[16:17], 0
.LBB259_96:                             ; =>This Inner Loop Header: Depth=1
	ds_read2st64_b32 v[16:17], v12 offset1:2
	ds_read2st64_b32 v[18:19], v12 offset0:4 offset1:6
	ds_read2st64_b32 v[20:21], v12 offset0:8 offset1:10
	;; [unrolled: 1-line block ×3, first 2 shown]
	v_add_u32_e32 v11, -8, v11
	s_waitcnt lgkmcnt(3)
	v_pk_mul_f32 v[16:17], v[4:5], v[16:17]
	s_waitcnt lgkmcnt(2)
	v_pk_mul_f32 v[18:19], v[4:5], v[18:19]
	ds_write2st64_b32 v12, v16, v17 offset1:2
	ds_write2st64_b32 v12, v18, v19 offset0:4 offset1:6
	ds_read2st64_b32 v[18:19], v12 offset0:16 offset1:18
	s_waitcnt lgkmcnt(4)
	v_pk_mul_f32 v[16:17], v[4:5], v[20:21]
	ds_write2st64_b32 v12, v16, v17 offset0:8 offset1:10
	s_waitcnt lgkmcnt(4)
	v_pk_mul_f32 v[16:17], v[4:5], v[22:23]
	ds_write2st64_b32 v12, v16, v17 offset0:12 offset1:14
	ds_read2st64_b32 v[16:17], v12 offset0:20 offset1:22
	s_waitcnt lgkmcnt(3)
	v_pk_mul_f32 v[18:19], v[4:5], v[18:19]
	ds_read2st64_b32 v[20:21], v12 offset0:24 offset1:26
	ds_write2st64_b32 v12, v18, v19 offset0:16 offset1:18
	ds_read2st64_b32 v[18:19], v12 offset0:28 offset1:30
	s_waitcnt lgkmcnt(3)
	v_pk_mul_f32 v[16:17], v[4:5], v[16:17]
	ds_write2st64_b32 v12, v16, v17 offset0:20 offset1:22
	s_waitcnt lgkmcnt(3)
	v_pk_mul_f32 v[16:17], v[4:5], v[20:21]
	ds_write2st64_b32 v12, v16, v17 offset0:24 offset1:26
	s_waitcnt lgkmcnt(2)
	v_pk_mul_f32 v[16:17], v[4:5], v[18:19]
	s_add_i32 s22, s22, 16
	v_cmp_eq_u32_e32 vcc, 0, v11
	ds_write2st64_b32 v12, v16, v17 offset0:28 offset1:30
	v_add_u32_e32 v12, 0x2000, v12
	s_or_b64 s[16:17], vcc, s[16:17]
	v_mov_b32_e32 v13, s22
	s_andn2_b64 exec, exec, s[16:17]
	s_cbranch_execnz .LBB259_96
; %bb.97:
	s_or_b64 exec, exec, s[16:17]
.LBB259_98:
	s_or_b64 exec, exec, s[12:13]
	v_and_b32_e32 v10, 7, v10
	v_cmp_ne_u32_e32 vcc, 0, v10
	s_and_saveexec_b64 s[12:13], vcc
	s_cbranch_execz .LBB259_101
; %bb.99:
	v_lshlrev_b32_e32 v11, 9, v13
	v_lshlrev_b32_e32 v12, 2, v0
	s_movk_i32 s16, 0xb0
	v_add3_u32 v11, v11, v12, s16
	s_mov_b64 s[16:17], 0
.LBB259_100:                            ; =>This Inner Loop Header: Depth=1
	ds_read2st64_b32 v[12:13], v11 offset1:2
	v_add_u32_e32 v10, -1, v10
	v_cmp_eq_u32_e32 vcc, 0, v10
	s_or_b64 s[16:17], vcc, s[16:17]
	s_waitcnt lgkmcnt(0)
	v_pk_mul_f32 v[12:13], v[4:5], v[12:13]
	ds_write2st64_b32 v11, v12, v13 offset1:2
	v_add_u32_e32 v11, 0x400, v11
	s_andn2_b64 exec, exec, s[16:17]
	s_cbranch_execnz .LBB259_100
.LBB259_101:
	s_or_b64 exec, exec, s[12:13]
	v_add_u32_e32 v9, 1, v9
	v_and_b32_e32 v10, 0x3fffffe, v9
	v_cmp_ne_u32_e32 vcc, v9, v10
	v_lshl_add_u32 v5, v10, 7, v0
	s_orn2_b64 s[12:13], vcc, exec
.LBB259_102:
	s_or_b64 exec, exec, s[10:11]
	s_and_b64 exec, exec, s[12:13]
	s_cbranch_execz .LBB259_105
; %bb.103:
	v_mov_b32_e32 v9, 0xb0
	v_lshl_add_u32 v9, v5, 2, v9
	s_mov_b64 s[10:11], 0
.LBB259_104:                            ; =>This Inner Loop Header: Depth=1
	ds_read_b32 v10, v9
	v_add_u32_e32 v5, 0x80, v5
	v_cmp_le_i32_e32 vcc, s7, v5
	s_or_b64 s[10:11], vcc, s[10:11]
	s_waitcnt lgkmcnt(0)
	v_mul_f32_e32 v10, v4, v10
	ds_write_b32 v9, v10
	v_add_u32_e32 v9, 0x200, v9
	s_andn2_b64 exec, exec, s[10:11]
	s_cbranch_execnz .LBB259_104
.LBB259_105:
	s_or_b64 exec, exec, s[4:5]
	s_mul_i32 s5, s15, s36
	s_mov_b32 s4, 0
	v_cmp_eq_u32_e32 vcc, 0, v0
	s_mul_i32 s10, s5, s9
	s_waitcnt lgkmcnt(0)
	s_barrier
	s_and_saveexec_b64 s[12:13], vcc
	s_cbranch_execz .LBB259_107
; %bb.106:
	s_ashr_i32 s11, s10, 31
	s_lshl_b64 s[16:17], s[10:11], 2
	s_add_u32 s5, s30, s16
	s_mul_i32 s6, s15, s6
	s_addc_u32 s9, s31, s17
	s_ashr_i32 s7, s6, 31
	s_lshl_b64 s[6:7], s[6:7], 2
	s_add_u32 s5, s5, s6
	s_addc_u32 s11, s9, s7
	s_ashr_i32 s9, s8, 31
	s_lshl_b64 s[22:23], s[8:9], 2
	s_add_u32 s30, s5, s22
	s_addc_u32 s31, s11, s23
	s_add_u32 s5, s28, s16
	s_addc_u32 s9, s29, s17
	s_add_u32 s5, s5, s6
	s_addc_u32 s7, s9, s7
	s_add_u32 s6, s5, s22
	v_mov_b32_e32 v4, 0
	s_addc_u32 s7, s7, s23
	global_store_dword v4, v6, s[30:31]
	global_store_dword v4, v8, s[6:7]
.LBB259_107:
	s_or_b64 exec, exec, s[12:13]
	s_mov_b32 s5, s4
	v_pk_mov_b32 v[4:5], s[4:5], s[4:5] op_sel:[0,1]
	s_and_saveexec_b64 s[6:7], s[2:3]
	s_cbranch_execz .LBB259_215
; %bb.108:
	s_sub_i32 s9, s24, s25
	s_ashr_i32 s2, s27, 31
	s_add_u32 s12, s42, s27
	s_addc_u32 s13, s43, s2
	s_abs_i32 s42, s26
	v_cvt_f32_u32_e32 v4, s42
	v_or_b32_e32 v5, 64, v7
	s_movk_i32 s2, 0x50
	v_cmp_gt_u32_e32 vcc, s2, v5
	v_rcp_iflag_f32_e32 v4, v4
	s_sub_i32 s2, 0, s42
	s_add_i32 s36, s20, -1
	v_lshlrev_b32_e32 v10, 3, v5
	v_mul_f32_e32 v4, 0x4f7ffffe, v4
	v_cvt_u32_f32_e32 v4, v4
	s_mov_b32 s16, -1
	s_mov_b32 s5, s4
	s_mov_b32 s11, s21
	v_mul_lo_u32 v5, s2, v4
	s_lshl_b64 s[2:3], s[40:41], 2
	v_mul_hi_u32 v5, v4, v5
	s_add_u32 s2, s38, s2
	v_add_u32_e32 v11, v4, v5
	v_lshlrev_b64 v[4:5], 2, v[2:3]
	s_addc_u32 s3, s39, s3
	v_mov_b32_e32 v3, s3
	v_add_co_u32_e64 v12, s[2:3], s2, v4
	v_addc_co_u32_e64 v13, s[2:3], v3, v5, s[2:3]
	v_mov_b32_e32 v3, 0xb0
	s_mov_b32 s17, 0xffffff
	v_lshlrev_b32_e32 v6, 3, v7
	v_mov_b32_e32 v9, 0
	s_mov_b32 s43, s33
	v_lshl_add_u32 v3, v14, 5, v3
	s_mov_b64 s[20:21], 0
	v_pk_mov_b32 v[4:5], s[4:5], s[4:5] op_sel:[0,1]
	s_movk_i32 s38, 0x80
	s_movk_i32 s39, 0x7f
	s_mov_b32 s40, 0x8000
	s_movk_i32 s41, 0x380
	s_mov_b32 s45, 0x3020706
	s_mov_b32 s46, 0x1000504
	;; [unrolled: 1-line block ×3, first 2 shown]
	v_mov_b32_e32 v25, 0x2000
	s_branch .LBB259_112
.LBB259_109:                            ;   in Loop: Header=BB259_112 Depth=1
	s_or_b64 exec, exec, s[4:5]
	;;#ASMSTART
	v_pk_mul_f16 v16, v27, v16;

	;;#ASMEND
	;;#ASMSTART
	v_pk_mul_f16 v8, v26, v8;

	;;#ASMEND
	;; [unrolled: 4-line block ×4, first 2 shown]
	;;#ASMSTART
	v_pk_add_f16 v8, v16, v8;

	;;#ASMEND
	;;#ASMSTART
	v_pk_add_f16 v8, v8, v15;

	;;#ASMEND
	;; [unrolled: 4-line block ×3, first 2 shown]
	v_lshrrev_b32_e32 v14, 16, v8
	v_and_b32_e32 v8, 0xffff, v8
	;;#ASMSTART
	v_cvt_f32_f16 v8, v8;
	;;#ASMEND
	;;#ASMSTART
	v_cvt_f32_f16 v14, v14;
	;;#ASMEND
	v_add_f32_e32 v8, v8, v14
	v_add_f32_e32 v5, v5, v8
.LBB259_110:                            ;   in Loop: Header=BB259_112 Depth=1
	s_or_b64 exec, exec, s[24:25]
.LBB259_111:                            ;   in Loop: Header=BB259_112 Depth=1
	s_or_b64 exec, exec, s[22:23]
	v_add_co_u32_e64 v12, s[2:3], 8, v12
	v_add_u32_e32 v2, 2, v2
	v_addc_co_u32_e64 v13, s[2:3], 0, v13, s[2:3]
	v_cmp_le_i32_e64 s[2:3], s56, v2
	v_add_u32_e32 v24, 16, v24
	s_or_b64 s[20:21], s[2:3], s[20:21]
	v_add_u32_e32 v3, 64, v3
	s_andn2_b64 exec, exec, s[20:21]
	s_cbranch_execz .LBB259_214
.LBB259_112:                            ; =>This Inner Loop Header: Depth=1
	v_sub_u32_e32 v14, 0, v24
	v_max_i32_e32 v14, v24, v14
	v_mul_hi_u32 v15, v14, s54
	v_mul_lo_u32 v16, v15, s37
	v_sub_u32_e32 v14, v14, v16
	v_add_u32_e32 v16, 1, v15
	v_cmp_le_u32_e64 s[2:3], s37, v14
	v_cndmask_b32_e64 v15, v15, v16, s[2:3]
	v_subrev_u32_e32 v16, s37, v14
	v_cndmask_b32_e64 v14, v14, v16, s[2:3]
	v_ashrrev_i32_e32 v8, 31, v24
	v_add_u32_e32 v16, 1, v15
	v_cmp_le_u32_e64 s[2:3], s37, v14
	v_xor_b32_e32 v8, s55, v8
	v_cndmask_b32_e64 v14, v15, v16, s[2:3]
	v_xor_b32_e32 v14, v14, v8
	v_sub_u32_e32 v8, v14, v8
	v_add_u32_e32 v14, s44, v8
	v_sub_u32_e32 v16, 0, v14
	v_ashrrev_i32_e32 v15, 31, v14
	v_max_i32_e32 v14, v14, v16
	v_mul_hi_u32 v16, v14, v11
	v_mul_lo_u32 v16, v16, s42
	v_sub_u32_e32 v14, v14, v16
	v_subrev_u32_e32 v16, s42, v14
	v_cmp_le_u32_e64 s[2:3], s42, v14
	v_cndmask_b32_e64 v14, v14, v16, s[2:3]
	v_subrev_u32_e32 v16, s42, v14
	v_cmp_le_u32_e64 s[2:3], s42, v14
	v_cndmask_b32_e64 v14, v14, v16, s[2:3]
	v_xor_b32_e32 v14, v14, v15
	v_sub_u32_e32 v14, v14, v15
	v_cmp_eq_u32_e64 s[2:3], 0, v14
	v_cmp_lt_i32_e64 s[4:5], s9, v8
	s_or_b64 s[2:3], s[2:3], s[4:5]
	s_and_saveexec_b64 s[22:23], s[2:3]
	s_cbranch_execz .LBB259_111
; %bb.113:                              ;   in Loop: Header=BB259_112 Depth=1
	global_load_dword v8, v[12:13], off
	ds_read2_b64 v[18:21], v3 offset1:1
	ds_read2_b64 v[30:33], v3 offset0:2 offset1:3
	v_pk_mov_b32 v[14:15], s[12:13], s[12:13] op_sel:[0,1]
	s_waitcnt lgkmcnt(1)
	;;#ASMSTART
	v_cvt_f16_f32 v17, v18;

	;;#ASMEND
	;;#ASMSTART
	v_cvt_f16_f32 v26, v19;

	;;#ASMEND
	;; [unrolled: 4-line block ×4, first 2 shown]
	s_waitcnt lgkmcnt(0)
	;;#ASMSTART
	v_cvt_f16_f32 v30, v30;

	;;#ASMEND
	;;#ASMSTART
	v_cvt_f16_f32 v31, v31;

	;;#ASMEND
	;; [unrolled: 4-line block ×4, first 2 shown]
	v_mov_b32_e32 v20, 0
	s_waitcnt vmcnt(0)
	v_mad_i64_i32 v[14:15], s[2:3], v8, s11, v[14:15]
	v_add_co_u32_e64 v18, s[2:3], v14, v6
	v_addc_co_u32_e64 v19, s[2:3], 0, v15, s[2:3]
	global_load_dwordx2 v[22:23], v[18:19], off
	global_load_dword v16, v9, s[18:19]
	v_mov_b32_e32 v18, 0
	s_waitcnt vmcnt(1)
	v_cmp_ne_u16_sdwa s[2:3], v22, v9 src0_sel:BYTE_0 src1_sel:DWORD
	s_and_saveexec_b64 s[4:5], s[2:3]
	s_cbranch_execz .LBB259_119
; %bb.114:                              ;   in Loop: Header=BB259_112 Depth=1
	v_cmp_ne_u16_sdwa s[2:3], v22, s38 src0_sel:BYTE_0 src1_sel:DWORD
	v_bfrev_b32_e32 v18, 1
	s_and_saveexec_b64 s[24:25], s[2:3]
	s_cbranch_execz .LBB259_118
; %bb.115:                              ;   in Loop: Header=BB259_112 Depth=1
	v_and_b32_e32 v8, 0x7f, v22
	v_cmp_ne_u32_e64 s[2:3], s39, v8
	v_mov_b32_e32 v18, 0x7fc02000
	s_and_saveexec_b64 s[26:27], s[2:3]
	s_cbranch_execz .LBB259_117
; %bb.116:                              ;   in Loop: Header=BB259_112 Depth=1
	v_and_b32_e32 v18, 7, v22
	v_ffbh_u32_e32 v18, v18
	v_min_u32_e32 v18, 32, v18
	v_subrev_u32_e32 v19, 28, v18
	v_cmp_gt_u32_e64 s[2:3], 8, v8
	v_lshrrev_b32_e32 v21, 3, v8
	v_sub_u32_e32 v27, 29, v18
	v_cndmask_b32_e64 v8, 0, v19, s[2:3]
	v_lshlrev_b64 v[18:19], v8, v[22:23]
	v_cndmask_b32_e64 v8, v21, v27, s[2:3]
	v_lshlrev_b32_e32 v19, 8, v22
	v_lshl_add_u32 v8, v8, 10, v25
	v_lshlrev_b32_e32 v18, 7, v18
	v_and_or_b32 v8, v19, s40, v8
	v_and_or_b32 v8, v18, s41, v8
	v_cvt_f32_f16_e32 v18, v8
.LBB259_117:                            ;   in Loop: Header=BB259_112 Depth=1
	s_or_b64 exec, exec, s[26:27]
.LBB259_118:                            ;   in Loop: Header=BB259_112 Depth=1
	s_or_b64 exec, exec, s[24:25]
.LBB259_119:                            ;   in Loop: Header=BB259_112 Depth=1
	s_or_b64 exec, exec, s[4:5]
	v_lshrrev_b16_e32 v8, 8, v22
	v_cmp_ne_u16_e64 s[2:3], 0, v8
	s_and_saveexec_b64 s[4:5], s[2:3]
	s_cbranch_execz .LBB259_125
; %bb.120:                              ;   in Loop: Header=BB259_112 Depth=1
	v_cmp_ne_u16_e64 s[2:3], s38, v8
	v_bfrev_b32_e32 v20, 1
	s_and_saveexec_b64 s[24:25], s[2:3]
	s_cbranch_execz .LBB259_124
; %bb.121:                              ;   in Loop: Header=BB259_112 Depth=1
	v_and_b32_e32 v19, 0x7f, v8
	v_cmp_ne_u32_e64 s[2:3], s39, v19
	v_mov_b32_e32 v20, 0x7fc02000
	s_and_saveexec_b64 s[26:27], s[2:3]
	s_cbranch_execz .LBB259_123
; %bb.122:                              ;   in Loop: Header=BB259_112 Depth=1
	v_and_b32_e32 v27, 7, v8
	v_ffbh_u32_e32 v20, v27
	v_min_u32_e32 v35, 32, v20
	v_subrev_u32_e32 v20, 28, v35
	v_lshlrev_b64 v[20:21], v20, v[8:9]
	v_lshrrev_b32_e32 v34, 3, v19
	v_sub_u32_e32 v21, 29, v35
	v_cmp_gt_u32_e64 s[2:3], 8, v19
	v_cndmask_b32_e64 v19, v34, v21, s[2:3]
	v_and_b32_e32 v20, 7, v20
	v_lshlrev_b32_e32 v8, 8, v8
	v_lshl_add_u32 v19, v19, 10, v25
	v_cndmask_b32_e64 v20, v27, v20, s[2:3]
	v_and_or_b32 v8, v8, s40, v19
	v_lshl_or_b32 v8, v20, 7, v8
	v_cvt_f32_f16_e32 v20, v8
.LBB259_123:                            ;   in Loop: Header=BB259_112 Depth=1
	s_or_b64 exec, exec, s[26:27]
.LBB259_124:                            ;   in Loop: Header=BB259_112 Depth=1
	s_or_b64 exec, exec, s[24:25]
.LBB259_125:                            ;   in Loop: Header=BB259_112 Depth=1
	s_or_b64 exec, exec, s[4:5]
	v_lshrrev_b32_e32 v8, 16, v22
	v_cmp_ne_u16_sdwa s[2:3], v8, v9 src0_sel:BYTE_0 src1_sel:DWORD
	v_mov_b32_e32 v21, 0
	v_mov_b32_e32 v19, 0
	s_and_saveexec_b64 s[4:5], s[2:3]
	s_cbranch_execz .LBB259_131
; %bb.126:                              ;   in Loop: Header=BB259_112 Depth=1
	v_cmp_ne_u16_sdwa s[2:3], v8, s38 src0_sel:BYTE_0 src1_sel:DWORD
	v_bfrev_b32_e32 v19, 1
	s_and_saveexec_b64 s[24:25], s[2:3]
	s_cbranch_execz .LBB259_130
; %bb.127:                              ;   in Loop: Header=BB259_112 Depth=1
	v_bfe_u32 v27, v22, 16, 7
	v_cmp_ne_u32_e64 s[2:3], s39, v27
	v_mov_b32_e32 v19, 0x7fc02000
	s_and_saveexec_b64 s[26:27], s[2:3]
	s_cbranch_execz .LBB259_129
; %bb.128:                              ;   in Loop: Header=BB259_112 Depth=1
	v_and_b32_e32 v19, 7, v8
	v_ffbh_u32_e32 v34, v19
	v_min_u32_e32 v37, 32, v34
	v_subrev_u32_e32 v34, 28, v37
	v_lshlrev_b64 v[34:35], v34, v[8:9]
	v_lshrrev_b32_e32 v36, 3, v27
	v_sub_u32_e32 v35, 29, v37
	v_cmp_gt_u32_e64 s[2:3], 8, v27
	v_cndmask_b32_e64 v27, v36, v35, s[2:3]
	v_and_b32_e32 v34, 7, v34
	v_lshlrev_b32_e32 v8, 8, v8
	v_lshl_add_u32 v27, v27, 10, v25
	v_cndmask_b32_e64 v19, v19, v34, s[2:3]
	v_and_or_b32 v8, v8, s40, v27
	v_lshl_or_b32 v8, v19, 7, v8
	v_cvt_f32_f16_e32 v19, v8
.LBB259_129:                            ;   in Loop: Header=BB259_112 Depth=1
	s_or_b64 exec, exec, s[26:27]
.LBB259_130:                            ;   in Loop: Header=BB259_112 Depth=1
	s_or_b64 exec, exec, s[24:25]
.LBB259_131:                            ;   in Loop: Header=BB259_112 Depth=1
	s_or_b64 exec, exec, s[4:5]
	v_cmp_lt_u32_e64 s[2:3], s17, v22
	s_and_saveexec_b64 s[4:5], s[2:3]
	s_cbranch_execz .LBB259_137
; %bb.132:                              ;   in Loop: Header=BB259_112 Depth=1
	v_lshrrev_b32_e32 v8, 24, v22
	v_cmp_ne_u32_e64 s[2:3], s38, v8
	v_bfrev_b32_e32 v21, 1
	s_and_saveexec_b64 s[24:25], s[2:3]
	s_cbranch_execz .LBB259_136
; %bb.133:                              ;   in Loop: Header=BB259_112 Depth=1
	v_and_b32_e32 v27, 0x7f, v8
	v_cmp_ne_u32_e64 s[2:3], s39, v27
	v_mov_b32_e32 v21, 0x7fc02000
	s_and_saveexec_b64 s[26:27], s[2:3]
	s_cbranch_execz .LBB259_135
; %bb.134:                              ;   in Loop: Header=BB259_112 Depth=1
	v_and_b32_e32 v21, 7, v8
	v_ffbh_u32_e32 v34, v21
	v_min_u32_e32 v37, 32, v34
	v_subrev_u32_e32 v34, 28, v37
	v_lshlrev_b64 v[34:35], v34, v[8:9]
	v_lshrrev_b32_e32 v36, 3, v27
	v_sub_u32_e32 v35, 29, v37
	v_cmp_gt_u32_e64 s[2:3], 8, v27
	v_cndmask_b32_e64 v27, v36, v35, s[2:3]
	v_and_b32_e32 v34, 7, v34
	v_lshlrev_b32_e32 v8, 8, v8
	v_lshl_add_u32 v27, v27, 10, v25
	v_cndmask_b32_e64 v21, v21, v34, s[2:3]
	v_and_or_b32 v8, v8, s40, v27
	v_lshl_or_b32 v8, v21, 7, v8
	v_cvt_f32_f16_e32 v21, v8
.LBB259_135:                            ;   in Loop: Header=BB259_112 Depth=1
	s_or_b64 exec, exec, s[26:27]
.LBB259_136:                            ;   in Loop: Header=BB259_112 Depth=1
	s_or_b64 exec, exec, s[24:25]
.LBB259_137:                            ;   in Loop: Header=BB259_112 Depth=1
	s_or_b64 exec, exec, s[4:5]
	v_mov_b32_e32 v8, v23
	v_cmp_ne_u16_sdwa s[2:3], v23, v9 src0_sel:BYTE_0 src1_sel:DWORD
	v_mov_b32_e32 v34, 0
	v_mov_b32_e32 v27, 0
	s_and_saveexec_b64 s[4:5], s[2:3]
	s_cbranch_execz .LBB259_143
; %bb.138:                              ;   in Loop: Header=BB259_112 Depth=1
	v_cmp_ne_u16_sdwa s[2:3], v23, s38 src0_sel:BYTE_0 src1_sel:DWORD
	v_bfrev_b32_e32 v27, 1
	s_and_saveexec_b64 s[24:25], s[2:3]
	s_cbranch_execz .LBB259_142
; %bb.139:                              ;   in Loop: Header=BB259_112 Depth=1
	v_and_b32_e32 v35, 0x7f, v23
	v_cmp_ne_u32_e64 s[2:3], s39, v35
	v_mov_b32_e32 v27, 0x7fc02000
	s_and_saveexec_b64 s[26:27], s[2:3]
	s_cbranch_execz .LBB259_141
; %bb.140:                              ;   in Loop: Header=BB259_112 Depth=1
	v_and_b32_e32 v27, 7, v23
	v_ffbh_u32_e32 v27, v27
	v_min_u32_e32 v27, 32, v27
	v_subrev_u32_e32 v36, 28, v27
	v_cmp_gt_u32_e64 s[2:3], 8, v35
	v_lshrrev_b32_e32 v38, 3, v35
	v_sub_u32_e32 v27, 29, v27
	v_cndmask_b32_e64 v35, 0, v36, s[2:3]
	v_lshlrev_b64 v[36:37], v35, v[8:9]
	v_cndmask_b32_e64 v27, v38, v27, s[2:3]
	v_lshlrev_b32_e32 v35, 7, v36
	v_lshlrev_b32_e32 v36, 8, v23
	v_lshl_add_u32 v27, v27, 10, v25
	v_and_or_b32 v27, v36, s40, v27
	v_and_or_b32 v27, v35, s41, v27
	v_cvt_f32_f16_e32 v27, v27
.LBB259_141:                            ;   in Loop: Header=BB259_112 Depth=1
	s_or_b64 exec, exec, s[26:27]
.LBB259_142:                            ;   in Loop: Header=BB259_112 Depth=1
	s_or_b64 exec, exec, s[24:25]
.LBB259_143:                            ;   in Loop: Header=BB259_112 Depth=1
	s_or_b64 exec, exec, s[4:5]
	v_lshrrev_b16_e32 v8, 8, v8
	v_cmp_ne_u16_e64 s[2:3], 0, v8
	s_and_saveexec_b64 s[4:5], s[2:3]
	s_cbranch_execz .LBB259_149
; %bb.144:                              ;   in Loop: Header=BB259_112 Depth=1
	v_cmp_ne_u16_e64 s[2:3], s38, v8
	v_bfrev_b32_e32 v34, 1
	s_and_saveexec_b64 s[24:25], s[2:3]
	s_cbranch_execz .LBB259_148
; %bb.145:                              ;   in Loop: Header=BB259_112 Depth=1
	v_and_b32_e32 v35, 0x7f, v8
	v_cmp_ne_u32_e64 s[2:3], s39, v35
	v_mov_b32_e32 v34, 0x7fc02000
	s_and_saveexec_b64 s[26:27], s[2:3]
	s_cbranch_execz .LBB259_147
; %bb.146:                              ;   in Loop: Header=BB259_112 Depth=1
	v_and_b32_e32 v34, 7, v8
	v_ffbh_u32_e32 v36, v34
	v_min_u32_e32 v39, 32, v36
	v_subrev_u32_e32 v36, 28, v39
	v_lshlrev_b64 v[36:37], v36, v[8:9]
	v_lshrrev_b32_e32 v38, 3, v35
	v_sub_u32_e32 v37, 29, v39
	v_cmp_gt_u32_e64 s[2:3], 8, v35
	v_cndmask_b32_e64 v35, v38, v37, s[2:3]
	v_and_b32_e32 v36, 7, v36
	v_lshlrev_b32_e32 v8, 8, v8
	v_lshl_add_u32 v35, v35, 10, v25
	v_cndmask_b32_e64 v34, v34, v36, s[2:3]
	v_and_or_b32 v8, v8, s40, v35
	v_lshl_or_b32 v8, v34, 7, v8
	v_cvt_f32_f16_e32 v34, v8
.LBB259_147:                            ;   in Loop: Header=BB259_112 Depth=1
	s_or_b64 exec, exec, s[26:27]
.LBB259_148:                            ;   in Loop: Header=BB259_112 Depth=1
	s_or_b64 exec, exec, s[24:25]
.LBB259_149:                            ;   in Loop: Header=BB259_112 Depth=1
	s_or_b64 exec, exec, s[4:5]
	v_lshrrev_b32_e32 v8, 16, v23
	v_cmp_ne_u16_sdwa s[2:3], v8, v9 src0_sel:BYTE_0 src1_sel:DWORD
	v_mov_b32_e32 v35, 0
	v_mov_b32_e32 v36, 0
	s_and_saveexec_b64 s[4:5], s[2:3]
	s_cbranch_execz .LBB259_155
; %bb.150:                              ;   in Loop: Header=BB259_112 Depth=1
	v_cmp_ne_u16_sdwa s[2:3], v8, s38 src0_sel:BYTE_0 src1_sel:DWORD
	v_bfrev_b32_e32 v36, 1
	s_and_saveexec_b64 s[24:25], s[2:3]
	s_cbranch_execz .LBB259_154
; %bb.151:                              ;   in Loop: Header=BB259_112 Depth=1
	v_bfe_u32 v37, v23, 16, 7
	v_cmp_ne_u32_e64 s[2:3], s39, v37
	v_mov_b32_e32 v36, 0x7fc02000
	s_and_saveexec_b64 s[26:27], s[2:3]
	s_cbranch_execz .LBB259_153
; %bb.152:                              ;   in Loop: Header=BB259_112 Depth=1
	v_and_b32_e32 v36, 7, v8
	v_ffbh_u32_e32 v38, v36
	v_min_u32_e32 v41, 32, v38
	v_subrev_u32_e32 v38, 28, v41
	v_lshlrev_b64 v[38:39], v38, v[8:9]
	v_lshrrev_b32_e32 v40, 3, v37
	v_sub_u32_e32 v39, 29, v41
	v_cmp_gt_u32_e64 s[2:3], 8, v37
	v_cndmask_b32_e64 v37, v40, v39, s[2:3]
	v_and_b32_e32 v38, 7, v38
	v_lshlrev_b32_e32 v8, 8, v8
	v_lshl_add_u32 v37, v37, 10, v25
	v_cndmask_b32_e64 v36, v36, v38, s[2:3]
	v_and_or_b32 v8, v8, s40, v37
	v_lshl_or_b32 v8, v36, 7, v8
	v_cvt_f32_f16_e32 v36, v8
.LBB259_153:                            ;   in Loop: Header=BB259_112 Depth=1
	s_or_b64 exec, exec, s[26:27]
.LBB259_154:                            ;   in Loop: Header=BB259_112 Depth=1
	s_or_b64 exec, exec, s[24:25]
.LBB259_155:                            ;   in Loop: Header=BB259_112 Depth=1
	s_or_b64 exec, exec, s[4:5]
	v_cmp_lt_u64_e64 s[2:3], s[16:17], v[22:23]
	s_and_saveexec_b64 s[4:5], s[2:3]
	s_cbranch_execz .LBB259_161
; %bb.156:                              ;   in Loop: Header=BB259_112 Depth=1
	v_lshrrev_b32_e32 v8, 24, v23
	v_cmp_ne_u32_e64 s[2:3], s38, v8
	v_bfrev_b32_e32 v35, 1
	s_and_saveexec_b64 s[24:25], s[2:3]
	s_cbranch_execz .LBB259_160
; %bb.157:                              ;   in Loop: Header=BB259_112 Depth=1
	v_and_b32_e32 v22, 0x7f, v8
	v_cmp_ne_u32_e64 s[2:3], s39, v22
	v_mov_b32_e32 v35, 0x7fc02000
	s_and_saveexec_b64 s[26:27], s[2:3]
	s_cbranch_execz .LBB259_159
; %bb.158:                              ;   in Loop: Header=BB259_112 Depth=1
	v_and_b32_e32 v23, 7, v8
	v_ffbh_u32_e32 v37, v23
	v_min_u32_e32 v37, 32, v37
	v_lshrrev_b32_e32 v35, 3, v22
	v_subrev_u32_e32 v38, 28, v37
	v_sub_u32_e32 v37, 29, v37
	v_cmp_gt_u32_e64 s[2:3], 8, v22
	v_lshlrev_b64 v[38:39], v38, v[8:9]
	v_cndmask_b32_e64 v22, v35, v37, s[2:3]
	v_and_b32_e32 v38, 7, v38
	v_lshlrev_b32_e32 v8, 8, v8
	v_lshl_add_u32 v22, v22, 10, v25
	v_cndmask_b32_e64 v23, v23, v38, s[2:3]
	v_and_or_b32 v8, v8, s40, v22
	v_lshl_or_b32 v8, v23, 7, v8
	v_cvt_f32_f16_e32 v35, v8
.LBB259_159:                            ;   in Loop: Header=BB259_112 Depth=1
	s_or_b64 exec, exec, s[26:27]
.LBB259_160:                            ;   in Loop: Header=BB259_112 Depth=1
	s_or_b64 exec, exec, s[24:25]
.LBB259_161:                            ;   in Loop: Header=BB259_112 Depth=1
	s_or_b64 exec, exec, s[4:5]
	s_waitcnt vmcnt(0)
	v_pk_mul_f32 v[20:21], v[16:17], v[20:21] op_sel_hi:[0,1]
	v_pk_mul_f32 v[18:19], v[16:17], v[18:19] op_sel_hi:[0,1]
	v_cvt_f16_f32_e32 v8, v21
	v_cvt_f16_f32_e32 v20, v20
	v_cvt_f16_f32_e32 v19, v19
	v_cvt_f16_f32_e32 v18, v18
	v_cmp_eq_u32_e64 s[2:3], s36, v2
	v_pack_b32_f16 v20, v20, v8
	v_pack_b32_f16 v18, v18, v19
	v_fma_mixlo_f16 v19, v16, v34, 0
	v_perm_b32 v8, v18, v20, s45
	v_perm_b32 v18, v18, v20, s46
	v_lshlrev_b32_e32 v19, 16, v19
	v_fma_mixlo_f16 v20, v16, v27, 0
	v_or_b32_sdwa v19, v19, v20 dst_sel:DWORD dst_unused:UNUSED_PAD src0_sel:DWORD src1_sel:WORD_0
	v_fma_mixlo_f16 v20, v16, v36, 0
	v_fma_mixlo_f16 v16, v16, v35, 0
	v_lshlrev_b32_e32 v16, 16, v16
	v_or_b32_sdwa v16, v16, v20 dst_sel:DWORD dst_unused:UNUSED_PAD src0_sel:DWORD src1_sel:WORD_0
	s_and_saveexec_b64 s[24:25], s[2:3]
	s_cbranch_execz .LBB259_163
; %bb.162:                              ;   in Loop: Header=BB259_112 Depth=1
	v_add_u32_e32 v21, 1, v24
	v_lshrrev_b32_e32 v22, 16, v18
	v_cmp_gt_i32_e64 s[4:5], s43, v21
	v_cndmask_b32_e64 v21, 0, v22, s[4:5]
	v_cmp_gt_i32_e64 s[4:5], s33, v24
	v_cndmask_b32_e64 v18, 0, v18, s[4:5]
	v_perm_b32 v18, v21, v18, s47
	v_or_b32_e32 v21, 3, v24
	v_or_b32_e32 v22, 2, v24
	v_lshrrev_b32_e32 v23, 16, v8
	v_cmp_gt_i32_e64 s[4:5], s43, v21
	v_cndmask_b32_e64 v21, 0, v23, s[4:5]
	v_cmp_gt_i32_e64 s[4:5], s33, v22
	v_cndmask_b32_e64 v8, 0, v8, s[4:5]
	v_perm_b32 v8, v21, v8, s47
	v_or_b32_e32 v21, 5, v24
	v_or_b32_e32 v22, 4, v24
	;; [unrolled: 8-line block ×3, first 2 shown]
	v_lshrrev_b32_e32 v16, 16, v16
	v_cmp_gt_i32_e64 s[4:5], s43, v21
	v_cndmask_b32_e64 v16, 0, v16, s[4:5]
	v_cmp_gt_i32_e64 s[4:5], s33, v22
	v_cndmask_b32_e64 v20, 0, v20, s[4:5]
	v_perm_b32 v16, v16, v20, s47
.LBB259_163:                            ;   in Loop: Header=BB259_112 Depth=1
	s_or_b64 exec, exec, s[24:25]
	v_and_b32_e32 v17, 0xffff, v17
	v_lshl_or_b32 v27, v26, 16, v17
	v_and_b32_e32 v17, 0xffff, v28
	v_lshl_or_b32 v26, v29, 16, v17
	;; [unrolled: 2-line block ×4, first 2 shown]
	;;#ASMSTART
	v_pk_mul_f16 v17, v27, v18;

	;;#ASMEND
	;;#ASMSTART
	v_pk_mul_f16 v8, v26, v8;

	;;#ASMEND
	;; [unrolled: 4-line block ×4, first 2 shown]
	;;#ASMSTART
	v_pk_add_f16 v8, v17, v8;

	;;#ASMEND
	;;#ASMSTART
	v_pk_add_f16 v8, v8, v18;

	;;#ASMEND
	;;#ASMSTART
	v_pk_add_f16 v8, v8, v16;

	;;#ASMEND
	v_lshrrev_b32_e32 v16, 16, v8
	v_and_b32_e32 v8, 0xffff, v8
	;;#ASMSTART
	v_cvt_f32_f16 v8, v8;
	;;#ASMEND
	;;#ASMSTART
	v_cvt_f32_f16 v16, v16;
	;;#ASMEND
	v_add_f32_e32 v8, v8, v16
	v_add_f32_e32 v4, v4, v8
	s_and_saveexec_b64 s[24:25], vcc
	s_cbranch_execz .LBB259_110
; %bb.164:                              ;   in Loop: Header=BB259_112 Depth=1
	v_add_co_u32_e64 v16, s[4:5], v14, v10
	v_addc_co_u32_e64 v17, s[4:5], 0, v15, s[4:5]
	global_load_dwordx2 v[20:21], v[16:17], off
	global_load_dword v14, v9, s[18:19]
	v_mov_b32_e32 v18, 0
	v_mov_b32_e32 v16, 0
	s_waitcnt vmcnt(1)
	v_cmp_ne_u16_sdwa s[4:5], v20, v9 src0_sel:BYTE_0 src1_sel:DWORD
	s_and_saveexec_b64 s[26:27], s[4:5]
	s_cbranch_execz .LBB259_170
; %bb.165:                              ;   in Loop: Header=BB259_112 Depth=1
	v_cmp_ne_u16_sdwa s[4:5], v20, s38 src0_sel:BYTE_0 src1_sel:DWORD
	v_bfrev_b32_e32 v16, 1
	s_and_saveexec_b64 s[28:29], s[4:5]
	s_cbranch_execz .LBB259_169
; %bb.166:                              ;   in Loop: Header=BB259_112 Depth=1
	v_and_b32_e32 v8, 0x7f, v20
	v_cmp_ne_u32_e64 s[4:5], s39, v8
	v_mov_b32_e32 v16, 0x7fc02000
	s_and_saveexec_b64 s[30:31], s[4:5]
	s_cbranch_execz .LBB259_168
; %bb.167:                              ;   in Loop: Header=BB259_112 Depth=1
	v_and_b32_e32 v15, 7, v20
	v_ffbh_u32_e32 v15, v15
	v_min_u32_e32 v15, 32, v15
	v_subrev_u32_e32 v16, 28, v15
	v_cmp_gt_u32_e64 s[4:5], 8, v8
	v_lshrrev_b32_e32 v19, 3, v8
	v_sub_u32_e32 v15, 29, v15
	v_cndmask_b32_e64 v8, 0, v16, s[4:5]
	v_lshlrev_b64 v[16:17], v8, v[20:21]
	v_cndmask_b32_e64 v8, v19, v15, s[4:5]
	v_lshlrev_b32_e32 v15, 7, v16
	v_lshlrev_b32_e32 v16, 8, v20
	v_lshl_add_u32 v8, v8, 10, v25
	v_and_or_b32 v8, v16, s40, v8
	v_and_or_b32 v8, v15, s41, v8
	v_cvt_f32_f16_e32 v16, v8
.LBB259_168:                            ;   in Loop: Header=BB259_112 Depth=1
	s_or_b64 exec, exec, s[30:31]
.LBB259_169:                            ;   in Loop: Header=BB259_112 Depth=1
	s_or_b64 exec, exec, s[28:29]
.LBB259_170:                            ;   in Loop: Header=BB259_112 Depth=1
	s_or_b64 exec, exec, s[26:27]
	v_lshrrev_b16_e32 v8, 8, v20
	v_cmp_ne_u16_e64 s[4:5], 0, v8
	s_and_saveexec_b64 s[26:27], s[4:5]
	s_cbranch_execz .LBB259_176
; %bb.171:                              ;   in Loop: Header=BB259_112 Depth=1
	v_cmp_ne_u16_e64 s[4:5], s38, v8
	v_bfrev_b32_e32 v18, 1
	s_and_saveexec_b64 s[28:29], s[4:5]
	s_cbranch_execz .LBB259_175
; %bb.172:                              ;   in Loop: Header=BB259_112 Depth=1
	v_and_b32_e32 v15, 0x7f, v8
	v_cmp_ne_u32_e64 s[4:5], s39, v15
	v_mov_b32_e32 v18, 0x7fc02000
	s_and_saveexec_b64 s[30:31], s[4:5]
	s_cbranch_execz .LBB259_174
; %bb.173:                              ;   in Loop: Header=BB259_112 Depth=1
	v_and_b32_e32 v17, 7, v8
	v_ffbh_u32_e32 v18, v17
	v_min_u32_e32 v29, 32, v18
	v_subrev_u32_e32 v18, 28, v29
	v_lshlrev_b64 v[18:19], v18, v[8:9]
	v_lshrrev_b32_e32 v28, 3, v15
	v_sub_u32_e32 v19, 29, v29
	v_cmp_gt_u32_e64 s[4:5], 8, v15
	v_cndmask_b32_e64 v15, v28, v19, s[4:5]
	v_and_b32_e32 v18, 7, v18
	v_lshlrev_b32_e32 v8, 8, v8
	v_lshl_add_u32 v15, v15, 10, v25
	v_cndmask_b32_e64 v17, v17, v18, s[4:5]
	v_and_or_b32 v8, v8, s40, v15
	v_lshl_or_b32 v8, v17, 7, v8
	v_cvt_f32_f16_e32 v18, v8
.LBB259_174:                            ;   in Loop: Header=BB259_112 Depth=1
	s_or_b64 exec, exec, s[30:31]
.LBB259_175:                            ;   in Loop: Header=BB259_112 Depth=1
	s_or_b64 exec, exec, s[28:29]
.LBB259_176:                            ;   in Loop: Header=BB259_112 Depth=1
	s_or_b64 exec, exec, s[26:27]
	v_lshrrev_b32_e32 v8, 16, v20
	v_cmp_ne_u16_sdwa s[4:5], v8, v9 src0_sel:BYTE_0 src1_sel:DWORD
	v_mov_b32_e32 v19, 0
	v_mov_b32_e32 v17, 0
	s_and_saveexec_b64 s[26:27], s[4:5]
	s_cbranch_execz .LBB259_182
; %bb.177:                              ;   in Loop: Header=BB259_112 Depth=1
	v_cmp_ne_u16_sdwa s[4:5], v8, s38 src0_sel:BYTE_0 src1_sel:DWORD
	v_bfrev_b32_e32 v17, 1
	s_and_saveexec_b64 s[28:29], s[4:5]
	s_cbranch_execz .LBB259_181
; %bb.178:                              ;   in Loop: Header=BB259_112 Depth=1
	v_bfe_u32 v15, v20, 16, 7
	v_cmp_ne_u32_e64 s[4:5], s39, v15
	v_mov_b32_e32 v17, 0x7fc02000
	s_and_saveexec_b64 s[30:31], s[4:5]
	s_cbranch_execz .LBB259_180
; %bb.179:                              ;   in Loop: Header=BB259_112 Depth=1
	v_and_b32_e32 v17, 7, v8
	v_ffbh_u32_e32 v28, v17
	v_min_u32_e32 v31, 32, v28
	v_subrev_u32_e32 v28, 28, v31
	v_lshlrev_b64 v[28:29], v28, v[8:9]
	v_lshrrev_b32_e32 v30, 3, v15
	v_sub_u32_e32 v29, 29, v31
	v_cmp_gt_u32_e64 s[4:5], 8, v15
	v_cndmask_b32_e64 v15, v30, v29, s[4:5]
	v_and_b32_e32 v28, 7, v28
	v_lshlrev_b32_e32 v8, 8, v8
	v_lshl_add_u32 v15, v15, 10, v25
	v_cndmask_b32_e64 v17, v17, v28, s[4:5]
	v_and_or_b32 v8, v8, s40, v15
	v_lshl_or_b32 v8, v17, 7, v8
	v_cvt_f32_f16_e32 v17, v8
.LBB259_180:                            ;   in Loop: Header=BB259_112 Depth=1
	s_or_b64 exec, exec, s[30:31]
.LBB259_181:                            ;   in Loop: Header=BB259_112 Depth=1
	s_or_b64 exec, exec, s[28:29]
.LBB259_182:                            ;   in Loop: Header=BB259_112 Depth=1
	s_or_b64 exec, exec, s[26:27]
	v_cmp_lt_u32_e64 s[4:5], s17, v20
	s_and_saveexec_b64 s[26:27], s[4:5]
	s_cbranch_execz .LBB259_188
; %bb.183:                              ;   in Loop: Header=BB259_112 Depth=1
	v_lshrrev_b32_e32 v8, 24, v20
	v_cmp_ne_u32_e64 s[4:5], s38, v8
	v_bfrev_b32_e32 v19, 1
	s_and_saveexec_b64 s[28:29], s[4:5]
	s_cbranch_execz .LBB259_187
; %bb.184:                              ;   in Loop: Header=BB259_112 Depth=1
	v_and_b32_e32 v15, 0x7f, v8
	v_cmp_ne_u32_e64 s[4:5], s39, v15
	v_mov_b32_e32 v19, 0x7fc02000
	s_and_saveexec_b64 s[30:31], s[4:5]
	s_cbranch_execz .LBB259_186
; %bb.185:                              ;   in Loop: Header=BB259_112 Depth=1
	v_and_b32_e32 v19, 7, v8
	v_ffbh_u32_e32 v28, v19
	v_min_u32_e32 v31, 32, v28
	v_subrev_u32_e32 v28, 28, v31
	v_lshlrev_b64 v[28:29], v28, v[8:9]
	v_lshrrev_b32_e32 v30, 3, v15
	v_sub_u32_e32 v29, 29, v31
	v_cmp_gt_u32_e64 s[4:5], 8, v15
	v_cndmask_b32_e64 v15, v30, v29, s[4:5]
	v_and_b32_e32 v28, 7, v28
	v_lshlrev_b32_e32 v8, 8, v8
	v_lshl_add_u32 v15, v15, 10, v25
	v_cndmask_b32_e64 v19, v19, v28, s[4:5]
	v_and_or_b32 v8, v8, s40, v15
	v_lshl_or_b32 v8, v19, 7, v8
	v_cvt_f32_f16_e32 v19, v8
.LBB259_186:                            ;   in Loop: Header=BB259_112 Depth=1
	s_or_b64 exec, exec, s[30:31]
.LBB259_187:                            ;   in Loop: Header=BB259_112 Depth=1
	s_or_b64 exec, exec, s[28:29]
.LBB259_188:                            ;   in Loop: Header=BB259_112 Depth=1
	s_or_b64 exec, exec, s[26:27]
	v_mov_b32_e32 v8, v21
	v_cmp_ne_u16_sdwa s[4:5], v21, v9 src0_sel:BYTE_0 src1_sel:DWORD
	v_mov_b32_e32 v28, 0
	v_mov_b32_e32 v15, 0
	s_and_saveexec_b64 s[26:27], s[4:5]
	s_cbranch_execz .LBB259_194
; %bb.189:                              ;   in Loop: Header=BB259_112 Depth=1
	v_cmp_ne_u16_sdwa s[4:5], v21, s38 src0_sel:BYTE_0 src1_sel:DWORD
	v_bfrev_b32_e32 v15, 1
	s_and_saveexec_b64 s[28:29], s[4:5]
	s_cbranch_execz .LBB259_193
; %bb.190:                              ;   in Loop: Header=BB259_112 Depth=1
	v_and_b32_e32 v29, 0x7f, v21
	v_cmp_ne_u32_e64 s[4:5], s39, v29
	v_mov_b32_e32 v15, 0x7fc02000
	s_and_saveexec_b64 s[30:31], s[4:5]
	s_cbranch_execz .LBB259_192
; %bb.191:                              ;   in Loop: Header=BB259_112 Depth=1
	v_and_b32_e32 v15, 7, v21
	v_ffbh_u32_e32 v15, v15
	v_min_u32_e32 v15, 32, v15
	v_subrev_u32_e32 v30, 28, v15
	v_cmp_gt_u32_e64 s[4:5], 8, v29
	v_lshrrev_b32_e32 v32, 3, v29
	v_sub_u32_e32 v15, 29, v15
	v_cndmask_b32_e64 v29, 0, v30, s[4:5]
	v_lshlrev_b64 v[30:31], v29, v[8:9]
	v_cndmask_b32_e64 v15, v32, v15, s[4:5]
	v_lshlrev_b32_e32 v29, 7, v30
	v_lshlrev_b32_e32 v30, 8, v21
	v_lshl_add_u32 v15, v15, 10, v25
	v_and_or_b32 v15, v30, s40, v15
	v_and_or_b32 v15, v29, s41, v15
	v_cvt_f32_f16_e32 v15, v15
.LBB259_192:                            ;   in Loop: Header=BB259_112 Depth=1
	s_or_b64 exec, exec, s[30:31]
.LBB259_193:                            ;   in Loop: Header=BB259_112 Depth=1
	s_or_b64 exec, exec, s[28:29]
.LBB259_194:                            ;   in Loop: Header=BB259_112 Depth=1
	s_or_b64 exec, exec, s[26:27]
	v_lshrrev_b16_e32 v8, 8, v8
	v_cmp_ne_u16_e64 s[4:5], 0, v8
	s_and_saveexec_b64 s[26:27], s[4:5]
	s_cbranch_execz .LBB259_200
; %bb.195:                              ;   in Loop: Header=BB259_112 Depth=1
	v_cmp_ne_u16_e64 s[4:5], s38, v8
	v_bfrev_b32_e32 v28, 1
	s_and_saveexec_b64 s[28:29], s[4:5]
	s_cbranch_execz .LBB259_199
; %bb.196:                              ;   in Loop: Header=BB259_112 Depth=1
	v_and_b32_e32 v29, 0x7f, v8
	v_cmp_ne_u32_e64 s[4:5], s39, v29
	v_mov_b32_e32 v28, 0x7fc02000
	s_and_saveexec_b64 s[30:31], s[4:5]
	s_cbranch_execz .LBB259_198
; %bb.197:                              ;   in Loop: Header=BB259_112 Depth=1
	v_and_b32_e32 v28, 7, v8
	v_ffbh_u32_e32 v30, v28
	v_min_u32_e32 v33, 32, v30
	v_subrev_u32_e32 v30, 28, v33
	v_lshlrev_b64 v[30:31], v30, v[8:9]
	v_lshrrev_b32_e32 v32, 3, v29
	v_sub_u32_e32 v31, 29, v33
	v_cmp_gt_u32_e64 s[4:5], 8, v29
	v_cndmask_b32_e64 v29, v32, v31, s[4:5]
	v_and_b32_e32 v30, 7, v30
	v_lshlrev_b32_e32 v8, 8, v8
	v_lshl_add_u32 v29, v29, 10, v25
	v_cndmask_b32_e64 v28, v28, v30, s[4:5]
	v_and_or_b32 v8, v8, s40, v29
	v_lshl_or_b32 v8, v28, 7, v8
	v_cvt_f32_f16_e32 v28, v8
.LBB259_198:                            ;   in Loop: Header=BB259_112 Depth=1
	s_or_b64 exec, exec, s[30:31]
.LBB259_199:                            ;   in Loop: Header=BB259_112 Depth=1
	s_or_b64 exec, exec, s[28:29]
.LBB259_200:                            ;   in Loop: Header=BB259_112 Depth=1
	s_or_b64 exec, exec, s[26:27]
	v_lshrrev_b32_e32 v8, 16, v21
	v_cmp_ne_u16_sdwa s[4:5], v8, v9 src0_sel:BYTE_0 src1_sel:DWORD
	v_mov_b32_e32 v29, 0
	v_mov_b32_e32 v30, 0
	s_and_saveexec_b64 s[26:27], s[4:5]
	s_cbranch_execz .LBB259_206
; %bb.201:                              ;   in Loop: Header=BB259_112 Depth=1
	v_cmp_ne_u16_sdwa s[4:5], v8, s38 src0_sel:BYTE_0 src1_sel:DWORD
	v_bfrev_b32_e32 v30, 1
	s_and_saveexec_b64 s[28:29], s[4:5]
	s_cbranch_execz .LBB259_205
; %bb.202:                              ;   in Loop: Header=BB259_112 Depth=1
	v_bfe_u32 v31, v21, 16, 7
	v_cmp_ne_u32_e64 s[4:5], s39, v31
	v_mov_b32_e32 v30, 0x7fc02000
	s_and_saveexec_b64 s[30:31], s[4:5]
	s_cbranch_execz .LBB259_204
; %bb.203:                              ;   in Loop: Header=BB259_112 Depth=1
	v_and_b32_e32 v30, 7, v8
	v_ffbh_u32_e32 v32, v30
	v_min_u32_e32 v35, 32, v32
	v_subrev_u32_e32 v32, 28, v35
	v_lshlrev_b64 v[32:33], v32, v[8:9]
	v_lshrrev_b32_e32 v34, 3, v31
	v_sub_u32_e32 v33, 29, v35
	v_cmp_gt_u32_e64 s[4:5], 8, v31
	v_cndmask_b32_e64 v31, v34, v33, s[4:5]
	v_and_b32_e32 v32, 7, v32
	v_lshlrev_b32_e32 v8, 8, v8
	v_lshl_add_u32 v31, v31, 10, v25
	v_cndmask_b32_e64 v30, v30, v32, s[4:5]
	v_and_or_b32 v8, v8, s40, v31
	v_lshl_or_b32 v8, v30, 7, v8
	v_cvt_f32_f16_e32 v30, v8
.LBB259_204:                            ;   in Loop: Header=BB259_112 Depth=1
	s_or_b64 exec, exec, s[30:31]
.LBB259_205:                            ;   in Loop: Header=BB259_112 Depth=1
	s_or_b64 exec, exec, s[28:29]
.LBB259_206:                            ;   in Loop: Header=BB259_112 Depth=1
	s_or_b64 exec, exec, s[26:27]
	v_cmp_lt_u64_e64 s[4:5], s[16:17], v[20:21]
	s_and_saveexec_b64 s[26:27], s[4:5]
	s_cbranch_execz .LBB259_212
; %bb.207:                              ;   in Loop: Header=BB259_112 Depth=1
	v_lshrrev_b32_e32 v8, 24, v21
	v_cmp_ne_u32_e64 s[4:5], s38, v8
	v_bfrev_b32_e32 v29, 1
	s_and_saveexec_b64 s[28:29], s[4:5]
	s_cbranch_execz .LBB259_211
; %bb.208:                              ;   in Loop: Header=BB259_112 Depth=1
	v_and_b32_e32 v20, 0x7f, v8
	v_cmp_ne_u32_e64 s[4:5], s39, v20
	v_mov_b32_e32 v29, 0x7fc02000
	s_and_saveexec_b64 s[30:31], s[4:5]
	s_cbranch_execz .LBB259_210
; %bb.209:                              ;   in Loop: Header=BB259_112 Depth=1
	v_and_b32_e32 v21, 7, v8
	v_ffbh_u32_e32 v31, v21
	v_min_u32_e32 v31, 32, v31
	v_lshrrev_b32_e32 v29, 3, v20
	v_subrev_u32_e32 v32, 28, v31
	v_sub_u32_e32 v31, 29, v31
	v_cmp_gt_u32_e64 s[4:5], 8, v20
	v_lshlrev_b64 v[32:33], v32, v[8:9]
	v_cndmask_b32_e64 v20, v29, v31, s[4:5]
	v_and_b32_e32 v32, 7, v32
	v_lshlrev_b32_e32 v8, 8, v8
	v_lshl_add_u32 v20, v20, 10, v25
	v_cndmask_b32_e64 v21, v21, v32, s[4:5]
	v_and_or_b32 v8, v8, s40, v20
	v_lshl_or_b32 v8, v21, 7, v8
	v_cvt_f32_f16_e32 v29, v8
.LBB259_210:                            ;   in Loop: Header=BB259_112 Depth=1
	s_or_b64 exec, exec, s[30:31]
.LBB259_211:                            ;   in Loop: Header=BB259_112 Depth=1
	s_or_b64 exec, exec, s[28:29]
.LBB259_212:                            ;   in Loop: Header=BB259_112 Depth=1
	s_or_b64 exec, exec, s[26:27]
	s_waitcnt vmcnt(0)
	v_pk_mul_f32 v[16:17], v[14:15], v[16:17] op_sel_hi:[0,1]
	v_cvt_f16_f32_e32 v17, v17
	v_cvt_f16_f32_e32 v16, v16
	v_pk_mul_f32 v[18:19], v[14:15], v[18:19] op_sel_hi:[0,1]
	v_cvt_f16_f32_e32 v8, v19
	v_cvt_f16_f32_e32 v18, v18
	v_pack_b32_f16 v16, v16, v17
	v_fma_mixlo_f16 v17, v14, v28, 0
	v_lshlrev_b32_e32 v17, 16, v17
	v_fma_mixlo_f16 v15, v14, v15, 0
	v_or_b32_sdwa v15, v17, v15 dst_sel:DWORD dst_unused:UNUSED_PAD src0_sel:DWORD src1_sel:WORD_0
	v_fma_mixlo_f16 v17, v14, v30, 0
	v_fma_mixlo_f16 v14, v14, v29, 0
	v_pack_b32_f16 v18, v18, v8
	v_lshlrev_b32_e32 v14, 16, v14
	v_perm_b32 v8, v16, v18, s45
	v_perm_b32 v16, v16, v18, s46
	v_or_b32_sdwa v14, v14, v17 dst_sel:DWORD dst_unused:UNUSED_PAD src0_sel:DWORD src1_sel:WORD_0
	s_and_saveexec_b64 s[4:5], s[2:3]
	s_cbranch_execz .LBB259_109
; %bb.213:                              ;   in Loop: Header=BB259_112 Depth=1
	v_add_u32_e32 v18, 1, v24
	v_lshrrev_b32_e32 v19, 16, v16
	v_cmp_gt_i32_e64 s[2:3], s43, v18
	v_cndmask_b32_e64 v18, 0, v19, s[2:3]
	v_cmp_gt_i32_e64 s[2:3], s33, v24
	v_cndmask_b32_e64 v16, 0, v16, s[2:3]
	v_perm_b32 v16, v18, v16, s47
	v_or_b32_e32 v18, 3, v24
	v_or_b32_e32 v19, 2, v24
	v_lshrrev_b32_e32 v20, 16, v8
	v_cmp_gt_i32_e64 s[2:3], s43, v18
	v_cndmask_b32_e64 v18, 0, v20, s[2:3]
	v_cmp_gt_i32_e64 s[2:3], s33, v19
	v_cndmask_b32_e64 v8, 0, v8, s[2:3]
	v_perm_b32 v8, v18, v8, s47
	v_or_b32_e32 v18, 5, v24
	v_or_b32_e32 v19, 4, v24
	v_lshrrev_b32_e32 v20, 16, v15
	v_cmp_gt_i32_e64 s[2:3], s43, v18
	v_cndmask_b32_e64 v18, 0, v20, s[2:3]
	v_cmp_gt_i32_e64 s[2:3], s33, v19
	v_cndmask_b32_e64 v15, 0, v15, s[2:3]
	v_perm_b32 v15, v18, v15, s47
	v_or_b32_e32 v18, 7, v24
	v_or_b32_e32 v19, 6, v24
	v_lshrrev_b32_e32 v14, 16, v14
	v_cmp_gt_i32_e64 s[2:3], s43, v18
	v_cndmask_b32_e64 v14, 0, v14, s[2:3]
	v_cmp_gt_i32_e64 s[2:3], s33, v19
	v_cndmask_b32_e64 v17, 0, v17, s[2:3]
	v_perm_b32 v14, v14, v17, s47
	s_branch .LBB259_109
.LBB259_214:
	s_or_b64 exec, exec, s[20:21]
.LBB259_215:
	s_or_b64 exec, exec, s[6:7]
	v_and_b32_e32 v2, 0x3c0, v0
	v_cmp_eq_u32_e32 vcc, 64, v2
	s_barrier
	s_and_saveexec_b64 s[2:3], vcc
	s_cbranch_execz .LBB259_218
; %bb.216:
	v_mov_b32_e32 v2, 0xb0
	v_lshl_add_u32 v3, v7, 2, v2
	ds_write_b32 v3, v4
	s_and_b64 exec, exec, s[0:1]
	s_cbranch_execz .LBB259_218
; %bb.217:
	v_lshl_add_u32 v2, v0, 2, v2
	ds_write_b32 v2, v5
.LBB259_218:
	s_or_b64 exec, exec, s[2:3]
	v_cmp_gt_u32_e32 vcc, 64, v0
	v_or_b32_e32 v2, 64, v0
	s_waitcnt lgkmcnt(0)
	s_barrier
	s_and_saveexec_b64 s[2:3], vcc
	s_cbranch_execz .LBB259_222
; %bb.219:
	v_mov_b32_e32 v3, 0xb0
	v_lshl_add_u32 v0, v0, 2, v3
	ds_read_b32 v3, v0
	s_movk_i32 s0, 0x50
	v_cmp_gt_u32_e64 s[0:1], s0, v2
	s_waitcnt lgkmcnt(0)
	v_add_f32_e32 v4, v4, v3
	s_and_saveexec_b64 s[4:5], s[0:1]
	s_cbranch_execz .LBB259_221
; %bb.220:
	ds_read_b32 v0, v0 offset:256
	s_waitcnt lgkmcnt(0)
	v_add_f32_e32 v5, v5, v0
.LBB259_221:
	s_or_b64 exec, exec, s[4:5]
.LBB259_222:
	s_or_b64 exec, exec, s[2:3]
	s_barrier
	s_and_saveexec_b64 s[0:1], vcc
	s_cbranch_execz .LBB259_225
; %bb.223:
	s_mul_i32 s0, s10, 0x50
	s_ashr_i32 s1, s0, 31
	s_lshl_b64 s[0:1], s[0:1], 1
	s_add_u32 s3, s34, s0
	s_mul_i32 s0, s15, s14
	s_addc_u32 s4, s35, s1
	s_ashr_i32 s1, s0, 31
	s_lshl_b64 s[0:1], s[0:1], 1
	s_add_u32 s3, s3, s0
	s_mul_i32 s0, s8, 0x50
	s_addc_u32 s4, s4, s1
	s_ashr_i32 s1, s0, 31
	s_lshl_b64 s[0:1], s[0:1], 1
	s_movk_i32 s2, 0x50
	s_add_u32 s0, s3, s0
	s_addc_u32 s1, s4, s1
	v_cmp_gt_u32_e32 vcc, s2, v2
	;;#ASMSTART
	v_cvt_f16_f32 v0, v4;

	;;#ASMEND
	global_store_short v1, v0, s[0:1]
	s_and_b64 exec, exec, vcc
	s_cbranch_execz .LBB259_225
; %bb.224:
	v_mov_b32_e32 v2, s1
	v_add_co_u32_e32 v0, vcc, s0, v1
	v_addc_co_u32_e32 v1, vcc, 0, v2, vcc
	;;#ASMSTART
	v_cvt_f16_f32 v2, v5;

	;;#ASMEND
	global_store_short v[0:1], v2, off offset:128
.LBB259_225:
	s_endpgm
	.section	.rodata,"a",@progbits
	.p2align	6, 0x0
	.amdhsa_kernel _ZN4vllm25paged_attention_v2_kernelIthLi80ELi8ELi128ELNS_18Fp8KVCacheDataTypeE1ELb1ELi512EEEvPfS2_PT_PKS3_PKT0_S9_ifPKiSB_iPKfiiiSD_SD_iiiii
		.amdhsa_group_segment_fixed_size 176
		.amdhsa_private_segment_fixed_size 0
		.amdhsa_kernarg_size 400
		.amdhsa_user_sgpr_count 6
		.amdhsa_user_sgpr_private_segment_buffer 1
		.amdhsa_user_sgpr_dispatch_ptr 0
		.amdhsa_user_sgpr_queue_ptr 0
		.amdhsa_user_sgpr_kernarg_segment_ptr 1
		.amdhsa_user_sgpr_dispatch_id 0
		.amdhsa_user_sgpr_flat_scratch_init 0
		.amdhsa_user_sgpr_kernarg_preload_length 0
		.amdhsa_user_sgpr_kernarg_preload_offset 0
		.amdhsa_user_sgpr_private_segment_size 0
		.amdhsa_uses_dynamic_stack 0
		.amdhsa_system_sgpr_private_segment_wavefront_offset 0
		.amdhsa_system_sgpr_workgroup_id_x 1
		.amdhsa_system_sgpr_workgroup_id_y 1
		.amdhsa_system_sgpr_workgroup_id_z 1
		.amdhsa_system_sgpr_workgroup_info 0
		.amdhsa_system_vgpr_workitem_id 0
		.amdhsa_next_free_vgpr 44
		.amdhsa_next_free_sgpr 64
		.amdhsa_accum_offset 44
		.amdhsa_reserve_vcc 1
		.amdhsa_reserve_flat_scratch 0
		.amdhsa_float_round_mode_32 0
		.amdhsa_float_round_mode_16_64 0
		.amdhsa_float_denorm_mode_32 3
		.amdhsa_float_denorm_mode_16_64 3
		.amdhsa_dx10_clamp 1
		.amdhsa_ieee_mode 1
		.amdhsa_fp16_overflow 0
		.amdhsa_tg_split 0
		.amdhsa_exception_fp_ieee_invalid_op 0
		.amdhsa_exception_fp_denorm_src 0
		.amdhsa_exception_fp_ieee_div_zero 0
		.amdhsa_exception_fp_ieee_overflow 0
		.amdhsa_exception_fp_ieee_underflow 0
		.amdhsa_exception_fp_ieee_inexact 0
		.amdhsa_exception_int_div_zero 0
	.end_amdhsa_kernel
	.section	.text._ZN4vllm25paged_attention_v2_kernelIthLi80ELi8ELi128ELNS_18Fp8KVCacheDataTypeE1ELb1ELi512EEEvPfS2_PT_PKS3_PKT0_S9_ifPKiSB_iPKfiiiSD_SD_iiiii,"axG",@progbits,_ZN4vllm25paged_attention_v2_kernelIthLi80ELi8ELi128ELNS_18Fp8KVCacheDataTypeE1ELb1ELi512EEEvPfS2_PT_PKS3_PKT0_S9_ifPKiSB_iPKfiiiSD_SD_iiiii,comdat
.Lfunc_end259:
	.size	_ZN4vllm25paged_attention_v2_kernelIthLi80ELi8ELi128ELNS_18Fp8KVCacheDataTypeE1ELb1ELi512EEEvPfS2_PT_PKS3_PKT0_S9_ifPKiSB_iPKfiiiSD_SD_iiiii, .Lfunc_end259-_ZN4vllm25paged_attention_v2_kernelIthLi80ELi8ELi128ELNS_18Fp8KVCacheDataTypeE1ELb1ELi512EEEvPfS2_PT_PKS3_PKT0_S9_ifPKiSB_iPKfiiiSD_SD_iiiii
                                        ; -- End function
	.section	.AMDGPU.csdata,"",@progbits
; Kernel info:
; codeLenInByte = 10416
; NumSgprs: 68
; NumVgprs: 44
; NumAgprs: 0
; TotalNumVgprs: 44
; ScratchSize: 0
; MemoryBound: 0
; FloatMode: 240
; IeeeMode: 1
; LDSByteSize: 176 bytes/workgroup (compile time only)
; SGPRBlocks: 8
; VGPRBlocks: 5
; NumSGPRsForWavesPerEU: 68
; NumVGPRsForWavesPerEU: 44
; AccumOffset: 44
; Occupancy: 8
; WaveLimiterHint : 1
; COMPUTE_PGM_RSRC2:SCRATCH_EN: 0
; COMPUTE_PGM_RSRC2:USER_SGPR: 6
; COMPUTE_PGM_RSRC2:TRAP_HANDLER: 0
; COMPUTE_PGM_RSRC2:TGID_X_EN: 1
; COMPUTE_PGM_RSRC2:TGID_Y_EN: 1
; COMPUTE_PGM_RSRC2:TGID_Z_EN: 1
; COMPUTE_PGM_RSRC2:TIDIG_COMP_CNT: 0
; COMPUTE_PGM_RSRC3_GFX90A:ACCUM_OFFSET: 10
; COMPUTE_PGM_RSRC3_GFX90A:TG_SPLIT: 0
	.section	.text._ZN4vllm25paged_attention_v2_kernelIthLi96ELi8ELi128ELNS_18Fp8KVCacheDataTypeE1ELb1ELi512EEEvPfS2_PT_PKS3_PKT0_S9_ifPKiSB_iPKfiiiSD_SD_iiiii,"axG",@progbits,_ZN4vllm25paged_attention_v2_kernelIthLi96ELi8ELi128ELNS_18Fp8KVCacheDataTypeE1ELb1ELi512EEEvPfS2_PT_PKS3_PKT0_S9_ifPKiSB_iPKfiiiSD_SD_iiiii,comdat
	.protected	_ZN4vllm25paged_attention_v2_kernelIthLi96ELi8ELi128ELNS_18Fp8KVCacheDataTypeE1ELb1ELi512EEEvPfS2_PT_PKS3_PKT0_S9_ifPKiSB_iPKfiiiSD_SD_iiiii ; -- Begin function _ZN4vllm25paged_attention_v2_kernelIthLi96ELi8ELi128ELNS_18Fp8KVCacheDataTypeE1ELb1ELi512EEEvPfS2_PT_PKS3_PKT0_S9_ifPKiSB_iPKfiiiSD_SD_iiiii
	.globl	_ZN4vllm25paged_attention_v2_kernelIthLi96ELi8ELi128ELNS_18Fp8KVCacheDataTypeE1ELb1ELi512EEEvPfS2_PT_PKS3_PKT0_S9_ifPKiSB_iPKfiiiSD_SD_iiiii
	.p2align	8
	.type	_ZN4vllm25paged_attention_v2_kernelIthLi96ELi8ELi128ELNS_18Fp8KVCacheDataTypeE1ELb1ELi512EEEvPfS2_PT_PKS3_PKT0_S9_ifPKiSB_iPKfiiiSD_SD_iiiii,@function
_ZN4vllm25paged_attention_v2_kernelIthLi96ELi8ELi128ELNS_18Fp8KVCacheDataTypeE1ELb1ELi512EEEvPfS2_PT_PKS3_PKT0_S9_ifPKiSB_iPKfiiiSD_SD_iiiii: ; @_ZN4vllm25paged_attention_v2_kernelIthLi96ELi8ELi128ELNS_18Fp8KVCacheDataTypeE1ELb1ELi512EEEvPfS2_PT_PKS3_PKT0_S9_ifPKiSB_iPKfiiiSD_SD_iiiii
; %bb.0:
	s_load_dwordx2 s[0:1], s[4:5], 0x40
	s_mov_b32 s36, s7
	s_ashr_i32 s37, s7, 31
	s_lshl_b64 s[2:3], s[36:37], 2
	s_waitcnt lgkmcnt(0)
	s_add_u32 s0, s0, s2
	s_addc_u32 s1, s1, s3
	s_load_dword s33, s[0:1], 0x0
	s_lshl_b32 s57, s8, 9
	s_waitcnt lgkmcnt(0)
	s_cmp_ge_i32 s57, s33
	s_cbranch_scc1 .LBB260_237
; %bb.1:
	s_load_dword s9, s[4:5], 0x90
	s_load_dwordx2 s[44:45], s[4:5], 0x30
	s_waitcnt lgkmcnt(0)
	s_abs_i32 s2, s9
	s_abs_i32 s0, s44
	v_cvt_f32_u32_e32 v1, s0
	s_sub_i32 s3, 0, s0
	s_xor_b32 s1, s9, s44
	s_ashr_i32 s1, s1, 31
	v_rcp_iflag_f32_e32 v1, v1
	v_mul_f32_e32 v1, 0x4f7ffffe, v1
	v_cvt_u32_f32_e32 v1, v1
	v_readfirstlane_b32 s7, v1
	s_mul_i32 s3, s3, s7
	s_mul_hi_u32 s3, s7, s3
	s_add_i32 s7, s7, s3
	s_mul_hi_u32 s3, s2, s7
	s_mul_i32 s7, s3, s0
	s_sub_i32 s2, s2, s7
	s_add_i32 s10, s3, 1
	s_sub_i32 s7, s2, s0
	s_cmp_ge_u32 s2, s0
	s_cselect_b32 s3, s10, s3
	s_cselect_b32 s2, s7, s2
	s_add_i32 s7, s3, 1
	s_cmp_ge_u32 s2, s0
	s_cselect_b32 s0, s7, s3
	s_xor_b32 s0, s0, s1
	s_sub_i32 s2, s0, s1
	s_abs_i32 s10, s2
	v_cvt_f32_u32_e32 v1, s10
	s_load_dwordx2 s[0:1], s[4:5], 0x50
	s_sub_i32 s3, 0, s10
	s_abs_i32 s11, s6
	v_rcp_iflag_f32_e32 v1, v1
	s_mov_b32 s7, 0
	v_mul_f32_e32 v1, 0x4f7ffffe, v1
	v_cvt_u32_f32_e32 v1, v1
	v_readfirstlane_b32 s12, v1
	s_mul_i32 s3, s3, s12
	s_mul_hi_u32 s3, s12, s3
	s_add_i32 s12, s12, s3
	s_waitcnt lgkmcnt(0)
	s_cmp_eq_u64 s[0:1], 0
	s_mul_hi_u32 s12, s11, s12
	s_cbranch_scc1 .LBB260_3
; %bb.2:
	s_ashr_i32 s7, s6, 31
	s_lshl_b64 s[14:15], s[6:7], 2
	s_add_u32 s0, s0, s14
	s_addc_u32 s1, s1, s15
	s_load_dword s7, s[0:1], 0x0
.LBB260_3:
	s_load_dwordx4 s[20:23], s[4:5], 0x58
	s_movk_i32 s0, 0x60
	s_ashr_i32 s13, s6, 31
	s_ashr_i32 s16, s2, 31
	v_and_b32_e32 v4, 7, v0
	s_mul_i32 s14, s6, 0x60
	v_cmp_gt_u32_e64 s[0:1], s0, v0
	v_lshlrev_b32_e32 v1, 1, v0
	s_and_saveexec_b64 s[2:3], s[0:1]
	s_cbranch_execz .LBB260_5
; %bb.4:
	s_load_dwordx2 s[18:19], s[4:5], 0x18
	s_waitcnt lgkmcnt(0)
	s_mul_i32 s24, s36, s20
	s_ashr_i32 s25, s24, 31
	s_lshl_b64 s[24:25], s[24:25], 1
	v_lshrrev_b32_e32 v3, 2, v0
	s_add_u32 s17, s18, s24
	s_addc_u32 s20, s19, s25
	s_ashr_i32 s15, s14, 31
	s_lshl_b64 s[18:19], s[14:15], 1
	s_add_u32 s18, s17, s18
	s_addc_u32 s19, s20, s19
	global_load_ushort v2, v1, s[18:19]
	v_and_b32_e32 v3, 0xfe, v3
	v_mad_u32_u24 v3, v4, 24, v3
	s_waitcnt vmcnt(0)
	ds_write_b16 v3, v2
.LBB260_5:
	s_or_b64 exec, exec, s[2:3]
	s_mul_i32 s3, s12, s10
	s_sub_i32 s3, s11, s3
	s_xor_b32 s2, s13, s16
	s_add_i32 s11, s12, 1
	s_sub_i32 s13, s3, s10
	s_load_dwordx4 s[24:27], s[4:5], 0x78
	s_cmp_ge_u32 s3, s10
	s_cselect_b32 s11, s11, s12
	s_cselect_b32 s3, s13, s3
	s_load_dword s13, s[4:5], 0x88
	s_add_i32 s12, s11, 1
	s_cmp_ge_u32 s3, s10
	s_cselect_b32 s3, s12, s11
	s_waitcnt lgkmcnt(0)
	s_abs_i32 s37, s27
	v_cvt_f32_u32_e32 v2, s37
	s_xor_b32 s3, s3, s2
	s_sub_i32 s10, s3, s2
	s_sub_i32 s2, 0, s37
	v_rcp_iflag_f32_e32 v2, v2
	s_add_i32 s15, s33, -1
	s_abs_i32 s11, s15
	v_mul_f32_e32 v2, 0x4f7ffffe, v2
	v_cvt_u32_f32_e32 v2, v2
	s_barrier
	v_readfirstlane_b32 s54, v2
	s_mul_i32 s2, s2, s54
	s_mul_hi_u32 s2, s54, s2
	s_add_i32 s54, s54, s2
	s_cmp_lt_i32 s13, 0
	s_mul_hi_u32 s12, s11, s54
	s_cbranch_scc0 .LBB260_7
; %bb.6:
	s_mul_i32 s2, s24, s44
	s_add_i32 s2, s10, s2
	s_mul_i32 s2, s2, s13
	s_sub_i32 s44, 1, s2
	s_mov_b64 s[2:3], 0
	s_branch .LBB260_8
.LBB260_7:
	s_mov_b64 s[2:3], -1
                                        ; implicit-def: $sgpr44
.LBB260_8:
	s_load_dwordx2 s[38:39], s[4:5], 0x38
	s_ashr_i32 s20, s15, 31
	s_andn2_b64 vcc, exec, s[2:3]
	s_ashr_i32 s55, s27, 31
	s_cbranch_vccnz .LBB260_10
; %bb.9:
	s_mul_i32 s2, s9, s24
	s_add_i32 s2, s2, s6
	s_mul_i32 s2, s2, s13
	s_add_i32 s44, s2, 1
.LBB260_10:
	s_load_dwordx2 s[42:43], s[4:5], 0x28
	s_load_dword s2, s[4:5], 0x48
	s_load_dwordx4 s[28:31], s[4:5], 0x0
	s_load_dwordx2 s[34:35], s[4:5], 0x10
	s_load_dword s15, s[4:5], 0x98
	s_load_dwordx4 s[16:19], s[4:5], 0x68
	s_mul_i32 s3, s12, s37
	s_waitcnt lgkmcnt(0)
	s_mul_i32 s40, s36, s2
	s_sub_i32 s3, s11, s3
	s_ashr_i32 s41, s40, 31
	s_xor_b32 s2, s20, s55
	s_add_i32 s11, s12, 1
	s_sub_i32 s13, s3, s37
	s_cmp_ge_u32 s3, s37
	s_cselect_b32 s11, s11, s12
	s_cselect_b32 s3, s13, s3
	s_add_i32 s12, s11, 1
	s_cmp_ge_u32 s3, s37
	s_cselect_b32 s3, s12, s11
	s_xor_b32 s3, s3, s2
	s_sub_i32 s24, s3, s2
	s_add_i32 s2, s33, 7
	s_ashr_i32 s3, s2, 31
	s_lshr_b32 s3, s3, 29
	s_add_i32 s2, s2, s3
	s_lshl_b32 s58, s8, 6
	s_ashr_i32 s20, s2, 3
	s_add_i32 s2, s58, 64
	v_lshrrev_b32_e32 v14, 6, v0
	s_min_i32 s56, s2, s20
	v_or_b32_e32 v2, s58, v14
	v_cmp_gt_i32_e64 s[2:3], s56, v2
	v_mov_b32_e32 v17, 0xff7fffff
	s_mul_i32 s27, s10, s22
	v_ashrrev_i32_e32 v3, 31, v2
	v_lshl_add_u32 v24, v14, 3, s57
	v_mbcnt_lo_u32_b32 v5, -1, 0
	s_and_saveexec_b64 s[22:23], s[2:3]
	s_cbranch_execz .LBB260_92
; %bb.11:
	s_load_dwordx2 s[4:5], s[4:5], 0x20
	s_sub_i32 s59, s24, s25
	s_ashr_i32 s10, s27, 31
	v_bfe_u32 v13, v0, 3, 3
	v_lshlrev_b32_e32 v7, 4, v13
	s_waitcnt lgkmcnt(0)
	s_add_u32 s4, s4, s27
	s_addc_u32 s5, s5, s10
	s_abs_i32 s61, s26
	v_cvt_f32_u32_e32 v6, s61
	v_mov_b32_e32 v8, s5
	s_sub_i32 s10, 0, s61
	v_cmp_eq_u32_e32 vcc, 0, v4
	v_rcp_iflag_f32_e32 v9, v6
	v_add_co_u32_e64 v6, s[4:5], s4, v7
	v_addc_co_u32_e64 v7, s[4:5], 0, v8, s[4:5]
	v_mul_f32_e32 v8, 0x4f7ffffe, v9
	v_cvt_u32_f32_e32 v8, v8
	s_mov_b32 s60, s21
	v_mov_b32_e32 v15, 0
	v_mul_u32_u24_e32 v16, 24, v4
	v_mul_lo_u32 v9, s10, v8
	s_lshl_b64 s[10:11], s[40:41], 2
	v_mul_hi_u32 v9, v8, v9
	s_add_u32 s10, s38, s10
	v_add_u32_e32 v18, v8, v9
	v_lshlrev_b64 v[8:9], 2, v[2:3]
	s_addc_u32 s11, s39, s11
	v_mov_b32_e32 v10, s11
	v_add_co_u32_e64 v8, s[10:11], s10, v8
	v_addc_co_u32_e64 v9, s[10:11], v10, v9, s[10:11]
	v_lshlrev_b32_e32 v10, 2, v13
	v_lshl_or_b32 v10, v14, 5, v10
	v_add_u32_e32 v20, 0xd0, v10
	v_subrev_u32_e32 v10, s33, v13
	v_cmp_neq_f32_e64 s[4:5], s7, 0
	v_lshl_add_u32 v19, v14, 3, s57
	v_add_u32_e32 v21, 1, v10
	s_mov_b64 s[46:47], 0
	v_mov_b32_e32 v22, 0xff7fffff
	s_movk_i32 s62, 0x80
	s_movk_i32 s63, 0x7f
	v_bfrev_b32_e32 v23, 60
	v_mbcnt_hi_u32_b32 v25, -1, v5
	v_mov_b32_e32 v17, 0xff7fffff
	v_mov_b32_e32 v26, v2
	s_branch .LBB260_14
.LBB260_12:                             ;   in Loop: Header=BB260_14 Depth=1
	s_or_b64 exec, exec, s[48:49]
.LBB260_13:                             ;   in Loop: Header=BB260_14 Depth=1
	s_or_b64 exec, exec, s[12:13]
	v_add_co_u32_e64 v8, s[10:11], 8, v8
	v_add_u32_e32 v26, 2, v26
	v_addc_co_u32_e64 v9, s[10:11], 0, v9, s[10:11]
	v_cmp_le_i32_e64 s[10:11], s56, v26
	v_add_u32_e32 v19, 16, v19
	s_or_b64 s[46:47], s[10:11], s[46:47]
	v_add_u32_e32 v20, 64, v20
	s_andn2_b64 exec, exec, s[46:47]
	s_cbranch_execz .LBB260_91
.LBB260_14:                             ; =>This Inner Loop Header: Depth=1
	s_waitcnt lgkmcnt(0)
	v_sub_u32_e32 v11, 0, v19
	v_max_i32_e32 v11, v19, v11
	v_mul_hi_u32 v12, v11, s54
	v_mul_lo_u32 v27, v12, s37
	v_sub_u32_e32 v11, v11, v27
	v_add_u32_e32 v27, 1, v12
	v_cmp_le_u32_e64 s[10:11], s37, v11
	v_cndmask_b32_e64 v12, v12, v27, s[10:11]
	v_subrev_u32_e32 v27, s37, v11
	v_cndmask_b32_e64 v11, v11, v27, s[10:11]
	v_ashrrev_i32_e32 v10, 31, v19
	v_add_u32_e32 v27, 1, v12
	v_cmp_le_u32_e64 s[10:11], s37, v11
	v_xor_b32_e32 v10, s55, v10
	v_cndmask_b32_e64 v11, v12, v27, s[10:11]
	v_xor_b32_e32 v11, v11, v10
	v_sub_u32_e32 v10, v11, v10
	v_add_u32_e32 v11, s44, v10
	v_sub_u32_e32 v27, 0, v11
	v_ashrrev_i32_e32 v12, 31, v11
	v_max_i32_e32 v11, v11, v27
	v_mul_hi_u32 v27, v11, v18
	v_mul_lo_u32 v27, v27, s61
	v_sub_u32_e32 v11, v11, v27
	v_subrev_u32_e32 v27, s61, v11
	v_cmp_le_u32_e64 s[10:11], s61, v11
	v_cndmask_b32_e64 v11, v11, v27, s[10:11]
	v_subrev_u32_e32 v27, s61, v11
	v_cmp_le_u32_e64 s[10:11], s61, v11
	v_cndmask_b32_e64 v11, v11, v27, s[10:11]
	v_xor_b32_e32 v11, v11, v12
	v_sub_u32_e32 v11, v11, v12
	v_cmp_ne_u32_e64 s[10:11], 0, v11
	v_cmp_ge_i32_e64 s[12:13], s59, v10
	s_and_b64 s[10:11], s[10:11], s[12:13]
	s_and_b64 s[48:49], vcc, s[10:11]
	s_and_saveexec_b64 s[12:13], s[48:49]
	s_cbranch_execz .LBB260_16
; %bb.15:                               ;   in Loop: Header=BB260_14 Depth=1
	ds_write_b32 v20, v22
.LBB260_16:                             ;   in Loop: Header=BB260_14 Depth=1
	s_or_b64 exec, exec, s[12:13]
	s_xor_b64 s[10:11], s[10:11], -1
	s_and_saveexec_b64 s[12:13], s[10:11]
	s_cbranch_execz .LBB260_13
; %bb.17:                               ;   in Loop: Header=BB260_14 Depth=1
	global_load_dword v10, v[8:9], off
	v_mov_b32_e32 v28, 0
	v_mov_b32_e32 v29, 0
	s_waitcnt vmcnt(0)
	v_mad_i64_i32 v[10:11], s[10:11], v10, s60, v[6:7]
	v_add_co_u32_e64 v10, s[10:11], v10, v4
	v_addc_co_u32_e64 v11, s[10:11], 0, v11, s[10:11]
	global_load_ubyte v30, v[10:11], off
	global_load_dword v27, v15, s[16:17]
	s_waitcnt vmcnt(1)
	v_cmp_ne_u16_e64 s[10:11], 0, v30
	s_and_saveexec_b64 s[48:49], s[10:11]
	s_cbranch_execz .LBB260_23
; %bb.18:                               ;   in Loop: Header=BB260_14 Depth=1
	v_cmp_ne_u16_e64 s[10:11], s62, v30
	v_bfrev_b32_e32 v29, 1
	s_and_saveexec_b64 s[50:51], s[10:11]
	s_cbranch_execz .LBB260_22
; %bb.19:                               ;   in Loop: Header=BB260_14 Depth=1
	v_and_b32_e32 v12, 0xffff, v30
	v_and_b32_e32 v31, 0x7f, v12
	v_cmp_ne_u32_e64 s[10:11], s63, v31
	v_mov_b32_e32 v29, 0x7f800001
	s_and_saveexec_b64 s[52:53], s[10:11]
	s_cbranch_execz .LBB260_21
; %bb.20:                               ;   in Loop: Header=BB260_14 Depth=1
	v_and_b32_e32 v29, 7, v12
	v_ffbh_u32_e32 v32, v29
	v_min_u32_e32 v35, 32, v32
	v_subrev_u32_e32 v32, 28, v35
	v_lshlrev_b64 v[32:33], v32, v[12:13]
	v_lshrrev_b32_e32 v34, 3, v31
	v_sub_u32_e32 v12, 29, v35
	v_and_b32_e32 v32, 7, v32
	v_cmp_gt_u32_e64 s[10:11], 8, v31
	v_cndmask_b32_e64 v12, v34, v12, s[10:11]
	v_cndmask_b32_e64 v29, v29, v32, s[10:11]
	v_lshlrev_b32_e32 v30, 24, v30
	v_lshlrev_b32_e32 v29, 20, v29
	v_and_b32_e32 v30, 0x80000000, v30
	v_lshl_add_u32 v12, v12, 23, v23
	v_or3_b32 v29, v30, v12, v29
.LBB260_21:                             ;   in Loop: Header=BB260_14 Depth=1
	s_or_b64 exec, exec, s[52:53]
.LBB260_22:                             ;   in Loop: Header=BB260_14 Depth=1
	s_or_b64 exec, exec, s[50:51]
.LBB260_23:                             ;   in Loop: Header=BB260_14 Depth=1
	s_or_b64 exec, exec, s[48:49]
	global_load_ubyte v30, v[10:11], off offset:8
	s_waitcnt vmcnt(0)
	v_cmp_ne_u16_e64 s[10:11], 0, v30
	s_and_saveexec_b64 s[48:49], s[10:11]
	s_cbranch_execz .LBB260_29
; %bb.24:                               ;   in Loop: Header=BB260_14 Depth=1
	v_cmp_ne_u16_e64 s[10:11], s62, v30
	v_bfrev_b32_e32 v28, 1
	s_and_saveexec_b64 s[50:51], s[10:11]
	s_cbranch_execz .LBB260_28
; %bb.25:                               ;   in Loop: Header=BB260_14 Depth=1
	v_and_b32_e32 v12, 0xffff, v30
	v_and_b32_e32 v31, 0x7f, v12
	v_cmp_ne_u32_e64 s[10:11], s63, v31
	v_mov_b32_e32 v28, 0x7f800001
	s_and_saveexec_b64 s[52:53], s[10:11]
	s_cbranch_execz .LBB260_27
; %bb.26:                               ;   in Loop: Header=BB260_14 Depth=1
	v_and_b32_e32 v28, 7, v12
	v_ffbh_u32_e32 v32, v28
	v_min_u32_e32 v35, 32, v32
	v_subrev_u32_e32 v32, 28, v35
	v_lshlrev_b64 v[32:33], v32, v[12:13]
	v_lshrrev_b32_e32 v34, 3, v31
	v_sub_u32_e32 v12, 29, v35
	v_and_b32_e32 v32, 7, v32
	v_cmp_gt_u32_e64 s[10:11], 8, v31
	v_cndmask_b32_e64 v12, v34, v12, s[10:11]
	v_cndmask_b32_e64 v28, v28, v32, s[10:11]
	v_lshlrev_b32_e32 v30, 24, v30
	v_lshlrev_b32_e32 v28, 20, v28
	v_and_b32_e32 v30, 0x80000000, v30
	v_lshl_add_u32 v12, v12, 23, v23
	v_or3_b32 v28, v30, v12, v28
.LBB260_27:                             ;   in Loop: Header=BB260_14 Depth=1
	s_or_b64 exec, exec, s[52:53]
.LBB260_28:                             ;   in Loop: Header=BB260_14 Depth=1
	s_or_b64 exec, exec, s[50:51]
.LBB260_29:                             ;   in Loop: Header=BB260_14 Depth=1
	s_or_b64 exec, exec, s[48:49]
	global_load_ubyte v32, v[10:11], off offset:128
	v_mov_b32_e32 v30, 0
	v_mov_b32_e32 v31, 0
	s_waitcnt vmcnt(0)
	v_cmp_ne_u16_e64 s[10:11], 0, v32
	s_and_saveexec_b64 s[48:49], s[10:11]
	s_cbranch_execz .LBB260_35
; %bb.30:                               ;   in Loop: Header=BB260_14 Depth=1
	v_cmp_ne_u16_e64 s[10:11], s62, v32
	v_bfrev_b32_e32 v31, 1
	s_and_saveexec_b64 s[50:51], s[10:11]
	s_cbranch_execz .LBB260_34
; %bb.31:                               ;   in Loop: Header=BB260_14 Depth=1
	v_and_b32_e32 v12, 0xffff, v32
	v_and_b32_e32 v33, 0x7f, v12
	v_cmp_ne_u32_e64 s[10:11], s63, v33
	v_mov_b32_e32 v31, 0x7f800001
	s_and_saveexec_b64 s[52:53], s[10:11]
	s_cbranch_execz .LBB260_33
; %bb.32:                               ;   in Loop: Header=BB260_14 Depth=1
	v_and_b32_e32 v31, 7, v12
	v_ffbh_u32_e32 v34, v31
	v_min_u32_e32 v37, 32, v34
	v_subrev_u32_e32 v34, 28, v37
	v_lshlrev_b64 v[34:35], v34, v[12:13]
	v_lshrrev_b32_e32 v36, 3, v33
	v_sub_u32_e32 v12, 29, v37
	v_and_b32_e32 v34, 7, v34
	v_cmp_gt_u32_e64 s[10:11], 8, v33
	v_cndmask_b32_e64 v12, v36, v12, s[10:11]
	v_cndmask_b32_e64 v31, v31, v34, s[10:11]
	v_lshlrev_b32_e32 v32, 24, v32
	v_lshlrev_b32_e32 v31, 20, v31
	v_and_b32_e32 v32, 0x80000000, v32
	v_lshl_add_u32 v12, v12, 23, v23
	v_or3_b32 v31, v32, v12, v31
.LBB260_33:                             ;   in Loop: Header=BB260_14 Depth=1
	s_or_b64 exec, exec, s[52:53]
.LBB260_34:                             ;   in Loop: Header=BB260_14 Depth=1
	s_or_b64 exec, exec, s[50:51]
.LBB260_35:                             ;   in Loop: Header=BB260_14 Depth=1
	s_or_b64 exec, exec, s[48:49]
	global_load_ubyte v32, v[10:11], off offset:136
	s_waitcnt vmcnt(0)
	v_cmp_ne_u16_e64 s[10:11], 0, v32
	s_and_saveexec_b64 s[48:49], s[10:11]
	s_cbranch_execz .LBB260_41
; %bb.36:                               ;   in Loop: Header=BB260_14 Depth=1
	v_cmp_ne_u16_e64 s[10:11], s62, v32
	v_bfrev_b32_e32 v30, 1
	s_and_saveexec_b64 s[50:51], s[10:11]
	s_cbranch_execz .LBB260_40
; %bb.37:                               ;   in Loop: Header=BB260_14 Depth=1
	v_and_b32_e32 v12, 0xffff, v32
	v_and_b32_e32 v33, 0x7f, v12
	v_cmp_ne_u32_e64 s[10:11], s63, v33
	v_mov_b32_e32 v30, 0x7f800001
	s_and_saveexec_b64 s[52:53], s[10:11]
	s_cbranch_execz .LBB260_39
; %bb.38:                               ;   in Loop: Header=BB260_14 Depth=1
	v_and_b32_e32 v30, 7, v12
	v_ffbh_u32_e32 v34, v30
	v_min_u32_e32 v37, 32, v34
	v_subrev_u32_e32 v34, 28, v37
	v_lshlrev_b64 v[34:35], v34, v[12:13]
	v_lshrrev_b32_e32 v36, 3, v33
	v_sub_u32_e32 v12, 29, v37
	v_and_b32_e32 v34, 7, v34
	v_cmp_gt_u32_e64 s[10:11], 8, v33
	v_cndmask_b32_e64 v12, v36, v12, s[10:11]
	v_cndmask_b32_e64 v30, v30, v34, s[10:11]
	v_lshlrev_b32_e32 v32, 24, v32
	v_lshlrev_b32_e32 v30, 20, v30
	v_and_b32_e32 v32, 0x80000000, v32
	v_lshl_add_u32 v12, v12, 23, v23
	v_or3_b32 v30, v32, v12, v30
.LBB260_39:                             ;   in Loop: Header=BB260_14 Depth=1
	s_or_b64 exec, exec, s[52:53]
.LBB260_40:                             ;   in Loop: Header=BB260_14 Depth=1
	s_or_b64 exec, exec, s[50:51]
.LBB260_41:                             ;   in Loop: Header=BB260_14 Depth=1
	s_or_b64 exec, exec, s[48:49]
	global_load_ubyte v34, v[10:11], off offset:256
	v_mov_b32_e32 v32, 0
	v_mov_b32_e32 v33, 0
	s_waitcnt vmcnt(0)
	v_cmp_ne_u16_e64 s[10:11], 0, v34
	s_and_saveexec_b64 s[48:49], s[10:11]
	s_cbranch_execz .LBB260_47
; %bb.42:                               ;   in Loop: Header=BB260_14 Depth=1
	v_cmp_ne_u16_e64 s[10:11], s62, v34
	v_bfrev_b32_e32 v33, 1
	s_and_saveexec_b64 s[50:51], s[10:11]
	s_cbranch_execz .LBB260_46
; %bb.43:                               ;   in Loop: Header=BB260_14 Depth=1
	v_and_b32_e32 v12, 0xffff, v34
	v_and_b32_e32 v35, 0x7f, v12
	v_cmp_ne_u32_e64 s[10:11], s63, v35
	v_mov_b32_e32 v33, 0x7f800001
	s_and_saveexec_b64 s[52:53], s[10:11]
	s_cbranch_execz .LBB260_45
; %bb.44:                               ;   in Loop: Header=BB260_14 Depth=1
	v_and_b32_e32 v33, 7, v12
	v_ffbh_u32_e32 v36, v33
	v_min_u32_e32 v39, 32, v36
	v_subrev_u32_e32 v36, 28, v39
	v_lshlrev_b64 v[36:37], v36, v[12:13]
	v_lshrrev_b32_e32 v38, 3, v35
	v_sub_u32_e32 v12, 29, v39
	v_and_b32_e32 v36, 7, v36
	v_cmp_gt_u32_e64 s[10:11], 8, v35
	v_cndmask_b32_e64 v12, v38, v12, s[10:11]
	v_cndmask_b32_e64 v33, v33, v36, s[10:11]
	v_lshlrev_b32_e32 v34, 24, v34
	v_lshlrev_b32_e32 v33, 20, v33
	v_and_b32_e32 v34, 0x80000000, v34
	v_lshl_add_u32 v12, v12, 23, v23
	v_or3_b32 v33, v34, v12, v33
.LBB260_45:                             ;   in Loop: Header=BB260_14 Depth=1
	s_or_b64 exec, exec, s[52:53]
.LBB260_46:                             ;   in Loop: Header=BB260_14 Depth=1
	s_or_b64 exec, exec, s[50:51]
.LBB260_47:                             ;   in Loop: Header=BB260_14 Depth=1
	s_or_b64 exec, exec, s[48:49]
	global_load_ubyte v34, v[10:11], off offset:264
	s_waitcnt vmcnt(0)
	v_cmp_ne_u16_e64 s[10:11], 0, v34
	s_and_saveexec_b64 s[48:49], s[10:11]
	s_cbranch_execz .LBB260_53
; %bb.48:                               ;   in Loop: Header=BB260_14 Depth=1
	v_cmp_ne_u16_e64 s[10:11], s62, v34
	v_bfrev_b32_e32 v32, 1
	s_and_saveexec_b64 s[50:51], s[10:11]
	s_cbranch_execz .LBB260_52
; %bb.49:                               ;   in Loop: Header=BB260_14 Depth=1
	v_and_b32_e32 v12, 0xffff, v34
	v_and_b32_e32 v35, 0x7f, v12
	v_cmp_ne_u32_e64 s[10:11], s63, v35
	v_mov_b32_e32 v32, 0x7f800001
	s_and_saveexec_b64 s[52:53], s[10:11]
	s_cbranch_execz .LBB260_51
; %bb.50:                               ;   in Loop: Header=BB260_14 Depth=1
	v_and_b32_e32 v32, 7, v12
	v_ffbh_u32_e32 v36, v32
	v_min_u32_e32 v39, 32, v36
	v_subrev_u32_e32 v36, 28, v39
	v_lshlrev_b64 v[36:37], v36, v[12:13]
	v_lshrrev_b32_e32 v38, 3, v35
	v_sub_u32_e32 v12, 29, v39
	v_and_b32_e32 v36, 7, v36
	v_cmp_gt_u32_e64 s[10:11], 8, v35
	v_cndmask_b32_e64 v12, v38, v12, s[10:11]
	v_cndmask_b32_e64 v32, v32, v36, s[10:11]
	v_lshlrev_b32_e32 v34, 24, v34
	v_lshlrev_b32_e32 v32, 20, v32
	v_and_b32_e32 v34, 0x80000000, v34
	v_lshl_add_u32 v12, v12, 23, v23
	v_or3_b32 v32, v34, v12, v32
.LBB260_51:                             ;   in Loop: Header=BB260_14 Depth=1
	s_or_b64 exec, exec, s[52:53]
.LBB260_52:                             ;   in Loop: Header=BB260_14 Depth=1
	s_or_b64 exec, exec, s[50:51]
.LBB260_53:                             ;   in Loop: Header=BB260_14 Depth=1
	s_or_b64 exec, exec, s[48:49]
	global_load_ubyte v36, v[10:11], off offset:384
	v_mov_b32_e32 v34, 0
	v_mov_b32_e32 v35, 0
	s_waitcnt vmcnt(0)
	v_cmp_ne_u16_e64 s[10:11], 0, v36
	s_and_saveexec_b64 s[48:49], s[10:11]
	s_cbranch_execz .LBB260_59
; %bb.54:                               ;   in Loop: Header=BB260_14 Depth=1
	v_cmp_ne_u16_e64 s[10:11], s62, v36
	v_bfrev_b32_e32 v35, 1
	s_and_saveexec_b64 s[50:51], s[10:11]
	s_cbranch_execz .LBB260_58
; %bb.55:                               ;   in Loop: Header=BB260_14 Depth=1
	v_and_b32_e32 v12, 0xffff, v36
	v_and_b32_e32 v37, 0x7f, v12
	v_cmp_ne_u32_e64 s[10:11], s63, v37
	v_mov_b32_e32 v35, 0x7f800001
	s_and_saveexec_b64 s[52:53], s[10:11]
	s_cbranch_execz .LBB260_57
; %bb.56:                               ;   in Loop: Header=BB260_14 Depth=1
	v_and_b32_e32 v35, 7, v12
	v_ffbh_u32_e32 v38, v35
	v_min_u32_e32 v41, 32, v38
	v_subrev_u32_e32 v38, 28, v41
	v_lshlrev_b64 v[38:39], v38, v[12:13]
	v_lshrrev_b32_e32 v40, 3, v37
	v_sub_u32_e32 v12, 29, v41
	v_and_b32_e32 v38, 7, v38
	v_cmp_gt_u32_e64 s[10:11], 8, v37
	v_cndmask_b32_e64 v12, v40, v12, s[10:11]
	v_cndmask_b32_e64 v35, v35, v38, s[10:11]
	v_lshlrev_b32_e32 v36, 24, v36
	v_lshlrev_b32_e32 v35, 20, v35
	v_and_b32_e32 v36, 0x80000000, v36
	v_lshl_add_u32 v12, v12, 23, v23
	v_or3_b32 v35, v36, v12, v35
.LBB260_57:                             ;   in Loop: Header=BB260_14 Depth=1
	s_or_b64 exec, exec, s[52:53]
.LBB260_58:                             ;   in Loop: Header=BB260_14 Depth=1
	s_or_b64 exec, exec, s[50:51]
.LBB260_59:                             ;   in Loop: Header=BB260_14 Depth=1
	s_or_b64 exec, exec, s[48:49]
	global_load_ubyte v36, v[10:11], off offset:392
	s_waitcnt vmcnt(0)
	v_cmp_ne_u16_e64 s[10:11], 0, v36
	s_and_saveexec_b64 s[48:49], s[10:11]
	s_cbranch_execz .LBB260_65
; %bb.60:                               ;   in Loop: Header=BB260_14 Depth=1
	v_cmp_ne_u16_e64 s[10:11], s62, v36
	v_bfrev_b32_e32 v34, 1
	s_and_saveexec_b64 s[50:51], s[10:11]
	s_cbranch_execz .LBB260_64
; %bb.61:                               ;   in Loop: Header=BB260_14 Depth=1
	v_and_b32_e32 v12, 0xffff, v36
	v_and_b32_e32 v37, 0x7f, v12
	v_cmp_ne_u32_e64 s[10:11], s63, v37
	v_mov_b32_e32 v34, 0x7f800001
	s_and_saveexec_b64 s[52:53], s[10:11]
	s_cbranch_execz .LBB260_63
; %bb.62:                               ;   in Loop: Header=BB260_14 Depth=1
	v_and_b32_e32 v34, 7, v12
	v_ffbh_u32_e32 v38, v34
	v_min_u32_e32 v41, 32, v38
	v_subrev_u32_e32 v38, 28, v41
	v_lshlrev_b64 v[38:39], v38, v[12:13]
	v_lshrrev_b32_e32 v40, 3, v37
	v_sub_u32_e32 v12, 29, v41
	v_and_b32_e32 v38, 7, v38
	v_cmp_gt_u32_e64 s[10:11], 8, v37
	v_cndmask_b32_e64 v12, v40, v12, s[10:11]
	v_cndmask_b32_e64 v34, v34, v38, s[10:11]
	v_lshlrev_b32_e32 v36, 24, v36
	v_lshlrev_b32_e32 v34, 20, v34
	v_and_b32_e32 v36, 0x80000000, v36
	v_lshl_add_u32 v12, v12, 23, v23
	v_or3_b32 v34, v36, v12, v34
.LBB260_63:                             ;   in Loop: Header=BB260_14 Depth=1
	s_or_b64 exec, exec, s[52:53]
.LBB260_64:                             ;   in Loop: Header=BB260_14 Depth=1
	s_or_b64 exec, exec, s[50:51]
.LBB260_65:                             ;   in Loop: Header=BB260_14 Depth=1
	s_or_b64 exec, exec, s[48:49]
	global_load_ubyte v38, v[10:11], off offset:512
	v_mov_b32_e32 v36, 0
	v_mov_b32_e32 v37, 0
	s_waitcnt vmcnt(0)
	v_cmp_ne_u16_e64 s[10:11], 0, v38
	s_and_saveexec_b64 s[48:49], s[10:11]
	s_cbranch_execz .LBB260_71
; %bb.66:                               ;   in Loop: Header=BB260_14 Depth=1
	v_cmp_ne_u16_e64 s[10:11], s62, v38
	v_bfrev_b32_e32 v37, 1
	s_and_saveexec_b64 s[50:51], s[10:11]
	s_cbranch_execz .LBB260_70
; %bb.67:                               ;   in Loop: Header=BB260_14 Depth=1
	v_and_b32_e32 v12, 0xffff, v38
	v_and_b32_e32 v39, 0x7f, v12
	v_cmp_ne_u32_e64 s[10:11], s63, v39
	v_mov_b32_e32 v37, 0x7f800001
	s_and_saveexec_b64 s[52:53], s[10:11]
	s_cbranch_execz .LBB260_69
; %bb.68:                               ;   in Loop: Header=BB260_14 Depth=1
	v_and_b32_e32 v37, 7, v12
	v_ffbh_u32_e32 v40, v37
	v_min_u32_e32 v43, 32, v40
	v_subrev_u32_e32 v40, 28, v43
	v_lshlrev_b64 v[40:41], v40, v[12:13]
	v_lshrrev_b32_e32 v42, 3, v39
	v_sub_u32_e32 v12, 29, v43
	v_and_b32_e32 v40, 7, v40
	v_cmp_gt_u32_e64 s[10:11], 8, v39
	v_cndmask_b32_e64 v12, v42, v12, s[10:11]
	v_cndmask_b32_e64 v37, v37, v40, s[10:11]
	v_lshlrev_b32_e32 v38, 24, v38
	v_lshlrev_b32_e32 v37, 20, v37
	v_and_b32_e32 v38, 0x80000000, v38
	v_lshl_add_u32 v12, v12, 23, v23
	v_or3_b32 v37, v38, v12, v37
.LBB260_69:                             ;   in Loop: Header=BB260_14 Depth=1
	s_or_b64 exec, exec, s[52:53]
.LBB260_70:                             ;   in Loop: Header=BB260_14 Depth=1
	s_or_b64 exec, exec, s[50:51]
.LBB260_71:                             ;   in Loop: Header=BB260_14 Depth=1
	s_or_b64 exec, exec, s[48:49]
	global_load_ubyte v38, v[10:11], off offset:520
	s_waitcnt vmcnt(0)
	v_cmp_ne_u16_e64 s[10:11], 0, v38
	s_and_saveexec_b64 s[48:49], s[10:11]
	s_cbranch_execz .LBB260_77
; %bb.72:                               ;   in Loop: Header=BB260_14 Depth=1
	v_cmp_ne_u16_e64 s[10:11], s62, v38
	v_bfrev_b32_e32 v36, 1
	s_and_saveexec_b64 s[50:51], s[10:11]
	s_cbranch_execz .LBB260_76
; %bb.73:                               ;   in Loop: Header=BB260_14 Depth=1
	v_and_b32_e32 v12, 0xffff, v38
	v_and_b32_e32 v39, 0x7f, v12
	v_cmp_ne_u32_e64 s[10:11], s63, v39
	v_mov_b32_e32 v36, 0x7f800001
	s_and_saveexec_b64 s[52:53], s[10:11]
	s_cbranch_execz .LBB260_75
; %bb.74:                               ;   in Loop: Header=BB260_14 Depth=1
	v_and_b32_e32 v36, 7, v12
	v_ffbh_u32_e32 v40, v36
	v_min_u32_e32 v43, 32, v40
	v_subrev_u32_e32 v40, 28, v43
	v_lshlrev_b64 v[40:41], v40, v[12:13]
	v_lshrrev_b32_e32 v42, 3, v39
	v_sub_u32_e32 v12, 29, v43
	v_and_b32_e32 v40, 7, v40
	v_cmp_gt_u32_e64 s[10:11], 8, v39
	v_cndmask_b32_e64 v12, v42, v12, s[10:11]
	v_cndmask_b32_e64 v36, v36, v40, s[10:11]
	v_lshlrev_b32_e32 v38, 24, v38
	v_lshlrev_b32_e32 v36, 20, v36
	v_and_b32_e32 v38, 0x80000000, v38
	v_lshl_add_u32 v12, v12, 23, v23
	v_or3_b32 v36, v38, v12, v36
.LBB260_75:                             ;   in Loop: Header=BB260_14 Depth=1
	s_or_b64 exec, exec, s[52:53]
.LBB260_76:                             ;   in Loop: Header=BB260_14 Depth=1
	s_or_b64 exec, exec, s[50:51]
.LBB260_77:                             ;   in Loop: Header=BB260_14 Depth=1
	s_or_b64 exec, exec, s[48:49]
	global_load_ubyte v40, v[10:11], off offset:640
	v_mov_b32_e32 v38, 0
	v_mov_b32_e32 v39, 0
	s_waitcnt vmcnt(0)
	v_cmp_ne_u16_e64 s[10:11], 0, v40
	s_and_saveexec_b64 s[48:49], s[10:11]
	s_cbranch_execz .LBB260_83
; %bb.78:                               ;   in Loop: Header=BB260_14 Depth=1
	v_cmp_ne_u16_e64 s[10:11], s62, v40
	v_bfrev_b32_e32 v39, 1
	s_and_saveexec_b64 s[50:51], s[10:11]
	s_cbranch_execz .LBB260_82
; %bb.79:                               ;   in Loop: Header=BB260_14 Depth=1
	v_and_b32_e32 v12, 0xffff, v40
	v_and_b32_e32 v41, 0x7f, v12
	v_cmp_ne_u32_e64 s[10:11], s63, v41
	v_mov_b32_e32 v39, 0x7f800001
	s_and_saveexec_b64 s[52:53], s[10:11]
	s_cbranch_execz .LBB260_81
; %bb.80:                               ;   in Loop: Header=BB260_14 Depth=1
	v_and_b32_e32 v39, 7, v12
	v_ffbh_u32_e32 v42, v39
	v_min_u32_e32 v45, 32, v42
	v_subrev_u32_e32 v42, 28, v45
	v_lshlrev_b64 v[42:43], v42, v[12:13]
	v_lshrrev_b32_e32 v44, 3, v41
	v_sub_u32_e32 v12, 29, v45
	v_and_b32_e32 v42, 7, v42
	v_cmp_gt_u32_e64 s[10:11], 8, v41
	v_cndmask_b32_e64 v12, v44, v12, s[10:11]
	v_cndmask_b32_e64 v39, v39, v42, s[10:11]
	v_lshlrev_b32_e32 v40, 24, v40
	v_lshlrev_b32_e32 v39, 20, v39
	v_and_b32_e32 v40, 0x80000000, v40
	v_lshl_add_u32 v12, v12, 23, v23
	v_or3_b32 v39, v40, v12, v39
.LBB260_81:                             ;   in Loop: Header=BB260_14 Depth=1
	s_or_b64 exec, exec, s[52:53]
.LBB260_82:                             ;   in Loop: Header=BB260_14 Depth=1
	s_or_b64 exec, exec, s[50:51]
.LBB260_83:                             ;   in Loop: Header=BB260_14 Depth=1
	s_or_b64 exec, exec, s[48:49]
	global_load_ubyte v11, v[10:11], off offset:648
	s_waitcnt vmcnt(0)
	v_cmp_ne_u16_e64 s[10:11], 0, v11
	s_and_saveexec_b64 s[48:49], s[10:11]
	s_cbranch_execz .LBB260_89
; %bb.84:                               ;   in Loop: Header=BB260_14 Depth=1
	v_cmp_ne_u16_e64 s[10:11], s62, v11
	v_bfrev_b32_e32 v38, 1
	s_and_saveexec_b64 s[50:51], s[10:11]
	s_cbranch_execz .LBB260_88
; %bb.85:                               ;   in Loop: Header=BB260_14 Depth=1
	v_and_b32_e32 v10, 0xffff, v11
	v_and_b32_e32 v12, 0x7f, v10
	v_cmp_ne_u32_e64 s[10:11], s63, v12
	v_mov_b32_e32 v38, 0x7f800001
	s_and_saveexec_b64 s[52:53], s[10:11]
	s_cbranch_execz .LBB260_87
; %bb.86:                               ;   in Loop: Header=BB260_14 Depth=1
	v_and_b32_e32 v38, 7, v10
	v_ffbh_u32_e32 v40, v38
	v_min_u32_e32 v43, 32, v40
	v_subrev_u32_e32 v40, 28, v43
	v_lshlrev_b64 v[40:41], v40, v[10:11]
	v_lshrrev_b32_e32 v42, 3, v12
	v_sub_u32_e32 v10, 29, v43
	v_and_b32_e32 v40, 7, v40
	v_cmp_gt_u32_e64 s[10:11], 8, v12
	v_cndmask_b32_e64 v10, v42, v10, s[10:11]
	v_cndmask_b32_e64 v12, v38, v40, s[10:11]
	v_lshlrev_b32_e32 v11, 24, v11
	v_lshlrev_b32_e32 v12, 20, v12
	v_and_b32_e32 v11, 0x80000000, v11
	v_lshl_add_u32 v10, v10, 23, v23
	v_or3_b32 v38, v11, v10, v12
.LBB260_87:                             ;   in Loop: Header=BB260_14 Depth=1
	s_or_b64 exec, exec, s[52:53]
.LBB260_88:                             ;   in Loop: Header=BB260_14 Depth=1
	s_or_b64 exec, exec, s[50:51]
.LBB260_89:                             ;   in Loop: Header=BB260_14 Depth=1
	s_or_b64 exec, exec, s[48:49]
	v_fma_mixlo_f16 v11, v27, v29, 0
	ds_read_u16 v10, v16
	v_and_b32_e32 v11, 0xffff, v11
	s_waitcnt lgkmcnt(0)
	;;#ASMSTART
	v_cvt_f32_f16 v10, v10;
	;;#ASMEND
	;;#ASMSTART
	v_cvt_f32_f16 v11, v11;
	;;#ASMEND
	ds_read_u16 v12, v16 offset:2
	v_fma_mixlo_f16 v28, v27, v28, 0
	v_and_b32_e32 v28, 0xffff, v28
	s_waitcnt lgkmcnt(0)
	;;#ASMSTART
	v_cvt_f32_f16 v12, v12;
	;;#ASMEND
	;;#ASMSTART
	v_cvt_f32_f16 v28, v28;
	;;#ASMEND
	v_fma_mixlo_f16 v31, v27, v31, 0
	v_mul_f32_e32 v12, v12, v28
	ds_read_u16 v29, v16 offset:4
	v_and_b32_e32 v31, 0xffff, v31
	v_fma_mixlo_f16 v30, v27, v30, 0
	v_fmac_f32_e32 v12, v10, v11
	s_waitcnt lgkmcnt(0)
	;;#ASMSTART
	v_cvt_f32_f16 v29, v29;
	;;#ASMEND
	;;#ASMSTART
	v_cvt_f32_f16 v31, v31;
	;;#ASMEND
	ds_read_u16 v40, v16 offset:6
	v_and_b32_e32 v30, 0xffff, v30
	v_fma_mixlo_f16 v33, v27, v33, 0
	v_fmac_f32_e32 v12, v29, v31
	s_waitcnt lgkmcnt(0)
	;;#ASMSTART
	v_cvt_f32_f16 v40, v40;
	;;#ASMEND
	;;#ASMSTART
	v_cvt_f32_f16 v30, v30;
	;;#ASMEND
	;; [unrolled: 11-line block ×6, first 2 shown]
	ds_read_u16 v45, v16 offset:16
	v_fma_mixlo_f16 v36, v27, v36, 0
	v_and_b32_e32 v37, 0xffff, v37
	v_fmac_f32_e32 v12, v44, v34
	v_fma_mixlo_f16 v39, v27, v39, 0
	s_waitcnt lgkmcnt(0)
	;;#ASMSTART
	v_cvt_f32_f16 v45, v45;
	;;#ASMEND
	;;#ASMSTART
	v_cvt_f32_f16 v37, v37;
	;;#ASMEND
	v_and_b32_e32 v11, 0xffff, v36
	v_fmac_f32_e32 v12, v45, v37
	ds_read_u16 v46, v16 offset:18
	v_fma_mixlo_f16 v27, v27, v38, 0
	s_waitcnt lgkmcnt(0)
	;;#ASMSTART
	v_cvt_f32_f16 v10, v46;
	;;#ASMEND
	;;#ASMSTART
	v_cvt_f32_f16 v11, v11;
	;;#ASMEND
	ds_read_u16 v28, v16 offset:20
	v_and_b32_e32 v29, 0xffff, v39
	v_fmac_f32_e32 v12, v10, v11
	s_waitcnt lgkmcnt(0)
	;;#ASMSTART
	v_cvt_f32_f16 v28, v28;
	;;#ASMEND
	;;#ASMSTART
	v_cvt_f32_f16 v29, v29;
	;;#ASMEND
	ds_read_u16 v30, v16 offset:22
	v_fmac_f32_e32 v12, v28, v29
	s_waitcnt lgkmcnt(0)
	;;#ASMSTART
	v_cvt_f32_f16 v10, v30;
	;;#ASMEND
	v_and_b32_e32 v11, 0xffff, v27
	;;#ASMSTART
	v_cvt_f32_f16 v11, v11;
	;;#ASMEND
	v_fmac_f32_e32 v12, v10, v11
	v_and_b32_e32 v10, 64, v25
	v_add_u32_e32 v11, 64, v10
	v_xor_b32_e32 v10, 4, v25
	v_cmp_lt_i32_e64 s[10:11], v10, v11
	v_cndmask_b32_e64 v10, v25, v10, s[10:11]
	v_lshlrev_b32_e32 v10, 2, v10
	ds_bpermute_b32 v10, v10, v12
	s_waitcnt lgkmcnt(0)
	v_add_f32_e32 v10, v12, v10
	v_xor_b32_e32 v12, 2, v25
	v_cmp_lt_i32_e64 s[10:11], v12, v11
	v_cndmask_b32_e64 v12, v25, v12, s[10:11]
	v_lshlrev_b32_e32 v12, 2, v12
	ds_bpermute_b32 v12, v12, v10
	s_waitcnt lgkmcnt(0)
	v_add_f32_e32 v10, v10, v12
	v_xor_b32_e32 v12, 1, v25
	v_cmp_lt_i32_e64 s[10:11], v12, v11
	v_cndmask_b32_e64 v11, v25, v12, s[10:11]
	v_lshlrev_b32_e32 v11, 2, v11
	ds_bpermute_b32 v11, v11, v10
	s_and_saveexec_b64 s[48:49], vcc
	s_cbranch_execz .LBB260_12
; %bb.90:                               ;   in Loop: Header=BB260_14 Depth=1
	v_add_u32_e32 v12, v21, v19
	v_cvt_f32_i32_e32 v12, v12
	s_waitcnt lgkmcnt(0)
	v_add_f32_e32 v10, v10, v11
	v_add_u32_e32 v27, v13, v19
	v_cmp_gt_i32_e64 s[10:11], s33, v27
	v_mul_f32_e32 v11, s7, v12
	v_cndmask_b32_e64 v11, 0, v11, s[4:5]
	v_fmac_f32_e32 v11, s45, v10
	v_cndmask_b32_e64 v10, 0, v11, s[10:11]
	ds_write_b32 v20, v10
	v_max_f32_e32 v10, v17, v17
	v_max_f32_e32 v10, v10, v11
	v_cndmask_b32_e64 v17, v17, v10, s[10:11]
	s_branch .LBB260_12
.LBB260_91:
	s_or_b64 exec, exec, s[46:47]
.LBB260_92:
	s_or_b64 exec, exec, s[22:23]
	v_mbcnt_hi_u32_b32 v4, -1, v5
	v_and_b32_e32 v5, 64, v4
	v_add_u32_e32 v5, 64, v5
	v_xor_b32_e32 v6, 32, v4
	v_cmp_lt_i32_e32 vcc, v6, v5
	v_cndmask_b32_e32 v6, v4, v6, vcc
	v_lshlrev_b32_e32 v9, 2, v6
	ds_bpermute_b32 v6, v9, v17
	v_xor_b32_e32 v8, 16, v4
	v_max_f32_e32 v7, v17, v17
	v_cmp_lt_i32_e32 vcc, v8, v5
	s_waitcnt lgkmcnt(0)
	v_max_f32_e32 v6, v6, v6
	v_max_f32_e32 v6, v7, v6
	v_cndmask_b32_e32 v7, v4, v8, vcc
	v_lshlrev_b32_e32 v11, 2, v7
	ds_bpermute_b32 v7, v11, v6
	v_xor_b32_e32 v8, 8, v4
	v_cmp_lt_i32_e32 vcc, v8, v5
	s_waitcnt lgkmcnt(0)
	v_max_f32_e32 v7, v7, v7
	v_max_f32_e32 v6, v6, v7
	v_cndmask_b32_e32 v7, v4, v8, vcc
	v_lshlrev_b32_e32 v12, 2, v7
	ds_bpermute_b32 v10, v12, v6
	v_and_b32_e32 v7, 63, v0
	v_cmp_eq_u32_e32 vcc, 0, v7
	v_lshlrev_b32_e32 v8, 2, v14
	s_and_saveexec_b64 s[4:5], vcc
	s_cbranch_execz .LBB260_94
; %bb.93:
	s_waitcnt lgkmcnt(0)
	v_max_f32_e32 v10, v10, v10
	v_max_f32_e32 v6, v6, v6
	;; [unrolled: 1-line block ×3, first 2 shown]
	ds_write_b32 v8, v6 offset:192
.LBB260_94:
	s_or_b64 exec, exec, s[4:5]
	v_cmp_gt_u32_e64 s[4:5], 2, v7
	v_mov_b32_e32 v6, 0xff7fffff
	s_waitcnt lgkmcnt(0)
	v_lshlrev_b32_e32 v10, 2, v7
	s_barrier
	s_and_saveexec_b64 s[10:11], s[4:5]
	s_cbranch_execz .LBB260_96
; %bb.95:
	ds_read_b32 v6, v10 offset:192
.LBB260_96:
	s_or_b64 exec, exec, s[10:11]
	v_xor_b32_e32 v13, 1, v4
	v_cmp_lt_i32_e64 s[10:11], v13, v5
	v_cndmask_b32_e64 v13, v4, v13, s[10:11]
	v_lshlrev_b32_e32 v13, 2, v13
	s_waitcnt lgkmcnt(0)
	ds_bpermute_b32 v15, v13, v6
	v_max_f32_e32 v6, v6, v6
	s_sub_i32 s7, s56, s58
	s_lshl_b32 s7, s7, 3
	s_add_i32 s7, s7, s57
	s_waitcnt lgkmcnt(0)
	v_max_f32_e32 v15, v15, v15
	v_max_f32_e32 v6, v6, v15
	v_lshlrev_b32_e32 v15, 2, v4
	v_and_b32_e32 v15, 0x100, v15
	ds_bpermute_b32 v6, v15, v6
	s_min_i32 s45, s7, s33
	s_sub_i32 s7, s45, s57
	v_cmp_gt_i32_e64 s[10:11], s7, v0
	v_mov_b32_e32 v16, 0
	s_and_saveexec_b64 s[16:17], s[10:11]
	s_cbranch_execz .LBB260_100
; %bb.97:
	v_mov_b32_e32 v16, 0xd0
	v_lshl_add_u32 v17, v0, 2, v16
	s_mov_b64 s[22:23], 0
	v_mov_b32_e32 v16, 0
	v_mov_b32_e32 v18, v0
.LBB260_98:                             ; =>This Inner Loop Header: Depth=1
	ds_read_b32 v19, v17
	v_add_u32_e32 v18, 0x80, v18
	v_cmp_le_i32_e64 s[12:13], s7, v18
	s_or_b64 s[22:23], s[12:13], s[22:23]
	s_waitcnt lgkmcnt(0)
	v_sub_f32_e32 v19, v19, v6
	v_mul_f32_e32 v19, 0x3fb8aa3b, v19
	v_exp_f32_e32 v19, v19
	ds_write_b32 v17, v19
	v_add_f32_e32 v16, v16, v19
	v_add_u32_e32 v17, 0x200, v17
	s_andn2_b64 exec, exec, s[22:23]
	s_cbranch_execnz .LBB260_98
; %bb.99:
	s_or_b64 exec, exec, s[22:23]
.LBB260_100:
	s_or_b64 exec, exec, s[16:17]
	ds_bpermute_b32 v9, v9, v16
	s_waitcnt lgkmcnt(0)
	v_add_f32_e32 v9, v16, v9
	ds_bpermute_b32 v11, v11, v9
	s_waitcnt lgkmcnt(0)
	v_add_f32_e32 v9, v9, v11
	ds_bpermute_b32 v11, v12, v9
	v_xor_b32_e32 v12, 4, v4
	v_cmp_lt_i32_e64 s[12:13], v12, v5
	v_cndmask_b32_e64 v12, v4, v12, s[12:13]
	v_lshlrev_b32_e32 v12, 2, v12
	s_waitcnt lgkmcnt(0)
	v_add_f32_e32 v9, v9, v11
	ds_bpermute_b32 v11, v12, v9
	v_xor_b32_e32 v12, 2, v4
	v_cmp_lt_i32_e64 s[12:13], v12, v5
	v_cndmask_b32_e64 v4, v4, v12, s[12:13]
	v_lshlrev_b32_e32 v4, 2, v4
	s_waitcnt lgkmcnt(0)
	v_add_f32_e32 v5, v9, v11
	ds_bpermute_b32 v4, v4, v5
	s_waitcnt lgkmcnt(0)
	v_add_f32_e32 v4, v5, v4
	ds_bpermute_b32 v5, v13, v4
	s_waitcnt lgkmcnt(0)
	v_add_f32_e32 v4, v4, v5
	s_and_saveexec_b64 s[12:13], vcc
	s_cbranch_execz .LBB260_102
; %bb.101:
	ds_write_b32 v8, v4 offset:200
.LBB260_102:
	s_or_b64 exec, exec, s[12:13]
	s_waitcnt lgkmcnt(0)
	s_barrier
	s_and_saveexec_b64 s[12:13], s[4:5]
	s_cbranch_execz .LBB260_104
; %bb.103:
	ds_read_b32 v4, v10 offset:200
.LBB260_104:
	s_or_b64 exec, exec, s[12:13]
	s_waitcnt lgkmcnt(0)
	ds_bpermute_b32 v5, v13, v4
	s_waitcnt lgkmcnt(0)
	v_add_f32_e32 v4, v4, v5
	ds_bpermute_b32 v8, v15, v4
	s_and_saveexec_b64 s[4:5], s[10:11]
	s_cbranch_execz .LBB260_117
; %bb.105:
	s_waitcnt lgkmcnt(0)
	v_add_f32_e32 v4, 0x358637bd, v8
	v_div_scale_f32 v5, s[10:11], v4, v4, 1.0
	v_rcp_f32_e32 v9, v5
	v_div_scale_f32 v10, vcc, 1.0, v4, 1.0
	s_movk_i32 s10, 0x7f
	v_fma_f32 v11, -v5, v9, 1.0
	v_fmac_f32_e32 v9, v11, v9
	v_mul_f32_e32 v11, v10, v9
	v_fma_f32 v12, -v5, v11, v10
	v_fmac_f32_e32 v11, v12, v9
	v_fma_f32 v5, -v5, v11, v10
	v_div_fmas_f32 v5, v5, v9, v11
	v_div_fixup_f32 v4, v5, v4, 1.0
	v_xad_u32 v5, v0, -1, s45
	v_subrev_u32_e32 v9, s57, v5
	v_cmp_lt_u32_e32 vcc, s10, v9
	s_mov_b64 s[12:13], -1
	v_mov_b32_e32 v5, v0
	s_and_saveexec_b64 s[10:11], vcc
	s_cbranch_execz .LBB260_114
; %bb.106:
	v_lshrrev_b32_e32 v9, 7, v9
	v_add_u32_e32 v11, -1, v9
	v_lshrrev_b32_e32 v10, 1, v11
	v_mov_b32_e32 v5, v4
	v_add_u32_e32 v10, 1, v10
	v_cmp_lt_u32_e32 vcc, 13, v11
	v_mov_b32_e32 v13, 0
	s_and_saveexec_b64 s[12:13], vcc
	s_cbranch_execz .LBB260_110
; %bb.107:
	v_mov_b32_e32 v12, 0xd0
	v_and_b32_e32 v11, -8, v10
	v_lshl_add_u32 v12, v0, 2, v12
	s_mov_b32 s22, 0
	s_mov_b64 s[16:17], 0
.LBB260_108:                            ; =>This Inner Loop Header: Depth=1
	ds_read2st64_b32 v[16:17], v12 offset1:2
	ds_read2st64_b32 v[18:19], v12 offset0:4 offset1:6
	ds_read2st64_b32 v[20:21], v12 offset0:8 offset1:10
	;; [unrolled: 1-line block ×3, first 2 shown]
	v_add_u32_e32 v11, -8, v11
	s_waitcnt lgkmcnt(3)
	v_pk_mul_f32 v[16:17], v[4:5], v[16:17]
	s_waitcnt lgkmcnt(2)
	v_pk_mul_f32 v[18:19], v[4:5], v[18:19]
	ds_write2st64_b32 v12, v16, v17 offset1:2
	ds_write2st64_b32 v12, v18, v19 offset0:4 offset1:6
	ds_read2st64_b32 v[18:19], v12 offset0:16 offset1:18
	s_waitcnt lgkmcnt(4)
	v_pk_mul_f32 v[16:17], v[4:5], v[20:21]
	ds_write2st64_b32 v12, v16, v17 offset0:8 offset1:10
	s_waitcnt lgkmcnt(4)
	v_pk_mul_f32 v[16:17], v[4:5], v[22:23]
	ds_write2st64_b32 v12, v16, v17 offset0:12 offset1:14
	ds_read2st64_b32 v[16:17], v12 offset0:20 offset1:22
	s_waitcnt lgkmcnt(3)
	v_pk_mul_f32 v[18:19], v[4:5], v[18:19]
	ds_read2st64_b32 v[20:21], v12 offset0:24 offset1:26
	ds_write2st64_b32 v12, v18, v19 offset0:16 offset1:18
	ds_read2st64_b32 v[18:19], v12 offset0:28 offset1:30
	s_waitcnt lgkmcnt(3)
	v_pk_mul_f32 v[16:17], v[4:5], v[16:17]
	ds_write2st64_b32 v12, v16, v17 offset0:20 offset1:22
	s_waitcnt lgkmcnt(3)
	v_pk_mul_f32 v[16:17], v[4:5], v[20:21]
	ds_write2st64_b32 v12, v16, v17 offset0:24 offset1:26
	s_waitcnt lgkmcnt(2)
	v_pk_mul_f32 v[16:17], v[4:5], v[18:19]
	s_add_i32 s22, s22, 16
	v_cmp_eq_u32_e32 vcc, 0, v11
	ds_write2st64_b32 v12, v16, v17 offset0:28 offset1:30
	v_add_u32_e32 v12, 0x2000, v12
	s_or_b64 s[16:17], vcc, s[16:17]
	v_mov_b32_e32 v13, s22
	s_andn2_b64 exec, exec, s[16:17]
	s_cbranch_execnz .LBB260_108
; %bb.109:
	s_or_b64 exec, exec, s[16:17]
.LBB260_110:
	s_or_b64 exec, exec, s[12:13]
	v_and_b32_e32 v10, 7, v10
	v_cmp_ne_u32_e32 vcc, 0, v10
	s_and_saveexec_b64 s[12:13], vcc
	s_cbranch_execz .LBB260_113
; %bb.111:
	v_lshlrev_b32_e32 v11, 9, v13
	v_lshlrev_b32_e32 v12, 2, v0
	s_movk_i32 s16, 0xd0
	v_add3_u32 v11, v11, v12, s16
	s_mov_b64 s[16:17], 0
.LBB260_112:                            ; =>This Inner Loop Header: Depth=1
	ds_read2st64_b32 v[12:13], v11 offset1:2
	v_add_u32_e32 v10, -1, v10
	v_cmp_eq_u32_e32 vcc, 0, v10
	s_or_b64 s[16:17], vcc, s[16:17]
	s_waitcnt lgkmcnt(0)
	v_pk_mul_f32 v[12:13], v[4:5], v[12:13]
	ds_write2st64_b32 v11, v12, v13 offset1:2
	v_add_u32_e32 v11, 0x400, v11
	s_andn2_b64 exec, exec, s[16:17]
	s_cbranch_execnz .LBB260_112
.LBB260_113:
	s_or_b64 exec, exec, s[12:13]
	v_add_u32_e32 v9, 1, v9
	v_and_b32_e32 v10, 0x3fffffe, v9
	v_cmp_ne_u32_e32 vcc, v9, v10
	v_lshl_add_u32 v5, v10, 7, v0
	s_orn2_b64 s[12:13], vcc, exec
.LBB260_114:
	s_or_b64 exec, exec, s[10:11]
	s_and_b64 exec, exec, s[12:13]
	s_cbranch_execz .LBB260_117
; %bb.115:
	v_mov_b32_e32 v9, 0xd0
	v_lshl_add_u32 v9, v5, 2, v9
	s_mov_b64 s[10:11], 0
.LBB260_116:                            ; =>This Inner Loop Header: Depth=1
	ds_read_b32 v10, v9
	v_add_u32_e32 v5, 0x80, v5
	v_cmp_le_i32_e32 vcc, s7, v5
	s_or_b64 s[10:11], vcc, s[10:11]
	s_waitcnt lgkmcnt(0)
	v_mul_f32_e32 v10, v4, v10
	ds_write_b32 v9, v10
	v_add_u32_e32 v9, 0x200, v9
	s_andn2_b64 exec, exec, s[10:11]
	s_cbranch_execnz .LBB260_116
.LBB260_117:
	s_or_b64 exec, exec, s[4:5]
	s_mul_i32 s5, s15, s36
	s_mov_b32 s4, 0
	v_cmp_eq_u32_e32 vcc, 0, v0
	s_mul_i32 s10, s5, s9
	s_waitcnt lgkmcnt(0)
	s_barrier
	s_and_saveexec_b64 s[12:13], vcc
	s_cbranch_execz .LBB260_119
; %bb.118:
	s_ashr_i32 s11, s10, 31
	s_lshl_b64 s[16:17], s[10:11], 2
	s_add_u32 s5, s30, s16
	s_mul_i32 s6, s15, s6
	s_addc_u32 s9, s31, s17
	s_ashr_i32 s7, s6, 31
	s_lshl_b64 s[6:7], s[6:7], 2
	s_add_u32 s5, s5, s6
	s_addc_u32 s11, s9, s7
	s_ashr_i32 s9, s8, 31
	s_lshl_b64 s[22:23], s[8:9], 2
	s_add_u32 s30, s5, s22
	s_addc_u32 s31, s11, s23
	s_add_u32 s5, s28, s16
	s_addc_u32 s9, s29, s17
	;; [unrolled: 2-line block ×3, first 2 shown]
	s_add_u32 s6, s5, s22
	v_mov_b32_e32 v4, 0
	s_addc_u32 s7, s7, s23
	global_store_dword v4, v6, s[30:31]
	global_store_dword v4, v8, s[6:7]
.LBB260_119:
	s_or_b64 exec, exec, s[12:13]
	s_mov_b32 s5, s4
	v_pk_mov_b32 v[4:5], s[4:5], s[4:5] op_sel:[0,1]
	s_and_saveexec_b64 s[6:7], s[2:3]
	s_cbranch_execz .LBB260_227
; %bb.120:
	s_sub_i32 s9, s24, s25
	s_ashr_i32 s2, s27, 31
	s_add_u32 s12, s42, s27
	s_addc_u32 s13, s43, s2
	s_abs_i32 s42, s26
	v_cvt_f32_u32_e32 v4, s42
	v_or_b32_e32 v5, 64, v7
	s_movk_i32 s2, 0x60
	v_cmp_gt_u32_e32 vcc, s2, v5
	v_rcp_iflag_f32_e32 v4, v4
	s_sub_i32 s2, 0, s42
	s_add_i32 s36, s20, -1
	v_lshlrev_b32_e32 v10, 3, v5
	v_mul_f32_e32 v4, 0x4f7ffffe, v4
	v_cvt_u32_f32_e32 v4, v4
	s_mov_b32 s16, -1
	s_mov_b32 s5, s4
	s_mov_b32 s11, s21
	v_mul_lo_u32 v5, s2, v4
	s_lshl_b64 s[2:3], s[40:41], 2
	v_mul_hi_u32 v5, v4, v5
	s_add_u32 s2, s38, s2
	v_add_u32_e32 v11, v4, v5
	v_lshlrev_b64 v[4:5], 2, v[2:3]
	s_addc_u32 s3, s39, s3
	v_mov_b32_e32 v3, s3
	v_add_co_u32_e64 v12, s[2:3], s2, v4
	v_addc_co_u32_e64 v13, s[2:3], v3, v5, s[2:3]
	v_mov_b32_e32 v3, 0xd0
	s_mov_b32 s17, 0xffffff
	v_lshlrev_b32_e32 v6, 3, v7
	v_mov_b32_e32 v9, 0
	s_mov_b32 s43, s33
	v_lshl_add_u32 v3, v14, 5, v3
	s_mov_b64 s[20:21], 0
	v_pk_mov_b32 v[4:5], s[4:5], s[4:5] op_sel:[0,1]
	s_movk_i32 s38, 0x80
	s_movk_i32 s39, 0x7f
	s_mov_b32 s40, 0x8000
	s_movk_i32 s41, 0x380
	s_mov_b32 s45, 0x3020706
	s_mov_b32 s46, 0x1000504
	;; [unrolled: 1-line block ×3, first 2 shown]
	v_mov_b32_e32 v25, 0x2000
	s_branch .LBB260_124
.LBB260_121:                            ;   in Loop: Header=BB260_124 Depth=1
	s_or_b64 exec, exec, s[4:5]
	;;#ASMSTART
	v_pk_mul_f16 v16, v27, v16;

	;;#ASMEND
	;;#ASMSTART
	v_pk_mul_f16 v8, v26, v8;

	;;#ASMEND
	;; [unrolled: 4-line block ×4, first 2 shown]
	;;#ASMSTART
	v_pk_add_f16 v8, v16, v8;

	;;#ASMEND
	;;#ASMSTART
	v_pk_add_f16 v8, v8, v15;

	;;#ASMEND
	;; [unrolled: 4-line block ×3, first 2 shown]
	v_lshrrev_b32_e32 v14, 16, v8
	v_and_b32_e32 v8, 0xffff, v8
	;;#ASMSTART
	v_cvt_f32_f16 v8, v8;
	;;#ASMEND
	;;#ASMSTART
	v_cvt_f32_f16 v14, v14;
	;;#ASMEND
	v_add_f32_e32 v8, v8, v14
	v_add_f32_e32 v5, v5, v8
.LBB260_122:                            ;   in Loop: Header=BB260_124 Depth=1
	s_or_b64 exec, exec, s[24:25]
.LBB260_123:                            ;   in Loop: Header=BB260_124 Depth=1
	s_or_b64 exec, exec, s[22:23]
	v_add_co_u32_e64 v12, s[2:3], 8, v12
	v_add_u32_e32 v2, 2, v2
	v_addc_co_u32_e64 v13, s[2:3], 0, v13, s[2:3]
	v_cmp_le_i32_e64 s[2:3], s56, v2
	v_add_u32_e32 v24, 16, v24
	s_or_b64 s[20:21], s[2:3], s[20:21]
	v_add_u32_e32 v3, 64, v3
	s_andn2_b64 exec, exec, s[20:21]
	s_cbranch_execz .LBB260_226
.LBB260_124:                            ; =>This Inner Loop Header: Depth=1
	v_sub_u32_e32 v14, 0, v24
	v_max_i32_e32 v14, v24, v14
	v_mul_hi_u32 v15, v14, s54
	v_mul_lo_u32 v16, v15, s37
	v_sub_u32_e32 v14, v14, v16
	v_add_u32_e32 v16, 1, v15
	v_cmp_le_u32_e64 s[2:3], s37, v14
	v_cndmask_b32_e64 v15, v15, v16, s[2:3]
	v_subrev_u32_e32 v16, s37, v14
	v_cndmask_b32_e64 v14, v14, v16, s[2:3]
	v_ashrrev_i32_e32 v8, 31, v24
	v_add_u32_e32 v16, 1, v15
	v_cmp_le_u32_e64 s[2:3], s37, v14
	v_xor_b32_e32 v8, s55, v8
	v_cndmask_b32_e64 v14, v15, v16, s[2:3]
	v_xor_b32_e32 v14, v14, v8
	v_sub_u32_e32 v8, v14, v8
	v_add_u32_e32 v14, s44, v8
	v_sub_u32_e32 v16, 0, v14
	v_ashrrev_i32_e32 v15, 31, v14
	v_max_i32_e32 v14, v14, v16
	v_mul_hi_u32 v16, v14, v11
	v_mul_lo_u32 v16, v16, s42
	v_sub_u32_e32 v14, v14, v16
	v_subrev_u32_e32 v16, s42, v14
	v_cmp_le_u32_e64 s[2:3], s42, v14
	v_cndmask_b32_e64 v14, v14, v16, s[2:3]
	v_subrev_u32_e32 v16, s42, v14
	v_cmp_le_u32_e64 s[2:3], s42, v14
	v_cndmask_b32_e64 v14, v14, v16, s[2:3]
	v_xor_b32_e32 v14, v14, v15
	v_sub_u32_e32 v14, v14, v15
	v_cmp_eq_u32_e64 s[2:3], 0, v14
	v_cmp_lt_i32_e64 s[4:5], s9, v8
	s_or_b64 s[2:3], s[2:3], s[4:5]
	s_and_saveexec_b64 s[22:23], s[2:3]
	s_cbranch_execz .LBB260_123
; %bb.125:                              ;   in Loop: Header=BB260_124 Depth=1
	global_load_dword v8, v[12:13], off
	ds_read2_b64 v[18:21], v3 offset1:1
	ds_read2_b64 v[30:33], v3 offset0:2 offset1:3
	v_pk_mov_b32 v[14:15], s[12:13], s[12:13] op_sel:[0,1]
	s_waitcnt lgkmcnt(1)
	;;#ASMSTART
	v_cvt_f16_f32 v17, v18;

	;;#ASMEND
	;;#ASMSTART
	v_cvt_f16_f32 v26, v19;

	;;#ASMEND
	;; [unrolled: 4-line block ×4, first 2 shown]
	s_waitcnt lgkmcnt(0)
	;;#ASMSTART
	v_cvt_f16_f32 v30, v30;

	;;#ASMEND
	;;#ASMSTART
	v_cvt_f16_f32 v31, v31;

	;;#ASMEND
	;; [unrolled: 4-line block ×4, first 2 shown]
	v_mov_b32_e32 v20, 0
	s_waitcnt vmcnt(0)
	v_mad_i64_i32 v[14:15], s[2:3], v8, s11, v[14:15]
	v_add_co_u32_e64 v18, s[2:3], v14, v6
	v_addc_co_u32_e64 v19, s[2:3], 0, v15, s[2:3]
	global_load_dwordx2 v[22:23], v[18:19], off
	global_load_dword v16, v9, s[18:19]
	v_mov_b32_e32 v18, 0
	s_waitcnt vmcnt(1)
	v_cmp_ne_u16_sdwa s[2:3], v22, v9 src0_sel:BYTE_0 src1_sel:DWORD
	s_and_saveexec_b64 s[4:5], s[2:3]
	s_cbranch_execz .LBB260_131
; %bb.126:                              ;   in Loop: Header=BB260_124 Depth=1
	v_cmp_ne_u16_sdwa s[2:3], v22, s38 src0_sel:BYTE_0 src1_sel:DWORD
	v_bfrev_b32_e32 v18, 1
	s_and_saveexec_b64 s[24:25], s[2:3]
	s_cbranch_execz .LBB260_130
; %bb.127:                              ;   in Loop: Header=BB260_124 Depth=1
	v_and_b32_e32 v8, 0x7f, v22
	v_cmp_ne_u32_e64 s[2:3], s39, v8
	v_mov_b32_e32 v18, 0x7fc02000
	s_and_saveexec_b64 s[26:27], s[2:3]
	s_cbranch_execz .LBB260_129
; %bb.128:                              ;   in Loop: Header=BB260_124 Depth=1
	v_and_b32_e32 v18, 7, v22
	v_ffbh_u32_e32 v18, v18
	v_min_u32_e32 v18, 32, v18
	v_subrev_u32_e32 v19, 28, v18
	v_cmp_gt_u32_e64 s[2:3], 8, v8
	v_lshrrev_b32_e32 v21, 3, v8
	v_sub_u32_e32 v27, 29, v18
	v_cndmask_b32_e64 v8, 0, v19, s[2:3]
	v_lshlrev_b64 v[18:19], v8, v[22:23]
	v_cndmask_b32_e64 v8, v21, v27, s[2:3]
	v_lshlrev_b32_e32 v19, 8, v22
	v_lshl_add_u32 v8, v8, 10, v25
	v_lshlrev_b32_e32 v18, 7, v18
	v_and_or_b32 v8, v19, s40, v8
	v_and_or_b32 v8, v18, s41, v8
	v_cvt_f32_f16_e32 v18, v8
.LBB260_129:                            ;   in Loop: Header=BB260_124 Depth=1
	s_or_b64 exec, exec, s[26:27]
.LBB260_130:                            ;   in Loop: Header=BB260_124 Depth=1
	s_or_b64 exec, exec, s[24:25]
.LBB260_131:                            ;   in Loop: Header=BB260_124 Depth=1
	s_or_b64 exec, exec, s[4:5]
	v_lshrrev_b16_e32 v8, 8, v22
	v_cmp_ne_u16_e64 s[2:3], 0, v8
	s_and_saveexec_b64 s[4:5], s[2:3]
	s_cbranch_execz .LBB260_137
; %bb.132:                              ;   in Loop: Header=BB260_124 Depth=1
	v_cmp_ne_u16_e64 s[2:3], s38, v8
	v_bfrev_b32_e32 v20, 1
	s_and_saveexec_b64 s[24:25], s[2:3]
	s_cbranch_execz .LBB260_136
; %bb.133:                              ;   in Loop: Header=BB260_124 Depth=1
	v_and_b32_e32 v19, 0x7f, v8
	v_cmp_ne_u32_e64 s[2:3], s39, v19
	v_mov_b32_e32 v20, 0x7fc02000
	s_and_saveexec_b64 s[26:27], s[2:3]
	s_cbranch_execz .LBB260_135
; %bb.134:                              ;   in Loop: Header=BB260_124 Depth=1
	v_and_b32_e32 v27, 7, v8
	v_ffbh_u32_e32 v20, v27
	v_min_u32_e32 v35, 32, v20
	v_subrev_u32_e32 v20, 28, v35
	v_lshlrev_b64 v[20:21], v20, v[8:9]
	v_lshrrev_b32_e32 v34, 3, v19
	v_sub_u32_e32 v21, 29, v35
	v_cmp_gt_u32_e64 s[2:3], 8, v19
	v_cndmask_b32_e64 v19, v34, v21, s[2:3]
	v_and_b32_e32 v20, 7, v20
	v_lshlrev_b32_e32 v8, 8, v8
	v_lshl_add_u32 v19, v19, 10, v25
	v_cndmask_b32_e64 v20, v27, v20, s[2:3]
	v_and_or_b32 v8, v8, s40, v19
	v_lshl_or_b32 v8, v20, 7, v8
	v_cvt_f32_f16_e32 v20, v8
.LBB260_135:                            ;   in Loop: Header=BB260_124 Depth=1
	s_or_b64 exec, exec, s[26:27]
.LBB260_136:                            ;   in Loop: Header=BB260_124 Depth=1
	s_or_b64 exec, exec, s[24:25]
.LBB260_137:                            ;   in Loop: Header=BB260_124 Depth=1
	s_or_b64 exec, exec, s[4:5]
	v_lshrrev_b32_e32 v8, 16, v22
	v_cmp_ne_u16_sdwa s[2:3], v8, v9 src0_sel:BYTE_0 src1_sel:DWORD
	v_mov_b32_e32 v21, 0
	v_mov_b32_e32 v19, 0
	s_and_saveexec_b64 s[4:5], s[2:3]
	s_cbranch_execz .LBB260_143
; %bb.138:                              ;   in Loop: Header=BB260_124 Depth=1
	v_cmp_ne_u16_sdwa s[2:3], v8, s38 src0_sel:BYTE_0 src1_sel:DWORD
	v_bfrev_b32_e32 v19, 1
	s_and_saveexec_b64 s[24:25], s[2:3]
	s_cbranch_execz .LBB260_142
; %bb.139:                              ;   in Loop: Header=BB260_124 Depth=1
	v_bfe_u32 v27, v22, 16, 7
	v_cmp_ne_u32_e64 s[2:3], s39, v27
	v_mov_b32_e32 v19, 0x7fc02000
	s_and_saveexec_b64 s[26:27], s[2:3]
	s_cbranch_execz .LBB260_141
; %bb.140:                              ;   in Loop: Header=BB260_124 Depth=1
	v_and_b32_e32 v19, 7, v8
	v_ffbh_u32_e32 v34, v19
	v_min_u32_e32 v37, 32, v34
	v_subrev_u32_e32 v34, 28, v37
	v_lshlrev_b64 v[34:35], v34, v[8:9]
	v_lshrrev_b32_e32 v36, 3, v27
	v_sub_u32_e32 v35, 29, v37
	v_cmp_gt_u32_e64 s[2:3], 8, v27
	v_cndmask_b32_e64 v27, v36, v35, s[2:3]
	v_and_b32_e32 v34, 7, v34
	v_lshlrev_b32_e32 v8, 8, v8
	v_lshl_add_u32 v27, v27, 10, v25
	v_cndmask_b32_e64 v19, v19, v34, s[2:3]
	v_and_or_b32 v8, v8, s40, v27
	v_lshl_or_b32 v8, v19, 7, v8
	v_cvt_f32_f16_e32 v19, v8
.LBB260_141:                            ;   in Loop: Header=BB260_124 Depth=1
	s_or_b64 exec, exec, s[26:27]
.LBB260_142:                            ;   in Loop: Header=BB260_124 Depth=1
	s_or_b64 exec, exec, s[24:25]
.LBB260_143:                            ;   in Loop: Header=BB260_124 Depth=1
	s_or_b64 exec, exec, s[4:5]
	v_cmp_lt_u32_e64 s[2:3], s17, v22
	s_and_saveexec_b64 s[4:5], s[2:3]
	s_cbranch_execz .LBB260_149
; %bb.144:                              ;   in Loop: Header=BB260_124 Depth=1
	v_lshrrev_b32_e32 v8, 24, v22
	v_cmp_ne_u32_e64 s[2:3], s38, v8
	v_bfrev_b32_e32 v21, 1
	s_and_saveexec_b64 s[24:25], s[2:3]
	s_cbranch_execz .LBB260_148
; %bb.145:                              ;   in Loop: Header=BB260_124 Depth=1
	v_and_b32_e32 v27, 0x7f, v8
	v_cmp_ne_u32_e64 s[2:3], s39, v27
	v_mov_b32_e32 v21, 0x7fc02000
	s_and_saveexec_b64 s[26:27], s[2:3]
	s_cbranch_execz .LBB260_147
; %bb.146:                              ;   in Loop: Header=BB260_124 Depth=1
	v_and_b32_e32 v21, 7, v8
	v_ffbh_u32_e32 v34, v21
	v_min_u32_e32 v37, 32, v34
	v_subrev_u32_e32 v34, 28, v37
	v_lshlrev_b64 v[34:35], v34, v[8:9]
	v_lshrrev_b32_e32 v36, 3, v27
	v_sub_u32_e32 v35, 29, v37
	v_cmp_gt_u32_e64 s[2:3], 8, v27
	v_cndmask_b32_e64 v27, v36, v35, s[2:3]
	v_and_b32_e32 v34, 7, v34
	v_lshlrev_b32_e32 v8, 8, v8
	v_lshl_add_u32 v27, v27, 10, v25
	v_cndmask_b32_e64 v21, v21, v34, s[2:3]
	v_and_or_b32 v8, v8, s40, v27
	v_lshl_or_b32 v8, v21, 7, v8
	v_cvt_f32_f16_e32 v21, v8
.LBB260_147:                            ;   in Loop: Header=BB260_124 Depth=1
	s_or_b64 exec, exec, s[26:27]
.LBB260_148:                            ;   in Loop: Header=BB260_124 Depth=1
	s_or_b64 exec, exec, s[24:25]
.LBB260_149:                            ;   in Loop: Header=BB260_124 Depth=1
	s_or_b64 exec, exec, s[4:5]
	v_mov_b32_e32 v8, v23
	v_cmp_ne_u16_sdwa s[2:3], v23, v9 src0_sel:BYTE_0 src1_sel:DWORD
	v_mov_b32_e32 v34, 0
	v_mov_b32_e32 v27, 0
	s_and_saveexec_b64 s[4:5], s[2:3]
	s_cbranch_execz .LBB260_155
; %bb.150:                              ;   in Loop: Header=BB260_124 Depth=1
	v_cmp_ne_u16_sdwa s[2:3], v23, s38 src0_sel:BYTE_0 src1_sel:DWORD
	v_bfrev_b32_e32 v27, 1
	s_and_saveexec_b64 s[24:25], s[2:3]
	s_cbranch_execz .LBB260_154
; %bb.151:                              ;   in Loop: Header=BB260_124 Depth=1
	v_and_b32_e32 v35, 0x7f, v23
	v_cmp_ne_u32_e64 s[2:3], s39, v35
	v_mov_b32_e32 v27, 0x7fc02000
	s_and_saveexec_b64 s[26:27], s[2:3]
	s_cbranch_execz .LBB260_153
; %bb.152:                              ;   in Loop: Header=BB260_124 Depth=1
	v_and_b32_e32 v27, 7, v23
	v_ffbh_u32_e32 v27, v27
	v_min_u32_e32 v27, 32, v27
	v_subrev_u32_e32 v36, 28, v27
	v_cmp_gt_u32_e64 s[2:3], 8, v35
	v_lshrrev_b32_e32 v38, 3, v35
	v_sub_u32_e32 v27, 29, v27
	v_cndmask_b32_e64 v35, 0, v36, s[2:3]
	v_lshlrev_b64 v[36:37], v35, v[8:9]
	v_cndmask_b32_e64 v27, v38, v27, s[2:3]
	v_lshlrev_b32_e32 v35, 7, v36
	v_lshlrev_b32_e32 v36, 8, v23
	v_lshl_add_u32 v27, v27, 10, v25
	v_and_or_b32 v27, v36, s40, v27
	v_and_or_b32 v27, v35, s41, v27
	v_cvt_f32_f16_e32 v27, v27
.LBB260_153:                            ;   in Loop: Header=BB260_124 Depth=1
	s_or_b64 exec, exec, s[26:27]
.LBB260_154:                            ;   in Loop: Header=BB260_124 Depth=1
	s_or_b64 exec, exec, s[24:25]
.LBB260_155:                            ;   in Loop: Header=BB260_124 Depth=1
	s_or_b64 exec, exec, s[4:5]
	v_lshrrev_b16_e32 v8, 8, v8
	v_cmp_ne_u16_e64 s[2:3], 0, v8
	s_and_saveexec_b64 s[4:5], s[2:3]
	s_cbranch_execz .LBB260_161
; %bb.156:                              ;   in Loop: Header=BB260_124 Depth=1
	v_cmp_ne_u16_e64 s[2:3], s38, v8
	v_bfrev_b32_e32 v34, 1
	s_and_saveexec_b64 s[24:25], s[2:3]
	s_cbranch_execz .LBB260_160
; %bb.157:                              ;   in Loop: Header=BB260_124 Depth=1
	v_and_b32_e32 v35, 0x7f, v8
	v_cmp_ne_u32_e64 s[2:3], s39, v35
	v_mov_b32_e32 v34, 0x7fc02000
	s_and_saveexec_b64 s[26:27], s[2:3]
	s_cbranch_execz .LBB260_159
; %bb.158:                              ;   in Loop: Header=BB260_124 Depth=1
	v_and_b32_e32 v34, 7, v8
	v_ffbh_u32_e32 v36, v34
	v_min_u32_e32 v39, 32, v36
	v_subrev_u32_e32 v36, 28, v39
	v_lshlrev_b64 v[36:37], v36, v[8:9]
	v_lshrrev_b32_e32 v38, 3, v35
	v_sub_u32_e32 v37, 29, v39
	v_cmp_gt_u32_e64 s[2:3], 8, v35
	v_cndmask_b32_e64 v35, v38, v37, s[2:3]
	v_and_b32_e32 v36, 7, v36
	v_lshlrev_b32_e32 v8, 8, v8
	v_lshl_add_u32 v35, v35, 10, v25
	v_cndmask_b32_e64 v34, v34, v36, s[2:3]
	v_and_or_b32 v8, v8, s40, v35
	v_lshl_or_b32 v8, v34, 7, v8
	v_cvt_f32_f16_e32 v34, v8
.LBB260_159:                            ;   in Loop: Header=BB260_124 Depth=1
	s_or_b64 exec, exec, s[26:27]
.LBB260_160:                            ;   in Loop: Header=BB260_124 Depth=1
	s_or_b64 exec, exec, s[24:25]
.LBB260_161:                            ;   in Loop: Header=BB260_124 Depth=1
	s_or_b64 exec, exec, s[4:5]
	v_lshrrev_b32_e32 v8, 16, v23
	v_cmp_ne_u16_sdwa s[2:3], v8, v9 src0_sel:BYTE_0 src1_sel:DWORD
	v_mov_b32_e32 v35, 0
	v_mov_b32_e32 v36, 0
	s_and_saveexec_b64 s[4:5], s[2:3]
	s_cbranch_execz .LBB260_167
; %bb.162:                              ;   in Loop: Header=BB260_124 Depth=1
	v_cmp_ne_u16_sdwa s[2:3], v8, s38 src0_sel:BYTE_0 src1_sel:DWORD
	v_bfrev_b32_e32 v36, 1
	s_and_saveexec_b64 s[24:25], s[2:3]
	s_cbranch_execz .LBB260_166
; %bb.163:                              ;   in Loop: Header=BB260_124 Depth=1
	v_bfe_u32 v37, v23, 16, 7
	v_cmp_ne_u32_e64 s[2:3], s39, v37
	v_mov_b32_e32 v36, 0x7fc02000
	s_and_saveexec_b64 s[26:27], s[2:3]
	s_cbranch_execz .LBB260_165
; %bb.164:                              ;   in Loop: Header=BB260_124 Depth=1
	v_and_b32_e32 v36, 7, v8
	v_ffbh_u32_e32 v38, v36
	v_min_u32_e32 v41, 32, v38
	v_subrev_u32_e32 v38, 28, v41
	v_lshlrev_b64 v[38:39], v38, v[8:9]
	v_lshrrev_b32_e32 v40, 3, v37
	v_sub_u32_e32 v39, 29, v41
	v_cmp_gt_u32_e64 s[2:3], 8, v37
	v_cndmask_b32_e64 v37, v40, v39, s[2:3]
	v_and_b32_e32 v38, 7, v38
	v_lshlrev_b32_e32 v8, 8, v8
	v_lshl_add_u32 v37, v37, 10, v25
	v_cndmask_b32_e64 v36, v36, v38, s[2:3]
	v_and_or_b32 v8, v8, s40, v37
	v_lshl_or_b32 v8, v36, 7, v8
	v_cvt_f32_f16_e32 v36, v8
.LBB260_165:                            ;   in Loop: Header=BB260_124 Depth=1
	s_or_b64 exec, exec, s[26:27]
.LBB260_166:                            ;   in Loop: Header=BB260_124 Depth=1
	s_or_b64 exec, exec, s[24:25]
.LBB260_167:                            ;   in Loop: Header=BB260_124 Depth=1
	s_or_b64 exec, exec, s[4:5]
	v_cmp_lt_u64_e64 s[2:3], s[16:17], v[22:23]
	s_and_saveexec_b64 s[4:5], s[2:3]
	s_cbranch_execz .LBB260_173
; %bb.168:                              ;   in Loop: Header=BB260_124 Depth=1
	v_lshrrev_b32_e32 v8, 24, v23
	v_cmp_ne_u32_e64 s[2:3], s38, v8
	v_bfrev_b32_e32 v35, 1
	s_and_saveexec_b64 s[24:25], s[2:3]
	s_cbranch_execz .LBB260_172
; %bb.169:                              ;   in Loop: Header=BB260_124 Depth=1
	v_and_b32_e32 v22, 0x7f, v8
	v_cmp_ne_u32_e64 s[2:3], s39, v22
	v_mov_b32_e32 v35, 0x7fc02000
	s_and_saveexec_b64 s[26:27], s[2:3]
	s_cbranch_execz .LBB260_171
; %bb.170:                              ;   in Loop: Header=BB260_124 Depth=1
	v_and_b32_e32 v23, 7, v8
	v_ffbh_u32_e32 v37, v23
	v_min_u32_e32 v37, 32, v37
	v_lshrrev_b32_e32 v35, 3, v22
	v_subrev_u32_e32 v38, 28, v37
	v_sub_u32_e32 v37, 29, v37
	v_cmp_gt_u32_e64 s[2:3], 8, v22
	v_lshlrev_b64 v[38:39], v38, v[8:9]
	v_cndmask_b32_e64 v22, v35, v37, s[2:3]
	v_and_b32_e32 v38, 7, v38
	v_lshlrev_b32_e32 v8, 8, v8
	v_lshl_add_u32 v22, v22, 10, v25
	v_cndmask_b32_e64 v23, v23, v38, s[2:3]
	v_and_or_b32 v8, v8, s40, v22
	v_lshl_or_b32 v8, v23, 7, v8
	v_cvt_f32_f16_e32 v35, v8
.LBB260_171:                            ;   in Loop: Header=BB260_124 Depth=1
	s_or_b64 exec, exec, s[26:27]
.LBB260_172:                            ;   in Loop: Header=BB260_124 Depth=1
	s_or_b64 exec, exec, s[24:25]
.LBB260_173:                            ;   in Loop: Header=BB260_124 Depth=1
	s_or_b64 exec, exec, s[4:5]
	s_waitcnt vmcnt(0)
	v_pk_mul_f32 v[20:21], v[16:17], v[20:21] op_sel_hi:[0,1]
	v_pk_mul_f32 v[18:19], v[16:17], v[18:19] op_sel_hi:[0,1]
	v_cvt_f16_f32_e32 v8, v21
	v_cvt_f16_f32_e32 v20, v20
	;; [unrolled: 1-line block ×4, first 2 shown]
	v_cmp_eq_u32_e64 s[2:3], s36, v2
	v_pack_b32_f16 v20, v20, v8
	v_pack_b32_f16 v18, v18, v19
	v_fma_mixlo_f16 v19, v16, v34, 0
	v_perm_b32 v8, v18, v20, s45
	v_perm_b32 v18, v18, v20, s46
	v_lshlrev_b32_e32 v19, 16, v19
	v_fma_mixlo_f16 v20, v16, v27, 0
	v_or_b32_sdwa v19, v19, v20 dst_sel:DWORD dst_unused:UNUSED_PAD src0_sel:DWORD src1_sel:WORD_0
	v_fma_mixlo_f16 v20, v16, v36, 0
	v_fma_mixlo_f16 v16, v16, v35, 0
	v_lshlrev_b32_e32 v16, 16, v16
	v_or_b32_sdwa v16, v16, v20 dst_sel:DWORD dst_unused:UNUSED_PAD src0_sel:DWORD src1_sel:WORD_0
	s_and_saveexec_b64 s[24:25], s[2:3]
	s_cbranch_execz .LBB260_175
; %bb.174:                              ;   in Loop: Header=BB260_124 Depth=1
	v_add_u32_e32 v21, 1, v24
	v_lshrrev_b32_e32 v22, 16, v18
	v_cmp_gt_i32_e64 s[4:5], s43, v21
	v_cndmask_b32_e64 v21, 0, v22, s[4:5]
	v_cmp_gt_i32_e64 s[4:5], s33, v24
	v_cndmask_b32_e64 v18, 0, v18, s[4:5]
	v_perm_b32 v18, v21, v18, s47
	v_or_b32_e32 v21, 3, v24
	v_or_b32_e32 v22, 2, v24
	v_lshrrev_b32_e32 v23, 16, v8
	v_cmp_gt_i32_e64 s[4:5], s43, v21
	v_cndmask_b32_e64 v21, 0, v23, s[4:5]
	v_cmp_gt_i32_e64 s[4:5], s33, v22
	v_cndmask_b32_e64 v8, 0, v8, s[4:5]
	v_perm_b32 v8, v21, v8, s47
	v_or_b32_e32 v21, 5, v24
	v_or_b32_e32 v22, 4, v24
	;; [unrolled: 8-line block ×3, first 2 shown]
	v_lshrrev_b32_e32 v16, 16, v16
	v_cmp_gt_i32_e64 s[4:5], s43, v21
	v_cndmask_b32_e64 v16, 0, v16, s[4:5]
	v_cmp_gt_i32_e64 s[4:5], s33, v22
	v_cndmask_b32_e64 v20, 0, v20, s[4:5]
	v_perm_b32 v16, v16, v20, s47
.LBB260_175:                            ;   in Loop: Header=BB260_124 Depth=1
	s_or_b64 exec, exec, s[24:25]
	v_and_b32_e32 v17, 0xffff, v17
	v_lshl_or_b32 v27, v26, 16, v17
	v_and_b32_e32 v17, 0xffff, v28
	v_lshl_or_b32 v26, v29, 16, v17
	v_and_b32_e32 v17, 0xffff, v30
	v_lshl_or_b32 v23, v31, 16, v17
	v_and_b32_e32 v17, 0xffff, v32
	v_lshl_or_b32 v22, v33, 16, v17
	;;#ASMSTART
	v_pk_mul_f16 v17, v27, v18;

	;;#ASMEND
	;;#ASMSTART
	v_pk_mul_f16 v8, v26, v8;

	;;#ASMEND
	;; [unrolled: 4-line block ×4, first 2 shown]
	;;#ASMSTART
	v_pk_add_f16 v8, v17, v8;

	;;#ASMEND
	;;#ASMSTART
	v_pk_add_f16 v8, v8, v18;

	;;#ASMEND
	;; [unrolled: 4-line block ×3, first 2 shown]
	v_lshrrev_b32_e32 v16, 16, v8
	v_and_b32_e32 v8, 0xffff, v8
	;;#ASMSTART
	v_cvt_f32_f16 v8, v8;
	;;#ASMEND
	;;#ASMSTART
	v_cvt_f32_f16 v16, v16;
	;;#ASMEND
	v_add_f32_e32 v8, v8, v16
	v_add_f32_e32 v4, v4, v8
	s_and_saveexec_b64 s[24:25], vcc
	s_cbranch_execz .LBB260_122
; %bb.176:                              ;   in Loop: Header=BB260_124 Depth=1
	v_add_co_u32_e64 v16, s[4:5], v14, v10
	v_addc_co_u32_e64 v17, s[4:5], 0, v15, s[4:5]
	global_load_dwordx2 v[20:21], v[16:17], off
	global_load_dword v14, v9, s[18:19]
	v_mov_b32_e32 v18, 0
	v_mov_b32_e32 v16, 0
	s_waitcnt vmcnt(1)
	v_cmp_ne_u16_sdwa s[4:5], v20, v9 src0_sel:BYTE_0 src1_sel:DWORD
	s_and_saveexec_b64 s[26:27], s[4:5]
	s_cbranch_execz .LBB260_182
; %bb.177:                              ;   in Loop: Header=BB260_124 Depth=1
	v_cmp_ne_u16_sdwa s[4:5], v20, s38 src0_sel:BYTE_0 src1_sel:DWORD
	v_bfrev_b32_e32 v16, 1
	s_and_saveexec_b64 s[28:29], s[4:5]
	s_cbranch_execz .LBB260_181
; %bb.178:                              ;   in Loop: Header=BB260_124 Depth=1
	v_and_b32_e32 v8, 0x7f, v20
	v_cmp_ne_u32_e64 s[4:5], s39, v8
	v_mov_b32_e32 v16, 0x7fc02000
	s_and_saveexec_b64 s[30:31], s[4:5]
	s_cbranch_execz .LBB260_180
; %bb.179:                              ;   in Loop: Header=BB260_124 Depth=1
	v_and_b32_e32 v15, 7, v20
	v_ffbh_u32_e32 v15, v15
	v_min_u32_e32 v15, 32, v15
	v_subrev_u32_e32 v16, 28, v15
	v_cmp_gt_u32_e64 s[4:5], 8, v8
	v_lshrrev_b32_e32 v19, 3, v8
	v_sub_u32_e32 v15, 29, v15
	v_cndmask_b32_e64 v8, 0, v16, s[4:5]
	v_lshlrev_b64 v[16:17], v8, v[20:21]
	v_cndmask_b32_e64 v8, v19, v15, s[4:5]
	v_lshlrev_b32_e32 v15, 7, v16
	v_lshlrev_b32_e32 v16, 8, v20
	v_lshl_add_u32 v8, v8, 10, v25
	v_and_or_b32 v8, v16, s40, v8
	v_and_or_b32 v8, v15, s41, v8
	v_cvt_f32_f16_e32 v16, v8
.LBB260_180:                            ;   in Loop: Header=BB260_124 Depth=1
	s_or_b64 exec, exec, s[30:31]
.LBB260_181:                            ;   in Loop: Header=BB260_124 Depth=1
	s_or_b64 exec, exec, s[28:29]
.LBB260_182:                            ;   in Loop: Header=BB260_124 Depth=1
	s_or_b64 exec, exec, s[26:27]
	v_lshrrev_b16_e32 v8, 8, v20
	v_cmp_ne_u16_e64 s[4:5], 0, v8
	s_and_saveexec_b64 s[26:27], s[4:5]
	s_cbranch_execz .LBB260_188
; %bb.183:                              ;   in Loop: Header=BB260_124 Depth=1
	v_cmp_ne_u16_e64 s[4:5], s38, v8
	v_bfrev_b32_e32 v18, 1
	s_and_saveexec_b64 s[28:29], s[4:5]
	s_cbranch_execz .LBB260_187
; %bb.184:                              ;   in Loop: Header=BB260_124 Depth=1
	v_and_b32_e32 v15, 0x7f, v8
	v_cmp_ne_u32_e64 s[4:5], s39, v15
	v_mov_b32_e32 v18, 0x7fc02000
	s_and_saveexec_b64 s[30:31], s[4:5]
	s_cbranch_execz .LBB260_186
; %bb.185:                              ;   in Loop: Header=BB260_124 Depth=1
	v_and_b32_e32 v17, 7, v8
	v_ffbh_u32_e32 v18, v17
	v_min_u32_e32 v29, 32, v18
	v_subrev_u32_e32 v18, 28, v29
	v_lshlrev_b64 v[18:19], v18, v[8:9]
	v_lshrrev_b32_e32 v28, 3, v15
	v_sub_u32_e32 v19, 29, v29
	v_cmp_gt_u32_e64 s[4:5], 8, v15
	v_cndmask_b32_e64 v15, v28, v19, s[4:5]
	v_and_b32_e32 v18, 7, v18
	v_lshlrev_b32_e32 v8, 8, v8
	v_lshl_add_u32 v15, v15, 10, v25
	v_cndmask_b32_e64 v17, v17, v18, s[4:5]
	v_and_or_b32 v8, v8, s40, v15
	v_lshl_or_b32 v8, v17, 7, v8
	v_cvt_f32_f16_e32 v18, v8
.LBB260_186:                            ;   in Loop: Header=BB260_124 Depth=1
	s_or_b64 exec, exec, s[30:31]
.LBB260_187:                            ;   in Loop: Header=BB260_124 Depth=1
	s_or_b64 exec, exec, s[28:29]
.LBB260_188:                            ;   in Loop: Header=BB260_124 Depth=1
	s_or_b64 exec, exec, s[26:27]
	v_lshrrev_b32_e32 v8, 16, v20
	v_cmp_ne_u16_sdwa s[4:5], v8, v9 src0_sel:BYTE_0 src1_sel:DWORD
	v_mov_b32_e32 v19, 0
	v_mov_b32_e32 v17, 0
	s_and_saveexec_b64 s[26:27], s[4:5]
	s_cbranch_execz .LBB260_194
; %bb.189:                              ;   in Loop: Header=BB260_124 Depth=1
	v_cmp_ne_u16_sdwa s[4:5], v8, s38 src0_sel:BYTE_0 src1_sel:DWORD
	v_bfrev_b32_e32 v17, 1
	s_and_saveexec_b64 s[28:29], s[4:5]
	s_cbranch_execz .LBB260_193
; %bb.190:                              ;   in Loop: Header=BB260_124 Depth=1
	v_bfe_u32 v15, v20, 16, 7
	v_cmp_ne_u32_e64 s[4:5], s39, v15
	v_mov_b32_e32 v17, 0x7fc02000
	s_and_saveexec_b64 s[30:31], s[4:5]
	s_cbranch_execz .LBB260_192
; %bb.191:                              ;   in Loop: Header=BB260_124 Depth=1
	v_and_b32_e32 v17, 7, v8
	v_ffbh_u32_e32 v28, v17
	v_min_u32_e32 v31, 32, v28
	v_subrev_u32_e32 v28, 28, v31
	v_lshlrev_b64 v[28:29], v28, v[8:9]
	v_lshrrev_b32_e32 v30, 3, v15
	v_sub_u32_e32 v29, 29, v31
	v_cmp_gt_u32_e64 s[4:5], 8, v15
	v_cndmask_b32_e64 v15, v30, v29, s[4:5]
	v_and_b32_e32 v28, 7, v28
	v_lshlrev_b32_e32 v8, 8, v8
	v_lshl_add_u32 v15, v15, 10, v25
	v_cndmask_b32_e64 v17, v17, v28, s[4:5]
	v_and_or_b32 v8, v8, s40, v15
	v_lshl_or_b32 v8, v17, 7, v8
	v_cvt_f32_f16_e32 v17, v8
.LBB260_192:                            ;   in Loop: Header=BB260_124 Depth=1
	s_or_b64 exec, exec, s[30:31]
.LBB260_193:                            ;   in Loop: Header=BB260_124 Depth=1
	s_or_b64 exec, exec, s[28:29]
.LBB260_194:                            ;   in Loop: Header=BB260_124 Depth=1
	s_or_b64 exec, exec, s[26:27]
	v_cmp_lt_u32_e64 s[4:5], s17, v20
	s_and_saveexec_b64 s[26:27], s[4:5]
	s_cbranch_execz .LBB260_200
; %bb.195:                              ;   in Loop: Header=BB260_124 Depth=1
	v_lshrrev_b32_e32 v8, 24, v20
	v_cmp_ne_u32_e64 s[4:5], s38, v8
	v_bfrev_b32_e32 v19, 1
	s_and_saveexec_b64 s[28:29], s[4:5]
	s_cbranch_execz .LBB260_199
; %bb.196:                              ;   in Loop: Header=BB260_124 Depth=1
	v_and_b32_e32 v15, 0x7f, v8
	v_cmp_ne_u32_e64 s[4:5], s39, v15
	v_mov_b32_e32 v19, 0x7fc02000
	s_and_saveexec_b64 s[30:31], s[4:5]
	s_cbranch_execz .LBB260_198
; %bb.197:                              ;   in Loop: Header=BB260_124 Depth=1
	v_and_b32_e32 v19, 7, v8
	v_ffbh_u32_e32 v28, v19
	v_min_u32_e32 v31, 32, v28
	v_subrev_u32_e32 v28, 28, v31
	v_lshlrev_b64 v[28:29], v28, v[8:9]
	v_lshrrev_b32_e32 v30, 3, v15
	v_sub_u32_e32 v29, 29, v31
	v_cmp_gt_u32_e64 s[4:5], 8, v15
	v_cndmask_b32_e64 v15, v30, v29, s[4:5]
	v_and_b32_e32 v28, 7, v28
	v_lshlrev_b32_e32 v8, 8, v8
	v_lshl_add_u32 v15, v15, 10, v25
	v_cndmask_b32_e64 v19, v19, v28, s[4:5]
	v_and_or_b32 v8, v8, s40, v15
	v_lshl_or_b32 v8, v19, 7, v8
	v_cvt_f32_f16_e32 v19, v8
.LBB260_198:                            ;   in Loop: Header=BB260_124 Depth=1
	s_or_b64 exec, exec, s[30:31]
.LBB260_199:                            ;   in Loop: Header=BB260_124 Depth=1
	s_or_b64 exec, exec, s[28:29]
.LBB260_200:                            ;   in Loop: Header=BB260_124 Depth=1
	s_or_b64 exec, exec, s[26:27]
	v_mov_b32_e32 v8, v21
	v_cmp_ne_u16_sdwa s[4:5], v21, v9 src0_sel:BYTE_0 src1_sel:DWORD
	v_mov_b32_e32 v28, 0
	v_mov_b32_e32 v15, 0
	s_and_saveexec_b64 s[26:27], s[4:5]
	s_cbranch_execz .LBB260_206
; %bb.201:                              ;   in Loop: Header=BB260_124 Depth=1
	v_cmp_ne_u16_sdwa s[4:5], v21, s38 src0_sel:BYTE_0 src1_sel:DWORD
	v_bfrev_b32_e32 v15, 1
	s_and_saveexec_b64 s[28:29], s[4:5]
	s_cbranch_execz .LBB260_205
; %bb.202:                              ;   in Loop: Header=BB260_124 Depth=1
	v_and_b32_e32 v29, 0x7f, v21
	v_cmp_ne_u32_e64 s[4:5], s39, v29
	v_mov_b32_e32 v15, 0x7fc02000
	s_and_saveexec_b64 s[30:31], s[4:5]
	s_cbranch_execz .LBB260_204
; %bb.203:                              ;   in Loop: Header=BB260_124 Depth=1
	v_and_b32_e32 v15, 7, v21
	v_ffbh_u32_e32 v15, v15
	v_min_u32_e32 v15, 32, v15
	v_subrev_u32_e32 v30, 28, v15
	v_cmp_gt_u32_e64 s[4:5], 8, v29
	v_lshrrev_b32_e32 v32, 3, v29
	v_sub_u32_e32 v15, 29, v15
	v_cndmask_b32_e64 v29, 0, v30, s[4:5]
	v_lshlrev_b64 v[30:31], v29, v[8:9]
	v_cndmask_b32_e64 v15, v32, v15, s[4:5]
	v_lshlrev_b32_e32 v29, 7, v30
	v_lshlrev_b32_e32 v30, 8, v21
	v_lshl_add_u32 v15, v15, 10, v25
	v_and_or_b32 v15, v30, s40, v15
	v_and_or_b32 v15, v29, s41, v15
	v_cvt_f32_f16_e32 v15, v15
.LBB260_204:                            ;   in Loop: Header=BB260_124 Depth=1
	s_or_b64 exec, exec, s[30:31]
.LBB260_205:                            ;   in Loop: Header=BB260_124 Depth=1
	s_or_b64 exec, exec, s[28:29]
.LBB260_206:                            ;   in Loop: Header=BB260_124 Depth=1
	s_or_b64 exec, exec, s[26:27]
	v_lshrrev_b16_e32 v8, 8, v8
	v_cmp_ne_u16_e64 s[4:5], 0, v8
	s_and_saveexec_b64 s[26:27], s[4:5]
	s_cbranch_execz .LBB260_212
; %bb.207:                              ;   in Loop: Header=BB260_124 Depth=1
	v_cmp_ne_u16_e64 s[4:5], s38, v8
	v_bfrev_b32_e32 v28, 1
	s_and_saveexec_b64 s[28:29], s[4:5]
	s_cbranch_execz .LBB260_211
; %bb.208:                              ;   in Loop: Header=BB260_124 Depth=1
	v_and_b32_e32 v29, 0x7f, v8
	v_cmp_ne_u32_e64 s[4:5], s39, v29
	v_mov_b32_e32 v28, 0x7fc02000
	s_and_saveexec_b64 s[30:31], s[4:5]
	s_cbranch_execz .LBB260_210
; %bb.209:                              ;   in Loop: Header=BB260_124 Depth=1
	v_and_b32_e32 v28, 7, v8
	v_ffbh_u32_e32 v30, v28
	v_min_u32_e32 v33, 32, v30
	v_subrev_u32_e32 v30, 28, v33
	v_lshlrev_b64 v[30:31], v30, v[8:9]
	v_lshrrev_b32_e32 v32, 3, v29
	v_sub_u32_e32 v31, 29, v33
	v_cmp_gt_u32_e64 s[4:5], 8, v29
	v_cndmask_b32_e64 v29, v32, v31, s[4:5]
	v_and_b32_e32 v30, 7, v30
	v_lshlrev_b32_e32 v8, 8, v8
	v_lshl_add_u32 v29, v29, 10, v25
	v_cndmask_b32_e64 v28, v28, v30, s[4:5]
	v_and_or_b32 v8, v8, s40, v29
	v_lshl_or_b32 v8, v28, 7, v8
	v_cvt_f32_f16_e32 v28, v8
.LBB260_210:                            ;   in Loop: Header=BB260_124 Depth=1
	s_or_b64 exec, exec, s[30:31]
.LBB260_211:                            ;   in Loop: Header=BB260_124 Depth=1
	s_or_b64 exec, exec, s[28:29]
.LBB260_212:                            ;   in Loop: Header=BB260_124 Depth=1
	s_or_b64 exec, exec, s[26:27]
	v_lshrrev_b32_e32 v8, 16, v21
	v_cmp_ne_u16_sdwa s[4:5], v8, v9 src0_sel:BYTE_0 src1_sel:DWORD
	v_mov_b32_e32 v29, 0
	v_mov_b32_e32 v30, 0
	s_and_saveexec_b64 s[26:27], s[4:5]
	s_cbranch_execz .LBB260_218
; %bb.213:                              ;   in Loop: Header=BB260_124 Depth=1
	v_cmp_ne_u16_sdwa s[4:5], v8, s38 src0_sel:BYTE_0 src1_sel:DWORD
	v_bfrev_b32_e32 v30, 1
	s_and_saveexec_b64 s[28:29], s[4:5]
	s_cbranch_execz .LBB260_217
; %bb.214:                              ;   in Loop: Header=BB260_124 Depth=1
	v_bfe_u32 v31, v21, 16, 7
	v_cmp_ne_u32_e64 s[4:5], s39, v31
	v_mov_b32_e32 v30, 0x7fc02000
	s_and_saveexec_b64 s[30:31], s[4:5]
	s_cbranch_execz .LBB260_216
; %bb.215:                              ;   in Loop: Header=BB260_124 Depth=1
	v_and_b32_e32 v30, 7, v8
	v_ffbh_u32_e32 v32, v30
	v_min_u32_e32 v35, 32, v32
	v_subrev_u32_e32 v32, 28, v35
	v_lshlrev_b64 v[32:33], v32, v[8:9]
	v_lshrrev_b32_e32 v34, 3, v31
	v_sub_u32_e32 v33, 29, v35
	v_cmp_gt_u32_e64 s[4:5], 8, v31
	v_cndmask_b32_e64 v31, v34, v33, s[4:5]
	v_and_b32_e32 v32, 7, v32
	v_lshlrev_b32_e32 v8, 8, v8
	v_lshl_add_u32 v31, v31, 10, v25
	v_cndmask_b32_e64 v30, v30, v32, s[4:5]
	v_and_or_b32 v8, v8, s40, v31
	v_lshl_or_b32 v8, v30, 7, v8
	v_cvt_f32_f16_e32 v30, v8
.LBB260_216:                            ;   in Loop: Header=BB260_124 Depth=1
	s_or_b64 exec, exec, s[30:31]
.LBB260_217:                            ;   in Loop: Header=BB260_124 Depth=1
	s_or_b64 exec, exec, s[28:29]
.LBB260_218:                            ;   in Loop: Header=BB260_124 Depth=1
	s_or_b64 exec, exec, s[26:27]
	v_cmp_lt_u64_e64 s[4:5], s[16:17], v[20:21]
	s_and_saveexec_b64 s[26:27], s[4:5]
	s_cbranch_execz .LBB260_224
; %bb.219:                              ;   in Loop: Header=BB260_124 Depth=1
	v_lshrrev_b32_e32 v8, 24, v21
	v_cmp_ne_u32_e64 s[4:5], s38, v8
	v_bfrev_b32_e32 v29, 1
	s_and_saveexec_b64 s[28:29], s[4:5]
	s_cbranch_execz .LBB260_223
; %bb.220:                              ;   in Loop: Header=BB260_124 Depth=1
	v_and_b32_e32 v20, 0x7f, v8
	v_cmp_ne_u32_e64 s[4:5], s39, v20
	v_mov_b32_e32 v29, 0x7fc02000
	s_and_saveexec_b64 s[30:31], s[4:5]
	s_cbranch_execz .LBB260_222
; %bb.221:                              ;   in Loop: Header=BB260_124 Depth=1
	v_and_b32_e32 v21, 7, v8
	v_ffbh_u32_e32 v31, v21
	v_min_u32_e32 v31, 32, v31
	v_lshrrev_b32_e32 v29, 3, v20
	v_subrev_u32_e32 v32, 28, v31
	v_sub_u32_e32 v31, 29, v31
	v_cmp_gt_u32_e64 s[4:5], 8, v20
	v_lshlrev_b64 v[32:33], v32, v[8:9]
	v_cndmask_b32_e64 v20, v29, v31, s[4:5]
	v_and_b32_e32 v32, 7, v32
	v_lshlrev_b32_e32 v8, 8, v8
	v_lshl_add_u32 v20, v20, 10, v25
	v_cndmask_b32_e64 v21, v21, v32, s[4:5]
	v_and_or_b32 v8, v8, s40, v20
	v_lshl_or_b32 v8, v21, 7, v8
	v_cvt_f32_f16_e32 v29, v8
.LBB260_222:                            ;   in Loop: Header=BB260_124 Depth=1
	s_or_b64 exec, exec, s[30:31]
.LBB260_223:                            ;   in Loop: Header=BB260_124 Depth=1
	s_or_b64 exec, exec, s[28:29]
.LBB260_224:                            ;   in Loop: Header=BB260_124 Depth=1
	s_or_b64 exec, exec, s[26:27]
	s_waitcnt vmcnt(0)
	v_pk_mul_f32 v[16:17], v[14:15], v[16:17] op_sel_hi:[0,1]
	v_cvt_f16_f32_e32 v17, v17
	v_cvt_f16_f32_e32 v16, v16
	v_pk_mul_f32 v[18:19], v[14:15], v[18:19] op_sel_hi:[0,1]
	v_cvt_f16_f32_e32 v8, v19
	v_cvt_f16_f32_e32 v18, v18
	v_pack_b32_f16 v16, v16, v17
	v_fma_mixlo_f16 v17, v14, v28, 0
	v_lshlrev_b32_e32 v17, 16, v17
	v_fma_mixlo_f16 v15, v14, v15, 0
	v_or_b32_sdwa v15, v17, v15 dst_sel:DWORD dst_unused:UNUSED_PAD src0_sel:DWORD src1_sel:WORD_0
	v_fma_mixlo_f16 v17, v14, v30, 0
	v_fma_mixlo_f16 v14, v14, v29, 0
	v_pack_b32_f16 v18, v18, v8
	v_lshlrev_b32_e32 v14, 16, v14
	v_perm_b32 v8, v16, v18, s45
	v_perm_b32 v16, v16, v18, s46
	v_or_b32_sdwa v14, v14, v17 dst_sel:DWORD dst_unused:UNUSED_PAD src0_sel:DWORD src1_sel:WORD_0
	s_and_saveexec_b64 s[4:5], s[2:3]
	s_cbranch_execz .LBB260_121
; %bb.225:                              ;   in Loop: Header=BB260_124 Depth=1
	v_add_u32_e32 v18, 1, v24
	v_lshrrev_b32_e32 v19, 16, v16
	v_cmp_gt_i32_e64 s[2:3], s43, v18
	v_cndmask_b32_e64 v18, 0, v19, s[2:3]
	v_cmp_gt_i32_e64 s[2:3], s33, v24
	v_cndmask_b32_e64 v16, 0, v16, s[2:3]
	v_perm_b32 v16, v18, v16, s47
	v_or_b32_e32 v18, 3, v24
	v_or_b32_e32 v19, 2, v24
	v_lshrrev_b32_e32 v20, 16, v8
	v_cmp_gt_i32_e64 s[2:3], s43, v18
	v_cndmask_b32_e64 v18, 0, v20, s[2:3]
	v_cmp_gt_i32_e64 s[2:3], s33, v19
	v_cndmask_b32_e64 v8, 0, v8, s[2:3]
	v_perm_b32 v8, v18, v8, s47
	v_or_b32_e32 v18, 5, v24
	v_or_b32_e32 v19, 4, v24
	;; [unrolled: 8-line block ×3, first 2 shown]
	v_lshrrev_b32_e32 v14, 16, v14
	v_cmp_gt_i32_e64 s[2:3], s43, v18
	v_cndmask_b32_e64 v14, 0, v14, s[2:3]
	v_cmp_gt_i32_e64 s[2:3], s33, v19
	v_cndmask_b32_e64 v17, 0, v17, s[2:3]
	v_perm_b32 v14, v14, v17, s47
	s_branch .LBB260_121
.LBB260_226:
	s_or_b64 exec, exec, s[20:21]
.LBB260_227:
	s_or_b64 exec, exec, s[6:7]
	v_and_b32_e32 v2, 0x3c0, v0
	v_cmp_eq_u32_e32 vcc, 64, v2
	s_barrier
	s_and_saveexec_b64 s[2:3], vcc
	s_cbranch_execz .LBB260_230
; %bb.228:
	v_mov_b32_e32 v2, 0xd0
	v_lshl_add_u32 v3, v7, 2, v2
	ds_write_b32 v3, v4
	s_and_b64 exec, exec, s[0:1]
	s_cbranch_execz .LBB260_230
; %bb.229:
	v_lshl_add_u32 v2, v0, 2, v2
	ds_write_b32 v2, v5
.LBB260_230:
	s_or_b64 exec, exec, s[2:3]
	v_cmp_gt_u32_e32 vcc, 64, v0
	v_or_b32_e32 v2, 64, v0
	s_waitcnt lgkmcnt(0)
	s_barrier
	s_and_saveexec_b64 s[2:3], vcc
	s_cbranch_execz .LBB260_234
; %bb.231:
	v_mov_b32_e32 v3, 0xd0
	v_lshl_add_u32 v0, v0, 2, v3
	ds_read_b32 v3, v0
	s_movk_i32 s0, 0x60
	v_cmp_gt_u32_e64 s[0:1], s0, v2
	s_waitcnt lgkmcnt(0)
	v_add_f32_e32 v4, v4, v3
	s_and_saveexec_b64 s[4:5], s[0:1]
	s_cbranch_execz .LBB260_233
; %bb.232:
	ds_read_b32 v0, v0 offset:256
	s_waitcnt lgkmcnt(0)
	v_add_f32_e32 v5, v5, v0
.LBB260_233:
	s_or_b64 exec, exec, s[4:5]
.LBB260_234:
	s_or_b64 exec, exec, s[2:3]
	s_barrier
	s_and_saveexec_b64 s[0:1], vcc
	s_cbranch_execz .LBB260_237
; %bb.235:
	s_mul_i32 s0, s10, 0x60
	s_ashr_i32 s1, s0, 31
	s_lshl_b64 s[0:1], s[0:1], 1
	s_add_u32 s3, s34, s0
	s_mul_i32 s0, s15, s14
	s_addc_u32 s4, s35, s1
	s_ashr_i32 s1, s0, 31
	s_lshl_b64 s[0:1], s[0:1], 1
	s_add_u32 s3, s3, s0
	s_mul_i32 s0, s8, 0x60
	s_addc_u32 s4, s4, s1
	s_ashr_i32 s1, s0, 31
	s_lshl_b64 s[0:1], s[0:1], 1
	s_movk_i32 s2, 0x60
	s_add_u32 s0, s3, s0
	s_addc_u32 s1, s4, s1
	v_cmp_gt_u32_e32 vcc, s2, v2
	;;#ASMSTART
	v_cvt_f16_f32 v0, v4;

	;;#ASMEND
	global_store_short v1, v0, s[0:1]
	s_and_b64 exec, exec, vcc
	s_cbranch_execz .LBB260_237
; %bb.236:
	v_mov_b32_e32 v2, s1
	v_add_co_u32_e32 v0, vcc, s0, v1
	v_addc_co_u32_e32 v1, vcc, 0, v2, vcc
	;;#ASMSTART
	v_cvt_f16_f32 v2, v5;

	;;#ASMEND
	global_store_short v[0:1], v2, off offset:128
.LBB260_237:
	s_endpgm
	.section	.rodata,"a",@progbits
	.p2align	6, 0x0
	.amdhsa_kernel _ZN4vllm25paged_attention_v2_kernelIthLi96ELi8ELi128ELNS_18Fp8KVCacheDataTypeE1ELb1ELi512EEEvPfS2_PT_PKS3_PKT0_S9_ifPKiSB_iPKfiiiSD_SD_iiiii
		.amdhsa_group_segment_fixed_size 208
		.amdhsa_private_segment_fixed_size 0
		.amdhsa_kernarg_size 400
		.amdhsa_user_sgpr_count 6
		.amdhsa_user_sgpr_private_segment_buffer 1
		.amdhsa_user_sgpr_dispatch_ptr 0
		.amdhsa_user_sgpr_queue_ptr 0
		.amdhsa_user_sgpr_kernarg_segment_ptr 1
		.amdhsa_user_sgpr_dispatch_id 0
		.amdhsa_user_sgpr_flat_scratch_init 0
		.amdhsa_user_sgpr_kernarg_preload_length 0
		.amdhsa_user_sgpr_kernarg_preload_offset 0
		.amdhsa_user_sgpr_private_segment_size 0
		.amdhsa_uses_dynamic_stack 0
		.amdhsa_system_sgpr_private_segment_wavefront_offset 0
		.amdhsa_system_sgpr_workgroup_id_x 1
		.amdhsa_system_sgpr_workgroup_id_y 1
		.amdhsa_system_sgpr_workgroup_id_z 1
		.amdhsa_system_sgpr_workgroup_info 0
		.amdhsa_system_vgpr_workitem_id 0
		.amdhsa_next_free_vgpr 47
		.amdhsa_next_free_sgpr 64
		.amdhsa_accum_offset 48
		.amdhsa_reserve_vcc 1
		.amdhsa_reserve_flat_scratch 0
		.amdhsa_float_round_mode_32 0
		.amdhsa_float_round_mode_16_64 0
		.amdhsa_float_denorm_mode_32 3
		.amdhsa_float_denorm_mode_16_64 3
		.amdhsa_dx10_clamp 1
		.amdhsa_ieee_mode 1
		.amdhsa_fp16_overflow 0
		.amdhsa_tg_split 0
		.amdhsa_exception_fp_ieee_invalid_op 0
		.amdhsa_exception_fp_denorm_src 0
		.amdhsa_exception_fp_ieee_div_zero 0
		.amdhsa_exception_fp_ieee_overflow 0
		.amdhsa_exception_fp_ieee_underflow 0
		.amdhsa_exception_fp_ieee_inexact 0
		.amdhsa_exception_int_div_zero 0
	.end_amdhsa_kernel
	.section	.text._ZN4vllm25paged_attention_v2_kernelIthLi96ELi8ELi128ELNS_18Fp8KVCacheDataTypeE1ELb1ELi512EEEvPfS2_PT_PKS3_PKT0_S9_ifPKiSB_iPKfiiiSD_SD_iiiii,"axG",@progbits,_ZN4vllm25paged_attention_v2_kernelIthLi96ELi8ELi128ELNS_18Fp8KVCacheDataTypeE1ELb1ELi512EEEvPfS2_PT_PKS3_PKT0_S9_ifPKiSB_iPKfiiiSD_SD_iiiii,comdat
.Lfunc_end260:
	.size	_ZN4vllm25paged_attention_v2_kernelIthLi96ELi8ELi128ELNS_18Fp8KVCacheDataTypeE1ELb1ELi512EEEvPfS2_PT_PKS3_PKT0_S9_ifPKiSB_iPKfiiiSD_SD_iiiii, .Lfunc_end260-_ZN4vllm25paged_attention_v2_kernelIthLi96ELi8ELi128ELNS_18Fp8KVCacheDataTypeE1ELb1ELi512EEEvPfS2_PT_PKS3_PKT0_S9_ifPKiSB_iPKfiiiSD_SD_iiiii
                                        ; -- End function
	.section	.AMDGPU.csdata,"",@progbits
; Kernel info:
; codeLenInByte = 10904
; NumSgprs: 68
; NumVgprs: 47
; NumAgprs: 0
; TotalNumVgprs: 47
; ScratchSize: 0
; MemoryBound: 0
; FloatMode: 240
; IeeeMode: 1
; LDSByteSize: 208 bytes/workgroup (compile time only)
; SGPRBlocks: 8
; VGPRBlocks: 5
; NumSGPRsForWavesPerEU: 68
; NumVGPRsForWavesPerEU: 47
; AccumOffset: 48
; Occupancy: 8
; WaveLimiterHint : 1
; COMPUTE_PGM_RSRC2:SCRATCH_EN: 0
; COMPUTE_PGM_RSRC2:USER_SGPR: 6
; COMPUTE_PGM_RSRC2:TRAP_HANDLER: 0
; COMPUTE_PGM_RSRC2:TGID_X_EN: 1
; COMPUTE_PGM_RSRC2:TGID_Y_EN: 1
; COMPUTE_PGM_RSRC2:TGID_Z_EN: 1
; COMPUTE_PGM_RSRC2:TIDIG_COMP_CNT: 0
; COMPUTE_PGM_RSRC3_GFX90A:ACCUM_OFFSET: 11
; COMPUTE_PGM_RSRC3_GFX90A:TG_SPLIT: 0
	.section	.text._ZN4vllm25paged_attention_v2_kernelIthLi112ELi8ELi128ELNS_18Fp8KVCacheDataTypeE1ELb1ELi512EEEvPfS2_PT_PKS3_PKT0_S9_ifPKiSB_iPKfiiiSD_SD_iiiii,"axG",@progbits,_ZN4vllm25paged_attention_v2_kernelIthLi112ELi8ELi128ELNS_18Fp8KVCacheDataTypeE1ELb1ELi512EEEvPfS2_PT_PKS3_PKT0_S9_ifPKiSB_iPKfiiiSD_SD_iiiii,comdat
	.protected	_ZN4vllm25paged_attention_v2_kernelIthLi112ELi8ELi128ELNS_18Fp8KVCacheDataTypeE1ELb1ELi512EEEvPfS2_PT_PKS3_PKT0_S9_ifPKiSB_iPKfiiiSD_SD_iiiii ; -- Begin function _ZN4vllm25paged_attention_v2_kernelIthLi112ELi8ELi128ELNS_18Fp8KVCacheDataTypeE1ELb1ELi512EEEvPfS2_PT_PKS3_PKT0_S9_ifPKiSB_iPKfiiiSD_SD_iiiii
	.globl	_ZN4vllm25paged_attention_v2_kernelIthLi112ELi8ELi128ELNS_18Fp8KVCacheDataTypeE1ELb1ELi512EEEvPfS2_PT_PKS3_PKT0_S9_ifPKiSB_iPKfiiiSD_SD_iiiii
	.p2align	8
	.type	_ZN4vllm25paged_attention_v2_kernelIthLi112ELi8ELi128ELNS_18Fp8KVCacheDataTypeE1ELb1ELi512EEEvPfS2_PT_PKS3_PKT0_S9_ifPKiSB_iPKfiiiSD_SD_iiiii,@function
_ZN4vllm25paged_attention_v2_kernelIthLi112ELi8ELi128ELNS_18Fp8KVCacheDataTypeE1ELb1ELi512EEEvPfS2_PT_PKS3_PKT0_S9_ifPKiSB_iPKfiiiSD_SD_iiiii: ; @_ZN4vllm25paged_attention_v2_kernelIthLi112ELi8ELi128ELNS_18Fp8KVCacheDataTypeE1ELb1ELi512EEEvPfS2_PT_PKS3_PKT0_S9_ifPKiSB_iPKfiiiSD_SD_iiiii
; %bb.0:
	s_load_dwordx2 s[0:1], s[4:5], 0x40
	s_mov_b32 s36, s7
	s_ashr_i32 s37, s7, 31
	s_lshl_b64 s[2:3], s[36:37], 2
	s_waitcnt lgkmcnt(0)
	s_add_u32 s0, s0, s2
	s_addc_u32 s1, s1, s3
	s_load_dword s33, s[0:1], 0x0
	s_lshl_b32 s57, s8, 9
	s_waitcnt lgkmcnt(0)
	s_cmp_ge_i32 s57, s33
	s_cbranch_scc1 .LBB261_249
; %bb.1:
	s_load_dword s9, s[4:5], 0x90
	s_load_dwordx2 s[44:45], s[4:5], 0x30
	s_waitcnt lgkmcnt(0)
	s_abs_i32 s2, s9
	s_abs_i32 s0, s44
	v_cvt_f32_u32_e32 v1, s0
	s_sub_i32 s3, 0, s0
	s_xor_b32 s1, s9, s44
	s_ashr_i32 s1, s1, 31
	v_rcp_iflag_f32_e32 v1, v1
	v_mul_f32_e32 v1, 0x4f7ffffe, v1
	v_cvt_u32_f32_e32 v1, v1
	v_readfirstlane_b32 s7, v1
	s_mul_i32 s3, s3, s7
	s_mul_hi_u32 s3, s7, s3
	s_add_i32 s7, s7, s3
	s_mul_hi_u32 s3, s2, s7
	s_mul_i32 s7, s3, s0
	s_sub_i32 s2, s2, s7
	s_add_i32 s10, s3, 1
	s_sub_i32 s7, s2, s0
	s_cmp_ge_u32 s2, s0
	s_cselect_b32 s3, s10, s3
	s_cselect_b32 s2, s7, s2
	s_add_i32 s7, s3, 1
	s_cmp_ge_u32 s2, s0
	s_cselect_b32 s0, s7, s3
	s_xor_b32 s0, s0, s1
	s_sub_i32 s2, s0, s1
	s_abs_i32 s10, s2
	v_cvt_f32_u32_e32 v1, s10
	s_load_dwordx2 s[0:1], s[4:5], 0x50
	s_sub_i32 s3, 0, s10
	s_abs_i32 s11, s6
	v_rcp_iflag_f32_e32 v1, v1
	s_mov_b32 s7, 0
	v_mul_f32_e32 v1, 0x4f7ffffe, v1
	v_cvt_u32_f32_e32 v1, v1
	v_readfirstlane_b32 s12, v1
	s_mul_i32 s3, s3, s12
	s_mul_hi_u32 s3, s12, s3
	s_add_i32 s12, s12, s3
	s_waitcnt lgkmcnt(0)
	s_cmp_eq_u64 s[0:1], 0
	s_mul_hi_u32 s12, s11, s12
	s_cbranch_scc1 .LBB261_3
; %bb.2:
	s_ashr_i32 s7, s6, 31
	s_lshl_b64 s[14:15], s[6:7], 2
	s_add_u32 s0, s0, s14
	s_addc_u32 s1, s1, s15
	s_load_dword s7, s[0:1], 0x0
.LBB261_3:
	s_load_dwordx4 s[20:23], s[4:5], 0x58
	s_movk_i32 s0, 0x70
	s_ashr_i32 s13, s6, 31
	s_ashr_i32 s16, s2, 31
	v_and_b32_e32 v4, 7, v0
	s_mul_i32 s14, s6, 0x70
	v_cmp_gt_u32_e64 s[0:1], s0, v0
	v_lshlrev_b32_e32 v1, 1, v0
	s_and_saveexec_b64 s[2:3], s[0:1]
	s_cbranch_execz .LBB261_5
; %bb.4:
	s_load_dwordx2 s[18:19], s[4:5], 0x18
	s_waitcnt lgkmcnt(0)
	s_mul_i32 s24, s36, s20
	s_ashr_i32 s25, s24, 31
	s_lshl_b64 s[24:25], s[24:25], 1
	v_lshrrev_b32_e32 v3, 2, v0
	s_add_u32 s17, s18, s24
	s_addc_u32 s20, s19, s25
	s_ashr_i32 s15, s14, 31
	s_lshl_b64 s[18:19], s[14:15], 1
	s_add_u32 s18, s17, s18
	s_addc_u32 s19, s20, s19
	global_load_ushort v2, v1, s[18:19]
	v_and_b32_e32 v3, 0xfe, v3
	v_mad_u32_u24 v3, v4, 28, v3
	s_waitcnt vmcnt(0)
	ds_write_b16 v3, v2
.LBB261_5:
	s_or_b64 exec, exec, s[2:3]
	s_mul_i32 s3, s12, s10
	s_sub_i32 s3, s11, s3
	s_xor_b32 s2, s13, s16
	s_add_i32 s11, s12, 1
	s_sub_i32 s13, s3, s10
	s_load_dwordx4 s[24:27], s[4:5], 0x78
	s_cmp_ge_u32 s3, s10
	s_cselect_b32 s11, s11, s12
	s_cselect_b32 s3, s13, s3
	s_load_dword s13, s[4:5], 0x88
	s_add_i32 s12, s11, 1
	s_cmp_ge_u32 s3, s10
	s_cselect_b32 s3, s12, s11
	s_waitcnt lgkmcnt(0)
	s_abs_i32 s37, s27
	v_cvt_f32_u32_e32 v2, s37
	s_xor_b32 s3, s3, s2
	s_sub_i32 s10, s3, s2
	s_sub_i32 s2, 0, s37
	v_rcp_iflag_f32_e32 v2, v2
	s_add_i32 s15, s33, -1
	s_abs_i32 s11, s15
	v_mul_f32_e32 v2, 0x4f7ffffe, v2
	v_cvt_u32_f32_e32 v2, v2
	s_barrier
	v_readfirstlane_b32 s54, v2
	s_mul_i32 s2, s2, s54
	s_mul_hi_u32 s2, s54, s2
	s_add_i32 s54, s54, s2
	s_cmp_lt_i32 s13, 0
	s_mul_hi_u32 s12, s11, s54
	s_cbranch_scc0 .LBB261_7
; %bb.6:
	s_mul_i32 s2, s24, s44
	s_add_i32 s2, s10, s2
	s_mul_i32 s2, s2, s13
	s_sub_i32 s44, 1, s2
	s_mov_b64 s[2:3], 0
	s_branch .LBB261_8
.LBB261_7:
	s_mov_b64 s[2:3], -1
                                        ; implicit-def: $sgpr44
.LBB261_8:
	s_load_dwordx2 s[38:39], s[4:5], 0x38
	s_ashr_i32 s20, s15, 31
	s_andn2_b64 vcc, exec, s[2:3]
	s_ashr_i32 s55, s27, 31
	s_cbranch_vccnz .LBB261_10
; %bb.9:
	s_mul_i32 s2, s9, s24
	s_add_i32 s2, s2, s6
	s_mul_i32 s2, s2, s13
	s_add_i32 s44, s2, 1
.LBB261_10:
	s_load_dwordx2 s[42:43], s[4:5], 0x28
	s_load_dword s2, s[4:5], 0x48
	s_load_dwordx4 s[28:31], s[4:5], 0x0
	s_load_dwordx2 s[34:35], s[4:5], 0x10
	s_load_dword s15, s[4:5], 0x98
	s_load_dwordx4 s[16:19], s[4:5], 0x68
	s_mul_i32 s3, s12, s37
	s_waitcnt lgkmcnt(0)
	s_mul_i32 s40, s36, s2
	s_sub_i32 s3, s11, s3
	s_ashr_i32 s41, s40, 31
	s_xor_b32 s2, s20, s55
	s_add_i32 s11, s12, 1
	s_sub_i32 s13, s3, s37
	s_cmp_ge_u32 s3, s37
	s_cselect_b32 s11, s11, s12
	s_cselect_b32 s3, s13, s3
	s_add_i32 s12, s11, 1
	s_cmp_ge_u32 s3, s37
	s_cselect_b32 s3, s12, s11
	s_xor_b32 s3, s3, s2
	s_sub_i32 s24, s3, s2
	s_add_i32 s2, s33, 7
	s_ashr_i32 s3, s2, 31
	s_lshr_b32 s3, s3, 29
	s_add_i32 s2, s2, s3
	s_lshl_b32 s58, s8, 6
	s_ashr_i32 s20, s2, 3
	s_add_i32 s2, s58, 64
	v_lshrrev_b32_e32 v13, 6, v0
	s_min_i32 s56, s2, s20
	v_or_b32_e32 v2, s58, v13
	v_cmp_gt_i32_e64 s[2:3], s56, v2
	v_mov_b32_e32 v17, 0xff7fffff
	s_mul_i32 s27, s10, s22
	v_ashrrev_i32_e32 v3, 31, v2
	v_lshl_add_u32 v22, v13, 3, s57
	v_mbcnt_lo_u32_b32 v5, -1, 0
	s_and_saveexec_b64 s[22:23], s[2:3]
	s_cbranch_execz .LBB261_104
; %bb.11:
	s_load_dwordx2 s[4:5], s[4:5], 0x20
	s_sub_i32 s59, s24, s25
	s_ashr_i32 s10, s27, 31
	v_bfe_u32 v14, v0, 3, 3
	v_lshlrev_b32_e32 v7, 4, v14
	s_waitcnt lgkmcnt(0)
	s_add_u32 s4, s4, s27
	s_addc_u32 s5, s5, s10
	s_abs_i32 s61, s26
	v_cvt_f32_u32_e32 v6, s61
	v_mov_b32_e32 v8, s5
	s_sub_i32 s10, 0, s61
	v_cmp_eq_u32_e32 vcc, 0, v4
	v_rcp_iflag_f32_e32 v9, v6
	v_add_co_u32_e64 v6, s[4:5], s4, v7
	v_addc_co_u32_e64 v7, s[4:5], 0, v8, s[4:5]
	v_mul_f32_e32 v8, 0x4f7ffffe, v9
	v_cvt_u32_f32_e32 v8, v8
	s_mov_b32 s60, s21
	v_mov_b32_e32 v15, 0
	v_mul_u32_u24_e32 v16, 28, v4
	v_mul_lo_u32 v9, s10, v8
	s_lshl_b64 s[10:11], s[40:41], 2
	v_mul_hi_u32 v9, v8, v9
	s_add_u32 s10, s38, s10
	v_add_u32_e32 v18, v8, v9
	v_lshlrev_b64 v[8:9], 2, v[2:3]
	s_addc_u32 s11, s39, s11
	v_mov_b32_e32 v10, s11
	v_add_co_u32_e64 v8, s[10:11], s10, v8
	v_addc_co_u32_e64 v9, s[10:11], v10, v9, s[10:11]
	v_lshlrev_b32_e32 v10, 2, v14
	v_lshl_or_b32 v10, v13, 5, v10
	v_add_u32_e32 v20, 0xf0, v10
	v_subrev_u32_e32 v10, s33, v14
	v_cmp_neq_f32_e64 s[4:5], s7, 0
	v_lshl_add_u32 v19, v13, 3, s57
	v_add_u32_e32 v21, 1, v10
	s_mov_b64 s[46:47], 0
	v_mov_b32_e32 v23, 0xff7fffff
	s_movk_i32 s62, 0x80
	s_movk_i32 s63, 0x7f
	v_bfrev_b32_e32 v24, 60
	v_mbcnt_hi_u32_b32 v25, -1, v5
	v_mov_b32_e32 v17, 0xff7fffff
	v_mov_b32_e32 v26, v2
	s_branch .LBB261_14
.LBB261_12:                             ;   in Loop: Header=BB261_14 Depth=1
	s_or_b64 exec, exec, s[48:49]
.LBB261_13:                             ;   in Loop: Header=BB261_14 Depth=1
	s_or_b64 exec, exec, s[12:13]
	v_add_co_u32_e64 v8, s[10:11], 8, v8
	v_add_u32_e32 v26, 2, v26
	v_addc_co_u32_e64 v9, s[10:11], 0, v9, s[10:11]
	v_cmp_le_i32_e64 s[10:11], s56, v26
	v_add_u32_e32 v19, 16, v19
	s_or_b64 s[46:47], s[10:11], s[46:47]
	v_add_u32_e32 v20, 64, v20
	s_andn2_b64 exec, exec, s[46:47]
	s_cbranch_execz .LBB261_103
.LBB261_14:                             ; =>This Inner Loop Header: Depth=1
	s_waitcnt lgkmcnt(0)
	v_sub_u32_e32 v11, 0, v19
	v_max_i32_e32 v11, v19, v11
	v_mul_hi_u32 v12, v11, s54
	v_mul_lo_u32 v27, v12, s37
	v_sub_u32_e32 v11, v11, v27
	v_add_u32_e32 v27, 1, v12
	v_cmp_le_u32_e64 s[10:11], s37, v11
	v_cndmask_b32_e64 v12, v12, v27, s[10:11]
	v_subrev_u32_e32 v27, s37, v11
	v_cndmask_b32_e64 v11, v11, v27, s[10:11]
	v_ashrrev_i32_e32 v10, 31, v19
	v_add_u32_e32 v27, 1, v12
	v_cmp_le_u32_e64 s[10:11], s37, v11
	v_xor_b32_e32 v10, s55, v10
	v_cndmask_b32_e64 v11, v12, v27, s[10:11]
	v_xor_b32_e32 v11, v11, v10
	v_sub_u32_e32 v10, v11, v10
	v_add_u32_e32 v11, s44, v10
	v_sub_u32_e32 v27, 0, v11
	v_ashrrev_i32_e32 v12, 31, v11
	v_max_i32_e32 v11, v11, v27
	v_mul_hi_u32 v27, v11, v18
	v_mul_lo_u32 v27, v27, s61
	v_sub_u32_e32 v11, v11, v27
	v_subrev_u32_e32 v27, s61, v11
	v_cmp_le_u32_e64 s[10:11], s61, v11
	v_cndmask_b32_e64 v11, v11, v27, s[10:11]
	v_subrev_u32_e32 v27, s61, v11
	v_cmp_le_u32_e64 s[10:11], s61, v11
	v_cndmask_b32_e64 v11, v11, v27, s[10:11]
	v_xor_b32_e32 v11, v11, v12
	v_sub_u32_e32 v11, v11, v12
	v_cmp_ne_u32_e64 s[10:11], 0, v11
	v_cmp_ge_i32_e64 s[12:13], s59, v10
	s_and_b64 s[10:11], s[10:11], s[12:13]
	s_and_b64 s[48:49], vcc, s[10:11]
	s_and_saveexec_b64 s[12:13], s[48:49]
	s_cbranch_execz .LBB261_16
; %bb.15:                               ;   in Loop: Header=BB261_14 Depth=1
	ds_write_b32 v20, v23
.LBB261_16:                             ;   in Loop: Header=BB261_14 Depth=1
	s_or_b64 exec, exec, s[12:13]
	s_xor_b64 s[10:11], s[10:11], -1
	s_and_saveexec_b64 s[12:13], s[10:11]
	s_cbranch_execz .LBB261_13
; %bb.17:                               ;   in Loop: Header=BB261_14 Depth=1
	global_load_dword v10, v[8:9], off
	v_mov_b32_e32 v28, 0
	v_mov_b32_e32 v29, 0
	s_waitcnt vmcnt(0)
	v_mad_i64_i32 v[10:11], s[10:11], v10, s60, v[6:7]
	v_add_co_u32_e64 v10, s[10:11], v10, v4
	v_addc_co_u32_e64 v11, s[10:11], 0, v11, s[10:11]
	global_load_ubyte v30, v[10:11], off
	global_load_dword v27, v15, s[16:17]
	s_waitcnt vmcnt(1)
	v_cmp_ne_u16_e64 s[10:11], 0, v30
	s_and_saveexec_b64 s[48:49], s[10:11]
	s_cbranch_execz .LBB261_23
; %bb.18:                               ;   in Loop: Header=BB261_14 Depth=1
	v_cmp_ne_u16_e64 s[10:11], s62, v30
	v_bfrev_b32_e32 v29, 1
	s_and_saveexec_b64 s[50:51], s[10:11]
	s_cbranch_execz .LBB261_22
; %bb.19:                               ;   in Loop: Header=BB261_14 Depth=1
	v_and_b32_e32 v12, 0xffff, v30
	v_and_b32_e32 v31, 0x7f, v12
	v_cmp_ne_u32_e64 s[10:11], s63, v31
	v_mov_b32_e32 v29, 0x7f800001
	s_and_saveexec_b64 s[52:53], s[10:11]
	s_cbranch_execz .LBB261_21
; %bb.20:                               ;   in Loop: Header=BB261_14 Depth=1
	v_and_b32_e32 v29, 7, v12
	v_ffbh_u32_e32 v32, v29
	v_min_u32_e32 v35, 32, v32
	v_subrev_u32_e32 v32, 28, v35
	v_lshlrev_b64 v[32:33], v32, v[12:13]
	v_lshrrev_b32_e32 v34, 3, v31
	v_sub_u32_e32 v12, 29, v35
	v_and_b32_e32 v32, 7, v32
	v_cmp_gt_u32_e64 s[10:11], 8, v31
	v_cndmask_b32_e64 v12, v34, v12, s[10:11]
	v_cndmask_b32_e64 v29, v29, v32, s[10:11]
	v_lshlrev_b32_e32 v30, 24, v30
	v_lshlrev_b32_e32 v29, 20, v29
	v_and_b32_e32 v30, 0x80000000, v30
	v_lshl_add_u32 v12, v12, 23, v24
	v_or3_b32 v29, v30, v12, v29
.LBB261_21:                             ;   in Loop: Header=BB261_14 Depth=1
	s_or_b64 exec, exec, s[52:53]
.LBB261_22:                             ;   in Loop: Header=BB261_14 Depth=1
	s_or_b64 exec, exec, s[50:51]
.LBB261_23:                             ;   in Loop: Header=BB261_14 Depth=1
	s_or_b64 exec, exec, s[48:49]
	global_load_ubyte v30, v[10:11], off offset:8
	s_waitcnt vmcnt(0)
	v_cmp_ne_u16_e64 s[10:11], 0, v30
	s_and_saveexec_b64 s[48:49], s[10:11]
	s_cbranch_execz .LBB261_29
; %bb.24:                               ;   in Loop: Header=BB261_14 Depth=1
	v_cmp_ne_u16_e64 s[10:11], s62, v30
	v_bfrev_b32_e32 v28, 1
	s_and_saveexec_b64 s[50:51], s[10:11]
	s_cbranch_execz .LBB261_28
; %bb.25:                               ;   in Loop: Header=BB261_14 Depth=1
	v_and_b32_e32 v12, 0xffff, v30
	v_and_b32_e32 v31, 0x7f, v12
	v_cmp_ne_u32_e64 s[10:11], s63, v31
	v_mov_b32_e32 v28, 0x7f800001
	s_and_saveexec_b64 s[52:53], s[10:11]
	s_cbranch_execz .LBB261_27
; %bb.26:                               ;   in Loop: Header=BB261_14 Depth=1
	v_and_b32_e32 v28, 7, v12
	v_ffbh_u32_e32 v32, v28
	v_min_u32_e32 v35, 32, v32
	v_subrev_u32_e32 v32, 28, v35
	v_lshlrev_b64 v[32:33], v32, v[12:13]
	v_lshrrev_b32_e32 v34, 3, v31
	v_sub_u32_e32 v12, 29, v35
	v_and_b32_e32 v32, 7, v32
	v_cmp_gt_u32_e64 s[10:11], 8, v31
	v_cndmask_b32_e64 v12, v34, v12, s[10:11]
	v_cndmask_b32_e64 v28, v28, v32, s[10:11]
	v_lshlrev_b32_e32 v30, 24, v30
	v_lshlrev_b32_e32 v28, 20, v28
	v_and_b32_e32 v30, 0x80000000, v30
	v_lshl_add_u32 v12, v12, 23, v24
	v_or3_b32 v28, v30, v12, v28
.LBB261_27:                             ;   in Loop: Header=BB261_14 Depth=1
	s_or_b64 exec, exec, s[52:53]
.LBB261_28:                             ;   in Loop: Header=BB261_14 Depth=1
	s_or_b64 exec, exec, s[50:51]
.LBB261_29:                             ;   in Loop: Header=BB261_14 Depth=1
	s_or_b64 exec, exec, s[48:49]
	global_load_ubyte v32, v[10:11], off offset:128
	v_mov_b32_e32 v30, 0
	v_mov_b32_e32 v31, 0
	s_waitcnt vmcnt(0)
	v_cmp_ne_u16_e64 s[10:11], 0, v32
	s_and_saveexec_b64 s[48:49], s[10:11]
	s_cbranch_execz .LBB261_35
; %bb.30:                               ;   in Loop: Header=BB261_14 Depth=1
	v_cmp_ne_u16_e64 s[10:11], s62, v32
	v_bfrev_b32_e32 v31, 1
	s_and_saveexec_b64 s[50:51], s[10:11]
	s_cbranch_execz .LBB261_34
; %bb.31:                               ;   in Loop: Header=BB261_14 Depth=1
	v_and_b32_e32 v12, 0xffff, v32
	v_and_b32_e32 v33, 0x7f, v12
	v_cmp_ne_u32_e64 s[10:11], s63, v33
	v_mov_b32_e32 v31, 0x7f800001
	s_and_saveexec_b64 s[52:53], s[10:11]
	s_cbranch_execz .LBB261_33
; %bb.32:                               ;   in Loop: Header=BB261_14 Depth=1
	v_and_b32_e32 v31, 7, v12
	v_ffbh_u32_e32 v34, v31
	v_min_u32_e32 v37, 32, v34
	v_subrev_u32_e32 v34, 28, v37
	v_lshlrev_b64 v[34:35], v34, v[12:13]
	v_lshrrev_b32_e32 v36, 3, v33
	v_sub_u32_e32 v12, 29, v37
	v_and_b32_e32 v34, 7, v34
	v_cmp_gt_u32_e64 s[10:11], 8, v33
	v_cndmask_b32_e64 v12, v36, v12, s[10:11]
	v_cndmask_b32_e64 v31, v31, v34, s[10:11]
	v_lshlrev_b32_e32 v32, 24, v32
	v_lshlrev_b32_e32 v31, 20, v31
	v_and_b32_e32 v32, 0x80000000, v32
	v_lshl_add_u32 v12, v12, 23, v24
	v_or3_b32 v31, v32, v12, v31
.LBB261_33:                             ;   in Loop: Header=BB261_14 Depth=1
	s_or_b64 exec, exec, s[52:53]
.LBB261_34:                             ;   in Loop: Header=BB261_14 Depth=1
	s_or_b64 exec, exec, s[50:51]
.LBB261_35:                             ;   in Loop: Header=BB261_14 Depth=1
	s_or_b64 exec, exec, s[48:49]
	global_load_ubyte v32, v[10:11], off offset:136
	s_waitcnt vmcnt(0)
	v_cmp_ne_u16_e64 s[10:11], 0, v32
	s_and_saveexec_b64 s[48:49], s[10:11]
	s_cbranch_execz .LBB261_41
; %bb.36:                               ;   in Loop: Header=BB261_14 Depth=1
	v_cmp_ne_u16_e64 s[10:11], s62, v32
	v_bfrev_b32_e32 v30, 1
	s_and_saveexec_b64 s[50:51], s[10:11]
	s_cbranch_execz .LBB261_40
; %bb.37:                               ;   in Loop: Header=BB261_14 Depth=1
	v_and_b32_e32 v12, 0xffff, v32
	v_and_b32_e32 v33, 0x7f, v12
	v_cmp_ne_u32_e64 s[10:11], s63, v33
	v_mov_b32_e32 v30, 0x7f800001
	s_and_saveexec_b64 s[52:53], s[10:11]
	s_cbranch_execz .LBB261_39
; %bb.38:                               ;   in Loop: Header=BB261_14 Depth=1
	v_and_b32_e32 v30, 7, v12
	v_ffbh_u32_e32 v34, v30
	v_min_u32_e32 v37, 32, v34
	v_subrev_u32_e32 v34, 28, v37
	v_lshlrev_b64 v[34:35], v34, v[12:13]
	v_lshrrev_b32_e32 v36, 3, v33
	v_sub_u32_e32 v12, 29, v37
	v_and_b32_e32 v34, 7, v34
	v_cmp_gt_u32_e64 s[10:11], 8, v33
	v_cndmask_b32_e64 v12, v36, v12, s[10:11]
	v_cndmask_b32_e64 v30, v30, v34, s[10:11]
	v_lshlrev_b32_e32 v32, 24, v32
	v_lshlrev_b32_e32 v30, 20, v30
	v_and_b32_e32 v32, 0x80000000, v32
	v_lshl_add_u32 v12, v12, 23, v24
	v_or3_b32 v30, v32, v12, v30
.LBB261_39:                             ;   in Loop: Header=BB261_14 Depth=1
	s_or_b64 exec, exec, s[52:53]
.LBB261_40:                             ;   in Loop: Header=BB261_14 Depth=1
	s_or_b64 exec, exec, s[50:51]
.LBB261_41:                             ;   in Loop: Header=BB261_14 Depth=1
	s_or_b64 exec, exec, s[48:49]
	global_load_ubyte v34, v[10:11], off offset:256
	v_mov_b32_e32 v32, 0
	v_mov_b32_e32 v33, 0
	s_waitcnt vmcnt(0)
	v_cmp_ne_u16_e64 s[10:11], 0, v34
	s_and_saveexec_b64 s[48:49], s[10:11]
	s_cbranch_execz .LBB261_47
; %bb.42:                               ;   in Loop: Header=BB261_14 Depth=1
	v_cmp_ne_u16_e64 s[10:11], s62, v34
	v_bfrev_b32_e32 v33, 1
	s_and_saveexec_b64 s[50:51], s[10:11]
	s_cbranch_execz .LBB261_46
; %bb.43:                               ;   in Loop: Header=BB261_14 Depth=1
	v_and_b32_e32 v12, 0xffff, v34
	v_and_b32_e32 v35, 0x7f, v12
	v_cmp_ne_u32_e64 s[10:11], s63, v35
	v_mov_b32_e32 v33, 0x7f800001
	s_and_saveexec_b64 s[52:53], s[10:11]
	s_cbranch_execz .LBB261_45
; %bb.44:                               ;   in Loop: Header=BB261_14 Depth=1
	v_and_b32_e32 v33, 7, v12
	v_ffbh_u32_e32 v36, v33
	v_min_u32_e32 v39, 32, v36
	v_subrev_u32_e32 v36, 28, v39
	v_lshlrev_b64 v[36:37], v36, v[12:13]
	v_lshrrev_b32_e32 v38, 3, v35
	v_sub_u32_e32 v12, 29, v39
	v_and_b32_e32 v36, 7, v36
	v_cmp_gt_u32_e64 s[10:11], 8, v35
	v_cndmask_b32_e64 v12, v38, v12, s[10:11]
	v_cndmask_b32_e64 v33, v33, v36, s[10:11]
	v_lshlrev_b32_e32 v34, 24, v34
	v_lshlrev_b32_e32 v33, 20, v33
	v_and_b32_e32 v34, 0x80000000, v34
	v_lshl_add_u32 v12, v12, 23, v24
	v_or3_b32 v33, v34, v12, v33
.LBB261_45:                             ;   in Loop: Header=BB261_14 Depth=1
	s_or_b64 exec, exec, s[52:53]
.LBB261_46:                             ;   in Loop: Header=BB261_14 Depth=1
	s_or_b64 exec, exec, s[50:51]
.LBB261_47:                             ;   in Loop: Header=BB261_14 Depth=1
	s_or_b64 exec, exec, s[48:49]
	global_load_ubyte v34, v[10:11], off offset:264
	s_waitcnt vmcnt(0)
	v_cmp_ne_u16_e64 s[10:11], 0, v34
	s_and_saveexec_b64 s[48:49], s[10:11]
	s_cbranch_execz .LBB261_53
; %bb.48:                               ;   in Loop: Header=BB261_14 Depth=1
	v_cmp_ne_u16_e64 s[10:11], s62, v34
	v_bfrev_b32_e32 v32, 1
	s_and_saveexec_b64 s[50:51], s[10:11]
	s_cbranch_execz .LBB261_52
; %bb.49:                               ;   in Loop: Header=BB261_14 Depth=1
	v_and_b32_e32 v12, 0xffff, v34
	v_and_b32_e32 v35, 0x7f, v12
	v_cmp_ne_u32_e64 s[10:11], s63, v35
	v_mov_b32_e32 v32, 0x7f800001
	s_and_saveexec_b64 s[52:53], s[10:11]
	s_cbranch_execz .LBB261_51
; %bb.50:                               ;   in Loop: Header=BB261_14 Depth=1
	v_and_b32_e32 v32, 7, v12
	v_ffbh_u32_e32 v36, v32
	v_min_u32_e32 v39, 32, v36
	v_subrev_u32_e32 v36, 28, v39
	v_lshlrev_b64 v[36:37], v36, v[12:13]
	v_lshrrev_b32_e32 v38, 3, v35
	v_sub_u32_e32 v12, 29, v39
	v_and_b32_e32 v36, 7, v36
	v_cmp_gt_u32_e64 s[10:11], 8, v35
	v_cndmask_b32_e64 v12, v38, v12, s[10:11]
	v_cndmask_b32_e64 v32, v32, v36, s[10:11]
	v_lshlrev_b32_e32 v34, 24, v34
	v_lshlrev_b32_e32 v32, 20, v32
	v_and_b32_e32 v34, 0x80000000, v34
	v_lshl_add_u32 v12, v12, 23, v24
	v_or3_b32 v32, v34, v12, v32
.LBB261_51:                             ;   in Loop: Header=BB261_14 Depth=1
	s_or_b64 exec, exec, s[52:53]
.LBB261_52:                             ;   in Loop: Header=BB261_14 Depth=1
	s_or_b64 exec, exec, s[50:51]
.LBB261_53:                             ;   in Loop: Header=BB261_14 Depth=1
	s_or_b64 exec, exec, s[48:49]
	global_load_ubyte v36, v[10:11], off offset:384
	v_mov_b32_e32 v34, 0
	v_mov_b32_e32 v35, 0
	s_waitcnt vmcnt(0)
	v_cmp_ne_u16_e64 s[10:11], 0, v36
	s_and_saveexec_b64 s[48:49], s[10:11]
	s_cbranch_execz .LBB261_59
; %bb.54:                               ;   in Loop: Header=BB261_14 Depth=1
	v_cmp_ne_u16_e64 s[10:11], s62, v36
	v_bfrev_b32_e32 v35, 1
	s_and_saveexec_b64 s[50:51], s[10:11]
	s_cbranch_execz .LBB261_58
; %bb.55:                               ;   in Loop: Header=BB261_14 Depth=1
	v_and_b32_e32 v12, 0xffff, v36
	v_and_b32_e32 v37, 0x7f, v12
	v_cmp_ne_u32_e64 s[10:11], s63, v37
	v_mov_b32_e32 v35, 0x7f800001
	s_and_saveexec_b64 s[52:53], s[10:11]
	s_cbranch_execz .LBB261_57
; %bb.56:                               ;   in Loop: Header=BB261_14 Depth=1
	v_and_b32_e32 v35, 7, v12
	v_ffbh_u32_e32 v38, v35
	v_min_u32_e32 v41, 32, v38
	v_subrev_u32_e32 v38, 28, v41
	v_lshlrev_b64 v[38:39], v38, v[12:13]
	v_lshrrev_b32_e32 v40, 3, v37
	v_sub_u32_e32 v12, 29, v41
	v_and_b32_e32 v38, 7, v38
	v_cmp_gt_u32_e64 s[10:11], 8, v37
	v_cndmask_b32_e64 v12, v40, v12, s[10:11]
	v_cndmask_b32_e64 v35, v35, v38, s[10:11]
	v_lshlrev_b32_e32 v36, 24, v36
	v_lshlrev_b32_e32 v35, 20, v35
	v_and_b32_e32 v36, 0x80000000, v36
	v_lshl_add_u32 v12, v12, 23, v24
	v_or3_b32 v35, v36, v12, v35
.LBB261_57:                             ;   in Loop: Header=BB261_14 Depth=1
	s_or_b64 exec, exec, s[52:53]
.LBB261_58:                             ;   in Loop: Header=BB261_14 Depth=1
	s_or_b64 exec, exec, s[50:51]
.LBB261_59:                             ;   in Loop: Header=BB261_14 Depth=1
	s_or_b64 exec, exec, s[48:49]
	global_load_ubyte v36, v[10:11], off offset:392
	s_waitcnt vmcnt(0)
	v_cmp_ne_u16_e64 s[10:11], 0, v36
	s_and_saveexec_b64 s[48:49], s[10:11]
	s_cbranch_execz .LBB261_65
; %bb.60:                               ;   in Loop: Header=BB261_14 Depth=1
	v_cmp_ne_u16_e64 s[10:11], s62, v36
	v_bfrev_b32_e32 v34, 1
	s_and_saveexec_b64 s[50:51], s[10:11]
	s_cbranch_execz .LBB261_64
; %bb.61:                               ;   in Loop: Header=BB261_14 Depth=1
	v_and_b32_e32 v12, 0xffff, v36
	v_and_b32_e32 v37, 0x7f, v12
	v_cmp_ne_u32_e64 s[10:11], s63, v37
	v_mov_b32_e32 v34, 0x7f800001
	s_and_saveexec_b64 s[52:53], s[10:11]
	s_cbranch_execz .LBB261_63
; %bb.62:                               ;   in Loop: Header=BB261_14 Depth=1
	v_and_b32_e32 v34, 7, v12
	v_ffbh_u32_e32 v38, v34
	v_min_u32_e32 v41, 32, v38
	v_subrev_u32_e32 v38, 28, v41
	v_lshlrev_b64 v[38:39], v38, v[12:13]
	v_lshrrev_b32_e32 v40, 3, v37
	v_sub_u32_e32 v12, 29, v41
	v_and_b32_e32 v38, 7, v38
	v_cmp_gt_u32_e64 s[10:11], 8, v37
	v_cndmask_b32_e64 v12, v40, v12, s[10:11]
	v_cndmask_b32_e64 v34, v34, v38, s[10:11]
	v_lshlrev_b32_e32 v36, 24, v36
	v_lshlrev_b32_e32 v34, 20, v34
	v_and_b32_e32 v36, 0x80000000, v36
	v_lshl_add_u32 v12, v12, 23, v24
	v_or3_b32 v34, v36, v12, v34
.LBB261_63:                             ;   in Loop: Header=BB261_14 Depth=1
	s_or_b64 exec, exec, s[52:53]
.LBB261_64:                             ;   in Loop: Header=BB261_14 Depth=1
	s_or_b64 exec, exec, s[50:51]
.LBB261_65:                             ;   in Loop: Header=BB261_14 Depth=1
	s_or_b64 exec, exec, s[48:49]
	global_load_ubyte v38, v[10:11], off offset:512
	v_mov_b32_e32 v36, 0
	v_mov_b32_e32 v37, 0
	s_waitcnt vmcnt(0)
	v_cmp_ne_u16_e64 s[10:11], 0, v38
	s_and_saveexec_b64 s[48:49], s[10:11]
	s_cbranch_execz .LBB261_71
; %bb.66:                               ;   in Loop: Header=BB261_14 Depth=1
	v_cmp_ne_u16_e64 s[10:11], s62, v38
	v_bfrev_b32_e32 v37, 1
	s_and_saveexec_b64 s[50:51], s[10:11]
	s_cbranch_execz .LBB261_70
; %bb.67:                               ;   in Loop: Header=BB261_14 Depth=1
	v_and_b32_e32 v12, 0xffff, v38
	v_and_b32_e32 v39, 0x7f, v12
	v_cmp_ne_u32_e64 s[10:11], s63, v39
	v_mov_b32_e32 v37, 0x7f800001
	s_and_saveexec_b64 s[52:53], s[10:11]
	s_cbranch_execz .LBB261_69
; %bb.68:                               ;   in Loop: Header=BB261_14 Depth=1
	v_and_b32_e32 v37, 7, v12
	v_ffbh_u32_e32 v40, v37
	v_min_u32_e32 v43, 32, v40
	v_subrev_u32_e32 v40, 28, v43
	v_lshlrev_b64 v[40:41], v40, v[12:13]
	v_lshrrev_b32_e32 v42, 3, v39
	v_sub_u32_e32 v12, 29, v43
	v_and_b32_e32 v40, 7, v40
	v_cmp_gt_u32_e64 s[10:11], 8, v39
	v_cndmask_b32_e64 v12, v42, v12, s[10:11]
	v_cndmask_b32_e64 v37, v37, v40, s[10:11]
	v_lshlrev_b32_e32 v38, 24, v38
	v_lshlrev_b32_e32 v37, 20, v37
	v_and_b32_e32 v38, 0x80000000, v38
	v_lshl_add_u32 v12, v12, 23, v24
	v_or3_b32 v37, v38, v12, v37
.LBB261_69:                             ;   in Loop: Header=BB261_14 Depth=1
	s_or_b64 exec, exec, s[52:53]
.LBB261_70:                             ;   in Loop: Header=BB261_14 Depth=1
	s_or_b64 exec, exec, s[50:51]
.LBB261_71:                             ;   in Loop: Header=BB261_14 Depth=1
	s_or_b64 exec, exec, s[48:49]
	global_load_ubyte v38, v[10:11], off offset:520
	s_waitcnt vmcnt(0)
	v_cmp_ne_u16_e64 s[10:11], 0, v38
	s_and_saveexec_b64 s[48:49], s[10:11]
	s_cbranch_execz .LBB261_77
; %bb.72:                               ;   in Loop: Header=BB261_14 Depth=1
	v_cmp_ne_u16_e64 s[10:11], s62, v38
	v_bfrev_b32_e32 v36, 1
	s_and_saveexec_b64 s[50:51], s[10:11]
	s_cbranch_execz .LBB261_76
; %bb.73:                               ;   in Loop: Header=BB261_14 Depth=1
	v_and_b32_e32 v12, 0xffff, v38
	v_and_b32_e32 v39, 0x7f, v12
	v_cmp_ne_u32_e64 s[10:11], s63, v39
	v_mov_b32_e32 v36, 0x7f800001
	s_and_saveexec_b64 s[52:53], s[10:11]
	s_cbranch_execz .LBB261_75
; %bb.74:                               ;   in Loop: Header=BB261_14 Depth=1
	v_and_b32_e32 v36, 7, v12
	v_ffbh_u32_e32 v40, v36
	v_min_u32_e32 v43, 32, v40
	v_subrev_u32_e32 v40, 28, v43
	v_lshlrev_b64 v[40:41], v40, v[12:13]
	v_lshrrev_b32_e32 v42, 3, v39
	v_sub_u32_e32 v12, 29, v43
	v_and_b32_e32 v40, 7, v40
	v_cmp_gt_u32_e64 s[10:11], 8, v39
	v_cndmask_b32_e64 v12, v42, v12, s[10:11]
	v_cndmask_b32_e64 v36, v36, v40, s[10:11]
	v_lshlrev_b32_e32 v38, 24, v38
	v_lshlrev_b32_e32 v36, 20, v36
	v_and_b32_e32 v38, 0x80000000, v38
	v_lshl_add_u32 v12, v12, 23, v24
	v_or3_b32 v36, v38, v12, v36
.LBB261_75:                             ;   in Loop: Header=BB261_14 Depth=1
	s_or_b64 exec, exec, s[52:53]
.LBB261_76:                             ;   in Loop: Header=BB261_14 Depth=1
	s_or_b64 exec, exec, s[50:51]
.LBB261_77:                             ;   in Loop: Header=BB261_14 Depth=1
	s_or_b64 exec, exec, s[48:49]
	global_load_ubyte v40, v[10:11], off offset:640
	v_mov_b32_e32 v38, 0
	v_mov_b32_e32 v39, 0
	s_waitcnt vmcnt(0)
	v_cmp_ne_u16_e64 s[10:11], 0, v40
	s_and_saveexec_b64 s[48:49], s[10:11]
	s_cbranch_execz .LBB261_83
; %bb.78:                               ;   in Loop: Header=BB261_14 Depth=1
	v_cmp_ne_u16_e64 s[10:11], s62, v40
	v_bfrev_b32_e32 v39, 1
	s_and_saveexec_b64 s[50:51], s[10:11]
	s_cbranch_execz .LBB261_82
; %bb.79:                               ;   in Loop: Header=BB261_14 Depth=1
	v_and_b32_e32 v12, 0xffff, v40
	v_and_b32_e32 v41, 0x7f, v12
	v_cmp_ne_u32_e64 s[10:11], s63, v41
	v_mov_b32_e32 v39, 0x7f800001
	s_and_saveexec_b64 s[52:53], s[10:11]
	s_cbranch_execz .LBB261_81
; %bb.80:                               ;   in Loop: Header=BB261_14 Depth=1
	v_and_b32_e32 v39, 7, v12
	v_ffbh_u32_e32 v42, v39
	v_min_u32_e32 v45, 32, v42
	v_subrev_u32_e32 v42, 28, v45
	v_lshlrev_b64 v[42:43], v42, v[12:13]
	v_lshrrev_b32_e32 v44, 3, v41
	v_sub_u32_e32 v12, 29, v45
	v_and_b32_e32 v42, 7, v42
	v_cmp_gt_u32_e64 s[10:11], 8, v41
	v_cndmask_b32_e64 v12, v44, v12, s[10:11]
	v_cndmask_b32_e64 v39, v39, v42, s[10:11]
	v_lshlrev_b32_e32 v40, 24, v40
	v_lshlrev_b32_e32 v39, 20, v39
	v_and_b32_e32 v40, 0x80000000, v40
	v_lshl_add_u32 v12, v12, 23, v24
	v_or3_b32 v39, v40, v12, v39
.LBB261_81:                             ;   in Loop: Header=BB261_14 Depth=1
	s_or_b64 exec, exec, s[52:53]
.LBB261_82:                             ;   in Loop: Header=BB261_14 Depth=1
	s_or_b64 exec, exec, s[50:51]
.LBB261_83:                             ;   in Loop: Header=BB261_14 Depth=1
	s_or_b64 exec, exec, s[48:49]
	global_load_ubyte v40, v[10:11], off offset:648
	s_waitcnt vmcnt(0)
	v_cmp_ne_u16_e64 s[10:11], 0, v40
	s_and_saveexec_b64 s[48:49], s[10:11]
	s_cbranch_execz .LBB261_89
; %bb.84:                               ;   in Loop: Header=BB261_14 Depth=1
	v_cmp_ne_u16_e64 s[10:11], s62, v40
	v_bfrev_b32_e32 v38, 1
	s_and_saveexec_b64 s[50:51], s[10:11]
	s_cbranch_execz .LBB261_88
; %bb.85:                               ;   in Loop: Header=BB261_14 Depth=1
	v_and_b32_e32 v12, 0xffff, v40
	v_and_b32_e32 v41, 0x7f, v12
	v_cmp_ne_u32_e64 s[10:11], s63, v41
	v_mov_b32_e32 v38, 0x7f800001
	s_and_saveexec_b64 s[52:53], s[10:11]
	s_cbranch_execz .LBB261_87
; %bb.86:                               ;   in Loop: Header=BB261_14 Depth=1
	v_and_b32_e32 v38, 7, v12
	v_ffbh_u32_e32 v42, v38
	v_min_u32_e32 v45, 32, v42
	v_subrev_u32_e32 v42, 28, v45
	v_lshlrev_b64 v[42:43], v42, v[12:13]
	v_lshrrev_b32_e32 v44, 3, v41
	v_sub_u32_e32 v12, 29, v45
	v_and_b32_e32 v42, 7, v42
	v_cmp_gt_u32_e64 s[10:11], 8, v41
	v_cndmask_b32_e64 v12, v44, v12, s[10:11]
	v_cndmask_b32_e64 v38, v38, v42, s[10:11]
	v_lshlrev_b32_e32 v40, 24, v40
	v_lshlrev_b32_e32 v38, 20, v38
	v_and_b32_e32 v40, 0x80000000, v40
	v_lshl_add_u32 v12, v12, 23, v24
	v_or3_b32 v38, v40, v12, v38
.LBB261_87:                             ;   in Loop: Header=BB261_14 Depth=1
	s_or_b64 exec, exec, s[52:53]
.LBB261_88:                             ;   in Loop: Header=BB261_14 Depth=1
	s_or_b64 exec, exec, s[50:51]
.LBB261_89:                             ;   in Loop: Header=BB261_14 Depth=1
	s_or_b64 exec, exec, s[48:49]
	global_load_ubyte v42, v[10:11], off offset:768
	v_mov_b32_e32 v40, 0
	v_mov_b32_e32 v41, 0
	s_waitcnt vmcnt(0)
	v_cmp_ne_u16_e64 s[10:11], 0, v42
	s_and_saveexec_b64 s[48:49], s[10:11]
	s_cbranch_execz .LBB261_95
; %bb.90:                               ;   in Loop: Header=BB261_14 Depth=1
	v_cmp_ne_u16_e64 s[10:11], s62, v42
	v_bfrev_b32_e32 v41, 1
	s_and_saveexec_b64 s[50:51], s[10:11]
	s_cbranch_execz .LBB261_94
; %bb.91:                               ;   in Loop: Header=BB261_14 Depth=1
	v_and_b32_e32 v12, 0xffff, v42
	v_and_b32_e32 v43, 0x7f, v12
	v_cmp_ne_u32_e64 s[10:11], s63, v43
	v_mov_b32_e32 v41, 0x7f800001
	s_and_saveexec_b64 s[52:53], s[10:11]
	s_cbranch_execz .LBB261_93
; %bb.92:                               ;   in Loop: Header=BB261_14 Depth=1
	v_and_b32_e32 v41, 7, v12
	v_ffbh_u32_e32 v44, v41
	v_min_u32_e32 v47, 32, v44
	v_subrev_u32_e32 v44, 28, v47
	v_lshlrev_b64 v[44:45], v44, v[12:13]
	v_lshrrev_b32_e32 v46, 3, v43
	v_sub_u32_e32 v12, 29, v47
	v_and_b32_e32 v44, 7, v44
	v_cmp_gt_u32_e64 s[10:11], 8, v43
	v_cndmask_b32_e64 v12, v46, v12, s[10:11]
	v_cndmask_b32_e64 v41, v41, v44, s[10:11]
	v_lshlrev_b32_e32 v42, 24, v42
	v_lshlrev_b32_e32 v41, 20, v41
	v_and_b32_e32 v42, 0x80000000, v42
	v_lshl_add_u32 v12, v12, 23, v24
	v_or3_b32 v41, v42, v12, v41
.LBB261_93:                             ;   in Loop: Header=BB261_14 Depth=1
	s_or_b64 exec, exec, s[52:53]
.LBB261_94:                             ;   in Loop: Header=BB261_14 Depth=1
	s_or_b64 exec, exec, s[50:51]
.LBB261_95:                             ;   in Loop: Header=BB261_14 Depth=1
	s_or_b64 exec, exec, s[48:49]
	global_load_ubyte v11, v[10:11], off offset:776
	s_waitcnt vmcnt(0)
	v_cmp_ne_u16_e64 s[10:11], 0, v11
	s_and_saveexec_b64 s[48:49], s[10:11]
	s_cbranch_execz .LBB261_101
; %bb.96:                               ;   in Loop: Header=BB261_14 Depth=1
	v_cmp_ne_u16_e64 s[10:11], s62, v11
	v_bfrev_b32_e32 v40, 1
	s_and_saveexec_b64 s[50:51], s[10:11]
	s_cbranch_execz .LBB261_100
; %bb.97:                               ;   in Loop: Header=BB261_14 Depth=1
	v_and_b32_e32 v10, 0xffff, v11
	v_and_b32_e32 v12, 0x7f, v10
	v_cmp_ne_u32_e64 s[10:11], s63, v12
	v_mov_b32_e32 v40, 0x7f800001
	s_and_saveexec_b64 s[52:53], s[10:11]
	s_cbranch_execz .LBB261_99
; %bb.98:                               ;   in Loop: Header=BB261_14 Depth=1
	v_and_b32_e32 v40, 7, v10
	v_ffbh_u32_e32 v42, v40
	v_min_u32_e32 v45, 32, v42
	v_subrev_u32_e32 v42, 28, v45
	v_lshlrev_b64 v[42:43], v42, v[10:11]
	v_lshrrev_b32_e32 v44, 3, v12
	v_sub_u32_e32 v10, 29, v45
	v_and_b32_e32 v42, 7, v42
	v_cmp_gt_u32_e64 s[10:11], 8, v12
	v_cndmask_b32_e64 v10, v44, v10, s[10:11]
	v_cndmask_b32_e64 v12, v40, v42, s[10:11]
	v_lshlrev_b32_e32 v11, 24, v11
	v_lshlrev_b32_e32 v12, 20, v12
	v_and_b32_e32 v11, 0x80000000, v11
	v_lshl_add_u32 v10, v10, 23, v24
	v_or3_b32 v40, v11, v10, v12
.LBB261_99:                             ;   in Loop: Header=BB261_14 Depth=1
	s_or_b64 exec, exec, s[52:53]
.LBB261_100:                            ;   in Loop: Header=BB261_14 Depth=1
	s_or_b64 exec, exec, s[50:51]
.LBB261_101:                            ;   in Loop: Header=BB261_14 Depth=1
	s_or_b64 exec, exec, s[48:49]
	v_fma_mixlo_f16 v11, v27, v29, 0
	ds_read_u16 v10, v16
	v_and_b32_e32 v11, 0xffff, v11
	s_waitcnt lgkmcnt(0)
	;;#ASMSTART
	v_cvt_f32_f16 v10, v10;
	;;#ASMEND
	;;#ASMSTART
	v_cvt_f32_f16 v11, v11;
	;;#ASMEND
	ds_read_u16 v12, v16 offset:2
	v_fma_mixlo_f16 v28, v27, v28, 0
	v_and_b32_e32 v28, 0xffff, v28
	s_waitcnt lgkmcnt(0)
	;;#ASMSTART
	v_cvt_f32_f16 v12, v12;
	;;#ASMEND
	;;#ASMSTART
	v_cvt_f32_f16 v28, v28;
	;;#ASMEND
	v_fma_mixlo_f16 v31, v27, v31, 0
	v_mul_f32_e32 v12, v12, v28
	ds_read_u16 v29, v16 offset:4
	v_and_b32_e32 v31, 0xffff, v31
	v_fma_mixlo_f16 v30, v27, v30, 0
	v_fmac_f32_e32 v12, v10, v11
	s_waitcnt lgkmcnt(0)
	;;#ASMSTART
	v_cvt_f32_f16 v29, v29;
	;;#ASMEND
	;;#ASMSTART
	v_cvt_f32_f16 v31, v31;
	;;#ASMEND
	ds_read_u16 v42, v16 offset:6
	v_and_b32_e32 v30, 0xffff, v30
	v_fma_mixlo_f16 v33, v27, v33, 0
	v_fmac_f32_e32 v12, v29, v31
	s_waitcnt lgkmcnt(0)
	;;#ASMSTART
	v_cvt_f32_f16 v42, v42;
	;;#ASMEND
	;;#ASMSTART
	v_cvt_f32_f16 v30, v30;
	;;#ASMEND
	;; [unrolled: 11-line block ×8, first 2 shown]
	v_fma_mixlo_f16 v38, v27, v38, 0
	v_and_b32_e32 v39, 0xffff, v39
	v_fmac_f32_e32 v12, v48, v36
	v_fma_mixlo_f16 v41, v27, v41, 0
	ds_read_u16 v49, v16 offset:20
	s_waitcnt lgkmcnt(0)
	;;#ASMSTART
	v_cvt_f32_f16 v28, v49;
	;;#ASMEND
	;;#ASMSTART
	v_cvt_f32_f16 v39, v39;
	;;#ASMEND
	v_and_b32_e32 v11, 0xffff, v38
	v_fmac_f32_e32 v12, v28, v39
	v_fma_mixlo_f16 v27, v27, v40, 0
	ds_read_u16 v40, v16 offset:22
	s_waitcnt lgkmcnt(0)
	;;#ASMSTART
	v_cvt_f32_f16 v10, v40;
	;;#ASMEND
	;;#ASMSTART
	v_cvt_f32_f16 v11, v11;
	;;#ASMEND
	ds_read_u16 v29, v16 offset:24
	v_and_b32_e32 v30, 0xffff, v41
	v_fmac_f32_e32 v12, v10, v11
	s_waitcnt lgkmcnt(0)
	;;#ASMSTART
	v_cvt_f32_f16 v29, v29;
	;;#ASMEND
	;;#ASMSTART
	v_cvt_f32_f16 v30, v30;
	;;#ASMEND
	ds_read_u16 v31, v16 offset:26
	v_fmac_f32_e32 v12, v29, v30
	s_waitcnt lgkmcnt(0)
	;;#ASMSTART
	v_cvt_f32_f16 v10, v31;
	;;#ASMEND
	v_and_b32_e32 v11, 0xffff, v27
	;;#ASMSTART
	v_cvt_f32_f16 v11, v11;
	;;#ASMEND
	v_fmac_f32_e32 v12, v10, v11
	v_and_b32_e32 v10, 64, v25
	v_add_u32_e32 v11, 64, v10
	v_xor_b32_e32 v10, 4, v25
	v_cmp_lt_i32_e64 s[10:11], v10, v11
	v_cndmask_b32_e64 v10, v25, v10, s[10:11]
	v_lshlrev_b32_e32 v10, 2, v10
	ds_bpermute_b32 v10, v10, v12
	s_waitcnt lgkmcnt(0)
	v_add_f32_e32 v10, v12, v10
	v_xor_b32_e32 v12, 2, v25
	v_cmp_lt_i32_e64 s[10:11], v12, v11
	v_cndmask_b32_e64 v12, v25, v12, s[10:11]
	v_lshlrev_b32_e32 v12, 2, v12
	ds_bpermute_b32 v12, v12, v10
	s_waitcnt lgkmcnt(0)
	v_add_f32_e32 v10, v10, v12
	v_xor_b32_e32 v12, 1, v25
	v_cmp_lt_i32_e64 s[10:11], v12, v11
	v_cndmask_b32_e64 v11, v25, v12, s[10:11]
	v_lshlrev_b32_e32 v11, 2, v11
	ds_bpermute_b32 v11, v11, v10
	s_and_saveexec_b64 s[48:49], vcc
	s_cbranch_execz .LBB261_12
; %bb.102:                              ;   in Loop: Header=BB261_14 Depth=1
	v_add_u32_e32 v12, v21, v19
	v_cvt_f32_i32_e32 v12, v12
	s_waitcnt lgkmcnt(0)
	v_add_f32_e32 v10, v10, v11
	v_add_u32_e32 v27, v14, v19
	v_cmp_gt_i32_e64 s[10:11], s33, v27
	v_mul_f32_e32 v11, s7, v12
	v_cndmask_b32_e64 v11, 0, v11, s[4:5]
	v_fmac_f32_e32 v11, s45, v10
	v_cndmask_b32_e64 v10, 0, v11, s[10:11]
	ds_write_b32 v20, v10
	v_max_f32_e32 v10, v17, v17
	v_max_f32_e32 v10, v10, v11
	v_cndmask_b32_e64 v17, v17, v10, s[10:11]
	s_branch .LBB261_12
.LBB261_103:
	s_or_b64 exec, exec, s[46:47]
.LBB261_104:
	s_or_b64 exec, exec, s[22:23]
	v_mbcnt_hi_u32_b32 v4, -1, v5
	v_and_b32_e32 v5, 64, v4
	v_add_u32_e32 v5, 64, v5
	v_xor_b32_e32 v6, 32, v4
	v_cmp_lt_i32_e32 vcc, v6, v5
	v_cndmask_b32_e32 v6, v4, v6, vcc
	v_lshlrev_b32_e32 v8, 2, v6
	ds_bpermute_b32 v6, v8, v17
	v_xor_b32_e32 v9, 16, v4
	v_max_f32_e32 v7, v17, v17
	v_cmp_lt_i32_e32 vcc, v9, v5
	s_waitcnt lgkmcnt(0)
	v_max_f32_e32 v6, v6, v6
	v_max_f32_e32 v6, v7, v6
	v_cndmask_b32_e32 v7, v4, v9, vcc
	v_lshlrev_b32_e32 v11, 2, v7
	ds_bpermute_b32 v7, v11, v6
	v_xor_b32_e32 v9, 8, v4
	v_cmp_lt_i32_e32 vcc, v9, v5
	s_waitcnt lgkmcnt(0)
	v_max_f32_e32 v7, v7, v7
	v_max_f32_e32 v6, v6, v7
	v_cndmask_b32_e32 v7, v4, v9, vcc
	v_lshlrev_b32_e32 v12, 2, v7
	ds_bpermute_b32 v10, v12, v6
	v_and_b32_e32 v9, 63, v0
	v_cmp_eq_u32_e32 vcc, 0, v9
	v_lshlrev_b32_e32 v7, 2, v13
	s_and_saveexec_b64 s[4:5], vcc
	s_cbranch_execz .LBB261_106
; %bb.105:
	s_waitcnt lgkmcnt(0)
	v_max_f32_e32 v10, v10, v10
	v_max_f32_e32 v6, v6, v6
	;; [unrolled: 1-line block ×3, first 2 shown]
	ds_write_b32 v7, v6 offset:224
.LBB261_106:
	s_or_b64 exec, exec, s[4:5]
	v_cmp_gt_u32_e64 s[4:5], 2, v9
	v_mov_b32_e32 v6, 0xff7fffff
	s_waitcnt lgkmcnt(0)
	v_lshlrev_b32_e32 v10, 2, v9
	s_barrier
	s_and_saveexec_b64 s[10:11], s[4:5]
	s_cbranch_execz .LBB261_108
; %bb.107:
	ds_read_b32 v6, v10 offset:224
.LBB261_108:
	s_or_b64 exec, exec, s[10:11]
	v_xor_b32_e32 v14, 1, v4
	v_cmp_lt_i32_e64 s[10:11], v14, v5
	v_cndmask_b32_e64 v14, v4, v14, s[10:11]
	v_lshlrev_b32_e32 v14, 2, v14
	s_waitcnt lgkmcnt(0)
	ds_bpermute_b32 v15, v14, v6
	v_max_f32_e32 v6, v6, v6
	s_sub_i32 s7, s56, s58
	s_lshl_b32 s7, s7, 3
	s_add_i32 s7, s7, s57
	s_waitcnt lgkmcnt(0)
	v_max_f32_e32 v15, v15, v15
	v_max_f32_e32 v6, v6, v15
	v_lshlrev_b32_e32 v15, 2, v4
	v_and_b32_e32 v15, 0x100, v15
	ds_bpermute_b32 v6, v15, v6
	s_min_i32 s45, s7, s33
	s_sub_i32 s7, s45, s57
	v_cmp_gt_i32_e64 s[10:11], s7, v0
	v_mov_b32_e32 v16, 0
	s_and_saveexec_b64 s[16:17], s[10:11]
	s_cbranch_execz .LBB261_112
; %bb.109:
	v_mov_b32_e32 v16, 0xf0
	v_lshl_add_u32 v17, v0, 2, v16
	s_mov_b64 s[22:23], 0
	v_mov_b32_e32 v16, 0
	v_mov_b32_e32 v18, v0
.LBB261_110:                            ; =>This Inner Loop Header: Depth=1
	ds_read_b32 v19, v17
	v_add_u32_e32 v18, 0x80, v18
	v_cmp_le_i32_e64 s[12:13], s7, v18
	s_or_b64 s[22:23], s[12:13], s[22:23]
	s_waitcnt lgkmcnt(0)
	v_sub_f32_e32 v19, v19, v6
	v_mul_f32_e32 v19, 0x3fb8aa3b, v19
	v_exp_f32_e32 v19, v19
	ds_write_b32 v17, v19
	v_add_f32_e32 v16, v16, v19
	v_add_u32_e32 v17, 0x200, v17
	s_andn2_b64 exec, exec, s[22:23]
	s_cbranch_execnz .LBB261_110
; %bb.111:
	s_or_b64 exec, exec, s[22:23]
.LBB261_112:
	s_or_b64 exec, exec, s[16:17]
	ds_bpermute_b32 v8, v8, v16
	s_waitcnt lgkmcnt(0)
	v_add_f32_e32 v8, v16, v8
	ds_bpermute_b32 v11, v11, v8
	s_waitcnt lgkmcnt(0)
	v_add_f32_e32 v8, v8, v11
	ds_bpermute_b32 v11, v12, v8
	v_xor_b32_e32 v12, 4, v4
	v_cmp_lt_i32_e64 s[12:13], v12, v5
	v_cndmask_b32_e64 v12, v4, v12, s[12:13]
	v_lshlrev_b32_e32 v12, 2, v12
	s_waitcnt lgkmcnt(0)
	v_add_f32_e32 v8, v8, v11
	ds_bpermute_b32 v11, v12, v8
	v_xor_b32_e32 v12, 2, v4
	v_cmp_lt_i32_e64 s[12:13], v12, v5
	v_cndmask_b32_e64 v4, v4, v12, s[12:13]
	v_lshlrev_b32_e32 v4, 2, v4
	s_waitcnt lgkmcnt(0)
	v_add_f32_e32 v5, v8, v11
	ds_bpermute_b32 v4, v4, v5
	s_waitcnt lgkmcnt(0)
	v_add_f32_e32 v4, v5, v4
	ds_bpermute_b32 v5, v14, v4
	s_waitcnt lgkmcnt(0)
	v_add_f32_e32 v4, v4, v5
	s_and_saveexec_b64 s[12:13], vcc
	s_cbranch_execz .LBB261_114
; %bb.113:
	ds_write_b32 v7, v4 offset:232
.LBB261_114:
	s_or_b64 exec, exec, s[12:13]
	s_waitcnt lgkmcnt(0)
	s_barrier
	s_and_saveexec_b64 s[12:13], s[4:5]
	s_cbranch_execz .LBB261_116
; %bb.115:
	ds_read_b32 v4, v10 offset:232
.LBB261_116:
	s_or_b64 exec, exec, s[12:13]
	s_waitcnt lgkmcnt(0)
	ds_bpermute_b32 v5, v14, v4
	s_waitcnt lgkmcnt(0)
	v_add_f32_e32 v4, v4, v5
	ds_bpermute_b32 v7, v15, v4
	s_and_saveexec_b64 s[4:5], s[10:11]
	s_cbranch_execz .LBB261_129
; %bb.117:
	s_waitcnt lgkmcnt(0)
	v_add_f32_e32 v4, 0x358637bd, v7
	v_div_scale_f32 v5, s[10:11], v4, v4, 1.0
	v_rcp_f32_e32 v8, v5
	v_div_scale_f32 v10, vcc, 1.0, v4, 1.0
	s_movk_i32 s10, 0x7f
	v_fma_f32 v11, -v5, v8, 1.0
	v_fmac_f32_e32 v8, v11, v8
	v_mul_f32_e32 v11, v10, v8
	v_fma_f32 v12, -v5, v11, v10
	v_fmac_f32_e32 v11, v12, v8
	v_fma_f32 v5, -v5, v11, v10
	v_div_fmas_f32 v5, v5, v8, v11
	v_div_fixup_f32 v4, v5, v4, 1.0
	v_xad_u32 v5, v0, -1, s45
	v_subrev_u32_e32 v8, s57, v5
	v_cmp_lt_u32_e32 vcc, s10, v8
	s_mov_b64 s[12:13], -1
	v_mov_b32_e32 v5, v0
	s_and_saveexec_b64 s[10:11], vcc
	s_cbranch_execz .LBB261_126
; %bb.118:
	v_lshrrev_b32_e32 v8, 7, v8
	v_add_u32_e32 v11, -1, v8
	v_lshrrev_b32_e32 v10, 1, v11
	v_mov_b32_e32 v5, v4
	v_add_u32_e32 v10, 1, v10
	v_cmp_lt_u32_e32 vcc, 13, v11
	v_mov_b32_e32 v14, 0
	s_and_saveexec_b64 s[12:13], vcc
	s_cbranch_execz .LBB261_122
; %bb.119:
	v_mov_b32_e32 v12, 0xf0
	v_and_b32_e32 v11, -8, v10
	v_lshl_add_u32 v12, v0, 2, v12
	s_mov_b32 s22, 0
	s_mov_b64 s[16:17], 0
.LBB261_120:                            ; =>This Inner Loop Header: Depth=1
	ds_read2st64_b32 v[14:15], v12 offset1:2
	ds_read2st64_b32 v[16:17], v12 offset0:4 offset1:6
	ds_read2st64_b32 v[18:19], v12 offset0:8 offset1:10
	;; [unrolled: 1-line block ×3, first 2 shown]
	v_add_u32_e32 v11, -8, v11
	s_waitcnt lgkmcnt(3)
	v_pk_mul_f32 v[14:15], v[4:5], v[14:15]
	s_waitcnt lgkmcnt(2)
	v_pk_mul_f32 v[16:17], v[4:5], v[16:17]
	ds_write2st64_b32 v12, v14, v15 offset1:2
	ds_write2st64_b32 v12, v16, v17 offset0:4 offset1:6
	ds_read2st64_b32 v[16:17], v12 offset0:16 offset1:18
	s_waitcnt lgkmcnt(4)
	v_pk_mul_f32 v[14:15], v[4:5], v[18:19]
	ds_write2st64_b32 v12, v14, v15 offset0:8 offset1:10
	s_waitcnt lgkmcnt(4)
	v_pk_mul_f32 v[14:15], v[4:5], v[20:21]
	ds_write2st64_b32 v12, v14, v15 offset0:12 offset1:14
	ds_read2st64_b32 v[14:15], v12 offset0:20 offset1:22
	s_waitcnt lgkmcnt(3)
	v_pk_mul_f32 v[16:17], v[4:5], v[16:17]
	ds_read2st64_b32 v[18:19], v12 offset0:24 offset1:26
	ds_write2st64_b32 v12, v16, v17 offset0:16 offset1:18
	ds_read2st64_b32 v[16:17], v12 offset0:28 offset1:30
	s_waitcnt lgkmcnt(3)
	v_pk_mul_f32 v[14:15], v[4:5], v[14:15]
	ds_write2st64_b32 v12, v14, v15 offset0:20 offset1:22
	s_waitcnt lgkmcnt(3)
	v_pk_mul_f32 v[14:15], v[4:5], v[18:19]
	ds_write2st64_b32 v12, v14, v15 offset0:24 offset1:26
	s_waitcnt lgkmcnt(2)
	v_pk_mul_f32 v[14:15], v[4:5], v[16:17]
	s_add_i32 s22, s22, 16
	v_cmp_eq_u32_e32 vcc, 0, v11
	ds_write2st64_b32 v12, v14, v15 offset0:28 offset1:30
	v_add_u32_e32 v12, 0x2000, v12
	s_or_b64 s[16:17], vcc, s[16:17]
	v_mov_b32_e32 v14, s22
	s_andn2_b64 exec, exec, s[16:17]
	s_cbranch_execnz .LBB261_120
; %bb.121:
	s_or_b64 exec, exec, s[16:17]
.LBB261_122:
	s_or_b64 exec, exec, s[12:13]
	v_and_b32_e32 v10, 7, v10
	v_cmp_ne_u32_e32 vcc, 0, v10
	s_and_saveexec_b64 s[12:13], vcc
	s_cbranch_execz .LBB261_125
; %bb.123:
	v_lshlrev_b32_e32 v11, 9, v14
	v_lshlrev_b32_e32 v12, 2, v0
	s_movk_i32 s16, 0xf0
	v_add3_u32 v11, v11, v12, s16
	s_mov_b64 s[16:17], 0
.LBB261_124:                            ; =>This Inner Loop Header: Depth=1
	ds_read2st64_b32 v[14:15], v11 offset1:2
	v_add_u32_e32 v10, -1, v10
	v_cmp_eq_u32_e32 vcc, 0, v10
	s_or_b64 s[16:17], vcc, s[16:17]
	s_waitcnt lgkmcnt(0)
	v_pk_mul_f32 v[14:15], v[4:5], v[14:15]
	ds_write2st64_b32 v11, v14, v15 offset1:2
	v_add_u32_e32 v11, 0x400, v11
	s_andn2_b64 exec, exec, s[16:17]
	s_cbranch_execnz .LBB261_124
.LBB261_125:
	s_or_b64 exec, exec, s[12:13]
	v_add_u32_e32 v8, 1, v8
	v_and_b32_e32 v10, 0x3fffffe, v8
	v_cmp_ne_u32_e32 vcc, v8, v10
	v_lshl_add_u32 v5, v10, 7, v0
	s_orn2_b64 s[12:13], vcc, exec
.LBB261_126:
	s_or_b64 exec, exec, s[10:11]
	s_and_b64 exec, exec, s[12:13]
	s_cbranch_execz .LBB261_129
; %bb.127:
	v_mov_b32_e32 v8, 0xf0
	v_lshl_add_u32 v8, v5, 2, v8
	s_mov_b64 s[10:11], 0
.LBB261_128:                            ; =>This Inner Loop Header: Depth=1
	ds_read_b32 v10, v8
	v_add_u32_e32 v5, 0x80, v5
	v_cmp_le_i32_e32 vcc, s7, v5
	s_or_b64 s[10:11], vcc, s[10:11]
	s_waitcnt lgkmcnt(0)
	v_mul_f32_e32 v10, v4, v10
	ds_write_b32 v8, v10
	v_add_u32_e32 v8, 0x200, v8
	s_andn2_b64 exec, exec, s[10:11]
	s_cbranch_execnz .LBB261_128
.LBB261_129:
	s_or_b64 exec, exec, s[4:5]
	s_mul_i32 s4, s15, s36
	v_cmp_eq_u32_e32 vcc, 0, v0
	s_mul_i32 s10, s4, s9
	s_waitcnt lgkmcnt(0)
	s_barrier
	s_and_saveexec_b64 s[4:5], vcc
	s_cbranch_execz .LBB261_131
; %bb.130:
	s_ashr_i32 s11, s10, 31
	s_lshl_b64 s[12:13], s[10:11], 2
	s_add_u32 s9, s30, s12
	s_mul_i32 s6, s15, s6
	s_addc_u32 s11, s31, s13
	s_ashr_i32 s7, s6, 31
	s_lshl_b64 s[6:7], s[6:7], 2
	s_add_u32 s22, s9, s6
	s_addc_u32 s11, s11, s7
	s_ashr_i32 s9, s8, 31
	s_lshl_b64 s[16:17], s[8:9], 2
	s_add_u32 s22, s22, s16
	s_addc_u32 s23, s11, s17
	s_add_u32 s9, s28, s12
	s_addc_u32 s11, s29, s13
	;; [unrolled: 2-line block ×3, first 2 shown]
	s_add_u32 s6, s6, s16
	v_mov_b32_e32 v4, 0
	s_addc_u32 s7, s7, s17
	global_store_dword v4, v6, s[22:23]
	global_store_dword v4, v7, s[6:7]
.LBB261_131:
	s_or_b64 exec, exec, s[4:5]
	v_mov_b32_e32 v23, 0
	v_mov_b32_e32 v5, 0
	s_and_saveexec_b64 s[6:7], s[2:3]
	s_cbranch_execz .LBB261_239
; %bb.132:
	s_sub_i32 s9, s24, s25
	s_ashr_i32 s2, s27, 31
	s_add_u32 s12, s42, s27
	s_addc_u32 s13, s43, s2
	s_abs_i32 s36, s26
	v_cvt_f32_u32_e32 v5, s36
	v_or_b32_e32 v6, 64, v9
	s_movk_i32 s2, 0x70
	v_cmp_gt_u32_e32 vcc, s2, v6
	v_rcp_iflag_f32_e32 v5, v5
	s_sub_i32 s2, 0, s36
	s_add_i32 s42, s20, -1
	v_lshlrev_b32_e32 v8, 3, v6
	v_mul_f32_e32 v5, 0x4f7ffffe, v5
	v_cvt_u32_f32_e32 v5, v5
	v_lshlrev_b64 v[10:11], 2, v[2:3]
	s_mov_b32 s16, -1
	s_mov_b32 s11, s21
	v_mul_lo_u32 v6, s2, v5
	s_lshl_b64 s[2:3], s[40:41], 2
	s_add_u32 s2, s38, s2
	s_addc_u32 s3, s39, s3
	v_mov_b32_e32 v3, s3
	v_add_co_u32_e64 v10, s[2:3], s2, v10
	v_mul_hi_u32 v6, v5, v6
	v_addc_co_u32_e64 v11, s[2:3], v3, v11, s[2:3]
	v_mov_b32_e32 v3, 0xf0
	s_mov_b32 s17, 0xffffff
	v_lshlrev_b32_e32 v4, 3, v9
	v_mov_b32_e32 v7, 0
	s_mov_b32 s43, s33
	v_add_u32_e32 v24, v5, v6
	v_lshl_add_u32 v3, v13, 5, v3
	s_mov_b64 s[20:21], 0
	s_movk_i32 s38, 0x80
	s_movk_i32 s39, 0x7f
	s_mov_b32 s40, 0x8000
	s_movk_i32 s41, 0x380
	s_mov_b32 s45, 0x3020706
	s_mov_b32 s46, 0x1000504
	;; [unrolled: 1-line block ×3, first 2 shown]
	v_mov_b32_e32 v25, 0x2000
	v_mov_b32_e32 v5, 0
	;; [unrolled: 1-line block ×3, first 2 shown]
	s_branch .LBB261_136
.LBB261_133:                            ;   in Loop: Header=BB261_136 Depth=1
	s_or_b64 exec, exec, s[4:5]
	;;#ASMSTART
	v_pk_mul_f16 v14, v29, v14;

	;;#ASMEND
	;;#ASMSTART
	v_pk_mul_f16 v6, v28, v6;

	;;#ASMEND
	;; [unrolled: 4-line block ×4, first 2 shown]
	;;#ASMSTART
	v_pk_add_f16 v6, v14, v6;

	;;#ASMEND
	;;#ASMSTART
	v_pk_add_f16 v6, v6, v13;

	;;#ASMEND
	;; [unrolled: 4-line block ×3, first 2 shown]
	v_lshrrev_b32_e32 v12, 16, v6
	v_and_b32_e32 v6, 0xffff, v6
	;;#ASMSTART
	v_cvt_f32_f16 v6, v6;
	;;#ASMEND
	;;#ASMSTART
	v_cvt_f32_f16 v12, v12;
	;;#ASMEND
	v_add_f32_e32 v6, v6, v12
	v_add_f32_e32 v5, v5, v6
.LBB261_134:                            ;   in Loop: Header=BB261_136 Depth=1
	s_or_b64 exec, exec, s[24:25]
	v_add_f32_e32 v6, v20, v21
	v_add_f32_e32 v23, v23, v6
.LBB261_135:                            ;   in Loop: Header=BB261_136 Depth=1
	s_or_b64 exec, exec, s[22:23]
	v_add_co_u32_e64 v10, s[2:3], 8, v10
	v_add_u32_e32 v2, 2, v2
	v_addc_co_u32_e64 v11, s[2:3], 0, v11, s[2:3]
	v_cmp_le_i32_e64 s[2:3], s56, v2
	v_add_u32_e32 v22, 16, v22
	s_or_b64 s[20:21], s[2:3], s[20:21]
	v_add_u32_e32 v3, 64, v3
	s_andn2_b64 exec, exec, s[20:21]
	s_cbranch_execz .LBB261_238
.LBB261_136:                            ; =>This Inner Loop Header: Depth=1
	v_sub_u32_e32 v12, 0, v22
	v_max_i32_e32 v12, v22, v12
	v_mul_hi_u32 v13, v12, s54
	v_mul_lo_u32 v14, v13, s37
	v_sub_u32_e32 v12, v12, v14
	v_add_u32_e32 v14, 1, v13
	v_cmp_le_u32_e64 s[2:3], s37, v12
	v_cndmask_b32_e64 v13, v13, v14, s[2:3]
	v_subrev_u32_e32 v14, s37, v12
	v_cndmask_b32_e64 v12, v12, v14, s[2:3]
	v_ashrrev_i32_e32 v6, 31, v22
	v_add_u32_e32 v14, 1, v13
	v_cmp_le_u32_e64 s[2:3], s37, v12
	v_xor_b32_e32 v6, s55, v6
	v_cndmask_b32_e64 v12, v13, v14, s[2:3]
	v_xor_b32_e32 v12, v12, v6
	v_sub_u32_e32 v6, v12, v6
	v_add_u32_e32 v12, s44, v6
	v_sub_u32_e32 v14, 0, v12
	v_ashrrev_i32_e32 v13, 31, v12
	v_max_i32_e32 v12, v12, v14
	v_mul_hi_u32 v14, v12, v24
	v_mul_lo_u32 v14, v14, s36
	v_sub_u32_e32 v12, v12, v14
	v_subrev_u32_e32 v14, s36, v12
	v_cmp_le_u32_e64 s[2:3], s36, v12
	v_cndmask_b32_e64 v12, v12, v14, s[2:3]
	v_subrev_u32_e32 v14, s36, v12
	v_cmp_le_u32_e64 s[2:3], s36, v12
	v_cndmask_b32_e64 v12, v12, v14, s[2:3]
	v_xor_b32_e32 v12, v12, v13
	v_sub_u32_e32 v12, v12, v13
	v_cmp_eq_u32_e64 s[2:3], 0, v12
	v_cmp_lt_i32_e64 s[4:5], s9, v6
	s_or_b64 s[2:3], s[2:3], s[4:5]
	s_and_saveexec_b64 s[22:23], s[2:3]
	s_cbranch_execz .LBB261_135
; %bb.137:                              ;   in Loop: Header=BB261_136 Depth=1
	global_load_dword v6, v[10:11], off
	ds_read2_b64 v[16:19], v3 offset1:1
	ds_read2_b64 v[30:33], v3 offset0:2 offset1:3
	v_pk_mov_b32 v[12:13], s[12:13], s[12:13] op_sel:[0,1]
	s_waitcnt lgkmcnt(1)
	;;#ASMSTART
	v_cvt_f16_f32 v15, v16;

	;;#ASMEND
	;;#ASMSTART
	v_cvt_f16_f32 v26, v17;

	;;#ASMEND
	;; [unrolled: 4-line block ×4, first 2 shown]
	s_waitcnt lgkmcnt(0)
	;;#ASMSTART
	v_cvt_f16_f32 v30, v30;

	;;#ASMEND
	;;#ASMSTART
	v_cvt_f16_f32 v31, v31;

	;;#ASMEND
	;; [unrolled: 4-line block ×4, first 2 shown]
	v_mov_b32_e32 v18, 0
	s_waitcnt vmcnt(0)
	v_mad_i64_i32 v[12:13], s[2:3], v6, s11, v[12:13]
	v_add_co_u32_e64 v16, s[2:3], v12, v4
	v_addc_co_u32_e64 v17, s[2:3], 0, v13, s[2:3]
	global_load_dwordx2 v[20:21], v[16:17], off
	global_load_dword v14, v7, s[18:19]
	v_mov_b32_e32 v16, 0
	s_waitcnt vmcnt(1)
	v_cmp_ne_u16_sdwa s[2:3], v20, v7 src0_sel:BYTE_0 src1_sel:DWORD
	s_and_saveexec_b64 s[4:5], s[2:3]
	s_cbranch_execz .LBB261_143
; %bb.138:                              ;   in Loop: Header=BB261_136 Depth=1
	v_cmp_ne_u16_sdwa s[2:3], v20, s38 src0_sel:BYTE_0 src1_sel:DWORD
	v_bfrev_b32_e32 v16, 1
	s_and_saveexec_b64 s[24:25], s[2:3]
	s_cbranch_execz .LBB261_142
; %bb.139:                              ;   in Loop: Header=BB261_136 Depth=1
	v_and_b32_e32 v6, 0x7f, v20
	v_cmp_ne_u32_e64 s[2:3], s39, v6
	v_mov_b32_e32 v16, 0x7fc02000
	s_and_saveexec_b64 s[26:27], s[2:3]
	s_cbranch_execz .LBB261_141
; %bb.140:                              ;   in Loop: Header=BB261_136 Depth=1
	v_and_b32_e32 v16, 7, v20
	v_ffbh_u32_e32 v16, v16
	v_min_u32_e32 v16, 32, v16
	v_subrev_u32_e32 v17, 28, v16
	v_cmp_gt_u32_e64 s[2:3], 8, v6
	v_lshrrev_b32_e32 v19, 3, v6
	v_sub_u32_e32 v29, 29, v16
	v_cndmask_b32_e64 v6, 0, v17, s[2:3]
	v_lshlrev_b64 v[16:17], v6, v[20:21]
	v_cndmask_b32_e64 v6, v19, v29, s[2:3]
	v_lshlrev_b32_e32 v17, 8, v20
	v_lshl_add_u32 v6, v6, 10, v25
	v_lshlrev_b32_e32 v16, 7, v16
	v_and_or_b32 v6, v17, s40, v6
	v_and_or_b32 v6, v16, s41, v6
	v_cvt_f32_f16_e32 v16, v6
.LBB261_141:                            ;   in Loop: Header=BB261_136 Depth=1
	s_or_b64 exec, exec, s[26:27]
.LBB261_142:                            ;   in Loop: Header=BB261_136 Depth=1
	s_or_b64 exec, exec, s[24:25]
.LBB261_143:                            ;   in Loop: Header=BB261_136 Depth=1
	s_or_b64 exec, exec, s[4:5]
	v_lshrrev_b16_e32 v6, 8, v20
	v_cmp_ne_u16_e64 s[2:3], 0, v6
	s_and_saveexec_b64 s[4:5], s[2:3]
	s_cbranch_execz .LBB261_149
; %bb.144:                              ;   in Loop: Header=BB261_136 Depth=1
	v_cmp_ne_u16_e64 s[2:3], s38, v6
	v_bfrev_b32_e32 v18, 1
	s_and_saveexec_b64 s[24:25], s[2:3]
	s_cbranch_execz .LBB261_148
; %bb.145:                              ;   in Loop: Header=BB261_136 Depth=1
	v_and_b32_e32 v17, 0x7f, v6
	v_cmp_ne_u32_e64 s[2:3], s39, v17
	v_mov_b32_e32 v18, 0x7fc02000
	s_and_saveexec_b64 s[26:27], s[2:3]
	s_cbranch_execz .LBB261_147
; %bb.146:                              ;   in Loop: Header=BB261_136 Depth=1
	v_and_b32_e32 v29, 7, v6
	v_ffbh_u32_e32 v18, v29
	v_min_u32_e32 v35, 32, v18
	v_subrev_u32_e32 v18, 28, v35
	v_lshlrev_b64 v[18:19], v18, v[6:7]
	v_lshrrev_b32_e32 v34, 3, v17
	v_sub_u32_e32 v19, 29, v35
	v_cmp_gt_u32_e64 s[2:3], 8, v17
	v_cndmask_b32_e64 v17, v34, v19, s[2:3]
	v_and_b32_e32 v18, 7, v18
	v_lshlrev_b32_e32 v6, 8, v6
	v_lshl_add_u32 v17, v17, 10, v25
	v_cndmask_b32_e64 v18, v29, v18, s[2:3]
	v_and_or_b32 v6, v6, s40, v17
	v_lshl_or_b32 v6, v18, 7, v6
	v_cvt_f32_f16_e32 v18, v6
.LBB261_147:                            ;   in Loop: Header=BB261_136 Depth=1
	s_or_b64 exec, exec, s[26:27]
.LBB261_148:                            ;   in Loop: Header=BB261_136 Depth=1
	s_or_b64 exec, exec, s[24:25]
.LBB261_149:                            ;   in Loop: Header=BB261_136 Depth=1
	s_or_b64 exec, exec, s[4:5]
	v_lshrrev_b32_e32 v6, 16, v20
	v_cmp_ne_u16_sdwa s[2:3], v6, v7 src0_sel:BYTE_0 src1_sel:DWORD
	v_mov_b32_e32 v19, 0
	v_mov_b32_e32 v17, 0
	s_and_saveexec_b64 s[4:5], s[2:3]
	s_cbranch_execz .LBB261_155
; %bb.150:                              ;   in Loop: Header=BB261_136 Depth=1
	v_cmp_ne_u16_sdwa s[2:3], v6, s38 src0_sel:BYTE_0 src1_sel:DWORD
	v_bfrev_b32_e32 v17, 1
	s_and_saveexec_b64 s[24:25], s[2:3]
	s_cbranch_execz .LBB261_154
; %bb.151:                              ;   in Loop: Header=BB261_136 Depth=1
	v_bfe_u32 v29, v20, 16, 7
	v_cmp_ne_u32_e64 s[2:3], s39, v29
	v_mov_b32_e32 v17, 0x7fc02000
	s_and_saveexec_b64 s[26:27], s[2:3]
	s_cbranch_execz .LBB261_153
; %bb.152:                              ;   in Loop: Header=BB261_136 Depth=1
	v_and_b32_e32 v17, 7, v6
	v_ffbh_u32_e32 v34, v17
	v_min_u32_e32 v37, 32, v34
	v_subrev_u32_e32 v34, 28, v37
	v_lshlrev_b64 v[34:35], v34, v[6:7]
	v_lshrrev_b32_e32 v36, 3, v29
	v_sub_u32_e32 v35, 29, v37
	v_cmp_gt_u32_e64 s[2:3], 8, v29
	v_cndmask_b32_e64 v29, v36, v35, s[2:3]
	v_and_b32_e32 v34, 7, v34
	v_lshlrev_b32_e32 v6, 8, v6
	v_lshl_add_u32 v29, v29, 10, v25
	v_cndmask_b32_e64 v17, v17, v34, s[2:3]
	v_and_or_b32 v6, v6, s40, v29
	v_lshl_or_b32 v6, v17, 7, v6
	v_cvt_f32_f16_e32 v17, v6
.LBB261_153:                            ;   in Loop: Header=BB261_136 Depth=1
	s_or_b64 exec, exec, s[26:27]
.LBB261_154:                            ;   in Loop: Header=BB261_136 Depth=1
	s_or_b64 exec, exec, s[24:25]
.LBB261_155:                            ;   in Loop: Header=BB261_136 Depth=1
	s_or_b64 exec, exec, s[4:5]
	v_cmp_lt_u32_e64 s[2:3], s17, v20
	s_and_saveexec_b64 s[4:5], s[2:3]
	s_cbranch_execz .LBB261_161
; %bb.156:                              ;   in Loop: Header=BB261_136 Depth=1
	v_lshrrev_b32_e32 v6, 24, v20
	v_cmp_ne_u32_e64 s[2:3], s38, v6
	v_bfrev_b32_e32 v19, 1
	s_and_saveexec_b64 s[24:25], s[2:3]
	s_cbranch_execz .LBB261_160
; %bb.157:                              ;   in Loop: Header=BB261_136 Depth=1
	v_and_b32_e32 v29, 0x7f, v6
	v_cmp_ne_u32_e64 s[2:3], s39, v29
	v_mov_b32_e32 v19, 0x7fc02000
	s_and_saveexec_b64 s[26:27], s[2:3]
	s_cbranch_execz .LBB261_159
; %bb.158:                              ;   in Loop: Header=BB261_136 Depth=1
	v_and_b32_e32 v19, 7, v6
	v_ffbh_u32_e32 v34, v19
	v_min_u32_e32 v37, 32, v34
	v_subrev_u32_e32 v34, 28, v37
	v_lshlrev_b64 v[34:35], v34, v[6:7]
	v_lshrrev_b32_e32 v36, 3, v29
	v_sub_u32_e32 v35, 29, v37
	v_cmp_gt_u32_e64 s[2:3], 8, v29
	v_cndmask_b32_e64 v29, v36, v35, s[2:3]
	v_and_b32_e32 v34, 7, v34
	v_lshlrev_b32_e32 v6, 8, v6
	v_lshl_add_u32 v29, v29, 10, v25
	v_cndmask_b32_e64 v19, v19, v34, s[2:3]
	v_and_or_b32 v6, v6, s40, v29
	v_lshl_or_b32 v6, v19, 7, v6
	v_cvt_f32_f16_e32 v19, v6
.LBB261_159:                            ;   in Loop: Header=BB261_136 Depth=1
	s_or_b64 exec, exec, s[26:27]
.LBB261_160:                            ;   in Loop: Header=BB261_136 Depth=1
	s_or_b64 exec, exec, s[24:25]
.LBB261_161:                            ;   in Loop: Header=BB261_136 Depth=1
	s_or_b64 exec, exec, s[4:5]
	v_mov_b32_e32 v6, v21
	v_cmp_ne_u16_sdwa s[2:3], v21, v7 src0_sel:BYTE_0 src1_sel:DWORD
	v_mov_b32_e32 v34, 0
	v_mov_b32_e32 v29, 0
	s_and_saveexec_b64 s[4:5], s[2:3]
	s_cbranch_execz .LBB261_167
; %bb.162:                              ;   in Loop: Header=BB261_136 Depth=1
	v_cmp_ne_u16_sdwa s[2:3], v21, s38 src0_sel:BYTE_0 src1_sel:DWORD
	v_bfrev_b32_e32 v29, 1
	s_and_saveexec_b64 s[24:25], s[2:3]
	s_cbranch_execz .LBB261_166
; %bb.163:                              ;   in Loop: Header=BB261_136 Depth=1
	v_and_b32_e32 v35, 0x7f, v21
	v_cmp_ne_u32_e64 s[2:3], s39, v35
	v_mov_b32_e32 v29, 0x7fc02000
	s_and_saveexec_b64 s[26:27], s[2:3]
	s_cbranch_execz .LBB261_165
; %bb.164:                              ;   in Loop: Header=BB261_136 Depth=1
	v_and_b32_e32 v29, 7, v21
	v_ffbh_u32_e32 v29, v29
	v_min_u32_e32 v29, 32, v29
	v_subrev_u32_e32 v36, 28, v29
	v_cmp_gt_u32_e64 s[2:3], 8, v35
	v_lshrrev_b32_e32 v38, 3, v35
	v_sub_u32_e32 v29, 29, v29
	v_cndmask_b32_e64 v35, 0, v36, s[2:3]
	v_lshlrev_b64 v[36:37], v35, v[6:7]
	v_cndmask_b32_e64 v29, v38, v29, s[2:3]
	v_lshlrev_b32_e32 v35, 7, v36
	v_lshlrev_b32_e32 v36, 8, v21
	v_lshl_add_u32 v29, v29, 10, v25
	v_and_or_b32 v29, v36, s40, v29
	v_and_or_b32 v29, v35, s41, v29
	v_cvt_f32_f16_e32 v29, v29
.LBB261_165:                            ;   in Loop: Header=BB261_136 Depth=1
	s_or_b64 exec, exec, s[26:27]
.LBB261_166:                            ;   in Loop: Header=BB261_136 Depth=1
	s_or_b64 exec, exec, s[24:25]
.LBB261_167:                            ;   in Loop: Header=BB261_136 Depth=1
	s_or_b64 exec, exec, s[4:5]
	v_lshrrev_b16_e32 v6, 8, v6
	v_cmp_ne_u16_e64 s[2:3], 0, v6
	s_and_saveexec_b64 s[4:5], s[2:3]
	s_cbranch_execz .LBB261_173
; %bb.168:                              ;   in Loop: Header=BB261_136 Depth=1
	v_cmp_ne_u16_e64 s[2:3], s38, v6
	v_bfrev_b32_e32 v34, 1
	s_and_saveexec_b64 s[24:25], s[2:3]
	s_cbranch_execz .LBB261_172
; %bb.169:                              ;   in Loop: Header=BB261_136 Depth=1
	v_and_b32_e32 v35, 0x7f, v6
	v_cmp_ne_u32_e64 s[2:3], s39, v35
	v_mov_b32_e32 v34, 0x7fc02000
	s_and_saveexec_b64 s[26:27], s[2:3]
	s_cbranch_execz .LBB261_171
; %bb.170:                              ;   in Loop: Header=BB261_136 Depth=1
	v_and_b32_e32 v34, 7, v6
	v_ffbh_u32_e32 v36, v34
	v_min_u32_e32 v39, 32, v36
	v_subrev_u32_e32 v36, 28, v39
	v_lshlrev_b64 v[36:37], v36, v[6:7]
	v_lshrrev_b32_e32 v38, 3, v35
	v_sub_u32_e32 v37, 29, v39
	v_cmp_gt_u32_e64 s[2:3], 8, v35
	v_cndmask_b32_e64 v35, v38, v37, s[2:3]
	v_and_b32_e32 v36, 7, v36
	v_lshlrev_b32_e32 v6, 8, v6
	v_lshl_add_u32 v35, v35, 10, v25
	v_cndmask_b32_e64 v34, v34, v36, s[2:3]
	v_and_or_b32 v6, v6, s40, v35
	v_lshl_or_b32 v6, v34, 7, v6
	v_cvt_f32_f16_e32 v34, v6
.LBB261_171:                            ;   in Loop: Header=BB261_136 Depth=1
	s_or_b64 exec, exec, s[26:27]
.LBB261_172:                            ;   in Loop: Header=BB261_136 Depth=1
	s_or_b64 exec, exec, s[24:25]
.LBB261_173:                            ;   in Loop: Header=BB261_136 Depth=1
	s_or_b64 exec, exec, s[4:5]
	v_lshrrev_b32_e32 v6, 16, v21
	v_cmp_ne_u16_sdwa s[2:3], v6, v7 src0_sel:BYTE_0 src1_sel:DWORD
	v_mov_b32_e32 v35, 0
	v_mov_b32_e32 v36, 0
	s_and_saveexec_b64 s[4:5], s[2:3]
	s_cbranch_execz .LBB261_179
; %bb.174:                              ;   in Loop: Header=BB261_136 Depth=1
	v_cmp_ne_u16_sdwa s[2:3], v6, s38 src0_sel:BYTE_0 src1_sel:DWORD
	v_bfrev_b32_e32 v36, 1
	s_and_saveexec_b64 s[24:25], s[2:3]
	s_cbranch_execz .LBB261_178
; %bb.175:                              ;   in Loop: Header=BB261_136 Depth=1
	v_bfe_u32 v37, v21, 16, 7
	v_cmp_ne_u32_e64 s[2:3], s39, v37
	v_mov_b32_e32 v36, 0x7fc02000
	s_and_saveexec_b64 s[26:27], s[2:3]
	s_cbranch_execz .LBB261_177
; %bb.176:                              ;   in Loop: Header=BB261_136 Depth=1
	v_and_b32_e32 v36, 7, v6
	v_ffbh_u32_e32 v38, v36
	v_min_u32_e32 v41, 32, v38
	v_subrev_u32_e32 v38, 28, v41
	v_lshlrev_b64 v[38:39], v38, v[6:7]
	v_lshrrev_b32_e32 v40, 3, v37
	v_sub_u32_e32 v39, 29, v41
	v_cmp_gt_u32_e64 s[2:3], 8, v37
	v_cndmask_b32_e64 v37, v40, v39, s[2:3]
	v_and_b32_e32 v38, 7, v38
	v_lshlrev_b32_e32 v6, 8, v6
	v_lshl_add_u32 v37, v37, 10, v25
	v_cndmask_b32_e64 v36, v36, v38, s[2:3]
	v_and_or_b32 v6, v6, s40, v37
	v_lshl_or_b32 v6, v36, 7, v6
	v_cvt_f32_f16_e32 v36, v6
.LBB261_177:                            ;   in Loop: Header=BB261_136 Depth=1
	s_or_b64 exec, exec, s[26:27]
.LBB261_178:                            ;   in Loop: Header=BB261_136 Depth=1
	s_or_b64 exec, exec, s[24:25]
.LBB261_179:                            ;   in Loop: Header=BB261_136 Depth=1
	s_or_b64 exec, exec, s[4:5]
	v_cmp_lt_u64_e64 s[2:3], s[16:17], v[20:21]
	s_and_saveexec_b64 s[4:5], s[2:3]
	s_cbranch_execz .LBB261_185
; %bb.180:                              ;   in Loop: Header=BB261_136 Depth=1
	v_lshrrev_b32_e32 v6, 24, v21
	v_cmp_ne_u32_e64 s[2:3], s38, v6
	v_bfrev_b32_e32 v35, 1
	s_and_saveexec_b64 s[24:25], s[2:3]
	s_cbranch_execz .LBB261_184
; %bb.181:                              ;   in Loop: Header=BB261_136 Depth=1
	v_and_b32_e32 v20, 0x7f, v6
	v_cmp_ne_u32_e64 s[2:3], s39, v20
	v_mov_b32_e32 v35, 0x7fc02000
	s_and_saveexec_b64 s[26:27], s[2:3]
	s_cbranch_execz .LBB261_183
; %bb.182:                              ;   in Loop: Header=BB261_136 Depth=1
	v_and_b32_e32 v21, 7, v6
	v_ffbh_u32_e32 v37, v21
	v_min_u32_e32 v37, 32, v37
	v_lshrrev_b32_e32 v35, 3, v20
	v_subrev_u32_e32 v38, 28, v37
	v_sub_u32_e32 v37, 29, v37
	v_cmp_gt_u32_e64 s[2:3], 8, v20
	v_lshlrev_b64 v[38:39], v38, v[6:7]
	v_cndmask_b32_e64 v20, v35, v37, s[2:3]
	v_and_b32_e32 v38, 7, v38
	v_lshlrev_b32_e32 v6, 8, v6
	v_lshl_add_u32 v20, v20, 10, v25
	v_cndmask_b32_e64 v21, v21, v38, s[2:3]
	v_and_or_b32 v6, v6, s40, v20
	v_lshl_or_b32 v6, v21, 7, v6
	v_cvt_f32_f16_e32 v35, v6
.LBB261_183:                            ;   in Loop: Header=BB261_136 Depth=1
	s_or_b64 exec, exec, s[26:27]
.LBB261_184:                            ;   in Loop: Header=BB261_136 Depth=1
	s_or_b64 exec, exec, s[24:25]
.LBB261_185:                            ;   in Loop: Header=BB261_136 Depth=1
	s_or_b64 exec, exec, s[4:5]
	s_waitcnt vmcnt(0)
	v_pk_mul_f32 v[18:19], v[14:15], v[18:19] op_sel_hi:[0,1]
	v_pk_mul_f32 v[16:17], v[14:15], v[16:17] op_sel_hi:[0,1]
	v_cvt_f16_f32_e32 v6, v19
	v_cvt_f16_f32_e32 v18, v18
	;; [unrolled: 1-line block ×4, first 2 shown]
	v_cmp_eq_u32_e64 s[2:3], s42, v2
	v_pack_b32_f16 v18, v18, v6
	v_pack_b32_f16 v16, v16, v17
	v_fma_mixlo_f16 v17, v14, v34, 0
	v_perm_b32 v6, v16, v18, s45
	v_perm_b32 v16, v16, v18, s46
	v_lshlrev_b32_e32 v17, 16, v17
	v_fma_mixlo_f16 v18, v14, v29, 0
	v_or_b32_sdwa v17, v17, v18 dst_sel:DWORD dst_unused:UNUSED_PAD src0_sel:DWORD src1_sel:WORD_0
	v_fma_mixlo_f16 v18, v14, v36, 0
	v_fma_mixlo_f16 v14, v14, v35, 0
	v_lshlrev_b32_e32 v14, 16, v14
	v_or_b32_sdwa v14, v14, v18 dst_sel:DWORD dst_unused:UNUSED_PAD src0_sel:DWORD src1_sel:WORD_0
	s_and_saveexec_b64 s[24:25], s[2:3]
	s_cbranch_execz .LBB261_187
; %bb.186:                              ;   in Loop: Header=BB261_136 Depth=1
	v_add_u32_e32 v19, 1, v22
	v_lshrrev_b32_e32 v20, 16, v16
	v_cmp_gt_i32_e64 s[4:5], s43, v19
	v_cndmask_b32_e64 v19, 0, v20, s[4:5]
	v_cmp_gt_i32_e64 s[4:5], s33, v22
	v_cndmask_b32_e64 v16, 0, v16, s[4:5]
	v_perm_b32 v16, v19, v16, s47
	v_or_b32_e32 v19, 3, v22
	v_or_b32_e32 v20, 2, v22
	v_lshrrev_b32_e32 v21, 16, v6
	v_cmp_gt_i32_e64 s[4:5], s43, v19
	v_cndmask_b32_e64 v19, 0, v21, s[4:5]
	v_cmp_gt_i32_e64 s[4:5], s33, v20
	v_cndmask_b32_e64 v6, 0, v6, s[4:5]
	v_perm_b32 v6, v19, v6, s47
	v_or_b32_e32 v19, 5, v22
	v_or_b32_e32 v20, 4, v22
	;; [unrolled: 8-line block ×3, first 2 shown]
	v_lshrrev_b32_e32 v14, 16, v14
	v_cmp_gt_i32_e64 s[4:5], s43, v19
	v_cndmask_b32_e64 v14, 0, v14, s[4:5]
	v_cmp_gt_i32_e64 s[4:5], s33, v20
	v_cndmask_b32_e64 v18, 0, v18, s[4:5]
	v_perm_b32 v14, v14, v18, s47
.LBB261_187:                            ;   in Loop: Header=BB261_136 Depth=1
	s_or_b64 exec, exec, s[24:25]
	v_and_b32_e32 v15, 0xffff, v15
	v_lshl_or_b32 v29, v26, 16, v15
	v_and_b32_e32 v15, 0xffff, v27
	v_lshl_or_b32 v28, v28, 16, v15
	;; [unrolled: 2-line block ×4, first 2 shown]
	;;#ASMSTART
	v_pk_mul_f16 v15, v29, v16;

	;;#ASMEND
	;;#ASMSTART
	v_pk_mul_f16 v6, v28, v6;

	;;#ASMEND
	;; [unrolled: 4-line block ×4, first 2 shown]
	;;#ASMSTART
	v_pk_add_f16 v6, v15, v6;

	;;#ASMEND
	;;#ASMSTART
	v_pk_add_f16 v6, v6, v16;

	;;#ASMEND
	;; [unrolled: 4-line block ×3, first 2 shown]
	v_lshrrev_b32_e32 v14, 16, v6
	v_and_b32_e32 v6, 0xffff, v6
	;;#ASMSTART
	v_cvt_f32_f16 v20, v6;
	;;#ASMEND
	;;#ASMSTART
	v_cvt_f32_f16 v21, v14;
	;;#ASMEND
	s_and_saveexec_b64 s[24:25], vcc
	s_cbranch_execz .LBB261_134
; %bb.188:                              ;   in Loop: Header=BB261_136 Depth=1
	v_add_co_u32_e64 v14, s[4:5], v12, v8
	v_addc_co_u32_e64 v15, s[4:5], 0, v13, s[4:5]
	global_load_dwordx2 v[18:19], v[14:15], off
	global_load_dword v12, v7, s[18:19]
	v_mov_b32_e32 v16, 0
	v_mov_b32_e32 v14, 0
	s_waitcnt vmcnt(1)
	v_cmp_ne_u16_sdwa s[4:5], v18, v7 src0_sel:BYTE_0 src1_sel:DWORD
	s_and_saveexec_b64 s[26:27], s[4:5]
	s_cbranch_execz .LBB261_194
; %bb.189:                              ;   in Loop: Header=BB261_136 Depth=1
	v_cmp_ne_u16_sdwa s[4:5], v18, s38 src0_sel:BYTE_0 src1_sel:DWORD
	v_bfrev_b32_e32 v14, 1
	s_and_saveexec_b64 s[28:29], s[4:5]
	s_cbranch_execz .LBB261_193
; %bb.190:                              ;   in Loop: Header=BB261_136 Depth=1
	v_and_b32_e32 v6, 0x7f, v18
	v_cmp_ne_u32_e64 s[4:5], s39, v6
	v_mov_b32_e32 v14, 0x7fc02000
	s_and_saveexec_b64 s[30:31], s[4:5]
	s_cbranch_execz .LBB261_192
; %bb.191:                              ;   in Loop: Header=BB261_136 Depth=1
	v_and_b32_e32 v13, 7, v18
	v_ffbh_u32_e32 v13, v13
	v_min_u32_e32 v13, 32, v13
	v_subrev_u32_e32 v14, 28, v13
	v_cmp_gt_u32_e64 s[4:5], 8, v6
	v_lshrrev_b32_e32 v17, 3, v6
	v_sub_u32_e32 v13, 29, v13
	v_cndmask_b32_e64 v6, 0, v14, s[4:5]
	v_lshlrev_b64 v[14:15], v6, v[18:19]
	v_cndmask_b32_e64 v6, v17, v13, s[4:5]
	v_lshlrev_b32_e32 v13, 7, v14
	v_lshlrev_b32_e32 v14, 8, v18
	v_lshl_add_u32 v6, v6, 10, v25
	v_and_or_b32 v6, v14, s40, v6
	v_and_or_b32 v6, v13, s41, v6
	v_cvt_f32_f16_e32 v14, v6
.LBB261_192:                            ;   in Loop: Header=BB261_136 Depth=1
	s_or_b64 exec, exec, s[30:31]
.LBB261_193:                            ;   in Loop: Header=BB261_136 Depth=1
	s_or_b64 exec, exec, s[28:29]
.LBB261_194:                            ;   in Loop: Header=BB261_136 Depth=1
	s_or_b64 exec, exec, s[26:27]
	v_lshrrev_b16_e32 v6, 8, v18
	v_cmp_ne_u16_e64 s[4:5], 0, v6
	s_and_saveexec_b64 s[26:27], s[4:5]
	s_cbranch_execz .LBB261_200
; %bb.195:                              ;   in Loop: Header=BB261_136 Depth=1
	v_cmp_ne_u16_e64 s[4:5], s38, v6
	v_bfrev_b32_e32 v16, 1
	s_and_saveexec_b64 s[28:29], s[4:5]
	s_cbranch_execz .LBB261_199
; %bb.196:                              ;   in Loop: Header=BB261_136 Depth=1
	v_and_b32_e32 v13, 0x7f, v6
	v_cmp_ne_u32_e64 s[4:5], s39, v13
	v_mov_b32_e32 v16, 0x7fc02000
	s_and_saveexec_b64 s[30:31], s[4:5]
	s_cbranch_execz .LBB261_198
; %bb.197:                              ;   in Loop: Header=BB261_136 Depth=1
	v_and_b32_e32 v15, 7, v6
	v_ffbh_u32_e32 v16, v15
	v_min_u32_e32 v31, 32, v16
	v_subrev_u32_e32 v16, 28, v31
	v_lshlrev_b64 v[16:17], v16, v[6:7]
	v_lshrrev_b32_e32 v30, 3, v13
	v_sub_u32_e32 v17, 29, v31
	v_cmp_gt_u32_e64 s[4:5], 8, v13
	v_cndmask_b32_e64 v13, v30, v17, s[4:5]
	v_and_b32_e32 v16, 7, v16
	v_lshlrev_b32_e32 v6, 8, v6
	v_lshl_add_u32 v13, v13, 10, v25
	v_cndmask_b32_e64 v15, v15, v16, s[4:5]
	v_and_or_b32 v6, v6, s40, v13
	v_lshl_or_b32 v6, v15, 7, v6
	v_cvt_f32_f16_e32 v16, v6
.LBB261_198:                            ;   in Loop: Header=BB261_136 Depth=1
	s_or_b64 exec, exec, s[30:31]
.LBB261_199:                            ;   in Loop: Header=BB261_136 Depth=1
	s_or_b64 exec, exec, s[28:29]
.LBB261_200:                            ;   in Loop: Header=BB261_136 Depth=1
	s_or_b64 exec, exec, s[26:27]
	v_lshrrev_b32_e32 v6, 16, v18
	v_cmp_ne_u16_sdwa s[4:5], v6, v7 src0_sel:BYTE_0 src1_sel:DWORD
	v_mov_b32_e32 v17, 0
	v_mov_b32_e32 v15, 0
	s_and_saveexec_b64 s[26:27], s[4:5]
	s_cbranch_execz .LBB261_206
; %bb.201:                              ;   in Loop: Header=BB261_136 Depth=1
	v_cmp_ne_u16_sdwa s[4:5], v6, s38 src0_sel:BYTE_0 src1_sel:DWORD
	v_bfrev_b32_e32 v15, 1
	s_and_saveexec_b64 s[28:29], s[4:5]
	s_cbranch_execz .LBB261_205
; %bb.202:                              ;   in Loop: Header=BB261_136 Depth=1
	v_bfe_u32 v13, v18, 16, 7
	v_cmp_ne_u32_e64 s[4:5], s39, v13
	v_mov_b32_e32 v15, 0x7fc02000
	s_and_saveexec_b64 s[30:31], s[4:5]
	s_cbranch_execz .LBB261_204
; %bb.203:                              ;   in Loop: Header=BB261_136 Depth=1
	v_and_b32_e32 v15, 7, v6
	v_ffbh_u32_e32 v30, v15
	v_min_u32_e32 v33, 32, v30
	v_subrev_u32_e32 v30, 28, v33
	v_lshlrev_b64 v[30:31], v30, v[6:7]
	v_lshrrev_b32_e32 v32, 3, v13
	v_sub_u32_e32 v31, 29, v33
	v_cmp_gt_u32_e64 s[4:5], 8, v13
	v_cndmask_b32_e64 v13, v32, v31, s[4:5]
	v_and_b32_e32 v30, 7, v30
	v_lshlrev_b32_e32 v6, 8, v6
	v_lshl_add_u32 v13, v13, 10, v25
	v_cndmask_b32_e64 v15, v15, v30, s[4:5]
	v_and_or_b32 v6, v6, s40, v13
	v_lshl_or_b32 v6, v15, 7, v6
	v_cvt_f32_f16_e32 v15, v6
.LBB261_204:                            ;   in Loop: Header=BB261_136 Depth=1
	s_or_b64 exec, exec, s[30:31]
.LBB261_205:                            ;   in Loop: Header=BB261_136 Depth=1
	s_or_b64 exec, exec, s[28:29]
.LBB261_206:                            ;   in Loop: Header=BB261_136 Depth=1
	s_or_b64 exec, exec, s[26:27]
	v_cmp_lt_u32_e64 s[4:5], s17, v18
	s_and_saveexec_b64 s[26:27], s[4:5]
	s_cbranch_execz .LBB261_212
; %bb.207:                              ;   in Loop: Header=BB261_136 Depth=1
	v_lshrrev_b32_e32 v6, 24, v18
	v_cmp_ne_u32_e64 s[4:5], s38, v6
	v_bfrev_b32_e32 v17, 1
	s_and_saveexec_b64 s[28:29], s[4:5]
	s_cbranch_execz .LBB261_211
; %bb.208:                              ;   in Loop: Header=BB261_136 Depth=1
	v_and_b32_e32 v13, 0x7f, v6
	v_cmp_ne_u32_e64 s[4:5], s39, v13
	v_mov_b32_e32 v17, 0x7fc02000
	s_and_saveexec_b64 s[30:31], s[4:5]
	s_cbranch_execz .LBB261_210
; %bb.209:                              ;   in Loop: Header=BB261_136 Depth=1
	v_and_b32_e32 v17, 7, v6
	v_ffbh_u32_e32 v30, v17
	v_min_u32_e32 v33, 32, v30
	v_subrev_u32_e32 v30, 28, v33
	v_lshlrev_b64 v[30:31], v30, v[6:7]
	v_lshrrev_b32_e32 v32, 3, v13
	v_sub_u32_e32 v31, 29, v33
	v_cmp_gt_u32_e64 s[4:5], 8, v13
	v_cndmask_b32_e64 v13, v32, v31, s[4:5]
	v_and_b32_e32 v30, 7, v30
	v_lshlrev_b32_e32 v6, 8, v6
	v_lshl_add_u32 v13, v13, 10, v25
	v_cndmask_b32_e64 v17, v17, v30, s[4:5]
	v_and_or_b32 v6, v6, s40, v13
	v_lshl_or_b32 v6, v17, 7, v6
	v_cvt_f32_f16_e32 v17, v6
.LBB261_210:                            ;   in Loop: Header=BB261_136 Depth=1
	s_or_b64 exec, exec, s[30:31]
.LBB261_211:                            ;   in Loop: Header=BB261_136 Depth=1
	s_or_b64 exec, exec, s[28:29]
.LBB261_212:                            ;   in Loop: Header=BB261_136 Depth=1
	s_or_b64 exec, exec, s[26:27]
	v_mov_b32_e32 v6, v19
	v_cmp_ne_u16_sdwa s[4:5], v19, v7 src0_sel:BYTE_0 src1_sel:DWORD
	v_mov_b32_e32 v30, 0
	v_mov_b32_e32 v13, 0
	s_and_saveexec_b64 s[26:27], s[4:5]
	s_cbranch_execz .LBB261_218
; %bb.213:                              ;   in Loop: Header=BB261_136 Depth=1
	v_cmp_ne_u16_sdwa s[4:5], v19, s38 src0_sel:BYTE_0 src1_sel:DWORD
	v_bfrev_b32_e32 v13, 1
	s_and_saveexec_b64 s[28:29], s[4:5]
	s_cbranch_execz .LBB261_217
; %bb.214:                              ;   in Loop: Header=BB261_136 Depth=1
	v_and_b32_e32 v31, 0x7f, v19
	v_cmp_ne_u32_e64 s[4:5], s39, v31
	v_mov_b32_e32 v13, 0x7fc02000
	s_and_saveexec_b64 s[30:31], s[4:5]
	s_cbranch_execz .LBB261_216
; %bb.215:                              ;   in Loop: Header=BB261_136 Depth=1
	v_and_b32_e32 v13, 7, v19
	v_ffbh_u32_e32 v13, v13
	v_min_u32_e32 v13, 32, v13
	v_subrev_u32_e32 v32, 28, v13
	v_cmp_gt_u32_e64 s[4:5], 8, v31
	v_lshrrev_b32_e32 v34, 3, v31
	v_sub_u32_e32 v13, 29, v13
	v_cndmask_b32_e64 v31, 0, v32, s[4:5]
	v_lshlrev_b64 v[32:33], v31, v[6:7]
	v_cndmask_b32_e64 v13, v34, v13, s[4:5]
	v_lshlrev_b32_e32 v31, 7, v32
	v_lshlrev_b32_e32 v32, 8, v19
	v_lshl_add_u32 v13, v13, 10, v25
	v_and_or_b32 v13, v32, s40, v13
	v_and_or_b32 v13, v31, s41, v13
	v_cvt_f32_f16_e32 v13, v13
.LBB261_216:                            ;   in Loop: Header=BB261_136 Depth=1
	s_or_b64 exec, exec, s[30:31]
.LBB261_217:                            ;   in Loop: Header=BB261_136 Depth=1
	s_or_b64 exec, exec, s[28:29]
.LBB261_218:                            ;   in Loop: Header=BB261_136 Depth=1
	s_or_b64 exec, exec, s[26:27]
	v_lshrrev_b16_e32 v6, 8, v6
	v_cmp_ne_u16_e64 s[4:5], 0, v6
	s_and_saveexec_b64 s[26:27], s[4:5]
	s_cbranch_execz .LBB261_224
; %bb.219:                              ;   in Loop: Header=BB261_136 Depth=1
	v_cmp_ne_u16_e64 s[4:5], s38, v6
	v_bfrev_b32_e32 v30, 1
	s_and_saveexec_b64 s[28:29], s[4:5]
	s_cbranch_execz .LBB261_223
; %bb.220:                              ;   in Loop: Header=BB261_136 Depth=1
	v_and_b32_e32 v31, 0x7f, v6
	v_cmp_ne_u32_e64 s[4:5], s39, v31
	v_mov_b32_e32 v30, 0x7fc02000
	s_and_saveexec_b64 s[30:31], s[4:5]
	s_cbranch_execz .LBB261_222
; %bb.221:                              ;   in Loop: Header=BB261_136 Depth=1
	v_and_b32_e32 v30, 7, v6
	v_ffbh_u32_e32 v32, v30
	v_min_u32_e32 v35, 32, v32
	v_subrev_u32_e32 v32, 28, v35
	v_lshlrev_b64 v[32:33], v32, v[6:7]
	v_lshrrev_b32_e32 v34, 3, v31
	v_sub_u32_e32 v33, 29, v35
	v_cmp_gt_u32_e64 s[4:5], 8, v31
	v_cndmask_b32_e64 v31, v34, v33, s[4:5]
	v_and_b32_e32 v32, 7, v32
	v_lshlrev_b32_e32 v6, 8, v6
	v_lshl_add_u32 v31, v31, 10, v25
	v_cndmask_b32_e64 v30, v30, v32, s[4:5]
	v_and_or_b32 v6, v6, s40, v31
	v_lshl_or_b32 v6, v30, 7, v6
	v_cvt_f32_f16_e32 v30, v6
.LBB261_222:                            ;   in Loop: Header=BB261_136 Depth=1
	s_or_b64 exec, exec, s[30:31]
.LBB261_223:                            ;   in Loop: Header=BB261_136 Depth=1
	s_or_b64 exec, exec, s[28:29]
.LBB261_224:                            ;   in Loop: Header=BB261_136 Depth=1
	s_or_b64 exec, exec, s[26:27]
	v_lshrrev_b32_e32 v6, 16, v19
	v_cmp_ne_u16_sdwa s[4:5], v6, v7 src0_sel:BYTE_0 src1_sel:DWORD
	v_mov_b32_e32 v31, 0
	v_mov_b32_e32 v32, 0
	s_and_saveexec_b64 s[26:27], s[4:5]
	s_cbranch_execz .LBB261_230
; %bb.225:                              ;   in Loop: Header=BB261_136 Depth=1
	v_cmp_ne_u16_sdwa s[4:5], v6, s38 src0_sel:BYTE_0 src1_sel:DWORD
	v_bfrev_b32_e32 v32, 1
	s_and_saveexec_b64 s[28:29], s[4:5]
	s_cbranch_execz .LBB261_229
; %bb.226:                              ;   in Loop: Header=BB261_136 Depth=1
	v_bfe_u32 v33, v19, 16, 7
	v_cmp_ne_u32_e64 s[4:5], s39, v33
	v_mov_b32_e32 v32, 0x7fc02000
	s_and_saveexec_b64 s[30:31], s[4:5]
	s_cbranch_execz .LBB261_228
; %bb.227:                              ;   in Loop: Header=BB261_136 Depth=1
	v_and_b32_e32 v32, 7, v6
	v_ffbh_u32_e32 v34, v32
	v_min_u32_e32 v37, 32, v34
	v_subrev_u32_e32 v34, 28, v37
	v_lshlrev_b64 v[34:35], v34, v[6:7]
	v_lshrrev_b32_e32 v36, 3, v33
	v_sub_u32_e32 v35, 29, v37
	v_cmp_gt_u32_e64 s[4:5], 8, v33
	v_cndmask_b32_e64 v33, v36, v35, s[4:5]
	v_and_b32_e32 v34, 7, v34
	v_lshlrev_b32_e32 v6, 8, v6
	v_lshl_add_u32 v33, v33, 10, v25
	v_cndmask_b32_e64 v32, v32, v34, s[4:5]
	v_and_or_b32 v6, v6, s40, v33
	v_lshl_or_b32 v6, v32, 7, v6
	v_cvt_f32_f16_e32 v32, v6
.LBB261_228:                            ;   in Loop: Header=BB261_136 Depth=1
	s_or_b64 exec, exec, s[30:31]
.LBB261_229:                            ;   in Loop: Header=BB261_136 Depth=1
	s_or_b64 exec, exec, s[28:29]
.LBB261_230:                            ;   in Loop: Header=BB261_136 Depth=1
	s_or_b64 exec, exec, s[26:27]
	v_cmp_lt_u64_e64 s[4:5], s[16:17], v[18:19]
	s_and_saveexec_b64 s[26:27], s[4:5]
	s_cbranch_execz .LBB261_236
; %bb.231:                              ;   in Loop: Header=BB261_136 Depth=1
	v_lshrrev_b32_e32 v6, 24, v19
	v_cmp_ne_u32_e64 s[4:5], s38, v6
	v_bfrev_b32_e32 v31, 1
	s_and_saveexec_b64 s[28:29], s[4:5]
	s_cbranch_execz .LBB261_235
; %bb.232:                              ;   in Loop: Header=BB261_136 Depth=1
	v_and_b32_e32 v18, 0x7f, v6
	v_cmp_ne_u32_e64 s[4:5], s39, v18
	v_mov_b32_e32 v31, 0x7fc02000
	s_and_saveexec_b64 s[30:31], s[4:5]
	s_cbranch_execz .LBB261_234
; %bb.233:                              ;   in Loop: Header=BB261_136 Depth=1
	v_and_b32_e32 v19, 7, v6
	v_ffbh_u32_e32 v33, v19
	v_min_u32_e32 v33, 32, v33
	v_lshrrev_b32_e32 v31, 3, v18
	v_subrev_u32_e32 v34, 28, v33
	v_sub_u32_e32 v33, 29, v33
	v_cmp_gt_u32_e64 s[4:5], 8, v18
	v_lshlrev_b64 v[34:35], v34, v[6:7]
	v_cndmask_b32_e64 v18, v31, v33, s[4:5]
	v_and_b32_e32 v34, 7, v34
	v_lshlrev_b32_e32 v6, 8, v6
	v_lshl_add_u32 v18, v18, 10, v25
	v_cndmask_b32_e64 v19, v19, v34, s[4:5]
	v_and_or_b32 v6, v6, s40, v18
	v_lshl_or_b32 v6, v19, 7, v6
	v_cvt_f32_f16_e32 v31, v6
.LBB261_234:                            ;   in Loop: Header=BB261_136 Depth=1
	s_or_b64 exec, exec, s[30:31]
.LBB261_235:                            ;   in Loop: Header=BB261_136 Depth=1
	s_or_b64 exec, exec, s[28:29]
.LBB261_236:                            ;   in Loop: Header=BB261_136 Depth=1
	s_or_b64 exec, exec, s[26:27]
	s_waitcnt vmcnt(0)
	v_pk_mul_f32 v[14:15], v[12:13], v[14:15] op_sel_hi:[0,1]
	v_cvt_f16_f32_e32 v15, v15
	v_cvt_f16_f32_e32 v14, v14
	v_pk_mul_f32 v[16:17], v[12:13], v[16:17] op_sel_hi:[0,1]
	v_cvt_f16_f32_e32 v6, v17
	v_cvt_f16_f32_e32 v16, v16
	v_pack_b32_f16 v14, v14, v15
	v_fma_mixlo_f16 v15, v12, v30, 0
	v_lshlrev_b32_e32 v15, 16, v15
	v_fma_mixlo_f16 v13, v12, v13, 0
	v_or_b32_sdwa v13, v15, v13 dst_sel:DWORD dst_unused:UNUSED_PAD src0_sel:DWORD src1_sel:WORD_0
	v_fma_mixlo_f16 v15, v12, v32, 0
	v_fma_mixlo_f16 v12, v12, v31, 0
	v_pack_b32_f16 v16, v16, v6
	v_lshlrev_b32_e32 v12, 16, v12
	v_perm_b32 v6, v14, v16, s45
	v_perm_b32 v14, v14, v16, s46
	v_or_b32_sdwa v12, v12, v15 dst_sel:DWORD dst_unused:UNUSED_PAD src0_sel:DWORD src1_sel:WORD_0
	s_and_saveexec_b64 s[4:5], s[2:3]
	s_cbranch_execz .LBB261_133
; %bb.237:                              ;   in Loop: Header=BB261_136 Depth=1
	v_add_u32_e32 v16, 1, v22
	v_lshrrev_b32_e32 v17, 16, v14
	v_cmp_gt_i32_e64 s[2:3], s43, v16
	v_cndmask_b32_e64 v16, 0, v17, s[2:3]
	v_cmp_gt_i32_e64 s[2:3], s33, v22
	v_cndmask_b32_e64 v14, 0, v14, s[2:3]
	v_perm_b32 v14, v16, v14, s47
	v_or_b32_e32 v16, 3, v22
	v_or_b32_e32 v17, 2, v22
	v_lshrrev_b32_e32 v18, 16, v6
	v_cmp_gt_i32_e64 s[2:3], s43, v16
	v_cndmask_b32_e64 v16, 0, v18, s[2:3]
	v_cmp_gt_i32_e64 s[2:3], s33, v17
	v_cndmask_b32_e64 v6, 0, v6, s[2:3]
	v_perm_b32 v6, v16, v6, s47
	v_or_b32_e32 v16, 5, v22
	v_or_b32_e32 v17, 4, v22
	;; [unrolled: 8-line block ×3, first 2 shown]
	v_lshrrev_b32_e32 v12, 16, v12
	v_cmp_gt_i32_e64 s[2:3], s43, v16
	v_cndmask_b32_e64 v12, 0, v12, s[2:3]
	v_cmp_gt_i32_e64 s[2:3], s33, v17
	v_cndmask_b32_e64 v15, 0, v15, s[2:3]
	v_perm_b32 v12, v12, v15, s47
	s_branch .LBB261_133
.LBB261_238:
	s_or_b64 exec, exec, s[20:21]
.LBB261_239:
	s_or_b64 exec, exec, s[6:7]
	v_and_b32_e32 v2, 0x3c0, v0
	v_cmp_eq_u32_e32 vcc, 64, v2
	s_barrier
	s_and_saveexec_b64 s[2:3], vcc
	s_cbranch_execz .LBB261_242
; %bb.240:
	v_mov_b32_e32 v2, 0xf0
	v_lshl_add_u32 v3, v9, 2, v2
	ds_write_b32 v3, v23
	s_and_b64 exec, exec, s[0:1]
	s_cbranch_execz .LBB261_242
; %bb.241:
	v_lshl_add_u32 v2, v0, 2, v2
	ds_write_b32 v2, v5
.LBB261_242:
	s_or_b64 exec, exec, s[2:3]
	v_cmp_gt_u32_e32 vcc, 64, v0
	v_or_b32_e32 v2, 64, v0
	s_waitcnt lgkmcnt(0)
	s_barrier
	s_and_saveexec_b64 s[2:3], vcc
	s_cbranch_execz .LBB261_246
; %bb.243:
	v_mov_b32_e32 v3, 0xf0
	v_lshl_add_u32 v3, v0, 2, v3
	ds_read_b32 v0, v3
	s_movk_i32 s0, 0x70
	v_cmp_gt_u32_e64 s[0:1], s0, v2
	s_and_saveexec_b64 s[4:5], s[0:1]
	s_cbranch_execz .LBB261_245
; %bb.244:
	ds_read_b32 v3, v3 offset:256
	s_waitcnt lgkmcnt(0)
	v_add_f32_e32 v5, v5, v3
.LBB261_245:
	s_or_b64 exec, exec, s[4:5]
	s_waitcnt lgkmcnt(0)
	v_add_f32_e32 v23, v23, v0
.LBB261_246:
	s_or_b64 exec, exec, s[2:3]
	s_barrier
	s_and_saveexec_b64 s[0:1], vcc
	s_cbranch_execz .LBB261_249
; %bb.247:
	s_mul_i32 s0, s10, 0x70
	s_ashr_i32 s1, s0, 31
	s_lshl_b64 s[0:1], s[0:1], 1
	s_add_u32 s3, s34, s0
	s_mul_i32 s0, s15, s14
	s_addc_u32 s4, s35, s1
	s_ashr_i32 s1, s0, 31
	s_lshl_b64 s[0:1], s[0:1], 1
	s_add_u32 s3, s3, s0
	s_mul_i32 s0, s8, 0x70
	s_addc_u32 s4, s4, s1
	s_ashr_i32 s1, s0, 31
	s_lshl_b64 s[0:1], s[0:1], 1
	s_movk_i32 s2, 0x70
	s_add_u32 s0, s3, s0
	s_addc_u32 s1, s4, s1
	v_cmp_gt_u32_e32 vcc, s2, v2
	;;#ASMSTART
	v_cvt_f16_f32 v0, v23;

	;;#ASMEND
	global_store_short v1, v0, s[0:1]
	s_and_b64 exec, exec, vcc
	s_cbranch_execz .LBB261_249
; %bb.248:
	v_mov_b32_e32 v2, s1
	v_add_co_u32_e32 v0, vcc, s0, v1
	v_addc_co_u32_e32 v1, vcc, 0, v2, vcc
	;;#ASMSTART
	v_cvt_f16_f32 v2, v5;

	;;#ASMEND
	global_store_short v[0:1], v2, off offset:128
.LBB261_249:
	s_endpgm
	.section	.rodata,"a",@progbits
	.p2align	6, 0x0
	.amdhsa_kernel _ZN4vllm25paged_attention_v2_kernelIthLi112ELi8ELi128ELNS_18Fp8KVCacheDataTypeE1ELb1ELi512EEEvPfS2_PT_PKS3_PKT0_S9_ifPKiSB_iPKfiiiSD_SD_iiiii
		.amdhsa_group_segment_fixed_size 240
		.amdhsa_private_segment_fixed_size 0
		.amdhsa_kernarg_size 400
		.amdhsa_user_sgpr_count 6
		.amdhsa_user_sgpr_private_segment_buffer 1
		.amdhsa_user_sgpr_dispatch_ptr 0
		.amdhsa_user_sgpr_queue_ptr 0
		.amdhsa_user_sgpr_kernarg_segment_ptr 1
		.amdhsa_user_sgpr_dispatch_id 0
		.amdhsa_user_sgpr_flat_scratch_init 0
		.amdhsa_user_sgpr_kernarg_preload_length 0
		.amdhsa_user_sgpr_kernarg_preload_offset 0
		.amdhsa_user_sgpr_private_segment_size 0
		.amdhsa_uses_dynamic_stack 0
		.amdhsa_system_sgpr_private_segment_wavefront_offset 0
		.amdhsa_system_sgpr_workgroup_id_x 1
		.amdhsa_system_sgpr_workgroup_id_y 1
		.amdhsa_system_sgpr_workgroup_id_z 1
		.amdhsa_system_sgpr_workgroup_info 0
		.amdhsa_system_vgpr_workitem_id 0
		.amdhsa_next_free_vgpr 50
		.amdhsa_next_free_sgpr 64
		.amdhsa_accum_offset 52
		.amdhsa_reserve_vcc 1
		.amdhsa_reserve_flat_scratch 0
		.amdhsa_float_round_mode_32 0
		.amdhsa_float_round_mode_16_64 0
		.amdhsa_float_denorm_mode_32 3
		.amdhsa_float_denorm_mode_16_64 3
		.amdhsa_dx10_clamp 1
		.amdhsa_ieee_mode 1
		.amdhsa_fp16_overflow 0
		.amdhsa_tg_split 0
		.amdhsa_exception_fp_ieee_invalid_op 0
		.amdhsa_exception_fp_denorm_src 0
		.amdhsa_exception_fp_ieee_div_zero 0
		.amdhsa_exception_fp_ieee_overflow 0
		.amdhsa_exception_fp_ieee_underflow 0
		.amdhsa_exception_fp_ieee_inexact 0
		.amdhsa_exception_int_div_zero 0
	.end_amdhsa_kernel
	.section	.text._ZN4vllm25paged_attention_v2_kernelIthLi112ELi8ELi128ELNS_18Fp8KVCacheDataTypeE1ELb1ELi512EEEvPfS2_PT_PKS3_PKT0_S9_ifPKiSB_iPKfiiiSD_SD_iiiii,"axG",@progbits,_ZN4vllm25paged_attention_v2_kernelIthLi112ELi8ELi128ELNS_18Fp8KVCacheDataTypeE1ELb1ELi512EEEvPfS2_PT_PKS3_PKT0_S9_ifPKiSB_iPKfiiiSD_SD_iiiii,comdat
.Lfunc_end261:
	.size	_ZN4vllm25paged_attention_v2_kernelIthLi112ELi8ELi128ELNS_18Fp8KVCacheDataTypeE1ELb1ELi512EEEvPfS2_PT_PKS3_PKT0_S9_ifPKiSB_iPKfiiiSD_SD_iiiii, .Lfunc_end261-_ZN4vllm25paged_attention_v2_kernelIthLi112ELi8ELi128ELNS_18Fp8KVCacheDataTypeE1ELb1ELi512EEEvPfS2_PT_PKS3_PKT0_S9_ifPKiSB_iPKfiiiSD_SD_iiiii
                                        ; -- End function
	.section	.AMDGPU.csdata,"",@progbits
; Kernel info:
; codeLenInByte = 11380
; NumSgprs: 68
; NumVgprs: 50
; NumAgprs: 0
; TotalNumVgprs: 50
; ScratchSize: 0
; MemoryBound: 0
; FloatMode: 240
; IeeeMode: 1
; LDSByteSize: 240 bytes/workgroup (compile time only)
; SGPRBlocks: 8
; VGPRBlocks: 6
; NumSGPRsForWavesPerEU: 68
; NumVGPRsForWavesPerEU: 50
; AccumOffset: 52
; Occupancy: 8
; WaveLimiterHint : 1
; COMPUTE_PGM_RSRC2:SCRATCH_EN: 0
; COMPUTE_PGM_RSRC2:USER_SGPR: 6
; COMPUTE_PGM_RSRC2:TRAP_HANDLER: 0
; COMPUTE_PGM_RSRC2:TGID_X_EN: 1
; COMPUTE_PGM_RSRC2:TGID_Y_EN: 1
; COMPUTE_PGM_RSRC2:TGID_Z_EN: 1
; COMPUTE_PGM_RSRC2:TIDIG_COMP_CNT: 0
; COMPUTE_PGM_RSRC3_GFX90A:ACCUM_OFFSET: 12
; COMPUTE_PGM_RSRC3_GFX90A:TG_SPLIT: 0
	.section	.text._ZN4vllm25paged_attention_v2_kernelIthLi120ELi8ELi128ELNS_18Fp8KVCacheDataTypeE1ELb1ELi512EEEvPfS2_PT_PKS3_PKT0_S9_ifPKiSB_iPKfiiiSD_SD_iiiii,"axG",@progbits,_ZN4vllm25paged_attention_v2_kernelIthLi120ELi8ELi128ELNS_18Fp8KVCacheDataTypeE1ELb1ELi512EEEvPfS2_PT_PKS3_PKT0_S9_ifPKiSB_iPKfiiiSD_SD_iiiii,comdat
	.protected	_ZN4vllm25paged_attention_v2_kernelIthLi120ELi8ELi128ELNS_18Fp8KVCacheDataTypeE1ELb1ELi512EEEvPfS2_PT_PKS3_PKT0_S9_ifPKiSB_iPKfiiiSD_SD_iiiii ; -- Begin function _ZN4vllm25paged_attention_v2_kernelIthLi120ELi8ELi128ELNS_18Fp8KVCacheDataTypeE1ELb1ELi512EEEvPfS2_PT_PKS3_PKT0_S9_ifPKiSB_iPKfiiiSD_SD_iiiii
	.globl	_ZN4vllm25paged_attention_v2_kernelIthLi120ELi8ELi128ELNS_18Fp8KVCacheDataTypeE1ELb1ELi512EEEvPfS2_PT_PKS3_PKT0_S9_ifPKiSB_iPKfiiiSD_SD_iiiii
	.p2align	8
	.type	_ZN4vllm25paged_attention_v2_kernelIthLi120ELi8ELi128ELNS_18Fp8KVCacheDataTypeE1ELb1ELi512EEEvPfS2_PT_PKS3_PKT0_S9_ifPKiSB_iPKfiiiSD_SD_iiiii,@function
_ZN4vllm25paged_attention_v2_kernelIthLi120ELi8ELi128ELNS_18Fp8KVCacheDataTypeE1ELb1ELi512EEEvPfS2_PT_PKS3_PKT0_S9_ifPKiSB_iPKfiiiSD_SD_iiiii: ; @_ZN4vllm25paged_attention_v2_kernelIthLi120ELi8ELi128ELNS_18Fp8KVCacheDataTypeE1ELb1ELi512EEEvPfS2_PT_PKS3_PKT0_S9_ifPKiSB_iPKfiiiSD_SD_iiiii
; %bb.0:
	s_load_dwordx2 s[0:1], s[4:5], 0x40
	s_mov_b32 s36, s7
	s_ashr_i32 s37, s7, 31
	s_lshl_b64 s[2:3], s[36:37], 2
	s_waitcnt lgkmcnt(0)
	s_add_u32 s0, s0, s2
	s_addc_u32 s1, s1, s3
	s_load_dword s33, s[0:1], 0x0
	s_lshl_b32 s57, s8, 9
	s_waitcnt lgkmcnt(0)
	s_cmp_ge_i32 s57, s33
	s_cbranch_scc1 .LBB262_255
; %bb.1:
	s_load_dword s9, s[4:5], 0x90
	s_load_dwordx2 s[44:45], s[4:5], 0x30
	s_waitcnt lgkmcnt(0)
	s_abs_i32 s2, s9
	s_abs_i32 s0, s44
	v_cvt_f32_u32_e32 v1, s0
	s_sub_i32 s3, 0, s0
	s_xor_b32 s1, s9, s44
	s_ashr_i32 s1, s1, 31
	v_rcp_iflag_f32_e32 v1, v1
	v_mul_f32_e32 v1, 0x4f7ffffe, v1
	v_cvt_u32_f32_e32 v1, v1
	v_readfirstlane_b32 s7, v1
	s_mul_i32 s3, s3, s7
	s_mul_hi_u32 s3, s7, s3
	s_add_i32 s7, s7, s3
	s_mul_hi_u32 s3, s2, s7
	s_mul_i32 s7, s3, s0
	s_sub_i32 s2, s2, s7
	s_add_i32 s10, s3, 1
	s_sub_i32 s7, s2, s0
	s_cmp_ge_u32 s2, s0
	s_cselect_b32 s3, s10, s3
	s_cselect_b32 s2, s7, s2
	s_add_i32 s7, s3, 1
	s_cmp_ge_u32 s2, s0
	s_cselect_b32 s0, s7, s3
	s_xor_b32 s0, s0, s1
	s_sub_i32 s2, s0, s1
	s_abs_i32 s10, s2
	v_cvt_f32_u32_e32 v1, s10
	s_load_dwordx2 s[0:1], s[4:5], 0x50
	s_sub_i32 s3, 0, s10
	s_abs_i32 s11, s6
	v_rcp_iflag_f32_e32 v1, v1
	s_mov_b32 s7, 0
	v_mul_f32_e32 v1, 0x4f7ffffe, v1
	v_cvt_u32_f32_e32 v1, v1
	v_readfirstlane_b32 s12, v1
	s_mul_i32 s3, s3, s12
	s_mul_hi_u32 s3, s12, s3
	s_add_i32 s12, s12, s3
	s_waitcnt lgkmcnt(0)
	s_cmp_eq_u64 s[0:1], 0
	s_mul_hi_u32 s12, s11, s12
	s_cbranch_scc1 .LBB262_3
; %bb.2:
	s_ashr_i32 s7, s6, 31
	s_lshl_b64 s[14:15], s[6:7], 2
	s_add_u32 s0, s0, s14
	s_addc_u32 s1, s1, s15
	s_load_dword s7, s[0:1], 0x0
.LBB262_3:
	s_load_dwordx4 s[20:23], s[4:5], 0x58
	s_movk_i32 s0, 0x78
	s_ashr_i32 s13, s6, 31
	s_ashr_i32 s16, s2, 31
	v_and_b32_e32 v4, 7, v0
	s_mul_i32 s14, s6, 0x78
	v_cmp_gt_u32_e64 s[0:1], s0, v0
	v_lshlrev_b32_e32 v1, 1, v0
	s_and_saveexec_b64 s[2:3], s[0:1]
	s_cbranch_execz .LBB262_5
; %bb.4:
	s_load_dwordx2 s[18:19], s[4:5], 0x18
	s_waitcnt lgkmcnt(0)
	s_mul_i32 s24, s36, s20
	s_ashr_i32 s25, s24, 31
	s_lshl_b64 s[24:25], s[24:25], 1
	v_lshrrev_b32_e32 v3, 2, v0
	s_add_u32 s17, s18, s24
	s_addc_u32 s20, s19, s25
	s_ashr_i32 s15, s14, 31
	s_lshl_b64 s[18:19], s[14:15], 1
	s_add_u32 s18, s17, s18
	s_addc_u32 s19, s20, s19
	global_load_ushort v2, v1, s[18:19]
	v_and_b32_e32 v3, 0xfe, v3
	v_mad_u32_u24 v3, v4, 30, v3
	s_waitcnt vmcnt(0)
	ds_write_b16 v3, v2
.LBB262_5:
	s_or_b64 exec, exec, s[2:3]
	s_mul_i32 s3, s12, s10
	s_sub_i32 s3, s11, s3
	s_xor_b32 s2, s13, s16
	s_add_i32 s11, s12, 1
	s_sub_i32 s13, s3, s10
	s_load_dwordx4 s[24:27], s[4:5], 0x78
	s_cmp_ge_u32 s3, s10
	s_cselect_b32 s11, s11, s12
	s_cselect_b32 s3, s13, s3
	s_load_dword s13, s[4:5], 0x88
	s_add_i32 s12, s11, 1
	s_cmp_ge_u32 s3, s10
	s_cselect_b32 s3, s12, s11
	s_waitcnt lgkmcnt(0)
	s_abs_i32 s37, s27
	v_cvt_f32_u32_e32 v2, s37
	s_xor_b32 s3, s3, s2
	s_sub_i32 s10, s3, s2
	s_sub_i32 s2, 0, s37
	v_rcp_iflag_f32_e32 v2, v2
	s_add_i32 s15, s33, -1
	s_abs_i32 s11, s15
	v_mul_f32_e32 v2, 0x4f7ffffe, v2
	v_cvt_u32_f32_e32 v2, v2
	s_barrier
	v_readfirstlane_b32 s54, v2
	s_mul_i32 s2, s2, s54
	s_mul_hi_u32 s2, s54, s2
	s_add_i32 s54, s54, s2
	s_cmp_lt_i32 s13, 0
	s_mul_hi_u32 s12, s11, s54
	s_cbranch_scc0 .LBB262_7
; %bb.6:
	s_mul_i32 s2, s24, s44
	s_add_i32 s2, s10, s2
	s_mul_i32 s2, s2, s13
	s_sub_i32 s44, 1, s2
	s_mov_b64 s[2:3], 0
	s_branch .LBB262_8
.LBB262_7:
	s_mov_b64 s[2:3], -1
                                        ; implicit-def: $sgpr44
.LBB262_8:
	s_load_dwordx2 s[38:39], s[4:5], 0x38
	s_ashr_i32 s20, s15, 31
	s_andn2_b64 vcc, exec, s[2:3]
	s_ashr_i32 s55, s27, 31
	s_cbranch_vccnz .LBB262_10
; %bb.9:
	s_mul_i32 s2, s9, s24
	s_add_i32 s2, s2, s6
	s_mul_i32 s2, s2, s13
	s_add_i32 s44, s2, 1
.LBB262_10:
	s_load_dwordx2 s[42:43], s[4:5], 0x28
	s_load_dword s2, s[4:5], 0x48
	s_load_dwordx4 s[28:31], s[4:5], 0x0
	s_load_dwordx2 s[34:35], s[4:5], 0x10
	s_load_dword s15, s[4:5], 0x98
	s_load_dwordx4 s[16:19], s[4:5], 0x68
	s_mul_i32 s3, s12, s37
	s_waitcnt lgkmcnt(0)
	s_mul_i32 s40, s36, s2
	s_sub_i32 s3, s11, s3
	s_ashr_i32 s41, s40, 31
	s_xor_b32 s2, s20, s55
	s_add_i32 s11, s12, 1
	s_sub_i32 s13, s3, s37
	s_cmp_ge_u32 s3, s37
	s_cselect_b32 s11, s11, s12
	s_cselect_b32 s3, s13, s3
	s_add_i32 s12, s11, 1
	s_cmp_ge_u32 s3, s37
	s_cselect_b32 s3, s12, s11
	s_xor_b32 s3, s3, s2
	s_sub_i32 s24, s3, s2
	s_add_i32 s2, s33, 7
	s_ashr_i32 s3, s2, 31
	s_lshr_b32 s3, s3, 29
	s_add_i32 s2, s2, s3
	s_lshl_b32 s58, s8, 6
	s_ashr_i32 s20, s2, 3
	s_add_i32 s2, s58, 64
	v_lshrrev_b32_e32 v13, 6, v0
	s_min_i32 s56, s2, s20
	v_or_b32_e32 v2, s58, v13
	v_cmp_gt_i32_e64 s[2:3], s56, v2
	v_mov_b32_e32 v17, 0xff7fffff
	s_mul_i32 s27, s10, s22
	v_ashrrev_i32_e32 v3, 31, v2
	v_lshl_add_u32 v22, v13, 3, s57
	v_mbcnt_lo_u32_b32 v5, -1, 0
	s_and_saveexec_b64 s[22:23], s[2:3]
	s_cbranch_execz .LBB262_110
; %bb.11:
	s_load_dwordx2 s[4:5], s[4:5], 0x20
	s_sub_i32 s59, s24, s25
	s_ashr_i32 s10, s27, 31
	v_bfe_u32 v14, v0, 3, 3
	v_lshlrev_b32_e32 v7, 4, v14
	s_waitcnt lgkmcnt(0)
	s_add_u32 s4, s4, s27
	s_addc_u32 s5, s5, s10
	s_abs_i32 s61, s26
	v_cvt_f32_u32_e32 v6, s61
	v_mov_b32_e32 v8, s5
	s_sub_i32 s10, 0, s61
	v_cmp_eq_u32_e32 vcc, 0, v4
	v_rcp_iflag_f32_e32 v9, v6
	v_add_co_u32_e64 v6, s[4:5], s4, v7
	v_addc_co_u32_e64 v7, s[4:5], 0, v8, s[4:5]
	v_mul_f32_e32 v8, 0x4f7ffffe, v9
	v_cvt_u32_f32_e32 v8, v8
	s_mov_b32 s60, s21
	v_mov_b32_e32 v15, 0
	v_mul_u32_u24_e32 v16, 30, v4
	v_mul_lo_u32 v9, s10, v8
	s_lshl_b64 s[10:11], s[40:41], 2
	v_mul_hi_u32 v9, v8, v9
	s_add_u32 s10, s38, s10
	v_add_u32_e32 v18, v8, v9
	v_lshlrev_b64 v[8:9], 2, v[2:3]
	s_addc_u32 s11, s39, s11
	v_mov_b32_e32 v10, s11
	v_add_co_u32_e64 v8, s[10:11], s10, v8
	v_addc_co_u32_e64 v9, s[10:11], v10, v9, s[10:11]
	v_lshlrev_b32_e32 v10, 2, v14
	v_lshl_or_b32 v10, v13, 5, v10
	v_add_u32_e32 v20, 0x100, v10
	v_subrev_u32_e32 v10, s33, v14
	v_cmp_neq_f32_e64 s[4:5], s7, 0
	v_lshl_add_u32 v19, v13, 3, s57
	v_add_u32_e32 v21, 1, v10
	s_mov_b64 s[46:47], 0
	v_mov_b32_e32 v23, 0xff7fffff
	s_movk_i32 s62, 0x80
	s_movk_i32 s63, 0x7f
	v_bfrev_b32_e32 v24, 60
	v_mbcnt_hi_u32_b32 v25, -1, v5
	v_mov_b32_e32 v17, 0xff7fffff
	v_mov_b32_e32 v26, v2
	s_branch .LBB262_14
.LBB262_12:                             ;   in Loop: Header=BB262_14 Depth=1
	s_or_b64 exec, exec, s[48:49]
.LBB262_13:                             ;   in Loop: Header=BB262_14 Depth=1
	s_or_b64 exec, exec, s[12:13]
	v_add_co_u32_e64 v8, s[10:11], 8, v8
	v_add_u32_e32 v26, 2, v26
	v_addc_co_u32_e64 v9, s[10:11], 0, v9, s[10:11]
	v_cmp_le_i32_e64 s[10:11], s56, v26
	v_add_u32_e32 v19, 16, v19
	s_or_b64 s[46:47], s[10:11], s[46:47]
	v_add_u32_e32 v20, 64, v20
	s_andn2_b64 exec, exec, s[46:47]
	s_cbranch_execz .LBB262_109
.LBB262_14:                             ; =>This Inner Loop Header: Depth=1
	s_waitcnt lgkmcnt(0)
	v_sub_u32_e32 v11, 0, v19
	v_max_i32_e32 v11, v19, v11
	v_mul_hi_u32 v12, v11, s54
	v_mul_lo_u32 v27, v12, s37
	v_sub_u32_e32 v11, v11, v27
	v_add_u32_e32 v27, 1, v12
	v_cmp_le_u32_e64 s[10:11], s37, v11
	v_cndmask_b32_e64 v12, v12, v27, s[10:11]
	v_subrev_u32_e32 v27, s37, v11
	v_cndmask_b32_e64 v11, v11, v27, s[10:11]
	v_ashrrev_i32_e32 v10, 31, v19
	v_add_u32_e32 v27, 1, v12
	v_cmp_le_u32_e64 s[10:11], s37, v11
	v_xor_b32_e32 v10, s55, v10
	v_cndmask_b32_e64 v11, v12, v27, s[10:11]
	v_xor_b32_e32 v11, v11, v10
	v_sub_u32_e32 v10, v11, v10
	v_add_u32_e32 v11, s44, v10
	v_sub_u32_e32 v27, 0, v11
	v_ashrrev_i32_e32 v12, 31, v11
	v_max_i32_e32 v11, v11, v27
	v_mul_hi_u32 v27, v11, v18
	v_mul_lo_u32 v27, v27, s61
	v_sub_u32_e32 v11, v11, v27
	v_subrev_u32_e32 v27, s61, v11
	v_cmp_le_u32_e64 s[10:11], s61, v11
	v_cndmask_b32_e64 v11, v11, v27, s[10:11]
	v_subrev_u32_e32 v27, s61, v11
	v_cmp_le_u32_e64 s[10:11], s61, v11
	v_cndmask_b32_e64 v11, v11, v27, s[10:11]
	v_xor_b32_e32 v11, v11, v12
	v_sub_u32_e32 v11, v11, v12
	v_cmp_ne_u32_e64 s[10:11], 0, v11
	v_cmp_ge_i32_e64 s[12:13], s59, v10
	s_and_b64 s[10:11], s[10:11], s[12:13]
	s_and_b64 s[48:49], vcc, s[10:11]
	s_and_saveexec_b64 s[12:13], s[48:49]
	s_cbranch_execz .LBB262_16
; %bb.15:                               ;   in Loop: Header=BB262_14 Depth=1
	ds_write_b32 v20, v23
.LBB262_16:                             ;   in Loop: Header=BB262_14 Depth=1
	s_or_b64 exec, exec, s[12:13]
	s_xor_b64 s[10:11], s[10:11], -1
	s_and_saveexec_b64 s[12:13], s[10:11]
	s_cbranch_execz .LBB262_13
; %bb.17:                               ;   in Loop: Header=BB262_14 Depth=1
	global_load_dword v10, v[8:9], off
	v_mov_b32_e32 v28, 0
	v_mov_b32_e32 v29, 0
	s_waitcnt vmcnt(0)
	v_mad_i64_i32 v[10:11], s[10:11], v10, s60, v[6:7]
	v_add_co_u32_e64 v10, s[10:11], v10, v4
	v_addc_co_u32_e64 v11, s[10:11], 0, v11, s[10:11]
	global_load_ubyte v30, v[10:11], off
	global_load_dword v27, v15, s[16:17]
	s_waitcnt vmcnt(1)
	v_cmp_ne_u16_e64 s[10:11], 0, v30
	s_and_saveexec_b64 s[48:49], s[10:11]
	s_cbranch_execz .LBB262_23
; %bb.18:                               ;   in Loop: Header=BB262_14 Depth=1
	v_cmp_ne_u16_e64 s[10:11], s62, v30
	v_bfrev_b32_e32 v29, 1
	s_and_saveexec_b64 s[50:51], s[10:11]
	s_cbranch_execz .LBB262_22
; %bb.19:                               ;   in Loop: Header=BB262_14 Depth=1
	v_and_b32_e32 v12, 0xffff, v30
	v_and_b32_e32 v31, 0x7f, v12
	v_cmp_ne_u32_e64 s[10:11], s63, v31
	v_mov_b32_e32 v29, 0x7f800001
	s_and_saveexec_b64 s[52:53], s[10:11]
	s_cbranch_execz .LBB262_21
; %bb.20:                               ;   in Loop: Header=BB262_14 Depth=1
	v_and_b32_e32 v29, 7, v12
	v_ffbh_u32_e32 v32, v29
	v_min_u32_e32 v35, 32, v32
	v_subrev_u32_e32 v32, 28, v35
	v_lshlrev_b64 v[32:33], v32, v[12:13]
	v_lshrrev_b32_e32 v34, 3, v31
	v_sub_u32_e32 v12, 29, v35
	v_and_b32_e32 v32, 7, v32
	v_cmp_gt_u32_e64 s[10:11], 8, v31
	v_cndmask_b32_e64 v12, v34, v12, s[10:11]
	v_cndmask_b32_e64 v29, v29, v32, s[10:11]
	v_lshlrev_b32_e32 v30, 24, v30
	v_lshlrev_b32_e32 v29, 20, v29
	v_and_b32_e32 v30, 0x80000000, v30
	v_lshl_add_u32 v12, v12, 23, v24
	v_or3_b32 v29, v30, v12, v29
.LBB262_21:                             ;   in Loop: Header=BB262_14 Depth=1
	s_or_b64 exec, exec, s[52:53]
.LBB262_22:                             ;   in Loop: Header=BB262_14 Depth=1
	s_or_b64 exec, exec, s[50:51]
.LBB262_23:                             ;   in Loop: Header=BB262_14 Depth=1
	s_or_b64 exec, exec, s[48:49]
	global_load_ubyte v30, v[10:11], off offset:8
	s_waitcnt vmcnt(0)
	v_cmp_ne_u16_e64 s[10:11], 0, v30
	s_and_saveexec_b64 s[48:49], s[10:11]
	s_cbranch_execz .LBB262_29
; %bb.24:                               ;   in Loop: Header=BB262_14 Depth=1
	v_cmp_ne_u16_e64 s[10:11], s62, v30
	v_bfrev_b32_e32 v28, 1
	s_and_saveexec_b64 s[50:51], s[10:11]
	s_cbranch_execz .LBB262_28
; %bb.25:                               ;   in Loop: Header=BB262_14 Depth=1
	v_and_b32_e32 v12, 0xffff, v30
	v_and_b32_e32 v31, 0x7f, v12
	v_cmp_ne_u32_e64 s[10:11], s63, v31
	v_mov_b32_e32 v28, 0x7f800001
	s_and_saveexec_b64 s[52:53], s[10:11]
	s_cbranch_execz .LBB262_27
; %bb.26:                               ;   in Loop: Header=BB262_14 Depth=1
	v_and_b32_e32 v28, 7, v12
	v_ffbh_u32_e32 v32, v28
	v_min_u32_e32 v35, 32, v32
	v_subrev_u32_e32 v32, 28, v35
	v_lshlrev_b64 v[32:33], v32, v[12:13]
	v_lshrrev_b32_e32 v34, 3, v31
	v_sub_u32_e32 v12, 29, v35
	v_and_b32_e32 v32, 7, v32
	v_cmp_gt_u32_e64 s[10:11], 8, v31
	v_cndmask_b32_e64 v12, v34, v12, s[10:11]
	v_cndmask_b32_e64 v28, v28, v32, s[10:11]
	v_lshlrev_b32_e32 v30, 24, v30
	v_lshlrev_b32_e32 v28, 20, v28
	v_and_b32_e32 v30, 0x80000000, v30
	v_lshl_add_u32 v12, v12, 23, v24
	v_or3_b32 v28, v30, v12, v28
.LBB262_27:                             ;   in Loop: Header=BB262_14 Depth=1
	s_or_b64 exec, exec, s[52:53]
.LBB262_28:                             ;   in Loop: Header=BB262_14 Depth=1
	s_or_b64 exec, exec, s[50:51]
.LBB262_29:                             ;   in Loop: Header=BB262_14 Depth=1
	s_or_b64 exec, exec, s[48:49]
	global_load_ubyte v32, v[10:11], off offset:128
	v_mov_b32_e32 v30, 0
	v_mov_b32_e32 v31, 0
	s_waitcnt vmcnt(0)
	v_cmp_ne_u16_e64 s[10:11], 0, v32
	s_and_saveexec_b64 s[48:49], s[10:11]
	s_cbranch_execz .LBB262_35
; %bb.30:                               ;   in Loop: Header=BB262_14 Depth=1
	v_cmp_ne_u16_e64 s[10:11], s62, v32
	v_bfrev_b32_e32 v31, 1
	s_and_saveexec_b64 s[50:51], s[10:11]
	s_cbranch_execz .LBB262_34
; %bb.31:                               ;   in Loop: Header=BB262_14 Depth=1
	v_and_b32_e32 v12, 0xffff, v32
	v_and_b32_e32 v33, 0x7f, v12
	v_cmp_ne_u32_e64 s[10:11], s63, v33
	v_mov_b32_e32 v31, 0x7f800001
	s_and_saveexec_b64 s[52:53], s[10:11]
	s_cbranch_execz .LBB262_33
; %bb.32:                               ;   in Loop: Header=BB262_14 Depth=1
	v_and_b32_e32 v31, 7, v12
	v_ffbh_u32_e32 v34, v31
	v_min_u32_e32 v37, 32, v34
	v_subrev_u32_e32 v34, 28, v37
	v_lshlrev_b64 v[34:35], v34, v[12:13]
	v_lshrrev_b32_e32 v36, 3, v33
	v_sub_u32_e32 v12, 29, v37
	v_and_b32_e32 v34, 7, v34
	v_cmp_gt_u32_e64 s[10:11], 8, v33
	v_cndmask_b32_e64 v12, v36, v12, s[10:11]
	v_cndmask_b32_e64 v31, v31, v34, s[10:11]
	v_lshlrev_b32_e32 v32, 24, v32
	v_lshlrev_b32_e32 v31, 20, v31
	v_and_b32_e32 v32, 0x80000000, v32
	v_lshl_add_u32 v12, v12, 23, v24
	v_or3_b32 v31, v32, v12, v31
.LBB262_33:                             ;   in Loop: Header=BB262_14 Depth=1
	s_or_b64 exec, exec, s[52:53]
.LBB262_34:                             ;   in Loop: Header=BB262_14 Depth=1
	s_or_b64 exec, exec, s[50:51]
.LBB262_35:                             ;   in Loop: Header=BB262_14 Depth=1
	s_or_b64 exec, exec, s[48:49]
	global_load_ubyte v32, v[10:11], off offset:136
	s_waitcnt vmcnt(0)
	v_cmp_ne_u16_e64 s[10:11], 0, v32
	s_and_saveexec_b64 s[48:49], s[10:11]
	s_cbranch_execz .LBB262_41
; %bb.36:                               ;   in Loop: Header=BB262_14 Depth=1
	v_cmp_ne_u16_e64 s[10:11], s62, v32
	v_bfrev_b32_e32 v30, 1
	s_and_saveexec_b64 s[50:51], s[10:11]
	s_cbranch_execz .LBB262_40
; %bb.37:                               ;   in Loop: Header=BB262_14 Depth=1
	v_and_b32_e32 v12, 0xffff, v32
	v_and_b32_e32 v33, 0x7f, v12
	v_cmp_ne_u32_e64 s[10:11], s63, v33
	v_mov_b32_e32 v30, 0x7f800001
	s_and_saveexec_b64 s[52:53], s[10:11]
	s_cbranch_execz .LBB262_39
; %bb.38:                               ;   in Loop: Header=BB262_14 Depth=1
	v_and_b32_e32 v30, 7, v12
	v_ffbh_u32_e32 v34, v30
	v_min_u32_e32 v37, 32, v34
	v_subrev_u32_e32 v34, 28, v37
	v_lshlrev_b64 v[34:35], v34, v[12:13]
	v_lshrrev_b32_e32 v36, 3, v33
	v_sub_u32_e32 v12, 29, v37
	v_and_b32_e32 v34, 7, v34
	v_cmp_gt_u32_e64 s[10:11], 8, v33
	v_cndmask_b32_e64 v12, v36, v12, s[10:11]
	v_cndmask_b32_e64 v30, v30, v34, s[10:11]
	v_lshlrev_b32_e32 v32, 24, v32
	v_lshlrev_b32_e32 v30, 20, v30
	v_and_b32_e32 v32, 0x80000000, v32
	v_lshl_add_u32 v12, v12, 23, v24
	v_or3_b32 v30, v32, v12, v30
.LBB262_39:                             ;   in Loop: Header=BB262_14 Depth=1
	s_or_b64 exec, exec, s[52:53]
.LBB262_40:                             ;   in Loop: Header=BB262_14 Depth=1
	s_or_b64 exec, exec, s[50:51]
.LBB262_41:                             ;   in Loop: Header=BB262_14 Depth=1
	s_or_b64 exec, exec, s[48:49]
	global_load_ubyte v34, v[10:11], off offset:256
	v_mov_b32_e32 v32, 0
	v_mov_b32_e32 v33, 0
	s_waitcnt vmcnt(0)
	v_cmp_ne_u16_e64 s[10:11], 0, v34
	s_and_saveexec_b64 s[48:49], s[10:11]
	s_cbranch_execz .LBB262_47
; %bb.42:                               ;   in Loop: Header=BB262_14 Depth=1
	v_cmp_ne_u16_e64 s[10:11], s62, v34
	v_bfrev_b32_e32 v33, 1
	s_and_saveexec_b64 s[50:51], s[10:11]
	s_cbranch_execz .LBB262_46
; %bb.43:                               ;   in Loop: Header=BB262_14 Depth=1
	v_and_b32_e32 v12, 0xffff, v34
	v_and_b32_e32 v35, 0x7f, v12
	v_cmp_ne_u32_e64 s[10:11], s63, v35
	v_mov_b32_e32 v33, 0x7f800001
	s_and_saveexec_b64 s[52:53], s[10:11]
	s_cbranch_execz .LBB262_45
; %bb.44:                               ;   in Loop: Header=BB262_14 Depth=1
	v_and_b32_e32 v33, 7, v12
	v_ffbh_u32_e32 v36, v33
	v_min_u32_e32 v39, 32, v36
	v_subrev_u32_e32 v36, 28, v39
	v_lshlrev_b64 v[36:37], v36, v[12:13]
	v_lshrrev_b32_e32 v38, 3, v35
	v_sub_u32_e32 v12, 29, v39
	v_and_b32_e32 v36, 7, v36
	v_cmp_gt_u32_e64 s[10:11], 8, v35
	v_cndmask_b32_e64 v12, v38, v12, s[10:11]
	v_cndmask_b32_e64 v33, v33, v36, s[10:11]
	v_lshlrev_b32_e32 v34, 24, v34
	v_lshlrev_b32_e32 v33, 20, v33
	v_and_b32_e32 v34, 0x80000000, v34
	v_lshl_add_u32 v12, v12, 23, v24
	v_or3_b32 v33, v34, v12, v33
.LBB262_45:                             ;   in Loop: Header=BB262_14 Depth=1
	s_or_b64 exec, exec, s[52:53]
.LBB262_46:                             ;   in Loop: Header=BB262_14 Depth=1
	s_or_b64 exec, exec, s[50:51]
.LBB262_47:                             ;   in Loop: Header=BB262_14 Depth=1
	s_or_b64 exec, exec, s[48:49]
	global_load_ubyte v34, v[10:11], off offset:264
	s_waitcnt vmcnt(0)
	v_cmp_ne_u16_e64 s[10:11], 0, v34
	s_and_saveexec_b64 s[48:49], s[10:11]
	s_cbranch_execz .LBB262_53
; %bb.48:                               ;   in Loop: Header=BB262_14 Depth=1
	v_cmp_ne_u16_e64 s[10:11], s62, v34
	v_bfrev_b32_e32 v32, 1
	s_and_saveexec_b64 s[50:51], s[10:11]
	s_cbranch_execz .LBB262_52
; %bb.49:                               ;   in Loop: Header=BB262_14 Depth=1
	v_and_b32_e32 v12, 0xffff, v34
	v_and_b32_e32 v35, 0x7f, v12
	v_cmp_ne_u32_e64 s[10:11], s63, v35
	v_mov_b32_e32 v32, 0x7f800001
	s_and_saveexec_b64 s[52:53], s[10:11]
	s_cbranch_execz .LBB262_51
; %bb.50:                               ;   in Loop: Header=BB262_14 Depth=1
	v_and_b32_e32 v32, 7, v12
	v_ffbh_u32_e32 v36, v32
	v_min_u32_e32 v39, 32, v36
	v_subrev_u32_e32 v36, 28, v39
	v_lshlrev_b64 v[36:37], v36, v[12:13]
	v_lshrrev_b32_e32 v38, 3, v35
	v_sub_u32_e32 v12, 29, v39
	v_and_b32_e32 v36, 7, v36
	v_cmp_gt_u32_e64 s[10:11], 8, v35
	v_cndmask_b32_e64 v12, v38, v12, s[10:11]
	v_cndmask_b32_e64 v32, v32, v36, s[10:11]
	v_lshlrev_b32_e32 v34, 24, v34
	v_lshlrev_b32_e32 v32, 20, v32
	v_and_b32_e32 v34, 0x80000000, v34
	v_lshl_add_u32 v12, v12, 23, v24
	v_or3_b32 v32, v34, v12, v32
.LBB262_51:                             ;   in Loop: Header=BB262_14 Depth=1
	s_or_b64 exec, exec, s[52:53]
.LBB262_52:                             ;   in Loop: Header=BB262_14 Depth=1
	s_or_b64 exec, exec, s[50:51]
.LBB262_53:                             ;   in Loop: Header=BB262_14 Depth=1
	s_or_b64 exec, exec, s[48:49]
	global_load_ubyte v36, v[10:11], off offset:384
	v_mov_b32_e32 v34, 0
	v_mov_b32_e32 v35, 0
	s_waitcnt vmcnt(0)
	v_cmp_ne_u16_e64 s[10:11], 0, v36
	s_and_saveexec_b64 s[48:49], s[10:11]
	s_cbranch_execz .LBB262_59
; %bb.54:                               ;   in Loop: Header=BB262_14 Depth=1
	v_cmp_ne_u16_e64 s[10:11], s62, v36
	v_bfrev_b32_e32 v35, 1
	s_and_saveexec_b64 s[50:51], s[10:11]
	s_cbranch_execz .LBB262_58
; %bb.55:                               ;   in Loop: Header=BB262_14 Depth=1
	v_and_b32_e32 v12, 0xffff, v36
	v_and_b32_e32 v37, 0x7f, v12
	v_cmp_ne_u32_e64 s[10:11], s63, v37
	v_mov_b32_e32 v35, 0x7f800001
	s_and_saveexec_b64 s[52:53], s[10:11]
	s_cbranch_execz .LBB262_57
; %bb.56:                               ;   in Loop: Header=BB262_14 Depth=1
	v_and_b32_e32 v35, 7, v12
	v_ffbh_u32_e32 v38, v35
	v_min_u32_e32 v41, 32, v38
	v_subrev_u32_e32 v38, 28, v41
	v_lshlrev_b64 v[38:39], v38, v[12:13]
	v_lshrrev_b32_e32 v40, 3, v37
	v_sub_u32_e32 v12, 29, v41
	v_and_b32_e32 v38, 7, v38
	v_cmp_gt_u32_e64 s[10:11], 8, v37
	v_cndmask_b32_e64 v12, v40, v12, s[10:11]
	v_cndmask_b32_e64 v35, v35, v38, s[10:11]
	v_lshlrev_b32_e32 v36, 24, v36
	v_lshlrev_b32_e32 v35, 20, v35
	v_and_b32_e32 v36, 0x80000000, v36
	v_lshl_add_u32 v12, v12, 23, v24
	v_or3_b32 v35, v36, v12, v35
.LBB262_57:                             ;   in Loop: Header=BB262_14 Depth=1
	s_or_b64 exec, exec, s[52:53]
.LBB262_58:                             ;   in Loop: Header=BB262_14 Depth=1
	s_or_b64 exec, exec, s[50:51]
.LBB262_59:                             ;   in Loop: Header=BB262_14 Depth=1
	s_or_b64 exec, exec, s[48:49]
	global_load_ubyte v36, v[10:11], off offset:392
	s_waitcnt vmcnt(0)
	v_cmp_ne_u16_e64 s[10:11], 0, v36
	s_and_saveexec_b64 s[48:49], s[10:11]
	s_cbranch_execz .LBB262_65
; %bb.60:                               ;   in Loop: Header=BB262_14 Depth=1
	v_cmp_ne_u16_e64 s[10:11], s62, v36
	v_bfrev_b32_e32 v34, 1
	s_and_saveexec_b64 s[50:51], s[10:11]
	s_cbranch_execz .LBB262_64
; %bb.61:                               ;   in Loop: Header=BB262_14 Depth=1
	v_and_b32_e32 v12, 0xffff, v36
	v_and_b32_e32 v37, 0x7f, v12
	v_cmp_ne_u32_e64 s[10:11], s63, v37
	v_mov_b32_e32 v34, 0x7f800001
	s_and_saveexec_b64 s[52:53], s[10:11]
	s_cbranch_execz .LBB262_63
; %bb.62:                               ;   in Loop: Header=BB262_14 Depth=1
	v_and_b32_e32 v34, 7, v12
	v_ffbh_u32_e32 v38, v34
	v_min_u32_e32 v41, 32, v38
	v_subrev_u32_e32 v38, 28, v41
	v_lshlrev_b64 v[38:39], v38, v[12:13]
	v_lshrrev_b32_e32 v40, 3, v37
	v_sub_u32_e32 v12, 29, v41
	v_and_b32_e32 v38, 7, v38
	v_cmp_gt_u32_e64 s[10:11], 8, v37
	v_cndmask_b32_e64 v12, v40, v12, s[10:11]
	v_cndmask_b32_e64 v34, v34, v38, s[10:11]
	v_lshlrev_b32_e32 v36, 24, v36
	v_lshlrev_b32_e32 v34, 20, v34
	v_and_b32_e32 v36, 0x80000000, v36
	v_lshl_add_u32 v12, v12, 23, v24
	v_or3_b32 v34, v36, v12, v34
.LBB262_63:                             ;   in Loop: Header=BB262_14 Depth=1
	s_or_b64 exec, exec, s[52:53]
.LBB262_64:                             ;   in Loop: Header=BB262_14 Depth=1
	s_or_b64 exec, exec, s[50:51]
.LBB262_65:                             ;   in Loop: Header=BB262_14 Depth=1
	s_or_b64 exec, exec, s[48:49]
	global_load_ubyte v38, v[10:11], off offset:512
	v_mov_b32_e32 v36, 0
	v_mov_b32_e32 v37, 0
	s_waitcnt vmcnt(0)
	v_cmp_ne_u16_e64 s[10:11], 0, v38
	s_and_saveexec_b64 s[48:49], s[10:11]
	s_cbranch_execz .LBB262_71
; %bb.66:                               ;   in Loop: Header=BB262_14 Depth=1
	v_cmp_ne_u16_e64 s[10:11], s62, v38
	v_bfrev_b32_e32 v37, 1
	s_and_saveexec_b64 s[50:51], s[10:11]
	s_cbranch_execz .LBB262_70
; %bb.67:                               ;   in Loop: Header=BB262_14 Depth=1
	v_and_b32_e32 v12, 0xffff, v38
	v_and_b32_e32 v39, 0x7f, v12
	v_cmp_ne_u32_e64 s[10:11], s63, v39
	v_mov_b32_e32 v37, 0x7f800001
	s_and_saveexec_b64 s[52:53], s[10:11]
	s_cbranch_execz .LBB262_69
; %bb.68:                               ;   in Loop: Header=BB262_14 Depth=1
	v_and_b32_e32 v37, 7, v12
	v_ffbh_u32_e32 v40, v37
	v_min_u32_e32 v43, 32, v40
	v_subrev_u32_e32 v40, 28, v43
	v_lshlrev_b64 v[40:41], v40, v[12:13]
	v_lshrrev_b32_e32 v42, 3, v39
	v_sub_u32_e32 v12, 29, v43
	v_and_b32_e32 v40, 7, v40
	v_cmp_gt_u32_e64 s[10:11], 8, v39
	v_cndmask_b32_e64 v12, v42, v12, s[10:11]
	v_cndmask_b32_e64 v37, v37, v40, s[10:11]
	v_lshlrev_b32_e32 v38, 24, v38
	v_lshlrev_b32_e32 v37, 20, v37
	v_and_b32_e32 v38, 0x80000000, v38
	v_lshl_add_u32 v12, v12, 23, v24
	v_or3_b32 v37, v38, v12, v37
.LBB262_69:                             ;   in Loop: Header=BB262_14 Depth=1
	s_or_b64 exec, exec, s[52:53]
.LBB262_70:                             ;   in Loop: Header=BB262_14 Depth=1
	s_or_b64 exec, exec, s[50:51]
.LBB262_71:                             ;   in Loop: Header=BB262_14 Depth=1
	s_or_b64 exec, exec, s[48:49]
	global_load_ubyte v38, v[10:11], off offset:520
	s_waitcnt vmcnt(0)
	v_cmp_ne_u16_e64 s[10:11], 0, v38
	s_and_saveexec_b64 s[48:49], s[10:11]
	s_cbranch_execz .LBB262_77
; %bb.72:                               ;   in Loop: Header=BB262_14 Depth=1
	v_cmp_ne_u16_e64 s[10:11], s62, v38
	v_bfrev_b32_e32 v36, 1
	s_and_saveexec_b64 s[50:51], s[10:11]
	s_cbranch_execz .LBB262_76
; %bb.73:                               ;   in Loop: Header=BB262_14 Depth=1
	v_and_b32_e32 v12, 0xffff, v38
	v_and_b32_e32 v39, 0x7f, v12
	v_cmp_ne_u32_e64 s[10:11], s63, v39
	v_mov_b32_e32 v36, 0x7f800001
	s_and_saveexec_b64 s[52:53], s[10:11]
	s_cbranch_execz .LBB262_75
; %bb.74:                               ;   in Loop: Header=BB262_14 Depth=1
	v_and_b32_e32 v36, 7, v12
	v_ffbh_u32_e32 v40, v36
	v_min_u32_e32 v43, 32, v40
	v_subrev_u32_e32 v40, 28, v43
	v_lshlrev_b64 v[40:41], v40, v[12:13]
	v_lshrrev_b32_e32 v42, 3, v39
	v_sub_u32_e32 v12, 29, v43
	v_and_b32_e32 v40, 7, v40
	v_cmp_gt_u32_e64 s[10:11], 8, v39
	v_cndmask_b32_e64 v12, v42, v12, s[10:11]
	v_cndmask_b32_e64 v36, v36, v40, s[10:11]
	v_lshlrev_b32_e32 v38, 24, v38
	v_lshlrev_b32_e32 v36, 20, v36
	v_and_b32_e32 v38, 0x80000000, v38
	v_lshl_add_u32 v12, v12, 23, v24
	v_or3_b32 v36, v38, v12, v36
.LBB262_75:                             ;   in Loop: Header=BB262_14 Depth=1
	s_or_b64 exec, exec, s[52:53]
.LBB262_76:                             ;   in Loop: Header=BB262_14 Depth=1
	s_or_b64 exec, exec, s[50:51]
.LBB262_77:                             ;   in Loop: Header=BB262_14 Depth=1
	s_or_b64 exec, exec, s[48:49]
	global_load_ubyte v40, v[10:11], off offset:640
	v_mov_b32_e32 v38, 0
	v_mov_b32_e32 v39, 0
	s_waitcnt vmcnt(0)
	v_cmp_ne_u16_e64 s[10:11], 0, v40
	s_and_saveexec_b64 s[48:49], s[10:11]
	s_cbranch_execz .LBB262_83
; %bb.78:                               ;   in Loop: Header=BB262_14 Depth=1
	v_cmp_ne_u16_e64 s[10:11], s62, v40
	v_bfrev_b32_e32 v39, 1
	s_and_saveexec_b64 s[50:51], s[10:11]
	s_cbranch_execz .LBB262_82
; %bb.79:                               ;   in Loop: Header=BB262_14 Depth=1
	v_and_b32_e32 v12, 0xffff, v40
	v_and_b32_e32 v41, 0x7f, v12
	v_cmp_ne_u32_e64 s[10:11], s63, v41
	v_mov_b32_e32 v39, 0x7f800001
	s_and_saveexec_b64 s[52:53], s[10:11]
	s_cbranch_execz .LBB262_81
; %bb.80:                               ;   in Loop: Header=BB262_14 Depth=1
	v_and_b32_e32 v39, 7, v12
	v_ffbh_u32_e32 v42, v39
	v_min_u32_e32 v45, 32, v42
	v_subrev_u32_e32 v42, 28, v45
	v_lshlrev_b64 v[42:43], v42, v[12:13]
	v_lshrrev_b32_e32 v44, 3, v41
	v_sub_u32_e32 v12, 29, v45
	v_and_b32_e32 v42, 7, v42
	v_cmp_gt_u32_e64 s[10:11], 8, v41
	v_cndmask_b32_e64 v12, v44, v12, s[10:11]
	v_cndmask_b32_e64 v39, v39, v42, s[10:11]
	v_lshlrev_b32_e32 v40, 24, v40
	v_lshlrev_b32_e32 v39, 20, v39
	v_and_b32_e32 v40, 0x80000000, v40
	v_lshl_add_u32 v12, v12, 23, v24
	v_or3_b32 v39, v40, v12, v39
.LBB262_81:                             ;   in Loop: Header=BB262_14 Depth=1
	s_or_b64 exec, exec, s[52:53]
.LBB262_82:                             ;   in Loop: Header=BB262_14 Depth=1
	s_or_b64 exec, exec, s[50:51]
.LBB262_83:                             ;   in Loop: Header=BB262_14 Depth=1
	s_or_b64 exec, exec, s[48:49]
	global_load_ubyte v40, v[10:11], off offset:648
	s_waitcnt vmcnt(0)
	v_cmp_ne_u16_e64 s[10:11], 0, v40
	s_and_saveexec_b64 s[48:49], s[10:11]
	s_cbranch_execz .LBB262_89
; %bb.84:                               ;   in Loop: Header=BB262_14 Depth=1
	v_cmp_ne_u16_e64 s[10:11], s62, v40
	v_bfrev_b32_e32 v38, 1
	s_and_saveexec_b64 s[50:51], s[10:11]
	s_cbranch_execz .LBB262_88
; %bb.85:                               ;   in Loop: Header=BB262_14 Depth=1
	v_and_b32_e32 v12, 0xffff, v40
	v_and_b32_e32 v41, 0x7f, v12
	v_cmp_ne_u32_e64 s[10:11], s63, v41
	v_mov_b32_e32 v38, 0x7f800001
	s_and_saveexec_b64 s[52:53], s[10:11]
	s_cbranch_execz .LBB262_87
; %bb.86:                               ;   in Loop: Header=BB262_14 Depth=1
	v_and_b32_e32 v38, 7, v12
	v_ffbh_u32_e32 v42, v38
	v_min_u32_e32 v45, 32, v42
	v_subrev_u32_e32 v42, 28, v45
	v_lshlrev_b64 v[42:43], v42, v[12:13]
	v_lshrrev_b32_e32 v44, 3, v41
	v_sub_u32_e32 v12, 29, v45
	v_and_b32_e32 v42, 7, v42
	v_cmp_gt_u32_e64 s[10:11], 8, v41
	v_cndmask_b32_e64 v12, v44, v12, s[10:11]
	v_cndmask_b32_e64 v38, v38, v42, s[10:11]
	v_lshlrev_b32_e32 v40, 24, v40
	v_lshlrev_b32_e32 v38, 20, v38
	v_and_b32_e32 v40, 0x80000000, v40
	v_lshl_add_u32 v12, v12, 23, v24
	v_or3_b32 v38, v40, v12, v38
.LBB262_87:                             ;   in Loop: Header=BB262_14 Depth=1
	s_or_b64 exec, exec, s[52:53]
.LBB262_88:                             ;   in Loop: Header=BB262_14 Depth=1
	s_or_b64 exec, exec, s[50:51]
.LBB262_89:                             ;   in Loop: Header=BB262_14 Depth=1
	s_or_b64 exec, exec, s[48:49]
	global_load_ubyte v42, v[10:11], off offset:768
	v_mov_b32_e32 v40, 0
	v_mov_b32_e32 v41, 0
	s_waitcnt vmcnt(0)
	v_cmp_ne_u16_e64 s[10:11], 0, v42
	s_and_saveexec_b64 s[48:49], s[10:11]
	s_cbranch_execz .LBB262_95
; %bb.90:                               ;   in Loop: Header=BB262_14 Depth=1
	v_cmp_ne_u16_e64 s[10:11], s62, v42
	v_bfrev_b32_e32 v41, 1
	s_and_saveexec_b64 s[50:51], s[10:11]
	s_cbranch_execz .LBB262_94
; %bb.91:                               ;   in Loop: Header=BB262_14 Depth=1
	v_and_b32_e32 v12, 0xffff, v42
	v_and_b32_e32 v43, 0x7f, v12
	v_cmp_ne_u32_e64 s[10:11], s63, v43
	v_mov_b32_e32 v41, 0x7f800001
	s_and_saveexec_b64 s[52:53], s[10:11]
	s_cbranch_execz .LBB262_93
; %bb.92:                               ;   in Loop: Header=BB262_14 Depth=1
	v_and_b32_e32 v41, 7, v12
	v_ffbh_u32_e32 v44, v41
	v_min_u32_e32 v47, 32, v44
	v_subrev_u32_e32 v44, 28, v47
	v_lshlrev_b64 v[44:45], v44, v[12:13]
	v_lshrrev_b32_e32 v46, 3, v43
	v_sub_u32_e32 v12, 29, v47
	v_and_b32_e32 v44, 7, v44
	v_cmp_gt_u32_e64 s[10:11], 8, v43
	v_cndmask_b32_e64 v12, v46, v12, s[10:11]
	v_cndmask_b32_e64 v41, v41, v44, s[10:11]
	v_lshlrev_b32_e32 v42, 24, v42
	v_lshlrev_b32_e32 v41, 20, v41
	v_and_b32_e32 v42, 0x80000000, v42
	v_lshl_add_u32 v12, v12, 23, v24
	v_or3_b32 v41, v42, v12, v41
.LBB262_93:                             ;   in Loop: Header=BB262_14 Depth=1
	s_or_b64 exec, exec, s[52:53]
.LBB262_94:                             ;   in Loop: Header=BB262_14 Depth=1
	s_or_b64 exec, exec, s[50:51]
.LBB262_95:                             ;   in Loop: Header=BB262_14 Depth=1
	s_or_b64 exec, exec, s[48:49]
	global_load_ubyte v42, v[10:11], off offset:776
	s_waitcnt vmcnt(0)
	v_cmp_ne_u16_e64 s[10:11], 0, v42
	s_and_saveexec_b64 s[48:49], s[10:11]
	s_cbranch_execz .LBB262_101
; %bb.96:                               ;   in Loop: Header=BB262_14 Depth=1
	v_cmp_ne_u16_e64 s[10:11], s62, v42
	v_bfrev_b32_e32 v40, 1
	s_and_saveexec_b64 s[50:51], s[10:11]
	s_cbranch_execz .LBB262_100
; %bb.97:                               ;   in Loop: Header=BB262_14 Depth=1
	v_and_b32_e32 v12, 0xffff, v42
	v_and_b32_e32 v43, 0x7f, v12
	v_cmp_ne_u32_e64 s[10:11], s63, v43
	v_mov_b32_e32 v40, 0x7f800001
	s_and_saveexec_b64 s[52:53], s[10:11]
	s_cbranch_execz .LBB262_99
; %bb.98:                               ;   in Loop: Header=BB262_14 Depth=1
	v_and_b32_e32 v40, 7, v12
	v_ffbh_u32_e32 v44, v40
	v_min_u32_e32 v47, 32, v44
	v_subrev_u32_e32 v44, 28, v47
	v_lshlrev_b64 v[44:45], v44, v[12:13]
	v_lshrrev_b32_e32 v46, 3, v43
	v_sub_u32_e32 v12, 29, v47
	v_and_b32_e32 v44, 7, v44
	v_cmp_gt_u32_e64 s[10:11], 8, v43
	v_cndmask_b32_e64 v12, v46, v12, s[10:11]
	v_cndmask_b32_e64 v40, v40, v44, s[10:11]
	v_lshlrev_b32_e32 v42, 24, v42
	v_lshlrev_b32_e32 v40, 20, v40
	v_and_b32_e32 v42, 0x80000000, v42
	v_lshl_add_u32 v12, v12, 23, v24
	v_or3_b32 v40, v42, v12, v40
.LBB262_99:                             ;   in Loop: Header=BB262_14 Depth=1
	s_or_b64 exec, exec, s[52:53]
.LBB262_100:                            ;   in Loop: Header=BB262_14 Depth=1
	s_or_b64 exec, exec, s[50:51]
.LBB262_101:                            ;   in Loop: Header=BB262_14 Depth=1
	s_or_b64 exec, exec, s[48:49]
	global_load_ubyte v12, v[10:11], off offset:896
	v_mov_b32_e32 v11, 0
	s_waitcnt vmcnt(0)
	v_cmp_ne_u16_e64 s[10:11], 0, v12
	s_and_saveexec_b64 s[48:49], s[10:11]
	s_cbranch_execz .LBB262_107
; %bb.102:                              ;   in Loop: Header=BB262_14 Depth=1
	v_cmp_ne_u16_e64 s[10:11], s62, v12
	v_bfrev_b32_e32 v11, 1
	s_and_saveexec_b64 s[50:51], s[10:11]
	s_cbranch_execz .LBB262_106
; %bb.103:                              ;   in Loop: Header=BB262_14 Depth=1
	v_and_b32_e32 v10, 0xffff, v12
	v_and_b32_e32 v42, 0x7f, v10
	v_cmp_ne_u32_e64 s[10:11], s63, v42
	v_mov_b32_e32 v11, 0x7f800001
	s_and_saveexec_b64 s[52:53], s[10:11]
	s_cbranch_execz .LBB262_105
; %bb.104:                              ;   in Loop: Header=BB262_14 Depth=1
	v_and_b32_e32 v43, 7, v10
	v_ffbh_u32_e32 v11, v43
	v_min_u32_e32 v45, 32, v11
	v_subrev_u32_e32 v11, 28, v45
	v_lshlrev_b64 v[10:11], v11, v[10:11]
	v_lshrrev_b32_e32 v44, 3, v42
	v_sub_u32_e32 v11, 29, v45
	v_and_b32_e32 v10, 7, v10
	v_cmp_gt_u32_e64 s[10:11], 8, v42
	v_cndmask_b32_e64 v11, v44, v11, s[10:11]
	v_cndmask_b32_e64 v10, v43, v10, s[10:11]
	v_lshlrev_b32_e32 v12, 24, v12
	v_lshlrev_b32_e32 v10, 20, v10
	v_and_b32_e32 v12, 0x80000000, v12
	v_lshl_add_u32 v11, v11, 23, v24
	v_or3_b32 v11, v12, v11, v10
.LBB262_105:                            ;   in Loop: Header=BB262_14 Depth=1
	s_or_b64 exec, exec, s[52:53]
.LBB262_106:                            ;   in Loop: Header=BB262_14 Depth=1
	s_or_b64 exec, exec, s[50:51]
.LBB262_107:                            ;   in Loop: Header=BB262_14 Depth=1
	s_or_b64 exec, exec, s[48:49]
	v_fma_mixlo_f16 v12, v27, v29, 0
	ds_read_u16 v10, v16
	v_and_b32_e32 v12, 0xffff, v12
	v_fma_mixlo_f16 v28, v27, v28, 0
	s_waitcnt lgkmcnt(0)
	;;#ASMSTART
	v_cvt_f32_f16 v10, v10;
	;;#ASMEND
	;;#ASMSTART
	v_cvt_f32_f16 v12, v12;
	;;#ASMEND
	ds_read_u16 v29, v16 offset:2
	v_and_b32_e32 v28, 0xffff, v28
	s_waitcnt lgkmcnt(0)
	;;#ASMSTART
	v_cvt_f32_f16 v29, v29;
	;;#ASMEND
	;;#ASMSTART
	v_cvt_f32_f16 v28, v28;
	;;#ASMEND
	v_fma_mixlo_f16 v31, v27, v31, 0
	v_fma_mixlo_f16 v30, v27, v30, 0
	;; [unrolled: 1-line block ×13, first 2 shown]
	v_mul_f32_e32 v27, v29, v28
	ds_read_u16 v42, v16 offset:4
	v_and_b32_e32 v31, 0xffff, v31
	v_fmac_f32_e32 v27, v10, v12
	s_waitcnt lgkmcnt(0)
	;;#ASMSTART
	v_cvt_f32_f16 v42, v42;
	;;#ASMEND
	;;#ASMSTART
	v_cvt_f32_f16 v31, v31;
	;;#ASMEND
	ds_read_u16 v43, v16 offset:6
	v_and_b32_e32 v30, 0xffff, v30
	v_fmac_f32_e32 v27, v42, v31
	s_waitcnt lgkmcnt(0)
	;;#ASMSTART
	v_cvt_f32_f16 v43, v43;
	;;#ASMEND
	;;#ASMSTART
	v_cvt_f32_f16 v30, v30;
	;;#ASMEND
	ds_read_u16 v44, v16 offset:8
	v_and_b32_e32 v33, 0xffff, v33
	v_fmac_f32_e32 v27, v43, v30
	s_waitcnt lgkmcnt(0)
	;;#ASMSTART
	v_cvt_f32_f16 v44, v44;
	;;#ASMEND
	;;#ASMSTART
	v_cvt_f32_f16 v33, v33;
	;;#ASMEND
	ds_read_u16 v45, v16 offset:10
	v_and_b32_e32 v32, 0xffff, v32
	v_fmac_f32_e32 v27, v44, v33
	s_waitcnt lgkmcnt(0)
	;;#ASMSTART
	v_cvt_f32_f16 v45, v45;
	;;#ASMEND
	;;#ASMSTART
	v_cvt_f32_f16 v32, v32;
	;;#ASMEND
	ds_read_u16 v46, v16 offset:12
	v_and_b32_e32 v35, 0xffff, v35
	v_fmac_f32_e32 v27, v45, v32
	s_waitcnt lgkmcnt(0)
	;;#ASMSTART
	v_cvt_f32_f16 v46, v46;
	;;#ASMEND
	;;#ASMSTART
	v_cvt_f32_f16 v35, v35;
	;;#ASMEND
	ds_read_u16 v47, v16 offset:14
	v_and_b32_e32 v34, 0xffff, v34
	v_fmac_f32_e32 v27, v46, v35
	s_waitcnt lgkmcnt(0)
	;;#ASMSTART
	v_cvt_f32_f16 v47, v47;
	;;#ASMEND
	;;#ASMSTART
	v_cvt_f32_f16 v34, v34;
	;;#ASMEND
	ds_read_u16 v48, v16 offset:16
	v_and_b32_e32 v37, 0xffff, v37
	v_fmac_f32_e32 v27, v47, v34
	s_waitcnt lgkmcnt(0)
	;;#ASMSTART
	v_cvt_f32_f16 v48, v48;
	;;#ASMEND
	;;#ASMSTART
	v_cvt_f32_f16 v37, v37;
	;;#ASMEND
	ds_read_u16 v49, v16 offset:18
	v_and_b32_e32 v36, 0xffff, v36
	v_fmac_f32_e32 v27, v48, v37
	s_waitcnt lgkmcnt(0)
	;;#ASMSTART
	v_cvt_f32_f16 v49, v49;
	;;#ASMEND
	;;#ASMSTART
	v_cvt_f32_f16 v36, v36;
	;;#ASMEND
	ds_read_u16 v50, v16 offset:20
	v_and_b32_e32 v39, 0xffff, v39
	v_fmac_f32_e32 v27, v49, v36
	s_waitcnt lgkmcnt(0)
	;;#ASMSTART
	v_cvt_f32_f16 v50, v50;
	;;#ASMEND
	;;#ASMSTART
	v_cvt_f32_f16 v39, v39;
	;;#ASMEND
	v_and_b32_e32 v12, 0xffff, v38
	v_fmac_f32_e32 v27, v50, v39
	ds_read_u16 v51, v16 offset:22
	s_waitcnt lgkmcnt(0)
	;;#ASMSTART
	v_cvt_f32_f16 v10, v51;
	;;#ASMEND
	;;#ASMSTART
	v_cvt_f32_f16 v12, v12;
	;;#ASMEND
	ds_read_u16 v28, v16 offset:24
	v_and_b32_e32 v29, 0xffff, v41
	v_fmac_f32_e32 v27, v10, v12
	s_waitcnt lgkmcnt(0)
	;;#ASMSTART
	v_cvt_f32_f16 v28, v28;
	;;#ASMEND
	;;#ASMSTART
	v_cvt_f32_f16 v29, v29;
	;;#ASMEND
	ds_read_u16 v30, v16 offset:26
	v_and_b32_e32 v31, 0xffff, v40
	v_fmac_f32_e32 v27, v28, v29
	s_waitcnt lgkmcnt(0)
	;;#ASMSTART
	v_cvt_f32_f16 v30, v30;
	;;#ASMEND
	;;#ASMSTART
	v_cvt_f32_f16 v31, v31;
	;;#ASMEND
	ds_read_u16 v32, v16 offset:28
	v_fmac_f32_e32 v27, v30, v31
	s_waitcnt lgkmcnt(0)
	;;#ASMSTART
	v_cvt_f32_f16 v10, v32;
	;;#ASMEND
	v_and_b32_e32 v11, 0xffff, v11
	;;#ASMSTART
	v_cvt_f32_f16 v11, v11;
	;;#ASMEND
	v_fmac_f32_e32 v27, v10, v11
	v_and_b32_e32 v10, 64, v25
	v_add_u32_e32 v11, 64, v10
	v_xor_b32_e32 v10, 4, v25
	v_cmp_lt_i32_e64 s[10:11], v10, v11
	v_cndmask_b32_e64 v10, v25, v10, s[10:11]
	v_lshlrev_b32_e32 v10, 2, v10
	ds_bpermute_b32 v10, v10, v27
	v_xor_b32_e32 v12, 2, v25
	v_cmp_lt_i32_e64 s[10:11], v12, v11
	v_cndmask_b32_e64 v12, v25, v12, s[10:11]
	v_lshlrev_b32_e32 v12, 2, v12
	s_waitcnt lgkmcnt(0)
	v_add_f32_e32 v10, v27, v10
	ds_bpermute_b32 v12, v12, v10
	s_waitcnt lgkmcnt(0)
	v_add_f32_e32 v10, v10, v12
	v_xor_b32_e32 v12, 1, v25
	v_cmp_lt_i32_e64 s[10:11], v12, v11
	v_cndmask_b32_e64 v11, v25, v12, s[10:11]
	v_lshlrev_b32_e32 v11, 2, v11
	ds_bpermute_b32 v11, v11, v10
	s_and_saveexec_b64 s[48:49], vcc
	s_cbranch_execz .LBB262_12
; %bb.108:                              ;   in Loop: Header=BB262_14 Depth=1
	v_add_u32_e32 v12, v21, v19
	v_cvt_f32_i32_e32 v12, v12
	s_waitcnt lgkmcnt(0)
	v_add_f32_e32 v10, v10, v11
	v_add_u32_e32 v27, v14, v19
	v_cmp_gt_i32_e64 s[10:11], s33, v27
	v_mul_f32_e32 v11, s7, v12
	v_cndmask_b32_e64 v11, 0, v11, s[4:5]
	v_fmac_f32_e32 v11, s45, v10
	v_cndmask_b32_e64 v10, 0, v11, s[10:11]
	ds_write_b32 v20, v10
	v_max_f32_e32 v10, v17, v17
	v_max_f32_e32 v10, v10, v11
	v_cndmask_b32_e64 v17, v17, v10, s[10:11]
	s_branch .LBB262_12
.LBB262_109:
	s_or_b64 exec, exec, s[46:47]
.LBB262_110:
	s_or_b64 exec, exec, s[22:23]
	v_mbcnt_hi_u32_b32 v4, -1, v5
	v_and_b32_e32 v5, 64, v4
	v_add_u32_e32 v5, 64, v5
	v_xor_b32_e32 v6, 32, v4
	v_cmp_lt_i32_e32 vcc, v6, v5
	v_cndmask_b32_e32 v6, v4, v6, vcc
	v_lshlrev_b32_e32 v8, 2, v6
	ds_bpermute_b32 v6, v8, v17
	v_xor_b32_e32 v9, 16, v4
	v_max_f32_e32 v7, v17, v17
	v_cmp_lt_i32_e32 vcc, v9, v5
	s_waitcnt lgkmcnt(0)
	v_max_f32_e32 v6, v6, v6
	v_max_f32_e32 v6, v7, v6
	v_cndmask_b32_e32 v7, v4, v9, vcc
	v_lshlrev_b32_e32 v11, 2, v7
	ds_bpermute_b32 v7, v11, v6
	v_xor_b32_e32 v9, 8, v4
	v_cmp_lt_i32_e32 vcc, v9, v5
	s_waitcnt lgkmcnt(0)
	v_max_f32_e32 v7, v7, v7
	v_max_f32_e32 v6, v6, v7
	v_cndmask_b32_e32 v7, v4, v9, vcc
	v_lshlrev_b32_e32 v12, 2, v7
	ds_bpermute_b32 v10, v12, v6
	v_and_b32_e32 v9, 63, v0
	v_cmp_eq_u32_e32 vcc, 0, v9
	v_lshlrev_b32_e32 v7, 2, v13
	s_and_saveexec_b64 s[4:5], vcc
	s_cbranch_execz .LBB262_112
; %bb.111:
	s_waitcnt lgkmcnt(0)
	v_max_f32_e32 v10, v10, v10
	v_max_f32_e32 v6, v6, v6
	;; [unrolled: 1-line block ×3, first 2 shown]
	ds_write_b32 v7, v6 offset:240
.LBB262_112:
	s_or_b64 exec, exec, s[4:5]
	v_cmp_gt_u32_e64 s[4:5], 2, v9
	v_mov_b32_e32 v6, 0xff7fffff
	s_waitcnt lgkmcnt(0)
	v_lshlrev_b32_e32 v10, 2, v9
	s_barrier
	s_and_saveexec_b64 s[10:11], s[4:5]
	s_cbranch_execz .LBB262_114
; %bb.113:
	ds_read_b32 v6, v10 offset:240
.LBB262_114:
	s_or_b64 exec, exec, s[10:11]
	v_xor_b32_e32 v14, 1, v4
	v_cmp_lt_i32_e64 s[10:11], v14, v5
	v_cndmask_b32_e64 v14, v4, v14, s[10:11]
	v_lshlrev_b32_e32 v14, 2, v14
	s_waitcnt lgkmcnt(0)
	ds_bpermute_b32 v15, v14, v6
	v_max_f32_e32 v6, v6, v6
	s_sub_i32 s7, s56, s58
	s_lshl_b32 s7, s7, 3
	s_add_i32 s7, s7, s57
	s_waitcnt lgkmcnt(0)
	v_max_f32_e32 v15, v15, v15
	v_max_f32_e32 v6, v6, v15
	v_lshlrev_b32_e32 v15, 2, v4
	v_and_b32_e32 v15, 0x100, v15
	ds_bpermute_b32 v6, v15, v6
	s_min_i32 s45, s7, s33
	s_sub_i32 s7, s45, s57
	v_cmp_gt_i32_e64 s[10:11], s7, v0
	v_mov_b32_e32 v16, 0
	s_and_saveexec_b64 s[16:17], s[10:11]
	s_cbranch_execz .LBB262_118
; %bb.115:
	v_mov_b32_e32 v16, 0x100
	v_lshl_add_u32 v17, v0, 2, v16
	s_mov_b64 s[22:23], 0
	v_mov_b32_e32 v16, 0
	v_mov_b32_e32 v18, v0
.LBB262_116:                            ; =>This Inner Loop Header: Depth=1
	ds_read_b32 v19, v17
	v_add_u32_e32 v18, 0x80, v18
	v_cmp_le_i32_e64 s[12:13], s7, v18
	s_or_b64 s[22:23], s[12:13], s[22:23]
	s_waitcnt lgkmcnt(0)
	v_sub_f32_e32 v19, v19, v6
	v_mul_f32_e32 v19, 0x3fb8aa3b, v19
	v_exp_f32_e32 v19, v19
	ds_write_b32 v17, v19
	v_add_f32_e32 v16, v16, v19
	v_add_u32_e32 v17, 0x200, v17
	s_andn2_b64 exec, exec, s[22:23]
	s_cbranch_execnz .LBB262_116
; %bb.117:
	s_or_b64 exec, exec, s[22:23]
.LBB262_118:
	s_or_b64 exec, exec, s[16:17]
	ds_bpermute_b32 v8, v8, v16
	s_waitcnt lgkmcnt(0)
	v_add_f32_e32 v8, v16, v8
	ds_bpermute_b32 v11, v11, v8
	s_waitcnt lgkmcnt(0)
	v_add_f32_e32 v8, v8, v11
	ds_bpermute_b32 v11, v12, v8
	v_xor_b32_e32 v12, 4, v4
	v_cmp_lt_i32_e64 s[12:13], v12, v5
	v_cndmask_b32_e64 v12, v4, v12, s[12:13]
	v_lshlrev_b32_e32 v12, 2, v12
	s_waitcnt lgkmcnt(0)
	v_add_f32_e32 v8, v8, v11
	ds_bpermute_b32 v11, v12, v8
	v_xor_b32_e32 v12, 2, v4
	v_cmp_lt_i32_e64 s[12:13], v12, v5
	v_cndmask_b32_e64 v4, v4, v12, s[12:13]
	v_lshlrev_b32_e32 v4, 2, v4
	s_waitcnt lgkmcnt(0)
	v_add_f32_e32 v5, v8, v11
	ds_bpermute_b32 v4, v4, v5
	s_waitcnt lgkmcnt(0)
	v_add_f32_e32 v4, v5, v4
	ds_bpermute_b32 v5, v14, v4
	s_waitcnt lgkmcnt(0)
	v_add_f32_e32 v4, v4, v5
	s_and_saveexec_b64 s[12:13], vcc
	s_cbranch_execz .LBB262_120
; %bb.119:
	ds_write_b32 v7, v4 offset:248
.LBB262_120:
	s_or_b64 exec, exec, s[12:13]
	s_waitcnt lgkmcnt(0)
	s_barrier
	s_and_saveexec_b64 s[12:13], s[4:5]
	s_cbranch_execz .LBB262_122
; %bb.121:
	ds_read_b32 v4, v10 offset:248
.LBB262_122:
	s_or_b64 exec, exec, s[12:13]
	s_waitcnt lgkmcnt(0)
	ds_bpermute_b32 v5, v14, v4
	s_waitcnt lgkmcnt(0)
	v_add_f32_e32 v4, v4, v5
	ds_bpermute_b32 v7, v15, v4
	s_and_saveexec_b64 s[4:5], s[10:11]
	s_cbranch_execz .LBB262_135
; %bb.123:
	s_waitcnt lgkmcnt(0)
	v_add_f32_e32 v4, 0x358637bd, v7
	v_div_scale_f32 v5, s[10:11], v4, v4, 1.0
	v_rcp_f32_e32 v8, v5
	v_div_scale_f32 v10, vcc, 1.0, v4, 1.0
	s_movk_i32 s10, 0x7f
	v_fma_f32 v11, -v5, v8, 1.0
	v_fmac_f32_e32 v8, v11, v8
	v_mul_f32_e32 v11, v10, v8
	v_fma_f32 v12, -v5, v11, v10
	v_fmac_f32_e32 v11, v12, v8
	v_fma_f32 v5, -v5, v11, v10
	v_div_fmas_f32 v5, v5, v8, v11
	v_div_fixup_f32 v4, v5, v4, 1.0
	v_xad_u32 v5, v0, -1, s45
	v_subrev_u32_e32 v8, s57, v5
	v_cmp_lt_u32_e32 vcc, s10, v8
	s_mov_b64 s[12:13], -1
	v_mov_b32_e32 v5, v0
	s_and_saveexec_b64 s[10:11], vcc
	s_cbranch_execz .LBB262_132
; %bb.124:
	v_lshrrev_b32_e32 v8, 7, v8
	v_add_u32_e32 v11, -1, v8
	v_lshrrev_b32_e32 v10, 1, v11
	v_mov_b32_e32 v5, v4
	v_add_u32_e32 v10, 1, v10
	v_cmp_lt_u32_e32 vcc, 13, v11
	v_mov_b32_e32 v14, 0
	s_and_saveexec_b64 s[12:13], vcc
	s_cbranch_execz .LBB262_128
; %bb.125:
	v_mov_b32_e32 v12, 0x100
	v_and_b32_e32 v11, -8, v10
	v_lshl_add_u32 v12, v0, 2, v12
	s_mov_b32 s22, 0
	s_mov_b64 s[16:17], 0
.LBB262_126:                            ; =>This Inner Loop Header: Depth=1
	ds_read2st64_b32 v[14:15], v12 offset1:2
	ds_read2st64_b32 v[16:17], v12 offset0:4 offset1:6
	ds_read2st64_b32 v[18:19], v12 offset0:8 offset1:10
	;; [unrolled: 1-line block ×3, first 2 shown]
	v_add_u32_e32 v11, -8, v11
	s_waitcnt lgkmcnt(3)
	v_pk_mul_f32 v[14:15], v[4:5], v[14:15]
	s_waitcnt lgkmcnt(2)
	v_pk_mul_f32 v[16:17], v[4:5], v[16:17]
	ds_write2st64_b32 v12, v14, v15 offset1:2
	ds_write2st64_b32 v12, v16, v17 offset0:4 offset1:6
	ds_read2st64_b32 v[16:17], v12 offset0:16 offset1:18
	s_waitcnt lgkmcnt(4)
	v_pk_mul_f32 v[14:15], v[4:5], v[18:19]
	ds_write2st64_b32 v12, v14, v15 offset0:8 offset1:10
	s_waitcnt lgkmcnt(4)
	v_pk_mul_f32 v[14:15], v[4:5], v[20:21]
	ds_write2st64_b32 v12, v14, v15 offset0:12 offset1:14
	ds_read2st64_b32 v[14:15], v12 offset0:20 offset1:22
	s_waitcnt lgkmcnt(3)
	v_pk_mul_f32 v[16:17], v[4:5], v[16:17]
	ds_read2st64_b32 v[18:19], v12 offset0:24 offset1:26
	ds_write2st64_b32 v12, v16, v17 offset0:16 offset1:18
	ds_read2st64_b32 v[16:17], v12 offset0:28 offset1:30
	s_waitcnt lgkmcnt(3)
	v_pk_mul_f32 v[14:15], v[4:5], v[14:15]
	ds_write2st64_b32 v12, v14, v15 offset0:20 offset1:22
	s_waitcnt lgkmcnt(3)
	v_pk_mul_f32 v[14:15], v[4:5], v[18:19]
	ds_write2st64_b32 v12, v14, v15 offset0:24 offset1:26
	s_waitcnt lgkmcnt(2)
	v_pk_mul_f32 v[14:15], v[4:5], v[16:17]
	s_add_i32 s22, s22, 16
	v_cmp_eq_u32_e32 vcc, 0, v11
	ds_write2st64_b32 v12, v14, v15 offset0:28 offset1:30
	v_add_u32_e32 v12, 0x2000, v12
	s_or_b64 s[16:17], vcc, s[16:17]
	v_mov_b32_e32 v14, s22
	s_andn2_b64 exec, exec, s[16:17]
	s_cbranch_execnz .LBB262_126
; %bb.127:
	s_or_b64 exec, exec, s[16:17]
.LBB262_128:
	s_or_b64 exec, exec, s[12:13]
	v_and_b32_e32 v10, 7, v10
	v_cmp_ne_u32_e32 vcc, 0, v10
	s_and_saveexec_b64 s[12:13], vcc
	s_cbranch_execz .LBB262_131
; %bb.129:
	v_lshlrev_b32_e32 v11, 9, v14
	v_lshlrev_b32_e32 v12, 2, v0
	s_movk_i32 s16, 0x100
	v_add3_u32 v11, v11, v12, s16
	s_mov_b64 s[16:17], 0
.LBB262_130:                            ; =>This Inner Loop Header: Depth=1
	ds_read2st64_b32 v[14:15], v11 offset1:2
	v_add_u32_e32 v10, -1, v10
	v_cmp_eq_u32_e32 vcc, 0, v10
	s_or_b64 s[16:17], vcc, s[16:17]
	s_waitcnt lgkmcnt(0)
	v_pk_mul_f32 v[14:15], v[4:5], v[14:15]
	ds_write2st64_b32 v11, v14, v15 offset1:2
	v_add_u32_e32 v11, 0x400, v11
	s_andn2_b64 exec, exec, s[16:17]
	s_cbranch_execnz .LBB262_130
.LBB262_131:
	s_or_b64 exec, exec, s[12:13]
	v_add_u32_e32 v8, 1, v8
	v_and_b32_e32 v10, 0x3fffffe, v8
	v_cmp_ne_u32_e32 vcc, v8, v10
	v_lshl_add_u32 v5, v10, 7, v0
	s_orn2_b64 s[12:13], vcc, exec
.LBB262_132:
	s_or_b64 exec, exec, s[10:11]
	s_and_b64 exec, exec, s[12:13]
	s_cbranch_execz .LBB262_135
; %bb.133:
	v_mov_b32_e32 v8, 0x100
	v_lshl_add_u32 v8, v5, 2, v8
	s_mov_b64 s[10:11], 0
.LBB262_134:                            ; =>This Inner Loop Header: Depth=1
	ds_read_b32 v10, v8
	v_add_u32_e32 v5, 0x80, v5
	v_cmp_le_i32_e32 vcc, s7, v5
	s_or_b64 s[10:11], vcc, s[10:11]
	s_waitcnt lgkmcnt(0)
	v_mul_f32_e32 v10, v4, v10
	ds_write_b32 v8, v10
	v_add_u32_e32 v8, 0x200, v8
	s_andn2_b64 exec, exec, s[10:11]
	s_cbranch_execnz .LBB262_134
.LBB262_135:
	s_or_b64 exec, exec, s[4:5]
	s_mul_i32 s4, s15, s36
	v_cmp_eq_u32_e32 vcc, 0, v0
	s_mul_i32 s10, s4, s9
	s_waitcnt lgkmcnt(0)
	s_barrier
	s_and_saveexec_b64 s[4:5], vcc
	s_cbranch_execz .LBB262_137
; %bb.136:
	s_ashr_i32 s11, s10, 31
	s_lshl_b64 s[12:13], s[10:11], 2
	s_add_u32 s9, s30, s12
	s_mul_i32 s6, s15, s6
	s_addc_u32 s11, s31, s13
	s_ashr_i32 s7, s6, 31
	s_lshl_b64 s[6:7], s[6:7], 2
	s_add_u32 s22, s9, s6
	s_addc_u32 s11, s11, s7
	s_ashr_i32 s9, s8, 31
	s_lshl_b64 s[16:17], s[8:9], 2
	s_add_u32 s22, s22, s16
	s_addc_u32 s23, s11, s17
	s_add_u32 s9, s28, s12
	s_addc_u32 s11, s29, s13
	;; [unrolled: 2-line block ×3, first 2 shown]
	s_add_u32 s6, s6, s16
	v_mov_b32_e32 v4, 0
	s_addc_u32 s7, s7, s17
	global_store_dword v4, v6, s[22:23]
	global_store_dword v4, v7, s[6:7]
.LBB262_137:
	s_or_b64 exec, exec, s[4:5]
	v_mov_b32_e32 v23, 0
	v_mov_b32_e32 v5, 0
	s_and_saveexec_b64 s[6:7], s[2:3]
	s_cbranch_execz .LBB262_245
; %bb.138:
	s_sub_i32 s9, s24, s25
	s_ashr_i32 s2, s27, 31
	s_add_u32 s12, s42, s27
	s_addc_u32 s13, s43, s2
	s_abs_i32 s36, s26
	v_cvt_f32_u32_e32 v5, s36
	v_or_b32_e32 v6, 64, v9
	s_movk_i32 s2, 0x78
	v_cmp_gt_u32_e32 vcc, s2, v6
	v_rcp_iflag_f32_e32 v5, v5
	s_sub_i32 s2, 0, s36
	s_add_i32 s42, s20, -1
	v_lshlrev_b32_e32 v8, 3, v6
	v_mul_f32_e32 v5, 0x4f7ffffe, v5
	v_cvt_u32_f32_e32 v5, v5
	v_lshlrev_b64 v[10:11], 2, v[2:3]
	s_mov_b32 s16, -1
	s_mov_b32 s11, s21
	v_mul_lo_u32 v6, s2, v5
	s_lshl_b64 s[2:3], s[40:41], 2
	s_add_u32 s2, s38, s2
	s_addc_u32 s3, s39, s3
	v_mov_b32_e32 v3, s3
	v_add_co_u32_e64 v10, s[2:3], s2, v10
	v_mul_hi_u32 v6, v5, v6
	v_addc_co_u32_e64 v11, s[2:3], v3, v11, s[2:3]
	v_mov_b32_e32 v3, 0x100
	s_mov_b32 s17, 0xffffff
	v_lshlrev_b32_e32 v4, 3, v9
	v_mov_b32_e32 v7, 0
	s_mov_b32 s43, s33
	v_add_u32_e32 v24, v5, v6
	v_lshl_add_u32 v3, v13, 5, v3
	s_mov_b64 s[20:21], 0
	s_movk_i32 s38, 0x80
	s_movk_i32 s39, 0x7f
	s_mov_b32 s40, 0x8000
	s_movk_i32 s41, 0x380
	s_mov_b32 s45, 0x3020706
	s_mov_b32 s46, 0x1000504
	;; [unrolled: 1-line block ×3, first 2 shown]
	v_mov_b32_e32 v25, 0x2000
	v_mov_b32_e32 v5, 0
	;; [unrolled: 1-line block ×3, first 2 shown]
	s_branch .LBB262_142
.LBB262_139:                            ;   in Loop: Header=BB262_142 Depth=1
	s_or_b64 exec, exec, s[4:5]
	;;#ASMSTART
	v_pk_mul_f16 v14, v29, v14;

	;;#ASMEND
	;;#ASMSTART
	v_pk_mul_f16 v6, v28, v6;

	;;#ASMEND
	;;#ASMSTART
	v_pk_mul_f16 v13, v27, v13;

	;;#ASMEND
	;;#ASMSTART
	v_pk_mul_f16 v12, v26, v12;

	;;#ASMEND
	;;#ASMSTART
	v_pk_add_f16 v6, v14, v6;

	;;#ASMEND
	;;#ASMSTART
	v_pk_add_f16 v6, v6, v13;

	;;#ASMEND
	;;#ASMSTART
	v_pk_add_f16 v6, v6, v12;

	;;#ASMEND
	v_lshrrev_b32_e32 v12, 16, v6
	v_and_b32_e32 v6, 0xffff, v6
	;;#ASMSTART
	v_cvt_f32_f16 v6, v6;
	;;#ASMEND
	;;#ASMSTART
	v_cvt_f32_f16 v12, v12;
	;;#ASMEND
	v_add_f32_e32 v6, v6, v12
	v_add_f32_e32 v5, v5, v6
.LBB262_140:                            ;   in Loop: Header=BB262_142 Depth=1
	s_or_b64 exec, exec, s[24:25]
	v_add_f32_e32 v6, v20, v21
	v_add_f32_e32 v23, v23, v6
.LBB262_141:                            ;   in Loop: Header=BB262_142 Depth=1
	s_or_b64 exec, exec, s[22:23]
	v_add_co_u32_e64 v10, s[2:3], 8, v10
	v_add_u32_e32 v2, 2, v2
	v_addc_co_u32_e64 v11, s[2:3], 0, v11, s[2:3]
	v_cmp_le_i32_e64 s[2:3], s56, v2
	v_add_u32_e32 v22, 16, v22
	s_or_b64 s[20:21], s[2:3], s[20:21]
	v_add_u32_e32 v3, 64, v3
	s_andn2_b64 exec, exec, s[20:21]
	s_cbranch_execz .LBB262_244
.LBB262_142:                            ; =>This Inner Loop Header: Depth=1
	v_sub_u32_e32 v12, 0, v22
	v_max_i32_e32 v12, v22, v12
	v_mul_hi_u32 v13, v12, s54
	v_mul_lo_u32 v14, v13, s37
	v_sub_u32_e32 v12, v12, v14
	v_add_u32_e32 v14, 1, v13
	v_cmp_le_u32_e64 s[2:3], s37, v12
	v_cndmask_b32_e64 v13, v13, v14, s[2:3]
	v_subrev_u32_e32 v14, s37, v12
	v_cndmask_b32_e64 v12, v12, v14, s[2:3]
	v_ashrrev_i32_e32 v6, 31, v22
	v_add_u32_e32 v14, 1, v13
	v_cmp_le_u32_e64 s[2:3], s37, v12
	v_xor_b32_e32 v6, s55, v6
	v_cndmask_b32_e64 v12, v13, v14, s[2:3]
	v_xor_b32_e32 v12, v12, v6
	v_sub_u32_e32 v6, v12, v6
	v_add_u32_e32 v12, s44, v6
	v_sub_u32_e32 v14, 0, v12
	v_ashrrev_i32_e32 v13, 31, v12
	v_max_i32_e32 v12, v12, v14
	v_mul_hi_u32 v14, v12, v24
	v_mul_lo_u32 v14, v14, s36
	v_sub_u32_e32 v12, v12, v14
	v_subrev_u32_e32 v14, s36, v12
	v_cmp_le_u32_e64 s[2:3], s36, v12
	v_cndmask_b32_e64 v12, v12, v14, s[2:3]
	v_subrev_u32_e32 v14, s36, v12
	v_cmp_le_u32_e64 s[2:3], s36, v12
	v_cndmask_b32_e64 v12, v12, v14, s[2:3]
	v_xor_b32_e32 v12, v12, v13
	v_sub_u32_e32 v12, v12, v13
	v_cmp_eq_u32_e64 s[2:3], 0, v12
	v_cmp_lt_i32_e64 s[4:5], s9, v6
	s_or_b64 s[2:3], s[2:3], s[4:5]
	s_and_saveexec_b64 s[22:23], s[2:3]
	s_cbranch_execz .LBB262_141
; %bb.143:                              ;   in Loop: Header=BB262_142 Depth=1
	global_load_dword v6, v[10:11], off
	ds_read2_b64 v[16:19], v3 offset1:1
	ds_read2_b64 v[30:33], v3 offset0:2 offset1:3
	v_pk_mov_b32 v[12:13], s[12:13], s[12:13] op_sel:[0,1]
	s_waitcnt lgkmcnt(1)
	;;#ASMSTART
	v_cvt_f16_f32 v15, v16;

	;;#ASMEND
	;;#ASMSTART
	v_cvt_f16_f32 v26, v17;

	;;#ASMEND
	;; [unrolled: 4-line block ×4, first 2 shown]
	s_waitcnt lgkmcnt(0)
	;;#ASMSTART
	v_cvt_f16_f32 v30, v30;

	;;#ASMEND
	;;#ASMSTART
	v_cvt_f16_f32 v31, v31;

	;;#ASMEND
	;; [unrolled: 4-line block ×4, first 2 shown]
	v_mov_b32_e32 v18, 0
	s_waitcnt vmcnt(0)
	v_mad_i64_i32 v[12:13], s[2:3], v6, s11, v[12:13]
	v_add_co_u32_e64 v16, s[2:3], v12, v4
	v_addc_co_u32_e64 v17, s[2:3], 0, v13, s[2:3]
	global_load_dwordx2 v[20:21], v[16:17], off
	global_load_dword v14, v7, s[18:19]
	v_mov_b32_e32 v16, 0
	s_waitcnt vmcnt(1)
	v_cmp_ne_u16_sdwa s[2:3], v20, v7 src0_sel:BYTE_0 src1_sel:DWORD
	s_and_saveexec_b64 s[4:5], s[2:3]
	s_cbranch_execz .LBB262_149
; %bb.144:                              ;   in Loop: Header=BB262_142 Depth=1
	v_cmp_ne_u16_sdwa s[2:3], v20, s38 src0_sel:BYTE_0 src1_sel:DWORD
	v_bfrev_b32_e32 v16, 1
	s_and_saveexec_b64 s[24:25], s[2:3]
	s_cbranch_execz .LBB262_148
; %bb.145:                              ;   in Loop: Header=BB262_142 Depth=1
	v_and_b32_e32 v6, 0x7f, v20
	v_cmp_ne_u32_e64 s[2:3], s39, v6
	v_mov_b32_e32 v16, 0x7fc02000
	s_and_saveexec_b64 s[26:27], s[2:3]
	s_cbranch_execz .LBB262_147
; %bb.146:                              ;   in Loop: Header=BB262_142 Depth=1
	v_and_b32_e32 v16, 7, v20
	v_ffbh_u32_e32 v16, v16
	v_min_u32_e32 v16, 32, v16
	v_subrev_u32_e32 v17, 28, v16
	v_cmp_gt_u32_e64 s[2:3], 8, v6
	v_lshrrev_b32_e32 v19, 3, v6
	v_sub_u32_e32 v29, 29, v16
	v_cndmask_b32_e64 v6, 0, v17, s[2:3]
	v_lshlrev_b64 v[16:17], v6, v[20:21]
	v_cndmask_b32_e64 v6, v19, v29, s[2:3]
	v_lshlrev_b32_e32 v17, 8, v20
	v_lshl_add_u32 v6, v6, 10, v25
	v_lshlrev_b32_e32 v16, 7, v16
	v_and_or_b32 v6, v17, s40, v6
	v_and_or_b32 v6, v16, s41, v6
	v_cvt_f32_f16_e32 v16, v6
.LBB262_147:                            ;   in Loop: Header=BB262_142 Depth=1
	s_or_b64 exec, exec, s[26:27]
.LBB262_148:                            ;   in Loop: Header=BB262_142 Depth=1
	s_or_b64 exec, exec, s[24:25]
.LBB262_149:                            ;   in Loop: Header=BB262_142 Depth=1
	s_or_b64 exec, exec, s[4:5]
	v_lshrrev_b16_e32 v6, 8, v20
	v_cmp_ne_u16_e64 s[2:3], 0, v6
	s_and_saveexec_b64 s[4:5], s[2:3]
	s_cbranch_execz .LBB262_155
; %bb.150:                              ;   in Loop: Header=BB262_142 Depth=1
	v_cmp_ne_u16_e64 s[2:3], s38, v6
	v_bfrev_b32_e32 v18, 1
	s_and_saveexec_b64 s[24:25], s[2:3]
	s_cbranch_execz .LBB262_154
; %bb.151:                              ;   in Loop: Header=BB262_142 Depth=1
	v_and_b32_e32 v17, 0x7f, v6
	v_cmp_ne_u32_e64 s[2:3], s39, v17
	v_mov_b32_e32 v18, 0x7fc02000
	s_and_saveexec_b64 s[26:27], s[2:3]
	s_cbranch_execz .LBB262_153
; %bb.152:                              ;   in Loop: Header=BB262_142 Depth=1
	v_and_b32_e32 v29, 7, v6
	v_ffbh_u32_e32 v18, v29
	v_min_u32_e32 v35, 32, v18
	v_subrev_u32_e32 v18, 28, v35
	v_lshlrev_b64 v[18:19], v18, v[6:7]
	v_lshrrev_b32_e32 v34, 3, v17
	v_sub_u32_e32 v19, 29, v35
	v_cmp_gt_u32_e64 s[2:3], 8, v17
	v_cndmask_b32_e64 v17, v34, v19, s[2:3]
	v_and_b32_e32 v18, 7, v18
	v_lshlrev_b32_e32 v6, 8, v6
	v_lshl_add_u32 v17, v17, 10, v25
	v_cndmask_b32_e64 v18, v29, v18, s[2:3]
	v_and_or_b32 v6, v6, s40, v17
	v_lshl_or_b32 v6, v18, 7, v6
	v_cvt_f32_f16_e32 v18, v6
.LBB262_153:                            ;   in Loop: Header=BB262_142 Depth=1
	s_or_b64 exec, exec, s[26:27]
.LBB262_154:                            ;   in Loop: Header=BB262_142 Depth=1
	s_or_b64 exec, exec, s[24:25]
.LBB262_155:                            ;   in Loop: Header=BB262_142 Depth=1
	s_or_b64 exec, exec, s[4:5]
	v_lshrrev_b32_e32 v6, 16, v20
	v_cmp_ne_u16_sdwa s[2:3], v6, v7 src0_sel:BYTE_0 src1_sel:DWORD
	v_mov_b32_e32 v19, 0
	v_mov_b32_e32 v17, 0
	s_and_saveexec_b64 s[4:5], s[2:3]
	s_cbranch_execz .LBB262_161
; %bb.156:                              ;   in Loop: Header=BB262_142 Depth=1
	v_cmp_ne_u16_sdwa s[2:3], v6, s38 src0_sel:BYTE_0 src1_sel:DWORD
	v_bfrev_b32_e32 v17, 1
	s_and_saveexec_b64 s[24:25], s[2:3]
	s_cbranch_execz .LBB262_160
; %bb.157:                              ;   in Loop: Header=BB262_142 Depth=1
	v_bfe_u32 v29, v20, 16, 7
	v_cmp_ne_u32_e64 s[2:3], s39, v29
	v_mov_b32_e32 v17, 0x7fc02000
	s_and_saveexec_b64 s[26:27], s[2:3]
	s_cbranch_execz .LBB262_159
; %bb.158:                              ;   in Loop: Header=BB262_142 Depth=1
	v_and_b32_e32 v17, 7, v6
	v_ffbh_u32_e32 v34, v17
	v_min_u32_e32 v37, 32, v34
	v_subrev_u32_e32 v34, 28, v37
	v_lshlrev_b64 v[34:35], v34, v[6:7]
	v_lshrrev_b32_e32 v36, 3, v29
	v_sub_u32_e32 v35, 29, v37
	v_cmp_gt_u32_e64 s[2:3], 8, v29
	v_cndmask_b32_e64 v29, v36, v35, s[2:3]
	v_and_b32_e32 v34, 7, v34
	v_lshlrev_b32_e32 v6, 8, v6
	v_lshl_add_u32 v29, v29, 10, v25
	v_cndmask_b32_e64 v17, v17, v34, s[2:3]
	v_and_or_b32 v6, v6, s40, v29
	v_lshl_or_b32 v6, v17, 7, v6
	v_cvt_f32_f16_e32 v17, v6
.LBB262_159:                            ;   in Loop: Header=BB262_142 Depth=1
	s_or_b64 exec, exec, s[26:27]
.LBB262_160:                            ;   in Loop: Header=BB262_142 Depth=1
	s_or_b64 exec, exec, s[24:25]
.LBB262_161:                            ;   in Loop: Header=BB262_142 Depth=1
	s_or_b64 exec, exec, s[4:5]
	v_cmp_lt_u32_e64 s[2:3], s17, v20
	s_and_saveexec_b64 s[4:5], s[2:3]
	s_cbranch_execz .LBB262_167
; %bb.162:                              ;   in Loop: Header=BB262_142 Depth=1
	v_lshrrev_b32_e32 v6, 24, v20
	v_cmp_ne_u32_e64 s[2:3], s38, v6
	v_bfrev_b32_e32 v19, 1
	s_and_saveexec_b64 s[24:25], s[2:3]
	s_cbranch_execz .LBB262_166
; %bb.163:                              ;   in Loop: Header=BB262_142 Depth=1
	v_and_b32_e32 v29, 0x7f, v6
	v_cmp_ne_u32_e64 s[2:3], s39, v29
	v_mov_b32_e32 v19, 0x7fc02000
	s_and_saveexec_b64 s[26:27], s[2:3]
	s_cbranch_execz .LBB262_165
; %bb.164:                              ;   in Loop: Header=BB262_142 Depth=1
	v_and_b32_e32 v19, 7, v6
	v_ffbh_u32_e32 v34, v19
	v_min_u32_e32 v37, 32, v34
	v_subrev_u32_e32 v34, 28, v37
	v_lshlrev_b64 v[34:35], v34, v[6:7]
	v_lshrrev_b32_e32 v36, 3, v29
	v_sub_u32_e32 v35, 29, v37
	v_cmp_gt_u32_e64 s[2:3], 8, v29
	v_cndmask_b32_e64 v29, v36, v35, s[2:3]
	v_and_b32_e32 v34, 7, v34
	v_lshlrev_b32_e32 v6, 8, v6
	v_lshl_add_u32 v29, v29, 10, v25
	v_cndmask_b32_e64 v19, v19, v34, s[2:3]
	v_and_or_b32 v6, v6, s40, v29
	v_lshl_or_b32 v6, v19, 7, v6
	v_cvt_f32_f16_e32 v19, v6
.LBB262_165:                            ;   in Loop: Header=BB262_142 Depth=1
	s_or_b64 exec, exec, s[26:27]
.LBB262_166:                            ;   in Loop: Header=BB262_142 Depth=1
	s_or_b64 exec, exec, s[24:25]
.LBB262_167:                            ;   in Loop: Header=BB262_142 Depth=1
	s_or_b64 exec, exec, s[4:5]
	v_mov_b32_e32 v6, v21
	v_cmp_ne_u16_sdwa s[2:3], v21, v7 src0_sel:BYTE_0 src1_sel:DWORD
	v_mov_b32_e32 v34, 0
	v_mov_b32_e32 v29, 0
	s_and_saveexec_b64 s[4:5], s[2:3]
	s_cbranch_execz .LBB262_173
; %bb.168:                              ;   in Loop: Header=BB262_142 Depth=1
	v_cmp_ne_u16_sdwa s[2:3], v21, s38 src0_sel:BYTE_0 src1_sel:DWORD
	v_bfrev_b32_e32 v29, 1
	s_and_saveexec_b64 s[24:25], s[2:3]
	s_cbranch_execz .LBB262_172
; %bb.169:                              ;   in Loop: Header=BB262_142 Depth=1
	v_and_b32_e32 v35, 0x7f, v21
	v_cmp_ne_u32_e64 s[2:3], s39, v35
	v_mov_b32_e32 v29, 0x7fc02000
	s_and_saveexec_b64 s[26:27], s[2:3]
	s_cbranch_execz .LBB262_171
; %bb.170:                              ;   in Loop: Header=BB262_142 Depth=1
	v_and_b32_e32 v29, 7, v21
	v_ffbh_u32_e32 v29, v29
	v_min_u32_e32 v29, 32, v29
	v_subrev_u32_e32 v36, 28, v29
	v_cmp_gt_u32_e64 s[2:3], 8, v35
	v_lshrrev_b32_e32 v38, 3, v35
	v_sub_u32_e32 v29, 29, v29
	v_cndmask_b32_e64 v35, 0, v36, s[2:3]
	v_lshlrev_b64 v[36:37], v35, v[6:7]
	v_cndmask_b32_e64 v29, v38, v29, s[2:3]
	v_lshlrev_b32_e32 v35, 7, v36
	v_lshlrev_b32_e32 v36, 8, v21
	v_lshl_add_u32 v29, v29, 10, v25
	v_and_or_b32 v29, v36, s40, v29
	v_and_or_b32 v29, v35, s41, v29
	v_cvt_f32_f16_e32 v29, v29
.LBB262_171:                            ;   in Loop: Header=BB262_142 Depth=1
	s_or_b64 exec, exec, s[26:27]
.LBB262_172:                            ;   in Loop: Header=BB262_142 Depth=1
	s_or_b64 exec, exec, s[24:25]
.LBB262_173:                            ;   in Loop: Header=BB262_142 Depth=1
	s_or_b64 exec, exec, s[4:5]
	v_lshrrev_b16_e32 v6, 8, v6
	v_cmp_ne_u16_e64 s[2:3], 0, v6
	s_and_saveexec_b64 s[4:5], s[2:3]
	s_cbranch_execz .LBB262_179
; %bb.174:                              ;   in Loop: Header=BB262_142 Depth=1
	v_cmp_ne_u16_e64 s[2:3], s38, v6
	v_bfrev_b32_e32 v34, 1
	s_and_saveexec_b64 s[24:25], s[2:3]
	s_cbranch_execz .LBB262_178
; %bb.175:                              ;   in Loop: Header=BB262_142 Depth=1
	v_and_b32_e32 v35, 0x7f, v6
	v_cmp_ne_u32_e64 s[2:3], s39, v35
	v_mov_b32_e32 v34, 0x7fc02000
	s_and_saveexec_b64 s[26:27], s[2:3]
	s_cbranch_execz .LBB262_177
; %bb.176:                              ;   in Loop: Header=BB262_142 Depth=1
	v_and_b32_e32 v34, 7, v6
	v_ffbh_u32_e32 v36, v34
	v_min_u32_e32 v39, 32, v36
	v_subrev_u32_e32 v36, 28, v39
	v_lshlrev_b64 v[36:37], v36, v[6:7]
	v_lshrrev_b32_e32 v38, 3, v35
	v_sub_u32_e32 v37, 29, v39
	v_cmp_gt_u32_e64 s[2:3], 8, v35
	v_cndmask_b32_e64 v35, v38, v37, s[2:3]
	v_and_b32_e32 v36, 7, v36
	v_lshlrev_b32_e32 v6, 8, v6
	v_lshl_add_u32 v35, v35, 10, v25
	v_cndmask_b32_e64 v34, v34, v36, s[2:3]
	v_and_or_b32 v6, v6, s40, v35
	v_lshl_or_b32 v6, v34, 7, v6
	v_cvt_f32_f16_e32 v34, v6
.LBB262_177:                            ;   in Loop: Header=BB262_142 Depth=1
	s_or_b64 exec, exec, s[26:27]
.LBB262_178:                            ;   in Loop: Header=BB262_142 Depth=1
	s_or_b64 exec, exec, s[24:25]
.LBB262_179:                            ;   in Loop: Header=BB262_142 Depth=1
	s_or_b64 exec, exec, s[4:5]
	v_lshrrev_b32_e32 v6, 16, v21
	v_cmp_ne_u16_sdwa s[2:3], v6, v7 src0_sel:BYTE_0 src1_sel:DWORD
	v_mov_b32_e32 v35, 0
	v_mov_b32_e32 v36, 0
	s_and_saveexec_b64 s[4:5], s[2:3]
	s_cbranch_execz .LBB262_185
; %bb.180:                              ;   in Loop: Header=BB262_142 Depth=1
	v_cmp_ne_u16_sdwa s[2:3], v6, s38 src0_sel:BYTE_0 src1_sel:DWORD
	v_bfrev_b32_e32 v36, 1
	s_and_saveexec_b64 s[24:25], s[2:3]
	s_cbranch_execz .LBB262_184
; %bb.181:                              ;   in Loop: Header=BB262_142 Depth=1
	v_bfe_u32 v37, v21, 16, 7
	v_cmp_ne_u32_e64 s[2:3], s39, v37
	v_mov_b32_e32 v36, 0x7fc02000
	s_and_saveexec_b64 s[26:27], s[2:3]
	s_cbranch_execz .LBB262_183
; %bb.182:                              ;   in Loop: Header=BB262_142 Depth=1
	v_and_b32_e32 v36, 7, v6
	v_ffbh_u32_e32 v38, v36
	v_min_u32_e32 v41, 32, v38
	v_subrev_u32_e32 v38, 28, v41
	v_lshlrev_b64 v[38:39], v38, v[6:7]
	v_lshrrev_b32_e32 v40, 3, v37
	v_sub_u32_e32 v39, 29, v41
	v_cmp_gt_u32_e64 s[2:3], 8, v37
	v_cndmask_b32_e64 v37, v40, v39, s[2:3]
	v_and_b32_e32 v38, 7, v38
	v_lshlrev_b32_e32 v6, 8, v6
	v_lshl_add_u32 v37, v37, 10, v25
	v_cndmask_b32_e64 v36, v36, v38, s[2:3]
	v_and_or_b32 v6, v6, s40, v37
	v_lshl_or_b32 v6, v36, 7, v6
	v_cvt_f32_f16_e32 v36, v6
.LBB262_183:                            ;   in Loop: Header=BB262_142 Depth=1
	s_or_b64 exec, exec, s[26:27]
.LBB262_184:                            ;   in Loop: Header=BB262_142 Depth=1
	s_or_b64 exec, exec, s[24:25]
.LBB262_185:                            ;   in Loop: Header=BB262_142 Depth=1
	s_or_b64 exec, exec, s[4:5]
	v_cmp_lt_u64_e64 s[2:3], s[16:17], v[20:21]
	s_and_saveexec_b64 s[4:5], s[2:3]
	s_cbranch_execz .LBB262_191
; %bb.186:                              ;   in Loop: Header=BB262_142 Depth=1
	v_lshrrev_b32_e32 v6, 24, v21
	v_cmp_ne_u32_e64 s[2:3], s38, v6
	v_bfrev_b32_e32 v35, 1
	s_and_saveexec_b64 s[24:25], s[2:3]
	s_cbranch_execz .LBB262_190
; %bb.187:                              ;   in Loop: Header=BB262_142 Depth=1
	v_and_b32_e32 v20, 0x7f, v6
	v_cmp_ne_u32_e64 s[2:3], s39, v20
	v_mov_b32_e32 v35, 0x7fc02000
	s_and_saveexec_b64 s[26:27], s[2:3]
	s_cbranch_execz .LBB262_189
; %bb.188:                              ;   in Loop: Header=BB262_142 Depth=1
	v_and_b32_e32 v21, 7, v6
	v_ffbh_u32_e32 v37, v21
	v_min_u32_e32 v37, 32, v37
	v_lshrrev_b32_e32 v35, 3, v20
	v_subrev_u32_e32 v38, 28, v37
	v_sub_u32_e32 v37, 29, v37
	v_cmp_gt_u32_e64 s[2:3], 8, v20
	v_lshlrev_b64 v[38:39], v38, v[6:7]
	v_cndmask_b32_e64 v20, v35, v37, s[2:3]
	v_and_b32_e32 v38, 7, v38
	v_lshlrev_b32_e32 v6, 8, v6
	v_lshl_add_u32 v20, v20, 10, v25
	v_cndmask_b32_e64 v21, v21, v38, s[2:3]
	v_and_or_b32 v6, v6, s40, v20
	v_lshl_or_b32 v6, v21, 7, v6
	v_cvt_f32_f16_e32 v35, v6
.LBB262_189:                            ;   in Loop: Header=BB262_142 Depth=1
	s_or_b64 exec, exec, s[26:27]
.LBB262_190:                            ;   in Loop: Header=BB262_142 Depth=1
	s_or_b64 exec, exec, s[24:25]
.LBB262_191:                            ;   in Loop: Header=BB262_142 Depth=1
	s_or_b64 exec, exec, s[4:5]
	s_waitcnt vmcnt(0)
	v_pk_mul_f32 v[18:19], v[14:15], v[18:19] op_sel_hi:[0,1]
	v_pk_mul_f32 v[16:17], v[14:15], v[16:17] op_sel_hi:[0,1]
	v_cvt_f16_f32_e32 v6, v19
	v_cvt_f16_f32_e32 v18, v18
	v_cvt_f16_f32_e32 v17, v17
	v_cvt_f16_f32_e32 v16, v16
	v_cmp_eq_u32_e64 s[2:3], s42, v2
	v_pack_b32_f16 v18, v18, v6
	v_pack_b32_f16 v16, v16, v17
	v_fma_mixlo_f16 v17, v14, v34, 0
	v_perm_b32 v6, v16, v18, s45
	v_perm_b32 v16, v16, v18, s46
	v_lshlrev_b32_e32 v17, 16, v17
	v_fma_mixlo_f16 v18, v14, v29, 0
	v_or_b32_sdwa v17, v17, v18 dst_sel:DWORD dst_unused:UNUSED_PAD src0_sel:DWORD src1_sel:WORD_0
	v_fma_mixlo_f16 v18, v14, v36, 0
	v_fma_mixlo_f16 v14, v14, v35, 0
	v_lshlrev_b32_e32 v14, 16, v14
	v_or_b32_sdwa v14, v14, v18 dst_sel:DWORD dst_unused:UNUSED_PAD src0_sel:DWORD src1_sel:WORD_0
	s_and_saveexec_b64 s[24:25], s[2:3]
	s_cbranch_execz .LBB262_193
; %bb.192:                              ;   in Loop: Header=BB262_142 Depth=1
	v_add_u32_e32 v19, 1, v22
	v_lshrrev_b32_e32 v20, 16, v16
	v_cmp_gt_i32_e64 s[4:5], s43, v19
	v_cndmask_b32_e64 v19, 0, v20, s[4:5]
	v_cmp_gt_i32_e64 s[4:5], s33, v22
	v_cndmask_b32_e64 v16, 0, v16, s[4:5]
	v_perm_b32 v16, v19, v16, s47
	v_or_b32_e32 v19, 3, v22
	v_or_b32_e32 v20, 2, v22
	v_lshrrev_b32_e32 v21, 16, v6
	v_cmp_gt_i32_e64 s[4:5], s43, v19
	v_cndmask_b32_e64 v19, 0, v21, s[4:5]
	v_cmp_gt_i32_e64 s[4:5], s33, v20
	v_cndmask_b32_e64 v6, 0, v6, s[4:5]
	v_perm_b32 v6, v19, v6, s47
	v_or_b32_e32 v19, 5, v22
	v_or_b32_e32 v20, 4, v22
	;; [unrolled: 8-line block ×3, first 2 shown]
	v_lshrrev_b32_e32 v14, 16, v14
	v_cmp_gt_i32_e64 s[4:5], s43, v19
	v_cndmask_b32_e64 v14, 0, v14, s[4:5]
	v_cmp_gt_i32_e64 s[4:5], s33, v20
	v_cndmask_b32_e64 v18, 0, v18, s[4:5]
	v_perm_b32 v14, v14, v18, s47
.LBB262_193:                            ;   in Loop: Header=BB262_142 Depth=1
	s_or_b64 exec, exec, s[24:25]
	v_and_b32_e32 v15, 0xffff, v15
	v_lshl_or_b32 v29, v26, 16, v15
	v_and_b32_e32 v15, 0xffff, v27
	v_lshl_or_b32 v28, v28, 16, v15
	;; [unrolled: 2-line block ×4, first 2 shown]
	;;#ASMSTART
	v_pk_mul_f16 v15, v29, v16;

	;;#ASMEND
	;;#ASMSTART
	v_pk_mul_f16 v6, v28, v6;

	;;#ASMEND
	;;#ASMSTART
	v_pk_mul_f16 v16, v27, v17;

	;;#ASMEND
	;;#ASMSTART
	v_pk_mul_f16 v14, v26, v14;

	;;#ASMEND
	;;#ASMSTART
	v_pk_add_f16 v6, v15, v6;

	;;#ASMEND
	;;#ASMSTART
	v_pk_add_f16 v6, v6, v16;

	;;#ASMEND
	;; [unrolled: 4-line block ×3, first 2 shown]
	v_lshrrev_b32_e32 v14, 16, v6
	v_and_b32_e32 v6, 0xffff, v6
	;;#ASMSTART
	v_cvt_f32_f16 v20, v6;
	;;#ASMEND
	;;#ASMSTART
	v_cvt_f32_f16 v21, v14;
	;;#ASMEND
	s_and_saveexec_b64 s[24:25], vcc
	s_cbranch_execz .LBB262_140
; %bb.194:                              ;   in Loop: Header=BB262_142 Depth=1
	v_add_co_u32_e64 v14, s[4:5], v12, v8
	v_addc_co_u32_e64 v15, s[4:5], 0, v13, s[4:5]
	global_load_dwordx2 v[18:19], v[14:15], off
	global_load_dword v12, v7, s[18:19]
	v_mov_b32_e32 v16, 0
	v_mov_b32_e32 v14, 0
	s_waitcnt vmcnt(1)
	v_cmp_ne_u16_sdwa s[4:5], v18, v7 src0_sel:BYTE_0 src1_sel:DWORD
	s_and_saveexec_b64 s[26:27], s[4:5]
	s_cbranch_execz .LBB262_200
; %bb.195:                              ;   in Loop: Header=BB262_142 Depth=1
	v_cmp_ne_u16_sdwa s[4:5], v18, s38 src0_sel:BYTE_0 src1_sel:DWORD
	v_bfrev_b32_e32 v14, 1
	s_and_saveexec_b64 s[28:29], s[4:5]
	s_cbranch_execz .LBB262_199
; %bb.196:                              ;   in Loop: Header=BB262_142 Depth=1
	v_and_b32_e32 v6, 0x7f, v18
	v_cmp_ne_u32_e64 s[4:5], s39, v6
	v_mov_b32_e32 v14, 0x7fc02000
	s_and_saveexec_b64 s[30:31], s[4:5]
	s_cbranch_execz .LBB262_198
; %bb.197:                              ;   in Loop: Header=BB262_142 Depth=1
	v_and_b32_e32 v13, 7, v18
	v_ffbh_u32_e32 v13, v13
	v_min_u32_e32 v13, 32, v13
	v_subrev_u32_e32 v14, 28, v13
	v_cmp_gt_u32_e64 s[4:5], 8, v6
	v_lshrrev_b32_e32 v17, 3, v6
	v_sub_u32_e32 v13, 29, v13
	v_cndmask_b32_e64 v6, 0, v14, s[4:5]
	v_lshlrev_b64 v[14:15], v6, v[18:19]
	v_cndmask_b32_e64 v6, v17, v13, s[4:5]
	v_lshlrev_b32_e32 v13, 7, v14
	v_lshlrev_b32_e32 v14, 8, v18
	v_lshl_add_u32 v6, v6, 10, v25
	v_and_or_b32 v6, v14, s40, v6
	v_and_or_b32 v6, v13, s41, v6
	v_cvt_f32_f16_e32 v14, v6
.LBB262_198:                            ;   in Loop: Header=BB262_142 Depth=1
	s_or_b64 exec, exec, s[30:31]
.LBB262_199:                            ;   in Loop: Header=BB262_142 Depth=1
	s_or_b64 exec, exec, s[28:29]
.LBB262_200:                            ;   in Loop: Header=BB262_142 Depth=1
	s_or_b64 exec, exec, s[26:27]
	v_lshrrev_b16_e32 v6, 8, v18
	v_cmp_ne_u16_e64 s[4:5], 0, v6
	s_and_saveexec_b64 s[26:27], s[4:5]
	s_cbranch_execz .LBB262_206
; %bb.201:                              ;   in Loop: Header=BB262_142 Depth=1
	v_cmp_ne_u16_e64 s[4:5], s38, v6
	v_bfrev_b32_e32 v16, 1
	s_and_saveexec_b64 s[28:29], s[4:5]
	s_cbranch_execz .LBB262_205
; %bb.202:                              ;   in Loop: Header=BB262_142 Depth=1
	v_and_b32_e32 v13, 0x7f, v6
	v_cmp_ne_u32_e64 s[4:5], s39, v13
	v_mov_b32_e32 v16, 0x7fc02000
	s_and_saveexec_b64 s[30:31], s[4:5]
	s_cbranch_execz .LBB262_204
; %bb.203:                              ;   in Loop: Header=BB262_142 Depth=1
	v_and_b32_e32 v15, 7, v6
	v_ffbh_u32_e32 v16, v15
	v_min_u32_e32 v31, 32, v16
	v_subrev_u32_e32 v16, 28, v31
	v_lshlrev_b64 v[16:17], v16, v[6:7]
	v_lshrrev_b32_e32 v30, 3, v13
	v_sub_u32_e32 v17, 29, v31
	v_cmp_gt_u32_e64 s[4:5], 8, v13
	v_cndmask_b32_e64 v13, v30, v17, s[4:5]
	v_and_b32_e32 v16, 7, v16
	v_lshlrev_b32_e32 v6, 8, v6
	v_lshl_add_u32 v13, v13, 10, v25
	v_cndmask_b32_e64 v15, v15, v16, s[4:5]
	v_and_or_b32 v6, v6, s40, v13
	v_lshl_or_b32 v6, v15, 7, v6
	v_cvt_f32_f16_e32 v16, v6
.LBB262_204:                            ;   in Loop: Header=BB262_142 Depth=1
	s_or_b64 exec, exec, s[30:31]
.LBB262_205:                            ;   in Loop: Header=BB262_142 Depth=1
	s_or_b64 exec, exec, s[28:29]
.LBB262_206:                            ;   in Loop: Header=BB262_142 Depth=1
	s_or_b64 exec, exec, s[26:27]
	v_lshrrev_b32_e32 v6, 16, v18
	v_cmp_ne_u16_sdwa s[4:5], v6, v7 src0_sel:BYTE_0 src1_sel:DWORD
	v_mov_b32_e32 v17, 0
	v_mov_b32_e32 v15, 0
	s_and_saveexec_b64 s[26:27], s[4:5]
	s_cbranch_execz .LBB262_212
; %bb.207:                              ;   in Loop: Header=BB262_142 Depth=1
	v_cmp_ne_u16_sdwa s[4:5], v6, s38 src0_sel:BYTE_0 src1_sel:DWORD
	v_bfrev_b32_e32 v15, 1
	s_and_saveexec_b64 s[28:29], s[4:5]
	s_cbranch_execz .LBB262_211
; %bb.208:                              ;   in Loop: Header=BB262_142 Depth=1
	v_bfe_u32 v13, v18, 16, 7
	v_cmp_ne_u32_e64 s[4:5], s39, v13
	v_mov_b32_e32 v15, 0x7fc02000
	s_and_saveexec_b64 s[30:31], s[4:5]
	s_cbranch_execz .LBB262_210
; %bb.209:                              ;   in Loop: Header=BB262_142 Depth=1
	v_and_b32_e32 v15, 7, v6
	v_ffbh_u32_e32 v30, v15
	v_min_u32_e32 v33, 32, v30
	v_subrev_u32_e32 v30, 28, v33
	v_lshlrev_b64 v[30:31], v30, v[6:7]
	v_lshrrev_b32_e32 v32, 3, v13
	v_sub_u32_e32 v31, 29, v33
	v_cmp_gt_u32_e64 s[4:5], 8, v13
	v_cndmask_b32_e64 v13, v32, v31, s[4:5]
	v_and_b32_e32 v30, 7, v30
	v_lshlrev_b32_e32 v6, 8, v6
	v_lshl_add_u32 v13, v13, 10, v25
	v_cndmask_b32_e64 v15, v15, v30, s[4:5]
	v_and_or_b32 v6, v6, s40, v13
	v_lshl_or_b32 v6, v15, 7, v6
	v_cvt_f32_f16_e32 v15, v6
.LBB262_210:                            ;   in Loop: Header=BB262_142 Depth=1
	s_or_b64 exec, exec, s[30:31]
.LBB262_211:                            ;   in Loop: Header=BB262_142 Depth=1
	s_or_b64 exec, exec, s[28:29]
.LBB262_212:                            ;   in Loop: Header=BB262_142 Depth=1
	s_or_b64 exec, exec, s[26:27]
	v_cmp_lt_u32_e64 s[4:5], s17, v18
	s_and_saveexec_b64 s[26:27], s[4:5]
	s_cbranch_execz .LBB262_218
; %bb.213:                              ;   in Loop: Header=BB262_142 Depth=1
	v_lshrrev_b32_e32 v6, 24, v18
	v_cmp_ne_u32_e64 s[4:5], s38, v6
	v_bfrev_b32_e32 v17, 1
	s_and_saveexec_b64 s[28:29], s[4:5]
	s_cbranch_execz .LBB262_217
; %bb.214:                              ;   in Loop: Header=BB262_142 Depth=1
	v_and_b32_e32 v13, 0x7f, v6
	v_cmp_ne_u32_e64 s[4:5], s39, v13
	v_mov_b32_e32 v17, 0x7fc02000
	s_and_saveexec_b64 s[30:31], s[4:5]
	s_cbranch_execz .LBB262_216
; %bb.215:                              ;   in Loop: Header=BB262_142 Depth=1
	v_and_b32_e32 v17, 7, v6
	v_ffbh_u32_e32 v30, v17
	v_min_u32_e32 v33, 32, v30
	v_subrev_u32_e32 v30, 28, v33
	v_lshlrev_b64 v[30:31], v30, v[6:7]
	v_lshrrev_b32_e32 v32, 3, v13
	v_sub_u32_e32 v31, 29, v33
	v_cmp_gt_u32_e64 s[4:5], 8, v13
	v_cndmask_b32_e64 v13, v32, v31, s[4:5]
	v_and_b32_e32 v30, 7, v30
	v_lshlrev_b32_e32 v6, 8, v6
	v_lshl_add_u32 v13, v13, 10, v25
	v_cndmask_b32_e64 v17, v17, v30, s[4:5]
	v_and_or_b32 v6, v6, s40, v13
	v_lshl_or_b32 v6, v17, 7, v6
	v_cvt_f32_f16_e32 v17, v6
.LBB262_216:                            ;   in Loop: Header=BB262_142 Depth=1
	s_or_b64 exec, exec, s[30:31]
.LBB262_217:                            ;   in Loop: Header=BB262_142 Depth=1
	s_or_b64 exec, exec, s[28:29]
.LBB262_218:                            ;   in Loop: Header=BB262_142 Depth=1
	s_or_b64 exec, exec, s[26:27]
	v_mov_b32_e32 v6, v19
	v_cmp_ne_u16_sdwa s[4:5], v19, v7 src0_sel:BYTE_0 src1_sel:DWORD
	v_mov_b32_e32 v30, 0
	v_mov_b32_e32 v13, 0
	s_and_saveexec_b64 s[26:27], s[4:5]
	s_cbranch_execz .LBB262_224
; %bb.219:                              ;   in Loop: Header=BB262_142 Depth=1
	v_cmp_ne_u16_sdwa s[4:5], v19, s38 src0_sel:BYTE_0 src1_sel:DWORD
	v_bfrev_b32_e32 v13, 1
	s_and_saveexec_b64 s[28:29], s[4:5]
	s_cbranch_execz .LBB262_223
; %bb.220:                              ;   in Loop: Header=BB262_142 Depth=1
	v_and_b32_e32 v31, 0x7f, v19
	v_cmp_ne_u32_e64 s[4:5], s39, v31
	v_mov_b32_e32 v13, 0x7fc02000
	s_and_saveexec_b64 s[30:31], s[4:5]
	s_cbranch_execz .LBB262_222
; %bb.221:                              ;   in Loop: Header=BB262_142 Depth=1
	v_and_b32_e32 v13, 7, v19
	v_ffbh_u32_e32 v13, v13
	v_min_u32_e32 v13, 32, v13
	v_subrev_u32_e32 v32, 28, v13
	v_cmp_gt_u32_e64 s[4:5], 8, v31
	v_lshrrev_b32_e32 v34, 3, v31
	v_sub_u32_e32 v13, 29, v13
	v_cndmask_b32_e64 v31, 0, v32, s[4:5]
	v_lshlrev_b64 v[32:33], v31, v[6:7]
	v_cndmask_b32_e64 v13, v34, v13, s[4:5]
	v_lshlrev_b32_e32 v31, 7, v32
	v_lshlrev_b32_e32 v32, 8, v19
	v_lshl_add_u32 v13, v13, 10, v25
	v_and_or_b32 v13, v32, s40, v13
	v_and_or_b32 v13, v31, s41, v13
	v_cvt_f32_f16_e32 v13, v13
.LBB262_222:                            ;   in Loop: Header=BB262_142 Depth=1
	s_or_b64 exec, exec, s[30:31]
.LBB262_223:                            ;   in Loop: Header=BB262_142 Depth=1
	s_or_b64 exec, exec, s[28:29]
.LBB262_224:                            ;   in Loop: Header=BB262_142 Depth=1
	s_or_b64 exec, exec, s[26:27]
	v_lshrrev_b16_e32 v6, 8, v6
	v_cmp_ne_u16_e64 s[4:5], 0, v6
	s_and_saveexec_b64 s[26:27], s[4:5]
	s_cbranch_execz .LBB262_230
; %bb.225:                              ;   in Loop: Header=BB262_142 Depth=1
	v_cmp_ne_u16_e64 s[4:5], s38, v6
	v_bfrev_b32_e32 v30, 1
	s_and_saveexec_b64 s[28:29], s[4:5]
	s_cbranch_execz .LBB262_229
; %bb.226:                              ;   in Loop: Header=BB262_142 Depth=1
	v_and_b32_e32 v31, 0x7f, v6
	v_cmp_ne_u32_e64 s[4:5], s39, v31
	v_mov_b32_e32 v30, 0x7fc02000
	s_and_saveexec_b64 s[30:31], s[4:5]
	s_cbranch_execz .LBB262_228
; %bb.227:                              ;   in Loop: Header=BB262_142 Depth=1
	v_and_b32_e32 v30, 7, v6
	v_ffbh_u32_e32 v32, v30
	v_min_u32_e32 v35, 32, v32
	v_subrev_u32_e32 v32, 28, v35
	v_lshlrev_b64 v[32:33], v32, v[6:7]
	v_lshrrev_b32_e32 v34, 3, v31
	v_sub_u32_e32 v33, 29, v35
	v_cmp_gt_u32_e64 s[4:5], 8, v31
	v_cndmask_b32_e64 v31, v34, v33, s[4:5]
	v_and_b32_e32 v32, 7, v32
	v_lshlrev_b32_e32 v6, 8, v6
	v_lshl_add_u32 v31, v31, 10, v25
	v_cndmask_b32_e64 v30, v30, v32, s[4:5]
	v_and_or_b32 v6, v6, s40, v31
	v_lshl_or_b32 v6, v30, 7, v6
	v_cvt_f32_f16_e32 v30, v6
.LBB262_228:                            ;   in Loop: Header=BB262_142 Depth=1
	s_or_b64 exec, exec, s[30:31]
.LBB262_229:                            ;   in Loop: Header=BB262_142 Depth=1
	s_or_b64 exec, exec, s[28:29]
.LBB262_230:                            ;   in Loop: Header=BB262_142 Depth=1
	s_or_b64 exec, exec, s[26:27]
	v_lshrrev_b32_e32 v6, 16, v19
	v_cmp_ne_u16_sdwa s[4:5], v6, v7 src0_sel:BYTE_0 src1_sel:DWORD
	v_mov_b32_e32 v31, 0
	v_mov_b32_e32 v32, 0
	s_and_saveexec_b64 s[26:27], s[4:5]
	s_cbranch_execz .LBB262_236
; %bb.231:                              ;   in Loop: Header=BB262_142 Depth=1
	v_cmp_ne_u16_sdwa s[4:5], v6, s38 src0_sel:BYTE_0 src1_sel:DWORD
	v_bfrev_b32_e32 v32, 1
	s_and_saveexec_b64 s[28:29], s[4:5]
	s_cbranch_execz .LBB262_235
; %bb.232:                              ;   in Loop: Header=BB262_142 Depth=1
	v_bfe_u32 v33, v19, 16, 7
	v_cmp_ne_u32_e64 s[4:5], s39, v33
	v_mov_b32_e32 v32, 0x7fc02000
	s_and_saveexec_b64 s[30:31], s[4:5]
	s_cbranch_execz .LBB262_234
; %bb.233:                              ;   in Loop: Header=BB262_142 Depth=1
	v_and_b32_e32 v32, 7, v6
	v_ffbh_u32_e32 v34, v32
	v_min_u32_e32 v37, 32, v34
	v_subrev_u32_e32 v34, 28, v37
	v_lshlrev_b64 v[34:35], v34, v[6:7]
	v_lshrrev_b32_e32 v36, 3, v33
	v_sub_u32_e32 v35, 29, v37
	v_cmp_gt_u32_e64 s[4:5], 8, v33
	v_cndmask_b32_e64 v33, v36, v35, s[4:5]
	v_and_b32_e32 v34, 7, v34
	v_lshlrev_b32_e32 v6, 8, v6
	v_lshl_add_u32 v33, v33, 10, v25
	v_cndmask_b32_e64 v32, v32, v34, s[4:5]
	v_and_or_b32 v6, v6, s40, v33
	v_lshl_or_b32 v6, v32, 7, v6
	v_cvt_f32_f16_e32 v32, v6
.LBB262_234:                            ;   in Loop: Header=BB262_142 Depth=1
	s_or_b64 exec, exec, s[30:31]
.LBB262_235:                            ;   in Loop: Header=BB262_142 Depth=1
	s_or_b64 exec, exec, s[28:29]
.LBB262_236:                            ;   in Loop: Header=BB262_142 Depth=1
	s_or_b64 exec, exec, s[26:27]
	v_cmp_lt_u64_e64 s[4:5], s[16:17], v[18:19]
	s_and_saveexec_b64 s[26:27], s[4:5]
	s_cbranch_execz .LBB262_242
; %bb.237:                              ;   in Loop: Header=BB262_142 Depth=1
	v_lshrrev_b32_e32 v6, 24, v19
	v_cmp_ne_u32_e64 s[4:5], s38, v6
	v_bfrev_b32_e32 v31, 1
	s_and_saveexec_b64 s[28:29], s[4:5]
	s_cbranch_execz .LBB262_241
; %bb.238:                              ;   in Loop: Header=BB262_142 Depth=1
	v_and_b32_e32 v18, 0x7f, v6
	v_cmp_ne_u32_e64 s[4:5], s39, v18
	v_mov_b32_e32 v31, 0x7fc02000
	s_and_saveexec_b64 s[30:31], s[4:5]
	s_cbranch_execz .LBB262_240
; %bb.239:                              ;   in Loop: Header=BB262_142 Depth=1
	v_and_b32_e32 v19, 7, v6
	v_ffbh_u32_e32 v33, v19
	v_min_u32_e32 v33, 32, v33
	v_lshrrev_b32_e32 v31, 3, v18
	v_subrev_u32_e32 v34, 28, v33
	v_sub_u32_e32 v33, 29, v33
	v_cmp_gt_u32_e64 s[4:5], 8, v18
	v_lshlrev_b64 v[34:35], v34, v[6:7]
	v_cndmask_b32_e64 v18, v31, v33, s[4:5]
	v_and_b32_e32 v34, 7, v34
	v_lshlrev_b32_e32 v6, 8, v6
	v_lshl_add_u32 v18, v18, 10, v25
	v_cndmask_b32_e64 v19, v19, v34, s[4:5]
	v_and_or_b32 v6, v6, s40, v18
	v_lshl_or_b32 v6, v19, 7, v6
	v_cvt_f32_f16_e32 v31, v6
.LBB262_240:                            ;   in Loop: Header=BB262_142 Depth=1
	s_or_b64 exec, exec, s[30:31]
.LBB262_241:                            ;   in Loop: Header=BB262_142 Depth=1
	s_or_b64 exec, exec, s[28:29]
.LBB262_242:                            ;   in Loop: Header=BB262_142 Depth=1
	s_or_b64 exec, exec, s[26:27]
	s_waitcnt vmcnt(0)
	v_pk_mul_f32 v[14:15], v[12:13], v[14:15] op_sel_hi:[0,1]
	v_cvt_f16_f32_e32 v15, v15
	v_cvt_f16_f32_e32 v14, v14
	v_pk_mul_f32 v[16:17], v[12:13], v[16:17] op_sel_hi:[0,1]
	v_cvt_f16_f32_e32 v6, v17
	v_cvt_f16_f32_e32 v16, v16
	v_pack_b32_f16 v14, v14, v15
	v_fma_mixlo_f16 v15, v12, v30, 0
	v_lshlrev_b32_e32 v15, 16, v15
	v_fma_mixlo_f16 v13, v12, v13, 0
	v_or_b32_sdwa v13, v15, v13 dst_sel:DWORD dst_unused:UNUSED_PAD src0_sel:DWORD src1_sel:WORD_0
	v_fma_mixlo_f16 v15, v12, v32, 0
	v_fma_mixlo_f16 v12, v12, v31, 0
	v_pack_b32_f16 v16, v16, v6
	v_lshlrev_b32_e32 v12, 16, v12
	v_perm_b32 v6, v14, v16, s45
	v_perm_b32 v14, v14, v16, s46
	v_or_b32_sdwa v12, v12, v15 dst_sel:DWORD dst_unused:UNUSED_PAD src0_sel:DWORD src1_sel:WORD_0
	s_and_saveexec_b64 s[4:5], s[2:3]
	s_cbranch_execz .LBB262_139
; %bb.243:                              ;   in Loop: Header=BB262_142 Depth=1
	v_add_u32_e32 v16, 1, v22
	v_lshrrev_b32_e32 v17, 16, v14
	v_cmp_gt_i32_e64 s[2:3], s43, v16
	v_cndmask_b32_e64 v16, 0, v17, s[2:3]
	v_cmp_gt_i32_e64 s[2:3], s33, v22
	v_cndmask_b32_e64 v14, 0, v14, s[2:3]
	v_perm_b32 v14, v16, v14, s47
	v_or_b32_e32 v16, 3, v22
	v_or_b32_e32 v17, 2, v22
	v_lshrrev_b32_e32 v18, 16, v6
	v_cmp_gt_i32_e64 s[2:3], s43, v16
	v_cndmask_b32_e64 v16, 0, v18, s[2:3]
	v_cmp_gt_i32_e64 s[2:3], s33, v17
	v_cndmask_b32_e64 v6, 0, v6, s[2:3]
	v_perm_b32 v6, v16, v6, s47
	v_or_b32_e32 v16, 5, v22
	v_or_b32_e32 v17, 4, v22
	;; [unrolled: 8-line block ×3, first 2 shown]
	v_lshrrev_b32_e32 v12, 16, v12
	v_cmp_gt_i32_e64 s[2:3], s43, v16
	v_cndmask_b32_e64 v12, 0, v12, s[2:3]
	v_cmp_gt_i32_e64 s[2:3], s33, v17
	v_cndmask_b32_e64 v15, 0, v15, s[2:3]
	v_perm_b32 v12, v12, v15, s47
	s_branch .LBB262_139
.LBB262_244:
	s_or_b64 exec, exec, s[20:21]
.LBB262_245:
	s_or_b64 exec, exec, s[6:7]
	v_and_b32_e32 v2, 0x3c0, v0
	v_cmp_eq_u32_e32 vcc, 64, v2
	s_barrier
	s_and_saveexec_b64 s[2:3], vcc
	s_cbranch_execz .LBB262_248
; %bb.246:
	v_mov_b32_e32 v2, 0x100
	v_lshl_add_u32 v3, v9, 2, v2
	ds_write_b32 v3, v23
	s_and_b64 exec, exec, s[0:1]
	s_cbranch_execz .LBB262_248
; %bb.247:
	v_lshl_add_u32 v2, v0, 2, v2
	ds_write_b32 v2, v5
.LBB262_248:
	s_or_b64 exec, exec, s[2:3]
	v_cmp_gt_u32_e32 vcc, 64, v0
	v_or_b32_e32 v2, 64, v0
	s_waitcnt lgkmcnt(0)
	s_barrier
	s_and_saveexec_b64 s[2:3], vcc
	s_cbranch_execz .LBB262_252
; %bb.249:
	v_mov_b32_e32 v3, 0x100
	v_lshl_add_u32 v3, v0, 2, v3
	ds_read_b32 v0, v3
	s_movk_i32 s0, 0x78
	v_cmp_gt_u32_e64 s[0:1], s0, v2
	s_and_saveexec_b64 s[4:5], s[0:1]
	s_cbranch_execz .LBB262_251
; %bb.250:
	ds_read_b32 v3, v3 offset:256
	s_waitcnt lgkmcnt(0)
	v_add_f32_e32 v5, v5, v3
.LBB262_251:
	s_or_b64 exec, exec, s[4:5]
	s_waitcnt lgkmcnt(0)
	v_add_f32_e32 v23, v23, v0
.LBB262_252:
	s_or_b64 exec, exec, s[2:3]
	s_barrier
	s_and_saveexec_b64 s[0:1], vcc
	s_cbranch_execz .LBB262_255
; %bb.253:
	s_mul_i32 s0, s10, 0x78
	s_ashr_i32 s1, s0, 31
	s_lshl_b64 s[0:1], s[0:1], 1
	s_add_u32 s3, s34, s0
	s_mul_i32 s0, s15, s14
	s_addc_u32 s4, s35, s1
	s_ashr_i32 s1, s0, 31
	s_lshl_b64 s[0:1], s[0:1], 1
	s_add_u32 s3, s3, s0
	s_mul_i32 s0, s8, 0x78
	s_addc_u32 s4, s4, s1
	s_ashr_i32 s1, s0, 31
	s_lshl_b64 s[0:1], s[0:1], 1
	s_movk_i32 s2, 0x78
	s_add_u32 s0, s3, s0
	s_addc_u32 s1, s4, s1
	v_cmp_gt_u32_e32 vcc, s2, v2
	;;#ASMSTART
	v_cvt_f16_f32 v0, v23;

	;;#ASMEND
	global_store_short v1, v0, s[0:1]
	s_and_b64 exec, exec, vcc
	s_cbranch_execz .LBB262_255
; %bb.254:
	v_mov_b32_e32 v2, s1
	v_add_co_u32_e32 v0, vcc, s0, v1
	v_addc_co_u32_e32 v1, vcc, 0, v2, vcc
	;;#ASMSTART
	v_cvt_f16_f32 v2, v5;

	;;#ASMEND
	global_store_short v[0:1], v2, off offset:128
.LBB262_255:
	s_endpgm
	.section	.rodata,"a",@progbits
	.p2align	6, 0x0
	.amdhsa_kernel _ZN4vllm25paged_attention_v2_kernelIthLi120ELi8ELi128ELNS_18Fp8KVCacheDataTypeE1ELb1ELi512EEEvPfS2_PT_PKS3_PKT0_S9_ifPKiSB_iPKfiiiSD_SD_iiiii
		.amdhsa_group_segment_fixed_size 256
		.amdhsa_private_segment_fixed_size 0
		.amdhsa_kernarg_size 400
		.amdhsa_user_sgpr_count 6
		.amdhsa_user_sgpr_private_segment_buffer 1
		.amdhsa_user_sgpr_dispatch_ptr 0
		.amdhsa_user_sgpr_queue_ptr 0
		.amdhsa_user_sgpr_kernarg_segment_ptr 1
		.amdhsa_user_sgpr_dispatch_id 0
		.amdhsa_user_sgpr_flat_scratch_init 0
		.amdhsa_user_sgpr_kernarg_preload_length 0
		.amdhsa_user_sgpr_kernarg_preload_offset 0
		.amdhsa_user_sgpr_private_segment_size 0
		.amdhsa_uses_dynamic_stack 0
		.amdhsa_system_sgpr_private_segment_wavefront_offset 0
		.amdhsa_system_sgpr_workgroup_id_x 1
		.amdhsa_system_sgpr_workgroup_id_y 1
		.amdhsa_system_sgpr_workgroup_id_z 1
		.amdhsa_system_sgpr_workgroup_info 0
		.amdhsa_system_vgpr_workitem_id 0
		.amdhsa_next_free_vgpr 52
		.amdhsa_next_free_sgpr 64
		.amdhsa_accum_offset 52
		.amdhsa_reserve_vcc 1
		.amdhsa_reserve_flat_scratch 0
		.amdhsa_float_round_mode_32 0
		.amdhsa_float_round_mode_16_64 0
		.amdhsa_float_denorm_mode_32 3
		.amdhsa_float_denorm_mode_16_64 3
		.amdhsa_dx10_clamp 1
		.amdhsa_ieee_mode 1
		.amdhsa_fp16_overflow 0
		.amdhsa_tg_split 0
		.amdhsa_exception_fp_ieee_invalid_op 0
		.amdhsa_exception_fp_denorm_src 0
		.amdhsa_exception_fp_ieee_div_zero 0
		.amdhsa_exception_fp_ieee_overflow 0
		.amdhsa_exception_fp_ieee_underflow 0
		.amdhsa_exception_fp_ieee_inexact 0
		.amdhsa_exception_int_div_zero 0
	.end_amdhsa_kernel
	.section	.text._ZN4vllm25paged_attention_v2_kernelIthLi120ELi8ELi128ELNS_18Fp8KVCacheDataTypeE1ELb1ELi512EEEvPfS2_PT_PKS3_PKT0_S9_ifPKiSB_iPKfiiiSD_SD_iiiii,"axG",@progbits,_ZN4vllm25paged_attention_v2_kernelIthLi120ELi8ELi128ELNS_18Fp8KVCacheDataTypeE1ELb1ELi512EEEvPfS2_PT_PKS3_PKT0_S9_ifPKiSB_iPKfiiiSD_SD_iiiii,comdat
.Lfunc_end262:
	.size	_ZN4vllm25paged_attention_v2_kernelIthLi120ELi8ELi128ELNS_18Fp8KVCacheDataTypeE1ELb1ELi512EEEvPfS2_PT_PKS3_PKT0_S9_ifPKiSB_iPKfiiiSD_SD_iiiii, .Lfunc_end262-_ZN4vllm25paged_attention_v2_kernelIthLi120ELi8ELi128ELNS_18Fp8KVCacheDataTypeE1ELb1ELi512EEEvPfS2_PT_PKS3_PKT0_S9_ifPKiSB_iPKfiiiSD_SD_iiiii
                                        ; -- End function
	.section	.AMDGPU.csdata,"",@progbits
; Kernel info:
; codeLenInByte = 11624
; NumSgprs: 68
; NumVgprs: 52
; NumAgprs: 0
; TotalNumVgprs: 52
; ScratchSize: 0
; MemoryBound: 0
; FloatMode: 240
; IeeeMode: 1
; LDSByteSize: 256 bytes/workgroup (compile time only)
; SGPRBlocks: 8
; VGPRBlocks: 6
; NumSGPRsForWavesPerEU: 68
; NumVGPRsForWavesPerEU: 52
; AccumOffset: 52
; Occupancy: 8
; WaveLimiterHint : 1
; COMPUTE_PGM_RSRC2:SCRATCH_EN: 0
; COMPUTE_PGM_RSRC2:USER_SGPR: 6
; COMPUTE_PGM_RSRC2:TRAP_HANDLER: 0
; COMPUTE_PGM_RSRC2:TGID_X_EN: 1
; COMPUTE_PGM_RSRC2:TGID_Y_EN: 1
; COMPUTE_PGM_RSRC2:TGID_Z_EN: 1
; COMPUTE_PGM_RSRC2:TIDIG_COMP_CNT: 0
; COMPUTE_PGM_RSRC3_GFX90A:ACCUM_OFFSET: 12
; COMPUTE_PGM_RSRC3_GFX90A:TG_SPLIT: 0
	.section	.text._ZN4vllm25paged_attention_v2_kernelIthLi128ELi8ELi128ELNS_18Fp8KVCacheDataTypeE1ELb1ELi512EEEvPfS2_PT_PKS3_PKT0_S9_ifPKiSB_iPKfiiiSD_SD_iiiii,"axG",@progbits,_ZN4vllm25paged_attention_v2_kernelIthLi128ELi8ELi128ELNS_18Fp8KVCacheDataTypeE1ELb1ELi512EEEvPfS2_PT_PKS3_PKT0_S9_ifPKiSB_iPKfiiiSD_SD_iiiii,comdat
	.protected	_ZN4vllm25paged_attention_v2_kernelIthLi128ELi8ELi128ELNS_18Fp8KVCacheDataTypeE1ELb1ELi512EEEvPfS2_PT_PKS3_PKT0_S9_ifPKiSB_iPKfiiiSD_SD_iiiii ; -- Begin function _ZN4vllm25paged_attention_v2_kernelIthLi128ELi8ELi128ELNS_18Fp8KVCacheDataTypeE1ELb1ELi512EEEvPfS2_PT_PKS3_PKT0_S9_ifPKiSB_iPKfiiiSD_SD_iiiii
	.globl	_ZN4vllm25paged_attention_v2_kernelIthLi128ELi8ELi128ELNS_18Fp8KVCacheDataTypeE1ELb1ELi512EEEvPfS2_PT_PKS3_PKT0_S9_ifPKiSB_iPKfiiiSD_SD_iiiii
	.p2align	8
	.type	_ZN4vllm25paged_attention_v2_kernelIthLi128ELi8ELi128ELNS_18Fp8KVCacheDataTypeE1ELb1ELi512EEEvPfS2_PT_PKS3_PKT0_S9_ifPKiSB_iPKfiiiSD_SD_iiiii,@function
_ZN4vllm25paged_attention_v2_kernelIthLi128ELi8ELi128ELNS_18Fp8KVCacheDataTypeE1ELb1ELi512EEEvPfS2_PT_PKS3_PKT0_S9_ifPKiSB_iPKfiiiSD_SD_iiiii: ; @_ZN4vllm25paged_attention_v2_kernelIthLi128ELi8ELi128ELNS_18Fp8KVCacheDataTypeE1ELb1ELi512EEEvPfS2_PT_PKS3_PKT0_S9_ifPKiSB_iPKfiiiSD_SD_iiiii
; %bb.0:
	s_load_dwordx2 s[0:1], s[4:5], 0x40
	s_mov_b32 s34, s7
	s_ashr_i32 s35, s7, 31
	s_lshl_b64 s[2:3], s[34:35], 2
	s_waitcnt lgkmcnt(0)
	s_add_u32 s0, s0, s2
	s_addc_u32 s1, s1, s3
	s_load_dword s33, s[0:1], 0x0
	s_lshl_b32 s54, s8, 9
	s_waitcnt lgkmcnt(0)
	s_cmp_ge_i32 s54, s33
	s_cbranch_scc1 .LBB263_255
; %bb.1:
	s_load_dword s9, s[4:5], 0x90
	s_load_dwordx2 s[42:43], s[4:5], 0x30
	s_mov_b32 s55, 0
	s_waitcnt lgkmcnt(0)
	s_abs_i32 s2, s9
	s_abs_i32 s0, s42
	v_cvt_f32_u32_e32 v1, s0
	s_sub_i32 s3, 0, s0
	s_xor_b32 s1, s9, s42
	s_ashr_i32 s1, s1, 31
	v_rcp_iflag_f32_e32 v1, v1
	v_mul_f32_e32 v1, 0x4f7ffffe, v1
	v_cvt_u32_f32_e32 v1, v1
	v_readfirstlane_b32 s7, v1
	s_mul_i32 s3, s3, s7
	s_mul_hi_u32 s3, s7, s3
	s_add_i32 s7, s7, s3
	s_mul_hi_u32 s3, s2, s7
	s_mul_i32 s7, s3, s0
	s_sub_i32 s2, s2, s7
	s_add_i32 s10, s3, 1
	s_sub_i32 s7, s2, s0
	s_cmp_ge_u32 s2, s0
	s_cselect_b32 s3, s10, s3
	s_cselect_b32 s2, s7, s2
	s_add_i32 s7, s3, 1
	s_cmp_ge_u32 s2, s0
	s_cselect_b32 s0, s7, s3
	s_xor_b32 s0, s0, s1
	s_sub_i32 s11, s0, s1
	s_abs_i32 s2, s11
	v_cvt_f32_u32_e32 v1, s2
	s_load_dwordx2 s[0:1], s[4:5], 0x50
	s_sub_i32 s7, 0, s2
	s_abs_i32 s3, s6
	v_rcp_iflag_f32_e32 v1, v1
	v_mul_f32_e32 v1, 0x4f7ffffe, v1
	v_cvt_u32_f32_e32 v1, v1
	v_readfirstlane_b32 s10, v1
	s_mul_i32 s7, s7, s10
	s_mul_hi_u32 s7, s10, s7
	s_add_i32 s10, s10, s7
	s_waitcnt lgkmcnt(0)
	s_cmp_eq_u64 s[0:1], 0
	s_mul_hi_u32 s10, s3, s10
	s_cbranch_scc1 .LBB263_3
; %bb.2:
	s_ashr_i32 s7, s6, 31
	s_lshl_b64 s[12:13], s[6:7], 2
	s_add_u32 s0, s0, s12
	s_addc_u32 s1, s1, s13
	s_load_dword s55, s[0:1], 0x0
.LBB263_3:
	s_load_dwordx4 s[16:19], s[4:5], 0x58
	s_movk_i32 s0, 0x80
	s_ashr_i32 s7, s6, 31
	s_ashr_i32 s11, s11, 31
	v_and_b32_e32 v4, 7, v0
	s_lshl_b32 s28, s6, 7
	v_cmp_gt_u32_e32 vcc, s0, v0
	v_lshlrev_b32_e32 v1, 1, v0
	s_and_saveexec_b64 s[0:1], vcc
	s_cbranch_execz .LBB263_5
; %bb.4:
	s_load_dwordx2 s[12:13], s[4:5], 0x18
	s_waitcnt lgkmcnt(0)
	s_mul_i32 s14, s34, s16
	s_ashr_i32 s15, s14, 31
	s_lshl_b64 s[14:15], s[14:15], 1
	v_lshrrev_b32_e32 v3, 2, v0
	s_add_u32 s14, s12, s14
	s_addc_u32 s15, s13, s15
	s_ashr_i32 s29, s28, 31
	s_lshl_b64 s[12:13], s[28:29], 1
	s_add_u32 s12, s14, s12
	s_addc_u32 s13, s15, s13
	global_load_ushort v2, v1, s[12:13]
	v_and_b32_e32 v3, 0xfe, v3
	v_lshl_add_u32 v3, v4, 5, v3
	s_waitcnt vmcnt(0)
	ds_write_b16 v3, v2
.LBB263_5:
	s_or_b64 exec, exec, s[0:1]
	s_mul_i32 s1, s10, s2
	s_sub_i32 s1, s3, s1
	s_xor_b32 s0, s7, s11
	s_add_i32 s3, s10, 1
	s_sub_i32 s7, s1, s2
	s_load_dwordx4 s[20:23], s[4:5], 0x78
	s_cmp_ge_u32 s1, s2
	s_cselect_b32 s3, s3, s10
	s_load_dword s10, s[4:5], 0x88
	s_cselect_b32 s1, s7, s1
	s_add_i32 s7, s3, 1
	s_cmp_ge_u32 s1, s2
	s_cselect_b32 s1, s7, s3
	s_waitcnt lgkmcnt(0)
	s_abs_i32 s29, s23
	v_cvt_f32_u32_e32 v2, s29
	s_xor_b32 s1, s1, s0
	s_sub_i32 s2, s1, s0
	s_sub_i32 s0, 0, s29
	v_rcp_iflag_f32_e32 v2, v2
	s_add_i32 s11, s33, -1
	s_abs_i32 s3, s11
	v_mul_f32_e32 v2, 0x4f7ffffe, v2
	v_cvt_u32_f32_e32 v2, v2
	s_barrier
	v_readfirstlane_b32 s35, v2
	s_mul_i32 s0, s0, s35
	s_mul_hi_u32 s0, s35, s0
	s_add_i32 s35, s35, s0
	s_cmp_lt_i32 s10, 0
	s_mul_hi_u32 s7, s3, s35
	s_cbranch_scc0 .LBB263_7
; %bb.6:
	s_mul_i32 s0, s20, s42
	s_add_i32 s0, s2, s0
	s_mul_i32 s0, s0, s10
	s_sub_i32 s42, 1, s0
	s_mov_b64 s[0:1], 0
	s_branch .LBB263_8
.LBB263_7:
	s_mov_b64 s[0:1], -1
                                        ; implicit-def: $sgpr42
.LBB263_8:
	s_load_dwordx2 s[36:37], s[4:5], 0x38
	s_ashr_i32 s11, s11, 31
	s_andn2_b64 vcc, exec, s[0:1]
	s_ashr_i32 s52, s23, 31
	s_cbranch_vccnz .LBB263_10
; %bb.9:
	s_mul_i32 s0, s9, s20
	s_add_i32 s0, s0, s6
	s_mul_i32 s0, s0, s10
	s_add_i32 s42, s0, 1
.LBB263_10:
	s_load_dwordx2 s[40:41], s[4:5], 0x28
	s_load_dword s0, s[4:5], 0x48
	s_load_dwordx4 s[24:27], s[4:5], 0x0
	s_load_dwordx2 s[30:31], s[4:5], 0x10
	s_load_dword s23, s[4:5], 0x98
	s_load_dwordx4 s[12:15], s[4:5], 0x68
	s_mul_i32 s1, s7, s29
	s_waitcnt lgkmcnt(0)
	s_mul_i32 s38, s34, s0
	s_sub_i32 s1, s3, s1
	s_ashr_i32 s39, s38, 31
	s_xor_b32 s0, s11, s52
	s_add_i32 s3, s7, 1
	s_sub_i32 s10, s1, s29
	s_cmp_ge_u32 s1, s29
	s_cselect_b32 s3, s3, s7
	s_cselect_b32 s1, s10, s1
	s_add_i32 s7, s3, 1
	s_cmp_ge_u32 s1, s29
	s_cselect_b32 s1, s7, s3
	s_xor_b32 s1, s1, s0
	s_sub_i32 s7, s1, s0
	s_add_i32 s0, s33, 7
	s_ashr_i32 s1, s0, 31
	s_lshr_b32 s1, s1, 29
	s_add_i32 s0, s0, s1
	s_lshl_b32 s56, s8, 6
	s_ashr_i32 s16, s0, 3
	s_add_i32 s0, s56, 64
	v_lshrrev_b32_e32 v13, 6, v0
	s_min_i32 s53, s0, s16
	v_or_b32_e32 v2, s56, v13
	v_cmp_gt_i32_e64 s[0:1], s53, v2
	v_mov_b32_e32 v18, 0xff7fffff
	s_mul_i32 s20, s2, s18
	v_ashrrev_i32_e32 v3, 31, v2
	v_lshl_add_u32 v15, v13, 3, s54
	v_mbcnt_lo_u32_b32 v5, -1, 0
	s_and_saveexec_b64 s[18:19], s[0:1]
	s_cbranch_execz .LBB263_116
; %bb.11:
	s_load_dwordx2 s[2:3], s[4:5], 0x20
	s_sub_i32 s57, s7, s21
	s_ashr_i32 s4, s20, 31
	v_bfe_u32 v14, v0, 3, 3
	v_lshlrev_b32_e32 v7, 4, v14
	s_waitcnt lgkmcnt(0)
	s_add_u32 s2, s2, s20
	s_addc_u32 s3, s3, s4
	s_abs_i32 s59, s22
	v_cvt_f32_u32_e32 v6, s59
	v_mov_b32_e32 v8, s3
	s_sub_i32 s4, 0, s59
	v_cmp_eq_u32_e32 vcc, 0, v4
	v_rcp_iflag_f32_e32 v9, v6
	v_add_co_u32_e64 v6, s[2:3], s2, v7
	v_addc_co_u32_e64 v7, s[2:3], 0, v8, s[2:3]
	v_mul_f32_e32 v8, 0x4f7ffffe, v9
	v_cvt_u32_f32_e32 v8, v8
	s_mov_b32 s58, s17
	v_mov_b32_e32 v16, 0
	v_lshlrev_b32_e32 v17, 5, v4
	v_mul_lo_u32 v9, s4, v8
	s_lshl_b64 s[4:5], s[38:39], 2
	v_mul_hi_u32 v9, v8, v9
	s_add_u32 s4, s36, s4
	v_add_u32_e32 v19, v8, v9
	v_lshlrev_b64 v[8:9], 2, v[2:3]
	s_addc_u32 s5, s37, s5
	v_mov_b32_e32 v10, s5
	v_add_co_u32_e64 v8, s[4:5], s4, v8
	v_addc_co_u32_e64 v9, s[4:5], v10, v9, s[4:5]
	v_lshlrev_b32_e32 v10, 2, v14
	v_lshl_or_b32 v10, v13, 5, v10
	v_add_u32_e32 v21, 0x110, v10
	v_subrev_u32_e32 v10, s33, v14
	v_cmp_neq_f32_e64 s[2:3], s55, 0
	v_lshl_add_u32 v20, v13, 3, s54
	v_add_u32_e32 v22, 1, v10
	s_mov_b64 s[44:45], 0
	v_mov_b32_e32 v23, 0xff7fffff
	s_movk_i32 s60, 0x80
	s_movk_i32 s61, 0x7f
	v_bfrev_b32_e32 v24, 60
	v_mbcnt_hi_u32_b32 v25, -1, v5
	v_mov_b32_e32 v18, 0xff7fffff
	v_mov_b32_e32 v26, v2
	s_branch .LBB263_14
.LBB263_12:                             ;   in Loop: Header=BB263_14 Depth=1
	s_or_b64 exec, exec, s[46:47]
.LBB263_13:                             ;   in Loop: Header=BB263_14 Depth=1
	s_or_b64 exec, exec, s[10:11]
	v_add_co_u32_e64 v8, s[4:5], 8, v8
	v_add_u32_e32 v26, 2, v26
	v_addc_co_u32_e64 v9, s[4:5], 0, v9, s[4:5]
	v_cmp_le_i32_e64 s[4:5], s53, v26
	v_add_u32_e32 v20, 16, v20
	s_or_b64 s[44:45], s[4:5], s[44:45]
	v_add_u32_e32 v21, 64, v21
	s_andn2_b64 exec, exec, s[44:45]
	s_cbranch_execz .LBB263_115
.LBB263_14:                             ; =>This Inner Loop Header: Depth=1
	s_waitcnt lgkmcnt(0)
	v_sub_u32_e32 v11, 0, v20
	v_max_i32_e32 v11, v20, v11
	v_mul_hi_u32 v12, v11, s35
	v_mul_lo_u32 v27, v12, s29
	v_sub_u32_e32 v11, v11, v27
	v_add_u32_e32 v27, 1, v12
	v_cmp_le_u32_e64 s[4:5], s29, v11
	v_cndmask_b32_e64 v12, v12, v27, s[4:5]
	v_subrev_u32_e32 v27, s29, v11
	v_cndmask_b32_e64 v11, v11, v27, s[4:5]
	v_ashrrev_i32_e32 v10, 31, v20
	v_add_u32_e32 v27, 1, v12
	v_cmp_le_u32_e64 s[4:5], s29, v11
	v_xor_b32_e32 v10, s52, v10
	v_cndmask_b32_e64 v11, v12, v27, s[4:5]
	v_xor_b32_e32 v11, v11, v10
	v_sub_u32_e32 v10, v11, v10
	v_add_u32_e32 v11, s42, v10
	v_sub_u32_e32 v27, 0, v11
	v_ashrrev_i32_e32 v12, 31, v11
	v_max_i32_e32 v11, v11, v27
	v_mul_hi_u32 v27, v11, v19
	v_mul_lo_u32 v27, v27, s59
	v_sub_u32_e32 v11, v11, v27
	v_subrev_u32_e32 v27, s59, v11
	v_cmp_le_u32_e64 s[4:5], s59, v11
	v_cndmask_b32_e64 v11, v11, v27, s[4:5]
	v_subrev_u32_e32 v27, s59, v11
	v_cmp_le_u32_e64 s[4:5], s59, v11
	v_cndmask_b32_e64 v11, v11, v27, s[4:5]
	v_xor_b32_e32 v11, v11, v12
	v_sub_u32_e32 v11, v11, v12
	v_cmp_ne_u32_e64 s[4:5], 0, v11
	v_cmp_ge_i32_e64 s[10:11], s57, v10
	s_and_b64 s[4:5], s[4:5], s[10:11]
	s_and_b64 s[46:47], vcc, s[4:5]
	s_and_saveexec_b64 s[10:11], s[46:47]
	s_cbranch_execz .LBB263_16
; %bb.15:                               ;   in Loop: Header=BB263_14 Depth=1
	ds_write_b32 v21, v23
.LBB263_16:                             ;   in Loop: Header=BB263_14 Depth=1
	s_or_b64 exec, exec, s[10:11]
	s_xor_b64 s[4:5], s[4:5], -1
	s_and_saveexec_b64 s[10:11], s[4:5]
	s_cbranch_execz .LBB263_13
; %bb.17:                               ;   in Loop: Header=BB263_14 Depth=1
	global_load_dword v10, v[8:9], off
	v_mov_b32_e32 v28, 0
	v_mov_b32_e32 v29, 0
	s_waitcnt vmcnt(0)
	v_mad_i64_i32 v[10:11], s[4:5], v10, s58, v[6:7]
	v_add_co_u32_e64 v10, s[4:5], v10, v4
	v_addc_co_u32_e64 v11, s[4:5], 0, v11, s[4:5]
	global_load_ubyte v30, v[10:11], off
	global_load_dword v27, v16, s[12:13]
	s_waitcnt vmcnt(1)
	v_cmp_ne_u16_e64 s[4:5], 0, v30
	s_and_saveexec_b64 s[46:47], s[4:5]
	s_cbranch_execz .LBB263_23
; %bb.18:                               ;   in Loop: Header=BB263_14 Depth=1
	v_cmp_ne_u16_e64 s[4:5], s60, v30
	v_bfrev_b32_e32 v29, 1
	s_and_saveexec_b64 s[48:49], s[4:5]
	s_cbranch_execz .LBB263_22
; %bb.19:                               ;   in Loop: Header=BB263_14 Depth=1
	v_and_b32_e32 v12, 0xffff, v30
	v_and_b32_e32 v31, 0x7f, v12
	v_cmp_ne_u32_e64 s[4:5], s61, v31
	v_mov_b32_e32 v29, 0x7f800001
	s_and_saveexec_b64 s[50:51], s[4:5]
	s_cbranch_execz .LBB263_21
; %bb.20:                               ;   in Loop: Header=BB263_14 Depth=1
	v_and_b32_e32 v29, 7, v12
	v_ffbh_u32_e32 v32, v29
	v_min_u32_e32 v35, 32, v32
	v_subrev_u32_e32 v32, 28, v35
	v_lshlrev_b64 v[32:33], v32, v[12:13]
	v_lshrrev_b32_e32 v34, 3, v31
	v_sub_u32_e32 v12, 29, v35
	v_and_b32_e32 v32, 7, v32
	v_cmp_gt_u32_e64 s[4:5], 8, v31
	v_cndmask_b32_e64 v12, v34, v12, s[4:5]
	v_cndmask_b32_e64 v29, v29, v32, s[4:5]
	v_lshlrev_b32_e32 v30, 24, v30
	v_lshlrev_b32_e32 v29, 20, v29
	v_and_b32_e32 v30, 0x80000000, v30
	v_lshl_add_u32 v12, v12, 23, v24
	v_or3_b32 v29, v30, v12, v29
.LBB263_21:                             ;   in Loop: Header=BB263_14 Depth=1
	s_or_b64 exec, exec, s[50:51]
.LBB263_22:                             ;   in Loop: Header=BB263_14 Depth=1
	s_or_b64 exec, exec, s[48:49]
.LBB263_23:                             ;   in Loop: Header=BB263_14 Depth=1
	s_or_b64 exec, exec, s[46:47]
	global_load_ubyte v30, v[10:11], off offset:8
	s_waitcnt vmcnt(0)
	v_cmp_ne_u16_e64 s[4:5], 0, v30
	s_and_saveexec_b64 s[46:47], s[4:5]
	s_cbranch_execz .LBB263_29
; %bb.24:                               ;   in Loop: Header=BB263_14 Depth=1
	v_cmp_ne_u16_e64 s[4:5], s60, v30
	v_bfrev_b32_e32 v28, 1
	s_and_saveexec_b64 s[48:49], s[4:5]
	s_cbranch_execz .LBB263_28
; %bb.25:                               ;   in Loop: Header=BB263_14 Depth=1
	v_and_b32_e32 v12, 0xffff, v30
	v_and_b32_e32 v31, 0x7f, v12
	v_cmp_ne_u32_e64 s[4:5], s61, v31
	v_mov_b32_e32 v28, 0x7f800001
	s_and_saveexec_b64 s[50:51], s[4:5]
	s_cbranch_execz .LBB263_27
; %bb.26:                               ;   in Loop: Header=BB263_14 Depth=1
	v_and_b32_e32 v28, 7, v12
	v_ffbh_u32_e32 v32, v28
	v_min_u32_e32 v35, 32, v32
	v_subrev_u32_e32 v32, 28, v35
	v_lshlrev_b64 v[32:33], v32, v[12:13]
	v_lshrrev_b32_e32 v34, 3, v31
	v_sub_u32_e32 v12, 29, v35
	v_and_b32_e32 v32, 7, v32
	v_cmp_gt_u32_e64 s[4:5], 8, v31
	v_cndmask_b32_e64 v12, v34, v12, s[4:5]
	v_cndmask_b32_e64 v28, v28, v32, s[4:5]
	v_lshlrev_b32_e32 v30, 24, v30
	v_lshlrev_b32_e32 v28, 20, v28
	v_and_b32_e32 v30, 0x80000000, v30
	v_lshl_add_u32 v12, v12, 23, v24
	v_or3_b32 v28, v30, v12, v28
.LBB263_27:                             ;   in Loop: Header=BB263_14 Depth=1
	s_or_b64 exec, exec, s[50:51]
.LBB263_28:                             ;   in Loop: Header=BB263_14 Depth=1
	s_or_b64 exec, exec, s[48:49]
.LBB263_29:                             ;   in Loop: Header=BB263_14 Depth=1
	s_or_b64 exec, exec, s[46:47]
	global_load_ubyte v32, v[10:11], off offset:128
	v_mov_b32_e32 v30, 0
	v_mov_b32_e32 v31, 0
	s_waitcnt vmcnt(0)
	v_cmp_ne_u16_e64 s[4:5], 0, v32
	s_and_saveexec_b64 s[46:47], s[4:5]
	s_cbranch_execz .LBB263_35
; %bb.30:                               ;   in Loop: Header=BB263_14 Depth=1
	v_cmp_ne_u16_e64 s[4:5], s60, v32
	v_bfrev_b32_e32 v31, 1
	s_and_saveexec_b64 s[48:49], s[4:5]
	s_cbranch_execz .LBB263_34
; %bb.31:                               ;   in Loop: Header=BB263_14 Depth=1
	v_and_b32_e32 v12, 0xffff, v32
	v_and_b32_e32 v33, 0x7f, v12
	v_cmp_ne_u32_e64 s[4:5], s61, v33
	v_mov_b32_e32 v31, 0x7f800001
	s_and_saveexec_b64 s[50:51], s[4:5]
	s_cbranch_execz .LBB263_33
; %bb.32:                               ;   in Loop: Header=BB263_14 Depth=1
	v_and_b32_e32 v31, 7, v12
	v_ffbh_u32_e32 v34, v31
	v_min_u32_e32 v37, 32, v34
	v_subrev_u32_e32 v34, 28, v37
	v_lshlrev_b64 v[34:35], v34, v[12:13]
	v_lshrrev_b32_e32 v36, 3, v33
	v_sub_u32_e32 v12, 29, v37
	v_and_b32_e32 v34, 7, v34
	v_cmp_gt_u32_e64 s[4:5], 8, v33
	v_cndmask_b32_e64 v12, v36, v12, s[4:5]
	v_cndmask_b32_e64 v31, v31, v34, s[4:5]
	v_lshlrev_b32_e32 v32, 24, v32
	v_lshlrev_b32_e32 v31, 20, v31
	v_and_b32_e32 v32, 0x80000000, v32
	v_lshl_add_u32 v12, v12, 23, v24
	v_or3_b32 v31, v32, v12, v31
.LBB263_33:                             ;   in Loop: Header=BB263_14 Depth=1
	s_or_b64 exec, exec, s[50:51]
.LBB263_34:                             ;   in Loop: Header=BB263_14 Depth=1
	s_or_b64 exec, exec, s[48:49]
.LBB263_35:                             ;   in Loop: Header=BB263_14 Depth=1
	s_or_b64 exec, exec, s[46:47]
	global_load_ubyte v32, v[10:11], off offset:136
	s_waitcnt vmcnt(0)
	v_cmp_ne_u16_e64 s[4:5], 0, v32
	s_and_saveexec_b64 s[46:47], s[4:5]
	s_cbranch_execz .LBB263_41
; %bb.36:                               ;   in Loop: Header=BB263_14 Depth=1
	v_cmp_ne_u16_e64 s[4:5], s60, v32
	v_bfrev_b32_e32 v30, 1
	s_and_saveexec_b64 s[48:49], s[4:5]
	s_cbranch_execz .LBB263_40
; %bb.37:                               ;   in Loop: Header=BB263_14 Depth=1
	v_and_b32_e32 v12, 0xffff, v32
	v_and_b32_e32 v33, 0x7f, v12
	v_cmp_ne_u32_e64 s[4:5], s61, v33
	v_mov_b32_e32 v30, 0x7f800001
	s_and_saveexec_b64 s[50:51], s[4:5]
	s_cbranch_execz .LBB263_39
; %bb.38:                               ;   in Loop: Header=BB263_14 Depth=1
	v_and_b32_e32 v30, 7, v12
	v_ffbh_u32_e32 v34, v30
	v_min_u32_e32 v37, 32, v34
	v_subrev_u32_e32 v34, 28, v37
	v_lshlrev_b64 v[34:35], v34, v[12:13]
	v_lshrrev_b32_e32 v36, 3, v33
	v_sub_u32_e32 v12, 29, v37
	v_and_b32_e32 v34, 7, v34
	v_cmp_gt_u32_e64 s[4:5], 8, v33
	v_cndmask_b32_e64 v12, v36, v12, s[4:5]
	v_cndmask_b32_e64 v30, v30, v34, s[4:5]
	v_lshlrev_b32_e32 v32, 24, v32
	v_lshlrev_b32_e32 v30, 20, v30
	v_and_b32_e32 v32, 0x80000000, v32
	v_lshl_add_u32 v12, v12, 23, v24
	v_or3_b32 v30, v32, v12, v30
.LBB263_39:                             ;   in Loop: Header=BB263_14 Depth=1
	s_or_b64 exec, exec, s[50:51]
.LBB263_40:                             ;   in Loop: Header=BB263_14 Depth=1
	s_or_b64 exec, exec, s[48:49]
.LBB263_41:                             ;   in Loop: Header=BB263_14 Depth=1
	s_or_b64 exec, exec, s[46:47]
	global_load_ubyte v34, v[10:11], off offset:256
	v_mov_b32_e32 v32, 0
	v_mov_b32_e32 v33, 0
	s_waitcnt vmcnt(0)
	v_cmp_ne_u16_e64 s[4:5], 0, v34
	s_and_saveexec_b64 s[46:47], s[4:5]
	s_cbranch_execz .LBB263_47
; %bb.42:                               ;   in Loop: Header=BB263_14 Depth=1
	v_cmp_ne_u16_e64 s[4:5], s60, v34
	v_bfrev_b32_e32 v33, 1
	s_and_saveexec_b64 s[48:49], s[4:5]
	s_cbranch_execz .LBB263_46
; %bb.43:                               ;   in Loop: Header=BB263_14 Depth=1
	v_and_b32_e32 v12, 0xffff, v34
	v_and_b32_e32 v35, 0x7f, v12
	v_cmp_ne_u32_e64 s[4:5], s61, v35
	v_mov_b32_e32 v33, 0x7f800001
	s_and_saveexec_b64 s[50:51], s[4:5]
	s_cbranch_execz .LBB263_45
; %bb.44:                               ;   in Loop: Header=BB263_14 Depth=1
	v_and_b32_e32 v33, 7, v12
	v_ffbh_u32_e32 v36, v33
	v_min_u32_e32 v39, 32, v36
	v_subrev_u32_e32 v36, 28, v39
	v_lshlrev_b64 v[36:37], v36, v[12:13]
	v_lshrrev_b32_e32 v38, 3, v35
	v_sub_u32_e32 v12, 29, v39
	v_and_b32_e32 v36, 7, v36
	v_cmp_gt_u32_e64 s[4:5], 8, v35
	v_cndmask_b32_e64 v12, v38, v12, s[4:5]
	v_cndmask_b32_e64 v33, v33, v36, s[4:5]
	v_lshlrev_b32_e32 v34, 24, v34
	v_lshlrev_b32_e32 v33, 20, v33
	v_and_b32_e32 v34, 0x80000000, v34
	v_lshl_add_u32 v12, v12, 23, v24
	v_or3_b32 v33, v34, v12, v33
.LBB263_45:                             ;   in Loop: Header=BB263_14 Depth=1
	s_or_b64 exec, exec, s[50:51]
.LBB263_46:                             ;   in Loop: Header=BB263_14 Depth=1
	s_or_b64 exec, exec, s[48:49]
.LBB263_47:                             ;   in Loop: Header=BB263_14 Depth=1
	s_or_b64 exec, exec, s[46:47]
	global_load_ubyte v34, v[10:11], off offset:264
	s_waitcnt vmcnt(0)
	v_cmp_ne_u16_e64 s[4:5], 0, v34
	s_and_saveexec_b64 s[46:47], s[4:5]
	s_cbranch_execz .LBB263_53
; %bb.48:                               ;   in Loop: Header=BB263_14 Depth=1
	v_cmp_ne_u16_e64 s[4:5], s60, v34
	v_bfrev_b32_e32 v32, 1
	s_and_saveexec_b64 s[48:49], s[4:5]
	s_cbranch_execz .LBB263_52
; %bb.49:                               ;   in Loop: Header=BB263_14 Depth=1
	v_and_b32_e32 v12, 0xffff, v34
	v_and_b32_e32 v35, 0x7f, v12
	v_cmp_ne_u32_e64 s[4:5], s61, v35
	v_mov_b32_e32 v32, 0x7f800001
	s_and_saveexec_b64 s[50:51], s[4:5]
	s_cbranch_execz .LBB263_51
; %bb.50:                               ;   in Loop: Header=BB263_14 Depth=1
	v_and_b32_e32 v32, 7, v12
	v_ffbh_u32_e32 v36, v32
	v_min_u32_e32 v39, 32, v36
	v_subrev_u32_e32 v36, 28, v39
	v_lshlrev_b64 v[36:37], v36, v[12:13]
	v_lshrrev_b32_e32 v38, 3, v35
	v_sub_u32_e32 v12, 29, v39
	v_and_b32_e32 v36, 7, v36
	v_cmp_gt_u32_e64 s[4:5], 8, v35
	v_cndmask_b32_e64 v12, v38, v12, s[4:5]
	v_cndmask_b32_e64 v32, v32, v36, s[4:5]
	v_lshlrev_b32_e32 v34, 24, v34
	v_lshlrev_b32_e32 v32, 20, v32
	v_and_b32_e32 v34, 0x80000000, v34
	v_lshl_add_u32 v12, v12, 23, v24
	v_or3_b32 v32, v34, v12, v32
.LBB263_51:                             ;   in Loop: Header=BB263_14 Depth=1
	s_or_b64 exec, exec, s[50:51]
.LBB263_52:                             ;   in Loop: Header=BB263_14 Depth=1
	s_or_b64 exec, exec, s[48:49]
.LBB263_53:                             ;   in Loop: Header=BB263_14 Depth=1
	s_or_b64 exec, exec, s[46:47]
	global_load_ubyte v36, v[10:11], off offset:384
	v_mov_b32_e32 v34, 0
	v_mov_b32_e32 v35, 0
	s_waitcnt vmcnt(0)
	v_cmp_ne_u16_e64 s[4:5], 0, v36
	s_and_saveexec_b64 s[46:47], s[4:5]
	s_cbranch_execz .LBB263_59
; %bb.54:                               ;   in Loop: Header=BB263_14 Depth=1
	v_cmp_ne_u16_e64 s[4:5], s60, v36
	v_bfrev_b32_e32 v35, 1
	s_and_saveexec_b64 s[48:49], s[4:5]
	s_cbranch_execz .LBB263_58
; %bb.55:                               ;   in Loop: Header=BB263_14 Depth=1
	v_and_b32_e32 v12, 0xffff, v36
	v_and_b32_e32 v37, 0x7f, v12
	v_cmp_ne_u32_e64 s[4:5], s61, v37
	v_mov_b32_e32 v35, 0x7f800001
	s_and_saveexec_b64 s[50:51], s[4:5]
	s_cbranch_execz .LBB263_57
; %bb.56:                               ;   in Loop: Header=BB263_14 Depth=1
	v_and_b32_e32 v35, 7, v12
	v_ffbh_u32_e32 v38, v35
	v_min_u32_e32 v41, 32, v38
	v_subrev_u32_e32 v38, 28, v41
	v_lshlrev_b64 v[38:39], v38, v[12:13]
	v_lshrrev_b32_e32 v40, 3, v37
	v_sub_u32_e32 v12, 29, v41
	v_and_b32_e32 v38, 7, v38
	v_cmp_gt_u32_e64 s[4:5], 8, v37
	v_cndmask_b32_e64 v12, v40, v12, s[4:5]
	v_cndmask_b32_e64 v35, v35, v38, s[4:5]
	v_lshlrev_b32_e32 v36, 24, v36
	v_lshlrev_b32_e32 v35, 20, v35
	v_and_b32_e32 v36, 0x80000000, v36
	v_lshl_add_u32 v12, v12, 23, v24
	v_or3_b32 v35, v36, v12, v35
.LBB263_57:                             ;   in Loop: Header=BB263_14 Depth=1
	s_or_b64 exec, exec, s[50:51]
.LBB263_58:                             ;   in Loop: Header=BB263_14 Depth=1
	s_or_b64 exec, exec, s[48:49]
.LBB263_59:                             ;   in Loop: Header=BB263_14 Depth=1
	s_or_b64 exec, exec, s[46:47]
	global_load_ubyte v36, v[10:11], off offset:392
	s_waitcnt vmcnt(0)
	v_cmp_ne_u16_e64 s[4:5], 0, v36
	s_and_saveexec_b64 s[46:47], s[4:5]
	s_cbranch_execz .LBB263_65
; %bb.60:                               ;   in Loop: Header=BB263_14 Depth=1
	v_cmp_ne_u16_e64 s[4:5], s60, v36
	v_bfrev_b32_e32 v34, 1
	s_and_saveexec_b64 s[48:49], s[4:5]
	s_cbranch_execz .LBB263_64
; %bb.61:                               ;   in Loop: Header=BB263_14 Depth=1
	v_and_b32_e32 v12, 0xffff, v36
	v_and_b32_e32 v37, 0x7f, v12
	v_cmp_ne_u32_e64 s[4:5], s61, v37
	v_mov_b32_e32 v34, 0x7f800001
	s_and_saveexec_b64 s[50:51], s[4:5]
	s_cbranch_execz .LBB263_63
; %bb.62:                               ;   in Loop: Header=BB263_14 Depth=1
	v_and_b32_e32 v34, 7, v12
	v_ffbh_u32_e32 v38, v34
	v_min_u32_e32 v41, 32, v38
	v_subrev_u32_e32 v38, 28, v41
	v_lshlrev_b64 v[38:39], v38, v[12:13]
	v_lshrrev_b32_e32 v40, 3, v37
	v_sub_u32_e32 v12, 29, v41
	v_and_b32_e32 v38, 7, v38
	v_cmp_gt_u32_e64 s[4:5], 8, v37
	v_cndmask_b32_e64 v12, v40, v12, s[4:5]
	v_cndmask_b32_e64 v34, v34, v38, s[4:5]
	v_lshlrev_b32_e32 v36, 24, v36
	v_lshlrev_b32_e32 v34, 20, v34
	v_and_b32_e32 v36, 0x80000000, v36
	v_lshl_add_u32 v12, v12, 23, v24
	v_or3_b32 v34, v36, v12, v34
.LBB263_63:                             ;   in Loop: Header=BB263_14 Depth=1
	s_or_b64 exec, exec, s[50:51]
.LBB263_64:                             ;   in Loop: Header=BB263_14 Depth=1
	s_or_b64 exec, exec, s[48:49]
.LBB263_65:                             ;   in Loop: Header=BB263_14 Depth=1
	s_or_b64 exec, exec, s[46:47]
	global_load_ubyte v38, v[10:11], off offset:512
	v_mov_b32_e32 v36, 0
	v_mov_b32_e32 v37, 0
	s_waitcnt vmcnt(0)
	v_cmp_ne_u16_e64 s[4:5], 0, v38
	s_and_saveexec_b64 s[46:47], s[4:5]
	s_cbranch_execz .LBB263_71
; %bb.66:                               ;   in Loop: Header=BB263_14 Depth=1
	v_cmp_ne_u16_e64 s[4:5], s60, v38
	v_bfrev_b32_e32 v37, 1
	s_and_saveexec_b64 s[48:49], s[4:5]
	s_cbranch_execz .LBB263_70
; %bb.67:                               ;   in Loop: Header=BB263_14 Depth=1
	v_and_b32_e32 v12, 0xffff, v38
	v_and_b32_e32 v39, 0x7f, v12
	v_cmp_ne_u32_e64 s[4:5], s61, v39
	v_mov_b32_e32 v37, 0x7f800001
	s_and_saveexec_b64 s[50:51], s[4:5]
	s_cbranch_execz .LBB263_69
; %bb.68:                               ;   in Loop: Header=BB263_14 Depth=1
	v_and_b32_e32 v37, 7, v12
	v_ffbh_u32_e32 v40, v37
	v_min_u32_e32 v43, 32, v40
	v_subrev_u32_e32 v40, 28, v43
	v_lshlrev_b64 v[40:41], v40, v[12:13]
	v_lshrrev_b32_e32 v42, 3, v39
	v_sub_u32_e32 v12, 29, v43
	v_and_b32_e32 v40, 7, v40
	v_cmp_gt_u32_e64 s[4:5], 8, v39
	v_cndmask_b32_e64 v12, v42, v12, s[4:5]
	v_cndmask_b32_e64 v37, v37, v40, s[4:5]
	v_lshlrev_b32_e32 v38, 24, v38
	v_lshlrev_b32_e32 v37, 20, v37
	v_and_b32_e32 v38, 0x80000000, v38
	v_lshl_add_u32 v12, v12, 23, v24
	v_or3_b32 v37, v38, v12, v37
.LBB263_69:                             ;   in Loop: Header=BB263_14 Depth=1
	s_or_b64 exec, exec, s[50:51]
.LBB263_70:                             ;   in Loop: Header=BB263_14 Depth=1
	s_or_b64 exec, exec, s[48:49]
.LBB263_71:                             ;   in Loop: Header=BB263_14 Depth=1
	s_or_b64 exec, exec, s[46:47]
	global_load_ubyte v38, v[10:11], off offset:520
	s_waitcnt vmcnt(0)
	v_cmp_ne_u16_e64 s[4:5], 0, v38
	s_and_saveexec_b64 s[46:47], s[4:5]
	s_cbranch_execz .LBB263_77
; %bb.72:                               ;   in Loop: Header=BB263_14 Depth=1
	v_cmp_ne_u16_e64 s[4:5], s60, v38
	v_bfrev_b32_e32 v36, 1
	s_and_saveexec_b64 s[48:49], s[4:5]
	s_cbranch_execz .LBB263_76
; %bb.73:                               ;   in Loop: Header=BB263_14 Depth=1
	v_and_b32_e32 v12, 0xffff, v38
	v_and_b32_e32 v39, 0x7f, v12
	v_cmp_ne_u32_e64 s[4:5], s61, v39
	v_mov_b32_e32 v36, 0x7f800001
	s_and_saveexec_b64 s[50:51], s[4:5]
	s_cbranch_execz .LBB263_75
; %bb.74:                               ;   in Loop: Header=BB263_14 Depth=1
	v_and_b32_e32 v36, 7, v12
	v_ffbh_u32_e32 v40, v36
	v_min_u32_e32 v43, 32, v40
	v_subrev_u32_e32 v40, 28, v43
	v_lshlrev_b64 v[40:41], v40, v[12:13]
	v_lshrrev_b32_e32 v42, 3, v39
	v_sub_u32_e32 v12, 29, v43
	v_and_b32_e32 v40, 7, v40
	v_cmp_gt_u32_e64 s[4:5], 8, v39
	v_cndmask_b32_e64 v12, v42, v12, s[4:5]
	v_cndmask_b32_e64 v36, v36, v40, s[4:5]
	v_lshlrev_b32_e32 v38, 24, v38
	v_lshlrev_b32_e32 v36, 20, v36
	v_and_b32_e32 v38, 0x80000000, v38
	v_lshl_add_u32 v12, v12, 23, v24
	v_or3_b32 v36, v38, v12, v36
.LBB263_75:                             ;   in Loop: Header=BB263_14 Depth=1
	s_or_b64 exec, exec, s[50:51]
.LBB263_76:                             ;   in Loop: Header=BB263_14 Depth=1
	s_or_b64 exec, exec, s[48:49]
.LBB263_77:                             ;   in Loop: Header=BB263_14 Depth=1
	s_or_b64 exec, exec, s[46:47]
	global_load_ubyte v40, v[10:11], off offset:640
	v_mov_b32_e32 v38, 0
	v_mov_b32_e32 v39, 0
	s_waitcnt vmcnt(0)
	v_cmp_ne_u16_e64 s[4:5], 0, v40
	s_and_saveexec_b64 s[46:47], s[4:5]
	s_cbranch_execz .LBB263_83
; %bb.78:                               ;   in Loop: Header=BB263_14 Depth=1
	v_cmp_ne_u16_e64 s[4:5], s60, v40
	v_bfrev_b32_e32 v39, 1
	s_and_saveexec_b64 s[48:49], s[4:5]
	s_cbranch_execz .LBB263_82
; %bb.79:                               ;   in Loop: Header=BB263_14 Depth=1
	v_and_b32_e32 v12, 0xffff, v40
	v_and_b32_e32 v41, 0x7f, v12
	v_cmp_ne_u32_e64 s[4:5], s61, v41
	v_mov_b32_e32 v39, 0x7f800001
	s_and_saveexec_b64 s[50:51], s[4:5]
	s_cbranch_execz .LBB263_81
; %bb.80:                               ;   in Loop: Header=BB263_14 Depth=1
	v_and_b32_e32 v39, 7, v12
	v_ffbh_u32_e32 v42, v39
	v_min_u32_e32 v45, 32, v42
	v_subrev_u32_e32 v42, 28, v45
	v_lshlrev_b64 v[42:43], v42, v[12:13]
	v_lshrrev_b32_e32 v44, 3, v41
	v_sub_u32_e32 v12, 29, v45
	v_and_b32_e32 v42, 7, v42
	v_cmp_gt_u32_e64 s[4:5], 8, v41
	v_cndmask_b32_e64 v12, v44, v12, s[4:5]
	v_cndmask_b32_e64 v39, v39, v42, s[4:5]
	v_lshlrev_b32_e32 v40, 24, v40
	v_lshlrev_b32_e32 v39, 20, v39
	v_and_b32_e32 v40, 0x80000000, v40
	v_lshl_add_u32 v12, v12, 23, v24
	v_or3_b32 v39, v40, v12, v39
.LBB263_81:                             ;   in Loop: Header=BB263_14 Depth=1
	s_or_b64 exec, exec, s[50:51]
.LBB263_82:                             ;   in Loop: Header=BB263_14 Depth=1
	s_or_b64 exec, exec, s[48:49]
.LBB263_83:                             ;   in Loop: Header=BB263_14 Depth=1
	s_or_b64 exec, exec, s[46:47]
	global_load_ubyte v40, v[10:11], off offset:648
	s_waitcnt vmcnt(0)
	v_cmp_ne_u16_e64 s[4:5], 0, v40
	s_and_saveexec_b64 s[46:47], s[4:5]
	s_cbranch_execz .LBB263_89
; %bb.84:                               ;   in Loop: Header=BB263_14 Depth=1
	v_cmp_ne_u16_e64 s[4:5], s60, v40
	v_bfrev_b32_e32 v38, 1
	s_and_saveexec_b64 s[48:49], s[4:5]
	s_cbranch_execz .LBB263_88
; %bb.85:                               ;   in Loop: Header=BB263_14 Depth=1
	v_and_b32_e32 v12, 0xffff, v40
	v_and_b32_e32 v41, 0x7f, v12
	v_cmp_ne_u32_e64 s[4:5], s61, v41
	v_mov_b32_e32 v38, 0x7f800001
	s_and_saveexec_b64 s[50:51], s[4:5]
	s_cbranch_execz .LBB263_87
; %bb.86:                               ;   in Loop: Header=BB263_14 Depth=1
	v_and_b32_e32 v38, 7, v12
	v_ffbh_u32_e32 v42, v38
	v_min_u32_e32 v45, 32, v42
	v_subrev_u32_e32 v42, 28, v45
	v_lshlrev_b64 v[42:43], v42, v[12:13]
	v_lshrrev_b32_e32 v44, 3, v41
	v_sub_u32_e32 v12, 29, v45
	v_and_b32_e32 v42, 7, v42
	v_cmp_gt_u32_e64 s[4:5], 8, v41
	v_cndmask_b32_e64 v12, v44, v12, s[4:5]
	v_cndmask_b32_e64 v38, v38, v42, s[4:5]
	v_lshlrev_b32_e32 v40, 24, v40
	v_lshlrev_b32_e32 v38, 20, v38
	v_and_b32_e32 v40, 0x80000000, v40
	v_lshl_add_u32 v12, v12, 23, v24
	v_or3_b32 v38, v40, v12, v38
.LBB263_87:                             ;   in Loop: Header=BB263_14 Depth=1
	s_or_b64 exec, exec, s[50:51]
.LBB263_88:                             ;   in Loop: Header=BB263_14 Depth=1
	s_or_b64 exec, exec, s[48:49]
.LBB263_89:                             ;   in Loop: Header=BB263_14 Depth=1
	s_or_b64 exec, exec, s[46:47]
	global_load_ubyte v42, v[10:11], off offset:768
	v_mov_b32_e32 v40, 0
	v_mov_b32_e32 v41, 0
	s_waitcnt vmcnt(0)
	v_cmp_ne_u16_e64 s[4:5], 0, v42
	s_and_saveexec_b64 s[46:47], s[4:5]
	s_cbranch_execz .LBB263_95
; %bb.90:                               ;   in Loop: Header=BB263_14 Depth=1
	v_cmp_ne_u16_e64 s[4:5], s60, v42
	v_bfrev_b32_e32 v41, 1
	s_and_saveexec_b64 s[48:49], s[4:5]
	s_cbranch_execz .LBB263_94
; %bb.91:                               ;   in Loop: Header=BB263_14 Depth=1
	v_and_b32_e32 v12, 0xffff, v42
	v_and_b32_e32 v43, 0x7f, v12
	v_cmp_ne_u32_e64 s[4:5], s61, v43
	v_mov_b32_e32 v41, 0x7f800001
	s_and_saveexec_b64 s[50:51], s[4:5]
	s_cbranch_execz .LBB263_93
; %bb.92:                               ;   in Loop: Header=BB263_14 Depth=1
	v_and_b32_e32 v41, 7, v12
	v_ffbh_u32_e32 v44, v41
	v_min_u32_e32 v47, 32, v44
	v_subrev_u32_e32 v44, 28, v47
	v_lshlrev_b64 v[44:45], v44, v[12:13]
	v_lshrrev_b32_e32 v46, 3, v43
	v_sub_u32_e32 v12, 29, v47
	v_and_b32_e32 v44, 7, v44
	v_cmp_gt_u32_e64 s[4:5], 8, v43
	v_cndmask_b32_e64 v12, v46, v12, s[4:5]
	v_cndmask_b32_e64 v41, v41, v44, s[4:5]
	v_lshlrev_b32_e32 v42, 24, v42
	v_lshlrev_b32_e32 v41, 20, v41
	v_and_b32_e32 v42, 0x80000000, v42
	v_lshl_add_u32 v12, v12, 23, v24
	v_or3_b32 v41, v42, v12, v41
.LBB263_93:                             ;   in Loop: Header=BB263_14 Depth=1
	s_or_b64 exec, exec, s[50:51]
.LBB263_94:                             ;   in Loop: Header=BB263_14 Depth=1
	s_or_b64 exec, exec, s[48:49]
.LBB263_95:                             ;   in Loop: Header=BB263_14 Depth=1
	s_or_b64 exec, exec, s[46:47]
	global_load_ubyte v42, v[10:11], off offset:776
	s_waitcnt vmcnt(0)
	v_cmp_ne_u16_e64 s[4:5], 0, v42
	s_and_saveexec_b64 s[46:47], s[4:5]
	s_cbranch_execz .LBB263_101
; %bb.96:                               ;   in Loop: Header=BB263_14 Depth=1
	v_cmp_ne_u16_e64 s[4:5], s60, v42
	v_bfrev_b32_e32 v40, 1
	s_and_saveexec_b64 s[48:49], s[4:5]
	s_cbranch_execz .LBB263_100
; %bb.97:                               ;   in Loop: Header=BB263_14 Depth=1
	v_and_b32_e32 v12, 0xffff, v42
	v_and_b32_e32 v43, 0x7f, v12
	v_cmp_ne_u32_e64 s[4:5], s61, v43
	v_mov_b32_e32 v40, 0x7f800001
	s_and_saveexec_b64 s[50:51], s[4:5]
	s_cbranch_execz .LBB263_99
; %bb.98:                               ;   in Loop: Header=BB263_14 Depth=1
	v_and_b32_e32 v40, 7, v12
	v_ffbh_u32_e32 v44, v40
	v_min_u32_e32 v47, 32, v44
	v_subrev_u32_e32 v44, 28, v47
	v_lshlrev_b64 v[44:45], v44, v[12:13]
	v_lshrrev_b32_e32 v46, 3, v43
	v_sub_u32_e32 v12, 29, v47
	v_and_b32_e32 v44, 7, v44
	v_cmp_gt_u32_e64 s[4:5], 8, v43
	v_cndmask_b32_e64 v12, v46, v12, s[4:5]
	v_cndmask_b32_e64 v40, v40, v44, s[4:5]
	v_lshlrev_b32_e32 v42, 24, v42
	v_lshlrev_b32_e32 v40, 20, v40
	v_and_b32_e32 v42, 0x80000000, v42
	v_lshl_add_u32 v12, v12, 23, v24
	v_or3_b32 v40, v42, v12, v40
.LBB263_99:                             ;   in Loop: Header=BB263_14 Depth=1
	s_or_b64 exec, exec, s[50:51]
.LBB263_100:                            ;   in Loop: Header=BB263_14 Depth=1
	s_or_b64 exec, exec, s[48:49]
.LBB263_101:                            ;   in Loop: Header=BB263_14 Depth=1
	s_or_b64 exec, exec, s[46:47]
	global_load_ubyte v44, v[10:11], off offset:896
	v_mov_b32_e32 v42, 0
	v_mov_b32_e32 v43, 0
	s_waitcnt vmcnt(0)
	v_cmp_ne_u16_e64 s[4:5], 0, v44
	s_and_saveexec_b64 s[46:47], s[4:5]
	s_cbranch_execz .LBB263_107
; %bb.102:                              ;   in Loop: Header=BB263_14 Depth=1
	v_cmp_ne_u16_e64 s[4:5], s60, v44
	v_bfrev_b32_e32 v43, 1
	s_and_saveexec_b64 s[48:49], s[4:5]
	s_cbranch_execz .LBB263_106
; %bb.103:                              ;   in Loop: Header=BB263_14 Depth=1
	v_and_b32_e32 v12, 0xffff, v44
	v_and_b32_e32 v45, 0x7f, v12
	v_cmp_ne_u32_e64 s[4:5], s61, v45
	v_mov_b32_e32 v43, 0x7f800001
	s_and_saveexec_b64 s[50:51], s[4:5]
	s_cbranch_execz .LBB263_105
; %bb.104:                              ;   in Loop: Header=BB263_14 Depth=1
	v_and_b32_e32 v43, 7, v12
	v_ffbh_u32_e32 v46, v43
	v_min_u32_e32 v49, 32, v46
	v_subrev_u32_e32 v46, 28, v49
	v_lshlrev_b64 v[46:47], v46, v[12:13]
	v_lshrrev_b32_e32 v48, 3, v45
	v_sub_u32_e32 v12, 29, v49
	v_and_b32_e32 v46, 7, v46
	v_cmp_gt_u32_e64 s[4:5], 8, v45
	v_cndmask_b32_e64 v12, v48, v12, s[4:5]
	v_cndmask_b32_e64 v43, v43, v46, s[4:5]
	v_lshlrev_b32_e32 v44, 24, v44
	v_lshlrev_b32_e32 v43, 20, v43
	v_and_b32_e32 v44, 0x80000000, v44
	v_lshl_add_u32 v12, v12, 23, v24
	v_or3_b32 v43, v44, v12, v43
.LBB263_105:                            ;   in Loop: Header=BB263_14 Depth=1
	s_or_b64 exec, exec, s[50:51]
.LBB263_106:                            ;   in Loop: Header=BB263_14 Depth=1
	s_or_b64 exec, exec, s[48:49]
.LBB263_107:                            ;   in Loop: Header=BB263_14 Depth=1
	s_or_b64 exec, exec, s[46:47]
	global_load_ubyte v11, v[10:11], off offset:904
	s_waitcnt vmcnt(0)
	v_cmp_ne_u16_e64 s[4:5], 0, v11
	s_and_saveexec_b64 s[46:47], s[4:5]
	s_cbranch_execz .LBB263_113
; %bb.108:                              ;   in Loop: Header=BB263_14 Depth=1
	v_cmp_ne_u16_e64 s[4:5], s60, v11
	v_bfrev_b32_e32 v42, 1
	s_and_saveexec_b64 s[48:49], s[4:5]
	s_cbranch_execz .LBB263_112
; %bb.109:                              ;   in Loop: Header=BB263_14 Depth=1
	v_and_b32_e32 v10, 0xffff, v11
	v_and_b32_e32 v12, 0x7f, v10
	v_cmp_ne_u32_e64 s[4:5], s61, v12
	v_mov_b32_e32 v42, 0x7f800001
	s_and_saveexec_b64 s[50:51], s[4:5]
	s_cbranch_execz .LBB263_111
; %bb.110:                              ;   in Loop: Header=BB263_14 Depth=1
	v_and_b32_e32 v42, 7, v10
	v_ffbh_u32_e32 v44, v42
	v_min_u32_e32 v47, 32, v44
	v_subrev_u32_e32 v44, 28, v47
	v_lshlrev_b64 v[44:45], v44, v[10:11]
	v_lshrrev_b32_e32 v46, 3, v12
	v_sub_u32_e32 v10, 29, v47
	v_and_b32_e32 v44, 7, v44
	v_cmp_gt_u32_e64 s[4:5], 8, v12
	v_cndmask_b32_e64 v10, v46, v10, s[4:5]
	v_cndmask_b32_e64 v12, v42, v44, s[4:5]
	v_lshlrev_b32_e32 v11, 24, v11
	v_lshlrev_b32_e32 v12, 20, v12
	v_and_b32_e32 v11, 0x80000000, v11
	v_lshl_add_u32 v10, v10, 23, v24
	v_or3_b32 v42, v11, v10, v12
.LBB263_111:                            ;   in Loop: Header=BB263_14 Depth=1
	s_or_b64 exec, exec, s[50:51]
.LBB263_112:                            ;   in Loop: Header=BB263_14 Depth=1
	s_or_b64 exec, exec, s[48:49]
.LBB263_113:                            ;   in Loop: Header=BB263_14 Depth=1
	s_or_b64 exec, exec, s[46:47]
	v_fma_mixlo_f16 v11, v27, v29, 0
	ds_read_u16 v10, v17
	v_and_b32_e32 v11, 0xffff, v11
	s_waitcnt lgkmcnt(0)
	;;#ASMSTART
	v_cvt_f32_f16 v10, v10;
	;;#ASMEND
	;;#ASMSTART
	v_cvt_f32_f16 v11, v11;
	;;#ASMEND
	ds_read_u16 v12, v17 offset:2
	v_fma_mixlo_f16 v28, v27, v28, 0
	v_and_b32_e32 v28, 0xffff, v28
	s_waitcnt lgkmcnt(0)
	;;#ASMSTART
	v_cvt_f32_f16 v12, v12;
	;;#ASMEND
	;;#ASMSTART
	v_cvt_f32_f16 v28, v28;
	;;#ASMEND
	v_fma_mixlo_f16 v31, v27, v31, 0
	v_mul_f32_e32 v12, v12, v28
	ds_read_u16 v29, v17 offset:4
	v_and_b32_e32 v31, 0xffff, v31
	v_fma_mixlo_f16 v30, v27, v30, 0
	v_fmac_f32_e32 v12, v10, v11
	s_waitcnt lgkmcnt(0)
	;;#ASMSTART
	v_cvt_f32_f16 v29, v29;
	;;#ASMEND
	;;#ASMSTART
	v_cvt_f32_f16 v31, v31;
	;;#ASMEND
	ds_read_u16 v44, v17 offset:6
	v_and_b32_e32 v30, 0xffff, v30
	v_fma_mixlo_f16 v33, v27, v33, 0
	v_fmac_f32_e32 v12, v29, v31
	s_waitcnt lgkmcnt(0)
	;;#ASMSTART
	v_cvt_f32_f16 v44, v44;
	;;#ASMEND
	;;#ASMSTART
	v_cvt_f32_f16 v30, v30;
	;;#ASMEND
	;; [unrolled: 11-line block ×9, first 2 shown]
	ds_read_u16 v52, v17 offset:22
	v_fma_mixlo_f16 v41, v27, v41, 0
	v_and_b32_e32 v38, 0xffff, v38
	v_fmac_f32_e32 v12, v51, v39
	v_fma_mixlo_f16 v40, v27, v40, 0
	s_waitcnt lgkmcnt(0)
	;;#ASMSTART
	v_cvt_f32_f16 v52, v52;
	;;#ASMEND
	;;#ASMSTART
	v_cvt_f32_f16 v38, v38;
	;;#ASMEND
	v_and_b32_e32 v11, 0xffff, v41
	v_fmac_f32_e32 v12, v52, v38
	v_fma_mixlo_f16 v43, v27, v43, 0
	ds_read_u16 v53, v17 offset:24
	s_waitcnt lgkmcnt(0)
	;;#ASMSTART
	v_cvt_f32_f16 v10, v53;
	;;#ASMEND
	;;#ASMSTART
	v_cvt_f32_f16 v11, v11;
	;;#ASMEND
	ds_read_u16 v28, v17 offset:26
	v_and_b32_e32 v29, 0xffff, v40
	v_fmac_f32_e32 v12, v10, v11
	v_fma_mixlo_f16 v27, v27, v42, 0
	s_waitcnt lgkmcnt(0)
	;;#ASMSTART
	v_cvt_f32_f16 v28, v28;
	;;#ASMEND
	;;#ASMSTART
	v_cvt_f32_f16 v29, v29;
	;;#ASMEND
	ds_read_u16 v30, v17 offset:28
	v_and_b32_e32 v31, 0xffff, v43
	v_fmac_f32_e32 v12, v28, v29
	s_waitcnt lgkmcnt(0)
	;;#ASMSTART
	v_cvt_f32_f16 v30, v30;
	;;#ASMEND
	;;#ASMSTART
	v_cvt_f32_f16 v31, v31;
	;;#ASMEND
	ds_read_u16 v32, v17 offset:30
	v_fmac_f32_e32 v12, v30, v31
	s_waitcnt lgkmcnt(0)
	;;#ASMSTART
	v_cvt_f32_f16 v10, v32;
	;;#ASMEND
	v_and_b32_e32 v11, 0xffff, v27
	;;#ASMSTART
	v_cvt_f32_f16 v11, v11;
	;;#ASMEND
	v_fmac_f32_e32 v12, v10, v11
	v_and_b32_e32 v10, 64, v25
	v_add_u32_e32 v11, 64, v10
	v_xor_b32_e32 v10, 4, v25
	v_cmp_lt_i32_e64 s[4:5], v10, v11
	v_cndmask_b32_e64 v10, v25, v10, s[4:5]
	v_lshlrev_b32_e32 v10, 2, v10
	ds_bpermute_b32 v10, v10, v12
	s_waitcnt lgkmcnt(0)
	v_add_f32_e32 v10, v12, v10
	v_xor_b32_e32 v12, 2, v25
	v_cmp_lt_i32_e64 s[4:5], v12, v11
	v_cndmask_b32_e64 v12, v25, v12, s[4:5]
	v_lshlrev_b32_e32 v12, 2, v12
	ds_bpermute_b32 v12, v12, v10
	s_waitcnt lgkmcnt(0)
	v_add_f32_e32 v10, v10, v12
	v_xor_b32_e32 v12, 1, v25
	v_cmp_lt_i32_e64 s[4:5], v12, v11
	v_cndmask_b32_e64 v11, v25, v12, s[4:5]
	v_lshlrev_b32_e32 v11, 2, v11
	ds_bpermute_b32 v11, v11, v10
	s_and_saveexec_b64 s[46:47], vcc
	s_cbranch_execz .LBB263_12
; %bb.114:                              ;   in Loop: Header=BB263_14 Depth=1
	v_add_u32_e32 v12, v22, v20
	v_cvt_f32_i32_e32 v12, v12
	s_waitcnt lgkmcnt(0)
	v_add_f32_e32 v10, v10, v11
	v_add_u32_e32 v27, v14, v20
	v_cmp_gt_i32_e64 s[4:5], s33, v27
	v_mul_f32_e32 v11, s55, v12
	v_cndmask_b32_e64 v11, 0, v11, s[2:3]
	v_fmac_f32_e32 v11, s43, v10
	v_cndmask_b32_e64 v10, 0, v11, s[4:5]
	ds_write_b32 v21, v10
	v_max_f32_e32 v10, v18, v18
	v_max_f32_e32 v10, v10, v11
	v_cndmask_b32_e64 v18, v18, v10, s[4:5]
	s_branch .LBB263_12
.LBB263_115:
	s_or_b64 exec, exec, s[44:45]
.LBB263_116:
	s_or_b64 exec, exec, s[18:19]
	v_mbcnt_hi_u32_b32 v4, -1, v5
	v_and_b32_e32 v5, 64, v4
	v_add_u32_e32 v5, 64, v5
	v_xor_b32_e32 v6, 32, v4
	v_cmp_lt_i32_e32 vcc, v6, v5
	v_cndmask_b32_e32 v6, v4, v6, vcc
	v_lshlrev_b32_e32 v8, 2, v6
	ds_bpermute_b32 v6, v8, v18
	v_xor_b32_e32 v9, 16, v4
	v_max_f32_e32 v7, v18, v18
	v_cmp_lt_i32_e32 vcc, v9, v5
	v_and_b32_e32 v22, 63, v0
	s_waitcnt lgkmcnt(0)
	v_max_f32_e32 v6, v6, v6
	v_max_f32_e32 v6, v7, v6
	v_cndmask_b32_e32 v7, v4, v9, vcc
	v_lshlrev_b32_e32 v10, 2, v7
	ds_bpermute_b32 v7, v10, v6
	v_xor_b32_e32 v9, 8, v4
	v_cmp_lt_i32_e32 vcc, v9, v5
	s_waitcnt lgkmcnt(0)
	v_max_f32_e32 v7, v7, v7
	v_max_f32_e32 v6, v6, v7
	v_cndmask_b32_e32 v7, v4, v9, vcc
	v_lshlrev_b32_e32 v11, 2, v7
	ds_bpermute_b32 v9, v11, v6
	v_cmp_eq_u32_e32 vcc, 0, v22
	v_lshlrev_b32_e32 v7, 2, v13
	s_and_saveexec_b64 s[2:3], vcc
	s_cbranch_execz .LBB263_118
; %bb.117:
	s_waitcnt lgkmcnt(0)
	v_max_f32_e32 v9, v9, v9
	v_max_f32_e32 v6, v6, v6
	;; [unrolled: 1-line block ×3, first 2 shown]
	ds_write_b32 v7, v6 offset:256
.LBB263_118:
	s_or_b64 exec, exec, s[2:3]
	v_cmp_gt_u32_e64 s[2:3], 2, v22
	v_mov_b32_e32 v6, 0xff7fffff
	s_waitcnt lgkmcnt(0)
	v_lshlrev_b32_e32 v9, 2, v22
	s_barrier
	s_and_saveexec_b64 s[4:5], s[2:3]
	s_cbranch_execz .LBB263_120
; %bb.119:
	ds_read_b32 v6, v9 offset:256
.LBB263_120:
	s_or_b64 exec, exec, s[4:5]
	v_xor_b32_e32 v12, 1, v4
	v_cmp_lt_i32_e64 s[4:5], v12, v5
	v_cndmask_b32_e64 v12, v4, v12, s[4:5]
	v_lshlrev_b32_e32 v12, 2, v12
	s_waitcnt lgkmcnt(0)
	ds_bpermute_b32 v14, v12, v6
	v_max_f32_e32 v6, v6, v6
	s_sub_i32 s4, s53, s56
	s_lshl_b32 s4, s4, 3
	s_add_i32 s4, s4, s54
	s_waitcnt lgkmcnt(0)
	v_max_f32_e32 v14, v14, v14
	v_max_f32_e32 v6, v6, v14
	v_lshlrev_b32_e32 v14, 2, v4
	v_and_b32_e32 v14, 0x100, v14
	ds_bpermute_b32 v6, v14, v6
	s_min_i32 s44, s4, s33
	s_sub_i32 s43, s44, s54
	v_cmp_gt_i32_e64 s[4:5], s43, v0
	v_mov_b32_e32 v16, 0
	s_and_saveexec_b64 s[12:13], s[4:5]
	s_cbranch_execz .LBB263_124
; %bb.121:
	v_mov_b32_e32 v16, 0x110
	v_lshl_add_u32 v17, v0, 2, v16
	s_mov_b64 s[18:19], 0
	v_mov_b32_e32 v16, 0
	v_mov_b32_e32 v18, v0
.LBB263_122:                            ; =>This Inner Loop Header: Depth=1
	ds_read_b32 v19, v17
	v_add_u32_e32 v18, 0x80, v18
	v_cmp_le_i32_e64 s[10:11], s43, v18
	s_or_b64 s[18:19], s[10:11], s[18:19]
	s_waitcnt lgkmcnt(0)
	v_sub_f32_e32 v19, v19, v6
	v_mul_f32_e32 v19, 0x3fb8aa3b, v19
	v_exp_f32_e32 v19, v19
	ds_write_b32 v17, v19
	v_add_f32_e32 v16, v16, v19
	v_add_u32_e32 v17, 0x200, v17
	s_andn2_b64 exec, exec, s[18:19]
	s_cbranch_execnz .LBB263_122
; %bb.123:
	s_or_b64 exec, exec, s[18:19]
.LBB263_124:
	s_or_b64 exec, exec, s[12:13]
	ds_bpermute_b32 v8, v8, v16
	s_waitcnt lgkmcnt(0)
	v_add_f32_e32 v8, v16, v8
	ds_bpermute_b32 v10, v10, v8
	s_waitcnt lgkmcnt(0)
	v_add_f32_e32 v8, v8, v10
	ds_bpermute_b32 v10, v11, v8
	v_xor_b32_e32 v11, 4, v4
	v_cmp_lt_i32_e64 s[10:11], v11, v5
	v_cndmask_b32_e64 v11, v4, v11, s[10:11]
	v_lshlrev_b32_e32 v11, 2, v11
	s_waitcnt lgkmcnt(0)
	v_add_f32_e32 v8, v8, v10
	ds_bpermute_b32 v10, v11, v8
	v_xor_b32_e32 v11, 2, v4
	v_cmp_lt_i32_e64 s[10:11], v11, v5
	v_cndmask_b32_e64 v4, v4, v11, s[10:11]
	v_lshlrev_b32_e32 v4, 2, v4
	s_waitcnt lgkmcnt(0)
	v_add_f32_e32 v5, v8, v10
	ds_bpermute_b32 v4, v4, v5
	s_waitcnt lgkmcnt(0)
	v_add_f32_e32 v4, v5, v4
	ds_bpermute_b32 v5, v12, v4
	s_waitcnt lgkmcnt(0)
	v_add_f32_e32 v4, v4, v5
	s_and_saveexec_b64 s[10:11], vcc
	s_cbranch_execz .LBB263_126
; %bb.125:
	ds_write_b32 v7, v4 offset:264
.LBB263_126:
	s_or_b64 exec, exec, s[10:11]
	s_waitcnt lgkmcnt(0)
	s_barrier
	s_and_saveexec_b64 s[10:11], s[2:3]
	s_cbranch_execz .LBB263_128
; %bb.127:
	ds_read_b32 v4, v9 offset:264
.LBB263_128:
	s_or_b64 exec, exec, s[10:11]
	s_waitcnt lgkmcnt(0)
	ds_bpermute_b32 v5, v12, v4
	s_waitcnt lgkmcnt(0)
	v_add_f32_e32 v4, v4, v5
	ds_bpermute_b32 v7, v14, v4
	s_and_saveexec_b64 s[2:3], s[4:5]
	s_cbranch_execz .LBB263_141
; %bb.129:
	s_waitcnt lgkmcnt(0)
	v_add_f32_e32 v4, 0x358637bd, v7
	v_div_scale_f32 v5, s[4:5], v4, v4, 1.0
	v_rcp_f32_e32 v8, v5
	v_div_scale_f32 v9, vcc, 1.0, v4, 1.0
	s_movk_i32 s4, 0x7f
	v_fma_f32 v10, -v5, v8, 1.0
	v_fmac_f32_e32 v8, v10, v8
	v_mul_f32_e32 v10, v9, v8
	v_fma_f32 v11, -v5, v10, v9
	v_fmac_f32_e32 v10, v11, v8
	v_fma_f32 v5, -v5, v10, v9
	v_div_fmas_f32 v5, v5, v8, v10
	v_div_fixup_f32 v4, v5, v4, 1.0
	v_xad_u32 v5, v0, -1, s44
	v_subrev_u32_e32 v8, s54, v5
	v_cmp_lt_u32_e32 vcc, s4, v8
	s_mov_b64 s[10:11], -1
	v_mov_b32_e32 v5, v0
	s_and_saveexec_b64 s[4:5], vcc
	s_cbranch_execz .LBB263_138
; %bb.130:
	v_lshrrev_b32_e32 v8, 7, v8
	v_add_u32_e32 v10, -1, v8
	v_lshrrev_b32_e32 v9, 1, v10
	v_mov_b32_e32 v5, v4
	v_add_u32_e32 v9, 1, v9
	v_cmp_lt_u32_e32 vcc, 13, v10
	v_mov_b32_e32 v12, 0
	s_and_saveexec_b64 s[10:11], vcc
	s_cbranch_execz .LBB263_134
; %bb.131:
	v_mov_b32_e32 v11, 0x110
	v_and_b32_e32 v10, -8, v9
	v_lshl_add_u32 v11, v0, 2, v11
	s_mov_b32 s18, 0
	s_mov_b64 s[12:13], 0
.LBB263_132:                            ; =>This Inner Loop Header: Depth=1
	ds_read2st64_b32 v[16:17], v11 offset1:2
	ds_read2st64_b32 v[18:19], v11 offset0:4 offset1:6
	ds_read2st64_b32 v[20:21], v11 offset0:8 offset1:10
	;; [unrolled: 1-line block ×3, first 2 shown]
	v_add_u32_e32 v10, -8, v10
	s_waitcnt lgkmcnt(3)
	v_pk_mul_f32 v[16:17], v[4:5], v[16:17]
	s_waitcnt lgkmcnt(2)
	v_pk_mul_f32 v[18:19], v[4:5], v[18:19]
	ds_write2st64_b32 v11, v16, v17 offset1:2
	ds_write2st64_b32 v11, v18, v19 offset0:4 offset1:6
	ds_read2st64_b32 v[18:19], v11 offset0:16 offset1:18
	s_waitcnt lgkmcnt(4)
	v_pk_mul_f32 v[16:17], v[4:5], v[20:21]
	ds_write2st64_b32 v11, v16, v17 offset0:8 offset1:10
	s_waitcnt lgkmcnt(4)
	v_pk_mul_f32 v[16:17], v[4:5], v[24:25]
	ds_write2st64_b32 v11, v16, v17 offset0:12 offset1:14
	ds_read2st64_b32 v[16:17], v11 offset0:20 offset1:22
	s_waitcnt lgkmcnt(3)
	v_pk_mul_f32 v[18:19], v[4:5], v[18:19]
	ds_read2st64_b32 v[20:21], v11 offset0:24 offset1:26
	ds_write2st64_b32 v11, v18, v19 offset0:16 offset1:18
	ds_read2st64_b32 v[18:19], v11 offset0:28 offset1:30
	s_waitcnt lgkmcnt(3)
	v_pk_mul_f32 v[16:17], v[4:5], v[16:17]
	ds_write2st64_b32 v11, v16, v17 offset0:20 offset1:22
	s_waitcnt lgkmcnt(3)
	v_pk_mul_f32 v[16:17], v[4:5], v[20:21]
	ds_write2st64_b32 v11, v16, v17 offset0:24 offset1:26
	s_waitcnt lgkmcnt(2)
	v_pk_mul_f32 v[16:17], v[4:5], v[18:19]
	s_add_i32 s18, s18, 16
	v_cmp_eq_u32_e32 vcc, 0, v10
	ds_write2st64_b32 v11, v16, v17 offset0:28 offset1:30
	v_add_u32_e32 v11, 0x2000, v11
	s_or_b64 s[12:13], vcc, s[12:13]
	v_mov_b32_e32 v12, s18
	s_andn2_b64 exec, exec, s[12:13]
	s_cbranch_execnz .LBB263_132
; %bb.133:
	s_or_b64 exec, exec, s[12:13]
.LBB263_134:
	s_or_b64 exec, exec, s[10:11]
	v_and_b32_e32 v9, 7, v9
	v_cmp_ne_u32_e32 vcc, 0, v9
	s_and_saveexec_b64 s[10:11], vcc
	s_cbranch_execz .LBB263_137
; %bb.135:
	v_lshlrev_b32_e32 v10, 9, v12
	v_lshlrev_b32_e32 v11, 2, v0
	s_movk_i32 s12, 0x110
	v_add3_u32 v10, v10, v11, s12
	s_mov_b64 s[12:13], 0
.LBB263_136:                            ; =>This Inner Loop Header: Depth=1
	ds_read2st64_b32 v[16:17], v10 offset1:2
	v_add_u32_e32 v9, -1, v9
	v_cmp_eq_u32_e32 vcc, 0, v9
	s_or_b64 s[12:13], vcc, s[12:13]
	s_waitcnt lgkmcnt(0)
	v_pk_mul_f32 v[16:17], v[4:5], v[16:17]
	ds_write2st64_b32 v10, v16, v17 offset1:2
	v_add_u32_e32 v10, 0x400, v10
	s_andn2_b64 exec, exec, s[12:13]
	s_cbranch_execnz .LBB263_136
.LBB263_137:
	s_or_b64 exec, exec, s[10:11]
	v_add_u32_e32 v8, 1, v8
	v_and_b32_e32 v9, 0x3fffffe, v8
	v_cmp_ne_u32_e32 vcc, v8, v9
	v_lshl_add_u32 v5, v9, 7, v0
	s_orn2_b64 s[10:11], vcc, exec
.LBB263_138:
	s_or_b64 exec, exec, s[4:5]
	s_and_b64 exec, exec, s[10:11]
	s_cbranch_execz .LBB263_141
; %bb.139:
	v_mov_b32_e32 v8, 0x110
	v_lshl_add_u32 v8, v5, 2, v8
	s_mov_b64 s[4:5], 0
.LBB263_140:                            ; =>This Inner Loop Header: Depth=1
	ds_read_b32 v9, v8
	v_add_u32_e32 v5, 0x80, v5
	v_cmp_le_i32_e32 vcc, s43, v5
	s_or_b64 s[4:5], vcc, s[4:5]
	s_waitcnt lgkmcnt(0)
	v_mul_f32_e32 v9, v4, v9
	ds_write_b32 v8, v9
	v_add_u32_e32 v8, 0x200, v8
	s_andn2_b64 exec, exec, s[4:5]
	s_cbranch_execnz .LBB263_140
.LBB263_141:
	s_or_b64 exec, exec, s[2:3]
	s_mul_i32 s2, s23, s34
	v_cmp_eq_u32_e32 vcc, 0, v0
	s_mul_i32 s2, s2, s9
	s_waitcnt lgkmcnt(0)
	s_barrier
	s_and_saveexec_b64 s[4:5], vcc
	s_cbranch_execz .LBB263_143
; %bb.142:
	s_ashr_i32 s3, s2, 31
	s_lshl_b64 s[10:11], s[2:3], 2
	s_add_u32 s3, s26, s10
	s_mul_i32 s12, s23, s6
	s_addc_u32 s9, s27, s11
	s_ashr_i32 s13, s12, 31
	s_lshl_b64 s[12:13], s[12:13], 2
	s_add_u32 s3, s3, s12
	s_addc_u32 s6, s9, s13
	s_ashr_i32 s9, s8, 31
	s_lshl_b64 s[18:19], s[8:9], 2
	s_add_u32 s26, s3, s18
	s_addc_u32 s27, s6, s19
	s_add_u32 s3, s24, s10
	s_addc_u32 s6, s25, s11
	s_add_u32 s3, s3, s12
	s_addc_u32 s6, s6, s13
	s_add_u32 s10, s3, s18
	v_mov_b32_e32 v4, 0
	s_addc_u32 s11, s6, s19
	global_store_dword v4, v6, s[26:27]
	global_store_dword v4, v7, s[10:11]
.LBB263_143:
	s_or_b64 exec, exec, s[4:5]
	v_mov_b32_e32 v5, 0
	v_mov_b32_e32 v4, 0
	s_and_saveexec_b64 s[4:5], s[0:1]
	s_cbranch_execz .LBB263_249
; %bb.144:
	s_sub_i32 s3, s7, s21
	s_ashr_i32 s0, s20, 31
	s_add_u32 s1, s40, s20
	s_addc_u32 s0, s41, s0
	s_abs_i32 s9, s22
	v_cvt_f32_u32_e32 v4, s9
	s_sub_i32 s10, 0, s9
	v_lshlrev_b32_e32 v5, 3, v22
	s_add_i32 s25, s16, -1
	v_rcp_iflag_f32_e32 v4, v4
	s_mov_b32 s6, -1
	s_mov_b32 s22, s17
	s_mov_b32 s7, 0xffffff
	v_mul_f32_e32 v4, 0x4f7ffffe, v4
	v_cvt_u32_f32_e32 v4, v4
	s_mov_b32 s24, s33
	v_mov_b32_e32 v24, 0
	v_mov_b32_e32 v11, 0
	v_mul_lo_u32 v6, s10, v4
	v_mul_hi_u32 v6, v4, v6
	v_add_u32_e32 v23, v4, v6
	v_mov_b32_e32 v4, s0
	v_add_co_u32_e32 v6, vcc, s1, v5
	s_lshl_b64 s[0:1], s[38:39], 2
	s_add_u32 s0, s36, s0
	v_addc_co_u32_e32 v7, vcc, 0, v4, vcc
	v_lshlrev_b64 v[4:5], 2, v[2:3]
	s_addc_u32 s1, s37, s1
	v_mov_b32_e32 v3, s1
	v_add_co_u32_e32 v8, vcc, s0, v4
	v_addc_co_u32_e32 v9, vcc, v3, v5, vcc
	v_mov_b32_e32 v3, 0x110
	v_lshl_add_u32 v3, v13, 5, v3
	s_mov_b64 s[10:11], 0
	s_movk_i32 s26, 0x80
	s_movk_i32 s27, 0x7f
	s_mov_b32 s34, 0x8000
	s_movk_i32 s36, 0x380
	s_mov_b32 s37, 0x3020706
	s_mov_b32 s38, 0x1000504
	;; [unrolled: 1-line block ×3, first 2 shown]
	v_mov_b32_e32 v25, 0x2000
	v_mov_b32_e32 v4, 0
	;; [unrolled: 1-line block ×3, first 2 shown]
	s_branch .LBB263_147
.LBB263_145:                            ;   in Loop: Header=BB263_147 Depth=1
	s_or_b64 exec, exec, s[0:1]
	;;#ASMSTART
	v_pk_mul_f16 v13, v34, v13;

	;;#ASMEND
	;;#ASMSTART
	v_pk_mul_f16 v10, v33, v10;

	;;#ASMEND
	;; [unrolled: 4-line block ×4, first 2 shown]
	;;#ASMSTART
	v_pk_add_f16 v10, v13, v10;

	;;#ASMEND
	;;#ASMSTART
	v_pk_add_f16 v10, v10, v12;

	;;#ASMEND
	;; [unrolled: 4-line block ×3, first 2 shown]
	v_lshrrev_b32_e32 v12, 16, v10
	v_and_b32_e32 v10, 0xffff, v10
	;;#ASMSTART
	v_cvt_f32_f16 v10, v10;
	;;#ASMEND
	v_add_f32_e32 v16, v35, v36
	;;#ASMSTART
	v_cvt_f32_f16 v12, v12;
	;;#ASMEND
	v_add_f32_e32 v10, v10, v12
	v_add_f32_e32 v4, v4, v16
	;; [unrolled: 1-line block ×3, first 2 shown]
.LBB263_146:                            ;   in Loop: Header=BB263_147 Depth=1
	s_or_b64 exec, exec, s[12:13]
	v_add_co_u32_e32 v8, vcc, 8, v8
	v_add_u32_e32 v2, 2, v2
	v_addc_co_u32_e32 v9, vcc, 0, v9, vcc
	v_cmp_le_i32_e32 vcc, s53, v2
	v_add_u32_e32 v15, 16, v15
	s_or_b64 s[10:11], vcc, s[10:11]
	v_add_u32_e32 v3, 64, v3
	s_andn2_b64 exec, exec, s[10:11]
	s_cbranch_execz .LBB263_248
.LBB263_147:                            ; =>This Inner Loop Header: Depth=1
	v_sub_u32_e32 v12, 0, v15
	v_max_i32_e32 v12, v15, v12
	v_mul_hi_u32 v13, v12, s35
	v_mul_lo_u32 v14, v13, s29
	v_sub_u32_e32 v12, v12, v14
	v_add_u32_e32 v14, 1, v13
	v_cmp_le_u32_e32 vcc, s29, v12
	v_cndmask_b32_e32 v13, v13, v14, vcc
	v_subrev_u32_e32 v14, s29, v12
	v_cndmask_b32_e32 v12, v12, v14, vcc
	v_ashrrev_i32_e32 v10, 31, v15
	v_add_u32_e32 v14, 1, v13
	v_cmp_le_u32_e32 vcc, s29, v12
	v_xor_b32_e32 v10, s52, v10
	v_cndmask_b32_e32 v12, v13, v14, vcc
	v_xor_b32_e32 v12, v12, v10
	v_sub_u32_e32 v10, v12, v10
	v_add_u32_e32 v12, s42, v10
	v_sub_u32_e32 v14, 0, v12
	v_ashrrev_i32_e32 v13, 31, v12
	v_max_i32_e32 v12, v12, v14
	v_mul_hi_u32 v14, v12, v23
	v_mul_lo_u32 v14, v14, s9
	v_sub_u32_e32 v12, v12, v14
	v_subrev_u32_e32 v14, s9, v12
	v_cmp_le_u32_e32 vcc, s9, v12
	v_cndmask_b32_e32 v12, v12, v14, vcc
	v_subrev_u32_e32 v14, s9, v12
	v_cmp_le_u32_e32 vcc, s9, v12
	v_cndmask_b32_e32 v12, v12, v14, vcc
	v_xor_b32_e32 v12, v12, v13
	v_sub_u32_e32 v12, v12, v13
	v_cmp_eq_u32_e32 vcc, 0, v12
	v_cmp_lt_i32_e64 s[0:1], s3, v10
	s_or_b64 s[0:1], vcc, s[0:1]
	s_and_saveexec_b64 s[12:13], s[0:1]
	s_cbranch_execz .LBB263_146
; %bb.148:                              ;   in Loop: Header=BB263_147 Depth=1
	global_load_dword v10, v[8:9], off
	ds_read2_b64 v[16:19], v3 offset1:1
	ds_read2_b64 v[26:29], v3 offset0:2 offset1:3
	s_waitcnt lgkmcnt(1)
	;;#ASMSTART
	v_cvt_f16_f32 v31, v16;

	;;#ASMEND
	;;#ASMSTART
	v_cvt_f16_f32 v32, v17;

	;;#ASMEND
	;; [unrolled: 4-line block ×4, first 2 shown]
	s_waitcnt lgkmcnt(0)
	;;#ASMSTART
	v_cvt_f16_f32 v36, v26;

	;;#ASMEND
	;;#ASMSTART
	v_cvt_f16_f32 v37, v27;

	;;#ASMEND
	;; [unrolled: 4-line block ×4, first 2 shown]
	v_mov_b32_e32 v18, 0
	v_mov_b32_e32 v16, 0
	s_waitcnt vmcnt(0)
	v_mad_i64_i32 v[12:13], s[0:1], v10, s22, v[6:7]
	global_load_dwordx2 v[20:21], v[12:13], off
	global_load_dword v14, v11, s[14:15]
	s_waitcnt vmcnt(1)
	v_cmp_ne_u16_sdwa s[16:17], v20, v24 src0_sel:BYTE_0 src1_sel:DWORD
	s_and_saveexec_b64 s[0:1], s[16:17]
	s_cbranch_execz .LBB263_154
; %bb.149:                              ;   in Loop: Header=BB263_147 Depth=1
	v_cmp_ne_u16_sdwa s[18:19], v20, s26 src0_sel:BYTE_0 src1_sel:DWORD
	v_bfrev_b32_e32 v16, 1
	s_and_saveexec_b64 s[16:17], s[18:19]
	s_cbranch_execz .LBB263_153
; %bb.150:                              ;   in Loop: Header=BB263_147 Depth=1
	v_and_b32_e32 v10, 0x7f, v20
	v_cmp_ne_u32_e32 vcc, s27, v10
	v_mov_b32_e32 v16, 0x7fc02000
	s_and_saveexec_b64 s[18:19], vcc
	s_cbranch_execz .LBB263_152
; %bb.151:                              ;   in Loop: Header=BB263_147 Depth=1
	v_and_b32_e32 v16, 7, v20
	v_ffbh_u32_e32 v16, v16
	v_min_u32_e32 v16, 32, v16
	v_subrev_u32_e32 v17, 28, v16
	v_cmp_gt_u32_e32 vcc, 8, v10
	v_lshrrev_b32_e32 v19, 3, v10
	v_sub_u32_e32 v26, 29, v16
	v_cndmask_b32_e32 v10, 0, v17, vcc
	v_lshlrev_b64 v[16:17], v10, v[20:21]
	v_cndmask_b32_e32 v10, v19, v26, vcc
	v_lshlrev_b32_e32 v17, 8, v20
	v_lshl_add_u32 v10, v10, 10, v25
	v_lshlrev_b32_e32 v16, 7, v16
	v_and_or_b32 v10, v17, s34, v10
	v_and_or_b32 v10, v16, s36, v10
	v_cvt_f32_f16_e32 v16, v10
.LBB263_152:                            ;   in Loop: Header=BB263_147 Depth=1
	s_or_b64 exec, exec, s[18:19]
.LBB263_153:                            ;   in Loop: Header=BB263_147 Depth=1
	s_or_b64 exec, exec, s[16:17]
.LBB263_154:                            ;   in Loop: Header=BB263_147 Depth=1
	s_or_b64 exec, exec, s[0:1]
	v_lshrrev_b16_e32 v10, 8, v20
	v_cmp_ne_u16_e32 vcc, 0, v10
	s_and_saveexec_b64 s[0:1], vcc
	s_cbranch_execz .LBB263_160
; %bb.155:                              ;   in Loop: Header=BB263_147 Depth=1
	v_cmp_ne_u16_e32 vcc, s26, v10
	v_bfrev_b32_e32 v18, 1
	s_and_saveexec_b64 s[16:17], vcc
	s_cbranch_execz .LBB263_159
; %bb.156:                              ;   in Loop: Header=BB263_147 Depth=1
	v_and_b32_e32 v17, 0x7f, v10
	v_cmp_ne_u32_e32 vcc, s27, v17
	v_mov_b32_e32 v18, 0x7fc02000
	s_and_saveexec_b64 s[18:19], vcc
	s_cbranch_execz .LBB263_158
; %bb.157:                              ;   in Loop: Header=BB263_147 Depth=1
	v_and_b32_e32 v26, 7, v10
	v_ffbh_u32_e32 v18, v26
	v_min_u32_e32 v28, 32, v18
	v_subrev_u32_e32 v18, 28, v28
	v_lshlrev_b64 v[18:19], v18, v[10:11]
	v_lshrrev_b32_e32 v27, 3, v17
	v_sub_u32_e32 v19, 29, v28
	v_cmp_gt_u32_e32 vcc, 8, v17
	v_cndmask_b32_e32 v17, v27, v19, vcc
	v_and_b32_e32 v18, 7, v18
	v_lshlrev_b32_e32 v10, 8, v10
	v_lshl_add_u32 v17, v17, 10, v25
	v_cndmask_b32_e32 v18, v26, v18, vcc
	v_and_or_b32 v10, v10, s34, v17
	v_lshl_or_b32 v10, v18, 7, v10
	v_cvt_f32_f16_e32 v18, v10
.LBB263_158:                            ;   in Loop: Header=BB263_147 Depth=1
	s_or_b64 exec, exec, s[18:19]
.LBB263_159:                            ;   in Loop: Header=BB263_147 Depth=1
	s_or_b64 exec, exec, s[16:17]
.LBB263_160:                            ;   in Loop: Header=BB263_147 Depth=1
	s_or_b64 exec, exec, s[0:1]
	v_lshrrev_b32_e32 v10, 16, v20
	v_cmp_ne_u16_sdwa s[16:17], v10, v24 src0_sel:BYTE_0 src1_sel:DWORD
	v_mov_b32_e32 v19, 0
	v_mov_b32_e32 v17, 0
	s_and_saveexec_b64 s[0:1], s[16:17]
	s_cbranch_execz .LBB263_166
; %bb.161:                              ;   in Loop: Header=BB263_147 Depth=1
	v_cmp_ne_u16_sdwa s[18:19], v10, s26 src0_sel:BYTE_0 src1_sel:DWORD
	v_bfrev_b32_e32 v17, 1
	s_and_saveexec_b64 s[16:17], s[18:19]
	s_cbranch_execz .LBB263_165
; %bb.162:                              ;   in Loop: Header=BB263_147 Depth=1
	v_bfe_u32 v26, v20, 16, 7
	v_cmp_ne_u32_e32 vcc, s27, v26
	v_mov_b32_e32 v17, 0x7fc02000
	s_and_saveexec_b64 s[18:19], vcc
	s_cbranch_execz .LBB263_164
; %bb.163:                              ;   in Loop: Header=BB263_147 Depth=1
	v_and_b32_e32 v17, 7, v10
	v_ffbh_u32_e32 v28, v17
	v_min_u32_e32 v30, 32, v28
	v_subrev_u32_e32 v28, 28, v30
	v_lshlrev_b64 v[28:29], v28, v[10:11]
	v_lshrrev_b32_e32 v27, 3, v26
	v_sub_u32_e32 v29, 29, v30
	v_cmp_gt_u32_e32 vcc, 8, v26
	v_cndmask_b32_e32 v26, v27, v29, vcc
	v_and_b32_e32 v28, 7, v28
	v_lshlrev_b32_e32 v10, 8, v10
	v_lshl_add_u32 v26, v26, 10, v25
	v_cndmask_b32_e32 v17, v17, v28, vcc
	v_and_or_b32 v10, v10, s34, v26
	v_lshl_or_b32 v10, v17, 7, v10
	v_cvt_f32_f16_e32 v17, v10
.LBB263_164:                            ;   in Loop: Header=BB263_147 Depth=1
	s_or_b64 exec, exec, s[18:19]
.LBB263_165:                            ;   in Loop: Header=BB263_147 Depth=1
	s_or_b64 exec, exec, s[16:17]
.LBB263_166:                            ;   in Loop: Header=BB263_147 Depth=1
	s_or_b64 exec, exec, s[0:1]
	v_cmp_lt_u32_e32 vcc, s7, v20
	s_and_saveexec_b64 s[0:1], vcc
	s_cbranch_execz .LBB263_172
; %bb.167:                              ;   in Loop: Header=BB263_147 Depth=1
	v_lshrrev_b32_e32 v10, 24, v20
	v_cmp_ne_u32_e32 vcc, s26, v10
	v_bfrev_b32_e32 v19, 1
	s_and_saveexec_b64 s[16:17], vcc
	s_cbranch_execz .LBB263_171
; %bb.168:                              ;   in Loop: Header=BB263_147 Depth=1
	v_and_b32_e32 v26, 0x7f, v10
	v_cmp_ne_u32_e32 vcc, s27, v26
	v_mov_b32_e32 v19, 0x7fc02000
	s_and_saveexec_b64 s[18:19], vcc
	s_cbranch_execz .LBB263_170
; %bb.169:                              ;   in Loop: Header=BB263_147 Depth=1
	v_and_b32_e32 v19, 7, v10
	v_ffbh_u32_e32 v28, v19
	v_min_u32_e32 v30, 32, v28
	v_subrev_u32_e32 v28, 28, v30
	v_lshlrev_b64 v[28:29], v28, v[10:11]
	v_lshrrev_b32_e32 v27, 3, v26
	v_sub_u32_e32 v29, 29, v30
	v_cmp_gt_u32_e32 vcc, 8, v26
	v_cndmask_b32_e32 v26, v27, v29, vcc
	v_and_b32_e32 v28, 7, v28
	v_lshlrev_b32_e32 v10, 8, v10
	v_lshl_add_u32 v26, v26, 10, v25
	v_cndmask_b32_e32 v19, v19, v28, vcc
	v_and_or_b32 v10, v10, s34, v26
	v_lshl_or_b32 v10, v19, 7, v10
	v_cvt_f32_f16_e32 v19, v10
.LBB263_170:                            ;   in Loop: Header=BB263_147 Depth=1
	s_or_b64 exec, exec, s[18:19]
.LBB263_171:                            ;   in Loop: Header=BB263_147 Depth=1
	s_or_b64 exec, exec, s[16:17]
.LBB263_172:                            ;   in Loop: Header=BB263_147 Depth=1
	s_or_b64 exec, exec, s[0:1]
	v_mov_b32_e32 v10, v21
	v_cmp_ne_u16_sdwa s[16:17], v21, v24 src0_sel:BYTE_0 src1_sel:DWORD
	v_mov_b32_e32 v27, 0
	v_mov_b32_e32 v26, 0
	s_and_saveexec_b64 s[0:1], s[16:17]
	s_cbranch_execz .LBB263_178
; %bb.173:                              ;   in Loop: Header=BB263_147 Depth=1
	v_cmp_ne_u16_sdwa s[18:19], v21, s26 src0_sel:BYTE_0 src1_sel:DWORD
	v_bfrev_b32_e32 v26, 1
	s_and_saveexec_b64 s[16:17], s[18:19]
	s_cbranch_execz .LBB263_177
; %bb.174:                              ;   in Loop: Header=BB263_147 Depth=1
	v_and_b32_e32 v28, 0x7f, v21
	v_cmp_ne_u32_e32 vcc, s27, v28
	v_mov_b32_e32 v26, 0x7fc02000
	s_and_saveexec_b64 s[18:19], vcc
	s_cbranch_execz .LBB263_176
; %bb.175:                              ;   in Loop: Header=BB263_147 Depth=1
	v_and_b32_e32 v26, 7, v21
	v_ffbh_u32_e32 v26, v26
	v_min_u32_e32 v26, 32, v26
	v_subrev_u32_e32 v29, 28, v26
	v_cmp_gt_u32_e32 vcc, 8, v28
	v_lshrrev_b32_e32 v30, 3, v28
	v_sub_u32_e32 v26, 29, v26
	v_cndmask_b32_e32 v28, 0, v29, vcc
	v_lshlrev_b64 v[28:29], v28, v[10:11]
	v_cndmask_b32_e32 v26, v30, v26, vcc
	v_lshlrev_b32_e32 v29, 8, v21
	v_lshl_add_u32 v26, v26, 10, v25
	v_lshlrev_b32_e32 v28, 7, v28
	v_and_or_b32 v26, v29, s34, v26
	v_and_or_b32 v26, v28, s36, v26
	v_cvt_f32_f16_e32 v26, v26
.LBB263_176:                            ;   in Loop: Header=BB263_147 Depth=1
	s_or_b64 exec, exec, s[18:19]
.LBB263_177:                            ;   in Loop: Header=BB263_147 Depth=1
	s_or_b64 exec, exec, s[16:17]
.LBB263_178:                            ;   in Loop: Header=BB263_147 Depth=1
	s_or_b64 exec, exec, s[0:1]
	v_lshrrev_b16_e32 v10, 8, v10
	v_cmp_ne_u16_e32 vcc, 0, v10
	s_and_saveexec_b64 s[0:1], vcc
	s_cbranch_execz .LBB263_184
; %bb.179:                              ;   in Loop: Header=BB263_147 Depth=1
	v_cmp_ne_u16_e32 vcc, s26, v10
	v_bfrev_b32_e32 v27, 1
	s_and_saveexec_b64 s[16:17], vcc
	s_cbranch_execz .LBB263_183
; %bb.180:                              ;   in Loop: Header=BB263_147 Depth=1
	v_and_b32_e32 v28, 0x7f, v10
	v_cmp_ne_u32_e32 vcc, s27, v28
	v_mov_b32_e32 v27, 0x7fc02000
	s_and_saveexec_b64 s[18:19], vcc
	s_cbranch_execz .LBB263_182
; %bb.181:                              ;   in Loop: Header=BB263_147 Depth=1
	v_and_b32_e32 v27, 7, v10
	v_ffbh_u32_e32 v30, v27
	v_min_u32_e32 v30, 32, v30
	v_lshrrev_b32_e32 v29, 3, v28
	v_subrev_u32_e32 v34, 28, v30
	v_sub_u32_e32 v30, 29, v30
	v_cmp_gt_u32_e32 vcc, 8, v28
	v_lshlrev_b64 v[40:41], v34, v[10:11]
	v_cndmask_b32_e32 v28, v29, v30, vcc
	v_and_b32_e32 v34, 7, v40
	v_lshlrev_b32_e32 v10, 8, v10
	v_lshl_add_u32 v28, v28, 10, v25
	v_cndmask_b32_e32 v27, v27, v34, vcc
	v_and_or_b32 v10, v10, s34, v28
	v_lshl_or_b32 v10, v27, 7, v10
	v_cvt_f32_f16_e32 v27, v10
.LBB263_182:                            ;   in Loop: Header=BB263_147 Depth=1
	s_or_b64 exec, exec, s[18:19]
.LBB263_183:                            ;   in Loop: Header=BB263_147 Depth=1
	s_or_b64 exec, exec, s[16:17]
.LBB263_184:                            ;   in Loop: Header=BB263_147 Depth=1
	s_or_b64 exec, exec, s[0:1]
	v_lshrrev_b32_e32 v10, 16, v21
	v_cmp_ne_u16_sdwa s[16:17], v10, v24 src0_sel:BYTE_0 src1_sel:DWORD
	v_mov_b32_e32 v28, 0
	v_mov_b32_e32 v29, 0
	s_and_saveexec_b64 s[0:1], s[16:17]
	s_cbranch_execz .LBB263_190
; %bb.185:                              ;   in Loop: Header=BB263_147 Depth=1
	v_cmp_ne_u16_sdwa s[18:19], v10, s26 src0_sel:BYTE_0 src1_sel:DWORD
	v_bfrev_b32_e32 v29, 1
	s_and_saveexec_b64 s[16:17], s[18:19]
	s_cbranch_execz .LBB263_189
; %bb.186:                              ;   in Loop: Header=BB263_147 Depth=1
	v_bfe_u32 v30, v21, 16, 7
	v_cmp_ne_u32_e32 vcc, s27, v30
	v_mov_b32_e32 v29, 0x7fc02000
	s_and_saveexec_b64 s[18:19], vcc
	s_cbranch_execz .LBB263_188
; %bb.187:                              ;   in Loop: Header=BB263_147 Depth=1
	v_and_b32_e32 v29, 7, v10
	v_ffbh_u32_e32 v40, v29
	v_min_u32_e32 v42, 32, v40
	v_subrev_u32_e32 v40, 28, v42
	v_lshlrev_b64 v[40:41], v40, v[10:11]
	v_lshrrev_b32_e32 v34, 3, v30
	v_sub_u32_e32 v41, 29, v42
	v_cmp_gt_u32_e32 vcc, 8, v30
	v_cndmask_b32_e32 v30, v34, v41, vcc
	v_and_b32_e32 v40, 7, v40
	v_lshlrev_b32_e32 v10, 8, v10
	v_lshl_add_u32 v30, v30, 10, v25
	v_cndmask_b32_e32 v29, v29, v40, vcc
	v_and_or_b32 v10, v10, s34, v30
	v_lshl_or_b32 v10, v29, 7, v10
	v_cvt_f32_f16_e32 v29, v10
.LBB263_188:                            ;   in Loop: Header=BB263_147 Depth=1
	s_or_b64 exec, exec, s[18:19]
.LBB263_189:                            ;   in Loop: Header=BB263_147 Depth=1
	s_or_b64 exec, exec, s[16:17]
.LBB263_190:                            ;   in Loop: Header=BB263_147 Depth=1
	s_or_b64 exec, exec, s[0:1]
	v_cmp_lt_u64_e32 vcc, s[6:7], v[20:21]
	s_and_saveexec_b64 s[0:1], vcc
	s_cbranch_execz .LBB263_196
; %bb.191:                              ;   in Loop: Header=BB263_147 Depth=1
	v_lshrrev_b32_e32 v10, 24, v21
	v_cmp_ne_u32_e32 vcc, s26, v10
	v_bfrev_b32_e32 v28, 1
	s_and_saveexec_b64 s[16:17], vcc
	s_cbranch_execz .LBB263_195
; %bb.192:                              ;   in Loop: Header=BB263_147 Depth=1
	v_and_b32_e32 v20, 0x7f, v10
	v_cmp_ne_u32_e32 vcc, s27, v20
	v_mov_b32_e32 v28, 0x7fc02000
	s_and_saveexec_b64 s[18:19], vcc
	s_cbranch_execz .LBB263_194
; %bb.193:                              ;   in Loop: Header=BB263_147 Depth=1
	v_and_b32_e32 v21, 7, v10
	v_ffbh_u32_e32 v30, v21
	v_min_u32_e32 v30, 32, v30
	v_lshrrev_b32_e32 v28, 3, v20
	v_subrev_u32_e32 v34, 28, v30
	v_sub_u32_e32 v30, 29, v30
	v_cmp_gt_u32_e32 vcc, 8, v20
	v_lshlrev_b64 v[40:41], v34, v[10:11]
	v_cndmask_b32_e32 v20, v28, v30, vcc
	v_and_b32_e32 v34, 7, v40
	v_lshlrev_b32_e32 v10, 8, v10
	v_lshl_add_u32 v20, v20, 10, v25
	v_cndmask_b32_e32 v21, v21, v34, vcc
	v_and_or_b32 v10, v10, s34, v20
	v_lshl_or_b32 v10, v21, 7, v10
	v_cvt_f32_f16_e32 v28, v10
.LBB263_194:                            ;   in Loop: Header=BB263_147 Depth=1
	s_or_b64 exec, exec, s[18:19]
.LBB263_195:                            ;   in Loop: Header=BB263_147 Depth=1
	s_or_b64 exec, exec, s[16:17]
.LBB263_196:                            ;   in Loop: Header=BB263_147 Depth=1
	s_or_b64 exec, exec, s[0:1]
	s_waitcnt vmcnt(0)
	v_pk_mul_f32 v[18:19], v[14:15], v[18:19] op_sel_hi:[0,1]
	v_pk_mul_f32 v[16:17], v[14:15], v[16:17] op_sel_hi:[0,1]
	v_cvt_f16_f32_e32 v10, v19
	v_cvt_f16_f32_e32 v18, v18
	;; [unrolled: 1-line block ×4, first 2 shown]
	v_cmp_eq_u32_e32 vcc, s25, v2
	v_pack_b32_f16 v18, v18, v10
	v_add_u32_e32 v30, 1, v15
	v_pack_b32_f16 v16, v16, v17
	v_fma_mixlo_f16 v17, v14, v27, 0
	v_perm_b32 v10, v16, v18, s37
	v_perm_b32 v16, v16, v18, s38
	v_lshlrev_b32_e32 v17, 16, v17
	v_fma_mixlo_f16 v18, v14, v26, 0
	v_or_b32_sdwa v17, v17, v18 dst_sel:DWORD dst_unused:UNUSED_PAD src0_sel:DWORD src1_sel:WORD_0
	v_fma_mixlo_f16 v18, v14, v29, 0
	v_fma_mixlo_f16 v14, v14, v28, 0
	v_lshlrev_b32_e32 v14, 16, v14
	v_or_b32_sdwa v14, v14, v18 dst_sel:DWORD dst_unused:UNUSED_PAD src0_sel:DWORD src1_sel:WORD_0
	v_or_b32_e32 v29, 3, v15
	v_or_b32_e32 v28, 2, v15
	;; [unrolled: 1-line block ×6, first 2 shown]
	s_and_saveexec_b64 s[16:17], vcc
	s_cbranch_execz .LBB263_198
; %bb.197:                              ;   in Loop: Header=BB263_147 Depth=1
	v_lshrrev_b32_e32 v19, 16, v16
	v_cmp_gt_i32_e64 s[0:1], s24, v30
	v_cndmask_b32_e64 v19, 0, v19, s[0:1]
	v_cmp_gt_i32_e64 s[0:1], s33, v15
	v_cndmask_b32_e64 v16, 0, v16, s[0:1]
	v_perm_b32 v16, v19, v16, s39
	v_lshrrev_b32_e32 v19, 16, v10
	v_cmp_gt_i32_e64 s[0:1], s24, v29
	v_cndmask_b32_e64 v19, 0, v19, s[0:1]
	v_cmp_gt_i32_e64 s[0:1], s33, v28
	v_cndmask_b32_e64 v10, 0, v10, s[0:1]
	v_perm_b32 v10, v19, v10, s39
	v_lshrrev_b32_e32 v19, 16, v17
	v_cmp_gt_i32_e64 s[0:1], s24, v27
	v_cndmask_b32_e64 v19, 0, v19, s[0:1]
	v_cmp_gt_i32_e64 s[0:1], s33, v26
	v_cndmask_b32_e64 v17, 0, v17, s[0:1]
	v_lshrrev_b32_e32 v14, 16, v14
	v_cmp_gt_i32_e64 s[0:1], s24, v21
	v_cndmask_b32_e64 v14, 0, v14, s[0:1]
	v_cmp_gt_i32_e64 s[0:1], s33, v20
	v_cndmask_b32_e64 v18, 0, v18, s[0:1]
	v_perm_b32 v17, v19, v17, s39
	v_perm_b32 v14, v14, v18, s39
.LBB263_198:                            ;   in Loop: Header=BB263_147 Depth=1
	s_or_b64 exec, exec, s[16:17]
	v_and_b32_e32 v18, 0xffff, v31
	v_lshl_or_b32 v34, v32, 16, v18
	v_and_b32_e32 v18, 0xffff, v33
	v_lshl_or_b32 v33, v35, 16, v18
	;; [unrolled: 2-line block ×3, first 2 shown]
	v_and_b32_e32 v18, 0xffff, v38
	;;#ASMSTART
	v_pk_mul_f16 v16, v34, v16;

	;;#ASMEND
	;;#ASMSTART
	v_pk_mul_f16 v10, v33, v10;

	;;#ASMEND
	v_lshl_or_b32 v31, v39, 16, v18
	;;#ASMSTART
	v_pk_mul_f16 v17, v32, v17;

	;;#ASMEND
	;;#ASMSTART
	v_pk_mul_f16 v14, v31, v14;

	;;#ASMEND
	;;#ASMSTART
	v_pk_add_f16 v10, v16, v10;

	;;#ASMEND
	;;#ASMSTART
	v_pk_add_f16 v10, v10, v17;
	;; [unrolled: 4-line block ×3, first 2 shown]

	;;#ASMEND
	v_lshrrev_b32_e32 v14, 16, v10
	v_and_b32_e32 v10, 0xffff, v10
	;;#ASMSTART
	v_cvt_f32_f16 v35, v10;
	;;#ASMEND
	;;#ASMSTART
	v_cvt_f32_f16 v36, v14;
	;;#ASMEND
	global_load_dwordx2 v[18:19], v[12:13], off offset:512
	global_load_dword v14, v11, s[14:15]
	v_mov_b32_e32 v16, 0
	v_mov_b32_e32 v12, 0
	s_waitcnt vmcnt(1)
	v_cmp_ne_u16_sdwa s[0:1], v18, v24 src0_sel:BYTE_0 src1_sel:DWORD
	s_and_saveexec_b64 s[16:17], s[0:1]
	s_cbranch_execz .LBB263_204
; %bb.199:                              ;   in Loop: Header=BB263_147 Depth=1
	v_cmp_ne_u16_sdwa s[0:1], v18, s26 src0_sel:BYTE_0 src1_sel:DWORD
	v_bfrev_b32_e32 v12, 1
	s_and_saveexec_b64 s[18:19], s[0:1]
	s_cbranch_execz .LBB263_203
; %bb.200:                              ;   in Loop: Header=BB263_147 Depth=1
	v_and_b32_e32 v10, 0x7f, v18
	v_cmp_ne_u32_e64 s[0:1], s27, v10
	v_mov_b32_e32 v12, 0x7fc02000
	s_and_saveexec_b64 s[20:21], s[0:1]
	s_cbranch_execz .LBB263_202
; %bb.201:                              ;   in Loop: Header=BB263_147 Depth=1
	v_and_b32_e32 v12, 7, v18
	v_ffbh_u32_e32 v12, v12
	v_min_u32_e32 v12, 32, v12
	v_subrev_u32_e32 v13, 28, v12
	v_cmp_gt_u32_e64 s[0:1], 8, v10
	v_lshrrev_b32_e32 v17, 3, v10
	v_sub_u32_e32 v37, 29, v12
	v_cndmask_b32_e64 v10, 0, v13, s[0:1]
	v_lshlrev_b64 v[12:13], v10, v[18:19]
	v_cndmask_b32_e64 v10, v17, v37, s[0:1]
	v_lshlrev_b32_e32 v13, 8, v18
	v_lshl_add_u32 v10, v10, 10, v25
	v_lshlrev_b32_e32 v12, 7, v12
	v_and_or_b32 v10, v13, s34, v10
	v_and_or_b32 v10, v12, s36, v10
	v_cvt_f32_f16_e32 v12, v10
.LBB263_202:                            ;   in Loop: Header=BB263_147 Depth=1
	s_or_b64 exec, exec, s[20:21]
.LBB263_203:                            ;   in Loop: Header=BB263_147 Depth=1
	s_or_b64 exec, exec, s[18:19]
.LBB263_204:                            ;   in Loop: Header=BB263_147 Depth=1
	s_or_b64 exec, exec, s[16:17]
	v_lshrrev_b16_e32 v10, 8, v18
	v_cmp_ne_u16_e64 s[0:1], 0, v10
	s_and_saveexec_b64 s[16:17], s[0:1]
	s_cbranch_execz .LBB263_210
; %bb.205:                              ;   in Loop: Header=BB263_147 Depth=1
	v_cmp_ne_u16_e64 s[0:1], s26, v10
	v_bfrev_b32_e32 v16, 1
	s_and_saveexec_b64 s[18:19], s[0:1]
	s_cbranch_execz .LBB263_209
; %bb.206:                              ;   in Loop: Header=BB263_147 Depth=1
	v_and_b32_e32 v13, 0x7f, v10
	v_cmp_ne_u32_e64 s[0:1], s27, v13
	v_mov_b32_e32 v16, 0x7fc02000
	s_and_saveexec_b64 s[20:21], s[0:1]
	s_cbranch_execz .LBB263_208
; %bb.207:                              ;   in Loop: Header=BB263_147 Depth=1
	v_and_b32_e32 v37, 7, v10
	v_ffbh_u32_e32 v16, v37
	v_min_u32_e32 v39, 32, v16
	v_subrev_u32_e32 v16, 28, v39
	v_lshlrev_b64 v[16:17], v16, v[10:11]
	v_lshrrev_b32_e32 v38, 3, v13
	v_sub_u32_e32 v17, 29, v39
	v_cmp_gt_u32_e64 s[0:1], 8, v13
	v_cndmask_b32_e64 v13, v38, v17, s[0:1]
	v_and_b32_e32 v16, 7, v16
	v_lshlrev_b32_e32 v10, 8, v10
	v_lshl_add_u32 v13, v13, 10, v25
	v_cndmask_b32_e64 v16, v37, v16, s[0:1]
	v_and_or_b32 v10, v10, s34, v13
	v_lshl_or_b32 v10, v16, 7, v10
	v_cvt_f32_f16_e32 v16, v10
.LBB263_208:                            ;   in Loop: Header=BB263_147 Depth=1
	s_or_b64 exec, exec, s[20:21]
.LBB263_209:                            ;   in Loop: Header=BB263_147 Depth=1
	s_or_b64 exec, exec, s[18:19]
.LBB263_210:                            ;   in Loop: Header=BB263_147 Depth=1
	s_or_b64 exec, exec, s[16:17]
	v_lshrrev_b32_e32 v10, 16, v18
	v_cmp_ne_u16_sdwa s[0:1], v10, v24 src0_sel:BYTE_0 src1_sel:DWORD
	v_mov_b32_e32 v17, 0
	v_mov_b32_e32 v13, 0
	s_and_saveexec_b64 s[16:17], s[0:1]
	s_cbranch_execz .LBB263_216
; %bb.211:                              ;   in Loop: Header=BB263_147 Depth=1
	v_cmp_ne_u16_sdwa s[0:1], v10, s26 src0_sel:BYTE_0 src1_sel:DWORD
	v_bfrev_b32_e32 v13, 1
	s_and_saveexec_b64 s[18:19], s[0:1]
	s_cbranch_execz .LBB263_215
; %bb.212:                              ;   in Loop: Header=BB263_147 Depth=1
	v_bfe_u32 v37, v18, 16, 7
	v_cmp_ne_u32_e64 s[0:1], s27, v37
	v_mov_b32_e32 v13, 0x7fc02000
	s_and_saveexec_b64 s[20:21], s[0:1]
	s_cbranch_execz .LBB263_214
; %bb.213:                              ;   in Loop: Header=BB263_147 Depth=1
	v_and_b32_e32 v13, 7, v10
	v_ffbh_u32_e32 v38, v13
	v_min_u32_e32 v41, 32, v38
	v_subrev_u32_e32 v38, 28, v41
	v_lshlrev_b64 v[38:39], v38, v[10:11]
	v_lshrrev_b32_e32 v40, 3, v37
	v_sub_u32_e32 v39, 29, v41
	v_cmp_gt_u32_e64 s[0:1], 8, v37
	v_cndmask_b32_e64 v37, v40, v39, s[0:1]
	v_and_b32_e32 v38, 7, v38
	v_lshlrev_b32_e32 v10, 8, v10
	v_lshl_add_u32 v37, v37, 10, v25
	v_cndmask_b32_e64 v13, v13, v38, s[0:1]
	v_and_or_b32 v10, v10, s34, v37
	v_lshl_or_b32 v10, v13, 7, v10
	v_cvt_f32_f16_e32 v13, v10
.LBB263_214:                            ;   in Loop: Header=BB263_147 Depth=1
	s_or_b64 exec, exec, s[20:21]
.LBB263_215:                            ;   in Loop: Header=BB263_147 Depth=1
	s_or_b64 exec, exec, s[18:19]
.LBB263_216:                            ;   in Loop: Header=BB263_147 Depth=1
	s_or_b64 exec, exec, s[16:17]
	v_cmp_lt_u32_e64 s[0:1], s7, v18
	s_and_saveexec_b64 s[16:17], s[0:1]
	s_cbranch_execz .LBB263_222
; %bb.217:                              ;   in Loop: Header=BB263_147 Depth=1
	v_lshrrev_b32_e32 v10, 24, v18
	v_cmp_ne_u32_e64 s[0:1], s26, v10
	v_bfrev_b32_e32 v17, 1
	s_and_saveexec_b64 s[18:19], s[0:1]
	s_cbranch_execz .LBB263_221
; %bb.218:                              ;   in Loop: Header=BB263_147 Depth=1
	v_and_b32_e32 v37, 0x7f, v10
	v_cmp_ne_u32_e64 s[0:1], s27, v37
	v_mov_b32_e32 v17, 0x7fc02000
	s_and_saveexec_b64 s[20:21], s[0:1]
	s_cbranch_execz .LBB263_220
; %bb.219:                              ;   in Loop: Header=BB263_147 Depth=1
	v_and_b32_e32 v17, 7, v10
	v_ffbh_u32_e32 v38, v17
	v_min_u32_e32 v41, 32, v38
	v_subrev_u32_e32 v38, 28, v41
	v_lshlrev_b64 v[38:39], v38, v[10:11]
	v_lshrrev_b32_e32 v40, 3, v37
	v_sub_u32_e32 v39, 29, v41
	v_cmp_gt_u32_e64 s[0:1], 8, v37
	v_cndmask_b32_e64 v37, v40, v39, s[0:1]
	v_and_b32_e32 v38, 7, v38
	v_lshlrev_b32_e32 v10, 8, v10
	v_lshl_add_u32 v37, v37, 10, v25
	v_cndmask_b32_e64 v17, v17, v38, s[0:1]
	v_and_or_b32 v10, v10, s34, v37
	v_lshl_or_b32 v10, v17, 7, v10
	v_cvt_f32_f16_e32 v17, v10
.LBB263_220:                            ;   in Loop: Header=BB263_147 Depth=1
	s_or_b64 exec, exec, s[20:21]
.LBB263_221:                            ;   in Loop: Header=BB263_147 Depth=1
	s_or_b64 exec, exec, s[18:19]
.LBB263_222:                            ;   in Loop: Header=BB263_147 Depth=1
	s_or_b64 exec, exec, s[16:17]
	v_mov_b32_e32 v10, v19
	v_cmp_ne_u16_sdwa s[0:1], v19, v24 src0_sel:BYTE_0 src1_sel:DWORD
	v_mov_b32_e32 v38, 0
	v_mov_b32_e32 v37, 0
	s_and_saveexec_b64 s[16:17], s[0:1]
	s_cbranch_execz .LBB263_228
; %bb.223:                              ;   in Loop: Header=BB263_147 Depth=1
	v_cmp_ne_u16_sdwa s[0:1], v19, s26 src0_sel:BYTE_0 src1_sel:DWORD
	v_bfrev_b32_e32 v37, 1
	s_and_saveexec_b64 s[18:19], s[0:1]
	s_cbranch_execz .LBB263_227
; %bb.224:                              ;   in Loop: Header=BB263_147 Depth=1
	v_and_b32_e32 v39, 0x7f, v19
	v_cmp_ne_u32_e64 s[0:1], s27, v39
	v_mov_b32_e32 v37, 0x7fc02000
	s_and_saveexec_b64 s[20:21], s[0:1]
	s_cbranch_execz .LBB263_226
; %bb.225:                              ;   in Loop: Header=BB263_147 Depth=1
	v_and_b32_e32 v37, 7, v19
	v_ffbh_u32_e32 v37, v37
	v_min_u32_e32 v37, 32, v37
	v_subrev_u32_e32 v40, 28, v37
	v_cmp_gt_u32_e64 s[0:1], 8, v39
	v_lshrrev_b32_e32 v42, 3, v39
	v_sub_u32_e32 v37, 29, v37
	v_cndmask_b32_e64 v39, 0, v40, s[0:1]
	v_lshlrev_b64 v[40:41], v39, v[10:11]
	v_cndmask_b32_e64 v37, v42, v37, s[0:1]
	v_lshlrev_b32_e32 v39, 7, v40
	v_lshlrev_b32_e32 v40, 8, v19
	v_lshl_add_u32 v37, v37, 10, v25
	v_and_or_b32 v37, v40, s34, v37
	v_and_or_b32 v37, v39, s36, v37
	v_cvt_f32_f16_e32 v37, v37
.LBB263_226:                            ;   in Loop: Header=BB263_147 Depth=1
	s_or_b64 exec, exec, s[20:21]
.LBB263_227:                            ;   in Loop: Header=BB263_147 Depth=1
	s_or_b64 exec, exec, s[18:19]
.LBB263_228:                            ;   in Loop: Header=BB263_147 Depth=1
	s_or_b64 exec, exec, s[16:17]
	v_lshrrev_b16_e32 v10, 8, v10
	v_cmp_ne_u16_e64 s[0:1], 0, v10
	s_and_saveexec_b64 s[16:17], s[0:1]
	s_cbranch_execz .LBB263_234
; %bb.229:                              ;   in Loop: Header=BB263_147 Depth=1
	v_cmp_ne_u16_e64 s[0:1], s26, v10
	v_bfrev_b32_e32 v38, 1
	s_and_saveexec_b64 s[18:19], s[0:1]
	s_cbranch_execz .LBB263_233
; %bb.230:                              ;   in Loop: Header=BB263_147 Depth=1
	v_and_b32_e32 v39, 0x7f, v10
	v_cmp_ne_u32_e64 s[0:1], s27, v39
	v_mov_b32_e32 v38, 0x7fc02000
	s_and_saveexec_b64 s[20:21], s[0:1]
	s_cbranch_execz .LBB263_232
; %bb.231:                              ;   in Loop: Header=BB263_147 Depth=1
	v_and_b32_e32 v38, 7, v10
	v_ffbh_u32_e32 v40, v38
	v_min_u32_e32 v43, 32, v40
	v_subrev_u32_e32 v40, 28, v43
	v_lshlrev_b64 v[40:41], v40, v[10:11]
	v_lshrrev_b32_e32 v42, 3, v39
	v_sub_u32_e32 v41, 29, v43
	v_cmp_gt_u32_e64 s[0:1], 8, v39
	v_cndmask_b32_e64 v39, v42, v41, s[0:1]
	v_and_b32_e32 v40, 7, v40
	v_lshlrev_b32_e32 v10, 8, v10
	v_lshl_add_u32 v39, v39, 10, v25
	v_cndmask_b32_e64 v38, v38, v40, s[0:1]
	v_and_or_b32 v10, v10, s34, v39
	v_lshl_or_b32 v10, v38, 7, v10
	v_cvt_f32_f16_e32 v38, v10
.LBB263_232:                            ;   in Loop: Header=BB263_147 Depth=1
	s_or_b64 exec, exec, s[20:21]
.LBB263_233:                            ;   in Loop: Header=BB263_147 Depth=1
	s_or_b64 exec, exec, s[18:19]
.LBB263_234:                            ;   in Loop: Header=BB263_147 Depth=1
	s_or_b64 exec, exec, s[16:17]
	v_lshrrev_b32_e32 v10, 16, v19
	v_cmp_ne_u16_sdwa s[0:1], v10, v24 src0_sel:BYTE_0 src1_sel:DWORD
	v_mov_b32_e32 v39, 0
	v_mov_b32_e32 v40, 0
	s_and_saveexec_b64 s[16:17], s[0:1]
	s_cbranch_execz .LBB263_240
; %bb.235:                              ;   in Loop: Header=BB263_147 Depth=1
	v_cmp_ne_u16_sdwa s[0:1], v10, s26 src0_sel:BYTE_0 src1_sel:DWORD
	v_bfrev_b32_e32 v40, 1
	s_and_saveexec_b64 s[18:19], s[0:1]
	s_cbranch_execz .LBB263_239
; %bb.236:                              ;   in Loop: Header=BB263_147 Depth=1
	v_bfe_u32 v41, v19, 16, 7
	v_cmp_ne_u32_e64 s[0:1], s27, v41
	v_mov_b32_e32 v40, 0x7fc02000
	s_and_saveexec_b64 s[20:21], s[0:1]
	s_cbranch_execz .LBB263_238
; %bb.237:                              ;   in Loop: Header=BB263_147 Depth=1
	v_and_b32_e32 v40, 7, v10
	v_ffbh_u32_e32 v42, v40
	v_min_u32_e32 v45, 32, v42
	v_subrev_u32_e32 v42, 28, v45
	v_lshlrev_b64 v[42:43], v42, v[10:11]
	v_lshrrev_b32_e32 v44, 3, v41
	v_sub_u32_e32 v43, 29, v45
	v_cmp_gt_u32_e64 s[0:1], 8, v41
	v_cndmask_b32_e64 v41, v44, v43, s[0:1]
	v_and_b32_e32 v42, 7, v42
	v_lshlrev_b32_e32 v10, 8, v10
	v_lshl_add_u32 v41, v41, 10, v25
	v_cndmask_b32_e64 v40, v40, v42, s[0:1]
	v_and_or_b32 v10, v10, s34, v41
	v_lshl_or_b32 v10, v40, 7, v10
	v_cvt_f32_f16_e32 v40, v10
.LBB263_238:                            ;   in Loop: Header=BB263_147 Depth=1
	s_or_b64 exec, exec, s[20:21]
.LBB263_239:                            ;   in Loop: Header=BB263_147 Depth=1
	s_or_b64 exec, exec, s[18:19]
.LBB263_240:                            ;   in Loop: Header=BB263_147 Depth=1
	s_or_b64 exec, exec, s[16:17]
	v_cmp_lt_u64_e64 s[0:1], s[6:7], v[18:19]
	s_and_saveexec_b64 s[16:17], s[0:1]
	s_cbranch_execz .LBB263_246
; %bb.241:                              ;   in Loop: Header=BB263_147 Depth=1
	v_lshrrev_b32_e32 v10, 24, v19
	v_cmp_ne_u32_e64 s[0:1], s26, v10
	v_bfrev_b32_e32 v39, 1
	s_and_saveexec_b64 s[18:19], s[0:1]
	s_cbranch_execz .LBB263_245
; %bb.242:                              ;   in Loop: Header=BB263_147 Depth=1
	v_and_b32_e32 v18, 0x7f, v10
	v_cmp_ne_u32_e64 s[0:1], s27, v18
	v_mov_b32_e32 v39, 0x7fc02000
	s_and_saveexec_b64 s[20:21], s[0:1]
	s_cbranch_execz .LBB263_244
; %bb.243:                              ;   in Loop: Header=BB263_147 Depth=1
	v_and_b32_e32 v19, 7, v10
	v_ffbh_u32_e32 v41, v19
	v_min_u32_e32 v41, 32, v41
	v_lshrrev_b32_e32 v39, 3, v18
	v_subrev_u32_e32 v42, 28, v41
	v_sub_u32_e32 v41, 29, v41
	v_cmp_gt_u32_e64 s[0:1], 8, v18
	v_lshlrev_b64 v[42:43], v42, v[10:11]
	v_cndmask_b32_e64 v18, v39, v41, s[0:1]
	v_and_b32_e32 v42, 7, v42
	v_lshlrev_b32_e32 v10, 8, v10
	v_lshl_add_u32 v18, v18, 10, v25
	v_cndmask_b32_e64 v19, v19, v42, s[0:1]
	v_and_or_b32 v10, v10, s34, v18
	v_lshl_or_b32 v10, v19, 7, v10
	v_cvt_f32_f16_e32 v39, v10
.LBB263_244:                            ;   in Loop: Header=BB263_147 Depth=1
	s_or_b64 exec, exec, s[20:21]
.LBB263_245:                            ;   in Loop: Header=BB263_147 Depth=1
	s_or_b64 exec, exec, s[18:19]
.LBB263_246:                            ;   in Loop: Header=BB263_147 Depth=1
	s_or_b64 exec, exec, s[16:17]
	s_waitcnt vmcnt(0)
	v_pk_mul_f32 v[16:17], v[14:15], v[16:17] op_sel_hi:[0,1]
	v_pk_mul_f32 v[12:13], v[14:15], v[12:13] op_sel_hi:[0,1]
	v_cvt_f16_f32_e32 v10, v17
	v_cvt_f16_f32_e32 v16, v16
	;; [unrolled: 1-line block ×4, first 2 shown]
	v_pack_b32_f16 v16, v16, v10
	v_pack_b32_f16 v12, v12, v13
	v_perm_b32 v10, v12, v16, s37
	v_perm_b32 v13, v12, v16, s38
	v_fma_mixlo_f16 v12, v14, v38, 0
	v_lshlrev_b32_e32 v12, 16, v12
	v_fma_mixlo_f16 v16, v14, v37, 0
	v_or_b32_sdwa v12, v12, v16 dst_sel:DWORD dst_unused:UNUSED_PAD src0_sel:DWORD src1_sel:WORD_0
	v_fma_mixlo_f16 v16, v14, v40, 0
	v_fma_mixlo_f16 v14, v14, v39, 0
	v_lshlrev_b32_e32 v14, 16, v14
	v_or_b32_sdwa v14, v14, v16 dst_sel:DWORD dst_unused:UNUSED_PAD src0_sel:DWORD src1_sel:WORD_0
	s_and_saveexec_b64 s[0:1], vcc
	s_cbranch_execz .LBB263_145
; %bb.247:                              ;   in Loop: Header=BB263_147 Depth=1
	v_lshrrev_b32_e32 v17, 16, v13
	v_cmp_gt_i32_e32 vcc, s24, v30
	v_cndmask_b32_e32 v17, 0, v17, vcc
	v_cmp_gt_i32_e32 vcc, s33, v15
	v_cndmask_b32_e32 v13, 0, v13, vcc
	v_perm_b32 v13, v17, v13, s39
	v_lshrrev_b32_e32 v17, 16, v10
	v_cmp_gt_i32_e32 vcc, s24, v29
	v_cndmask_b32_e32 v17, 0, v17, vcc
	v_cmp_gt_i32_e32 vcc, s33, v28
	v_cndmask_b32_e32 v10, 0, v10, vcc
	v_perm_b32 v10, v17, v10, s39
	v_lshrrev_b32_e32 v17, 16, v12
	v_cmp_gt_i32_e32 vcc, s24, v27
	v_cndmask_b32_e32 v17, 0, v17, vcc
	v_cmp_gt_i32_e32 vcc, s33, v26
	v_cndmask_b32_e32 v12, 0, v12, vcc
	v_lshrrev_b32_e32 v14, 16, v14
	v_cmp_gt_i32_e32 vcc, s24, v21
	v_cndmask_b32_e32 v14, 0, v14, vcc
	v_cmp_gt_i32_e32 vcc, s33, v20
	v_cndmask_b32_e32 v16, 0, v16, vcc
	v_perm_b32 v12, v17, v12, s39
	v_perm_b32 v14, v14, v16, s39
	s_branch .LBB263_145
.LBB263_248:
	s_or_b64 exec, exec, s[10:11]
.LBB263_249:
	s_or_b64 exec, exec, s[4:5]
	v_and_b32_e32 v2, 0x3c0, v0
	v_cmp_eq_u32_e32 vcc, 64, v2
	s_barrier
	s_and_saveexec_b64 s[0:1], vcc
	s_cbranch_execz .LBB263_251
; %bb.250:
	v_mov_b32_e32 v2, 0x110
	v_lshl_add_u32 v3, v0, 2, v2
	v_lshl_add_u32 v2, v22, 2, v2
	ds_write_b32 v2, v4
	ds_write_b32 v3, v5
.LBB263_251:
	s_or_b64 exec, exec, s[0:1]
	v_cmp_gt_u32_e32 vcc, 64, v0
	s_waitcnt lgkmcnt(0)
	s_barrier
	s_and_saveexec_b64 s[0:1], vcc
	s_cbranch_execz .LBB263_253
; %bb.252:
	v_mov_b32_e32 v2, 0x110
	v_lshl_add_u32 v0, v0, 2, v2
	ds_read2st64_b32 v[2:3], v0 offset1:1
	s_waitcnt lgkmcnt(0)
	v_pk_add_f32 v[4:5], v[4:5], v[2:3]
.LBB263_253:
	s_or_b64 exec, exec, s[0:1]
	s_barrier
	s_and_saveexec_b64 s[0:1], vcc
	s_cbranch_execz .LBB263_255
; %bb.254:
	s_lshl_b32 s0, s2, 7
	s_ashr_i32 s1, s0, 31
	s_lshl_b64 s[0:1], s[0:1], 1
	s_add_u32 s2, s30, s0
	s_mul_i32 s0, s23, s28
	s_addc_u32 s3, s31, s1
	s_ashr_i32 s1, s0, 31
	s_lshl_b64 s[0:1], s[0:1], 1
	s_add_u32 s2, s2, s0
	s_addc_u32 s3, s3, s1
	s_lshl_b32 s0, s8, 7
	s_ashr_i32 s1, s0, 31
	s_lshl_b64 s[0:1], s[0:1], 1
	s_add_u32 s0, s2, s0
	s_addc_u32 s1, s3, s1
	;;#ASMSTART
	v_cvt_f16_f32 v0, v4;

	;;#ASMEND
	global_store_short v1, v0, s[0:1]
	;;#ASMSTART
	v_cvt_f16_f32 v0, v5;

	;;#ASMEND
	global_store_short v1, v0, s[0:1] offset:128
.LBB263_255:
	s_endpgm
	.section	.rodata,"a",@progbits
	.p2align	6, 0x0
	.amdhsa_kernel _ZN4vllm25paged_attention_v2_kernelIthLi128ELi8ELi128ELNS_18Fp8KVCacheDataTypeE1ELb1ELi512EEEvPfS2_PT_PKS3_PKT0_S9_ifPKiSB_iPKfiiiSD_SD_iiiii
		.amdhsa_group_segment_fixed_size 272
		.amdhsa_private_segment_fixed_size 0
		.amdhsa_kernarg_size 400
		.amdhsa_user_sgpr_count 6
		.amdhsa_user_sgpr_private_segment_buffer 1
		.amdhsa_user_sgpr_dispatch_ptr 0
		.amdhsa_user_sgpr_queue_ptr 0
		.amdhsa_user_sgpr_kernarg_segment_ptr 1
		.amdhsa_user_sgpr_dispatch_id 0
		.amdhsa_user_sgpr_flat_scratch_init 0
		.amdhsa_user_sgpr_kernarg_preload_length 0
		.amdhsa_user_sgpr_kernarg_preload_offset 0
		.amdhsa_user_sgpr_private_segment_size 0
		.amdhsa_uses_dynamic_stack 0
		.amdhsa_system_sgpr_private_segment_wavefront_offset 0
		.amdhsa_system_sgpr_workgroup_id_x 1
		.amdhsa_system_sgpr_workgroup_id_y 1
		.amdhsa_system_sgpr_workgroup_id_z 1
		.amdhsa_system_sgpr_workgroup_info 0
		.amdhsa_system_vgpr_workitem_id 0
		.amdhsa_next_free_vgpr 54
		.amdhsa_next_free_sgpr 62
		.amdhsa_accum_offset 56
		.amdhsa_reserve_vcc 1
		.amdhsa_reserve_flat_scratch 0
		.amdhsa_float_round_mode_32 0
		.amdhsa_float_round_mode_16_64 0
		.amdhsa_float_denorm_mode_32 3
		.amdhsa_float_denorm_mode_16_64 3
		.amdhsa_dx10_clamp 1
		.amdhsa_ieee_mode 1
		.amdhsa_fp16_overflow 0
		.amdhsa_tg_split 0
		.amdhsa_exception_fp_ieee_invalid_op 0
		.amdhsa_exception_fp_denorm_src 0
		.amdhsa_exception_fp_ieee_div_zero 0
		.amdhsa_exception_fp_ieee_overflow 0
		.amdhsa_exception_fp_ieee_underflow 0
		.amdhsa_exception_fp_ieee_inexact 0
		.amdhsa_exception_int_div_zero 0
	.end_amdhsa_kernel
	.section	.text._ZN4vllm25paged_attention_v2_kernelIthLi128ELi8ELi128ELNS_18Fp8KVCacheDataTypeE1ELb1ELi512EEEvPfS2_PT_PKS3_PKT0_S9_ifPKiSB_iPKfiiiSD_SD_iiiii,"axG",@progbits,_ZN4vllm25paged_attention_v2_kernelIthLi128ELi8ELi128ELNS_18Fp8KVCacheDataTypeE1ELb1ELi512EEEvPfS2_PT_PKS3_PKT0_S9_ifPKiSB_iPKfiiiSD_SD_iiiii,comdat
.Lfunc_end263:
	.size	_ZN4vllm25paged_attention_v2_kernelIthLi128ELi8ELi128ELNS_18Fp8KVCacheDataTypeE1ELb1ELi512EEEvPfS2_PT_PKS3_PKT0_S9_ifPKiSB_iPKfiiiSD_SD_iiiii, .Lfunc_end263-_ZN4vllm25paged_attention_v2_kernelIthLi128ELi8ELi128ELNS_18Fp8KVCacheDataTypeE1ELb1ELi512EEEvPfS2_PT_PKS3_PKT0_S9_ifPKiSB_iPKfiiiSD_SD_iiiii
                                        ; -- End function
	.section	.AMDGPU.csdata,"",@progbits
; Kernel info:
; codeLenInByte = 11408
; NumSgprs: 66
; NumVgprs: 54
; NumAgprs: 0
; TotalNumVgprs: 54
; ScratchSize: 0
; MemoryBound: 0
; FloatMode: 240
; IeeeMode: 1
; LDSByteSize: 272 bytes/workgroup (compile time only)
; SGPRBlocks: 8
; VGPRBlocks: 6
; NumSGPRsForWavesPerEU: 66
; NumVGPRsForWavesPerEU: 54
; AccumOffset: 56
; Occupancy: 8
; WaveLimiterHint : 1
; COMPUTE_PGM_RSRC2:SCRATCH_EN: 0
; COMPUTE_PGM_RSRC2:USER_SGPR: 6
; COMPUTE_PGM_RSRC2:TRAP_HANDLER: 0
; COMPUTE_PGM_RSRC2:TGID_X_EN: 1
; COMPUTE_PGM_RSRC2:TGID_Y_EN: 1
; COMPUTE_PGM_RSRC2:TGID_Z_EN: 1
; COMPUTE_PGM_RSRC2:TIDIG_COMP_CNT: 0
; COMPUTE_PGM_RSRC3_GFX90A:ACCUM_OFFSET: 13
; COMPUTE_PGM_RSRC3_GFX90A:TG_SPLIT: 0
	.section	.text._ZN4vllm25paged_attention_v2_kernelIthLi192ELi8ELi128ELNS_18Fp8KVCacheDataTypeE1ELb1ELi512EEEvPfS2_PT_PKS3_PKT0_S9_ifPKiSB_iPKfiiiSD_SD_iiiii,"axG",@progbits,_ZN4vllm25paged_attention_v2_kernelIthLi192ELi8ELi128ELNS_18Fp8KVCacheDataTypeE1ELb1ELi512EEEvPfS2_PT_PKS3_PKT0_S9_ifPKiSB_iPKfiiiSD_SD_iiiii,comdat
	.protected	_ZN4vllm25paged_attention_v2_kernelIthLi192ELi8ELi128ELNS_18Fp8KVCacheDataTypeE1ELb1ELi512EEEvPfS2_PT_PKS3_PKT0_S9_ifPKiSB_iPKfiiiSD_SD_iiiii ; -- Begin function _ZN4vllm25paged_attention_v2_kernelIthLi192ELi8ELi128ELNS_18Fp8KVCacheDataTypeE1ELb1ELi512EEEvPfS2_PT_PKS3_PKT0_S9_ifPKiSB_iPKfiiiSD_SD_iiiii
	.globl	_ZN4vllm25paged_attention_v2_kernelIthLi192ELi8ELi128ELNS_18Fp8KVCacheDataTypeE1ELb1ELi512EEEvPfS2_PT_PKS3_PKT0_S9_ifPKiSB_iPKfiiiSD_SD_iiiii
	.p2align	8
	.type	_ZN4vllm25paged_attention_v2_kernelIthLi192ELi8ELi128ELNS_18Fp8KVCacheDataTypeE1ELb1ELi512EEEvPfS2_PT_PKS3_PKT0_S9_ifPKiSB_iPKfiiiSD_SD_iiiii,@function
_ZN4vllm25paged_attention_v2_kernelIthLi192ELi8ELi128ELNS_18Fp8KVCacheDataTypeE1ELb1ELi512EEEvPfS2_PT_PKS3_PKT0_S9_ifPKiSB_iPKfiiiSD_SD_iiiii: ; @_ZN4vllm25paged_attention_v2_kernelIthLi192ELi8ELi128ELNS_18Fp8KVCacheDataTypeE1ELb1ELi512EEEvPfS2_PT_PKS3_PKT0_S9_ifPKiSB_iPKfiiiSD_SD_iiiii
; %bb.0:
	s_load_dwordx2 s[0:1], s[4:5], 0x40
	s_mov_b32 s38, s7
	s_ashr_i32 s39, s7, 31
	s_lshl_b64 s[2:3], s[38:39], 2
	s_waitcnt lgkmcnt(0)
	s_add_u32 s0, s0, s2
	s_addc_u32 s1, s1, s3
	s_load_dword s39, s[0:1], 0x0
	s_lshl_b32 s54, s8, 9
	s_waitcnt lgkmcnt(0)
	s_cmp_ge_i32 s54, s39
	s_cbranch_scc1 .LBB264_353
; %bb.1:
	s_load_dword s9, s[4:5], 0x90
	s_load_dwordx2 s[44:45], s[4:5], 0x30
	s_mov_b32 s55, 0
	s_waitcnt lgkmcnt(0)
	s_abs_i32 s2, s9
	s_abs_i32 s0, s44
	v_cvt_f32_u32_e32 v1, s0
	s_sub_i32 s3, 0, s0
	s_xor_b32 s1, s9, s44
	s_ashr_i32 s1, s1, 31
	v_rcp_iflag_f32_e32 v1, v1
	v_mul_f32_e32 v1, 0x4f7ffffe, v1
	v_cvt_u32_f32_e32 v1, v1
	v_readfirstlane_b32 s7, v1
	s_mul_i32 s3, s3, s7
	s_mul_hi_u32 s3, s7, s3
	s_add_i32 s7, s7, s3
	s_mul_hi_u32 s3, s2, s7
	s_mul_i32 s7, s3, s0
	s_sub_i32 s2, s2, s7
	s_add_i32 s10, s3, 1
	s_sub_i32 s7, s2, s0
	s_cmp_ge_u32 s2, s0
	s_cselect_b32 s3, s10, s3
	s_cselect_b32 s2, s7, s2
	s_add_i32 s7, s3, 1
	s_cmp_ge_u32 s2, s0
	s_cselect_b32 s0, s7, s3
	s_xor_b32 s0, s0, s1
	s_sub_i32 s11, s0, s1
	s_abs_i32 s10, s11
	v_cvt_f32_u32_e32 v1, s10
	s_load_dwordx2 s[0:1], s[4:5], 0x50
	s_sub_i32 s2, 0, s10
	s_abs_i32 s12, s6
	v_rcp_iflag_f32_e32 v1, v1
	v_mul_f32_e32 v1, 0x4f7ffffe, v1
	v_cvt_u32_f32_e32 v1, v1
	v_readfirstlane_b32 s3, v1
	s_mul_i32 s2, s2, s3
	s_mul_hi_u32 s2, s3, s2
	s_add_i32 s2, s3, s2
	s_waitcnt lgkmcnt(0)
	s_cmp_eq_u64 s[0:1], 0
	s_cbranch_scc1 .LBB264_3
; %bb.2:
	s_ashr_i32 s7, s6, 31
	s_lshl_b64 s[14:15], s[6:7], 2
	s_add_u32 s0, s0, s14
	s_addc_u32 s1, s1, s15
	s_load_dword s55, s[0:1], 0x0
.LBB264_3:
	s_load_dwordx4 s[24:27], s[4:5], 0x0
	s_load_dwordx2 s[34:35], s[4:5], 0x10
	s_load_dwordx4 s[20:23], s[4:5], 0x20
	s_load_dwordx2 s[40:41], s[4:5], 0x38
	s_load_dword s33, s[4:5], 0x98
	s_load_dwordx4 s[16:19], s[4:5], 0x58
	s_movk_i32 s0, 0xc0
	s_mul_i32 s36, s6, 0xc0
	s_mul_hi_u32 s7, s12, s2
	v_and_b32_e32 v4, 7, v0
	s_ashr_i32 s37, s36, 31
	v_cmp_gt_u32_e32 vcc, s0, v0
	s_and_saveexec_b64 s[0:1], vcc
	s_cbranch_execz .LBB264_6
; %bb.4:
	s_load_dwordx2 s[2:3], s[4:5], 0x18
	s_waitcnt lgkmcnt(0)
	s_mul_i32 s14, s38, s16
	s_ashr_i32 s15, s14, 31
	s_lshl_b64 s[14:15], s[14:15], 1
	s_lshl_b64 s[28:29], s[36:37], 1
	v_lshrrev_b32_e32 v2, 3, v0
	s_add_u32 s13, s14, s28
	v_lshlrev_b32_e32 v3, 1, v2
	s_addc_u32 s14, s15, s29
	v_mad_u32_u24 v5, v4, 48, v3
	v_lshlrev_b32_e32 v3, 1, v4
	s_add_u32 s2, s2, s13
	v_add_u32_e32 v1, -16, v2
	v_lshl_or_b32 v2, v2, 4, v3
	s_addc_u32 s3, s3, s14
	v_mov_b32_e32 v3, s3
	v_add_co_u32_e32 v2, vcc, s2, v2
	v_addc_co_u32_e32 v3, vcc, 0, v3, vcc
	s_mov_b64 s[2:3], 0
.LBB264_5:                              ; =>This Inner Loop Header: Depth=1
	global_load_ushort v6, v[2:3], off
	v_add_co_u32_e32 v2, vcc, 0x100, v2
	v_add_u32_e32 v1, 16, v1
	v_addc_co_u32_e32 v3, vcc, 0, v3, vcc
	v_cmp_lt_u32_e32 vcc, 7, v1
	s_or_b64 s[2:3], vcc, s[2:3]
	s_waitcnt vmcnt(0)
	ds_write_b16 v5, v6
	v_add_u32_e32 v5, 32, v5
	s_andn2_b64 exec, exec, s[2:3]
	s_cbranch_execnz .LBB264_5
.LBB264_6:
	s_or_b64 exec, exec, s[0:1]
	s_ashr_i32 s0, s6, 31
	s_ashr_i32 s1, s11, 31
	s_xor_b32 s0, s0, s1
	s_mul_i32 s1, s7, s10
	s_sub_i32 s1, s12, s1
	s_add_i32 s2, s7, 1
	s_sub_i32 s3, s1, s10
	s_load_dwordx4 s[28:31], s[4:5], 0x78
	s_cmp_ge_u32 s1, s10
	s_cselect_b32 s2, s2, s7
	s_cselect_b32 s1, s3, s1
	s_add_i32 s3, s2, 1
	s_cmp_ge_u32 s1, s10
	s_cselect_b32 s1, s3, s2
	s_load_dword s2, s[4:5], 0x88
	s_waitcnt lgkmcnt(0)
	s_abs_i32 s37, s31
	v_cvt_f32_u32_e32 v1, s37
	s_xor_b32 s1, s1, s0
	s_sub_i32 s53, s1, s0
	s_sub_i32 s0, 0, s37
	v_rcp_iflag_f32_e32 v1, v1
	s_add_i32 s10, s39, -1
	s_abs_i32 s3, s10
	v_mul_f32_e32 v1, 0x4f7ffffe, v1
	v_cvt_u32_f32_e32 v1, v1
	s_barrier
	v_readfirstlane_b32 s52, v1
	s_mul_i32 s0, s0, s52
	s_mul_hi_u32 s0, s52, s0
	s_add_i32 s52, s52, s0
	s_cmp_lt_i32 s2, 0
	s_mul_hi_u32 s7, s3, s52
	s_cbranch_scc0 .LBB264_8
; %bb.7:
	s_mul_i32 s0, s28, s44
	s_add_i32 s0, s53, s0
	s_mul_i32 s0, s0, s2
	s_sub_i32 s44, 1, s0
	s_ashr_i32 s10, s10, 31
	s_ashr_i32 s31, s31, 31
	s_cbranch_execz .LBB264_9
	s_branch .LBB264_10
.LBB264_8:
                                        ; implicit-def: $sgpr44
	s_ashr_i32 s10, s10, 31
	s_ashr_i32 s31, s31, 31
.LBB264_9:
	s_mul_i32 s0, s9, s28
	s_add_i32 s0, s0, s6
	s_mul_i32 s0, s0, s2
	s_add_i32 s44, s0, 1
.LBB264_10:
	s_load_dword s0, s[4:5], 0x48
	s_load_dwordx4 s[12:15], s[4:5], 0x68
	s_mul_i32 s2, s7, s37
	s_sub_i32 s2, s3, s2
	s_xor_b32 s1, s10, s31
	s_waitcnt lgkmcnt(0)
	s_mul_i32 s42, s38, s0
	s_ashr_i32 s43, s42, 31
	s_add_i32 s0, s7, 1
	s_sub_i32 s3, s2, s37
	s_cmp_ge_u32 s2, s37
	s_cselect_b32 s0, s0, s7
	s_cselect_b32 s2, s3, s2
	s_add_i32 s3, s0, 1
	s_cmp_ge_u32 s2, s37
	s_cselect_b32 s0, s3, s0
	s_xor_b32 s0, s0, s1
	s_sub_i32 s7, s0, s1
	s_add_i32 s0, s39, 7
	s_ashr_i32 s1, s0, 31
	s_lshr_b32 s1, s1, 29
	s_add_i32 s0, s0, s1
	s_lshl_b32 s56, s8, 6
	s_ashr_i32 s16, s0, 3
	s_add_i32 s0, s56, 64
	v_lshrrev_b32_e32 v13, 6, v0
	s_min_i32 s28, s0, s16
	v_or_b32_e32 v2, s56, v13
	v_cmp_gt_i32_e64 s[0:1], s28, v2
	v_mov_b32_e32 v17, 0xff7fffff
	s_mul_i32 s53, s53, s18
	v_ashrrev_i32_e32 v3, 31, v2
	v_lshl_add_u32 v1, v13, 3, s54
	v_mbcnt_lo_u32_b32 v5, -1, 0
	s_and_saveexec_b64 s[18:19], s[0:1]
	s_cbranch_execz .LBB264_164
; %bb.11:
	s_sub_i32 s57, s7, s29
	s_ashr_i32 s2, s53, 31
	s_add_u32 s3, s20, s53
	s_addc_u32 s2, s21, s2
	s_abs_i32 s59, s30
	v_cvt_f32_u32_e32 v6, s59
	v_bfe_u32 v14, v0, 3, 3
	v_lshlrev_b32_e32 v7, 4, v14
	v_mov_b32_e32 v8, s2
	v_rcp_iflag_f32_e32 v9, v6
	v_add_co_u32_e64 v6, s[2:3], s3, v7
	v_addc_co_u32_e64 v7, s[2:3], 0, v8, s[2:3]
	v_mul_f32_e32 v8, 0x4f7ffffe, v9
	v_cvt_u32_f32_e32 v8, v8
	s_sub_i32 s4, 0, s59
	v_cmp_eq_u32_e32 vcc, 0, v4
	s_mov_b32 s58, s17
	v_mul_lo_u32 v9, s4, v8
	s_lshl_b64 s[4:5], s[42:43], 2
	v_mul_hi_u32 v9, v8, v9
	s_add_u32 s4, s40, s4
	v_add_u32_e32 v18, v8, v9
	v_lshlrev_b64 v[8:9], 2, v[2:3]
	s_addc_u32 s5, s41, s5
	v_mov_b32_e32 v10, s5
	v_add_co_u32_e64 v8, s[4:5], s4, v8
	v_addc_co_u32_e64 v9, s[4:5], v10, v9, s[4:5]
	v_lshlrev_b32_e32 v10, 2, v14
	v_lshl_or_b32 v10, v13, 5, v10
	v_add_u32_e32 v20, 0x190, v10
	v_subrev_u32_e32 v10, s39, v14
	v_mov_b32_e32 v15, 0
	v_mul_u32_u24_e32 v16, 48, v4
	v_cmp_neq_f32_e64 s[2:3], s55, 0
	v_lshl_add_u32 v19, v13, 3, s54
	v_add_u32_e32 v21, 1, v10
	s_mov_b64 s[20:21], 0
	v_mov_b32_e32 v22, 0xff7fffff
	s_movk_i32 s60, 0x80
	s_movk_i32 s61, 0x7f
	v_bfrev_b32_e32 v23, 60
	v_mbcnt_hi_u32_b32 v24, -1, v5
	v_mov_b32_e32 v17, 0xff7fffff
	v_mov_b32_e32 v25, v2
	s_branch .LBB264_14
.LBB264_12:                             ;   in Loop: Header=BB264_14 Depth=1
	s_or_b64 exec, exec, s[46:47]
.LBB264_13:                             ;   in Loop: Header=BB264_14 Depth=1
	s_or_b64 exec, exec, s[10:11]
	v_add_co_u32_e64 v8, s[4:5], 8, v8
	v_add_u32_e32 v25, 2, v25
	v_addc_co_u32_e64 v9, s[4:5], 0, v9, s[4:5]
	v_cmp_le_i32_e64 s[4:5], s28, v25
	v_add_u32_e32 v19, 16, v19
	s_or_b64 s[20:21], s[4:5], s[20:21]
	v_add_u32_e32 v20, 64, v20
	s_andn2_b64 exec, exec, s[20:21]
	s_cbranch_execz .LBB264_163
.LBB264_14:                             ; =>This Inner Loop Header: Depth=1
	s_waitcnt lgkmcnt(0)
	v_sub_u32_e32 v11, 0, v19
	v_max_i32_e32 v11, v19, v11
	v_mul_hi_u32 v12, v11, s52
	v_mul_lo_u32 v26, v12, s37
	v_sub_u32_e32 v11, v11, v26
	v_add_u32_e32 v26, 1, v12
	v_cmp_le_u32_e64 s[4:5], s37, v11
	v_cndmask_b32_e64 v12, v12, v26, s[4:5]
	v_subrev_u32_e32 v26, s37, v11
	v_cndmask_b32_e64 v11, v11, v26, s[4:5]
	v_ashrrev_i32_e32 v10, 31, v19
	v_add_u32_e32 v26, 1, v12
	v_cmp_le_u32_e64 s[4:5], s37, v11
	v_xor_b32_e32 v10, s31, v10
	v_cndmask_b32_e64 v11, v12, v26, s[4:5]
	v_xor_b32_e32 v11, v11, v10
	v_sub_u32_e32 v10, v11, v10
	v_add_u32_e32 v11, s44, v10
	v_sub_u32_e32 v26, 0, v11
	v_ashrrev_i32_e32 v12, 31, v11
	v_max_i32_e32 v11, v11, v26
	v_mul_hi_u32 v26, v11, v18
	v_mul_lo_u32 v26, v26, s59
	v_sub_u32_e32 v11, v11, v26
	v_subrev_u32_e32 v26, s59, v11
	v_cmp_le_u32_e64 s[4:5], s59, v11
	v_cndmask_b32_e64 v11, v11, v26, s[4:5]
	v_subrev_u32_e32 v26, s59, v11
	v_cmp_le_u32_e64 s[4:5], s59, v11
	v_cndmask_b32_e64 v11, v11, v26, s[4:5]
	v_xor_b32_e32 v11, v11, v12
	v_sub_u32_e32 v11, v11, v12
	v_cmp_ne_u32_e64 s[4:5], 0, v11
	v_cmp_ge_i32_e64 s[10:11], s57, v10
	s_and_b64 s[4:5], s[4:5], s[10:11]
	s_and_b64 s[46:47], vcc, s[4:5]
	s_and_saveexec_b64 s[10:11], s[46:47]
	s_cbranch_execz .LBB264_16
; %bb.15:                               ;   in Loop: Header=BB264_14 Depth=1
	ds_write_b32 v20, v22
.LBB264_16:                             ;   in Loop: Header=BB264_14 Depth=1
	s_or_b64 exec, exec, s[10:11]
	s_xor_b64 s[4:5], s[4:5], -1
	s_and_saveexec_b64 s[10:11], s[4:5]
	s_cbranch_execz .LBB264_13
; %bb.17:                               ;   in Loop: Header=BB264_14 Depth=1
	global_load_dword v10, v[8:9], off
	v_mov_b32_e32 v27, 0
	v_mov_b32_e32 v28, 0
	s_waitcnt vmcnt(0)
	v_mad_i64_i32 v[10:11], s[4:5], v10, s58, v[6:7]
	v_add_co_u32_e64 v10, s[4:5], v10, v4
	v_addc_co_u32_e64 v11, s[4:5], 0, v11, s[4:5]
	global_load_ubyte v29, v[10:11], off
	global_load_dword v26, v15, s[12:13]
	s_waitcnt vmcnt(1)
	v_cmp_ne_u16_e64 s[4:5], 0, v29
	s_and_saveexec_b64 s[46:47], s[4:5]
	s_cbranch_execz .LBB264_23
; %bb.18:                               ;   in Loop: Header=BB264_14 Depth=1
	v_cmp_ne_u16_e64 s[4:5], s60, v29
	v_bfrev_b32_e32 v28, 1
	s_and_saveexec_b64 s[48:49], s[4:5]
	s_cbranch_execz .LBB264_22
; %bb.19:                               ;   in Loop: Header=BB264_14 Depth=1
	v_and_b32_e32 v12, 0xffff, v29
	v_and_b32_e32 v30, 0x7f, v12
	v_cmp_ne_u32_e64 s[4:5], s61, v30
	v_mov_b32_e32 v28, 0x7f800001
	s_and_saveexec_b64 s[50:51], s[4:5]
	s_cbranch_execz .LBB264_21
; %bb.20:                               ;   in Loop: Header=BB264_14 Depth=1
	v_and_b32_e32 v28, 7, v12
	v_ffbh_u32_e32 v32, v28
	v_min_u32_e32 v34, 32, v32
	v_subrev_u32_e32 v32, 28, v34
	v_lshlrev_b64 v[32:33], v32, v[12:13]
	v_lshrrev_b32_e32 v31, 3, v30
	v_sub_u32_e32 v12, 29, v34
	v_and_b32_e32 v32, 7, v32
	v_cmp_gt_u32_e64 s[4:5], 8, v30
	v_cndmask_b32_e64 v12, v31, v12, s[4:5]
	v_cndmask_b32_e64 v28, v28, v32, s[4:5]
	v_lshlrev_b32_e32 v29, 24, v29
	v_lshlrev_b32_e32 v28, 20, v28
	v_and_b32_e32 v29, 0x80000000, v29
	v_lshl_add_u32 v12, v12, 23, v23
	v_or3_b32 v28, v29, v12, v28
.LBB264_21:                             ;   in Loop: Header=BB264_14 Depth=1
	s_or_b64 exec, exec, s[50:51]
.LBB264_22:                             ;   in Loop: Header=BB264_14 Depth=1
	s_or_b64 exec, exec, s[48:49]
.LBB264_23:                             ;   in Loop: Header=BB264_14 Depth=1
	s_or_b64 exec, exec, s[46:47]
	global_load_ubyte v29, v[10:11], off offset:8
	s_waitcnt vmcnt(0)
	v_cmp_ne_u16_e64 s[4:5], 0, v29
	s_and_saveexec_b64 s[46:47], s[4:5]
	s_cbranch_execz .LBB264_29
; %bb.24:                               ;   in Loop: Header=BB264_14 Depth=1
	v_cmp_ne_u16_e64 s[4:5], s60, v29
	v_bfrev_b32_e32 v27, 1
	s_and_saveexec_b64 s[48:49], s[4:5]
	s_cbranch_execz .LBB264_28
; %bb.25:                               ;   in Loop: Header=BB264_14 Depth=1
	v_and_b32_e32 v12, 0xffff, v29
	v_and_b32_e32 v30, 0x7f, v12
	v_cmp_ne_u32_e64 s[4:5], s61, v30
	v_mov_b32_e32 v27, 0x7f800001
	s_and_saveexec_b64 s[50:51], s[4:5]
	s_cbranch_execz .LBB264_27
; %bb.26:                               ;   in Loop: Header=BB264_14 Depth=1
	v_and_b32_e32 v27, 7, v12
	v_ffbh_u32_e32 v32, v27
	v_min_u32_e32 v34, 32, v32
	v_subrev_u32_e32 v32, 28, v34
	v_lshlrev_b64 v[32:33], v32, v[12:13]
	v_lshrrev_b32_e32 v31, 3, v30
	v_sub_u32_e32 v12, 29, v34
	v_and_b32_e32 v32, 7, v32
	v_cmp_gt_u32_e64 s[4:5], 8, v30
	v_cndmask_b32_e64 v12, v31, v12, s[4:5]
	v_cndmask_b32_e64 v27, v27, v32, s[4:5]
	v_lshlrev_b32_e32 v29, 24, v29
	v_lshlrev_b32_e32 v27, 20, v27
	v_and_b32_e32 v29, 0x80000000, v29
	v_lshl_add_u32 v12, v12, 23, v23
	v_or3_b32 v27, v29, v12, v27
.LBB264_27:                             ;   in Loop: Header=BB264_14 Depth=1
	s_or_b64 exec, exec, s[50:51]
.LBB264_28:                             ;   in Loop: Header=BB264_14 Depth=1
	s_or_b64 exec, exec, s[48:49]
.LBB264_29:                             ;   in Loop: Header=BB264_14 Depth=1
	s_or_b64 exec, exec, s[46:47]
	global_load_ubyte v31, v[10:11], off offset:128
	v_mov_b32_e32 v29, 0
	v_mov_b32_e32 v30, 0
	s_waitcnt vmcnt(0)
	v_cmp_ne_u16_e64 s[4:5], 0, v31
	s_and_saveexec_b64 s[46:47], s[4:5]
	s_cbranch_execz .LBB264_35
; %bb.30:                               ;   in Loop: Header=BB264_14 Depth=1
	v_cmp_ne_u16_e64 s[4:5], s60, v31
	v_bfrev_b32_e32 v30, 1
	s_and_saveexec_b64 s[48:49], s[4:5]
	s_cbranch_execz .LBB264_34
; %bb.31:                               ;   in Loop: Header=BB264_14 Depth=1
	v_and_b32_e32 v12, 0xffff, v31
	v_and_b32_e32 v32, 0x7f, v12
	v_cmp_ne_u32_e64 s[4:5], s61, v32
	v_mov_b32_e32 v30, 0x7f800001
	s_and_saveexec_b64 s[50:51], s[4:5]
	s_cbranch_execz .LBB264_33
; %bb.32:                               ;   in Loop: Header=BB264_14 Depth=1
	v_and_b32_e32 v30, 7, v12
	v_ffbh_u32_e32 v34, v30
	v_min_u32_e32 v36, 32, v34
	v_subrev_u32_e32 v34, 28, v36
	v_lshlrev_b64 v[34:35], v34, v[12:13]
	v_lshrrev_b32_e32 v33, 3, v32
	v_sub_u32_e32 v12, 29, v36
	v_and_b32_e32 v34, 7, v34
	v_cmp_gt_u32_e64 s[4:5], 8, v32
	v_cndmask_b32_e64 v12, v33, v12, s[4:5]
	v_cndmask_b32_e64 v30, v30, v34, s[4:5]
	v_lshlrev_b32_e32 v31, 24, v31
	v_lshlrev_b32_e32 v30, 20, v30
	v_and_b32_e32 v31, 0x80000000, v31
	v_lshl_add_u32 v12, v12, 23, v23
	v_or3_b32 v30, v31, v12, v30
.LBB264_33:                             ;   in Loop: Header=BB264_14 Depth=1
	s_or_b64 exec, exec, s[50:51]
.LBB264_34:                             ;   in Loop: Header=BB264_14 Depth=1
	s_or_b64 exec, exec, s[48:49]
.LBB264_35:                             ;   in Loop: Header=BB264_14 Depth=1
	s_or_b64 exec, exec, s[46:47]
	global_load_ubyte v31, v[10:11], off offset:136
	s_waitcnt vmcnt(0)
	v_cmp_ne_u16_e64 s[4:5], 0, v31
	s_and_saveexec_b64 s[46:47], s[4:5]
	s_cbranch_execz .LBB264_41
; %bb.36:                               ;   in Loop: Header=BB264_14 Depth=1
	v_cmp_ne_u16_e64 s[4:5], s60, v31
	v_bfrev_b32_e32 v29, 1
	s_and_saveexec_b64 s[48:49], s[4:5]
	s_cbranch_execz .LBB264_40
; %bb.37:                               ;   in Loop: Header=BB264_14 Depth=1
	v_and_b32_e32 v12, 0xffff, v31
	v_and_b32_e32 v32, 0x7f, v12
	v_cmp_ne_u32_e64 s[4:5], s61, v32
	v_mov_b32_e32 v29, 0x7f800001
	s_and_saveexec_b64 s[50:51], s[4:5]
	s_cbranch_execz .LBB264_39
; %bb.38:                               ;   in Loop: Header=BB264_14 Depth=1
	v_and_b32_e32 v29, 7, v12
	v_ffbh_u32_e32 v34, v29
	v_min_u32_e32 v36, 32, v34
	v_subrev_u32_e32 v34, 28, v36
	v_lshlrev_b64 v[34:35], v34, v[12:13]
	v_lshrrev_b32_e32 v33, 3, v32
	v_sub_u32_e32 v12, 29, v36
	v_and_b32_e32 v34, 7, v34
	v_cmp_gt_u32_e64 s[4:5], 8, v32
	v_cndmask_b32_e64 v12, v33, v12, s[4:5]
	v_cndmask_b32_e64 v29, v29, v34, s[4:5]
	v_lshlrev_b32_e32 v31, 24, v31
	v_lshlrev_b32_e32 v29, 20, v29
	v_and_b32_e32 v31, 0x80000000, v31
	v_lshl_add_u32 v12, v12, 23, v23
	v_or3_b32 v29, v31, v12, v29
.LBB264_39:                             ;   in Loop: Header=BB264_14 Depth=1
	s_or_b64 exec, exec, s[50:51]
.LBB264_40:                             ;   in Loop: Header=BB264_14 Depth=1
	s_or_b64 exec, exec, s[48:49]
.LBB264_41:                             ;   in Loop: Header=BB264_14 Depth=1
	s_or_b64 exec, exec, s[46:47]
	global_load_ubyte v33, v[10:11], off offset:256
	v_mov_b32_e32 v31, 0
	v_mov_b32_e32 v32, 0
	s_waitcnt vmcnt(0)
	v_cmp_ne_u16_e64 s[4:5], 0, v33
	s_and_saveexec_b64 s[46:47], s[4:5]
	s_cbranch_execz .LBB264_47
; %bb.42:                               ;   in Loop: Header=BB264_14 Depth=1
	v_cmp_ne_u16_e64 s[4:5], s60, v33
	v_bfrev_b32_e32 v32, 1
	s_and_saveexec_b64 s[48:49], s[4:5]
	s_cbranch_execz .LBB264_46
; %bb.43:                               ;   in Loop: Header=BB264_14 Depth=1
	v_and_b32_e32 v12, 0xffff, v33
	v_and_b32_e32 v34, 0x7f, v12
	v_cmp_ne_u32_e64 s[4:5], s61, v34
	v_mov_b32_e32 v32, 0x7f800001
	s_and_saveexec_b64 s[50:51], s[4:5]
	s_cbranch_execz .LBB264_45
; %bb.44:                               ;   in Loop: Header=BB264_14 Depth=1
	v_and_b32_e32 v32, 7, v12
	v_ffbh_u32_e32 v36, v32
	v_min_u32_e32 v38, 32, v36
	v_subrev_u32_e32 v36, 28, v38
	v_lshlrev_b64 v[36:37], v36, v[12:13]
	v_lshrrev_b32_e32 v35, 3, v34
	v_sub_u32_e32 v12, 29, v38
	v_and_b32_e32 v36, 7, v36
	v_cmp_gt_u32_e64 s[4:5], 8, v34
	v_cndmask_b32_e64 v12, v35, v12, s[4:5]
	v_cndmask_b32_e64 v32, v32, v36, s[4:5]
	v_lshlrev_b32_e32 v33, 24, v33
	v_lshlrev_b32_e32 v32, 20, v32
	v_and_b32_e32 v33, 0x80000000, v33
	v_lshl_add_u32 v12, v12, 23, v23
	v_or3_b32 v32, v33, v12, v32
.LBB264_45:                             ;   in Loop: Header=BB264_14 Depth=1
	s_or_b64 exec, exec, s[50:51]
.LBB264_46:                             ;   in Loop: Header=BB264_14 Depth=1
	s_or_b64 exec, exec, s[48:49]
.LBB264_47:                             ;   in Loop: Header=BB264_14 Depth=1
	s_or_b64 exec, exec, s[46:47]
	global_load_ubyte v33, v[10:11], off offset:264
	s_waitcnt vmcnt(0)
	v_cmp_ne_u16_e64 s[4:5], 0, v33
	s_and_saveexec_b64 s[46:47], s[4:5]
	s_cbranch_execz .LBB264_53
; %bb.48:                               ;   in Loop: Header=BB264_14 Depth=1
	v_cmp_ne_u16_e64 s[4:5], s60, v33
	v_bfrev_b32_e32 v31, 1
	s_and_saveexec_b64 s[48:49], s[4:5]
	s_cbranch_execz .LBB264_52
; %bb.49:                               ;   in Loop: Header=BB264_14 Depth=1
	v_and_b32_e32 v12, 0xffff, v33
	v_and_b32_e32 v34, 0x7f, v12
	v_cmp_ne_u32_e64 s[4:5], s61, v34
	v_mov_b32_e32 v31, 0x7f800001
	s_and_saveexec_b64 s[50:51], s[4:5]
	s_cbranch_execz .LBB264_51
; %bb.50:                               ;   in Loop: Header=BB264_14 Depth=1
	v_and_b32_e32 v31, 7, v12
	v_ffbh_u32_e32 v36, v31
	v_min_u32_e32 v38, 32, v36
	v_subrev_u32_e32 v36, 28, v38
	v_lshlrev_b64 v[36:37], v36, v[12:13]
	v_lshrrev_b32_e32 v35, 3, v34
	v_sub_u32_e32 v12, 29, v38
	v_and_b32_e32 v36, 7, v36
	v_cmp_gt_u32_e64 s[4:5], 8, v34
	v_cndmask_b32_e64 v12, v35, v12, s[4:5]
	v_cndmask_b32_e64 v31, v31, v36, s[4:5]
	v_lshlrev_b32_e32 v33, 24, v33
	v_lshlrev_b32_e32 v31, 20, v31
	v_and_b32_e32 v33, 0x80000000, v33
	v_lshl_add_u32 v12, v12, 23, v23
	v_or3_b32 v31, v33, v12, v31
.LBB264_51:                             ;   in Loop: Header=BB264_14 Depth=1
	s_or_b64 exec, exec, s[50:51]
.LBB264_52:                             ;   in Loop: Header=BB264_14 Depth=1
	s_or_b64 exec, exec, s[48:49]
.LBB264_53:                             ;   in Loop: Header=BB264_14 Depth=1
	s_or_b64 exec, exec, s[46:47]
	global_load_ubyte v35, v[10:11], off offset:384
	v_mov_b32_e32 v33, 0
	v_mov_b32_e32 v34, 0
	s_waitcnt vmcnt(0)
	v_cmp_ne_u16_e64 s[4:5], 0, v35
	s_and_saveexec_b64 s[46:47], s[4:5]
	s_cbranch_execz .LBB264_59
; %bb.54:                               ;   in Loop: Header=BB264_14 Depth=1
	v_cmp_ne_u16_e64 s[4:5], s60, v35
	v_bfrev_b32_e32 v34, 1
	s_and_saveexec_b64 s[48:49], s[4:5]
	s_cbranch_execz .LBB264_58
; %bb.55:                               ;   in Loop: Header=BB264_14 Depth=1
	v_and_b32_e32 v12, 0xffff, v35
	v_and_b32_e32 v36, 0x7f, v12
	v_cmp_ne_u32_e64 s[4:5], s61, v36
	v_mov_b32_e32 v34, 0x7f800001
	s_and_saveexec_b64 s[50:51], s[4:5]
	s_cbranch_execz .LBB264_57
; %bb.56:                               ;   in Loop: Header=BB264_14 Depth=1
	v_and_b32_e32 v34, 7, v12
	v_ffbh_u32_e32 v38, v34
	v_min_u32_e32 v40, 32, v38
	v_subrev_u32_e32 v38, 28, v40
	v_lshlrev_b64 v[38:39], v38, v[12:13]
	v_lshrrev_b32_e32 v37, 3, v36
	v_sub_u32_e32 v12, 29, v40
	v_and_b32_e32 v38, 7, v38
	v_cmp_gt_u32_e64 s[4:5], 8, v36
	v_cndmask_b32_e64 v12, v37, v12, s[4:5]
	v_cndmask_b32_e64 v34, v34, v38, s[4:5]
	v_lshlrev_b32_e32 v35, 24, v35
	v_lshlrev_b32_e32 v34, 20, v34
	v_and_b32_e32 v35, 0x80000000, v35
	v_lshl_add_u32 v12, v12, 23, v23
	v_or3_b32 v34, v35, v12, v34
.LBB264_57:                             ;   in Loop: Header=BB264_14 Depth=1
	s_or_b64 exec, exec, s[50:51]
.LBB264_58:                             ;   in Loop: Header=BB264_14 Depth=1
	s_or_b64 exec, exec, s[48:49]
.LBB264_59:                             ;   in Loop: Header=BB264_14 Depth=1
	s_or_b64 exec, exec, s[46:47]
	global_load_ubyte v35, v[10:11], off offset:392
	s_waitcnt vmcnt(0)
	v_cmp_ne_u16_e64 s[4:5], 0, v35
	s_and_saveexec_b64 s[46:47], s[4:5]
	s_cbranch_execz .LBB264_65
; %bb.60:                               ;   in Loop: Header=BB264_14 Depth=1
	v_cmp_ne_u16_e64 s[4:5], s60, v35
	v_bfrev_b32_e32 v33, 1
	s_and_saveexec_b64 s[48:49], s[4:5]
	s_cbranch_execz .LBB264_64
; %bb.61:                               ;   in Loop: Header=BB264_14 Depth=1
	v_and_b32_e32 v12, 0xffff, v35
	v_and_b32_e32 v36, 0x7f, v12
	v_cmp_ne_u32_e64 s[4:5], s61, v36
	v_mov_b32_e32 v33, 0x7f800001
	s_and_saveexec_b64 s[50:51], s[4:5]
	s_cbranch_execz .LBB264_63
; %bb.62:                               ;   in Loop: Header=BB264_14 Depth=1
	v_and_b32_e32 v33, 7, v12
	v_ffbh_u32_e32 v38, v33
	v_min_u32_e32 v40, 32, v38
	v_subrev_u32_e32 v38, 28, v40
	v_lshlrev_b64 v[38:39], v38, v[12:13]
	v_lshrrev_b32_e32 v37, 3, v36
	v_sub_u32_e32 v12, 29, v40
	v_and_b32_e32 v38, 7, v38
	v_cmp_gt_u32_e64 s[4:5], 8, v36
	v_cndmask_b32_e64 v12, v37, v12, s[4:5]
	v_cndmask_b32_e64 v33, v33, v38, s[4:5]
	v_lshlrev_b32_e32 v35, 24, v35
	v_lshlrev_b32_e32 v33, 20, v33
	v_and_b32_e32 v35, 0x80000000, v35
	v_lshl_add_u32 v12, v12, 23, v23
	v_or3_b32 v33, v35, v12, v33
.LBB264_63:                             ;   in Loop: Header=BB264_14 Depth=1
	s_or_b64 exec, exec, s[50:51]
.LBB264_64:                             ;   in Loop: Header=BB264_14 Depth=1
	s_or_b64 exec, exec, s[48:49]
.LBB264_65:                             ;   in Loop: Header=BB264_14 Depth=1
	s_or_b64 exec, exec, s[46:47]
	global_load_ubyte v37, v[10:11], off offset:512
	v_mov_b32_e32 v35, 0
	v_mov_b32_e32 v36, 0
	s_waitcnt vmcnt(0)
	v_cmp_ne_u16_e64 s[4:5], 0, v37
	s_and_saveexec_b64 s[46:47], s[4:5]
	s_cbranch_execz .LBB264_71
; %bb.66:                               ;   in Loop: Header=BB264_14 Depth=1
	v_cmp_ne_u16_e64 s[4:5], s60, v37
	v_bfrev_b32_e32 v36, 1
	s_and_saveexec_b64 s[48:49], s[4:5]
	s_cbranch_execz .LBB264_70
; %bb.67:                               ;   in Loop: Header=BB264_14 Depth=1
	v_and_b32_e32 v12, 0xffff, v37
	v_and_b32_e32 v38, 0x7f, v12
	v_cmp_ne_u32_e64 s[4:5], s61, v38
	v_mov_b32_e32 v36, 0x7f800001
	s_and_saveexec_b64 s[50:51], s[4:5]
	s_cbranch_execz .LBB264_69
; %bb.68:                               ;   in Loop: Header=BB264_14 Depth=1
	v_and_b32_e32 v36, 7, v12
	v_ffbh_u32_e32 v40, v36
	v_min_u32_e32 v42, 32, v40
	v_subrev_u32_e32 v40, 28, v42
	v_lshlrev_b64 v[40:41], v40, v[12:13]
	v_lshrrev_b32_e32 v39, 3, v38
	v_sub_u32_e32 v12, 29, v42
	v_and_b32_e32 v40, 7, v40
	v_cmp_gt_u32_e64 s[4:5], 8, v38
	v_cndmask_b32_e64 v12, v39, v12, s[4:5]
	v_cndmask_b32_e64 v36, v36, v40, s[4:5]
	v_lshlrev_b32_e32 v37, 24, v37
	v_lshlrev_b32_e32 v36, 20, v36
	v_and_b32_e32 v37, 0x80000000, v37
	v_lshl_add_u32 v12, v12, 23, v23
	v_or3_b32 v36, v37, v12, v36
.LBB264_69:                             ;   in Loop: Header=BB264_14 Depth=1
	s_or_b64 exec, exec, s[50:51]
.LBB264_70:                             ;   in Loop: Header=BB264_14 Depth=1
	s_or_b64 exec, exec, s[48:49]
.LBB264_71:                             ;   in Loop: Header=BB264_14 Depth=1
	s_or_b64 exec, exec, s[46:47]
	global_load_ubyte v37, v[10:11], off offset:520
	s_waitcnt vmcnt(0)
	v_cmp_ne_u16_e64 s[4:5], 0, v37
	s_and_saveexec_b64 s[46:47], s[4:5]
	s_cbranch_execz .LBB264_77
; %bb.72:                               ;   in Loop: Header=BB264_14 Depth=1
	v_cmp_ne_u16_e64 s[4:5], s60, v37
	v_bfrev_b32_e32 v35, 1
	s_and_saveexec_b64 s[48:49], s[4:5]
	s_cbranch_execz .LBB264_76
; %bb.73:                               ;   in Loop: Header=BB264_14 Depth=1
	v_and_b32_e32 v12, 0xffff, v37
	v_and_b32_e32 v38, 0x7f, v12
	v_cmp_ne_u32_e64 s[4:5], s61, v38
	v_mov_b32_e32 v35, 0x7f800001
	s_and_saveexec_b64 s[50:51], s[4:5]
	s_cbranch_execz .LBB264_75
; %bb.74:                               ;   in Loop: Header=BB264_14 Depth=1
	v_and_b32_e32 v35, 7, v12
	v_ffbh_u32_e32 v40, v35
	v_min_u32_e32 v42, 32, v40
	v_subrev_u32_e32 v40, 28, v42
	v_lshlrev_b64 v[40:41], v40, v[12:13]
	v_lshrrev_b32_e32 v39, 3, v38
	v_sub_u32_e32 v12, 29, v42
	v_and_b32_e32 v40, 7, v40
	v_cmp_gt_u32_e64 s[4:5], 8, v38
	v_cndmask_b32_e64 v12, v39, v12, s[4:5]
	v_cndmask_b32_e64 v35, v35, v40, s[4:5]
	v_lshlrev_b32_e32 v37, 24, v37
	v_lshlrev_b32_e32 v35, 20, v35
	v_and_b32_e32 v37, 0x80000000, v37
	v_lshl_add_u32 v12, v12, 23, v23
	v_or3_b32 v35, v37, v12, v35
.LBB264_75:                             ;   in Loop: Header=BB264_14 Depth=1
	s_or_b64 exec, exec, s[50:51]
.LBB264_76:                             ;   in Loop: Header=BB264_14 Depth=1
	s_or_b64 exec, exec, s[48:49]
.LBB264_77:                             ;   in Loop: Header=BB264_14 Depth=1
	s_or_b64 exec, exec, s[46:47]
	global_load_ubyte v39, v[10:11], off offset:640
	v_mov_b32_e32 v37, 0
	v_mov_b32_e32 v38, 0
	s_waitcnt vmcnt(0)
	v_cmp_ne_u16_e64 s[4:5], 0, v39
	s_and_saveexec_b64 s[46:47], s[4:5]
	s_cbranch_execz .LBB264_83
; %bb.78:                               ;   in Loop: Header=BB264_14 Depth=1
	v_cmp_ne_u16_e64 s[4:5], s60, v39
	v_bfrev_b32_e32 v38, 1
	s_and_saveexec_b64 s[48:49], s[4:5]
	s_cbranch_execz .LBB264_82
; %bb.79:                               ;   in Loop: Header=BB264_14 Depth=1
	v_and_b32_e32 v12, 0xffff, v39
	v_and_b32_e32 v40, 0x7f, v12
	v_cmp_ne_u32_e64 s[4:5], s61, v40
	v_mov_b32_e32 v38, 0x7f800001
	s_and_saveexec_b64 s[50:51], s[4:5]
	s_cbranch_execz .LBB264_81
; %bb.80:                               ;   in Loop: Header=BB264_14 Depth=1
	v_and_b32_e32 v38, 7, v12
	v_ffbh_u32_e32 v42, v38
	v_min_u32_e32 v44, 32, v42
	v_subrev_u32_e32 v42, 28, v44
	v_lshlrev_b64 v[42:43], v42, v[12:13]
	v_lshrrev_b32_e32 v41, 3, v40
	v_sub_u32_e32 v12, 29, v44
	v_and_b32_e32 v42, 7, v42
	v_cmp_gt_u32_e64 s[4:5], 8, v40
	v_cndmask_b32_e64 v12, v41, v12, s[4:5]
	v_cndmask_b32_e64 v38, v38, v42, s[4:5]
	v_lshlrev_b32_e32 v39, 24, v39
	v_lshlrev_b32_e32 v38, 20, v38
	v_and_b32_e32 v39, 0x80000000, v39
	v_lshl_add_u32 v12, v12, 23, v23
	v_or3_b32 v38, v39, v12, v38
.LBB264_81:                             ;   in Loop: Header=BB264_14 Depth=1
	s_or_b64 exec, exec, s[50:51]
.LBB264_82:                             ;   in Loop: Header=BB264_14 Depth=1
	s_or_b64 exec, exec, s[48:49]
.LBB264_83:                             ;   in Loop: Header=BB264_14 Depth=1
	s_or_b64 exec, exec, s[46:47]
	global_load_ubyte v39, v[10:11], off offset:648
	s_waitcnt vmcnt(0)
	v_cmp_ne_u16_e64 s[4:5], 0, v39
	s_and_saveexec_b64 s[46:47], s[4:5]
	s_cbranch_execz .LBB264_89
; %bb.84:                               ;   in Loop: Header=BB264_14 Depth=1
	v_cmp_ne_u16_e64 s[4:5], s60, v39
	v_bfrev_b32_e32 v37, 1
	s_and_saveexec_b64 s[48:49], s[4:5]
	s_cbranch_execz .LBB264_88
; %bb.85:                               ;   in Loop: Header=BB264_14 Depth=1
	v_and_b32_e32 v12, 0xffff, v39
	v_and_b32_e32 v40, 0x7f, v12
	v_cmp_ne_u32_e64 s[4:5], s61, v40
	v_mov_b32_e32 v37, 0x7f800001
	s_and_saveexec_b64 s[50:51], s[4:5]
	s_cbranch_execz .LBB264_87
; %bb.86:                               ;   in Loop: Header=BB264_14 Depth=1
	v_and_b32_e32 v37, 7, v12
	v_ffbh_u32_e32 v42, v37
	v_min_u32_e32 v44, 32, v42
	v_subrev_u32_e32 v42, 28, v44
	v_lshlrev_b64 v[42:43], v42, v[12:13]
	v_lshrrev_b32_e32 v41, 3, v40
	v_sub_u32_e32 v12, 29, v44
	v_and_b32_e32 v42, 7, v42
	v_cmp_gt_u32_e64 s[4:5], 8, v40
	v_cndmask_b32_e64 v12, v41, v12, s[4:5]
	v_cndmask_b32_e64 v37, v37, v42, s[4:5]
	v_lshlrev_b32_e32 v39, 24, v39
	v_lshlrev_b32_e32 v37, 20, v37
	v_and_b32_e32 v39, 0x80000000, v39
	v_lshl_add_u32 v12, v12, 23, v23
	v_or3_b32 v37, v39, v12, v37
.LBB264_87:                             ;   in Loop: Header=BB264_14 Depth=1
	s_or_b64 exec, exec, s[50:51]
.LBB264_88:                             ;   in Loop: Header=BB264_14 Depth=1
	s_or_b64 exec, exec, s[48:49]
.LBB264_89:                             ;   in Loop: Header=BB264_14 Depth=1
	s_or_b64 exec, exec, s[46:47]
	global_load_ubyte v41, v[10:11], off offset:768
	v_mov_b32_e32 v39, 0
	v_mov_b32_e32 v40, 0
	s_waitcnt vmcnt(0)
	v_cmp_ne_u16_e64 s[4:5], 0, v41
	s_and_saveexec_b64 s[46:47], s[4:5]
	s_cbranch_execz .LBB264_95
; %bb.90:                               ;   in Loop: Header=BB264_14 Depth=1
	v_cmp_ne_u16_e64 s[4:5], s60, v41
	v_bfrev_b32_e32 v40, 1
	s_and_saveexec_b64 s[48:49], s[4:5]
	s_cbranch_execz .LBB264_94
; %bb.91:                               ;   in Loop: Header=BB264_14 Depth=1
	v_and_b32_e32 v12, 0xffff, v41
	v_and_b32_e32 v42, 0x7f, v12
	v_cmp_ne_u32_e64 s[4:5], s61, v42
	v_mov_b32_e32 v40, 0x7f800001
	s_and_saveexec_b64 s[50:51], s[4:5]
	s_cbranch_execz .LBB264_93
; %bb.92:                               ;   in Loop: Header=BB264_14 Depth=1
	v_and_b32_e32 v40, 7, v12
	v_ffbh_u32_e32 v44, v40
	v_min_u32_e32 v46, 32, v44
	v_subrev_u32_e32 v44, 28, v46
	v_lshlrev_b64 v[44:45], v44, v[12:13]
	v_lshrrev_b32_e32 v43, 3, v42
	v_sub_u32_e32 v12, 29, v46
	v_and_b32_e32 v44, 7, v44
	v_cmp_gt_u32_e64 s[4:5], 8, v42
	v_cndmask_b32_e64 v12, v43, v12, s[4:5]
	v_cndmask_b32_e64 v40, v40, v44, s[4:5]
	v_lshlrev_b32_e32 v41, 24, v41
	v_lshlrev_b32_e32 v40, 20, v40
	v_and_b32_e32 v41, 0x80000000, v41
	v_lshl_add_u32 v12, v12, 23, v23
	v_or3_b32 v40, v41, v12, v40
.LBB264_93:                             ;   in Loop: Header=BB264_14 Depth=1
	s_or_b64 exec, exec, s[50:51]
.LBB264_94:                             ;   in Loop: Header=BB264_14 Depth=1
	s_or_b64 exec, exec, s[48:49]
.LBB264_95:                             ;   in Loop: Header=BB264_14 Depth=1
	s_or_b64 exec, exec, s[46:47]
	global_load_ubyte v41, v[10:11], off offset:776
	s_waitcnt vmcnt(0)
	v_cmp_ne_u16_e64 s[4:5], 0, v41
	s_and_saveexec_b64 s[46:47], s[4:5]
	s_cbranch_execz .LBB264_101
; %bb.96:                               ;   in Loop: Header=BB264_14 Depth=1
	v_cmp_ne_u16_e64 s[4:5], s60, v41
	v_bfrev_b32_e32 v39, 1
	s_and_saveexec_b64 s[48:49], s[4:5]
	s_cbranch_execz .LBB264_100
; %bb.97:                               ;   in Loop: Header=BB264_14 Depth=1
	v_and_b32_e32 v12, 0xffff, v41
	v_and_b32_e32 v42, 0x7f, v12
	v_cmp_ne_u32_e64 s[4:5], s61, v42
	v_mov_b32_e32 v39, 0x7f800001
	s_and_saveexec_b64 s[50:51], s[4:5]
	s_cbranch_execz .LBB264_99
; %bb.98:                               ;   in Loop: Header=BB264_14 Depth=1
	v_and_b32_e32 v39, 7, v12
	v_ffbh_u32_e32 v44, v39
	v_min_u32_e32 v46, 32, v44
	v_subrev_u32_e32 v44, 28, v46
	v_lshlrev_b64 v[44:45], v44, v[12:13]
	v_lshrrev_b32_e32 v43, 3, v42
	v_sub_u32_e32 v12, 29, v46
	v_and_b32_e32 v44, 7, v44
	v_cmp_gt_u32_e64 s[4:5], 8, v42
	v_cndmask_b32_e64 v12, v43, v12, s[4:5]
	v_cndmask_b32_e64 v39, v39, v44, s[4:5]
	v_lshlrev_b32_e32 v41, 24, v41
	v_lshlrev_b32_e32 v39, 20, v39
	v_and_b32_e32 v41, 0x80000000, v41
	v_lshl_add_u32 v12, v12, 23, v23
	v_or3_b32 v39, v41, v12, v39
.LBB264_99:                             ;   in Loop: Header=BB264_14 Depth=1
	s_or_b64 exec, exec, s[50:51]
.LBB264_100:                            ;   in Loop: Header=BB264_14 Depth=1
	s_or_b64 exec, exec, s[48:49]
.LBB264_101:                            ;   in Loop: Header=BB264_14 Depth=1
	s_or_b64 exec, exec, s[46:47]
	global_load_ubyte v43, v[10:11], off offset:896
	v_mov_b32_e32 v41, 0
	v_mov_b32_e32 v42, 0
	s_waitcnt vmcnt(0)
	v_cmp_ne_u16_e64 s[4:5], 0, v43
	s_and_saveexec_b64 s[46:47], s[4:5]
	s_cbranch_execz .LBB264_107
; %bb.102:                              ;   in Loop: Header=BB264_14 Depth=1
	v_cmp_ne_u16_e64 s[4:5], s60, v43
	v_bfrev_b32_e32 v42, 1
	s_and_saveexec_b64 s[48:49], s[4:5]
	s_cbranch_execz .LBB264_106
; %bb.103:                              ;   in Loop: Header=BB264_14 Depth=1
	v_and_b32_e32 v12, 0xffff, v43
	v_and_b32_e32 v44, 0x7f, v12
	v_cmp_ne_u32_e64 s[4:5], s61, v44
	v_mov_b32_e32 v42, 0x7f800001
	s_and_saveexec_b64 s[50:51], s[4:5]
	s_cbranch_execz .LBB264_105
; %bb.104:                              ;   in Loop: Header=BB264_14 Depth=1
	v_and_b32_e32 v42, 7, v12
	v_ffbh_u32_e32 v46, v42
	v_min_u32_e32 v48, 32, v46
	v_subrev_u32_e32 v46, 28, v48
	v_lshlrev_b64 v[46:47], v46, v[12:13]
	v_lshrrev_b32_e32 v45, 3, v44
	v_sub_u32_e32 v12, 29, v48
	v_and_b32_e32 v46, 7, v46
	v_cmp_gt_u32_e64 s[4:5], 8, v44
	v_cndmask_b32_e64 v12, v45, v12, s[4:5]
	v_cndmask_b32_e64 v42, v42, v46, s[4:5]
	v_lshlrev_b32_e32 v43, 24, v43
	v_lshlrev_b32_e32 v42, 20, v42
	v_and_b32_e32 v43, 0x80000000, v43
	v_lshl_add_u32 v12, v12, 23, v23
	v_or3_b32 v42, v43, v12, v42
.LBB264_105:                            ;   in Loop: Header=BB264_14 Depth=1
	s_or_b64 exec, exec, s[50:51]
.LBB264_106:                            ;   in Loop: Header=BB264_14 Depth=1
	s_or_b64 exec, exec, s[48:49]
.LBB264_107:                            ;   in Loop: Header=BB264_14 Depth=1
	s_or_b64 exec, exec, s[46:47]
	global_load_ubyte v43, v[10:11], off offset:904
	s_waitcnt vmcnt(0)
	v_cmp_ne_u16_e64 s[4:5], 0, v43
	s_and_saveexec_b64 s[46:47], s[4:5]
	s_cbranch_execz .LBB264_113
; %bb.108:                              ;   in Loop: Header=BB264_14 Depth=1
	v_cmp_ne_u16_e64 s[4:5], s60, v43
	v_bfrev_b32_e32 v41, 1
	s_and_saveexec_b64 s[48:49], s[4:5]
	s_cbranch_execz .LBB264_112
; %bb.109:                              ;   in Loop: Header=BB264_14 Depth=1
	v_and_b32_e32 v12, 0xffff, v43
	v_and_b32_e32 v44, 0x7f, v12
	v_cmp_ne_u32_e64 s[4:5], s61, v44
	v_mov_b32_e32 v41, 0x7f800001
	s_and_saveexec_b64 s[50:51], s[4:5]
	s_cbranch_execz .LBB264_111
; %bb.110:                              ;   in Loop: Header=BB264_14 Depth=1
	v_and_b32_e32 v41, 7, v12
	v_ffbh_u32_e32 v46, v41
	v_min_u32_e32 v48, 32, v46
	v_subrev_u32_e32 v46, 28, v48
	v_lshlrev_b64 v[46:47], v46, v[12:13]
	v_lshrrev_b32_e32 v45, 3, v44
	v_sub_u32_e32 v12, 29, v48
	v_and_b32_e32 v46, 7, v46
	v_cmp_gt_u32_e64 s[4:5], 8, v44
	v_cndmask_b32_e64 v12, v45, v12, s[4:5]
	v_cndmask_b32_e64 v41, v41, v46, s[4:5]
	v_lshlrev_b32_e32 v43, 24, v43
	v_lshlrev_b32_e32 v41, 20, v41
	v_and_b32_e32 v43, 0x80000000, v43
	v_lshl_add_u32 v12, v12, 23, v23
	v_or3_b32 v41, v43, v12, v41
.LBB264_111:                            ;   in Loop: Header=BB264_14 Depth=1
	s_or_b64 exec, exec, s[50:51]
.LBB264_112:                            ;   in Loop: Header=BB264_14 Depth=1
	s_or_b64 exec, exec, s[48:49]
.LBB264_113:                            ;   in Loop: Header=BB264_14 Depth=1
	s_or_b64 exec, exec, s[46:47]
	global_load_ubyte v45, v[10:11], off offset:1024
	v_mov_b32_e32 v43, 0
	v_mov_b32_e32 v44, 0
	s_waitcnt vmcnt(0)
	v_cmp_ne_u16_e64 s[4:5], 0, v45
	s_and_saveexec_b64 s[46:47], s[4:5]
	s_cbranch_execz .LBB264_119
; %bb.114:                              ;   in Loop: Header=BB264_14 Depth=1
	v_cmp_ne_u16_e64 s[4:5], s60, v45
	v_bfrev_b32_e32 v44, 1
	s_and_saveexec_b64 s[48:49], s[4:5]
	s_cbranch_execz .LBB264_118
; %bb.115:                              ;   in Loop: Header=BB264_14 Depth=1
	v_and_b32_e32 v12, 0xffff, v45
	v_and_b32_e32 v46, 0x7f, v12
	v_cmp_ne_u32_e64 s[4:5], s61, v46
	v_mov_b32_e32 v44, 0x7f800001
	s_and_saveexec_b64 s[50:51], s[4:5]
	s_cbranch_execz .LBB264_117
; %bb.116:                              ;   in Loop: Header=BB264_14 Depth=1
	v_and_b32_e32 v44, 7, v12
	v_ffbh_u32_e32 v48, v44
	v_min_u32_e32 v50, 32, v48
	v_subrev_u32_e32 v48, 28, v50
	v_lshlrev_b64 v[48:49], v48, v[12:13]
	v_lshrrev_b32_e32 v47, 3, v46
	v_sub_u32_e32 v12, 29, v50
	v_and_b32_e32 v48, 7, v48
	v_cmp_gt_u32_e64 s[4:5], 8, v46
	v_cndmask_b32_e64 v12, v47, v12, s[4:5]
	v_cndmask_b32_e64 v44, v44, v48, s[4:5]
	v_lshlrev_b32_e32 v45, 24, v45
	v_lshlrev_b32_e32 v44, 20, v44
	v_and_b32_e32 v45, 0x80000000, v45
	v_lshl_add_u32 v12, v12, 23, v23
	v_or3_b32 v44, v45, v12, v44
.LBB264_117:                            ;   in Loop: Header=BB264_14 Depth=1
	s_or_b64 exec, exec, s[50:51]
.LBB264_118:                            ;   in Loop: Header=BB264_14 Depth=1
	s_or_b64 exec, exec, s[48:49]
.LBB264_119:                            ;   in Loop: Header=BB264_14 Depth=1
	s_or_b64 exec, exec, s[46:47]
	global_load_ubyte v45, v[10:11], off offset:1032
	s_waitcnt vmcnt(0)
	v_cmp_ne_u16_e64 s[4:5], 0, v45
	s_and_saveexec_b64 s[46:47], s[4:5]
	s_cbranch_execz .LBB264_125
; %bb.120:                              ;   in Loop: Header=BB264_14 Depth=1
	v_cmp_ne_u16_e64 s[4:5], s60, v45
	v_bfrev_b32_e32 v43, 1
	s_and_saveexec_b64 s[48:49], s[4:5]
	s_cbranch_execz .LBB264_124
; %bb.121:                              ;   in Loop: Header=BB264_14 Depth=1
	v_and_b32_e32 v12, 0xffff, v45
	v_and_b32_e32 v46, 0x7f, v12
	v_cmp_ne_u32_e64 s[4:5], s61, v46
	v_mov_b32_e32 v43, 0x7f800001
	s_and_saveexec_b64 s[50:51], s[4:5]
	s_cbranch_execz .LBB264_123
; %bb.122:                              ;   in Loop: Header=BB264_14 Depth=1
	v_and_b32_e32 v43, 7, v12
	v_ffbh_u32_e32 v48, v43
	v_min_u32_e32 v50, 32, v48
	v_subrev_u32_e32 v48, 28, v50
	v_lshlrev_b64 v[48:49], v48, v[12:13]
	v_lshrrev_b32_e32 v47, 3, v46
	v_sub_u32_e32 v12, 29, v50
	v_and_b32_e32 v48, 7, v48
	v_cmp_gt_u32_e64 s[4:5], 8, v46
	v_cndmask_b32_e64 v12, v47, v12, s[4:5]
	v_cndmask_b32_e64 v43, v43, v48, s[4:5]
	v_lshlrev_b32_e32 v45, 24, v45
	v_lshlrev_b32_e32 v43, 20, v43
	v_and_b32_e32 v45, 0x80000000, v45
	v_lshl_add_u32 v12, v12, 23, v23
	v_or3_b32 v43, v45, v12, v43
.LBB264_123:                            ;   in Loop: Header=BB264_14 Depth=1
	s_or_b64 exec, exec, s[50:51]
.LBB264_124:                            ;   in Loop: Header=BB264_14 Depth=1
	s_or_b64 exec, exec, s[48:49]
.LBB264_125:                            ;   in Loop: Header=BB264_14 Depth=1
	s_or_b64 exec, exec, s[46:47]
	global_load_ubyte v47, v[10:11], off offset:1152
	v_mov_b32_e32 v45, 0
	v_mov_b32_e32 v46, 0
	s_waitcnt vmcnt(0)
	v_cmp_ne_u16_e64 s[4:5], 0, v47
	s_and_saveexec_b64 s[46:47], s[4:5]
	s_cbranch_execz .LBB264_131
; %bb.126:                              ;   in Loop: Header=BB264_14 Depth=1
	v_cmp_ne_u16_e64 s[4:5], s60, v47
	v_bfrev_b32_e32 v46, 1
	s_and_saveexec_b64 s[48:49], s[4:5]
	s_cbranch_execz .LBB264_130
; %bb.127:                              ;   in Loop: Header=BB264_14 Depth=1
	v_and_b32_e32 v12, 0xffff, v47
	v_and_b32_e32 v48, 0x7f, v12
	v_cmp_ne_u32_e64 s[4:5], s61, v48
	v_mov_b32_e32 v46, 0x7f800001
	s_and_saveexec_b64 s[50:51], s[4:5]
	s_cbranch_execz .LBB264_129
; %bb.128:                              ;   in Loop: Header=BB264_14 Depth=1
	v_and_b32_e32 v46, 7, v12
	v_ffbh_u32_e32 v50, v46
	v_min_u32_e32 v52, 32, v50
	v_subrev_u32_e32 v50, 28, v52
	v_lshlrev_b64 v[50:51], v50, v[12:13]
	v_lshrrev_b32_e32 v49, 3, v48
	v_sub_u32_e32 v12, 29, v52
	v_and_b32_e32 v50, 7, v50
	v_cmp_gt_u32_e64 s[4:5], 8, v48
	v_cndmask_b32_e64 v12, v49, v12, s[4:5]
	v_cndmask_b32_e64 v46, v46, v50, s[4:5]
	v_lshlrev_b32_e32 v47, 24, v47
	v_lshlrev_b32_e32 v46, 20, v46
	v_and_b32_e32 v47, 0x80000000, v47
	v_lshl_add_u32 v12, v12, 23, v23
	v_or3_b32 v46, v47, v12, v46
.LBB264_129:                            ;   in Loop: Header=BB264_14 Depth=1
	s_or_b64 exec, exec, s[50:51]
.LBB264_130:                            ;   in Loop: Header=BB264_14 Depth=1
	s_or_b64 exec, exec, s[48:49]
.LBB264_131:                            ;   in Loop: Header=BB264_14 Depth=1
	s_or_b64 exec, exec, s[46:47]
	global_load_ubyte v47, v[10:11], off offset:1160
	s_waitcnt vmcnt(0)
	v_cmp_ne_u16_e64 s[4:5], 0, v47
	s_and_saveexec_b64 s[46:47], s[4:5]
	s_cbranch_execz .LBB264_137
; %bb.132:                              ;   in Loop: Header=BB264_14 Depth=1
	v_cmp_ne_u16_e64 s[4:5], s60, v47
	v_bfrev_b32_e32 v45, 1
	s_and_saveexec_b64 s[48:49], s[4:5]
	s_cbranch_execz .LBB264_136
; %bb.133:                              ;   in Loop: Header=BB264_14 Depth=1
	v_and_b32_e32 v12, 0xffff, v47
	v_and_b32_e32 v48, 0x7f, v12
	v_cmp_ne_u32_e64 s[4:5], s61, v48
	v_mov_b32_e32 v45, 0x7f800001
	s_and_saveexec_b64 s[50:51], s[4:5]
	s_cbranch_execz .LBB264_135
; %bb.134:                              ;   in Loop: Header=BB264_14 Depth=1
	v_and_b32_e32 v45, 7, v12
	v_ffbh_u32_e32 v50, v45
	v_min_u32_e32 v52, 32, v50
	v_subrev_u32_e32 v50, 28, v52
	v_lshlrev_b64 v[50:51], v50, v[12:13]
	v_lshrrev_b32_e32 v49, 3, v48
	v_sub_u32_e32 v12, 29, v52
	v_and_b32_e32 v50, 7, v50
	v_cmp_gt_u32_e64 s[4:5], 8, v48
	v_cndmask_b32_e64 v12, v49, v12, s[4:5]
	v_cndmask_b32_e64 v45, v45, v50, s[4:5]
	v_lshlrev_b32_e32 v47, 24, v47
	v_lshlrev_b32_e32 v45, 20, v45
	v_and_b32_e32 v47, 0x80000000, v47
	v_lshl_add_u32 v12, v12, 23, v23
	v_or3_b32 v45, v47, v12, v45
.LBB264_135:                            ;   in Loop: Header=BB264_14 Depth=1
	s_or_b64 exec, exec, s[50:51]
.LBB264_136:                            ;   in Loop: Header=BB264_14 Depth=1
	s_or_b64 exec, exec, s[48:49]
.LBB264_137:                            ;   in Loop: Header=BB264_14 Depth=1
	s_or_b64 exec, exec, s[46:47]
	global_load_ubyte v49, v[10:11], off offset:1280
	v_mov_b32_e32 v48, 0
	v_mov_b32_e32 v47, 0
	s_waitcnt vmcnt(0)
	v_cmp_ne_u16_e64 s[4:5], 0, v49
	s_and_saveexec_b64 s[46:47], s[4:5]
	s_cbranch_execz .LBB264_143
; %bb.138:                              ;   in Loop: Header=BB264_14 Depth=1
	v_cmp_ne_u16_e64 s[4:5], s60, v49
	v_bfrev_b32_e32 v47, 1
	s_and_saveexec_b64 s[48:49], s[4:5]
	s_cbranch_execz .LBB264_142
; %bb.139:                              ;   in Loop: Header=BB264_14 Depth=1
	v_and_b32_e32 v12, 0xffff, v49
	v_and_b32_e32 v50, 0x7f, v12
	v_cmp_ne_u32_e64 s[4:5], s61, v50
	v_mov_b32_e32 v47, 0x7f800001
	s_and_saveexec_b64 s[50:51], s[4:5]
	s_cbranch_execz .LBB264_141
; %bb.140:                              ;   in Loop: Header=BB264_14 Depth=1
	v_and_b32_e32 v47, 7, v12
	v_ffbh_u32_e32 v52, v47
	v_min_u32_e32 v54, 32, v52
	v_subrev_u32_e32 v52, 28, v54
	v_lshlrev_b64 v[52:53], v52, v[12:13]
	v_lshrrev_b32_e32 v51, 3, v50
	v_sub_u32_e32 v12, 29, v54
	v_and_b32_e32 v52, 7, v52
	v_cmp_gt_u32_e64 s[4:5], 8, v50
	v_cndmask_b32_e64 v12, v51, v12, s[4:5]
	v_cndmask_b32_e64 v47, v47, v52, s[4:5]
	v_lshlrev_b32_e32 v49, 24, v49
	v_lshlrev_b32_e32 v47, 20, v47
	v_and_b32_e32 v49, 0x80000000, v49
	v_lshl_add_u32 v12, v12, 23, v23
	v_or3_b32 v47, v49, v12, v47
.LBB264_141:                            ;   in Loop: Header=BB264_14 Depth=1
	s_or_b64 exec, exec, s[50:51]
.LBB264_142:                            ;   in Loop: Header=BB264_14 Depth=1
	s_or_b64 exec, exec, s[48:49]
.LBB264_143:                            ;   in Loop: Header=BB264_14 Depth=1
	s_or_b64 exec, exec, s[46:47]
	global_load_ubyte v49, v[10:11], off offset:1288
	s_waitcnt vmcnt(0)
	v_cmp_ne_u16_e64 s[4:5], 0, v49
	s_and_saveexec_b64 s[46:47], s[4:5]
	s_cbranch_execz .LBB264_149
; %bb.144:                              ;   in Loop: Header=BB264_14 Depth=1
	v_cmp_ne_u16_e64 s[4:5], s60, v49
	v_bfrev_b32_e32 v48, 1
	s_and_saveexec_b64 s[48:49], s[4:5]
	s_cbranch_execz .LBB264_148
; %bb.145:                              ;   in Loop: Header=BB264_14 Depth=1
	v_and_b32_e32 v12, 0xffff, v49
	v_and_b32_e32 v50, 0x7f, v12
	v_cmp_ne_u32_e64 s[4:5], s61, v50
	v_mov_b32_e32 v48, 0x7f800001
	s_and_saveexec_b64 s[50:51], s[4:5]
	s_cbranch_execz .LBB264_147
; %bb.146:                              ;   in Loop: Header=BB264_14 Depth=1
	v_and_b32_e32 v48, 7, v12
	v_ffbh_u32_e32 v52, v48
	v_min_u32_e32 v54, 32, v52
	v_subrev_u32_e32 v52, 28, v54
	v_lshlrev_b64 v[52:53], v52, v[12:13]
	v_lshrrev_b32_e32 v51, 3, v50
	v_sub_u32_e32 v12, 29, v54
	v_and_b32_e32 v52, 7, v52
	v_cmp_gt_u32_e64 s[4:5], 8, v50
	v_cndmask_b32_e64 v12, v51, v12, s[4:5]
	v_cndmask_b32_e64 v48, v48, v52, s[4:5]
	v_lshlrev_b32_e32 v49, 24, v49
	v_lshlrev_b32_e32 v48, 20, v48
	v_and_b32_e32 v49, 0x80000000, v49
	v_lshl_add_u32 v12, v12, 23, v23
	v_or3_b32 v48, v49, v12, v48
.LBB264_147:                            ;   in Loop: Header=BB264_14 Depth=1
	s_or_b64 exec, exec, s[50:51]
.LBB264_148:                            ;   in Loop: Header=BB264_14 Depth=1
	s_or_b64 exec, exec, s[48:49]
.LBB264_149:                            ;   in Loop: Header=BB264_14 Depth=1
	s_or_b64 exec, exec, s[46:47]
	global_load_ubyte v51, v[10:11], off offset:1408
	v_mov_b32_e32 v49, 0
	v_mov_b32_e32 v50, 0
	s_waitcnt vmcnt(0)
	v_cmp_ne_u16_e64 s[4:5], 0, v51
	s_and_saveexec_b64 s[46:47], s[4:5]
	s_cbranch_execz .LBB264_155
; %bb.150:                              ;   in Loop: Header=BB264_14 Depth=1
	v_cmp_ne_u16_e64 s[4:5], s60, v51
	v_bfrev_b32_e32 v50, 1
	s_and_saveexec_b64 s[48:49], s[4:5]
	s_cbranch_execz .LBB264_154
; %bb.151:                              ;   in Loop: Header=BB264_14 Depth=1
	v_and_b32_e32 v12, 0xffff, v51
	v_and_b32_e32 v52, 0x7f, v12
	v_cmp_ne_u32_e64 s[4:5], s61, v52
	v_mov_b32_e32 v50, 0x7f800001
	s_and_saveexec_b64 s[50:51], s[4:5]
	s_cbranch_execz .LBB264_153
; %bb.152:                              ;   in Loop: Header=BB264_14 Depth=1
	v_and_b32_e32 v50, 7, v12
	v_ffbh_u32_e32 v54, v50
	v_min_u32_e32 v56, 32, v54
	v_subrev_u32_e32 v54, 28, v56
	v_lshlrev_b64 v[54:55], v54, v[12:13]
	v_lshrrev_b32_e32 v53, 3, v52
	v_sub_u32_e32 v12, 29, v56
	v_and_b32_e32 v54, 7, v54
	v_cmp_gt_u32_e64 s[4:5], 8, v52
	v_cndmask_b32_e64 v12, v53, v12, s[4:5]
	v_cndmask_b32_e64 v50, v50, v54, s[4:5]
	v_lshlrev_b32_e32 v51, 24, v51
	v_lshlrev_b32_e32 v50, 20, v50
	v_and_b32_e32 v51, 0x80000000, v51
	v_lshl_add_u32 v12, v12, 23, v23
	v_or3_b32 v50, v51, v12, v50
.LBB264_153:                            ;   in Loop: Header=BB264_14 Depth=1
	s_or_b64 exec, exec, s[50:51]
.LBB264_154:                            ;   in Loop: Header=BB264_14 Depth=1
	s_or_b64 exec, exec, s[48:49]
.LBB264_155:                            ;   in Loop: Header=BB264_14 Depth=1
	s_or_b64 exec, exec, s[46:47]
	global_load_ubyte v11, v[10:11], off offset:1416
	s_waitcnt vmcnt(0)
	v_cmp_ne_u16_e64 s[4:5], 0, v11
	s_and_saveexec_b64 s[46:47], s[4:5]
	s_cbranch_execz .LBB264_161
; %bb.156:                              ;   in Loop: Header=BB264_14 Depth=1
	v_cmp_ne_u16_e64 s[4:5], s60, v11
	v_bfrev_b32_e32 v49, 1
	s_and_saveexec_b64 s[48:49], s[4:5]
	s_cbranch_execz .LBB264_160
; %bb.157:                              ;   in Loop: Header=BB264_14 Depth=1
	v_and_b32_e32 v10, 0xffff, v11
	v_and_b32_e32 v12, 0x7f, v10
	v_cmp_ne_u32_e64 s[4:5], s61, v12
	v_mov_b32_e32 v49, 0x7f800001
	s_and_saveexec_b64 s[50:51], s[4:5]
	s_cbranch_execz .LBB264_159
; %bb.158:                              ;   in Loop: Header=BB264_14 Depth=1
	v_and_b32_e32 v49, 7, v10
	v_ffbh_u32_e32 v52, v49
	v_min_u32_e32 v54, 32, v52
	v_subrev_u32_e32 v52, 28, v54
	v_lshlrev_b64 v[52:53], v52, v[10:11]
	v_lshrrev_b32_e32 v51, 3, v12
	v_sub_u32_e32 v10, 29, v54
	v_and_b32_e32 v52, 7, v52
	v_cmp_gt_u32_e64 s[4:5], 8, v12
	v_cndmask_b32_e64 v10, v51, v10, s[4:5]
	v_cndmask_b32_e64 v12, v49, v52, s[4:5]
	v_lshlrev_b32_e32 v11, 24, v11
	v_lshlrev_b32_e32 v12, 20, v12
	v_and_b32_e32 v11, 0x80000000, v11
	v_lshl_add_u32 v10, v10, 23, v23
	v_or3_b32 v49, v11, v10, v12
.LBB264_159:                            ;   in Loop: Header=BB264_14 Depth=1
	s_or_b64 exec, exec, s[50:51]
.LBB264_160:                            ;   in Loop: Header=BB264_14 Depth=1
	s_or_b64 exec, exec, s[48:49]
.LBB264_161:                            ;   in Loop: Header=BB264_14 Depth=1
	s_or_b64 exec, exec, s[46:47]
	v_fma_mixlo_f16 v11, v26, v28, 0
	ds_read_u16 v10, v16
	v_and_b32_e32 v11, 0xffff, v11
	s_waitcnt lgkmcnt(0)
	;;#ASMSTART
	v_cvt_f32_f16 v10, v10;
	;;#ASMEND
	;;#ASMSTART
	v_cvt_f32_f16 v11, v11;
	;;#ASMEND
	ds_read_u16 v12, v16 offset:2
	v_fma_mixlo_f16 v27, v26, v27, 0
	v_and_b32_e32 v27, 0xffff, v27
	s_waitcnt lgkmcnt(0)
	;;#ASMSTART
	v_cvt_f32_f16 v12, v12;
	;;#ASMEND
	;;#ASMSTART
	v_cvt_f32_f16 v27, v27;
	;;#ASMEND
	v_fma_mixlo_f16 v30, v26, v30, 0
	v_mul_f32_e32 v12, v12, v27
	ds_read_u16 v28, v16 offset:4
	v_and_b32_e32 v30, 0xffff, v30
	v_fma_mixlo_f16 v29, v26, v29, 0
	v_fmac_f32_e32 v12, v10, v11
	s_waitcnt lgkmcnt(0)
	;;#ASMSTART
	v_cvt_f32_f16 v28, v28;
	;;#ASMEND
	;;#ASMSTART
	v_cvt_f32_f16 v30, v30;
	;;#ASMEND
	ds_read_u16 v51, v16 offset:6
	v_and_b32_e32 v29, 0xffff, v29
	v_fma_mixlo_f16 v32, v26, v32, 0
	v_fmac_f32_e32 v12, v28, v30
	s_waitcnt lgkmcnt(0)
	;;#ASMSTART
	v_cvt_f32_f16 v51, v51;
	;;#ASMEND
	;;#ASMSTART
	v_cvt_f32_f16 v29, v29;
	;;#ASMEND
	;; [unrolled: 11-line block ×15, first 2 shown]
	ds_read_u16 v65, v16 offset:34
	v_fma_mixlo_f16 v46, v26, v46, 0
	v_and_b32_e32 v43, 0xffff, v43
	v_fmac_f32_e32 v12, v64, v44
	v_fma_mixlo_f16 v45, v26, v45, 0
	s_waitcnt lgkmcnt(0)
	;;#ASMSTART
	v_cvt_f32_f16 v65, v65;
	;;#ASMEND
	;;#ASMSTART
	v_cvt_f32_f16 v43, v43;
	;;#ASMEND
	v_and_b32_e32 v11, 0xffff, v46
	v_fmac_f32_e32 v12, v65, v43
	v_fma_mixlo_f16 v47, v26, v47, 0
	ds_read_u16 v66, v16 offset:36
	s_waitcnt lgkmcnt(0)
	;;#ASMSTART
	v_cvt_f32_f16 v10, v66;
	;;#ASMEND
	;;#ASMSTART
	v_cvt_f32_f16 v11, v11;
	;;#ASMEND
	ds_read_u16 v27, v16 offset:38
	v_and_b32_e32 v28, 0xffff, v45
	v_fmac_f32_e32 v12, v10, v11
	v_fma_mixlo_f16 v50, v26, v50, 0
	v_fma_mixlo_f16 v48, v26, v48, 0
	s_waitcnt lgkmcnt(0)
	;;#ASMSTART
	v_cvt_f32_f16 v27, v27;
	;;#ASMEND
	;;#ASMSTART
	v_cvt_f32_f16 v28, v28;
	;;#ASMEND
	ds_read_u16 v29, v16 offset:40
	v_and_b32_e32 v30, 0xffff, v47
	v_fmac_f32_e32 v12, v27, v28
	s_waitcnt lgkmcnt(0)
	;;#ASMSTART
	v_cvt_f32_f16 v29, v29;
	;;#ASMEND
	;;#ASMSTART
	v_cvt_f32_f16 v30, v30;
	;;#ASMEND
	ds_read_u16 v31, v16 offset:42
	v_and_b32_e32 v32, 0xffff, v48
	v_and_b32_e32 v11, 0xffff, v50
	v_fmac_f32_e32 v12, v29, v30
	v_fma_mixlo_f16 v26, v26, v49, 0
	s_waitcnt lgkmcnt(0)
	;;#ASMSTART
	v_cvt_f32_f16 v31, v31;
	;;#ASMEND
	;;#ASMSTART
	v_cvt_f32_f16 v32, v32;
	;;#ASMEND
	ds_read_u16 v33, v16 offset:44
	s_waitcnt lgkmcnt(0)
	;;#ASMSTART
	v_cvt_f32_f16 v10, v33;
	;;#ASMEND
	;;#ASMSTART
	v_cvt_f32_f16 v11, v11;
	;;#ASMEND
	v_fmac_f32_e32 v12, v31, v32
	ds_read_u16 v33, v16 offset:46
	v_fmac_f32_e32 v12, v10, v11
	s_waitcnt lgkmcnt(0)
	;;#ASMSTART
	v_cvt_f32_f16 v10, v33;
	;;#ASMEND
	v_and_b32_e32 v11, 0xffff, v26
	;;#ASMSTART
	v_cvt_f32_f16 v11, v11;
	;;#ASMEND
	v_fmac_f32_e32 v12, v10, v11
	v_and_b32_e32 v10, 64, v24
	v_add_u32_e32 v11, 64, v10
	v_xor_b32_e32 v10, 4, v24
	v_cmp_lt_i32_e64 s[4:5], v10, v11
	v_cndmask_b32_e64 v10, v24, v10, s[4:5]
	v_lshlrev_b32_e32 v10, 2, v10
	ds_bpermute_b32 v10, v10, v12
	s_waitcnt lgkmcnt(0)
	v_add_f32_e32 v10, v12, v10
	v_xor_b32_e32 v12, 2, v24
	v_cmp_lt_i32_e64 s[4:5], v12, v11
	v_cndmask_b32_e64 v12, v24, v12, s[4:5]
	v_lshlrev_b32_e32 v12, 2, v12
	ds_bpermute_b32 v12, v12, v10
	s_waitcnt lgkmcnt(0)
	v_add_f32_e32 v10, v10, v12
	v_xor_b32_e32 v12, 1, v24
	v_cmp_lt_i32_e64 s[4:5], v12, v11
	v_cndmask_b32_e64 v11, v24, v12, s[4:5]
	v_lshlrev_b32_e32 v11, 2, v11
	ds_bpermute_b32 v11, v11, v10
	s_and_saveexec_b64 s[46:47], vcc
	s_cbranch_execz .LBB264_12
; %bb.162:                              ;   in Loop: Header=BB264_14 Depth=1
	v_add_u32_e32 v12, v21, v19
	v_cvt_f32_i32_e32 v12, v12
	s_waitcnt lgkmcnt(0)
	v_add_f32_e32 v10, v10, v11
	v_add_u32_e32 v26, v14, v19
	v_cmp_gt_i32_e64 s[4:5], s39, v26
	v_mul_f32_e32 v11, s55, v12
	v_cndmask_b32_e64 v11, 0, v11, s[2:3]
	v_fmac_f32_e32 v11, s45, v10
	v_cndmask_b32_e64 v10, 0, v11, s[4:5]
	ds_write_b32 v20, v10
	v_max_f32_e32 v10, v17, v17
	v_max_f32_e32 v10, v10, v11
	v_cndmask_b32_e64 v17, v17, v10, s[4:5]
	s_branch .LBB264_12
.LBB264_163:
	s_or_b64 exec, exec, s[20:21]
.LBB264_164:
	s_or_b64 exec, exec, s[18:19]
	v_mbcnt_hi_u32_b32 v4, -1, v5
	v_and_b32_e32 v5, 64, v4
	v_add_u32_e32 v5, 64, v5
	v_xor_b32_e32 v6, 32, v4
	v_cmp_lt_i32_e32 vcc, v6, v5
	v_cndmask_b32_e32 v6, v4, v6, vcc
	v_lshlrev_b32_e32 v8, 2, v6
	ds_bpermute_b32 v6, v8, v17
	v_xor_b32_e32 v9, 16, v4
	v_max_f32_e32 v7, v17, v17
	v_cmp_lt_i32_e32 vcc, v9, v5
	v_and_b32_e32 v15, 63, v0
	s_waitcnt lgkmcnt(0)
	v_max_f32_e32 v6, v6, v6
	v_max_f32_e32 v6, v7, v6
	v_cndmask_b32_e32 v7, v4, v9, vcc
	v_lshlrev_b32_e32 v10, 2, v7
	ds_bpermute_b32 v7, v10, v6
	v_xor_b32_e32 v9, 8, v4
	v_cmp_lt_i32_e32 vcc, v9, v5
	s_waitcnt lgkmcnt(0)
	v_max_f32_e32 v7, v7, v7
	v_max_f32_e32 v6, v6, v7
	v_cndmask_b32_e32 v7, v4, v9, vcc
	v_lshlrev_b32_e32 v11, 2, v7
	ds_bpermute_b32 v9, v11, v6
	v_cmp_eq_u32_e32 vcc, 0, v15
	v_lshlrev_b32_e32 v7, 2, v13
	s_and_saveexec_b64 s[2:3], vcc
	s_cbranch_execz .LBB264_166
; %bb.165:
	s_waitcnt lgkmcnt(0)
	v_max_f32_e32 v9, v9, v9
	v_max_f32_e32 v6, v6, v6
	;; [unrolled: 1-line block ×3, first 2 shown]
	ds_write_b32 v7, v6 offset:384
.LBB264_166:
	s_or_b64 exec, exec, s[2:3]
	v_cmp_gt_u32_e64 s[2:3], 2, v15
	v_mov_b32_e32 v6, 0xff7fffff
	s_waitcnt lgkmcnt(0)
	v_lshlrev_b32_e32 v9, 2, v15
	s_barrier
	s_and_saveexec_b64 s[4:5], s[2:3]
	s_cbranch_execz .LBB264_168
; %bb.167:
	ds_read_b32 v6, v9 offset:384
.LBB264_168:
	s_or_b64 exec, exec, s[4:5]
	v_xor_b32_e32 v12, 1, v4
	v_cmp_lt_i32_e64 s[4:5], v12, v5
	v_cndmask_b32_e64 v12, v4, v12, s[4:5]
	v_lshlrev_b32_e32 v12, 2, v12
	s_waitcnt lgkmcnt(0)
	ds_bpermute_b32 v14, v12, v6
	v_max_f32_e32 v6, v6, v6
	s_sub_i32 s4, s28, s56
	s_lshl_b32 s4, s4, 3
	s_add_i32 s4, s4, s54
	s_waitcnt lgkmcnt(0)
	v_max_f32_e32 v14, v14, v14
	v_max_f32_e32 v6, v6, v14
	v_lshlrev_b32_e32 v14, 2, v4
	v_and_b32_e32 v14, 0x100, v14
	ds_bpermute_b32 v6, v14, v6
	s_min_i32 s21, s4, s39
	s_sub_i32 s20, s21, s54
	v_cmp_gt_i32_e64 s[4:5], s20, v0
	v_mov_b32_e32 v16, 0
	s_and_saveexec_b64 s[12:13], s[4:5]
	s_cbranch_execz .LBB264_172
; %bb.169:
	v_mov_b32_e32 v16, 0x190
	v_lshl_add_u32 v17, v0, 2, v16
	s_mov_b64 s[18:19], 0
	v_mov_b32_e32 v16, 0
	v_mov_b32_e32 v18, v0
.LBB264_170:                            ; =>This Inner Loop Header: Depth=1
	ds_read_b32 v19, v17
	v_add_u32_e32 v18, 0x80, v18
	v_cmp_le_i32_e64 s[10:11], s20, v18
	s_or_b64 s[18:19], s[10:11], s[18:19]
	s_waitcnt lgkmcnt(0)
	v_sub_f32_e32 v19, v19, v6
	v_mul_f32_e32 v19, 0x3fb8aa3b, v19
	v_exp_f32_e32 v19, v19
	ds_write_b32 v17, v19
	v_add_f32_e32 v16, v16, v19
	v_add_u32_e32 v17, 0x200, v17
	s_andn2_b64 exec, exec, s[18:19]
	s_cbranch_execnz .LBB264_170
; %bb.171:
	s_or_b64 exec, exec, s[18:19]
.LBB264_172:
	s_or_b64 exec, exec, s[12:13]
	ds_bpermute_b32 v8, v8, v16
	s_waitcnt lgkmcnt(0)
	v_add_f32_e32 v8, v16, v8
	ds_bpermute_b32 v10, v10, v8
	s_waitcnt lgkmcnt(0)
	v_add_f32_e32 v8, v8, v10
	ds_bpermute_b32 v10, v11, v8
	v_xor_b32_e32 v11, 4, v4
	v_cmp_lt_i32_e64 s[10:11], v11, v5
	v_cndmask_b32_e64 v11, v4, v11, s[10:11]
	v_lshlrev_b32_e32 v11, 2, v11
	s_waitcnt lgkmcnt(0)
	v_add_f32_e32 v8, v8, v10
	ds_bpermute_b32 v10, v11, v8
	v_xor_b32_e32 v11, 2, v4
	v_cmp_lt_i32_e64 s[10:11], v11, v5
	v_cndmask_b32_e64 v4, v4, v11, s[10:11]
	v_lshlrev_b32_e32 v4, 2, v4
	s_waitcnt lgkmcnt(0)
	v_add_f32_e32 v5, v8, v10
	ds_bpermute_b32 v4, v4, v5
	s_waitcnt lgkmcnt(0)
	v_add_f32_e32 v4, v5, v4
	ds_bpermute_b32 v5, v12, v4
	s_waitcnt lgkmcnt(0)
	v_add_f32_e32 v4, v4, v5
	s_and_saveexec_b64 s[10:11], vcc
	s_cbranch_execz .LBB264_174
; %bb.173:
	ds_write_b32 v7, v4 offset:392
.LBB264_174:
	s_or_b64 exec, exec, s[10:11]
	s_waitcnt lgkmcnt(0)
	s_barrier
	s_and_saveexec_b64 s[10:11], s[2:3]
	s_cbranch_execz .LBB264_176
; %bb.175:
	ds_read_b32 v4, v9 offset:392
.LBB264_176:
	s_or_b64 exec, exec, s[10:11]
	s_waitcnt lgkmcnt(0)
	ds_bpermute_b32 v5, v12, v4
	s_waitcnt lgkmcnt(0)
	v_add_f32_e32 v4, v4, v5
	ds_bpermute_b32 v7, v14, v4
	s_and_saveexec_b64 s[2:3], s[4:5]
	s_cbranch_execz .LBB264_189
; %bb.177:
	s_waitcnt lgkmcnt(0)
	v_add_f32_e32 v4, 0x358637bd, v7
	v_div_scale_f32 v5, s[4:5], v4, v4, 1.0
	v_rcp_f32_e32 v8, v5
	v_div_scale_f32 v9, vcc, 1.0, v4, 1.0
	s_movk_i32 s4, 0x7f
	v_fma_f32 v10, -v5, v8, 1.0
	v_fmac_f32_e32 v8, v10, v8
	v_mul_f32_e32 v10, v9, v8
	v_fma_f32 v11, -v5, v10, v9
	v_fmac_f32_e32 v10, v11, v8
	v_fma_f32 v5, -v5, v10, v9
	v_div_fmas_f32 v5, v5, v8, v10
	v_div_fixup_f32 v4, v5, v4, 1.0
	v_xad_u32 v5, v0, -1, s21
	v_subrev_u32_e32 v8, s54, v5
	v_cmp_lt_u32_e32 vcc, s4, v8
	s_mov_b64 s[10:11], -1
	v_mov_b32_e32 v5, v0
	s_and_saveexec_b64 s[4:5], vcc
	s_cbranch_execz .LBB264_186
; %bb.178:
	v_lshrrev_b32_e32 v8, 7, v8
	v_add_u32_e32 v10, -1, v8
	v_lshrrev_b32_e32 v9, 1, v10
	v_mov_b32_e32 v5, v4
	v_add_u32_e32 v9, 1, v9
	v_cmp_lt_u32_e32 vcc, 13, v10
	v_mov_b32_e32 v12, 0
	s_and_saveexec_b64 s[10:11], vcc
	s_cbranch_execz .LBB264_182
; %bb.179:
	v_mov_b32_e32 v11, 0x190
	v_and_b32_e32 v10, -8, v9
	v_lshl_add_u32 v11, v0, 2, v11
	s_mov_b32 s18, 0
	s_mov_b64 s[12:13], 0
.LBB264_180:                            ; =>This Inner Loop Header: Depth=1
	ds_read2st64_b32 v[16:17], v11 offset1:2
	ds_read2st64_b32 v[18:19], v11 offset0:4 offset1:6
	ds_read2st64_b32 v[20:21], v11 offset0:8 offset1:10
	;; [unrolled: 1-line block ×3, first 2 shown]
	v_add_u32_e32 v10, -8, v10
	s_waitcnt lgkmcnt(3)
	v_pk_mul_f32 v[16:17], v[4:5], v[16:17]
	s_waitcnt lgkmcnt(2)
	v_pk_mul_f32 v[18:19], v[4:5], v[18:19]
	ds_write2st64_b32 v11, v16, v17 offset1:2
	ds_write2st64_b32 v11, v18, v19 offset0:4 offset1:6
	ds_read2st64_b32 v[18:19], v11 offset0:16 offset1:18
	s_waitcnt lgkmcnt(4)
	v_pk_mul_f32 v[16:17], v[4:5], v[20:21]
	ds_write2st64_b32 v11, v16, v17 offset0:8 offset1:10
	s_waitcnt lgkmcnt(4)
	v_pk_mul_f32 v[16:17], v[4:5], v[22:23]
	ds_write2st64_b32 v11, v16, v17 offset0:12 offset1:14
	ds_read2st64_b32 v[16:17], v11 offset0:20 offset1:22
	s_waitcnt lgkmcnt(3)
	v_pk_mul_f32 v[18:19], v[4:5], v[18:19]
	ds_read2st64_b32 v[20:21], v11 offset0:24 offset1:26
	ds_write2st64_b32 v11, v18, v19 offset0:16 offset1:18
	ds_read2st64_b32 v[18:19], v11 offset0:28 offset1:30
	s_waitcnt lgkmcnt(3)
	v_pk_mul_f32 v[16:17], v[4:5], v[16:17]
	ds_write2st64_b32 v11, v16, v17 offset0:20 offset1:22
	s_waitcnt lgkmcnt(3)
	v_pk_mul_f32 v[16:17], v[4:5], v[20:21]
	ds_write2st64_b32 v11, v16, v17 offset0:24 offset1:26
	s_waitcnt lgkmcnt(2)
	v_pk_mul_f32 v[16:17], v[4:5], v[18:19]
	s_add_i32 s18, s18, 16
	v_cmp_eq_u32_e32 vcc, 0, v10
	ds_write2st64_b32 v11, v16, v17 offset0:28 offset1:30
	v_add_u32_e32 v11, 0x2000, v11
	s_or_b64 s[12:13], vcc, s[12:13]
	v_mov_b32_e32 v12, s18
	s_andn2_b64 exec, exec, s[12:13]
	s_cbranch_execnz .LBB264_180
; %bb.181:
	s_or_b64 exec, exec, s[12:13]
.LBB264_182:
	s_or_b64 exec, exec, s[10:11]
	v_and_b32_e32 v9, 7, v9
	v_cmp_ne_u32_e32 vcc, 0, v9
	s_and_saveexec_b64 s[10:11], vcc
	s_cbranch_execz .LBB264_185
; %bb.183:
	v_lshlrev_b32_e32 v10, 9, v12
	v_lshlrev_b32_e32 v11, 2, v0
	s_movk_i32 s12, 0x190
	v_add3_u32 v10, v10, v11, s12
	s_mov_b64 s[12:13], 0
.LBB264_184:                            ; =>This Inner Loop Header: Depth=1
	ds_read2st64_b32 v[16:17], v10 offset1:2
	v_add_u32_e32 v9, -1, v9
	v_cmp_eq_u32_e32 vcc, 0, v9
	s_or_b64 s[12:13], vcc, s[12:13]
	s_waitcnt lgkmcnt(0)
	v_pk_mul_f32 v[16:17], v[4:5], v[16:17]
	ds_write2st64_b32 v10, v16, v17 offset1:2
	v_add_u32_e32 v10, 0x400, v10
	s_andn2_b64 exec, exec, s[12:13]
	s_cbranch_execnz .LBB264_184
.LBB264_185:
	s_or_b64 exec, exec, s[10:11]
	v_add_u32_e32 v8, 1, v8
	v_and_b32_e32 v9, 0x3fffffe, v8
	v_cmp_ne_u32_e32 vcc, v8, v9
	v_lshl_add_u32 v5, v9, 7, v0
	s_orn2_b64 s[10:11], vcc, exec
.LBB264_186:
	s_or_b64 exec, exec, s[4:5]
	s_and_b64 exec, exec, s[10:11]
	s_cbranch_execz .LBB264_189
; %bb.187:
	v_mov_b32_e32 v8, 0x190
	v_lshl_add_u32 v8, v5, 2, v8
	s_mov_b64 s[4:5], 0
.LBB264_188:                            ; =>This Inner Loop Header: Depth=1
	ds_read_b32 v9, v8
	v_add_u32_e32 v5, 0x80, v5
	v_cmp_le_i32_e32 vcc, s20, v5
	s_or_b64 s[4:5], vcc, s[4:5]
	s_waitcnt lgkmcnt(0)
	v_mul_f32_e32 v9, v4, v9
	ds_write_b32 v8, v9
	v_add_u32_e32 v8, 0x200, v8
	s_andn2_b64 exec, exec, s[4:5]
	s_cbranch_execnz .LBB264_188
.LBB264_189:
	s_or_b64 exec, exec, s[2:3]
	s_mul_i32 s2, s33, s38
	v_cmp_eq_u32_e32 vcc, 0, v0
	s_mul_i32 s2, s2, s9
	s_waitcnt lgkmcnt(0)
	s_barrier
	s_and_saveexec_b64 s[4:5], vcc
	s_cbranch_execz .LBB264_191
; %bb.190:
	s_ashr_i32 s3, s2, 31
	s_lshl_b64 s[10:11], s[2:3], 2
	s_add_u32 s3, s26, s10
	s_mul_i32 s12, s33, s6
	s_addc_u32 s9, s27, s11
	s_ashr_i32 s13, s12, 31
	s_lshl_b64 s[12:13], s[12:13], 2
	s_add_u32 s3, s3, s12
	s_addc_u32 s6, s9, s13
	s_ashr_i32 s9, s8, 31
	s_lshl_b64 s[18:19], s[8:9], 2
	s_add_u32 s20, s3, s18
	s_addc_u32 s21, s6, s19
	s_add_u32 s3, s24, s10
	s_addc_u32 s6, s25, s11
	;; [unrolled: 2-line block ×3, first 2 shown]
	s_add_u32 s10, s3, s18
	v_mov_b32_e32 v4, 0
	s_addc_u32 s11, s6, s19
	global_store_dword v4, v6, s[20:21]
	global_store_dword v4, v7, s[10:11]
.LBB264_191:
	s_or_b64 exec, exec, s[4:5]
	v_mov_b32_e32 v22, 0
	v_mov_b32_e32 v5, 0
	;; [unrolled: 1-line block ×3, first 2 shown]
	s_and_saveexec_b64 s[4:5], s[0:1]
	s_cbranch_execz .LBB264_347
; %bb.192:
	s_sub_i32 s3, s7, s29
	s_ashr_i32 s0, s53, 31
	s_add_u32 s1, s22, s53
	s_addc_u32 s0, s23, s0
	s_abs_i32 s9, s30
	v_cvt_f32_u32_e32 v4, s9
	s_sub_i32 s10, 0, s9
	v_lshlrev_b32_e32 v5, 3, v15
	s_add_i32 s24, s16, -1
	v_rcp_iflag_f32_e32 v4, v4
	s_mov_b32 s6, -1
	s_mov_b32 s22, s17
	s_mov_b32 s7, 0xffffff
	v_mul_f32_e32 v4, 0x4f7ffffe, v4
	v_cvt_u32_f32_e32 v4, v4
	s_mov_b32 s23, s39
	v_mov_b32_e32 v24, 0
	v_mov_b32_e32 v11, 0
	v_mul_lo_u32 v6, s10, v4
	v_mul_hi_u32 v6, v4, v6
	v_add_u32_e32 v23, v4, v6
	v_mov_b32_e32 v4, s0
	v_add_co_u32_e32 v6, vcc, s1, v5
	s_lshl_b64 s[0:1], s[42:43], 2
	s_add_u32 s0, s40, s0
	v_addc_co_u32_e32 v7, vcc, 0, v4, vcc
	v_lshlrev_b64 v[4:5], 2, v[2:3]
	s_addc_u32 s1, s41, s1
	v_mov_b32_e32 v3, s1
	v_add_co_u32_e32 v8, vcc, s0, v4
	v_addc_co_u32_e32 v9, vcc, v3, v5, vcc
	v_mov_b32_e32 v3, 0x190
	v_lshl_add_u32 v3, v13, 5, v3
	s_mov_b64 s[10:11], 0
	s_movk_i32 s25, 0x80
	s_movk_i32 s26, 0x7f
	s_mov_b32 s27, 0x8000
	s_movk_i32 s29, 0x380
	s_mov_b32 s30, 0x3020706
	s_mov_b32 s38, 0x1000504
	;; [unrolled: 1-line block ×3, first 2 shown]
	v_mov_b32_e32 v25, 0x2000
	v_mov_b32_e32 v4, 0
	;; [unrolled: 1-line block ×4, first 2 shown]
	s_branch .LBB264_195
.LBB264_193:                            ;   in Loop: Header=BB264_195 Depth=1
	s_or_b64 exec, exec, s[0:1]
	;;#ASMSTART
	v_pk_mul_f16 v13, v36, v13;

	;;#ASMEND
	;;#ASMSTART
	v_pk_mul_f16 v10, v35, v10;

	;;#ASMEND
	;; [unrolled: 4-line block ×4, first 2 shown]
	;;#ASMSTART
	v_pk_add_f16 v10, v13, v10;

	;;#ASMEND
	;;#ASMSTART
	v_pk_add_f16 v10, v10, v12;

	;;#ASMEND
	;;#ASMSTART
	v_pk_add_f16 v10, v10, v14;

	;;#ASMEND
	v_lshrrev_b32_e32 v12, 16, v10
	v_and_b32_e32 v10, 0xffff, v10
	v_add_f32_e32 v16, v20, v21
	;;#ASMSTART
	v_cvt_f32_f16 v10, v10;
	;;#ASMEND
	v_add_f32_e32 v5, v5, v16
	v_add_f32_e32 v16, v37, v38
	;;#ASMSTART
	v_cvt_f32_f16 v12, v12;
	;;#ASMEND
	v_add_f32_e32 v10, v10, v12
	v_add_f32_e32 v4, v4, v16
	;; [unrolled: 1-line block ×3, first 2 shown]
.LBB264_194:                            ;   in Loop: Header=BB264_195 Depth=1
	s_or_b64 exec, exec, s[12:13]
	v_add_co_u32_e32 v8, vcc, 8, v8
	v_add_u32_e32 v2, 2, v2
	v_addc_co_u32_e32 v9, vcc, 0, v9, vcc
	v_cmp_le_i32_e32 vcc, s28, v2
	v_add_u32_e32 v1, 16, v1
	s_or_b64 s[10:11], vcc, s[10:11]
	v_add_u32_e32 v3, 64, v3
	s_andn2_b64 exec, exec, s[10:11]
	s_cbranch_execz .LBB264_346
.LBB264_195:                            ; =>This Inner Loop Header: Depth=1
	v_sub_u32_e32 v12, 0, v1
	v_max_i32_e32 v12, v1, v12
	v_mul_hi_u32 v13, v12, s52
	v_mul_lo_u32 v14, v13, s37
	v_sub_u32_e32 v12, v12, v14
	v_add_u32_e32 v14, 1, v13
	v_cmp_le_u32_e32 vcc, s37, v12
	v_cndmask_b32_e32 v13, v13, v14, vcc
	v_subrev_u32_e32 v14, s37, v12
	v_cndmask_b32_e32 v12, v12, v14, vcc
	v_ashrrev_i32_e32 v10, 31, v1
	v_add_u32_e32 v14, 1, v13
	v_cmp_le_u32_e32 vcc, s37, v12
	v_xor_b32_e32 v10, s31, v10
	v_cndmask_b32_e32 v12, v13, v14, vcc
	v_xor_b32_e32 v12, v12, v10
	v_sub_u32_e32 v10, v12, v10
	v_add_u32_e32 v12, s44, v10
	v_sub_u32_e32 v14, 0, v12
	v_ashrrev_i32_e32 v13, 31, v12
	v_max_i32_e32 v12, v12, v14
	v_mul_hi_u32 v14, v12, v23
	v_mul_lo_u32 v14, v14, s9
	v_sub_u32_e32 v12, v12, v14
	v_subrev_u32_e32 v14, s9, v12
	v_cmp_le_u32_e32 vcc, s9, v12
	v_cndmask_b32_e32 v12, v12, v14, vcc
	v_subrev_u32_e32 v14, s9, v12
	v_cmp_le_u32_e32 vcc, s9, v12
	v_cndmask_b32_e32 v12, v12, v14, vcc
	v_xor_b32_e32 v12, v12, v13
	v_sub_u32_e32 v12, v12, v13
	v_cmp_eq_u32_e32 vcc, 0, v12
	v_cmp_lt_i32_e64 s[0:1], s3, v10
	s_or_b64 s[0:1], vcc, s[0:1]
	s_and_saveexec_b64 s[12:13], s[0:1]
	s_cbranch_execz .LBB264_194
; %bb.196:                              ;   in Loop: Header=BB264_195 Depth=1
	global_load_dword v10, v[8:9], off
	ds_read2_b64 v[16:19], v3 offset1:1
	ds_read2_b64 v[26:29], v3 offset0:2 offset1:3
	s_waitcnt lgkmcnt(1)
	;;#ASMSTART
	v_cvt_f16_f32 v33, v16;

	;;#ASMEND
	;;#ASMSTART
	v_cvt_f16_f32 v34, v17;

	;;#ASMEND
	;; [unrolled: 4-line block ×4, first 2 shown]
	s_waitcnt lgkmcnt(0)
	;;#ASMSTART
	v_cvt_f16_f32 v38, v26;

	;;#ASMEND
	;;#ASMSTART
	v_cvt_f16_f32 v39, v27;

	;;#ASMEND
	;; [unrolled: 4-line block ×4, first 2 shown]
	v_mov_b32_e32 v18, 0
	v_mov_b32_e32 v16, 0
	s_waitcnt vmcnt(0)
	v_mad_i64_i32 v[12:13], s[0:1], v10, s22, v[6:7]
	global_load_dwordx2 v[20:21], v[12:13], off
	global_load_dword v14, v11, s[14:15]
	s_waitcnt vmcnt(1)
	v_cmp_ne_u16_sdwa s[16:17], v20, v24 src0_sel:BYTE_0 src1_sel:DWORD
	s_and_saveexec_b64 s[0:1], s[16:17]
	s_cbranch_execz .LBB264_202
; %bb.197:                              ;   in Loop: Header=BB264_195 Depth=1
	v_cmp_ne_u16_sdwa s[18:19], v20, s25 src0_sel:BYTE_0 src1_sel:DWORD
	v_bfrev_b32_e32 v16, 1
	s_and_saveexec_b64 s[16:17], s[18:19]
	s_cbranch_execz .LBB264_201
; %bb.198:                              ;   in Loop: Header=BB264_195 Depth=1
	v_and_b32_e32 v10, 0x7f, v20
	v_cmp_ne_u32_e32 vcc, s26, v10
	v_mov_b32_e32 v16, 0x7fc02000
	s_and_saveexec_b64 s[18:19], vcc
	s_cbranch_execz .LBB264_200
; %bb.199:                              ;   in Loop: Header=BB264_195 Depth=1
	v_and_b32_e32 v16, 7, v20
	v_ffbh_u32_e32 v16, v16
	v_min_u32_e32 v16, 32, v16
	v_subrev_u32_e32 v17, 28, v16
	v_cmp_gt_u32_e32 vcc, 8, v10
	v_lshrrev_b32_e32 v19, 3, v10
	v_sub_u32_e32 v26, 29, v16
	v_cndmask_b32_e32 v10, 0, v17, vcc
	v_lshlrev_b64 v[16:17], v10, v[20:21]
	v_cndmask_b32_e32 v10, v19, v26, vcc
	v_lshlrev_b32_e32 v17, 8, v20
	v_lshl_add_u32 v10, v10, 10, v25
	v_lshlrev_b32_e32 v16, 7, v16
	v_and_or_b32 v10, v17, s27, v10
	v_and_or_b32 v10, v16, s29, v10
	v_cvt_f32_f16_e32 v16, v10
.LBB264_200:                            ;   in Loop: Header=BB264_195 Depth=1
	s_or_b64 exec, exec, s[18:19]
.LBB264_201:                            ;   in Loop: Header=BB264_195 Depth=1
	s_or_b64 exec, exec, s[16:17]
.LBB264_202:                            ;   in Loop: Header=BB264_195 Depth=1
	s_or_b64 exec, exec, s[0:1]
	v_lshrrev_b16_e32 v10, 8, v20
	v_cmp_ne_u16_e32 vcc, 0, v10
	s_and_saveexec_b64 s[0:1], vcc
	s_cbranch_execz .LBB264_208
; %bb.203:                              ;   in Loop: Header=BB264_195 Depth=1
	v_cmp_ne_u16_e32 vcc, s25, v10
	v_bfrev_b32_e32 v18, 1
	s_and_saveexec_b64 s[16:17], vcc
	s_cbranch_execz .LBB264_207
; %bb.204:                              ;   in Loop: Header=BB264_195 Depth=1
	v_and_b32_e32 v17, 0x7f, v10
	v_cmp_ne_u32_e32 vcc, s26, v17
	v_mov_b32_e32 v18, 0x7fc02000
	s_and_saveexec_b64 s[18:19], vcc
	s_cbranch_execz .LBB264_206
; %bb.205:                              ;   in Loop: Header=BB264_195 Depth=1
	v_and_b32_e32 v26, 7, v10
	v_ffbh_u32_e32 v18, v26
	v_min_u32_e32 v28, 32, v18
	v_subrev_u32_e32 v18, 28, v28
	v_lshlrev_b64 v[18:19], v18, v[10:11]
	v_lshrrev_b32_e32 v27, 3, v17
	v_sub_u32_e32 v19, 29, v28
	v_cmp_gt_u32_e32 vcc, 8, v17
	v_cndmask_b32_e32 v17, v27, v19, vcc
	v_and_b32_e32 v18, 7, v18
	v_lshlrev_b32_e32 v10, 8, v10
	v_lshl_add_u32 v17, v17, 10, v25
	v_cndmask_b32_e32 v18, v26, v18, vcc
	v_and_or_b32 v10, v10, s27, v17
	v_lshl_or_b32 v10, v18, 7, v10
	v_cvt_f32_f16_e32 v18, v10
.LBB264_206:                            ;   in Loop: Header=BB264_195 Depth=1
	s_or_b64 exec, exec, s[18:19]
.LBB264_207:                            ;   in Loop: Header=BB264_195 Depth=1
	s_or_b64 exec, exec, s[16:17]
.LBB264_208:                            ;   in Loop: Header=BB264_195 Depth=1
	s_or_b64 exec, exec, s[0:1]
	v_lshrrev_b32_e32 v10, 16, v20
	v_cmp_ne_u16_sdwa s[16:17], v10, v24 src0_sel:BYTE_0 src1_sel:DWORD
	v_mov_b32_e32 v19, 0
	v_mov_b32_e32 v17, 0
	s_and_saveexec_b64 s[0:1], s[16:17]
	s_cbranch_execz .LBB264_214
; %bb.209:                              ;   in Loop: Header=BB264_195 Depth=1
	v_cmp_ne_u16_sdwa s[18:19], v10, s25 src0_sel:BYTE_0 src1_sel:DWORD
	v_bfrev_b32_e32 v17, 1
	s_and_saveexec_b64 s[16:17], s[18:19]
	s_cbranch_execz .LBB264_213
; %bb.210:                              ;   in Loop: Header=BB264_195 Depth=1
	v_bfe_u32 v26, v20, 16, 7
	v_cmp_ne_u32_e32 vcc, s26, v26
	v_mov_b32_e32 v17, 0x7fc02000
	s_and_saveexec_b64 s[18:19], vcc
	s_cbranch_execz .LBB264_212
; %bb.211:                              ;   in Loop: Header=BB264_195 Depth=1
	v_and_b32_e32 v17, 7, v10
	v_ffbh_u32_e32 v28, v17
	v_min_u32_e32 v30, 32, v28
	v_subrev_u32_e32 v28, 28, v30
	v_lshlrev_b64 v[28:29], v28, v[10:11]
	v_lshrrev_b32_e32 v27, 3, v26
	v_sub_u32_e32 v29, 29, v30
	v_cmp_gt_u32_e32 vcc, 8, v26
	v_cndmask_b32_e32 v26, v27, v29, vcc
	v_and_b32_e32 v28, 7, v28
	v_lshlrev_b32_e32 v10, 8, v10
	v_lshl_add_u32 v26, v26, 10, v25
	v_cndmask_b32_e32 v17, v17, v28, vcc
	v_and_or_b32 v10, v10, s27, v26
	v_lshl_or_b32 v10, v17, 7, v10
	v_cvt_f32_f16_e32 v17, v10
.LBB264_212:                            ;   in Loop: Header=BB264_195 Depth=1
	s_or_b64 exec, exec, s[18:19]
.LBB264_213:                            ;   in Loop: Header=BB264_195 Depth=1
	s_or_b64 exec, exec, s[16:17]
.LBB264_214:                            ;   in Loop: Header=BB264_195 Depth=1
	s_or_b64 exec, exec, s[0:1]
	v_cmp_lt_u32_e32 vcc, s7, v20
	s_and_saveexec_b64 s[0:1], vcc
	s_cbranch_execz .LBB264_220
; %bb.215:                              ;   in Loop: Header=BB264_195 Depth=1
	v_lshrrev_b32_e32 v10, 24, v20
	v_cmp_ne_u32_e32 vcc, s25, v10
	v_bfrev_b32_e32 v19, 1
	s_and_saveexec_b64 s[16:17], vcc
	s_cbranch_execz .LBB264_219
; %bb.216:                              ;   in Loop: Header=BB264_195 Depth=1
	v_and_b32_e32 v26, 0x7f, v10
	v_cmp_ne_u32_e32 vcc, s26, v26
	v_mov_b32_e32 v19, 0x7fc02000
	s_and_saveexec_b64 s[18:19], vcc
	s_cbranch_execz .LBB264_218
; %bb.217:                              ;   in Loop: Header=BB264_195 Depth=1
	v_and_b32_e32 v19, 7, v10
	v_ffbh_u32_e32 v28, v19
	v_min_u32_e32 v30, 32, v28
	v_subrev_u32_e32 v28, 28, v30
	v_lshlrev_b64 v[28:29], v28, v[10:11]
	v_lshrrev_b32_e32 v27, 3, v26
	v_sub_u32_e32 v29, 29, v30
	v_cmp_gt_u32_e32 vcc, 8, v26
	v_cndmask_b32_e32 v26, v27, v29, vcc
	v_and_b32_e32 v28, 7, v28
	v_lshlrev_b32_e32 v10, 8, v10
	v_lshl_add_u32 v26, v26, 10, v25
	v_cndmask_b32_e32 v19, v19, v28, vcc
	v_and_or_b32 v10, v10, s27, v26
	v_lshl_or_b32 v10, v19, 7, v10
	v_cvt_f32_f16_e32 v19, v10
.LBB264_218:                            ;   in Loop: Header=BB264_195 Depth=1
	s_or_b64 exec, exec, s[18:19]
.LBB264_219:                            ;   in Loop: Header=BB264_195 Depth=1
	s_or_b64 exec, exec, s[16:17]
.LBB264_220:                            ;   in Loop: Header=BB264_195 Depth=1
	s_or_b64 exec, exec, s[0:1]
	v_mov_b32_e32 v10, v21
	v_cmp_ne_u16_sdwa s[16:17], v21, v24 src0_sel:BYTE_0 src1_sel:DWORD
	v_mov_b32_e32 v27, 0
	v_mov_b32_e32 v26, 0
	s_and_saveexec_b64 s[0:1], s[16:17]
	s_cbranch_execz .LBB264_226
; %bb.221:                              ;   in Loop: Header=BB264_195 Depth=1
	v_cmp_ne_u16_sdwa s[18:19], v21, s25 src0_sel:BYTE_0 src1_sel:DWORD
	v_bfrev_b32_e32 v26, 1
	s_and_saveexec_b64 s[16:17], s[18:19]
	s_cbranch_execz .LBB264_225
; %bb.222:                              ;   in Loop: Header=BB264_195 Depth=1
	v_and_b32_e32 v28, 0x7f, v21
	v_cmp_ne_u32_e32 vcc, s26, v28
	v_mov_b32_e32 v26, 0x7fc02000
	s_and_saveexec_b64 s[18:19], vcc
	s_cbranch_execz .LBB264_224
; %bb.223:                              ;   in Loop: Header=BB264_195 Depth=1
	v_and_b32_e32 v26, 7, v21
	v_ffbh_u32_e32 v26, v26
	v_min_u32_e32 v26, 32, v26
	v_subrev_u32_e32 v29, 28, v26
	v_cmp_gt_u32_e32 vcc, 8, v28
	v_lshrrev_b32_e32 v30, 3, v28
	v_sub_u32_e32 v26, 29, v26
	v_cndmask_b32_e32 v28, 0, v29, vcc
	v_lshlrev_b64 v[28:29], v28, v[10:11]
	v_cndmask_b32_e32 v26, v30, v26, vcc
	v_lshlrev_b32_e32 v29, 8, v21
	v_lshl_add_u32 v26, v26, 10, v25
	v_lshlrev_b32_e32 v28, 7, v28
	v_and_or_b32 v26, v29, s27, v26
	v_and_or_b32 v26, v28, s29, v26
	v_cvt_f32_f16_e32 v26, v26
.LBB264_224:                            ;   in Loop: Header=BB264_195 Depth=1
	s_or_b64 exec, exec, s[18:19]
.LBB264_225:                            ;   in Loop: Header=BB264_195 Depth=1
	s_or_b64 exec, exec, s[16:17]
.LBB264_226:                            ;   in Loop: Header=BB264_195 Depth=1
	s_or_b64 exec, exec, s[0:1]
	v_lshrrev_b16_e32 v10, 8, v10
	v_cmp_ne_u16_e32 vcc, 0, v10
	s_and_saveexec_b64 s[0:1], vcc
	s_cbranch_execz .LBB264_232
; %bb.227:                              ;   in Loop: Header=BB264_195 Depth=1
	v_cmp_ne_u16_e32 vcc, s25, v10
	v_bfrev_b32_e32 v27, 1
	s_and_saveexec_b64 s[16:17], vcc
	s_cbranch_execz .LBB264_231
; %bb.228:                              ;   in Loop: Header=BB264_195 Depth=1
	v_and_b32_e32 v28, 0x7f, v10
	v_cmp_ne_u32_e32 vcc, s26, v28
	v_mov_b32_e32 v27, 0x7fc02000
	s_and_saveexec_b64 s[18:19], vcc
	s_cbranch_execz .LBB264_230
; %bb.229:                              ;   in Loop: Header=BB264_195 Depth=1
	v_and_b32_e32 v27, 7, v10
	v_ffbh_u32_e32 v30, v27
	v_min_u32_e32 v32, 32, v30
	v_subrev_u32_e32 v30, 28, v32
	v_lshlrev_b64 v[30:31], v30, v[10:11]
	v_lshrrev_b32_e32 v29, 3, v28
	v_sub_u32_e32 v31, 29, v32
	v_cmp_gt_u32_e32 vcc, 8, v28
	v_cndmask_b32_e32 v28, v29, v31, vcc
	v_and_b32_e32 v30, 7, v30
	v_lshlrev_b32_e32 v10, 8, v10
	v_lshl_add_u32 v28, v28, 10, v25
	v_cndmask_b32_e32 v27, v27, v30, vcc
	v_and_or_b32 v10, v10, s27, v28
	v_lshl_or_b32 v10, v27, 7, v10
	v_cvt_f32_f16_e32 v27, v10
.LBB264_230:                            ;   in Loop: Header=BB264_195 Depth=1
	s_or_b64 exec, exec, s[18:19]
.LBB264_231:                            ;   in Loop: Header=BB264_195 Depth=1
	s_or_b64 exec, exec, s[16:17]
.LBB264_232:                            ;   in Loop: Header=BB264_195 Depth=1
	s_or_b64 exec, exec, s[0:1]
	v_lshrrev_b32_e32 v10, 16, v21
	v_cmp_ne_u16_sdwa s[16:17], v10, v24 src0_sel:BYTE_0 src1_sel:DWORD
	v_mov_b32_e32 v28, 0
	v_mov_b32_e32 v29, 0
	s_and_saveexec_b64 s[0:1], s[16:17]
	s_cbranch_execz .LBB264_238
; %bb.233:                              ;   in Loop: Header=BB264_195 Depth=1
	v_cmp_ne_u16_sdwa s[18:19], v10, s25 src0_sel:BYTE_0 src1_sel:DWORD
	v_bfrev_b32_e32 v29, 1
	s_and_saveexec_b64 s[16:17], s[18:19]
	s_cbranch_execz .LBB264_237
; %bb.234:                              ;   in Loop: Header=BB264_195 Depth=1
	v_bfe_u32 v30, v21, 16, 7
	v_cmp_ne_u32_e32 vcc, s26, v30
	v_mov_b32_e32 v29, 0x7fc02000
	s_and_saveexec_b64 s[18:19], vcc
	s_cbranch_execz .LBB264_236
; %bb.235:                              ;   in Loop: Header=BB264_195 Depth=1
	v_and_b32_e32 v29, 7, v10
	v_ffbh_u32_e32 v32, v29
	v_min_u32_e32 v32, 32, v32
	v_lshrrev_b32_e32 v31, 3, v30
	v_subrev_u32_e32 v36, 28, v32
	v_sub_u32_e32 v32, 29, v32
	v_cmp_gt_u32_e32 vcc, 8, v30
	v_lshlrev_b64 v[42:43], v36, v[10:11]
	v_cndmask_b32_e32 v30, v31, v32, vcc
	v_and_b32_e32 v36, 7, v42
	v_lshlrev_b32_e32 v10, 8, v10
	v_lshl_add_u32 v30, v30, 10, v25
	v_cndmask_b32_e32 v29, v29, v36, vcc
	v_and_or_b32 v10, v10, s27, v30
	v_lshl_or_b32 v10, v29, 7, v10
	v_cvt_f32_f16_e32 v29, v10
.LBB264_236:                            ;   in Loop: Header=BB264_195 Depth=1
	s_or_b64 exec, exec, s[18:19]
.LBB264_237:                            ;   in Loop: Header=BB264_195 Depth=1
	s_or_b64 exec, exec, s[16:17]
.LBB264_238:                            ;   in Loop: Header=BB264_195 Depth=1
	s_or_b64 exec, exec, s[0:1]
	v_cmp_lt_u64_e32 vcc, s[6:7], v[20:21]
	s_and_saveexec_b64 s[0:1], vcc
	s_cbranch_execz .LBB264_244
; %bb.239:                              ;   in Loop: Header=BB264_195 Depth=1
	v_lshrrev_b32_e32 v10, 24, v21
	v_cmp_ne_u32_e32 vcc, s25, v10
	v_bfrev_b32_e32 v28, 1
	s_and_saveexec_b64 s[16:17], vcc
	s_cbranch_execz .LBB264_243
; %bb.240:                              ;   in Loop: Header=BB264_195 Depth=1
	v_and_b32_e32 v20, 0x7f, v10
	v_cmp_ne_u32_e32 vcc, s26, v20
	v_mov_b32_e32 v28, 0x7fc02000
	s_and_saveexec_b64 s[18:19], vcc
	s_cbranch_execz .LBB264_242
; %bb.241:                              ;   in Loop: Header=BB264_195 Depth=1
	v_and_b32_e32 v21, 7, v10
	v_ffbh_u32_e32 v30, v21
	v_min_u32_e32 v32, 32, v30
	v_subrev_u32_e32 v30, 28, v32
	v_lshlrev_b64 v[30:31], v30, v[10:11]
	v_lshrrev_b32_e32 v28, 3, v20
	v_sub_u32_e32 v31, 29, v32
	v_cmp_gt_u32_e32 vcc, 8, v20
	v_cndmask_b32_e32 v20, v28, v31, vcc
	v_and_b32_e32 v30, 7, v30
	v_lshlrev_b32_e32 v10, 8, v10
	v_lshl_add_u32 v20, v20, 10, v25
	v_cndmask_b32_e32 v21, v21, v30, vcc
	v_and_or_b32 v10, v10, s27, v20
	v_lshl_or_b32 v10, v21, 7, v10
	v_cvt_f32_f16_e32 v28, v10
.LBB264_242:                            ;   in Loop: Header=BB264_195 Depth=1
	s_or_b64 exec, exec, s[18:19]
.LBB264_243:                            ;   in Loop: Header=BB264_195 Depth=1
	s_or_b64 exec, exec, s[16:17]
.LBB264_244:                            ;   in Loop: Header=BB264_195 Depth=1
	s_or_b64 exec, exec, s[0:1]
	s_waitcnt vmcnt(0)
	v_pk_mul_f32 v[18:19], v[14:15], v[18:19] op_sel_hi:[0,1]
	v_pk_mul_f32 v[16:17], v[14:15], v[16:17] op_sel_hi:[0,1]
	v_cvt_f16_f32_e32 v10, v19
	v_cvt_f16_f32_e32 v18, v18
	;; [unrolled: 1-line block ×4, first 2 shown]
	v_cmp_eq_u32_e32 vcc, s24, v2
	v_pack_b32_f16 v18, v18, v10
	v_add_u32_e32 v32, 1, v1
	v_pack_b32_f16 v16, v16, v17
	v_fma_mixlo_f16 v17, v14, v27, 0
	v_perm_b32 v10, v16, v18, s30
	v_perm_b32 v16, v16, v18, s38
	v_lshlrev_b32_e32 v17, 16, v17
	v_fma_mixlo_f16 v18, v14, v26, 0
	v_or_b32_sdwa v17, v17, v18 dst_sel:DWORD dst_unused:UNUSED_PAD src0_sel:DWORD src1_sel:WORD_0
	v_fma_mixlo_f16 v18, v14, v29, 0
	v_fma_mixlo_f16 v14, v14, v28, 0
	v_lshlrev_b32_e32 v14, 16, v14
	v_or_b32_sdwa v14, v14, v18 dst_sel:DWORD dst_unused:UNUSED_PAD src0_sel:DWORD src1_sel:WORD_0
	v_or_b32_e32 v31, 3, v1
	v_or_b32_e32 v30, 2, v1
	;; [unrolled: 1-line block ×6, first 2 shown]
	s_and_saveexec_b64 s[16:17], vcc
	s_cbranch_execz .LBB264_246
; %bb.245:                              ;   in Loop: Header=BB264_195 Depth=1
	v_lshrrev_b32_e32 v19, 16, v16
	v_cmp_gt_i32_e64 s[0:1], s23, v32
	v_cndmask_b32_e64 v19, 0, v19, s[0:1]
	v_cmp_gt_i32_e64 s[0:1], s39, v1
	v_cndmask_b32_e64 v16, 0, v16, s[0:1]
	v_perm_b32 v16, v19, v16, s40
	v_lshrrev_b32_e32 v19, 16, v10
	v_cmp_gt_i32_e64 s[0:1], s23, v31
	v_cndmask_b32_e64 v19, 0, v19, s[0:1]
	v_cmp_gt_i32_e64 s[0:1], s39, v30
	v_cndmask_b32_e64 v10, 0, v10, s[0:1]
	v_perm_b32 v10, v19, v10, s40
	v_lshrrev_b32_e32 v19, 16, v17
	v_cmp_gt_i32_e64 s[0:1], s23, v29
	v_cndmask_b32_e64 v19, 0, v19, s[0:1]
	v_cmp_gt_i32_e64 s[0:1], s39, v28
	v_cndmask_b32_e64 v17, 0, v17, s[0:1]
	v_lshrrev_b32_e32 v14, 16, v14
	v_cmp_gt_i32_e64 s[0:1], s23, v27
	v_cndmask_b32_e64 v14, 0, v14, s[0:1]
	v_cmp_gt_i32_e64 s[0:1], s39, v26
	v_cndmask_b32_e64 v18, 0, v18, s[0:1]
	v_perm_b32 v17, v19, v17, s40
	v_perm_b32 v14, v14, v18, s40
.LBB264_246:                            ;   in Loop: Header=BB264_195 Depth=1
	s_or_b64 exec, exec, s[16:17]
	v_and_b32_e32 v18, 0xffff, v33
	v_lshl_or_b32 v36, v34, 16, v18
	v_and_b32_e32 v18, 0xffff, v35
	v_lshl_or_b32 v35, v37, 16, v18
	;; [unrolled: 2-line block ×3, first 2 shown]
	v_and_b32_e32 v18, 0xffff, v40
	;;#ASMSTART
	v_pk_mul_f16 v16, v36, v16;

	;;#ASMEND
	;;#ASMSTART
	v_pk_mul_f16 v10, v35, v10;

	;;#ASMEND
	v_lshl_or_b32 v33, v41, 16, v18
	;;#ASMSTART
	v_pk_mul_f16 v17, v34, v17;

	;;#ASMEND
	;;#ASMSTART
	v_pk_mul_f16 v14, v33, v14;

	;;#ASMEND
	;;#ASMSTART
	v_pk_add_f16 v10, v16, v10;

	;;#ASMEND
	;;#ASMSTART
	v_pk_add_f16 v10, v10, v17;
	;; [unrolled: 4-line block ×3, first 2 shown]

	;;#ASMEND
	v_lshrrev_b32_e32 v14, 16, v10
	v_and_b32_e32 v10, 0xffff, v10
	;;#ASMSTART
	v_cvt_f32_f16 v37, v10;
	;;#ASMEND
	;;#ASMSTART
	v_cvt_f32_f16 v38, v14;
	;;#ASMEND
	global_load_dwordx2 v[20:21], v[12:13], off offset:512
	global_load_dword v14, v11, s[14:15]
	v_mov_b32_e32 v18, 0
	v_mov_b32_e32 v16, 0
	s_waitcnt vmcnt(1)
	v_cmp_ne_u16_sdwa s[0:1], v20, v24 src0_sel:BYTE_0 src1_sel:DWORD
	s_and_saveexec_b64 s[16:17], s[0:1]
	s_cbranch_execz .LBB264_252
; %bb.247:                              ;   in Loop: Header=BB264_195 Depth=1
	v_cmp_ne_u16_sdwa s[0:1], v20, s25 src0_sel:BYTE_0 src1_sel:DWORD
	v_bfrev_b32_e32 v16, 1
	s_and_saveexec_b64 s[18:19], s[0:1]
	s_cbranch_execz .LBB264_251
; %bb.248:                              ;   in Loop: Header=BB264_195 Depth=1
	v_and_b32_e32 v10, 0x7f, v20
	v_cmp_ne_u32_e64 s[0:1], s26, v10
	v_mov_b32_e32 v16, 0x7fc02000
	s_and_saveexec_b64 s[20:21], s[0:1]
	s_cbranch_execz .LBB264_250
; %bb.249:                              ;   in Loop: Header=BB264_195 Depth=1
	v_and_b32_e32 v16, 7, v20
	v_ffbh_u32_e32 v16, v16
	v_min_u32_e32 v16, 32, v16
	v_subrev_u32_e32 v17, 28, v16
	v_cmp_gt_u32_e64 s[0:1], 8, v10
	v_lshrrev_b32_e32 v19, 3, v10
	v_sub_u32_e32 v39, 29, v16
	v_cndmask_b32_e64 v10, 0, v17, s[0:1]
	v_lshlrev_b64 v[16:17], v10, v[20:21]
	v_cndmask_b32_e64 v10, v19, v39, s[0:1]
	v_lshlrev_b32_e32 v17, 8, v20
	v_lshl_add_u32 v10, v10, 10, v25
	v_lshlrev_b32_e32 v16, 7, v16
	v_and_or_b32 v10, v17, s27, v10
	v_and_or_b32 v10, v16, s29, v10
	v_cvt_f32_f16_e32 v16, v10
.LBB264_250:                            ;   in Loop: Header=BB264_195 Depth=1
	s_or_b64 exec, exec, s[20:21]
.LBB264_251:                            ;   in Loop: Header=BB264_195 Depth=1
	s_or_b64 exec, exec, s[18:19]
.LBB264_252:                            ;   in Loop: Header=BB264_195 Depth=1
	s_or_b64 exec, exec, s[16:17]
	v_lshrrev_b16_e32 v10, 8, v20
	v_cmp_ne_u16_e64 s[0:1], 0, v10
	s_and_saveexec_b64 s[16:17], s[0:1]
	s_cbranch_execz .LBB264_258
; %bb.253:                              ;   in Loop: Header=BB264_195 Depth=1
	v_cmp_ne_u16_e64 s[0:1], s25, v10
	v_bfrev_b32_e32 v18, 1
	s_and_saveexec_b64 s[18:19], s[0:1]
	s_cbranch_execz .LBB264_257
; %bb.254:                              ;   in Loop: Header=BB264_195 Depth=1
	v_and_b32_e32 v17, 0x7f, v10
	v_cmp_ne_u32_e64 s[0:1], s26, v17
	v_mov_b32_e32 v18, 0x7fc02000
	s_and_saveexec_b64 s[20:21], s[0:1]
	s_cbranch_execz .LBB264_256
; %bb.255:                              ;   in Loop: Header=BB264_195 Depth=1
	v_and_b32_e32 v39, 7, v10
	v_ffbh_u32_e32 v18, v39
	v_min_u32_e32 v41, 32, v18
	v_subrev_u32_e32 v18, 28, v41
	v_lshlrev_b64 v[18:19], v18, v[10:11]
	v_lshrrev_b32_e32 v40, 3, v17
	v_sub_u32_e32 v19, 29, v41
	v_cmp_gt_u32_e64 s[0:1], 8, v17
	v_cndmask_b32_e64 v17, v40, v19, s[0:1]
	v_and_b32_e32 v18, 7, v18
	v_lshlrev_b32_e32 v10, 8, v10
	v_lshl_add_u32 v17, v17, 10, v25
	v_cndmask_b32_e64 v18, v39, v18, s[0:1]
	v_and_or_b32 v10, v10, s27, v17
	v_lshl_or_b32 v10, v18, 7, v10
	v_cvt_f32_f16_e32 v18, v10
.LBB264_256:                            ;   in Loop: Header=BB264_195 Depth=1
	s_or_b64 exec, exec, s[20:21]
.LBB264_257:                            ;   in Loop: Header=BB264_195 Depth=1
	s_or_b64 exec, exec, s[18:19]
.LBB264_258:                            ;   in Loop: Header=BB264_195 Depth=1
	s_or_b64 exec, exec, s[16:17]
	v_lshrrev_b32_e32 v10, 16, v20
	v_cmp_ne_u16_sdwa s[0:1], v10, v24 src0_sel:BYTE_0 src1_sel:DWORD
	v_mov_b32_e32 v19, 0
	v_mov_b32_e32 v17, 0
	s_and_saveexec_b64 s[16:17], s[0:1]
	s_cbranch_execz .LBB264_264
; %bb.259:                              ;   in Loop: Header=BB264_195 Depth=1
	v_cmp_ne_u16_sdwa s[0:1], v10, s25 src0_sel:BYTE_0 src1_sel:DWORD
	v_bfrev_b32_e32 v17, 1
	s_and_saveexec_b64 s[18:19], s[0:1]
	s_cbranch_execz .LBB264_263
; %bb.260:                              ;   in Loop: Header=BB264_195 Depth=1
	v_bfe_u32 v39, v20, 16, 7
	v_cmp_ne_u32_e64 s[0:1], s26, v39
	v_mov_b32_e32 v17, 0x7fc02000
	s_and_saveexec_b64 s[20:21], s[0:1]
	s_cbranch_execz .LBB264_262
; %bb.261:                              ;   in Loop: Header=BB264_195 Depth=1
	v_and_b32_e32 v17, 7, v10
	v_ffbh_u32_e32 v40, v17
	v_min_u32_e32 v43, 32, v40
	v_subrev_u32_e32 v40, 28, v43
	v_lshlrev_b64 v[40:41], v40, v[10:11]
	v_lshrrev_b32_e32 v42, 3, v39
	v_sub_u32_e32 v41, 29, v43
	v_cmp_gt_u32_e64 s[0:1], 8, v39
	v_cndmask_b32_e64 v39, v42, v41, s[0:1]
	v_and_b32_e32 v40, 7, v40
	v_lshlrev_b32_e32 v10, 8, v10
	v_lshl_add_u32 v39, v39, 10, v25
	v_cndmask_b32_e64 v17, v17, v40, s[0:1]
	v_and_or_b32 v10, v10, s27, v39
	v_lshl_or_b32 v10, v17, 7, v10
	v_cvt_f32_f16_e32 v17, v10
.LBB264_262:                            ;   in Loop: Header=BB264_195 Depth=1
	s_or_b64 exec, exec, s[20:21]
.LBB264_263:                            ;   in Loop: Header=BB264_195 Depth=1
	s_or_b64 exec, exec, s[18:19]
.LBB264_264:                            ;   in Loop: Header=BB264_195 Depth=1
	s_or_b64 exec, exec, s[16:17]
	v_cmp_lt_u32_e64 s[0:1], s7, v20
	s_and_saveexec_b64 s[16:17], s[0:1]
	s_cbranch_execz .LBB264_270
; %bb.265:                              ;   in Loop: Header=BB264_195 Depth=1
	v_lshrrev_b32_e32 v10, 24, v20
	v_cmp_ne_u32_e64 s[0:1], s25, v10
	v_bfrev_b32_e32 v19, 1
	s_and_saveexec_b64 s[18:19], s[0:1]
	s_cbranch_execz .LBB264_269
; %bb.266:                              ;   in Loop: Header=BB264_195 Depth=1
	v_and_b32_e32 v39, 0x7f, v10
	v_cmp_ne_u32_e64 s[0:1], s26, v39
	v_mov_b32_e32 v19, 0x7fc02000
	s_and_saveexec_b64 s[20:21], s[0:1]
	s_cbranch_execz .LBB264_268
; %bb.267:                              ;   in Loop: Header=BB264_195 Depth=1
	v_and_b32_e32 v19, 7, v10
	v_ffbh_u32_e32 v40, v19
	v_min_u32_e32 v43, 32, v40
	v_subrev_u32_e32 v40, 28, v43
	v_lshlrev_b64 v[40:41], v40, v[10:11]
	v_lshrrev_b32_e32 v42, 3, v39
	v_sub_u32_e32 v41, 29, v43
	v_cmp_gt_u32_e64 s[0:1], 8, v39
	v_cndmask_b32_e64 v39, v42, v41, s[0:1]
	v_and_b32_e32 v40, 7, v40
	v_lshlrev_b32_e32 v10, 8, v10
	v_lshl_add_u32 v39, v39, 10, v25
	v_cndmask_b32_e64 v19, v19, v40, s[0:1]
	v_and_or_b32 v10, v10, s27, v39
	v_lshl_or_b32 v10, v19, 7, v10
	v_cvt_f32_f16_e32 v19, v10
.LBB264_268:                            ;   in Loop: Header=BB264_195 Depth=1
	s_or_b64 exec, exec, s[20:21]
.LBB264_269:                            ;   in Loop: Header=BB264_195 Depth=1
	s_or_b64 exec, exec, s[18:19]
.LBB264_270:                            ;   in Loop: Header=BB264_195 Depth=1
	s_or_b64 exec, exec, s[16:17]
	v_mov_b32_e32 v10, v21
	v_cmp_ne_u16_sdwa s[0:1], v21, v24 src0_sel:BYTE_0 src1_sel:DWORD
	v_mov_b32_e32 v40, 0
	v_mov_b32_e32 v39, 0
	s_and_saveexec_b64 s[16:17], s[0:1]
	s_cbranch_execz .LBB264_276
; %bb.271:                              ;   in Loop: Header=BB264_195 Depth=1
	v_cmp_ne_u16_sdwa s[0:1], v21, s25 src0_sel:BYTE_0 src1_sel:DWORD
	v_bfrev_b32_e32 v39, 1
	s_and_saveexec_b64 s[18:19], s[0:1]
	s_cbranch_execz .LBB264_275
; %bb.272:                              ;   in Loop: Header=BB264_195 Depth=1
	v_and_b32_e32 v41, 0x7f, v21
	v_cmp_ne_u32_e64 s[0:1], s26, v41
	v_mov_b32_e32 v39, 0x7fc02000
	s_and_saveexec_b64 s[20:21], s[0:1]
	s_cbranch_execz .LBB264_274
; %bb.273:                              ;   in Loop: Header=BB264_195 Depth=1
	v_and_b32_e32 v39, 7, v21
	v_ffbh_u32_e32 v39, v39
	v_min_u32_e32 v39, 32, v39
	v_subrev_u32_e32 v42, 28, v39
	v_cmp_gt_u32_e64 s[0:1], 8, v41
	v_lshrrev_b32_e32 v44, 3, v41
	v_sub_u32_e32 v39, 29, v39
	v_cndmask_b32_e64 v41, 0, v42, s[0:1]
	v_lshlrev_b64 v[42:43], v41, v[10:11]
	v_cndmask_b32_e64 v39, v44, v39, s[0:1]
	v_lshlrev_b32_e32 v41, 7, v42
	v_lshlrev_b32_e32 v42, 8, v21
	v_lshl_add_u32 v39, v39, 10, v25
	v_and_or_b32 v39, v42, s27, v39
	v_and_or_b32 v39, v41, s29, v39
	v_cvt_f32_f16_e32 v39, v39
.LBB264_274:                            ;   in Loop: Header=BB264_195 Depth=1
	s_or_b64 exec, exec, s[20:21]
.LBB264_275:                            ;   in Loop: Header=BB264_195 Depth=1
	s_or_b64 exec, exec, s[18:19]
.LBB264_276:                            ;   in Loop: Header=BB264_195 Depth=1
	s_or_b64 exec, exec, s[16:17]
	v_lshrrev_b16_e32 v10, 8, v10
	v_cmp_ne_u16_e64 s[0:1], 0, v10
	s_and_saveexec_b64 s[16:17], s[0:1]
	s_cbranch_execz .LBB264_282
; %bb.277:                              ;   in Loop: Header=BB264_195 Depth=1
	v_cmp_ne_u16_e64 s[0:1], s25, v10
	v_bfrev_b32_e32 v40, 1
	s_and_saveexec_b64 s[18:19], s[0:1]
	s_cbranch_execz .LBB264_281
; %bb.278:                              ;   in Loop: Header=BB264_195 Depth=1
	v_and_b32_e32 v41, 0x7f, v10
	v_cmp_ne_u32_e64 s[0:1], s26, v41
	v_mov_b32_e32 v40, 0x7fc02000
	s_and_saveexec_b64 s[20:21], s[0:1]
	s_cbranch_execz .LBB264_280
; %bb.279:                              ;   in Loop: Header=BB264_195 Depth=1
	v_and_b32_e32 v40, 7, v10
	v_ffbh_u32_e32 v42, v40
	v_min_u32_e32 v45, 32, v42
	v_subrev_u32_e32 v42, 28, v45
	v_lshlrev_b64 v[42:43], v42, v[10:11]
	v_lshrrev_b32_e32 v44, 3, v41
	v_sub_u32_e32 v43, 29, v45
	v_cmp_gt_u32_e64 s[0:1], 8, v41
	v_cndmask_b32_e64 v41, v44, v43, s[0:1]
	v_and_b32_e32 v42, 7, v42
	v_lshlrev_b32_e32 v10, 8, v10
	v_lshl_add_u32 v41, v41, 10, v25
	v_cndmask_b32_e64 v40, v40, v42, s[0:1]
	v_and_or_b32 v10, v10, s27, v41
	v_lshl_or_b32 v10, v40, 7, v10
	v_cvt_f32_f16_e32 v40, v10
.LBB264_280:                            ;   in Loop: Header=BB264_195 Depth=1
	s_or_b64 exec, exec, s[20:21]
.LBB264_281:                            ;   in Loop: Header=BB264_195 Depth=1
	s_or_b64 exec, exec, s[18:19]
.LBB264_282:                            ;   in Loop: Header=BB264_195 Depth=1
	s_or_b64 exec, exec, s[16:17]
	v_lshrrev_b32_e32 v10, 16, v21
	v_cmp_ne_u16_sdwa s[0:1], v10, v24 src0_sel:BYTE_0 src1_sel:DWORD
	v_mov_b32_e32 v41, 0
	v_mov_b32_e32 v42, 0
	s_and_saveexec_b64 s[16:17], s[0:1]
	s_cbranch_execz .LBB264_288
; %bb.283:                              ;   in Loop: Header=BB264_195 Depth=1
	v_cmp_ne_u16_sdwa s[0:1], v10, s25 src0_sel:BYTE_0 src1_sel:DWORD
	v_bfrev_b32_e32 v42, 1
	s_and_saveexec_b64 s[18:19], s[0:1]
	s_cbranch_execz .LBB264_287
; %bb.284:                              ;   in Loop: Header=BB264_195 Depth=1
	v_bfe_u32 v43, v21, 16, 7
	v_cmp_ne_u32_e64 s[0:1], s26, v43
	v_mov_b32_e32 v42, 0x7fc02000
	s_and_saveexec_b64 s[20:21], s[0:1]
	s_cbranch_execz .LBB264_286
; %bb.285:                              ;   in Loop: Header=BB264_195 Depth=1
	v_and_b32_e32 v42, 7, v10
	v_ffbh_u32_e32 v44, v42
	v_min_u32_e32 v47, 32, v44
	v_subrev_u32_e32 v44, 28, v47
	v_lshlrev_b64 v[44:45], v44, v[10:11]
	v_lshrrev_b32_e32 v46, 3, v43
	v_sub_u32_e32 v45, 29, v47
	v_cmp_gt_u32_e64 s[0:1], 8, v43
	v_cndmask_b32_e64 v43, v46, v45, s[0:1]
	v_and_b32_e32 v44, 7, v44
	v_lshlrev_b32_e32 v10, 8, v10
	v_lshl_add_u32 v43, v43, 10, v25
	v_cndmask_b32_e64 v42, v42, v44, s[0:1]
	v_and_or_b32 v10, v10, s27, v43
	v_lshl_or_b32 v10, v42, 7, v10
	v_cvt_f32_f16_e32 v42, v10
.LBB264_286:                            ;   in Loop: Header=BB264_195 Depth=1
	s_or_b64 exec, exec, s[20:21]
.LBB264_287:                            ;   in Loop: Header=BB264_195 Depth=1
	s_or_b64 exec, exec, s[18:19]
.LBB264_288:                            ;   in Loop: Header=BB264_195 Depth=1
	s_or_b64 exec, exec, s[16:17]
	v_cmp_lt_u64_e64 s[0:1], s[6:7], v[20:21]
	s_and_saveexec_b64 s[16:17], s[0:1]
	s_cbranch_execz .LBB264_294
; %bb.289:                              ;   in Loop: Header=BB264_195 Depth=1
	v_lshrrev_b32_e32 v10, 24, v21
	v_cmp_ne_u32_e64 s[0:1], s25, v10
	v_bfrev_b32_e32 v41, 1
	s_and_saveexec_b64 s[18:19], s[0:1]
	s_cbranch_execz .LBB264_293
; %bb.290:                              ;   in Loop: Header=BB264_195 Depth=1
	v_and_b32_e32 v20, 0x7f, v10
	v_cmp_ne_u32_e64 s[0:1], s26, v20
	v_mov_b32_e32 v41, 0x7fc02000
	s_and_saveexec_b64 s[20:21], s[0:1]
	s_cbranch_execz .LBB264_292
; %bb.291:                              ;   in Loop: Header=BB264_195 Depth=1
	v_and_b32_e32 v21, 7, v10
	v_ffbh_u32_e32 v43, v21
	v_min_u32_e32 v43, 32, v43
	v_lshrrev_b32_e32 v41, 3, v20
	v_subrev_u32_e32 v44, 28, v43
	v_sub_u32_e32 v43, 29, v43
	v_cmp_gt_u32_e64 s[0:1], 8, v20
	v_lshlrev_b64 v[44:45], v44, v[10:11]
	v_cndmask_b32_e64 v20, v41, v43, s[0:1]
	v_and_b32_e32 v44, 7, v44
	v_lshlrev_b32_e32 v10, 8, v10
	v_lshl_add_u32 v20, v20, 10, v25
	v_cndmask_b32_e64 v21, v21, v44, s[0:1]
	v_and_or_b32 v10, v10, s27, v20
	v_lshl_or_b32 v10, v21, 7, v10
	v_cvt_f32_f16_e32 v41, v10
.LBB264_292:                            ;   in Loop: Header=BB264_195 Depth=1
	s_or_b64 exec, exec, s[20:21]
.LBB264_293:                            ;   in Loop: Header=BB264_195 Depth=1
	s_or_b64 exec, exec, s[18:19]
.LBB264_294:                            ;   in Loop: Header=BB264_195 Depth=1
	s_or_b64 exec, exec, s[16:17]
	s_waitcnt vmcnt(0)
	v_pk_mul_f32 v[18:19], v[14:15], v[18:19] op_sel_hi:[0,1]
	v_pk_mul_f32 v[16:17], v[14:15], v[16:17] op_sel_hi:[0,1]
	v_cvt_f16_f32_e32 v10, v19
	v_cvt_f16_f32_e32 v18, v18
	;; [unrolled: 1-line block ×4, first 2 shown]
	v_pack_b32_f16 v18, v18, v10
	v_pack_b32_f16 v16, v16, v17
	v_fma_mixlo_f16 v17, v14, v40, 0
	v_perm_b32 v10, v16, v18, s30
	v_perm_b32 v16, v16, v18, s38
	v_lshlrev_b32_e32 v17, 16, v17
	v_fma_mixlo_f16 v18, v14, v39, 0
	v_or_b32_sdwa v17, v17, v18 dst_sel:DWORD dst_unused:UNUSED_PAD src0_sel:DWORD src1_sel:WORD_0
	v_fma_mixlo_f16 v18, v14, v42, 0
	v_fma_mixlo_f16 v14, v14, v41, 0
	v_lshlrev_b32_e32 v14, 16, v14
	v_or_b32_sdwa v14, v14, v18 dst_sel:DWORD dst_unused:UNUSED_PAD src0_sel:DWORD src1_sel:WORD_0
	s_and_saveexec_b64 s[16:17], vcc
	s_cbranch_execz .LBB264_296
; %bb.295:                              ;   in Loop: Header=BB264_195 Depth=1
	v_lshrrev_b32_e32 v19, 16, v16
	v_cmp_gt_i32_e64 s[0:1], s23, v32
	v_cndmask_b32_e64 v19, 0, v19, s[0:1]
	v_cmp_gt_i32_e64 s[0:1], s39, v1
	v_cndmask_b32_e64 v16, 0, v16, s[0:1]
	v_perm_b32 v16, v19, v16, s40
	v_lshrrev_b32_e32 v19, 16, v10
	v_cmp_gt_i32_e64 s[0:1], s23, v31
	v_cndmask_b32_e64 v19, 0, v19, s[0:1]
	v_cmp_gt_i32_e64 s[0:1], s39, v30
	v_cndmask_b32_e64 v10, 0, v10, s[0:1]
	v_perm_b32 v10, v19, v10, s40
	v_lshrrev_b32_e32 v19, 16, v17
	v_cmp_gt_i32_e64 s[0:1], s23, v29
	v_cndmask_b32_e64 v19, 0, v19, s[0:1]
	v_cmp_gt_i32_e64 s[0:1], s39, v28
	v_cndmask_b32_e64 v17, 0, v17, s[0:1]
	v_lshrrev_b32_e32 v14, 16, v14
	v_cmp_gt_i32_e64 s[0:1], s23, v27
	v_cndmask_b32_e64 v14, 0, v14, s[0:1]
	v_cmp_gt_i32_e64 s[0:1], s39, v26
	v_cndmask_b32_e64 v18, 0, v18, s[0:1]
	v_perm_b32 v17, v19, v17, s40
	v_perm_b32 v14, v14, v18, s40
.LBB264_296:                            ;   in Loop: Header=BB264_195 Depth=1
	s_or_b64 exec, exec, s[16:17]
	;;#ASMSTART
	v_pk_mul_f16 v16, v36, v16;

	;;#ASMEND
	;;#ASMSTART
	v_pk_mul_f16 v10, v35, v10;

	;;#ASMEND
	;; [unrolled: 4-line block ×4, first 2 shown]
	;;#ASMSTART
	v_pk_add_f16 v10, v16, v10;

	;;#ASMEND
	;;#ASMSTART
	v_pk_add_f16 v10, v10, v17;

	;;#ASMEND
	;;#ASMSTART
	v_pk_add_f16 v10, v10, v14;

	;;#ASMEND
	v_lshrrev_b32_e32 v14, 16, v10
	v_and_b32_e32 v10, 0xffff, v10
	;;#ASMSTART
	v_cvt_f32_f16 v20, v10;
	;;#ASMEND
	;;#ASMSTART
	v_cvt_f32_f16 v21, v14;
	;;#ASMEND
	global_load_dwordx2 v[18:19], v[12:13], off offset:1024
	global_load_dword v14, v11, s[14:15]
	v_mov_b32_e32 v16, 0
	v_mov_b32_e32 v12, 0
	s_waitcnt vmcnt(1)
	v_cmp_ne_u16_sdwa s[0:1], v18, v24 src0_sel:BYTE_0 src1_sel:DWORD
	s_and_saveexec_b64 s[16:17], s[0:1]
	s_cbranch_execz .LBB264_302
; %bb.297:                              ;   in Loop: Header=BB264_195 Depth=1
	v_cmp_ne_u16_sdwa s[0:1], v18, s25 src0_sel:BYTE_0 src1_sel:DWORD
	v_bfrev_b32_e32 v12, 1
	s_and_saveexec_b64 s[18:19], s[0:1]
	s_cbranch_execz .LBB264_301
; %bb.298:                              ;   in Loop: Header=BB264_195 Depth=1
	v_and_b32_e32 v10, 0x7f, v18
	v_cmp_ne_u32_e64 s[0:1], s26, v10
	v_mov_b32_e32 v12, 0x7fc02000
	s_and_saveexec_b64 s[20:21], s[0:1]
	s_cbranch_execz .LBB264_300
; %bb.299:                              ;   in Loop: Header=BB264_195 Depth=1
	v_and_b32_e32 v12, 7, v18
	v_ffbh_u32_e32 v12, v12
	v_min_u32_e32 v12, 32, v12
	v_subrev_u32_e32 v13, 28, v12
	v_cmp_gt_u32_e64 s[0:1], 8, v10
	v_lshrrev_b32_e32 v17, 3, v10
	v_sub_u32_e32 v39, 29, v12
	v_cndmask_b32_e64 v10, 0, v13, s[0:1]
	v_lshlrev_b64 v[12:13], v10, v[18:19]
	v_cndmask_b32_e64 v10, v17, v39, s[0:1]
	v_lshlrev_b32_e32 v13, 8, v18
	v_lshl_add_u32 v10, v10, 10, v25
	v_lshlrev_b32_e32 v12, 7, v12
	v_and_or_b32 v10, v13, s27, v10
	v_and_or_b32 v10, v12, s29, v10
	v_cvt_f32_f16_e32 v12, v10
.LBB264_300:                            ;   in Loop: Header=BB264_195 Depth=1
	s_or_b64 exec, exec, s[20:21]
.LBB264_301:                            ;   in Loop: Header=BB264_195 Depth=1
	s_or_b64 exec, exec, s[18:19]
.LBB264_302:                            ;   in Loop: Header=BB264_195 Depth=1
	s_or_b64 exec, exec, s[16:17]
	v_lshrrev_b16_e32 v10, 8, v18
	v_cmp_ne_u16_e64 s[0:1], 0, v10
	s_and_saveexec_b64 s[16:17], s[0:1]
	s_cbranch_execz .LBB264_308
; %bb.303:                              ;   in Loop: Header=BB264_195 Depth=1
	v_cmp_ne_u16_e64 s[0:1], s25, v10
	v_bfrev_b32_e32 v16, 1
	s_and_saveexec_b64 s[18:19], s[0:1]
	s_cbranch_execz .LBB264_307
; %bb.304:                              ;   in Loop: Header=BB264_195 Depth=1
	v_and_b32_e32 v13, 0x7f, v10
	v_cmp_ne_u32_e64 s[0:1], s26, v13
	v_mov_b32_e32 v16, 0x7fc02000
	s_and_saveexec_b64 s[20:21], s[0:1]
	s_cbranch_execz .LBB264_306
; %bb.305:                              ;   in Loop: Header=BB264_195 Depth=1
	v_and_b32_e32 v39, 7, v10
	v_ffbh_u32_e32 v16, v39
	v_min_u32_e32 v41, 32, v16
	v_subrev_u32_e32 v16, 28, v41
	v_lshlrev_b64 v[16:17], v16, v[10:11]
	v_lshrrev_b32_e32 v40, 3, v13
	v_sub_u32_e32 v17, 29, v41
	v_cmp_gt_u32_e64 s[0:1], 8, v13
	v_cndmask_b32_e64 v13, v40, v17, s[0:1]
	v_and_b32_e32 v16, 7, v16
	v_lshlrev_b32_e32 v10, 8, v10
	v_lshl_add_u32 v13, v13, 10, v25
	v_cndmask_b32_e64 v16, v39, v16, s[0:1]
	v_and_or_b32 v10, v10, s27, v13
	v_lshl_or_b32 v10, v16, 7, v10
	v_cvt_f32_f16_e32 v16, v10
.LBB264_306:                            ;   in Loop: Header=BB264_195 Depth=1
	s_or_b64 exec, exec, s[20:21]
.LBB264_307:                            ;   in Loop: Header=BB264_195 Depth=1
	s_or_b64 exec, exec, s[18:19]
.LBB264_308:                            ;   in Loop: Header=BB264_195 Depth=1
	s_or_b64 exec, exec, s[16:17]
	v_lshrrev_b32_e32 v10, 16, v18
	v_cmp_ne_u16_sdwa s[0:1], v10, v24 src0_sel:BYTE_0 src1_sel:DWORD
	v_mov_b32_e32 v17, 0
	v_mov_b32_e32 v13, 0
	s_and_saveexec_b64 s[16:17], s[0:1]
	s_cbranch_execz .LBB264_314
; %bb.309:                              ;   in Loop: Header=BB264_195 Depth=1
	v_cmp_ne_u16_sdwa s[0:1], v10, s25 src0_sel:BYTE_0 src1_sel:DWORD
	v_bfrev_b32_e32 v13, 1
	s_and_saveexec_b64 s[18:19], s[0:1]
	s_cbranch_execz .LBB264_313
; %bb.310:                              ;   in Loop: Header=BB264_195 Depth=1
	v_bfe_u32 v39, v18, 16, 7
	v_cmp_ne_u32_e64 s[0:1], s26, v39
	v_mov_b32_e32 v13, 0x7fc02000
	s_and_saveexec_b64 s[20:21], s[0:1]
	s_cbranch_execz .LBB264_312
; %bb.311:                              ;   in Loop: Header=BB264_195 Depth=1
	v_and_b32_e32 v13, 7, v10
	v_ffbh_u32_e32 v40, v13
	v_min_u32_e32 v43, 32, v40
	v_subrev_u32_e32 v40, 28, v43
	v_lshlrev_b64 v[40:41], v40, v[10:11]
	v_lshrrev_b32_e32 v42, 3, v39
	v_sub_u32_e32 v41, 29, v43
	v_cmp_gt_u32_e64 s[0:1], 8, v39
	v_cndmask_b32_e64 v39, v42, v41, s[0:1]
	v_and_b32_e32 v40, 7, v40
	v_lshlrev_b32_e32 v10, 8, v10
	v_lshl_add_u32 v39, v39, 10, v25
	v_cndmask_b32_e64 v13, v13, v40, s[0:1]
	v_and_or_b32 v10, v10, s27, v39
	v_lshl_or_b32 v10, v13, 7, v10
	v_cvt_f32_f16_e32 v13, v10
.LBB264_312:                            ;   in Loop: Header=BB264_195 Depth=1
	s_or_b64 exec, exec, s[20:21]
.LBB264_313:                            ;   in Loop: Header=BB264_195 Depth=1
	s_or_b64 exec, exec, s[18:19]
.LBB264_314:                            ;   in Loop: Header=BB264_195 Depth=1
	s_or_b64 exec, exec, s[16:17]
	v_cmp_lt_u32_e64 s[0:1], s7, v18
	s_and_saveexec_b64 s[16:17], s[0:1]
	s_cbranch_execz .LBB264_320
; %bb.315:                              ;   in Loop: Header=BB264_195 Depth=1
	v_lshrrev_b32_e32 v10, 24, v18
	v_cmp_ne_u32_e64 s[0:1], s25, v10
	v_bfrev_b32_e32 v17, 1
	s_and_saveexec_b64 s[18:19], s[0:1]
	s_cbranch_execz .LBB264_319
; %bb.316:                              ;   in Loop: Header=BB264_195 Depth=1
	v_and_b32_e32 v39, 0x7f, v10
	v_cmp_ne_u32_e64 s[0:1], s26, v39
	v_mov_b32_e32 v17, 0x7fc02000
	s_and_saveexec_b64 s[20:21], s[0:1]
	s_cbranch_execz .LBB264_318
; %bb.317:                              ;   in Loop: Header=BB264_195 Depth=1
	v_and_b32_e32 v17, 7, v10
	v_ffbh_u32_e32 v40, v17
	v_min_u32_e32 v43, 32, v40
	v_subrev_u32_e32 v40, 28, v43
	v_lshlrev_b64 v[40:41], v40, v[10:11]
	v_lshrrev_b32_e32 v42, 3, v39
	v_sub_u32_e32 v41, 29, v43
	v_cmp_gt_u32_e64 s[0:1], 8, v39
	v_cndmask_b32_e64 v39, v42, v41, s[0:1]
	v_and_b32_e32 v40, 7, v40
	v_lshlrev_b32_e32 v10, 8, v10
	v_lshl_add_u32 v39, v39, 10, v25
	v_cndmask_b32_e64 v17, v17, v40, s[0:1]
	v_and_or_b32 v10, v10, s27, v39
	v_lshl_or_b32 v10, v17, 7, v10
	v_cvt_f32_f16_e32 v17, v10
.LBB264_318:                            ;   in Loop: Header=BB264_195 Depth=1
	s_or_b64 exec, exec, s[20:21]
.LBB264_319:                            ;   in Loop: Header=BB264_195 Depth=1
	s_or_b64 exec, exec, s[18:19]
.LBB264_320:                            ;   in Loop: Header=BB264_195 Depth=1
	s_or_b64 exec, exec, s[16:17]
	v_mov_b32_e32 v10, v19
	v_cmp_ne_u16_sdwa s[0:1], v19, v24 src0_sel:BYTE_0 src1_sel:DWORD
	v_mov_b32_e32 v40, 0
	v_mov_b32_e32 v39, 0
	s_and_saveexec_b64 s[16:17], s[0:1]
	s_cbranch_execz .LBB264_326
; %bb.321:                              ;   in Loop: Header=BB264_195 Depth=1
	v_cmp_ne_u16_sdwa s[0:1], v19, s25 src0_sel:BYTE_0 src1_sel:DWORD
	v_bfrev_b32_e32 v39, 1
	s_and_saveexec_b64 s[18:19], s[0:1]
	s_cbranch_execz .LBB264_325
; %bb.322:                              ;   in Loop: Header=BB264_195 Depth=1
	v_and_b32_e32 v41, 0x7f, v19
	v_cmp_ne_u32_e64 s[0:1], s26, v41
	v_mov_b32_e32 v39, 0x7fc02000
	s_and_saveexec_b64 s[20:21], s[0:1]
	s_cbranch_execz .LBB264_324
; %bb.323:                              ;   in Loop: Header=BB264_195 Depth=1
	v_and_b32_e32 v39, 7, v19
	v_ffbh_u32_e32 v39, v39
	v_min_u32_e32 v39, 32, v39
	v_subrev_u32_e32 v42, 28, v39
	v_cmp_gt_u32_e64 s[0:1], 8, v41
	v_lshrrev_b32_e32 v44, 3, v41
	v_sub_u32_e32 v39, 29, v39
	v_cndmask_b32_e64 v41, 0, v42, s[0:1]
	v_lshlrev_b64 v[42:43], v41, v[10:11]
	v_cndmask_b32_e64 v39, v44, v39, s[0:1]
	v_lshlrev_b32_e32 v41, 7, v42
	v_lshlrev_b32_e32 v42, 8, v19
	v_lshl_add_u32 v39, v39, 10, v25
	v_and_or_b32 v39, v42, s27, v39
	v_and_or_b32 v39, v41, s29, v39
	v_cvt_f32_f16_e32 v39, v39
.LBB264_324:                            ;   in Loop: Header=BB264_195 Depth=1
	s_or_b64 exec, exec, s[20:21]
.LBB264_325:                            ;   in Loop: Header=BB264_195 Depth=1
	s_or_b64 exec, exec, s[18:19]
.LBB264_326:                            ;   in Loop: Header=BB264_195 Depth=1
	s_or_b64 exec, exec, s[16:17]
	v_lshrrev_b16_e32 v10, 8, v10
	v_cmp_ne_u16_e64 s[0:1], 0, v10
	s_and_saveexec_b64 s[16:17], s[0:1]
	s_cbranch_execz .LBB264_332
; %bb.327:                              ;   in Loop: Header=BB264_195 Depth=1
	v_cmp_ne_u16_e64 s[0:1], s25, v10
	v_bfrev_b32_e32 v40, 1
	s_and_saveexec_b64 s[18:19], s[0:1]
	s_cbranch_execz .LBB264_331
; %bb.328:                              ;   in Loop: Header=BB264_195 Depth=1
	v_and_b32_e32 v41, 0x7f, v10
	v_cmp_ne_u32_e64 s[0:1], s26, v41
	v_mov_b32_e32 v40, 0x7fc02000
	s_and_saveexec_b64 s[20:21], s[0:1]
	s_cbranch_execz .LBB264_330
; %bb.329:                              ;   in Loop: Header=BB264_195 Depth=1
	v_and_b32_e32 v40, 7, v10
	v_ffbh_u32_e32 v42, v40
	v_min_u32_e32 v45, 32, v42
	v_subrev_u32_e32 v42, 28, v45
	v_lshlrev_b64 v[42:43], v42, v[10:11]
	v_lshrrev_b32_e32 v44, 3, v41
	v_sub_u32_e32 v43, 29, v45
	v_cmp_gt_u32_e64 s[0:1], 8, v41
	v_cndmask_b32_e64 v41, v44, v43, s[0:1]
	v_and_b32_e32 v42, 7, v42
	v_lshlrev_b32_e32 v10, 8, v10
	v_lshl_add_u32 v41, v41, 10, v25
	v_cndmask_b32_e64 v40, v40, v42, s[0:1]
	v_and_or_b32 v10, v10, s27, v41
	v_lshl_or_b32 v10, v40, 7, v10
	v_cvt_f32_f16_e32 v40, v10
.LBB264_330:                            ;   in Loop: Header=BB264_195 Depth=1
	s_or_b64 exec, exec, s[20:21]
.LBB264_331:                            ;   in Loop: Header=BB264_195 Depth=1
	s_or_b64 exec, exec, s[18:19]
.LBB264_332:                            ;   in Loop: Header=BB264_195 Depth=1
	s_or_b64 exec, exec, s[16:17]
	v_lshrrev_b32_e32 v10, 16, v19
	v_cmp_ne_u16_sdwa s[0:1], v10, v24 src0_sel:BYTE_0 src1_sel:DWORD
	v_mov_b32_e32 v41, 0
	v_mov_b32_e32 v42, 0
	s_and_saveexec_b64 s[16:17], s[0:1]
	s_cbranch_execz .LBB264_338
; %bb.333:                              ;   in Loop: Header=BB264_195 Depth=1
	v_cmp_ne_u16_sdwa s[0:1], v10, s25 src0_sel:BYTE_0 src1_sel:DWORD
	v_bfrev_b32_e32 v42, 1
	s_and_saveexec_b64 s[18:19], s[0:1]
	s_cbranch_execz .LBB264_337
; %bb.334:                              ;   in Loop: Header=BB264_195 Depth=1
	v_bfe_u32 v43, v19, 16, 7
	v_cmp_ne_u32_e64 s[0:1], s26, v43
	v_mov_b32_e32 v42, 0x7fc02000
	s_and_saveexec_b64 s[20:21], s[0:1]
	s_cbranch_execz .LBB264_336
; %bb.335:                              ;   in Loop: Header=BB264_195 Depth=1
	v_and_b32_e32 v42, 7, v10
	v_ffbh_u32_e32 v44, v42
	v_min_u32_e32 v47, 32, v44
	v_subrev_u32_e32 v44, 28, v47
	v_lshlrev_b64 v[44:45], v44, v[10:11]
	v_lshrrev_b32_e32 v46, 3, v43
	v_sub_u32_e32 v45, 29, v47
	v_cmp_gt_u32_e64 s[0:1], 8, v43
	v_cndmask_b32_e64 v43, v46, v45, s[0:1]
	v_and_b32_e32 v44, 7, v44
	v_lshlrev_b32_e32 v10, 8, v10
	v_lshl_add_u32 v43, v43, 10, v25
	v_cndmask_b32_e64 v42, v42, v44, s[0:1]
	v_and_or_b32 v10, v10, s27, v43
	v_lshl_or_b32 v10, v42, 7, v10
	v_cvt_f32_f16_e32 v42, v10
.LBB264_336:                            ;   in Loop: Header=BB264_195 Depth=1
	s_or_b64 exec, exec, s[20:21]
.LBB264_337:                            ;   in Loop: Header=BB264_195 Depth=1
	s_or_b64 exec, exec, s[18:19]
.LBB264_338:                            ;   in Loop: Header=BB264_195 Depth=1
	s_or_b64 exec, exec, s[16:17]
	v_cmp_lt_u64_e64 s[0:1], s[6:7], v[18:19]
	s_and_saveexec_b64 s[16:17], s[0:1]
	s_cbranch_execz .LBB264_344
; %bb.339:                              ;   in Loop: Header=BB264_195 Depth=1
	v_lshrrev_b32_e32 v10, 24, v19
	v_cmp_ne_u32_e64 s[0:1], s25, v10
	v_bfrev_b32_e32 v41, 1
	s_and_saveexec_b64 s[18:19], s[0:1]
	s_cbranch_execz .LBB264_343
; %bb.340:                              ;   in Loop: Header=BB264_195 Depth=1
	v_and_b32_e32 v18, 0x7f, v10
	v_cmp_ne_u32_e64 s[0:1], s26, v18
	v_mov_b32_e32 v41, 0x7fc02000
	s_and_saveexec_b64 s[20:21], s[0:1]
	s_cbranch_execz .LBB264_342
; %bb.341:                              ;   in Loop: Header=BB264_195 Depth=1
	v_and_b32_e32 v19, 7, v10
	v_ffbh_u32_e32 v43, v19
	v_min_u32_e32 v43, 32, v43
	v_lshrrev_b32_e32 v41, 3, v18
	v_subrev_u32_e32 v44, 28, v43
	v_sub_u32_e32 v43, 29, v43
	v_cmp_gt_u32_e64 s[0:1], 8, v18
	v_lshlrev_b64 v[44:45], v44, v[10:11]
	v_cndmask_b32_e64 v18, v41, v43, s[0:1]
	v_and_b32_e32 v44, 7, v44
	v_lshlrev_b32_e32 v10, 8, v10
	v_lshl_add_u32 v18, v18, 10, v25
	v_cndmask_b32_e64 v19, v19, v44, s[0:1]
	v_and_or_b32 v10, v10, s27, v18
	v_lshl_or_b32 v10, v19, 7, v10
	v_cvt_f32_f16_e32 v41, v10
.LBB264_342:                            ;   in Loop: Header=BB264_195 Depth=1
	s_or_b64 exec, exec, s[20:21]
.LBB264_343:                            ;   in Loop: Header=BB264_195 Depth=1
	s_or_b64 exec, exec, s[18:19]
.LBB264_344:                            ;   in Loop: Header=BB264_195 Depth=1
	s_or_b64 exec, exec, s[16:17]
	s_waitcnt vmcnt(0)
	v_pk_mul_f32 v[16:17], v[14:15], v[16:17] op_sel_hi:[0,1]
	v_pk_mul_f32 v[12:13], v[14:15], v[12:13] op_sel_hi:[0,1]
	v_cvt_f16_f32_e32 v10, v17
	v_cvt_f16_f32_e32 v16, v16
	;; [unrolled: 1-line block ×4, first 2 shown]
	v_pack_b32_f16 v16, v16, v10
	v_pack_b32_f16 v12, v12, v13
	v_perm_b32 v10, v12, v16, s30
	v_perm_b32 v13, v12, v16, s38
	v_fma_mixlo_f16 v12, v14, v40, 0
	v_lshlrev_b32_e32 v12, 16, v12
	v_fma_mixlo_f16 v16, v14, v39, 0
	v_or_b32_sdwa v12, v12, v16 dst_sel:DWORD dst_unused:UNUSED_PAD src0_sel:DWORD src1_sel:WORD_0
	v_fma_mixlo_f16 v16, v14, v42, 0
	v_fma_mixlo_f16 v14, v14, v41, 0
	v_lshlrev_b32_e32 v14, 16, v14
	v_or_b32_sdwa v14, v14, v16 dst_sel:DWORD dst_unused:UNUSED_PAD src0_sel:DWORD src1_sel:WORD_0
	s_and_saveexec_b64 s[0:1], vcc
	s_cbranch_execz .LBB264_193
; %bb.345:                              ;   in Loop: Header=BB264_195 Depth=1
	v_lshrrev_b32_e32 v17, 16, v13
	v_cmp_gt_i32_e32 vcc, s23, v32
	v_cndmask_b32_e32 v17, 0, v17, vcc
	v_cmp_gt_i32_e32 vcc, s39, v1
	v_cndmask_b32_e32 v13, 0, v13, vcc
	v_perm_b32 v13, v17, v13, s40
	v_lshrrev_b32_e32 v17, 16, v10
	v_cmp_gt_i32_e32 vcc, s23, v31
	v_cndmask_b32_e32 v17, 0, v17, vcc
	v_cmp_gt_i32_e32 vcc, s39, v30
	v_cndmask_b32_e32 v10, 0, v10, vcc
	v_perm_b32 v10, v17, v10, s40
	v_lshrrev_b32_e32 v17, 16, v12
	v_cmp_gt_i32_e32 vcc, s23, v29
	v_cndmask_b32_e32 v17, 0, v17, vcc
	v_cmp_gt_i32_e32 vcc, s39, v28
	v_cndmask_b32_e32 v12, 0, v12, vcc
	v_lshrrev_b32_e32 v14, 16, v14
	v_cmp_gt_i32_e32 vcc, s23, v27
	v_cndmask_b32_e32 v14, 0, v14, vcc
	v_cmp_gt_i32_e32 vcc, s39, v26
	v_cndmask_b32_e32 v16, 0, v16, vcc
	v_perm_b32 v12, v17, v12, s40
	v_perm_b32 v14, v14, v16, s40
	s_branch .LBB264_193
.LBB264_346:
	s_or_b64 exec, exec, s[10:11]
.LBB264_347:
	s_or_b64 exec, exec, s[4:5]
	v_and_b32_e32 v1, 0x3c0, v0
	v_cmp_eq_u32_e32 vcc, 64, v1
	s_barrier
	s_and_saveexec_b64 s[0:1], vcc
	s_cbranch_execz .LBB264_349
; %bb.348:
	v_mov_b32_e32 v1, 0x190
	v_lshl_add_u32 v2, v15, 2, v1
	v_lshl_add_u32 v1, v0, 2, v1
	ds_write_b32 v2, v4
	ds_write_b32 v1, v5
	ds_write_b32 v2, v22 offset:512
.LBB264_349:
	s_or_b64 exec, exec, s[0:1]
	v_cmp_gt_u32_e32 vcc, 64, v0
	s_waitcnt lgkmcnt(0)
	s_barrier
	s_and_saveexec_b64 s[0:1], vcc
	s_cbranch_execz .LBB264_351
; %bb.350:
	v_mov_b32_e32 v1, 0x190
	v_lshl_add_u32 v1, v0, 2, v1
	ds_read2st64_b32 v[2:3], v1 offset1:1
	ds_read_b32 v1, v1 offset:512
	s_waitcnt lgkmcnt(1)
	v_pk_add_f32 v[4:5], v[4:5], v[2:3]
	s_waitcnt lgkmcnt(0)
	v_add_f32_e32 v22, v22, v1
.LBB264_351:
	s_or_b64 exec, exec, s[0:1]
	s_barrier
	s_and_saveexec_b64 s[0:1], vcc
	s_cbranch_execz .LBB264_353
; %bb.352:
	s_mul_i32 s0, s2, 0xc0
	s_ashr_i32 s1, s0, 31
	s_lshl_b64 s[0:1], s[0:1], 1
	s_add_u32 s2, s34, s0
	s_mul_i32 s0, s33, s36
	s_addc_u32 s3, s35, s1
	s_ashr_i32 s1, s0, 31
	s_lshl_b64 s[0:1], s[0:1], 1
	s_add_u32 s2, s2, s0
	s_mul_i32 s0, s8, 0xc0
	s_addc_u32 s3, s3, s1
	s_ashr_i32 s1, s0, 31
	s_lshl_b64 s[0:1], s[0:1], 1
	s_add_u32 s0, s2, s0
	s_addc_u32 s1, s3, s1
	v_lshlrev_b32_e32 v0, 1, v0
	;;#ASMSTART
	v_cvt_f16_f32 v1, v4;

	;;#ASMEND
	global_store_short v0, v1, s[0:1]
	;;#ASMSTART
	v_cvt_f16_f32 v1, v5;

	;;#ASMEND
	global_store_short v0, v1, s[0:1] offset:128
	;;#ASMSTART
	v_cvt_f16_f32 v1, v22;

	;;#ASMEND
	global_store_short v0, v1, s[0:1] offset:256
.LBB264_353:
	s_endpgm
	.section	.rodata,"a",@progbits
	.p2align	6, 0x0
	.amdhsa_kernel _ZN4vllm25paged_attention_v2_kernelIthLi192ELi8ELi128ELNS_18Fp8KVCacheDataTypeE1ELb1ELi512EEEvPfS2_PT_PKS3_PKT0_S9_ifPKiSB_iPKfiiiSD_SD_iiiii
		.amdhsa_group_segment_fixed_size 400
		.amdhsa_private_segment_fixed_size 0
		.amdhsa_kernarg_size 400
		.amdhsa_user_sgpr_count 6
		.amdhsa_user_sgpr_private_segment_buffer 1
		.amdhsa_user_sgpr_dispatch_ptr 0
		.amdhsa_user_sgpr_queue_ptr 0
		.amdhsa_user_sgpr_kernarg_segment_ptr 1
		.amdhsa_user_sgpr_dispatch_id 0
		.amdhsa_user_sgpr_flat_scratch_init 0
		.amdhsa_user_sgpr_kernarg_preload_length 0
		.amdhsa_user_sgpr_kernarg_preload_offset 0
		.amdhsa_user_sgpr_private_segment_size 0
		.amdhsa_uses_dynamic_stack 0
		.amdhsa_system_sgpr_private_segment_wavefront_offset 0
		.amdhsa_system_sgpr_workgroup_id_x 1
		.amdhsa_system_sgpr_workgroup_id_y 1
		.amdhsa_system_sgpr_workgroup_id_z 1
		.amdhsa_system_sgpr_workgroup_info 0
		.amdhsa_system_vgpr_workitem_id 0
		.amdhsa_next_free_vgpr 67
		.amdhsa_next_free_sgpr 62
		.amdhsa_accum_offset 68
		.amdhsa_reserve_vcc 1
		.amdhsa_reserve_flat_scratch 0
		.amdhsa_float_round_mode_32 0
		.amdhsa_float_round_mode_16_64 0
		.amdhsa_float_denorm_mode_32 3
		.amdhsa_float_denorm_mode_16_64 3
		.amdhsa_dx10_clamp 1
		.amdhsa_ieee_mode 1
		.amdhsa_fp16_overflow 0
		.amdhsa_tg_split 0
		.amdhsa_exception_fp_ieee_invalid_op 0
		.amdhsa_exception_fp_denorm_src 0
		.amdhsa_exception_fp_ieee_div_zero 0
		.amdhsa_exception_fp_ieee_overflow 0
		.amdhsa_exception_fp_ieee_underflow 0
		.amdhsa_exception_fp_ieee_inexact 0
		.amdhsa_exception_int_div_zero 0
	.end_amdhsa_kernel
	.section	.text._ZN4vllm25paged_attention_v2_kernelIthLi192ELi8ELi128ELNS_18Fp8KVCacheDataTypeE1ELb1ELi512EEEvPfS2_PT_PKS3_PKT0_S9_ifPKiSB_iPKfiiiSD_SD_iiiii,"axG",@progbits,_ZN4vllm25paged_attention_v2_kernelIthLi192ELi8ELi128ELNS_18Fp8KVCacheDataTypeE1ELb1ELi512EEEvPfS2_PT_PKS3_PKT0_S9_ifPKiSB_iPKfiiiSD_SD_iiiii,comdat
.Lfunc_end264:
	.size	_ZN4vllm25paged_attention_v2_kernelIthLi192ELi8ELi128ELNS_18Fp8KVCacheDataTypeE1ELb1ELi512EEEvPfS2_PT_PKS3_PKT0_S9_ifPKiSB_iPKfiiiSD_SD_iiiii, .Lfunc_end264-_ZN4vllm25paged_attention_v2_kernelIthLi192ELi8ELi128ELNS_18Fp8KVCacheDataTypeE1ELb1ELi512EEEvPfS2_PT_PKS3_PKT0_S9_ifPKiSB_iPKfiiiSD_SD_iiiii
                                        ; -- End function
	.section	.AMDGPU.csdata,"",@progbits
; Kernel info:
; codeLenInByte = 15328
; NumSgprs: 66
; NumVgprs: 67
; NumAgprs: 0
; TotalNumVgprs: 67
; ScratchSize: 0
; MemoryBound: 0
; FloatMode: 240
; IeeeMode: 1
; LDSByteSize: 400 bytes/workgroup (compile time only)
; SGPRBlocks: 8
; VGPRBlocks: 8
; NumSGPRsForWavesPerEU: 66
; NumVGPRsForWavesPerEU: 67
; AccumOffset: 68
; Occupancy: 7
; WaveLimiterHint : 1
; COMPUTE_PGM_RSRC2:SCRATCH_EN: 0
; COMPUTE_PGM_RSRC2:USER_SGPR: 6
; COMPUTE_PGM_RSRC2:TRAP_HANDLER: 0
; COMPUTE_PGM_RSRC2:TGID_X_EN: 1
; COMPUTE_PGM_RSRC2:TGID_Y_EN: 1
; COMPUTE_PGM_RSRC2:TGID_Z_EN: 1
; COMPUTE_PGM_RSRC2:TIDIG_COMP_CNT: 0
; COMPUTE_PGM_RSRC3_GFX90A:ACCUM_OFFSET: 16
; COMPUTE_PGM_RSRC3_GFX90A:TG_SPLIT: 0
	.section	.text._ZN4vllm25paged_attention_v2_kernelIthLi256ELi8ELi128ELNS_18Fp8KVCacheDataTypeE1ELb1ELi512EEEvPfS2_PT_PKS3_PKT0_S9_ifPKiSB_iPKfiiiSD_SD_iiiii,"axG",@progbits,_ZN4vllm25paged_attention_v2_kernelIthLi256ELi8ELi128ELNS_18Fp8KVCacheDataTypeE1ELb1ELi512EEEvPfS2_PT_PKS3_PKT0_S9_ifPKiSB_iPKfiiiSD_SD_iiiii,comdat
	.protected	_ZN4vllm25paged_attention_v2_kernelIthLi256ELi8ELi128ELNS_18Fp8KVCacheDataTypeE1ELb1ELi512EEEvPfS2_PT_PKS3_PKT0_S9_ifPKiSB_iPKfiiiSD_SD_iiiii ; -- Begin function _ZN4vllm25paged_attention_v2_kernelIthLi256ELi8ELi128ELNS_18Fp8KVCacheDataTypeE1ELb1ELi512EEEvPfS2_PT_PKS3_PKT0_S9_ifPKiSB_iPKfiiiSD_SD_iiiii
	.globl	_ZN4vllm25paged_attention_v2_kernelIthLi256ELi8ELi128ELNS_18Fp8KVCacheDataTypeE1ELb1ELi512EEEvPfS2_PT_PKS3_PKT0_S9_ifPKiSB_iPKfiiiSD_SD_iiiii
	.p2align	8
	.type	_ZN4vllm25paged_attention_v2_kernelIthLi256ELi8ELi128ELNS_18Fp8KVCacheDataTypeE1ELb1ELi512EEEvPfS2_PT_PKS3_PKT0_S9_ifPKiSB_iPKfiiiSD_SD_iiiii,@function
_ZN4vllm25paged_attention_v2_kernelIthLi256ELi8ELi128ELNS_18Fp8KVCacheDataTypeE1ELb1ELi512EEEvPfS2_PT_PKS3_PKT0_S9_ifPKiSB_iPKfiiiSD_SD_iiiii: ; @_ZN4vllm25paged_attention_v2_kernelIthLi256ELi8ELi128ELNS_18Fp8KVCacheDataTypeE1ELb1ELi512EEEvPfS2_PT_PKS3_PKT0_S9_ifPKiSB_iPKfiiiSD_SD_iiiii
; %bb.0:
	s_load_dwordx2 s[0:1], s[4:5], 0x40
	s_mov_b32 s40, s7
	s_ashr_i32 s41, s7, 31
	s_lshl_b64 s[2:3], s[40:41], 2
	s_waitcnt lgkmcnt(0)
	s_add_u32 s0, s0, s2
	s_addc_u32 s1, s1, s3
	s_load_dword s41, s[0:1], 0x0
	s_lshl_b32 s55, s8, 9
	s_waitcnt lgkmcnt(0)
	s_cmp_ge_i32 s55, s41
	s_cbranch_scc1 .LBB265_451
; %bb.1:
	s_load_dword s9, s[4:5], 0x90
	s_load_dwordx2 s[44:45], s[4:5], 0x30
	s_waitcnt lgkmcnt(0)
	s_abs_i32 s2, s9
	s_abs_i32 s0, s44
	v_cvt_f32_u32_e32 v1, s0
	s_sub_i32 s3, 0, s0
	s_xor_b32 s1, s9, s44
	s_ashr_i32 s1, s1, 31
	v_rcp_iflag_f32_e32 v1, v1
	v_mul_f32_e32 v1, 0x4f7ffffe, v1
	v_cvt_u32_f32_e32 v1, v1
	v_readfirstlane_b32 s7, v1
	s_mul_i32 s3, s3, s7
	s_mul_hi_u32 s3, s7, s3
	s_add_i32 s7, s7, s3
	s_mul_hi_u32 s3, s2, s7
	s_mul_i32 s7, s3, s0
	s_sub_i32 s2, s2, s7
	s_add_i32 s10, s3, 1
	s_sub_i32 s7, s2, s0
	s_cmp_ge_u32 s2, s0
	s_cselect_b32 s3, s10, s3
	s_cselect_b32 s2, s7, s2
	s_add_i32 s7, s3, 1
	s_cmp_ge_u32 s2, s0
	s_cselect_b32 s0, s7, s3
	s_xor_b32 s0, s0, s1
	s_sub_i32 s13, s0, s1
	s_abs_i32 s12, s13
	v_cvt_f32_u32_e32 v1, s12
	s_load_dwordx2 s[0:1], s[4:5], 0x50
	s_sub_i32 s2, 0, s12
	s_abs_i32 s14, s6
	v_rcp_iflag_f32_e32 v1, v1
	s_mov_b32 s7, 0
	v_mul_f32_e32 v1, 0x4f7ffffe, v1
	v_cvt_u32_f32_e32 v1, v1
	v_readfirstlane_b32 s3, v1
	s_mul_i32 s2, s2, s3
	s_mul_hi_u32 s2, s3, s2
	s_add_i32 s2, s3, s2
	s_waitcnt lgkmcnt(0)
	s_cmp_eq_u64 s[0:1], 0
	s_cbranch_scc1 .LBB265_3
; %bb.2:
	s_ashr_i32 s7, s6, 31
	s_lshl_b64 s[10:11], s[6:7], 2
	s_add_u32 s0, s0, s10
	s_addc_u32 s1, s1, s11
	s_load_dword s7, s[0:1], 0x0
.LBB265_3:
	s_load_dwordx4 s[24:27], s[4:5], 0x0
	s_load_dwordx2 s[34:35], s[4:5], 0x10
	s_load_dwordx4 s[20:23], s[4:5], 0x20
	s_load_dwordx2 s[38:39], s[4:5], 0x38
	s_load_dword s33, s[4:5], 0x98
	s_load_dwordx4 s[16:19], s[4:5], 0x58
	s_lshl_b32 s36, s6, 8
	s_movk_i32 s0, 0x100
	s_mul_hi_u32 s15, s14, s2
	v_and_b32_e32 v2, 7, v0
	s_ashr_i32 s37, s36, 31
	v_cmp_gt_u32_e32 vcc, s0, v0
	s_and_saveexec_b64 s[2:3], vcc
	s_cbranch_execz .LBB265_6
; %bb.4:
	s_load_dwordx2 s[0:1], s[4:5], 0x18
	s_waitcnt lgkmcnt(0)
	s_mul_i32 s10, s40, s16
	s_ashr_i32 s11, s10, 31
	s_lshl_b64 s[10:11], s[10:11], 1
	s_lshl_b64 s[28:29], s[36:37], 1
	s_add_u32 s10, s10, s28
	s_addc_u32 s11, s11, s29
	v_lshrrev_b32_e32 v4, 3, v0
	v_lshlrev_b32_e32 v5, 1, v2
	s_add_u32 s0, s0, s10
	v_add_u32_e32 v1, -16, v4
	v_lshlrev_b32_e32 v3, 1, v4
	v_lshl_or_b32 v4, v4, 4, v5
	s_addc_u32 s1, s1, s11
	v_mov_b32_e32 v5, s1
	v_add_co_u32_e32 v4, vcc, s0, v4
	v_lshl_add_u32 v3, v2, 6, v3
	v_addc_co_u32_e32 v5, vcc, 0, v5, vcc
	s_mov_b64 s[10:11], 0
.LBB265_5:                              ; =>This Inner Loop Header: Depth=1
	global_load_ushort v6, v[4:5], off
	v_add_co_u32_e64 v1, s[0:1], 16, v1
	s_xor_b64 s[0:1], s[0:1], -1
	v_add_co_u32_e32 v4, vcc, 0x100, v4
	s_and_b64 s[0:1], exec, s[0:1]
	v_addc_co_u32_e32 v5, vcc, 0, v5, vcc
	s_or_b64 s[10:11], s[0:1], s[10:11]
	s_waitcnt vmcnt(0)
	ds_write_b16 v3, v6
	v_add_u32_e32 v3, 32, v3
	s_andn2_b64 exec, exec, s[10:11]
	s_cbranch_execnz .LBB265_5
.LBB265_6:
	s_or_b64 exec, exec, s[2:3]
	s_ashr_i32 s0, s6, 31
	s_ashr_i32 s1, s13, 31
	s_xor_b32 s0, s0, s1
	s_mul_i32 s1, s15, s12
	s_sub_i32 s1, s14, s1
	s_add_i32 s2, s15, 1
	s_sub_i32 s3, s1, s12
	s_load_dwordx4 s[28:31], s[4:5], 0x78
	s_cmp_ge_u32 s1, s12
	s_cselect_b32 s2, s2, s15
	s_cselect_b32 s1, s3, s1
	s_add_i32 s3, s2, 1
	s_cmp_ge_u32 s1, s12
	s_cselect_b32 s1, s3, s2
	s_load_dword s2, s[4:5], 0x88
	s_waitcnt lgkmcnt(0)
	s_abs_i32 s37, s31
	v_cvt_f32_u32_e32 v1, s37
	s_xor_b32 s1, s1, s0
	s_sub_i32 s54, s1, s0
	s_sub_i32 s0, 0, s37
	v_rcp_iflag_f32_e32 v1, v1
	s_add_i32 s11, s41, -1
	s_abs_i32 s3, s11
	v_mul_f32_e32 v1, 0x4f7ffffe, v1
	v_cvt_u32_f32_e32 v1, v1
	s_barrier
	v_readfirstlane_b32 s52, v1
	s_mul_i32 s0, s0, s52
	s_mul_hi_u32 s0, s52, s0
	s_add_i32 s52, s52, s0
	s_cmp_lt_i32 s2, 0
	s_mul_hi_u32 s10, s3, s52
	s_cbranch_scc0 .LBB265_8
; %bb.7:
	s_mul_i32 s0, s28, s44
	s_add_i32 s0, s54, s0
	s_mul_i32 s0, s0, s2
	s_sub_i32 s44, 1, s0
	s_ashr_i32 s11, s11, 31
	s_ashr_i32 s31, s31, 31
	s_cbranch_execz .LBB265_9
	s_branch .LBB265_10
.LBB265_8:
                                        ; implicit-def: $sgpr44
	s_ashr_i32 s11, s11, 31
	s_ashr_i32 s31, s31, 31
.LBB265_9:
	s_mul_i32 s0, s9, s28
	s_add_i32 s0, s0, s6
	s_mul_i32 s0, s0, s2
	s_add_i32 s44, s0, 1
.LBB265_10:
	s_load_dword s0, s[4:5], 0x48
	s_load_dwordx4 s[12:15], s[4:5], 0x68
	s_mul_i32 s2, s10, s37
	s_sub_i32 s2, s3, s2
	s_xor_b32 s1, s11, s31
	s_waitcnt lgkmcnt(0)
	s_mul_i32 s42, s40, s0
	s_ashr_i32 s43, s42, 31
	s_add_i32 s0, s10, 1
	s_sub_i32 s3, s2, s37
	s_cmp_ge_u32 s2, s37
	s_cselect_b32 s0, s0, s10
	s_cselect_b32 s2, s3, s2
	s_add_i32 s3, s0, 1
	s_cmp_ge_u32 s2, s37
	s_cselect_b32 s0, s3, s0
	s_xor_b32 s0, s0, s1
	s_sub_i32 s53, s0, s1
	s_add_i32 s0, s41, 7
	s_ashr_i32 s1, s0, 31
	s_lshr_b32 s1, s1, 29
	s_add_i32 s0, s0, s1
	s_lshl_b32 s56, s8, 6
	s_ashr_i32 s16, s0, 3
	s_add_i32 s0, s56, 64
	v_lshrrev_b32_e32 v13, 6, v0
	s_min_i32 s28, s0, s16
	v_or_b32_e32 v6, s56, v13
	v_cmp_gt_i32_e64 s[0:1], s28, v6
	v_mov_b32_e32 v16, 0xff7fffff
	s_mul_i32 s54, s54, s18
	v_ashrrev_i32_e32 v7, 31, v6
	v_lshl_add_u32 v1, v13, 3, s55
	v_mbcnt_lo_u32_b32 v3, -1, 0
	s_and_saveexec_b64 s[18:19], s[0:1]
	s_cbranch_execz .LBB265_212
; %bb.11:
	s_sub_i32 s57, s53, s29
	s_ashr_i32 s2, s54, 31
	s_add_u32 s3, s20, s54
	s_addc_u32 s2, s21, s2
	s_abs_i32 s59, s30
	v_cvt_f32_u32_e32 v4, s59
	v_bfe_u32 v14, v0, 3, 3
	v_lshlrev_b32_e32 v5, 4, v14
	v_mov_b32_e32 v8, s2
	v_rcp_iflag_f32_e32 v9, v4
	v_add_co_u32_e64 v4, s[2:3], s3, v5
	v_addc_co_u32_e64 v5, s[2:3], 0, v8, s[2:3]
	v_mul_f32_e32 v8, 0x4f7ffffe, v9
	v_cvt_u32_f32_e32 v8, v8
	s_sub_i32 s4, 0, s59
	v_cmp_eq_u32_e32 vcc, 0, v2
	s_mov_b32 s58, s17
	v_mul_lo_u32 v9, s4, v8
	s_lshl_b64 s[4:5], s[42:43], 2
	v_mul_hi_u32 v9, v8, v9
	s_add_u32 s4, s38, s4
	v_add_u32_e32 v17, v8, v9
	v_lshlrev_b64 v[8:9], 2, v[6:7]
	s_addc_u32 s5, s39, s5
	v_mov_b32_e32 v10, s5
	v_add_co_u32_e64 v8, s[4:5], s4, v8
	v_addc_co_u32_e64 v9, s[4:5], v10, v9, s[4:5]
	v_lshlrev_b32_e32 v10, 2, v14
	v_lshl_or_b32 v10, v13, 5, v10
	v_add_u32_e32 v19, 0x210, v10
	v_subrev_u32_e32 v10, s41, v14
	v_lshlrev_b32_e32 v15, 6, v2
	v_cmp_neq_f32_e64 s[2:3], s7, 0
	v_lshl_add_u32 v18, v13, 3, s55
	v_add_u32_e32 v20, 1, v10
	s_mov_b64 s[20:21], 0
	s_movk_i32 s60, 0x80
	s_movk_i32 s61, 0x7f
	v_bfrev_b32_e32 v21, 60
	v_mbcnt_hi_u32_b32 v22, -1, v3
	v_mov_b32_e32 v16, 0xff7fffff
	v_mov_b32_e32 v23, v6
	s_branch .LBB265_14
.LBB265_12:                             ;   in Loop: Header=BB265_14 Depth=1
	s_or_b64 exec, exec, s[46:47]
.LBB265_13:                             ;   in Loop: Header=BB265_14 Depth=1
	s_or_b64 exec, exec, s[10:11]
	v_add_co_u32_e64 v8, s[4:5], 8, v8
	v_add_u32_e32 v23, 2, v23
	v_addc_co_u32_e64 v9, s[4:5], 0, v9, s[4:5]
	v_cmp_le_i32_e64 s[4:5], s28, v23
	v_add_u32_e32 v18, 16, v18
	s_or_b64 s[20:21], s[4:5], s[20:21]
	v_add_u32_e32 v19, 64, v19
	s_andn2_b64 exec, exec, s[20:21]
	s_cbranch_execz .LBB265_211
.LBB265_14:                             ; =>This Inner Loop Header: Depth=1
	s_waitcnt lgkmcnt(0)
	v_sub_u32_e32 v11, 0, v18
	v_max_i32_e32 v11, v18, v11
	v_mul_hi_u32 v12, v11, s52
	v_mul_lo_u32 v24, v12, s37
	v_sub_u32_e32 v11, v11, v24
	v_add_u32_e32 v24, 1, v12
	v_cmp_le_u32_e64 s[4:5], s37, v11
	v_cndmask_b32_e64 v12, v12, v24, s[4:5]
	v_subrev_u32_e32 v24, s37, v11
	v_cndmask_b32_e64 v11, v11, v24, s[4:5]
	v_ashrrev_i32_e32 v10, 31, v18
	v_add_u32_e32 v24, 1, v12
	v_cmp_le_u32_e64 s[4:5], s37, v11
	v_xor_b32_e32 v10, s31, v10
	v_cndmask_b32_e64 v11, v12, v24, s[4:5]
	v_xor_b32_e32 v11, v11, v10
	v_sub_u32_e32 v10, v11, v10
	v_add_u32_e32 v11, s44, v10
	v_sub_u32_e32 v24, 0, v11
	v_ashrrev_i32_e32 v12, 31, v11
	v_max_i32_e32 v11, v11, v24
	v_mul_hi_u32 v24, v11, v17
	v_mul_lo_u32 v24, v24, s59
	v_sub_u32_e32 v11, v11, v24
	v_subrev_u32_e32 v24, s59, v11
	v_cmp_le_u32_e64 s[4:5], s59, v11
	v_cndmask_b32_e64 v11, v11, v24, s[4:5]
	v_subrev_u32_e32 v24, s59, v11
	v_cmp_le_u32_e64 s[4:5], s59, v11
	v_cndmask_b32_e64 v11, v11, v24, s[4:5]
	v_xor_b32_e32 v11, v11, v12
	v_sub_u32_e32 v11, v11, v12
	v_cmp_ne_u32_e64 s[4:5], 0, v11
	v_cmp_ge_i32_e64 s[10:11], s57, v10
	s_and_b64 s[4:5], s[4:5], s[10:11]
	s_and_b64 s[46:47], vcc, s[4:5]
	s_and_saveexec_b64 s[10:11], s[46:47]
	s_cbranch_execz .LBB265_16
; %bb.15:                               ;   in Loop: Header=BB265_14 Depth=1
	v_mov_b32_e32 v10, 0xff7fffff
	ds_write_b32 v19, v10
.LBB265_16:                             ;   in Loop: Header=BB265_14 Depth=1
	s_or_b64 exec, exec, s[10:11]
	s_xor_b64 s[4:5], s[4:5], -1
	s_and_saveexec_b64 s[10:11], s[4:5]
	s_cbranch_execz .LBB265_13
; %bb.17:                               ;   in Loop: Header=BB265_14 Depth=1
	global_load_dword v10, v[8:9], off
	v_mov_b32_e32 v12, 0
	global_load_dword v24, v12, s[12:13]
	v_mov_b32_e32 v25, 0
	v_mov_b32_e32 v26, 0
	s_waitcnt vmcnt(1)
	v_mad_i64_i32 v[10:11], s[4:5], v10, s58, v[4:5]
	v_add_co_u32_e64 v10, s[4:5], v10, v2
	v_addc_co_u32_e64 v11, s[4:5], 0, v11, s[4:5]
	global_load_ubyte v27, v[10:11], off
	s_waitcnt vmcnt(0)
	v_cmp_ne_u16_e64 s[4:5], 0, v27
	s_and_saveexec_b64 s[46:47], s[4:5]
	s_cbranch_execz .LBB265_23
; %bb.18:                               ;   in Loop: Header=BB265_14 Depth=1
	v_cmp_ne_u16_e64 s[4:5], s60, v27
	v_bfrev_b32_e32 v26, 1
	s_and_saveexec_b64 s[48:49], s[4:5]
	s_cbranch_execz .LBB265_22
; %bb.19:                               ;   in Loop: Header=BB265_14 Depth=1
	v_and_b32_e32 v12, 0xffff, v27
	v_and_b32_e32 v28, 0x7f, v12
	v_cmp_ne_u32_e64 s[4:5], s61, v28
	v_mov_b32_e32 v26, 0x7f800001
	s_and_saveexec_b64 s[50:51], s[4:5]
	s_cbranch_execz .LBB265_21
; %bb.20:                               ;   in Loop: Header=BB265_14 Depth=1
	v_and_b32_e32 v26, 7, v12
	v_ffbh_u32_e32 v30, v26
	v_min_u32_e32 v32, 32, v30
	v_subrev_u32_e32 v30, 28, v32
	v_lshlrev_b64 v[30:31], v30, v[12:13]
	v_lshrrev_b32_e32 v29, 3, v28
	v_sub_u32_e32 v12, 29, v32
	v_and_b32_e32 v30, 7, v30
	v_cmp_gt_u32_e64 s[4:5], 8, v28
	v_cndmask_b32_e64 v12, v29, v12, s[4:5]
	v_cndmask_b32_e64 v26, v26, v30, s[4:5]
	v_lshlrev_b32_e32 v27, 24, v27
	v_lshlrev_b32_e32 v26, 20, v26
	v_and_b32_e32 v27, 0x80000000, v27
	v_lshl_add_u32 v12, v12, 23, v21
	v_or3_b32 v26, v27, v12, v26
.LBB265_21:                             ;   in Loop: Header=BB265_14 Depth=1
	s_or_b64 exec, exec, s[50:51]
.LBB265_22:                             ;   in Loop: Header=BB265_14 Depth=1
	s_or_b64 exec, exec, s[48:49]
.LBB265_23:                             ;   in Loop: Header=BB265_14 Depth=1
	s_or_b64 exec, exec, s[46:47]
	global_load_ubyte v27, v[10:11], off offset:8
	s_waitcnt vmcnt(0)
	v_cmp_ne_u16_e64 s[4:5], 0, v27
	s_and_saveexec_b64 s[46:47], s[4:5]
	s_cbranch_execz .LBB265_29
; %bb.24:                               ;   in Loop: Header=BB265_14 Depth=1
	v_cmp_ne_u16_e64 s[4:5], s60, v27
	v_bfrev_b32_e32 v25, 1
	s_and_saveexec_b64 s[48:49], s[4:5]
	s_cbranch_execz .LBB265_28
; %bb.25:                               ;   in Loop: Header=BB265_14 Depth=1
	v_and_b32_e32 v12, 0xffff, v27
	v_and_b32_e32 v28, 0x7f, v12
	v_cmp_ne_u32_e64 s[4:5], s61, v28
	v_mov_b32_e32 v25, 0x7f800001
	s_and_saveexec_b64 s[50:51], s[4:5]
	s_cbranch_execz .LBB265_27
; %bb.26:                               ;   in Loop: Header=BB265_14 Depth=1
	v_and_b32_e32 v25, 7, v12
	v_ffbh_u32_e32 v30, v25
	v_min_u32_e32 v32, 32, v30
	v_subrev_u32_e32 v30, 28, v32
	v_lshlrev_b64 v[30:31], v30, v[12:13]
	v_lshrrev_b32_e32 v29, 3, v28
	v_sub_u32_e32 v12, 29, v32
	v_and_b32_e32 v30, 7, v30
	v_cmp_gt_u32_e64 s[4:5], 8, v28
	v_cndmask_b32_e64 v12, v29, v12, s[4:5]
	v_cndmask_b32_e64 v25, v25, v30, s[4:5]
	v_lshlrev_b32_e32 v27, 24, v27
	v_lshlrev_b32_e32 v25, 20, v25
	v_and_b32_e32 v27, 0x80000000, v27
	v_lshl_add_u32 v12, v12, 23, v21
	v_or3_b32 v25, v27, v12, v25
.LBB265_27:                             ;   in Loop: Header=BB265_14 Depth=1
	s_or_b64 exec, exec, s[50:51]
.LBB265_28:                             ;   in Loop: Header=BB265_14 Depth=1
	s_or_b64 exec, exec, s[48:49]
.LBB265_29:                             ;   in Loop: Header=BB265_14 Depth=1
	s_or_b64 exec, exec, s[46:47]
	global_load_ubyte v29, v[10:11], off offset:128
	v_mov_b32_e32 v27, 0
	v_mov_b32_e32 v28, 0
	s_waitcnt vmcnt(0)
	v_cmp_ne_u16_e64 s[4:5], 0, v29
	s_and_saveexec_b64 s[46:47], s[4:5]
	s_cbranch_execz .LBB265_35
; %bb.30:                               ;   in Loop: Header=BB265_14 Depth=1
	v_cmp_ne_u16_e64 s[4:5], s60, v29
	v_bfrev_b32_e32 v28, 1
	s_and_saveexec_b64 s[48:49], s[4:5]
	s_cbranch_execz .LBB265_34
; %bb.31:                               ;   in Loop: Header=BB265_14 Depth=1
	v_and_b32_e32 v12, 0xffff, v29
	v_and_b32_e32 v30, 0x7f, v12
	v_cmp_ne_u32_e64 s[4:5], s61, v30
	v_mov_b32_e32 v28, 0x7f800001
	s_and_saveexec_b64 s[50:51], s[4:5]
	s_cbranch_execz .LBB265_33
; %bb.32:                               ;   in Loop: Header=BB265_14 Depth=1
	v_and_b32_e32 v28, 7, v12
	v_ffbh_u32_e32 v32, v28
	v_min_u32_e32 v34, 32, v32
	v_subrev_u32_e32 v32, 28, v34
	v_lshlrev_b64 v[32:33], v32, v[12:13]
	v_lshrrev_b32_e32 v31, 3, v30
	v_sub_u32_e32 v12, 29, v34
	v_and_b32_e32 v32, 7, v32
	v_cmp_gt_u32_e64 s[4:5], 8, v30
	v_cndmask_b32_e64 v12, v31, v12, s[4:5]
	v_cndmask_b32_e64 v28, v28, v32, s[4:5]
	v_lshlrev_b32_e32 v29, 24, v29
	v_lshlrev_b32_e32 v28, 20, v28
	v_and_b32_e32 v29, 0x80000000, v29
	v_lshl_add_u32 v12, v12, 23, v21
	v_or3_b32 v28, v29, v12, v28
.LBB265_33:                             ;   in Loop: Header=BB265_14 Depth=1
	s_or_b64 exec, exec, s[50:51]
.LBB265_34:                             ;   in Loop: Header=BB265_14 Depth=1
	s_or_b64 exec, exec, s[48:49]
.LBB265_35:                             ;   in Loop: Header=BB265_14 Depth=1
	s_or_b64 exec, exec, s[46:47]
	global_load_ubyte v29, v[10:11], off offset:136
	s_waitcnt vmcnt(0)
	v_cmp_ne_u16_e64 s[4:5], 0, v29
	s_and_saveexec_b64 s[46:47], s[4:5]
	s_cbranch_execz .LBB265_41
; %bb.36:                               ;   in Loop: Header=BB265_14 Depth=1
	v_cmp_ne_u16_e64 s[4:5], s60, v29
	v_bfrev_b32_e32 v27, 1
	s_and_saveexec_b64 s[48:49], s[4:5]
	s_cbranch_execz .LBB265_40
; %bb.37:                               ;   in Loop: Header=BB265_14 Depth=1
	v_and_b32_e32 v12, 0xffff, v29
	v_and_b32_e32 v30, 0x7f, v12
	v_cmp_ne_u32_e64 s[4:5], s61, v30
	v_mov_b32_e32 v27, 0x7f800001
	s_and_saveexec_b64 s[50:51], s[4:5]
	s_cbranch_execz .LBB265_39
; %bb.38:                               ;   in Loop: Header=BB265_14 Depth=1
	v_and_b32_e32 v27, 7, v12
	v_ffbh_u32_e32 v32, v27
	v_min_u32_e32 v34, 32, v32
	v_subrev_u32_e32 v32, 28, v34
	v_lshlrev_b64 v[32:33], v32, v[12:13]
	v_lshrrev_b32_e32 v31, 3, v30
	v_sub_u32_e32 v12, 29, v34
	v_and_b32_e32 v32, 7, v32
	v_cmp_gt_u32_e64 s[4:5], 8, v30
	v_cndmask_b32_e64 v12, v31, v12, s[4:5]
	v_cndmask_b32_e64 v27, v27, v32, s[4:5]
	v_lshlrev_b32_e32 v29, 24, v29
	v_lshlrev_b32_e32 v27, 20, v27
	v_and_b32_e32 v29, 0x80000000, v29
	v_lshl_add_u32 v12, v12, 23, v21
	v_or3_b32 v27, v29, v12, v27
.LBB265_39:                             ;   in Loop: Header=BB265_14 Depth=1
	s_or_b64 exec, exec, s[50:51]
.LBB265_40:                             ;   in Loop: Header=BB265_14 Depth=1
	s_or_b64 exec, exec, s[48:49]
.LBB265_41:                             ;   in Loop: Header=BB265_14 Depth=1
	s_or_b64 exec, exec, s[46:47]
	global_load_ubyte v31, v[10:11], off offset:256
	v_mov_b32_e32 v29, 0
	v_mov_b32_e32 v30, 0
	s_waitcnt vmcnt(0)
	v_cmp_ne_u16_e64 s[4:5], 0, v31
	s_and_saveexec_b64 s[46:47], s[4:5]
	s_cbranch_execz .LBB265_47
; %bb.42:                               ;   in Loop: Header=BB265_14 Depth=1
	v_cmp_ne_u16_e64 s[4:5], s60, v31
	v_bfrev_b32_e32 v30, 1
	s_and_saveexec_b64 s[48:49], s[4:5]
	s_cbranch_execz .LBB265_46
; %bb.43:                               ;   in Loop: Header=BB265_14 Depth=1
	v_and_b32_e32 v12, 0xffff, v31
	v_and_b32_e32 v32, 0x7f, v12
	v_cmp_ne_u32_e64 s[4:5], s61, v32
	v_mov_b32_e32 v30, 0x7f800001
	s_and_saveexec_b64 s[50:51], s[4:5]
	s_cbranch_execz .LBB265_45
; %bb.44:                               ;   in Loop: Header=BB265_14 Depth=1
	v_and_b32_e32 v30, 7, v12
	v_ffbh_u32_e32 v34, v30
	v_min_u32_e32 v36, 32, v34
	v_subrev_u32_e32 v34, 28, v36
	v_lshlrev_b64 v[34:35], v34, v[12:13]
	v_lshrrev_b32_e32 v33, 3, v32
	v_sub_u32_e32 v12, 29, v36
	v_and_b32_e32 v34, 7, v34
	v_cmp_gt_u32_e64 s[4:5], 8, v32
	v_cndmask_b32_e64 v12, v33, v12, s[4:5]
	v_cndmask_b32_e64 v30, v30, v34, s[4:5]
	v_lshlrev_b32_e32 v31, 24, v31
	v_lshlrev_b32_e32 v30, 20, v30
	v_and_b32_e32 v31, 0x80000000, v31
	v_lshl_add_u32 v12, v12, 23, v21
	v_or3_b32 v30, v31, v12, v30
.LBB265_45:                             ;   in Loop: Header=BB265_14 Depth=1
	s_or_b64 exec, exec, s[50:51]
.LBB265_46:                             ;   in Loop: Header=BB265_14 Depth=1
	s_or_b64 exec, exec, s[48:49]
.LBB265_47:                             ;   in Loop: Header=BB265_14 Depth=1
	s_or_b64 exec, exec, s[46:47]
	global_load_ubyte v31, v[10:11], off offset:264
	s_waitcnt vmcnt(0)
	v_cmp_ne_u16_e64 s[4:5], 0, v31
	s_and_saveexec_b64 s[46:47], s[4:5]
	s_cbranch_execz .LBB265_53
; %bb.48:                               ;   in Loop: Header=BB265_14 Depth=1
	v_cmp_ne_u16_e64 s[4:5], s60, v31
	v_bfrev_b32_e32 v29, 1
	s_and_saveexec_b64 s[48:49], s[4:5]
	s_cbranch_execz .LBB265_52
; %bb.49:                               ;   in Loop: Header=BB265_14 Depth=1
	v_and_b32_e32 v12, 0xffff, v31
	v_and_b32_e32 v32, 0x7f, v12
	v_cmp_ne_u32_e64 s[4:5], s61, v32
	v_mov_b32_e32 v29, 0x7f800001
	s_and_saveexec_b64 s[50:51], s[4:5]
	s_cbranch_execz .LBB265_51
; %bb.50:                               ;   in Loop: Header=BB265_14 Depth=1
	v_and_b32_e32 v29, 7, v12
	v_ffbh_u32_e32 v34, v29
	v_min_u32_e32 v36, 32, v34
	v_subrev_u32_e32 v34, 28, v36
	v_lshlrev_b64 v[34:35], v34, v[12:13]
	v_lshrrev_b32_e32 v33, 3, v32
	v_sub_u32_e32 v12, 29, v36
	v_and_b32_e32 v34, 7, v34
	v_cmp_gt_u32_e64 s[4:5], 8, v32
	v_cndmask_b32_e64 v12, v33, v12, s[4:5]
	v_cndmask_b32_e64 v29, v29, v34, s[4:5]
	v_lshlrev_b32_e32 v31, 24, v31
	v_lshlrev_b32_e32 v29, 20, v29
	v_and_b32_e32 v31, 0x80000000, v31
	v_lshl_add_u32 v12, v12, 23, v21
	v_or3_b32 v29, v31, v12, v29
.LBB265_51:                             ;   in Loop: Header=BB265_14 Depth=1
	s_or_b64 exec, exec, s[50:51]
.LBB265_52:                             ;   in Loop: Header=BB265_14 Depth=1
	s_or_b64 exec, exec, s[48:49]
.LBB265_53:                             ;   in Loop: Header=BB265_14 Depth=1
	s_or_b64 exec, exec, s[46:47]
	global_load_ubyte v33, v[10:11], off offset:384
	v_mov_b32_e32 v31, 0
	v_mov_b32_e32 v32, 0
	s_waitcnt vmcnt(0)
	v_cmp_ne_u16_e64 s[4:5], 0, v33
	s_and_saveexec_b64 s[46:47], s[4:5]
	s_cbranch_execz .LBB265_59
; %bb.54:                               ;   in Loop: Header=BB265_14 Depth=1
	v_cmp_ne_u16_e64 s[4:5], s60, v33
	v_bfrev_b32_e32 v32, 1
	s_and_saveexec_b64 s[48:49], s[4:5]
	s_cbranch_execz .LBB265_58
; %bb.55:                               ;   in Loop: Header=BB265_14 Depth=1
	v_and_b32_e32 v12, 0xffff, v33
	v_and_b32_e32 v34, 0x7f, v12
	v_cmp_ne_u32_e64 s[4:5], s61, v34
	v_mov_b32_e32 v32, 0x7f800001
	s_and_saveexec_b64 s[50:51], s[4:5]
	s_cbranch_execz .LBB265_57
; %bb.56:                               ;   in Loop: Header=BB265_14 Depth=1
	v_and_b32_e32 v32, 7, v12
	v_ffbh_u32_e32 v36, v32
	v_min_u32_e32 v38, 32, v36
	v_subrev_u32_e32 v36, 28, v38
	v_lshlrev_b64 v[36:37], v36, v[12:13]
	v_lshrrev_b32_e32 v35, 3, v34
	v_sub_u32_e32 v12, 29, v38
	v_and_b32_e32 v36, 7, v36
	v_cmp_gt_u32_e64 s[4:5], 8, v34
	v_cndmask_b32_e64 v12, v35, v12, s[4:5]
	v_cndmask_b32_e64 v32, v32, v36, s[4:5]
	v_lshlrev_b32_e32 v33, 24, v33
	v_lshlrev_b32_e32 v32, 20, v32
	v_and_b32_e32 v33, 0x80000000, v33
	v_lshl_add_u32 v12, v12, 23, v21
	v_or3_b32 v32, v33, v12, v32
.LBB265_57:                             ;   in Loop: Header=BB265_14 Depth=1
	s_or_b64 exec, exec, s[50:51]
.LBB265_58:                             ;   in Loop: Header=BB265_14 Depth=1
	s_or_b64 exec, exec, s[48:49]
.LBB265_59:                             ;   in Loop: Header=BB265_14 Depth=1
	s_or_b64 exec, exec, s[46:47]
	global_load_ubyte v33, v[10:11], off offset:392
	s_waitcnt vmcnt(0)
	v_cmp_ne_u16_e64 s[4:5], 0, v33
	s_and_saveexec_b64 s[46:47], s[4:5]
	s_cbranch_execz .LBB265_65
; %bb.60:                               ;   in Loop: Header=BB265_14 Depth=1
	v_cmp_ne_u16_e64 s[4:5], s60, v33
	v_bfrev_b32_e32 v31, 1
	s_and_saveexec_b64 s[48:49], s[4:5]
	s_cbranch_execz .LBB265_64
; %bb.61:                               ;   in Loop: Header=BB265_14 Depth=1
	v_and_b32_e32 v12, 0xffff, v33
	v_and_b32_e32 v34, 0x7f, v12
	v_cmp_ne_u32_e64 s[4:5], s61, v34
	v_mov_b32_e32 v31, 0x7f800001
	s_and_saveexec_b64 s[50:51], s[4:5]
	s_cbranch_execz .LBB265_63
; %bb.62:                               ;   in Loop: Header=BB265_14 Depth=1
	v_and_b32_e32 v31, 7, v12
	v_ffbh_u32_e32 v36, v31
	v_min_u32_e32 v38, 32, v36
	v_subrev_u32_e32 v36, 28, v38
	v_lshlrev_b64 v[36:37], v36, v[12:13]
	v_lshrrev_b32_e32 v35, 3, v34
	v_sub_u32_e32 v12, 29, v38
	v_and_b32_e32 v36, 7, v36
	v_cmp_gt_u32_e64 s[4:5], 8, v34
	v_cndmask_b32_e64 v12, v35, v12, s[4:5]
	v_cndmask_b32_e64 v31, v31, v36, s[4:5]
	v_lshlrev_b32_e32 v33, 24, v33
	v_lshlrev_b32_e32 v31, 20, v31
	v_and_b32_e32 v33, 0x80000000, v33
	v_lshl_add_u32 v12, v12, 23, v21
	v_or3_b32 v31, v33, v12, v31
.LBB265_63:                             ;   in Loop: Header=BB265_14 Depth=1
	s_or_b64 exec, exec, s[50:51]
.LBB265_64:                             ;   in Loop: Header=BB265_14 Depth=1
	s_or_b64 exec, exec, s[48:49]
.LBB265_65:                             ;   in Loop: Header=BB265_14 Depth=1
	s_or_b64 exec, exec, s[46:47]
	global_load_ubyte v35, v[10:11], off offset:512
	v_mov_b32_e32 v33, 0
	v_mov_b32_e32 v34, 0
	s_waitcnt vmcnt(0)
	v_cmp_ne_u16_e64 s[4:5], 0, v35
	s_and_saveexec_b64 s[46:47], s[4:5]
	s_cbranch_execz .LBB265_71
; %bb.66:                               ;   in Loop: Header=BB265_14 Depth=1
	v_cmp_ne_u16_e64 s[4:5], s60, v35
	v_bfrev_b32_e32 v34, 1
	s_and_saveexec_b64 s[48:49], s[4:5]
	s_cbranch_execz .LBB265_70
; %bb.67:                               ;   in Loop: Header=BB265_14 Depth=1
	v_and_b32_e32 v12, 0xffff, v35
	v_and_b32_e32 v36, 0x7f, v12
	v_cmp_ne_u32_e64 s[4:5], s61, v36
	v_mov_b32_e32 v34, 0x7f800001
	s_and_saveexec_b64 s[50:51], s[4:5]
	s_cbranch_execz .LBB265_69
; %bb.68:                               ;   in Loop: Header=BB265_14 Depth=1
	v_and_b32_e32 v34, 7, v12
	v_ffbh_u32_e32 v38, v34
	v_min_u32_e32 v40, 32, v38
	v_subrev_u32_e32 v38, 28, v40
	v_lshlrev_b64 v[38:39], v38, v[12:13]
	v_lshrrev_b32_e32 v37, 3, v36
	v_sub_u32_e32 v12, 29, v40
	v_and_b32_e32 v38, 7, v38
	v_cmp_gt_u32_e64 s[4:5], 8, v36
	v_cndmask_b32_e64 v12, v37, v12, s[4:5]
	v_cndmask_b32_e64 v34, v34, v38, s[4:5]
	v_lshlrev_b32_e32 v35, 24, v35
	v_lshlrev_b32_e32 v34, 20, v34
	v_and_b32_e32 v35, 0x80000000, v35
	v_lshl_add_u32 v12, v12, 23, v21
	v_or3_b32 v34, v35, v12, v34
.LBB265_69:                             ;   in Loop: Header=BB265_14 Depth=1
	s_or_b64 exec, exec, s[50:51]
.LBB265_70:                             ;   in Loop: Header=BB265_14 Depth=1
	s_or_b64 exec, exec, s[48:49]
.LBB265_71:                             ;   in Loop: Header=BB265_14 Depth=1
	s_or_b64 exec, exec, s[46:47]
	global_load_ubyte v35, v[10:11], off offset:520
	s_waitcnt vmcnt(0)
	v_cmp_ne_u16_e64 s[4:5], 0, v35
	s_and_saveexec_b64 s[46:47], s[4:5]
	s_cbranch_execz .LBB265_77
; %bb.72:                               ;   in Loop: Header=BB265_14 Depth=1
	v_cmp_ne_u16_e64 s[4:5], s60, v35
	v_bfrev_b32_e32 v33, 1
	s_and_saveexec_b64 s[48:49], s[4:5]
	s_cbranch_execz .LBB265_76
; %bb.73:                               ;   in Loop: Header=BB265_14 Depth=1
	v_and_b32_e32 v12, 0xffff, v35
	v_and_b32_e32 v36, 0x7f, v12
	v_cmp_ne_u32_e64 s[4:5], s61, v36
	v_mov_b32_e32 v33, 0x7f800001
	s_and_saveexec_b64 s[50:51], s[4:5]
	s_cbranch_execz .LBB265_75
; %bb.74:                               ;   in Loop: Header=BB265_14 Depth=1
	v_and_b32_e32 v33, 7, v12
	v_ffbh_u32_e32 v38, v33
	v_min_u32_e32 v40, 32, v38
	v_subrev_u32_e32 v38, 28, v40
	v_lshlrev_b64 v[38:39], v38, v[12:13]
	v_lshrrev_b32_e32 v37, 3, v36
	v_sub_u32_e32 v12, 29, v40
	v_and_b32_e32 v38, 7, v38
	v_cmp_gt_u32_e64 s[4:5], 8, v36
	v_cndmask_b32_e64 v12, v37, v12, s[4:5]
	v_cndmask_b32_e64 v33, v33, v38, s[4:5]
	v_lshlrev_b32_e32 v35, 24, v35
	v_lshlrev_b32_e32 v33, 20, v33
	v_and_b32_e32 v35, 0x80000000, v35
	v_lshl_add_u32 v12, v12, 23, v21
	v_or3_b32 v33, v35, v12, v33
.LBB265_75:                             ;   in Loop: Header=BB265_14 Depth=1
	s_or_b64 exec, exec, s[50:51]
.LBB265_76:                             ;   in Loop: Header=BB265_14 Depth=1
	s_or_b64 exec, exec, s[48:49]
.LBB265_77:                             ;   in Loop: Header=BB265_14 Depth=1
	s_or_b64 exec, exec, s[46:47]
	global_load_ubyte v37, v[10:11], off offset:640
	v_mov_b32_e32 v35, 0
	v_mov_b32_e32 v36, 0
	s_waitcnt vmcnt(0)
	v_cmp_ne_u16_e64 s[4:5], 0, v37
	s_and_saveexec_b64 s[46:47], s[4:5]
	s_cbranch_execz .LBB265_83
; %bb.78:                               ;   in Loop: Header=BB265_14 Depth=1
	v_cmp_ne_u16_e64 s[4:5], s60, v37
	v_bfrev_b32_e32 v36, 1
	s_and_saveexec_b64 s[48:49], s[4:5]
	s_cbranch_execz .LBB265_82
; %bb.79:                               ;   in Loop: Header=BB265_14 Depth=1
	v_and_b32_e32 v12, 0xffff, v37
	v_and_b32_e32 v38, 0x7f, v12
	v_cmp_ne_u32_e64 s[4:5], s61, v38
	v_mov_b32_e32 v36, 0x7f800001
	s_and_saveexec_b64 s[50:51], s[4:5]
	s_cbranch_execz .LBB265_81
; %bb.80:                               ;   in Loop: Header=BB265_14 Depth=1
	v_and_b32_e32 v36, 7, v12
	v_ffbh_u32_e32 v40, v36
	v_min_u32_e32 v42, 32, v40
	v_subrev_u32_e32 v40, 28, v42
	v_lshlrev_b64 v[40:41], v40, v[12:13]
	v_lshrrev_b32_e32 v39, 3, v38
	v_sub_u32_e32 v12, 29, v42
	v_and_b32_e32 v40, 7, v40
	v_cmp_gt_u32_e64 s[4:5], 8, v38
	v_cndmask_b32_e64 v12, v39, v12, s[4:5]
	v_cndmask_b32_e64 v36, v36, v40, s[4:5]
	v_lshlrev_b32_e32 v37, 24, v37
	v_lshlrev_b32_e32 v36, 20, v36
	v_and_b32_e32 v37, 0x80000000, v37
	v_lshl_add_u32 v12, v12, 23, v21
	v_or3_b32 v36, v37, v12, v36
.LBB265_81:                             ;   in Loop: Header=BB265_14 Depth=1
	s_or_b64 exec, exec, s[50:51]
.LBB265_82:                             ;   in Loop: Header=BB265_14 Depth=1
	s_or_b64 exec, exec, s[48:49]
.LBB265_83:                             ;   in Loop: Header=BB265_14 Depth=1
	s_or_b64 exec, exec, s[46:47]
	global_load_ubyte v37, v[10:11], off offset:648
	s_waitcnt vmcnt(0)
	v_cmp_ne_u16_e64 s[4:5], 0, v37
	s_and_saveexec_b64 s[46:47], s[4:5]
	s_cbranch_execz .LBB265_89
; %bb.84:                               ;   in Loop: Header=BB265_14 Depth=1
	v_cmp_ne_u16_e64 s[4:5], s60, v37
	v_bfrev_b32_e32 v35, 1
	s_and_saveexec_b64 s[48:49], s[4:5]
	s_cbranch_execz .LBB265_88
; %bb.85:                               ;   in Loop: Header=BB265_14 Depth=1
	v_and_b32_e32 v12, 0xffff, v37
	v_and_b32_e32 v38, 0x7f, v12
	v_cmp_ne_u32_e64 s[4:5], s61, v38
	v_mov_b32_e32 v35, 0x7f800001
	s_and_saveexec_b64 s[50:51], s[4:5]
	s_cbranch_execz .LBB265_87
; %bb.86:                               ;   in Loop: Header=BB265_14 Depth=1
	v_and_b32_e32 v35, 7, v12
	v_ffbh_u32_e32 v40, v35
	v_min_u32_e32 v42, 32, v40
	v_subrev_u32_e32 v40, 28, v42
	v_lshlrev_b64 v[40:41], v40, v[12:13]
	v_lshrrev_b32_e32 v39, 3, v38
	v_sub_u32_e32 v12, 29, v42
	v_and_b32_e32 v40, 7, v40
	v_cmp_gt_u32_e64 s[4:5], 8, v38
	v_cndmask_b32_e64 v12, v39, v12, s[4:5]
	v_cndmask_b32_e64 v35, v35, v40, s[4:5]
	v_lshlrev_b32_e32 v37, 24, v37
	v_lshlrev_b32_e32 v35, 20, v35
	v_and_b32_e32 v37, 0x80000000, v37
	v_lshl_add_u32 v12, v12, 23, v21
	v_or3_b32 v35, v37, v12, v35
.LBB265_87:                             ;   in Loop: Header=BB265_14 Depth=1
	s_or_b64 exec, exec, s[50:51]
.LBB265_88:                             ;   in Loop: Header=BB265_14 Depth=1
	s_or_b64 exec, exec, s[48:49]
.LBB265_89:                             ;   in Loop: Header=BB265_14 Depth=1
	s_or_b64 exec, exec, s[46:47]
	global_load_ubyte v39, v[10:11], off offset:768
	v_mov_b32_e32 v37, 0
	v_mov_b32_e32 v38, 0
	s_waitcnt vmcnt(0)
	v_cmp_ne_u16_e64 s[4:5], 0, v39
	s_and_saveexec_b64 s[46:47], s[4:5]
	s_cbranch_execz .LBB265_95
; %bb.90:                               ;   in Loop: Header=BB265_14 Depth=1
	v_cmp_ne_u16_e64 s[4:5], s60, v39
	v_bfrev_b32_e32 v38, 1
	s_and_saveexec_b64 s[48:49], s[4:5]
	s_cbranch_execz .LBB265_94
; %bb.91:                               ;   in Loop: Header=BB265_14 Depth=1
	v_and_b32_e32 v12, 0xffff, v39
	v_and_b32_e32 v40, 0x7f, v12
	v_cmp_ne_u32_e64 s[4:5], s61, v40
	v_mov_b32_e32 v38, 0x7f800001
	s_and_saveexec_b64 s[50:51], s[4:5]
	s_cbranch_execz .LBB265_93
; %bb.92:                               ;   in Loop: Header=BB265_14 Depth=1
	v_and_b32_e32 v38, 7, v12
	v_ffbh_u32_e32 v42, v38
	v_min_u32_e32 v44, 32, v42
	v_subrev_u32_e32 v42, 28, v44
	v_lshlrev_b64 v[42:43], v42, v[12:13]
	v_lshrrev_b32_e32 v41, 3, v40
	v_sub_u32_e32 v12, 29, v44
	v_and_b32_e32 v42, 7, v42
	v_cmp_gt_u32_e64 s[4:5], 8, v40
	v_cndmask_b32_e64 v12, v41, v12, s[4:5]
	v_cndmask_b32_e64 v38, v38, v42, s[4:5]
	v_lshlrev_b32_e32 v39, 24, v39
	v_lshlrev_b32_e32 v38, 20, v38
	v_and_b32_e32 v39, 0x80000000, v39
	v_lshl_add_u32 v12, v12, 23, v21
	v_or3_b32 v38, v39, v12, v38
.LBB265_93:                             ;   in Loop: Header=BB265_14 Depth=1
	s_or_b64 exec, exec, s[50:51]
.LBB265_94:                             ;   in Loop: Header=BB265_14 Depth=1
	s_or_b64 exec, exec, s[48:49]
.LBB265_95:                             ;   in Loop: Header=BB265_14 Depth=1
	s_or_b64 exec, exec, s[46:47]
	global_load_ubyte v39, v[10:11], off offset:776
	s_waitcnt vmcnt(0)
	v_cmp_ne_u16_e64 s[4:5], 0, v39
	s_and_saveexec_b64 s[46:47], s[4:5]
	s_cbranch_execz .LBB265_101
; %bb.96:                               ;   in Loop: Header=BB265_14 Depth=1
	v_cmp_ne_u16_e64 s[4:5], s60, v39
	v_bfrev_b32_e32 v37, 1
	s_and_saveexec_b64 s[48:49], s[4:5]
	s_cbranch_execz .LBB265_100
; %bb.97:                               ;   in Loop: Header=BB265_14 Depth=1
	v_and_b32_e32 v12, 0xffff, v39
	v_and_b32_e32 v40, 0x7f, v12
	v_cmp_ne_u32_e64 s[4:5], s61, v40
	v_mov_b32_e32 v37, 0x7f800001
	s_and_saveexec_b64 s[50:51], s[4:5]
	s_cbranch_execz .LBB265_99
; %bb.98:                               ;   in Loop: Header=BB265_14 Depth=1
	v_and_b32_e32 v37, 7, v12
	v_ffbh_u32_e32 v42, v37
	v_min_u32_e32 v44, 32, v42
	v_subrev_u32_e32 v42, 28, v44
	v_lshlrev_b64 v[42:43], v42, v[12:13]
	v_lshrrev_b32_e32 v41, 3, v40
	v_sub_u32_e32 v12, 29, v44
	v_and_b32_e32 v42, 7, v42
	v_cmp_gt_u32_e64 s[4:5], 8, v40
	v_cndmask_b32_e64 v12, v41, v12, s[4:5]
	v_cndmask_b32_e64 v37, v37, v42, s[4:5]
	v_lshlrev_b32_e32 v39, 24, v39
	v_lshlrev_b32_e32 v37, 20, v37
	v_and_b32_e32 v39, 0x80000000, v39
	v_lshl_add_u32 v12, v12, 23, v21
	v_or3_b32 v37, v39, v12, v37
.LBB265_99:                             ;   in Loop: Header=BB265_14 Depth=1
	s_or_b64 exec, exec, s[50:51]
.LBB265_100:                            ;   in Loop: Header=BB265_14 Depth=1
	s_or_b64 exec, exec, s[48:49]
.LBB265_101:                            ;   in Loop: Header=BB265_14 Depth=1
	s_or_b64 exec, exec, s[46:47]
	global_load_ubyte v41, v[10:11], off offset:896
	v_mov_b32_e32 v39, 0
	v_mov_b32_e32 v40, 0
	s_waitcnt vmcnt(0)
	v_cmp_ne_u16_e64 s[4:5], 0, v41
	s_and_saveexec_b64 s[46:47], s[4:5]
	s_cbranch_execz .LBB265_107
; %bb.102:                              ;   in Loop: Header=BB265_14 Depth=1
	v_cmp_ne_u16_e64 s[4:5], s60, v41
	v_bfrev_b32_e32 v40, 1
	s_and_saveexec_b64 s[48:49], s[4:5]
	s_cbranch_execz .LBB265_106
; %bb.103:                              ;   in Loop: Header=BB265_14 Depth=1
	v_and_b32_e32 v12, 0xffff, v41
	v_and_b32_e32 v42, 0x7f, v12
	v_cmp_ne_u32_e64 s[4:5], s61, v42
	v_mov_b32_e32 v40, 0x7f800001
	s_and_saveexec_b64 s[50:51], s[4:5]
	s_cbranch_execz .LBB265_105
; %bb.104:                              ;   in Loop: Header=BB265_14 Depth=1
	v_and_b32_e32 v40, 7, v12
	v_ffbh_u32_e32 v44, v40
	v_min_u32_e32 v46, 32, v44
	v_subrev_u32_e32 v44, 28, v46
	v_lshlrev_b64 v[44:45], v44, v[12:13]
	v_lshrrev_b32_e32 v43, 3, v42
	v_sub_u32_e32 v12, 29, v46
	v_and_b32_e32 v44, 7, v44
	v_cmp_gt_u32_e64 s[4:5], 8, v42
	v_cndmask_b32_e64 v12, v43, v12, s[4:5]
	v_cndmask_b32_e64 v40, v40, v44, s[4:5]
	v_lshlrev_b32_e32 v41, 24, v41
	v_lshlrev_b32_e32 v40, 20, v40
	v_and_b32_e32 v41, 0x80000000, v41
	v_lshl_add_u32 v12, v12, 23, v21
	v_or3_b32 v40, v41, v12, v40
.LBB265_105:                            ;   in Loop: Header=BB265_14 Depth=1
	s_or_b64 exec, exec, s[50:51]
.LBB265_106:                            ;   in Loop: Header=BB265_14 Depth=1
	s_or_b64 exec, exec, s[48:49]
.LBB265_107:                            ;   in Loop: Header=BB265_14 Depth=1
	s_or_b64 exec, exec, s[46:47]
	global_load_ubyte v41, v[10:11], off offset:904
	s_waitcnt vmcnt(0)
	v_cmp_ne_u16_e64 s[4:5], 0, v41
	s_and_saveexec_b64 s[46:47], s[4:5]
	s_cbranch_execz .LBB265_113
; %bb.108:                              ;   in Loop: Header=BB265_14 Depth=1
	v_cmp_ne_u16_e64 s[4:5], s60, v41
	v_bfrev_b32_e32 v39, 1
	s_and_saveexec_b64 s[48:49], s[4:5]
	s_cbranch_execz .LBB265_112
; %bb.109:                              ;   in Loop: Header=BB265_14 Depth=1
	v_and_b32_e32 v12, 0xffff, v41
	v_and_b32_e32 v42, 0x7f, v12
	v_cmp_ne_u32_e64 s[4:5], s61, v42
	v_mov_b32_e32 v39, 0x7f800001
	s_and_saveexec_b64 s[50:51], s[4:5]
	s_cbranch_execz .LBB265_111
; %bb.110:                              ;   in Loop: Header=BB265_14 Depth=1
	v_and_b32_e32 v39, 7, v12
	v_ffbh_u32_e32 v44, v39
	v_min_u32_e32 v46, 32, v44
	v_subrev_u32_e32 v44, 28, v46
	v_lshlrev_b64 v[44:45], v44, v[12:13]
	v_lshrrev_b32_e32 v43, 3, v42
	v_sub_u32_e32 v12, 29, v46
	v_and_b32_e32 v44, 7, v44
	v_cmp_gt_u32_e64 s[4:5], 8, v42
	v_cndmask_b32_e64 v12, v43, v12, s[4:5]
	v_cndmask_b32_e64 v39, v39, v44, s[4:5]
	v_lshlrev_b32_e32 v41, 24, v41
	v_lshlrev_b32_e32 v39, 20, v39
	v_and_b32_e32 v41, 0x80000000, v41
	v_lshl_add_u32 v12, v12, 23, v21
	v_or3_b32 v39, v41, v12, v39
.LBB265_111:                            ;   in Loop: Header=BB265_14 Depth=1
	s_or_b64 exec, exec, s[50:51]
.LBB265_112:                            ;   in Loop: Header=BB265_14 Depth=1
	s_or_b64 exec, exec, s[48:49]
.LBB265_113:                            ;   in Loop: Header=BB265_14 Depth=1
	s_or_b64 exec, exec, s[46:47]
	global_load_ubyte v43, v[10:11], off offset:1024
	v_mov_b32_e32 v41, 0
	v_mov_b32_e32 v42, 0
	s_waitcnt vmcnt(0)
	v_cmp_ne_u16_e64 s[4:5], 0, v43
	s_and_saveexec_b64 s[46:47], s[4:5]
	s_cbranch_execz .LBB265_119
; %bb.114:                              ;   in Loop: Header=BB265_14 Depth=1
	v_cmp_ne_u16_e64 s[4:5], s60, v43
	v_bfrev_b32_e32 v42, 1
	s_and_saveexec_b64 s[48:49], s[4:5]
	s_cbranch_execz .LBB265_118
; %bb.115:                              ;   in Loop: Header=BB265_14 Depth=1
	v_and_b32_e32 v12, 0xffff, v43
	v_and_b32_e32 v44, 0x7f, v12
	v_cmp_ne_u32_e64 s[4:5], s61, v44
	v_mov_b32_e32 v42, 0x7f800001
	s_and_saveexec_b64 s[50:51], s[4:5]
	s_cbranch_execz .LBB265_117
; %bb.116:                              ;   in Loop: Header=BB265_14 Depth=1
	v_and_b32_e32 v42, 7, v12
	v_ffbh_u32_e32 v46, v42
	v_min_u32_e32 v48, 32, v46
	v_subrev_u32_e32 v46, 28, v48
	v_lshlrev_b64 v[46:47], v46, v[12:13]
	v_lshrrev_b32_e32 v45, 3, v44
	v_sub_u32_e32 v12, 29, v48
	v_and_b32_e32 v46, 7, v46
	v_cmp_gt_u32_e64 s[4:5], 8, v44
	v_cndmask_b32_e64 v12, v45, v12, s[4:5]
	v_cndmask_b32_e64 v42, v42, v46, s[4:5]
	v_lshlrev_b32_e32 v43, 24, v43
	v_lshlrev_b32_e32 v42, 20, v42
	v_and_b32_e32 v43, 0x80000000, v43
	v_lshl_add_u32 v12, v12, 23, v21
	v_or3_b32 v42, v43, v12, v42
.LBB265_117:                            ;   in Loop: Header=BB265_14 Depth=1
	s_or_b64 exec, exec, s[50:51]
.LBB265_118:                            ;   in Loop: Header=BB265_14 Depth=1
	s_or_b64 exec, exec, s[48:49]
.LBB265_119:                            ;   in Loop: Header=BB265_14 Depth=1
	s_or_b64 exec, exec, s[46:47]
	global_load_ubyte v43, v[10:11], off offset:1032
	s_waitcnt vmcnt(0)
	v_cmp_ne_u16_e64 s[4:5], 0, v43
	s_and_saveexec_b64 s[46:47], s[4:5]
	s_cbranch_execz .LBB265_125
; %bb.120:                              ;   in Loop: Header=BB265_14 Depth=1
	v_cmp_ne_u16_e64 s[4:5], s60, v43
	v_bfrev_b32_e32 v41, 1
	s_and_saveexec_b64 s[48:49], s[4:5]
	s_cbranch_execz .LBB265_124
; %bb.121:                              ;   in Loop: Header=BB265_14 Depth=1
	v_and_b32_e32 v12, 0xffff, v43
	v_and_b32_e32 v44, 0x7f, v12
	v_cmp_ne_u32_e64 s[4:5], s61, v44
	v_mov_b32_e32 v41, 0x7f800001
	s_and_saveexec_b64 s[50:51], s[4:5]
	s_cbranch_execz .LBB265_123
; %bb.122:                              ;   in Loop: Header=BB265_14 Depth=1
	v_and_b32_e32 v41, 7, v12
	v_ffbh_u32_e32 v46, v41
	v_min_u32_e32 v48, 32, v46
	v_subrev_u32_e32 v46, 28, v48
	v_lshlrev_b64 v[46:47], v46, v[12:13]
	v_lshrrev_b32_e32 v45, 3, v44
	v_sub_u32_e32 v12, 29, v48
	v_and_b32_e32 v46, 7, v46
	v_cmp_gt_u32_e64 s[4:5], 8, v44
	v_cndmask_b32_e64 v12, v45, v12, s[4:5]
	v_cndmask_b32_e64 v41, v41, v46, s[4:5]
	v_lshlrev_b32_e32 v43, 24, v43
	v_lshlrev_b32_e32 v41, 20, v41
	v_and_b32_e32 v43, 0x80000000, v43
	v_lshl_add_u32 v12, v12, 23, v21
	v_or3_b32 v41, v43, v12, v41
.LBB265_123:                            ;   in Loop: Header=BB265_14 Depth=1
	s_or_b64 exec, exec, s[50:51]
.LBB265_124:                            ;   in Loop: Header=BB265_14 Depth=1
	s_or_b64 exec, exec, s[48:49]
.LBB265_125:                            ;   in Loop: Header=BB265_14 Depth=1
	s_or_b64 exec, exec, s[46:47]
	global_load_ubyte v45, v[10:11], off offset:1152
	v_mov_b32_e32 v43, 0
	v_mov_b32_e32 v44, 0
	s_waitcnt vmcnt(0)
	v_cmp_ne_u16_e64 s[4:5], 0, v45
	s_and_saveexec_b64 s[46:47], s[4:5]
	s_cbranch_execz .LBB265_131
; %bb.126:                              ;   in Loop: Header=BB265_14 Depth=1
	v_cmp_ne_u16_e64 s[4:5], s60, v45
	v_bfrev_b32_e32 v44, 1
	s_and_saveexec_b64 s[48:49], s[4:5]
	s_cbranch_execz .LBB265_130
; %bb.127:                              ;   in Loop: Header=BB265_14 Depth=1
	v_and_b32_e32 v12, 0xffff, v45
	v_and_b32_e32 v46, 0x7f, v12
	v_cmp_ne_u32_e64 s[4:5], s61, v46
	v_mov_b32_e32 v44, 0x7f800001
	s_and_saveexec_b64 s[50:51], s[4:5]
	s_cbranch_execz .LBB265_129
; %bb.128:                              ;   in Loop: Header=BB265_14 Depth=1
	v_and_b32_e32 v44, 7, v12
	v_ffbh_u32_e32 v48, v44
	v_min_u32_e32 v50, 32, v48
	v_subrev_u32_e32 v48, 28, v50
	v_lshlrev_b64 v[48:49], v48, v[12:13]
	v_lshrrev_b32_e32 v47, 3, v46
	v_sub_u32_e32 v12, 29, v50
	v_and_b32_e32 v48, 7, v48
	v_cmp_gt_u32_e64 s[4:5], 8, v46
	v_cndmask_b32_e64 v12, v47, v12, s[4:5]
	v_cndmask_b32_e64 v44, v44, v48, s[4:5]
	v_lshlrev_b32_e32 v45, 24, v45
	v_lshlrev_b32_e32 v44, 20, v44
	v_and_b32_e32 v45, 0x80000000, v45
	v_lshl_add_u32 v12, v12, 23, v21
	v_or3_b32 v44, v45, v12, v44
.LBB265_129:                            ;   in Loop: Header=BB265_14 Depth=1
	s_or_b64 exec, exec, s[50:51]
.LBB265_130:                            ;   in Loop: Header=BB265_14 Depth=1
	s_or_b64 exec, exec, s[48:49]
.LBB265_131:                            ;   in Loop: Header=BB265_14 Depth=1
	s_or_b64 exec, exec, s[46:47]
	global_load_ubyte v45, v[10:11], off offset:1160
	s_waitcnt vmcnt(0)
	v_cmp_ne_u16_e64 s[4:5], 0, v45
	s_and_saveexec_b64 s[46:47], s[4:5]
	s_cbranch_execz .LBB265_137
; %bb.132:                              ;   in Loop: Header=BB265_14 Depth=1
	v_cmp_ne_u16_e64 s[4:5], s60, v45
	v_bfrev_b32_e32 v43, 1
	s_and_saveexec_b64 s[48:49], s[4:5]
	s_cbranch_execz .LBB265_136
; %bb.133:                              ;   in Loop: Header=BB265_14 Depth=1
	v_and_b32_e32 v12, 0xffff, v45
	v_and_b32_e32 v46, 0x7f, v12
	v_cmp_ne_u32_e64 s[4:5], s61, v46
	v_mov_b32_e32 v43, 0x7f800001
	s_and_saveexec_b64 s[50:51], s[4:5]
	s_cbranch_execz .LBB265_135
; %bb.134:                              ;   in Loop: Header=BB265_14 Depth=1
	v_and_b32_e32 v43, 7, v12
	v_ffbh_u32_e32 v48, v43
	v_min_u32_e32 v50, 32, v48
	v_subrev_u32_e32 v48, 28, v50
	v_lshlrev_b64 v[48:49], v48, v[12:13]
	v_lshrrev_b32_e32 v47, 3, v46
	v_sub_u32_e32 v12, 29, v50
	v_and_b32_e32 v48, 7, v48
	v_cmp_gt_u32_e64 s[4:5], 8, v46
	v_cndmask_b32_e64 v12, v47, v12, s[4:5]
	v_cndmask_b32_e64 v43, v43, v48, s[4:5]
	v_lshlrev_b32_e32 v45, 24, v45
	v_lshlrev_b32_e32 v43, 20, v43
	v_and_b32_e32 v45, 0x80000000, v45
	v_lshl_add_u32 v12, v12, 23, v21
	v_or3_b32 v43, v45, v12, v43
.LBB265_135:                            ;   in Loop: Header=BB265_14 Depth=1
	s_or_b64 exec, exec, s[50:51]
.LBB265_136:                            ;   in Loop: Header=BB265_14 Depth=1
	s_or_b64 exec, exec, s[48:49]
.LBB265_137:                            ;   in Loop: Header=BB265_14 Depth=1
	s_or_b64 exec, exec, s[46:47]
	global_load_ubyte v47, v[10:11], off offset:1280
	v_mov_b32_e32 v45, 0
	v_mov_b32_e32 v46, 0
	s_waitcnt vmcnt(0)
	v_cmp_ne_u16_e64 s[4:5], 0, v47
	s_and_saveexec_b64 s[46:47], s[4:5]
	s_cbranch_execz .LBB265_143
; %bb.138:                              ;   in Loop: Header=BB265_14 Depth=1
	v_cmp_ne_u16_e64 s[4:5], s60, v47
	v_bfrev_b32_e32 v46, 1
	s_and_saveexec_b64 s[48:49], s[4:5]
	s_cbranch_execz .LBB265_142
; %bb.139:                              ;   in Loop: Header=BB265_14 Depth=1
	v_and_b32_e32 v12, 0xffff, v47
	v_and_b32_e32 v48, 0x7f, v12
	v_cmp_ne_u32_e64 s[4:5], s61, v48
	v_mov_b32_e32 v46, 0x7f800001
	s_and_saveexec_b64 s[50:51], s[4:5]
	s_cbranch_execz .LBB265_141
; %bb.140:                              ;   in Loop: Header=BB265_14 Depth=1
	v_and_b32_e32 v46, 7, v12
	v_ffbh_u32_e32 v50, v46
	v_min_u32_e32 v52, 32, v50
	v_subrev_u32_e32 v50, 28, v52
	v_lshlrev_b64 v[50:51], v50, v[12:13]
	v_lshrrev_b32_e32 v49, 3, v48
	v_sub_u32_e32 v12, 29, v52
	v_and_b32_e32 v50, 7, v50
	v_cmp_gt_u32_e64 s[4:5], 8, v48
	v_cndmask_b32_e64 v12, v49, v12, s[4:5]
	v_cndmask_b32_e64 v46, v46, v50, s[4:5]
	v_lshlrev_b32_e32 v47, 24, v47
	v_lshlrev_b32_e32 v46, 20, v46
	v_and_b32_e32 v47, 0x80000000, v47
	v_lshl_add_u32 v12, v12, 23, v21
	v_or3_b32 v46, v47, v12, v46
.LBB265_141:                            ;   in Loop: Header=BB265_14 Depth=1
	s_or_b64 exec, exec, s[50:51]
.LBB265_142:                            ;   in Loop: Header=BB265_14 Depth=1
	s_or_b64 exec, exec, s[48:49]
.LBB265_143:                            ;   in Loop: Header=BB265_14 Depth=1
	s_or_b64 exec, exec, s[46:47]
	global_load_ubyte v47, v[10:11], off offset:1288
	s_waitcnt vmcnt(0)
	v_cmp_ne_u16_e64 s[4:5], 0, v47
	s_and_saveexec_b64 s[46:47], s[4:5]
	s_cbranch_execz .LBB265_149
; %bb.144:                              ;   in Loop: Header=BB265_14 Depth=1
	v_cmp_ne_u16_e64 s[4:5], s60, v47
	v_bfrev_b32_e32 v45, 1
	s_and_saveexec_b64 s[48:49], s[4:5]
	s_cbranch_execz .LBB265_148
; %bb.145:                              ;   in Loop: Header=BB265_14 Depth=1
	v_and_b32_e32 v12, 0xffff, v47
	v_and_b32_e32 v48, 0x7f, v12
	v_cmp_ne_u32_e64 s[4:5], s61, v48
	v_mov_b32_e32 v45, 0x7f800001
	s_and_saveexec_b64 s[50:51], s[4:5]
	s_cbranch_execz .LBB265_147
; %bb.146:                              ;   in Loop: Header=BB265_14 Depth=1
	v_and_b32_e32 v45, 7, v12
	v_ffbh_u32_e32 v50, v45
	v_min_u32_e32 v52, 32, v50
	v_subrev_u32_e32 v50, 28, v52
	v_lshlrev_b64 v[50:51], v50, v[12:13]
	v_lshrrev_b32_e32 v49, 3, v48
	v_sub_u32_e32 v12, 29, v52
	v_and_b32_e32 v50, 7, v50
	v_cmp_gt_u32_e64 s[4:5], 8, v48
	v_cndmask_b32_e64 v12, v49, v12, s[4:5]
	v_cndmask_b32_e64 v45, v45, v50, s[4:5]
	v_lshlrev_b32_e32 v47, 24, v47
	v_lshlrev_b32_e32 v45, 20, v45
	v_and_b32_e32 v47, 0x80000000, v47
	v_lshl_add_u32 v12, v12, 23, v21
	v_or3_b32 v45, v47, v12, v45
.LBB265_147:                            ;   in Loop: Header=BB265_14 Depth=1
	s_or_b64 exec, exec, s[50:51]
.LBB265_148:                            ;   in Loop: Header=BB265_14 Depth=1
	s_or_b64 exec, exec, s[48:49]
.LBB265_149:                            ;   in Loop: Header=BB265_14 Depth=1
	s_or_b64 exec, exec, s[46:47]
	global_load_ubyte v49, v[10:11], off offset:1408
	v_mov_b32_e32 v47, 0
	v_mov_b32_e32 v48, 0
	s_waitcnt vmcnt(0)
	v_cmp_ne_u16_e64 s[4:5], 0, v49
	s_and_saveexec_b64 s[46:47], s[4:5]
	s_cbranch_execz .LBB265_155
; %bb.150:                              ;   in Loop: Header=BB265_14 Depth=1
	v_cmp_ne_u16_e64 s[4:5], s60, v49
	v_bfrev_b32_e32 v48, 1
	s_and_saveexec_b64 s[48:49], s[4:5]
	s_cbranch_execz .LBB265_154
; %bb.151:                              ;   in Loop: Header=BB265_14 Depth=1
	v_and_b32_e32 v12, 0xffff, v49
	v_and_b32_e32 v50, 0x7f, v12
	v_cmp_ne_u32_e64 s[4:5], s61, v50
	v_mov_b32_e32 v48, 0x7f800001
	s_and_saveexec_b64 s[50:51], s[4:5]
	s_cbranch_execz .LBB265_153
; %bb.152:                              ;   in Loop: Header=BB265_14 Depth=1
	v_and_b32_e32 v48, 7, v12
	v_ffbh_u32_e32 v52, v48
	v_min_u32_e32 v54, 32, v52
	v_subrev_u32_e32 v52, 28, v54
	v_lshlrev_b64 v[52:53], v52, v[12:13]
	v_lshrrev_b32_e32 v51, 3, v50
	v_sub_u32_e32 v12, 29, v54
	v_and_b32_e32 v52, 7, v52
	v_cmp_gt_u32_e64 s[4:5], 8, v50
	v_cndmask_b32_e64 v12, v51, v12, s[4:5]
	v_cndmask_b32_e64 v48, v48, v52, s[4:5]
	v_lshlrev_b32_e32 v49, 24, v49
	v_lshlrev_b32_e32 v48, 20, v48
	v_and_b32_e32 v49, 0x80000000, v49
	v_lshl_add_u32 v12, v12, 23, v21
	v_or3_b32 v48, v49, v12, v48
.LBB265_153:                            ;   in Loop: Header=BB265_14 Depth=1
	s_or_b64 exec, exec, s[50:51]
.LBB265_154:                            ;   in Loop: Header=BB265_14 Depth=1
	s_or_b64 exec, exec, s[48:49]
.LBB265_155:                            ;   in Loop: Header=BB265_14 Depth=1
	s_or_b64 exec, exec, s[46:47]
	global_load_ubyte v49, v[10:11], off offset:1416
	s_waitcnt vmcnt(0)
	v_cmp_ne_u16_e64 s[4:5], 0, v49
	s_and_saveexec_b64 s[46:47], s[4:5]
	s_cbranch_execz .LBB265_161
; %bb.156:                              ;   in Loop: Header=BB265_14 Depth=1
	v_cmp_ne_u16_e64 s[4:5], s60, v49
	v_bfrev_b32_e32 v47, 1
	s_and_saveexec_b64 s[48:49], s[4:5]
	s_cbranch_execz .LBB265_160
; %bb.157:                              ;   in Loop: Header=BB265_14 Depth=1
	v_and_b32_e32 v12, 0xffff, v49
	v_and_b32_e32 v50, 0x7f, v12
	v_cmp_ne_u32_e64 s[4:5], s61, v50
	v_mov_b32_e32 v47, 0x7f800001
	s_and_saveexec_b64 s[50:51], s[4:5]
	s_cbranch_execz .LBB265_159
; %bb.158:                              ;   in Loop: Header=BB265_14 Depth=1
	v_and_b32_e32 v47, 7, v12
	v_ffbh_u32_e32 v52, v47
	v_min_u32_e32 v54, 32, v52
	v_subrev_u32_e32 v52, 28, v54
	v_lshlrev_b64 v[52:53], v52, v[12:13]
	v_lshrrev_b32_e32 v51, 3, v50
	v_sub_u32_e32 v12, 29, v54
	v_and_b32_e32 v52, 7, v52
	v_cmp_gt_u32_e64 s[4:5], 8, v50
	v_cndmask_b32_e64 v12, v51, v12, s[4:5]
	v_cndmask_b32_e64 v47, v47, v52, s[4:5]
	v_lshlrev_b32_e32 v49, 24, v49
	v_lshlrev_b32_e32 v47, 20, v47
	v_and_b32_e32 v49, 0x80000000, v49
	v_lshl_add_u32 v12, v12, 23, v21
	v_or3_b32 v47, v49, v12, v47
.LBB265_159:                            ;   in Loop: Header=BB265_14 Depth=1
	s_or_b64 exec, exec, s[50:51]
.LBB265_160:                            ;   in Loop: Header=BB265_14 Depth=1
	s_or_b64 exec, exec, s[48:49]
.LBB265_161:                            ;   in Loop: Header=BB265_14 Depth=1
	s_or_b64 exec, exec, s[46:47]
	global_load_ubyte v51, v[10:11], off offset:1536
	v_mov_b32_e32 v49, 0
	v_mov_b32_e32 v50, 0
	s_waitcnt vmcnt(0)
	v_cmp_ne_u16_e64 s[4:5], 0, v51
	s_and_saveexec_b64 s[46:47], s[4:5]
	s_cbranch_execz .LBB265_167
; %bb.162:                              ;   in Loop: Header=BB265_14 Depth=1
	v_cmp_ne_u16_e64 s[4:5], s60, v51
	v_bfrev_b32_e32 v50, 1
	s_and_saveexec_b64 s[48:49], s[4:5]
	s_cbranch_execz .LBB265_166
; %bb.163:                              ;   in Loop: Header=BB265_14 Depth=1
	v_and_b32_e32 v12, 0xffff, v51
	v_and_b32_e32 v52, 0x7f, v12
	v_cmp_ne_u32_e64 s[4:5], s61, v52
	v_mov_b32_e32 v50, 0x7f800001
	s_and_saveexec_b64 s[50:51], s[4:5]
	s_cbranch_execz .LBB265_165
; %bb.164:                              ;   in Loop: Header=BB265_14 Depth=1
	v_and_b32_e32 v50, 7, v12
	v_ffbh_u32_e32 v54, v50
	v_min_u32_e32 v56, 32, v54
	v_subrev_u32_e32 v54, 28, v56
	v_lshlrev_b64 v[54:55], v54, v[12:13]
	v_lshrrev_b32_e32 v53, 3, v52
	v_sub_u32_e32 v12, 29, v56
	v_and_b32_e32 v54, 7, v54
	v_cmp_gt_u32_e64 s[4:5], 8, v52
	v_cndmask_b32_e64 v12, v53, v12, s[4:5]
	v_cndmask_b32_e64 v50, v50, v54, s[4:5]
	v_lshlrev_b32_e32 v51, 24, v51
	v_lshlrev_b32_e32 v50, 20, v50
	v_and_b32_e32 v51, 0x80000000, v51
	v_lshl_add_u32 v12, v12, 23, v21
	v_or3_b32 v50, v51, v12, v50
.LBB265_165:                            ;   in Loop: Header=BB265_14 Depth=1
	s_or_b64 exec, exec, s[50:51]
.LBB265_166:                            ;   in Loop: Header=BB265_14 Depth=1
	s_or_b64 exec, exec, s[48:49]
.LBB265_167:                            ;   in Loop: Header=BB265_14 Depth=1
	s_or_b64 exec, exec, s[46:47]
	global_load_ubyte v51, v[10:11], off offset:1544
	s_waitcnt vmcnt(0)
	v_cmp_ne_u16_e64 s[4:5], 0, v51
	s_and_saveexec_b64 s[46:47], s[4:5]
	s_cbranch_execz .LBB265_173
; %bb.168:                              ;   in Loop: Header=BB265_14 Depth=1
	v_cmp_ne_u16_e64 s[4:5], s60, v51
	v_bfrev_b32_e32 v49, 1
	s_and_saveexec_b64 s[48:49], s[4:5]
	s_cbranch_execz .LBB265_172
; %bb.169:                              ;   in Loop: Header=BB265_14 Depth=1
	v_and_b32_e32 v12, 0xffff, v51
	v_and_b32_e32 v52, 0x7f, v12
	v_cmp_ne_u32_e64 s[4:5], s61, v52
	v_mov_b32_e32 v49, 0x7f800001
	s_and_saveexec_b64 s[50:51], s[4:5]
	s_cbranch_execz .LBB265_171
; %bb.170:                              ;   in Loop: Header=BB265_14 Depth=1
	v_and_b32_e32 v49, 7, v12
	v_ffbh_u32_e32 v54, v49
	v_min_u32_e32 v56, 32, v54
	v_subrev_u32_e32 v54, 28, v56
	v_lshlrev_b64 v[54:55], v54, v[12:13]
	v_lshrrev_b32_e32 v53, 3, v52
	v_sub_u32_e32 v12, 29, v56
	v_and_b32_e32 v54, 7, v54
	v_cmp_gt_u32_e64 s[4:5], 8, v52
	v_cndmask_b32_e64 v12, v53, v12, s[4:5]
	v_cndmask_b32_e64 v49, v49, v54, s[4:5]
	v_lshlrev_b32_e32 v51, 24, v51
	v_lshlrev_b32_e32 v49, 20, v49
	v_and_b32_e32 v51, 0x80000000, v51
	v_lshl_add_u32 v12, v12, 23, v21
	v_or3_b32 v49, v51, v12, v49
.LBB265_171:                            ;   in Loop: Header=BB265_14 Depth=1
	s_or_b64 exec, exec, s[50:51]
.LBB265_172:                            ;   in Loop: Header=BB265_14 Depth=1
	s_or_b64 exec, exec, s[48:49]
.LBB265_173:                            ;   in Loop: Header=BB265_14 Depth=1
	s_or_b64 exec, exec, s[46:47]
	global_load_ubyte v53, v[10:11], off offset:1664
	v_mov_b32_e32 v52, 0
	v_mov_b32_e32 v51, 0
	s_waitcnt vmcnt(0)
	v_cmp_ne_u16_e64 s[4:5], 0, v53
	s_and_saveexec_b64 s[46:47], s[4:5]
	s_cbranch_execz .LBB265_179
; %bb.174:                              ;   in Loop: Header=BB265_14 Depth=1
	v_cmp_ne_u16_e64 s[4:5], s60, v53
	v_bfrev_b32_e32 v51, 1
	s_and_saveexec_b64 s[48:49], s[4:5]
	s_cbranch_execz .LBB265_178
; %bb.175:                              ;   in Loop: Header=BB265_14 Depth=1
	v_and_b32_e32 v12, 0xffff, v53
	v_and_b32_e32 v54, 0x7f, v12
	v_cmp_ne_u32_e64 s[4:5], s61, v54
	v_mov_b32_e32 v51, 0x7f800001
	s_and_saveexec_b64 s[50:51], s[4:5]
	s_cbranch_execz .LBB265_177
; %bb.176:                              ;   in Loop: Header=BB265_14 Depth=1
	v_and_b32_e32 v51, 7, v12
	v_ffbh_u32_e32 v56, v51
	v_min_u32_e32 v58, 32, v56
	v_subrev_u32_e32 v56, 28, v58
	v_lshlrev_b64 v[56:57], v56, v[12:13]
	v_lshrrev_b32_e32 v55, 3, v54
	v_sub_u32_e32 v12, 29, v58
	v_and_b32_e32 v56, 7, v56
	v_cmp_gt_u32_e64 s[4:5], 8, v54
	v_cndmask_b32_e64 v12, v55, v12, s[4:5]
	v_cndmask_b32_e64 v51, v51, v56, s[4:5]
	v_lshlrev_b32_e32 v53, 24, v53
	v_lshlrev_b32_e32 v51, 20, v51
	v_and_b32_e32 v53, 0x80000000, v53
	v_lshl_add_u32 v12, v12, 23, v21
	v_or3_b32 v51, v53, v12, v51
.LBB265_177:                            ;   in Loop: Header=BB265_14 Depth=1
	s_or_b64 exec, exec, s[50:51]
.LBB265_178:                            ;   in Loop: Header=BB265_14 Depth=1
	s_or_b64 exec, exec, s[48:49]
.LBB265_179:                            ;   in Loop: Header=BB265_14 Depth=1
	s_or_b64 exec, exec, s[46:47]
	global_load_ubyte v53, v[10:11], off offset:1672
	s_waitcnt vmcnt(0)
	v_cmp_ne_u16_e64 s[4:5], 0, v53
	s_and_saveexec_b64 s[46:47], s[4:5]
	s_cbranch_execz .LBB265_185
; %bb.180:                              ;   in Loop: Header=BB265_14 Depth=1
	v_cmp_ne_u16_e64 s[4:5], s60, v53
	v_bfrev_b32_e32 v52, 1
	s_and_saveexec_b64 s[48:49], s[4:5]
	s_cbranch_execz .LBB265_184
; %bb.181:                              ;   in Loop: Header=BB265_14 Depth=1
	v_and_b32_e32 v12, 0xffff, v53
	v_and_b32_e32 v54, 0x7f, v12
	v_cmp_ne_u32_e64 s[4:5], s61, v54
	v_mov_b32_e32 v52, 0x7f800001
	s_and_saveexec_b64 s[50:51], s[4:5]
	s_cbranch_execz .LBB265_183
; %bb.182:                              ;   in Loop: Header=BB265_14 Depth=1
	v_and_b32_e32 v52, 7, v12
	v_ffbh_u32_e32 v56, v52
	v_min_u32_e32 v58, 32, v56
	v_subrev_u32_e32 v56, 28, v58
	v_lshlrev_b64 v[56:57], v56, v[12:13]
	v_lshrrev_b32_e32 v55, 3, v54
	v_sub_u32_e32 v12, 29, v58
	v_and_b32_e32 v56, 7, v56
	v_cmp_gt_u32_e64 s[4:5], 8, v54
	v_cndmask_b32_e64 v12, v55, v12, s[4:5]
	v_cndmask_b32_e64 v52, v52, v56, s[4:5]
	v_lshlrev_b32_e32 v53, 24, v53
	v_lshlrev_b32_e32 v52, 20, v52
	v_and_b32_e32 v53, 0x80000000, v53
	v_lshl_add_u32 v12, v12, 23, v21
	v_or3_b32 v52, v53, v12, v52
.LBB265_183:                            ;   in Loop: Header=BB265_14 Depth=1
	s_or_b64 exec, exec, s[50:51]
.LBB265_184:                            ;   in Loop: Header=BB265_14 Depth=1
	s_or_b64 exec, exec, s[48:49]
.LBB265_185:                            ;   in Loop: Header=BB265_14 Depth=1
	s_or_b64 exec, exec, s[46:47]
	global_load_ubyte v55, v[10:11], off offset:1792
	v_mov_b32_e32 v53, 0
	v_mov_b32_e32 v54, 0
	s_waitcnt vmcnt(0)
	v_cmp_ne_u16_e64 s[4:5], 0, v55
	s_and_saveexec_b64 s[46:47], s[4:5]
	s_cbranch_execz .LBB265_191
; %bb.186:                              ;   in Loop: Header=BB265_14 Depth=1
	v_cmp_ne_u16_e64 s[4:5], s60, v55
	v_bfrev_b32_e32 v54, 1
	s_and_saveexec_b64 s[48:49], s[4:5]
	s_cbranch_execz .LBB265_190
; %bb.187:                              ;   in Loop: Header=BB265_14 Depth=1
	v_and_b32_e32 v12, 0xffff, v55
	v_and_b32_e32 v56, 0x7f, v12
	v_cmp_ne_u32_e64 s[4:5], s61, v56
	v_mov_b32_e32 v54, 0x7f800001
	s_and_saveexec_b64 s[50:51], s[4:5]
	s_cbranch_execz .LBB265_189
; %bb.188:                              ;   in Loop: Header=BB265_14 Depth=1
	v_and_b32_e32 v54, 7, v12
	v_ffbh_u32_e32 v58, v54
	v_min_u32_e32 v60, 32, v58
	v_subrev_u32_e32 v58, 28, v60
	v_lshlrev_b64 v[58:59], v58, v[12:13]
	v_lshrrev_b32_e32 v57, 3, v56
	v_sub_u32_e32 v12, 29, v60
	v_and_b32_e32 v58, 7, v58
	v_cmp_gt_u32_e64 s[4:5], 8, v56
	v_cndmask_b32_e64 v12, v57, v12, s[4:5]
	v_cndmask_b32_e64 v54, v54, v58, s[4:5]
	v_lshlrev_b32_e32 v55, 24, v55
	v_lshlrev_b32_e32 v54, 20, v54
	v_and_b32_e32 v55, 0x80000000, v55
	v_lshl_add_u32 v12, v12, 23, v21
	v_or3_b32 v54, v55, v12, v54
.LBB265_189:                            ;   in Loop: Header=BB265_14 Depth=1
	s_or_b64 exec, exec, s[50:51]
.LBB265_190:                            ;   in Loop: Header=BB265_14 Depth=1
	s_or_b64 exec, exec, s[48:49]
.LBB265_191:                            ;   in Loop: Header=BB265_14 Depth=1
	s_or_b64 exec, exec, s[46:47]
	global_load_ubyte v55, v[10:11], off offset:1800
	s_waitcnt vmcnt(0)
	v_cmp_ne_u16_e64 s[4:5], 0, v55
	s_and_saveexec_b64 s[46:47], s[4:5]
	s_cbranch_execz .LBB265_197
; %bb.192:                              ;   in Loop: Header=BB265_14 Depth=1
	v_cmp_ne_u16_e64 s[4:5], s60, v55
	v_bfrev_b32_e32 v53, 1
	s_and_saveexec_b64 s[48:49], s[4:5]
	s_cbranch_execz .LBB265_196
; %bb.193:                              ;   in Loop: Header=BB265_14 Depth=1
	v_and_b32_e32 v12, 0xffff, v55
	v_and_b32_e32 v56, 0x7f, v12
	v_cmp_ne_u32_e64 s[4:5], s61, v56
	v_mov_b32_e32 v53, 0x7f800001
	s_and_saveexec_b64 s[50:51], s[4:5]
	s_cbranch_execz .LBB265_195
; %bb.194:                              ;   in Loop: Header=BB265_14 Depth=1
	v_and_b32_e32 v53, 7, v12
	v_ffbh_u32_e32 v58, v53
	v_min_u32_e32 v60, 32, v58
	v_subrev_u32_e32 v58, 28, v60
	v_lshlrev_b64 v[58:59], v58, v[12:13]
	v_lshrrev_b32_e32 v57, 3, v56
	v_sub_u32_e32 v12, 29, v60
	v_and_b32_e32 v58, 7, v58
	v_cmp_gt_u32_e64 s[4:5], 8, v56
	v_cndmask_b32_e64 v12, v57, v12, s[4:5]
	v_cndmask_b32_e64 v53, v53, v58, s[4:5]
	v_lshlrev_b32_e32 v55, 24, v55
	v_lshlrev_b32_e32 v53, 20, v53
	v_and_b32_e32 v55, 0x80000000, v55
	v_lshl_add_u32 v12, v12, 23, v21
	v_or3_b32 v53, v55, v12, v53
.LBB265_195:                            ;   in Loop: Header=BB265_14 Depth=1
	s_or_b64 exec, exec, s[50:51]
.LBB265_196:                            ;   in Loop: Header=BB265_14 Depth=1
	s_or_b64 exec, exec, s[48:49]
.LBB265_197:                            ;   in Loop: Header=BB265_14 Depth=1
	s_or_b64 exec, exec, s[46:47]
	global_load_ubyte v57, v[10:11], off offset:1920
	v_mov_b32_e32 v55, 0
	v_mov_b32_e32 v56, 0
	s_waitcnt vmcnt(0)
	v_cmp_ne_u16_e64 s[4:5], 0, v57
	s_and_saveexec_b64 s[46:47], s[4:5]
	s_cbranch_execz .LBB265_203
; %bb.198:                              ;   in Loop: Header=BB265_14 Depth=1
	v_cmp_ne_u16_e64 s[4:5], s60, v57
	v_bfrev_b32_e32 v56, 1
	s_and_saveexec_b64 s[48:49], s[4:5]
	s_cbranch_execz .LBB265_202
; %bb.199:                              ;   in Loop: Header=BB265_14 Depth=1
	v_and_b32_e32 v12, 0xffff, v57
	v_and_b32_e32 v58, 0x7f, v12
	v_cmp_ne_u32_e64 s[4:5], s61, v58
	v_mov_b32_e32 v56, 0x7f800001
	s_and_saveexec_b64 s[50:51], s[4:5]
	s_cbranch_execz .LBB265_201
; %bb.200:                              ;   in Loop: Header=BB265_14 Depth=1
	v_and_b32_e32 v56, 7, v12
	v_ffbh_u32_e32 v60, v56
	v_min_u32_e32 v62, 32, v60
	v_subrev_u32_e32 v60, 28, v62
	v_lshlrev_b64 v[60:61], v60, v[12:13]
	v_lshrrev_b32_e32 v59, 3, v58
	v_sub_u32_e32 v12, 29, v62
	v_and_b32_e32 v60, 7, v60
	v_cmp_gt_u32_e64 s[4:5], 8, v58
	v_cndmask_b32_e64 v12, v59, v12, s[4:5]
	v_cndmask_b32_e64 v56, v56, v60, s[4:5]
	v_lshlrev_b32_e32 v57, 24, v57
	v_lshlrev_b32_e32 v56, 20, v56
	v_and_b32_e32 v57, 0x80000000, v57
	v_lshl_add_u32 v12, v12, 23, v21
	v_or3_b32 v56, v57, v12, v56
.LBB265_201:                            ;   in Loop: Header=BB265_14 Depth=1
	s_or_b64 exec, exec, s[50:51]
.LBB265_202:                            ;   in Loop: Header=BB265_14 Depth=1
	s_or_b64 exec, exec, s[48:49]
.LBB265_203:                            ;   in Loop: Header=BB265_14 Depth=1
	s_or_b64 exec, exec, s[46:47]
	global_load_ubyte v11, v[10:11], off offset:1928
	s_waitcnt vmcnt(0)
	v_cmp_ne_u16_e64 s[4:5], 0, v11
	s_and_saveexec_b64 s[46:47], s[4:5]
	s_cbranch_execz .LBB265_209
; %bb.204:                              ;   in Loop: Header=BB265_14 Depth=1
	v_cmp_ne_u16_e64 s[4:5], s60, v11
	v_bfrev_b32_e32 v55, 1
	s_and_saveexec_b64 s[48:49], s[4:5]
	s_cbranch_execz .LBB265_208
; %bb.205:                              ;   in Loop: Header=BB265_14 Depth=1
	v_and_b32_e32 v10, 0xffff, v11
	v_and_b32_e32 v12, 0x7f, v10
	v_cmp_ne_u32_e64 s[4:5], s61, v12
	v_mov_b32_e32 v55, 0x7f800001
	s_and_saveexec_b64 s[50:51], s[4:5]
	s_cbranch_execz .LBB265_207
; %bb.206:                              ;   in Loop: Header=BB265_14 Depth=1
	v_and_b32_e32 v55, 7, v10
	v_ffbh_u32_e32 v58, v55
	v_min_u32_e32 v60, 32, v58
	v_subrev_u32_e32 v58, 28, v60
	v_lshlrev_b64 v[58:59], v58, v[10:11]
	v_lshrrev_b32_e32 v57, 3, v12
	v_sub_u32_e32 v10, 29, v60
	v_and_b32_e32 v58, 7, v58
	v_cmp_gt_u32_e64 s[4:5], 8, v12
	v_cndmask_b32_e64 v10, v57, v10, s[4:5]
	v_cndmask_b32_e64 v12, v55, v58, s[4:5]
	v_lshlrev_b32_e32 v11, 24, v11
	v_lshlrev_b32_e32 v12, 20, v12
	v_and_b32_e32 v11, 0x80000000, v11
	v_lshl_add_u32 v10, v10, 23, v21
	v_or3_b32 v55, v11, v10, v12
.LBB265_207:                            ;   in Loop: Header=BB265_14 Depth=1
	s_or_b64 exec, exec, s[50:51]
.LBB265_208:                            ;   in Loop: Header=BB265_14 Depth=1
	s_or_b64 exec, exec, s[48:49]
.LBB265_209:                            ;   in Loop: Header=BB265_14 Depth=1
	s_or_b64 exec, exec, s[46:47]
	v_fma_mixlo_f16 v11, v24, v26, 0
	ds_read_u16 v10, v15
	v_and_b32_e32 v11, 0xffff, v11
	s_waitcnt lgkmcnt(0)
	;;#ASMSTART
	v_cvt_f32_f16 v10, v10;
	;;#ASMEND
	;;#ASMSTART
	v_cvt_f32_f16 v11, v11;
	;;#ASMEND
	ds_read_u16 v12, v15 offset:2
	v_fma_mixlo_f16 v25, v24, v25, 0
	v_and_b32_e32 v25, 0xffff, v25
	s_waitcnt lgkmcnt(0)
	;;#ASMSTART
	v_cvt_f32_f16 v12, v12;
	;;#ASMEND
	;;#ASMSTART
	v_cvt_f32_f16 v25, v25;
	;;#ASMEND
	v_fma_mixlo_f16 v28, v24, v28, 0
	v_mul_f32_e32 v12, v12, v25
	ds_read_u16 v26, v15 offset:4
	v_and_b32_e32 v28, 0xffff, v28
	v_fma_mixlo_f16 v27, v24, v27, 0
	v_fmac_f32_e32 v12, v10, v11
	s_waitcnt lgkmcnt(0)
	;;#ASMSTART
	v_cvt_f32_f16 v26, v26;
	;;#ASMEND
	;;#ASMSTART
	v_cvt_f32_f16 v28, v28;
	;;#ASMEND
	ds_read_u16 v57, v15 offset:6
	v_and_b32_e32 v27, 0xffff, v27
	v_fma_mixlo_f16 v30, v24, v30, 0
	v_fmac_f32_e32 v12, v26, v28
	s_waitcnt lgkmcnt(0)
	;;#ASMSTART
	v_cvt_f32_f16 v57, v57;
	;;#ASMEND
	;;#ASMSTART
	v_cvt_f32_f16 v27, v27;
	;;#ASMEND
	ds_read_u16 v58, v15 offset:8
	v_and_b32_e32 v30, 0xffff, v30
	v_fma_mixlo_f16 v29, v24, v29, 0
	v_fmac_f32_e32 v12, v57, v27
	s_waitcnt lgkmcnt(0)
	;;#ASMSTART
	v_cvt_f32_f16 v58, v58;
	;;#ASMEND
	;;#ASMSTART
	v_cvt_f32_f16 v30, v30;
	;;#ASMEND
	ds_read_u16 v59, v15 offset:10
	v_and_b32_e32 v29, 0xffff, v29
	v_fma_mixlo_f16 v32, v24, v32, 0
	v_fmac_f32_e32 v12, v58, v30
	s_waitcnt lgkmcnt(0)
	;;#ASMSTART
	v_cvt_f32_f16 v59, v59;
	;;#ASMEND
	;;#ASMSTART
	v_cvt_f32_f16 v29, v29;
	;;#ASMEND
	ds_read_u16 v60, v15 offset:12
	v_and_b32_e32 v32, 0xffff, v32
	v_fma_mixlo_f16 v31, v24, v31, 0
	v_fmac_f32_e32 v12, v59, v29
	s_waitcnt lgkmcnt(0)
	;;#ASMSTART
	v_cvt_f32_f16 v60, v60;
	;;#ASMEND
	;;#ASMSTART
	v_cvt_f32_f16 v32, v32;
	;;#ASMEND
	ds_read_u16 v61, v15 offset:14
	v_and_b32_e32 v31, 0xffff, v31
	v_fma_mixlo_f16 v34, v24, v34, 0
	v_fmac_f32_e32 v12, v60, v32
	s_waitcnt lgkmcnt(0)
	;;#ASMSTART
	v_cvt_f32_f16 v61, v61;
	;;#ASMEND
	;;#ASMSTART
	v_cvt_f32_f16 v31, v31;
	;;#ASMEND
	ds_read_u16 v62, v15 offset:16
	v_and_b32_e32 v34, 0xffff, v34
	v_fma_mixlo_f16 v33, v24, v33, 0
	v_fmac_f32_e32 v12, v61, v31
	s_waitcnt lgkmcnt(0)
	;;#ASMSTART
	v_cvt_f32_f16 v62, v62;
	;;#ASMEND
	;;#ASMSTART
	v_cvt_f32_f16 v34, v34;
	;;#ASMEND
	ds_read_u16 v63, v15 offset:18
	v_and_b32_e32 v33, 0xffff, v33
	v_fma_mixlo_f16 v36, v24, v36, 0
	v_fmac_f32_e32 v12, v62, v34
	s_waitcnt lgkmcnt(0)
	;;#ASMSTART
	v_cvt_f32_f16 v63, v63;
	;;#ASMEND
	;;#ASMSTART
	v_cvt_f32_f16 v33, v33;
	;;#ASMEND
	ds_read_u16 v64, v15 offset:20
	v_and_b32_e32 v36, 0xffff, v36
	v_fma_mixlo_f16 v35, v24, v35, 0
	v_fmac_f32_e32 v12, v63, v33
	s_waitcnt lgkmcnt(0)
	;;#ASMSTART
	v_cvt_f32_f16 v64, v64;
	;;#ASMEND
	;;#ASMSTART
	v_cvt_f32_f16 v36, v36;
	;;#ASMEND
	ds_read_u16 v65, v15 offset:22
	v_and_b32_e32 v35, 0xffff, v35
	v_fma_mixlo_f16 v38, v24, v38, 0
	v_fmac_f32_e32 v12, v64, v36
	s_waitcnt lgkmcnt(0)
	;;#ASMSTART
	v_cvt_f32_f16 v65, v65;
	;;#ASMEND
	;;#ASMSTART
	v_cvt_f32_f16 v35, v35;
	;;#ASMEND
	ds_read_u16 v66, v15 offset:24
	v_and_b32_e32 v38, 0xffff, v38
	v_fma_mixlo_f16 v37, v24, v37, 0
	v_fmac_f32_e32 v12, v65, v35
	s_waitcnt lgkmcnt(0)
	;;#ASMSTART
	v_cvt_f32_f16 v66, v66;
	;;#ASMEND
	;;#ASMSTART
	v_cvt_f32_f16 v38, v38;
	;;#ASMEND
	ds_read_u16 v67, v15 offset:26
	v_and_b32_e32 v37, 0xffff, v37
	v_fma_mixlo_f16 v40, v24, v40, 0
	v_fmac_f32_e32 v12, v66, v38
	s_waitcnt lgkmcnt(0)
	;;#ASMSTART
	v_cvt_f32_f16 v67, v67;
	;;#ASMEND
	;;#ASMSTART
	v_cvt_f32_f16 v37, v37;
	;;#ASMEND
	ds_read_u16 v68, v15 offset:28
	v_and_b32_e32 v40, 0xffff, v40
	v_fma_mixlo_f16 v39, v24, v39, 0
	v_fmac_f32_e32 v12, v67, v37
	s_waitcnt lgkmcnt(0)
	;;#ASMSTART
	v_cvt_f32_f16 v68, v68;
	;;#ASMEND
	;;#ASMSTART
	v_cvt_f32_f16 v40, v40;
	;;#ASMEND
	ds_read_u16 v69, v15 offset:30
	v_and_b32_e32 v39, 0xffff, v39
	v_fma_mixlo_f16 v42, v24, v42, 0
	v_fmac_f32_e32 v12, v68, v40
	s_waitcnt lgkmcnt(0)
	;;#ASMSTART
	v_cvt_f32_f16 v69, v69;
	;;#ASMEND
	;;#ASMSTART
	v_cvt_f32_f16 v39, v39;
	;;#ASMEND
	ds_read_u16 v70, v15 offset:32
	v_and_b32_e32 v42, 0xffff, v42
	v_fma_mixlo_f16 v41, v24, v41, 0
	v_fmac_f32_e32 v12, v69, v39
	s_waitcnt lgkmcnt(0)
	;;#ASMSTART
	v_cvt_f32_f16 v70, v70;
	;;#ASMEND
	;;#ASMSTART
	v_cvt_f32_f16 v42, v42;
	;;#ASMEND
	ds_read_u16 v71, v15 offset:34
	v_and_b32_e32 v41, 0xffff, v41
	v_fma_mixlo_f16 v44, v24, v44, 0
	v_fmac_f32_e32 v12, v70, v42
	s_waitcnt lgkmcnt(0)
	;;#ASMSTART
	v_cvt_f32_f16 v71, v71;
	;;#ASMEND
	;;#ASMSTART
	v_cvt_f32_f16 v41, v41;
	;;#ASMEND
	ds_read_u16 v72, v15 offset:36
	v_and_b32_e32 v44, 0xffff, v44
	v_fma_mixlo_f16 v43, v24, v43, 0
	v_fmac_f32_e32 v12, v71, v41
	s_waitcnt lgkmcnt(0)
	;;#ASMSTART
	v_cvt_f32_f16 v72, v72;
	;;#ASMEND
	;;#ASMSTART
	v_cvt_f32_f16 v44, v44;
	;;#ASMEND
	ds_read_u16 v73, v15 offset:38
	v_and_b32_e32 v43, 0xffff, v43
	v_fma_mixlo_f16 v46, v24, v46, 0
	v_fmac_f32_e32 v12, v72, v44
	s_waitcnt lgkmcnt(0)
	;;#ASMSTART
	v_cvt_f32_f16 v73, v73;
	;;#ASMEND
	;;#ASMSTART
	v_cvt_f32_f16 v43, v43;
	;;#ASMEND
	ds_read_u16 v74, v15 offset:40
	v_and_b32_e32 v46, 0xffff, v46
	v_fma_mixlo_f16 v45, v24, v45, 0
	v_fmac_f32_e32 v12, v73, v43
	s_waitcnt lgkmcnt(0)
	;;#ASMSTART
	v_cvt_f32_f16 v74, v74;
	;;#ASMEND
	;;#ASMSTART
	v_cvt_f32_f16 v46, v46;
	;;#ASMEND
	ds_read_u16 v75, v15 offset:42
	v_and_b32_e32 v45, 0xffff, v45
	v_fma_mixlo_f16 v48, v24, v48, 0
	v_fmac_f32_e32 v12, v74, v46
	s_waitcnt lgkmcnt(0)
	;;#ASMSTART
	v_cvt_f32_f16 v75, v75;
	;;#ASMEND
	;;#ASMSTART
	v_cvt_f32_f16 v45, v45;
	;;#ASMEND
	ds_read_u16 v76, v15 offset:44
	v_and_b32_e32 v48, 0xffff, v48
	v_fma_mixlo_f16 v47, v24, v47, 0
	v_fmac_f32_e32 v12, v75, v45
	s_waitcnt lgkmcnt(0)
	;;#ASMSTART
	v_cvt_f32_f16 v76, v76;
	;;#ASMEND
	;;#ASMSTART
	v_cvt_f32_f16 v48, v48;
	;;#ASMEND
	ds_read_u16 v77, v15 offset:46
	v_fma_mixlo_f16 v50, v24, v50, 0
	v_and_b32_e32 v47, 0xffff, v47
	v_fmac_f32_e32 v12, v76, v48
	v_fma_mixlo_f16 v49, v24, v49, 0
	s_waitcnt lgkmcnt(0)
	;;#ASMSTART
	v_cvt_f32_f16 v77, v77;
	;;#ASMEND
	;;#ASMSTART
	v_cvt_f32_f16 v47, v47;
	;;#ASMEND
	v_and_b32_e32 v11, 0xffff, v50
	v_fmac_f32_e32 v12, v77, v47
	v_fma_mixlo_f16 v51, v24, v51, 0
	ds_read_u16 v78, v15 offset:48
	s_waitcnt lgkmcnt(0)
	;;#ASMSTART
	v_cvt_f32_f16 v10, v78;
	;;#ASMEND
	;;#ASMSTART
	v_cvt_f32_f16 v11, v11;
	;;#ASMEND
	ds_read_u16 v25, v15 offset:50
	v_and_b32_e32 v26, 0xffff, v49
	v_fmac_f32_e32 v12, v10, v11
	v_fma_mixlo_f16 v52, v24, v52, 0
	s_waitcnt lgkmcnt(0)
	;;#ASMSTART
	v_cvt_f32_f16 v25, v25;
	;;#ASMEND
	;;#ASMSTART
	v_cvt_f32_f16 v26, v26;
	;;#ASMEND
	ds_read_u16 v27, v15 offset:52
	v_and_b32_e32 v28, 0xffff, v51
	v_fmac_f32_e32 v12, v25, v26
	v_fma_mixlo_f16 v54, v24, v54, 0
	;; [unrolled: 11-line block ×3, first 2 shown]
	v_fma_mixlo_f16 v53, v24, v53, 0
	s_waitcnt lgkmcnt(0)
	;;#ASMSTART
	v_cvt_f32_f16 v29, v29;
	;;#ASMEND
	;;#ASMSTART
	v_cvt_f32_f16 v30, v30;
	;;#ASMEND
	ds_read_u16 v31, v15 offset:56
	v_and_b32_e32 v32, 0xffff, v54
	v_fmac_f32_e32 v12, v29, v30
	s_waitcnt lgkmcnt(0)
	;;#ASMSTART
	v_cvt_f32_f16 v31, v31;
	;;#ASMEND
	;;#ASMSTART
	v_cvt_f32_f16 v32, v32;
	;;#ASMEND
	ds_read_u16 v33, v15 offset:58
	v_and_b32_e32 v34, 0xffff, v53
	v_and_b32_e32 v11, 0xffff, v56
	v_fmac_f32_e32 v12, v31, v32
	v_fma_mixlo_f16 v24, v24, v55, 0
	s_waitcnt lgkmcnt(0)
	;;#ASMSTART
	v_cvt_f32_f16 v33, v33;
	;;#ASMEND
	;;#ASMSTART
	v_cvt_f32_f16 v34, v34;
	;;#ASMEND
	ds_read_u16 v35, v15 offset:60
	s_waitcnt lgkmcnt(0)
	;;#ASMSTART
	v_cvt_f32_f16 v10, v35;
	;;#ASMEND
	;;#ASMSTART
	v_cvt_f32_f16 v11, v11;
	;;#ASMEND
	v_fmac_f32_e32 v12, v33, v34
	ds_read_u16 v25, v15 offset:62
	v_fmac_f32_e32 v12, v10, v11
	s_waitcnt lgkmcnt(0)
	;;#ASMSTART
	v_cvt_f32_f16 v10, v25;
	;;#ASMEND
	v_and_b32_e32 v11, 0xffff, v24
	;;#ASMSTART
	v_cvt_f32_f16 v11, v11;
	;;#ASMEND
	v_fmac_f32_e32 v12, v10, v11
	v_and_b32_e32 v10, 64, v22
	v_add_u32_e32 v11, 64, v10
	v_xor_b32_e32 v10, 4, v22
	v_cmp_lt_i32_e64 s[4:5], v10, v11
	v_cndmask_b32_e64 v10, v22, v10, s[4:5]
	v_lshlrev_b32_e32 v10, 2, v10
	ds_bpermute_b32 v10, v10, v12
	s_waitcnt lgkmcnt(0)
	v_add_f32_e32 v10, v12, v10
	v_xor_b32_e32 v12, 2, v22
	v_cmp_lt_i32_e64 s[4:5], v12, v11
	v_cndmask_b32_e64 v12, v22, v12, s[4:5]
	v_lshlrev_b32_e32 v12, 2, v12
	ds_bpermute_b32 v12, v12, v10
	s_waitcnt lgkmcnt(0)
	v_add_f32_e32 v10, v10, v12
	v_xor_b32_e32 v12, 1, v22
	v_cmp_lt_i32_e64 s[4:5], v12, v11
	v_cndmask_b32_e64 v11, v22, v12, s[4:5]
	v_lshlrev_b32_e32 v11, 2, v11
	ds_bpermute_b32 v11, v11, v10
	s_and_saveexec_b64 s[46:47], vcc
	s_cbranch_execz .LBB265_12
; %bb.210:                              ;   in Loop: Header=BB265_14 Depth=1
	v_add_u32_e32 v12, v20, v18
	v_cvt_f32_i32_e32 v12, v12
	s_waitcnt lgkmcnt(0)
	v_add_f32_e32 v10, v10, v11
	v_add_u32_e32 v24, v14, v18
	v_cmp_gt_i32_e64 s[4:5], s41, v24
	v_mul_f32_e32 v11, s7, v12
	v_cndmask_b32_e64 v11, 0, v11, s[2:3]
	v_fmac_f32_e32 v11, s45, v10
	v_cndmask_b32_e64 v10, 0, v11, s[4:5]
	ds_write_b32 v19, v10
	v_max_f32_e32 v10, v16, v16
	v_max_f32_e32 v10, v10, v11
	v_cndmask_b32_e64 v16, v16, v10, s[4:5]
	s_branch .LBB265_12
.LBB265_211:
	s_or_b64 exec, exec, s[20:21]
.LBB265_212:
	s_or_b64 exec, exec, s[18:19]
	v_mbcnt_hi_u32_b32 v2, -1, v3
	v_and_b32_e32 v3, 64, v2
	v_add_u32_e32 v3, 64, v3
	v_xor_b32_e32 v4, 32, v2
	v_cmp_lt_i32_e32 vcc, v4, v3
	v_cndmask_b32_e32 v4, v2, v4, vcc
	v_lshlrev_b32_e32 v8, 2, v4
	ds_bpermute_b32 v4, v8, v16
	v_xor_b32_e32 v9, 16, v2
	v_max_f32_e32 v5, v16, v16
	v_cmp_lt_i32_e32 vcc, v9, v3
	v_and_b32_e32 v17, 63, v0
	s_waitcnt lgkmcnt(0)
	v_max_f32_e32 v4, v4, v4
	v_max_f32_e32 v4, v5, v4
	v_cndmask_b32_e32 v5, v2, v9, vcc
	v_lshlrev_b32_e32 v10, 2, v5
	ds_bpermute_b32 v5, v10, v4
	v_xor_b32_e32 v9, 8, v2
	v_cmp_lt_i32_e32 vcc, v9, v3
	s_waitcnt lgkmcnt(0)
	v_max_f32_e32 v5, v5, v5
	v_max_f32_e32 v4, v4, v5
	v_cndmask_b32_e32 v5, v2, v9, vcc
	v_lshlrev_b32_e32 v11, 2, v5
	ds_bpermute_b32 v9, v11, v4
	v_cmp_eq_u32_e32 vcc, 0, v17
	v_lshlrev_b32_e32 v5, 2, v13
	s_and_saveexec_b64 s[2:3], vcc
	s_cbranch_execz .LBB265_214
; %bb.213:
	s_waitcnt lgkmcnt(0)
	v_max_f32_e32 v9, v9, v9
	v_max_f32_e32 v4, v4, v4
	;; [unrolled: 1-line block ×3, first 2 shown]
	ds_write_b32 v5, v4 offset:512
.LBB265_214:
	s_or_b64 exec, exec, s[2:3]
	v_cmp_gt_u32_e64 s[2:3], 2, v17
	v_mov_b32_e32 v4, 0xff7fffff
	s_waitcnt lgkmcnt(0)
	v_lshlrev_b32_e32 v9, 2, v17
	s_barrier
	s_and_saveexec_b64 s[4:5], s[2:3]
	s_cbranch_execz .LBB265_216
; %bb.215:
	ds_read_b32 v4, v9 offset:512
.LBB265_216:
	s_or_b64 exec, exec, s[4:5]
	v_xor_b32_e32 v12, 1, v2
	v_cmp_lt_i32_e64 s[4:5], v12, v3
	v_cndmask_b32_e64 v12, v2, v12, s[4:5]
	v_lshlrev_b32_e32 v12, 2, v12
	s_waitcnt lgkmcnt(0)
	ds_bpermute_b32 v14, v12, v4
	v_max_f32_e32 v4, v4, v4
	s_sub_i32 s4, s28, s56
	s_lshl_b32 s4, s4, 3
	s_add_i32 s4, s4, s55
	s_waitcnt lgkmcnt(0)
	v_max_f32_e32 v14, v14, v14
	v_max_f32_e32 v4, v4, v14
	v_lshlrev_b32_e32 v14, 2, v2
	v_and_b32_e32 v14, 0x100, v14
	ds_bpermute_b32 v4, v14, v4
	s_min_i32 s20, s4, s41
	s_sub_i32 s7, s20, s55
	v_cmp_gt_i32_e64 s[4:5], s7, v0
	v_mov_b32_e32 v15, 0
	s_and_saveexec_b64 s[12:13], s[4:5]
	s_cbranch_execz .LBB265_220
; %bb.217:
	v_mov_b32_e32 v15, 0x210
	v_lshl_add_u32 v16, v0, 2, v15
	s_mov_b64 s[18:19], 0
	v_mov_b32_e32 v15, 0
	v_mov_b32_e32 v18, v0
.LBB265_218:                            ; =>This Inner Loop Header: Depth=1
	ds_read_b32 v19, v16
	v_add_u32_e32 v18, 0x80, v18
	v_cmp_le_i32_e64 s[10:11], s7, v18
	s_or_b64 s[18:19], s[10:11], s[18:19]
	s_waitcnt lgkmcnt(0)
	v_sub_f32_e32 v19, v19, v4
	v_mul_f32_e32 v19, 0x3fb8aa3b, v19
	v_exp_f32_e32 v19, v19
	ds_write_b32 v16, v19
	v_add_f32_e32 v15, v15, v19
	v_add_u32_e32 v16, 0x200, v16
	s_andn2_b64 exec, exec, s[18:19]
	s_cbranch_execnz .LBB265_218
; %bb.219:
	s_or_b64 exec, exec, s[18:19]
.LBB265_220:
	s_or_b64 exec, exec, s[12:13]
	ds_bpermute_b32 v8, v8, v15
	s_waitcnt lgkmcnt(0)
	v_add_f32_e32 v8, v15, v8
	ds_bpermute_b32 v10, v10, v8
	s_waitcnt lgkmcnt(0)
	v_add_f32_e32 v8, v8, v10
	ds_bpermute_b32 v10, v11, v8
	v_xor_b32_e32 v11, 4, v2
	v_cmp_lt_i32_e64 s[10:11], v11, v3
	v_cndmask_b32_e64 v11, v2, v11, s[10:11]
	v_lshlrev_b32_e32 v11, 2, v11
	s_waitcnt lgkmcnt(0)
	v_add_f32_e32 v8, v8, v10
	ds_bpermute_b32 v10, v11, v8
	v_xor_b32_e32 v11, 2, v2
	v_cmp_lt_i32_e64 s[10:11], v11, v3
	v_cndmask_b32_e64 v2, v2, v11, s[10:11]
	v_lshlrev_b32_e32 v2, 2, v2
	s_waitcnt lgkmcnt(0)
	v_add_f32_e32 v3, v8, v10
	ds_bpermute_b32 v2, v2, v3
	s_waitcnt lgkmcnt(0)
	v_add_f32_e32 v2, v3, v2
	ds_bpermute_b32 v3, v12, v2
	s_waitcnt lgkmcnt(0)
	v_add_f32_e32 v2, v2, v3
	s_and_saveexec_b64 s[10:11], vcc
	s_cbranch_execz .LBB265_222
; %bb.221:
	ds_write_b32 v5, v2 offset:520
.LBB265_222:
	s_or_b64 exec, exec, s[10:11]
	s_waitcnt lgkmcnt(0)
	s_barrier
	s_and_saveexec_b64 s[10:11], s[2:3]
	s_cbranch_execz .LBB265_224
; %bb.223:
	ds_read_b32 v2, v9 offset:520
.LBB265_224:
	s_or_b64 exec, exec, s[10:11]
	s_waitcnt lgkmcnt(0)
	ds_bpermute_b32 v3, v12, v2
	s_waitcnt lgkmcnt(0)
	v_add_f32_e32 v2, v2, v3
	ds_bpermute_b32 v5, v14, v2
	s_and_saveexec_b64 s[2:3], s[4:5]
	s_cbranch_execz .LBB265_237
; %bb.225:
	s_waitcnt lgkmcnt(0)
	v_add_f32_e32 v2, 0x358637bd, v5
	v_div_scale_f32 v3, s[4:5], v2, v2, 1.0
	v_rcp_f32_e32 v8, v3
	v_div_scale_f32 v9, vcc, 1.0, v2, 1.0
	s_movk_i32 s4, 0x7f
	v_fma_f32 v10, -v3, v8, 1.0
	v_fmac_f32_e32 v8, v10, v8
	v_mul_f32_e32 v10, v9, v8
	v_fma_f32 v11, -v3, v10, v9
	v_fmac_f32_e32 v10, v11, v8
	v_fma_f32 v3, -v3, v10, v9
	v_div_fmas_f32 v3, v3, v8, v10
	v_div_fixup_f32 v2, v3, v2, 1.0
	v_xad_u32 v3, v0, -1, s20
	v_subrev_u32_e32 v8, s55, v3
	v_cmp_lt_u32_e32 vcc, s4, v8
	s_mov_b64 s[10:11], -1
	v_mov_b32_e32 v3, v0
	s_and_saveexec_b64 s[4:5], vcc
	s_cbranch_execz .LBB265_234
; %bb.226:
	v_lshrrev_b32_e32 v8, 7, v8
	v_add_u32_e32 v10, -1, v8
	v_lshrrev_b32_e32 v9, 1, v10
	v_mov_b32_e32 v3, v2
	v_add_u32_e32 v9, 1, v9
	v_cmp_lt_u32_e32 vcc, 13, v10
	v_mov_b32_e32 v12, 0
	s_and_saveexec_b64 s[10:11], vcc
	s_cbranch_execz .LBB265_230
; %bb.227:
	v_mov_b32_e32 v11, 0x210
	v_and_b32_e32 v10, -8, v9
	v_lshl_add_u32 v11, v0, 2, v11
	s_mov_b32 s18, 0
	s_mov_b64 s[12:13], 0
.LBB265_228:                            ; =>This Inner Loop Header: Depth=1
	ds_read2st64_b32 v[14:15], v11 offset1:2
	ds_read2st64_b32 v[18:19], v11 offset0:4 offset1:6
	ds_read2st64_b32 v[20:21], v11 offset0:8 offset1:10
	;; [unrolled: 1-line block ×3, first 2 shown]
	v_add_u32_e32 v10, -8, v10
	s_waitcnt lgkmcnt(3)
	v_pk_mul_f32 v[14:15], v[2:3], v[14:15]
	s_waitcnt lgkmcnt(2)
	v_pk_mul_f32 v[18:19], v[2:3], v[18:19]
	ds_write2st64_b32 v11, v14, v15 offset1:2
	ds_write2st64_b32 v11, v18, v19 offset0:4 offset1:6
	ds_read2st64_b32 v[18:19], v11 offset0:16 offset1:18
	s_waitcnt lgkmcnt(4)
	v_pk_mul_f32 v[14:15], v[2:3], v[20:21]
	ds_write2st64_b32 v11, v14, v15 offset0:8 offset1:10
	s_waitcnt lgkmcnt(4)
	v_pk_mul_f32 v[14:15], v[2:3], v[22:23]
	ds_write2st64_b32 v11, v14, v15 offset0:12 offset1:14
	ds_read2st64_b32 v[14:15], v11 offset0:20 offset1:22
	s_waitcnt lgkmcnt(3)
	v_pk_mul_f32 v[18:19], v[2:3], v[18:19]
	ds_read2st64_b32 v[20:21], v11 offset0:24 offset1:26
	ds_write2st64_b32 v11, v18, v19 offset0:16 offset1:18
	ds_read2st64_b32 v[18:19], v11 offset0:28 offset1:30
	s_waitcnt lgkmcnt(3)
	v_pk_mul_f32 v[14:15], v[2:3], v[14:15]
	ds_write2st64_b32 v11, v14, v15 offset0:20 offset1:22
	s_waitcnt lgkmcnt(3)
	v_pk_mul_f32 v[14:15], v[2:3], v[20:21]
	ds_write2st64_b32 v11, v14, v15 offset0:24 offset1:26
	s_waitcnt lgkmcnt(2)
	v_pk_mul_f32 v[14:15], v[2:3], v[18:19]
	s_add_i32 s18, s18, 16
	v_cmp_eq_u32_e32 vcc, 0, v10
	ds_write2st64_b32 v11, v14, v15 offset0:28 offset1:30
	v_add_u32_e32 v11, 0x2000, v11
	s_or_b64 s[12:13], vcc, s[12:13]
	v_mov_b32_e32 v12, s18
	s_andn2_b64 exec, exec, s[12:13]
	s_cbranch_execnz .LBB265_228
; %bb.229:
	s_or_b64 exec, exec, s[12:13]
.LBB265_230:
	s_or_b64 exec, exec, s[10:11]
	v_and_b32_e32 v9, 7, v9
	v_cmp_ne_u32_e32 vcc, 0, v9
	s_and_saveexec_b64 s[10:11], vcc
	s_cbranch_execz .LBB265_233
; %bb.231:
	v_lshlrev_b32_e32 v10, 9, v12
	v_lshlrev_b32_e32 v11, 2, v0
	s_movk_i32 s12, 0x210
	v_add3_u32 v10, v10, v11, s12
	s_mov_b64 s[12:13], 0
.LBB265_232:                            ; =>This Inner Loop Header: Depth=1
	ds_read2st64_b32 v[14:15], v10 offset1:2
	v_add_u32_e32 v9, -1, v9
	v_cmp_eq_u32_e32 vcc, 0, v9
	s_or_b64 s[12:13], vcc, s[12:13]
	s_waitcnt lgkmcnt(0)
	v_pk_mul_f32 v[14:15], v[2:3], v[14:15]
	ds_write2st64_b32 v10, v14, v15 offset1:2
	v_add_u32_e32 v10, 0x400, v10
	s_andn2_b64 exec, exec, s[12:13]
	s_cbranch_execnz .LBB265_232
.LBB265_233:
	s_or_b64 exec, exec, s[10:11]
	v_add_u32_e32 v8, 1, v8
	v_and_b32_e32 v9, 0x3fffffe, v8
	v_cmp_ne_u32_e32 vcc, v8, v9
	v_lshl_add_u32 v3, v9, 7, v0
	s_orn2_b64 s[10:11], vcc, exec
.LBB265_234:
	s_or_b64 exec, exec, s[4:5]
	s_and_b64 exec, exec, s[10:11]
	s_cbranch_execz .LBB265_237
; %bb.235:
	v_mov_b32_e32 v8, 0x210
	v_lshl_add_u32 v8, v3, 2, v8
	s_mov_b64 s[4:5], 0
.LBB265_236:                            ; =>This Inner Loop Header: Depth=1
	ds_read_b32 v9, v8
	v_add_u32_e32 v3, 0x80, v3
	v_cmp_le_i32_e32 vcc, s7, v3
	s_or_b64 s[4:5], vcc, s[4:5]
	s_waitcnt lgkmcnt(0)
	v_mul_f32_e32 v9, v2, v9
	ds_write_b32 v8, v9
	v_add_u32_e32 v8, 0x200, v8
	s_andn2_b64 exec, exec, s[4:5]
	s_cbranch_execnz .LBB265_236
.LBB265_237:
	s_or_b64 exec, exec, s[2:3]
	s_mul_i32 s2, s33, s40
	s_mov_b32 s4, 0
	v_cmp_eq_u32_e32 vcc, 0, v0
	s_mul_i32 s2, s2, s9
	s_waitcnt lgkmcnt(0)
	s_barrier
	s_and_saveexec_b64 s[10:11], vcc
	s_cbranch_execz .LBB265_239
; %bb.238:
	s_ashr_i32 s3, s2, 31
	s_lshl_b64 s[12:13], s[2:3], 2
	s_add_u32 s3, s26, s12
	s_mul_i32 s6, s33, s6
	s_addc_u32 s5, s27, s13
	s_ashr_i32 s7, s6, 31
	s_lshl_b64 s[6:7], s[6:7], 2
	s_add_u32 s3, s3, s6
	s_addc_u32 s5, s5, s7
	s_ashr_i32 s9, s8, 31
	s_lshl_b64 s[18:19], s[8:9], 2
	s_add_u32 s20, s3, s18
	s_addc_u32 s21, s5, s19
	s_add_u32 s3, s24, s12
	s_addc_u32 s5, s25, s13
	s_add_u32 s3, s3, s6
	s_addc_u32 s5, s5, s7
	s_add_u32 s6, s3, s18
	v_mov_b32_e32 v2, 0
	s_addc_u32 s7, s5, s19
	global_store_dword v2, v4, s[20:21]
	global_store_dword v2, v5, s[6:7]
.LBB265_239:
	s_or_b64 exec, exec, s[10:11]
	s_mov_b32 s5, s4
	s_mov_b32 s6, s4
	;; [unrolled: 1-line block ×3, first 2 shown]
	v_pk_mov_b32 v[2:3], s[4:5], s[4:5] op_sel:[0,1]
	v_pk_mov_b32 v[4:5], s[6:7], s[6:7] op_sel:[0,1]
	s_and_saveexec_b64 s[4:5], s[0:1]
	s_cbranch_execz .LBB265_445
; %bb.240:
	s_sub_i32 s3, s53, s29
	s_ashr_i32 s0, s54, 31
	s_add_u32 s1, s22, s54
	s_addc_u32 s0, s23, s0
	s_abs_i32 s9, s30
	v_cvt_f32_u32_e32 v2, s9
	s_sub_i32 s10, 0, s9
	v_lshlrev_b32_e32 v3, 3, v17
	s_add_i32 s23, s16, -1
	v_rcp_iflag_f32_e32 v2, v2
	v_add_co_u32_e32 v8, vcc, s1, v3
	s_mov_b32 s16, 0
	v_mul_f32_e32 v2, 0x4f7ffffe, v2
	v_cvt_u32_f32_e32 v2, v2
	s_mov_b32 s22, s17
	s_mov_b32 s17, s16
	s_mov_b32 s6, -1
	v_mul_lo_u32 v4, s10, v2
	v_mul_hi_u32 v4, v2, v4
	v_add_u32_e32 v24, v2, v4
	v_mov_b32_e32 v2, s0
	s_lshl_b64 s[0:1], s[42:43], 2
	s_add_u32 s0, s38, s0
	v_addc_co_u32_e32 v9, vcc, 0, v2, vcc
	v_lshlrev_b64 v[2:3], 2, v[6:7]
	s_addc_u32 s1, s39, s1
	v_mov_b32_e32 v4, s1
	v_add_co_u32_e32 v10, vcc, s0, v2
	v_mov_b32_e32 v2, 0x210
	v_addc_co_u32_e32 v11, vcc, v4, v3, vcc
	v_lshl_add_u32 v7, v13, 5, v2
	s_mov_b32 s18, s16
	s_mov_b32 s19, s16
	v_pk_mov_b32 v[2:3], s[16:17], s[16:17] op_sel:[0,1]
	s_mov_b32 s7, 0xffffff
	s_mov_b32 s24, s41
	s_mov_b64 s[10:11], 0
	v_pk_mov_b32 v[4:5], s[18:19], s[18:19] op_sel:[0,1]
	v_mov_b32_e32 v13, 0
	s_movk_i32 s25, 0x80
	s_movk_i32 s26, 0x7f
	s_mov_b32 s27, 0x8000
	s_movk_i32 s29, 0x380
	s_mov_b32 s30, 0x3020706
	s_mov_b32 s38, 0x1000504
	;; [unrolled: 1-line block ×3, first 2 shown]
	v_mov_b32_e32 v25, 0x2000
	s_branch .LBB265_243
.LBB265_241:                            ;   in Loop: Header=BB265_243 Depth=1
	s_or_b64 exec, exec, s[0:1]
	;;#ASMSTART
	v_pk_mul_f16 v15, v36, v15;

	;;#ASMEND
	;;#ASMSTART
	v_pk_mul_f16 v12, v35, v12;

	;;#ASMEND
	;; [unrolled: 4-line block ×4, first 2 shown]
	;;#ASMSTART
	v_pk_add_f16 v12, v15, v12;

	;;#ASMEND
	;;#ASMSTART
	v_pk_add_f16 v12, v12, v14;

	;;#ASMEND
	;;#ASMSTART
	v_pk_add_f16 v12, v12, v16;

	;;#ASMEND
	v_add_f32_e32 v18, v37, v38
	v_lshrrev_b32_e32 v14, 16, v12
	v_and_b32_e32 v12, 0xffff, v12
	v_add_f32_e32 v2, v2, v18
	v_add_f32_e32 v18, v39, v40
	;;#ASMSTART
	v_cvt_f32_f16 v12, v12;
	;;#ASMEND
	v_add_f32_e32 v3, v3, v18
	v_add_f32_e32 v18, v22, v23
	;;#ASMSTART
	v_cvt_f32_f16 v14, v14;
	;;#ASMEND
	v_add_f32_e32 v12, v12, v14
	v_add_f32_e32 v4, v4, v18
	;; [unrolled: 1-line block ×3, first 2 shown]
.LBB265_242:                            ;   in Loop: Header=BB265_243 Depth=1
	s_or_b64 exec, exec, s[12:13]
	v_add_co_u32_e32 v10, vcc, 8, v10
	v_add_u32_e32 v6, 2, v6
	v_addc_co_u32_e32 v11, vcc, 0, v11, vcc
	v_cmp_le_i32_e32 vcc, s28, v6
	v_add_u32_e32 v1, 16, v1
	s_or_b64 s[10:11], vcc, s[10:11]
	v_add_u32_e32 v7, 64, v7
	s_andn2_b64 exec, exec, s[10:11]
	s_cbranch_execz .LBB265_444
.LBB265_243:                            ; =>This Inner Loop Header: Depth=1
	v_sub_u32_e32 v14, 0, v1
	v_max_i32_e32 v14, v1, v14
	v_mul_hi_u32 v15, v14, s52
	v_mul_lo_u32 v16, v15, s37
	v_sub_u32_e32 v14, v14, v16
	v_add_u32_e32 v16, 1, v15
	v_cmp_le_u32_e32 vcc, s37, v14
	v_cndmask_b32_e32 v15, v15, v16, vcc
	v_subrev_u32_e32 v16, s37, v14
	v_cndmask_b32_e32 v14, v14, v16, vcc
	v_ashrrev_i32_e32 v12, 31, v1
	v_add_u32_e32 v16, 1, v15
	v_cmp_le_u32_e32 vcc, s37, v14
	v_xor_b32_e32 v12, s31, v12
	v_cndmask_b32_e32 v14, v15, v16, vcc
	v_xor_b32_e32 v14, v14, v12
	v_sub_u32_e32 v12, v14, v12
	v_add_u32_e32 v14, s44, v12
	v_sub_u32_e32 v16, 0, v14
	v_ashrrev_i32_e32 v15, 31, v14
	v_max_i32_e32 v14, v14, v16
	v_mul_hi_u32 v16, v14, v24
	v_mul_lo_u32 v16, v16, s9
	v_sub_u32_e32 v14, v14, v16
	v_subrev_u32_e32 v16, s9, v14
	v_cmp_le_u32_e32 vcc, s9, v14
	v_cndmask_b32_e32 v14, v14, v16, vcc
	v_subrev_u32_e32 v16, s9, v14
	v_cmp_le_u32_e32 vcc, s9, v14
	v_cndmask_b32_e32 v14, v14, v16, vcc
	v_xor_b32_e32 v14, v14, v15
	v_sub_u32_e32 v14, v14, v15
	v_cmp_eq_u32_e32 vcc, 0, v14
	v_cmp_lt_i32_e64 s[0:1], s3, v12
	s_or_b64 s[0:1], vcc, s[0:1]
	s_and_saveexec_b64 s[12:13], s[0:1]
	s_cbranch_execz .LBB265_242
; %bb.244:                              ;   in Loop: Header=BB265_243 Depth=1
	global_load_dword v12, v[10:11], off
	ds_read2_b64 v[18:21], v7 offset1:1
	ds_read2_b64 v[26:29], v7 offset0:2 offset1:3
	s_waitcnt lgkmcnt(1)
	;;#ASMSTART
	v_cvt_f16_f32 v33, v18;

	;;#ASMEND
	;;#ASMSTART
	v_cvt_f16_f32 v34, v19;

	;;#ASMEND
	;; [unrolled: 4-line block ×4, first 2 shown]
	s_waitcnt lgkmcnt(0)
	;;#ASMSTART
	v_cvt_f16_f32 v38, v26;

	;;#ASMEND
	;;#ASMSTART
	v_cvt_f16_f32 v39, v27;

	;;#ASMEND
	;; [unrolled: 4-line block ×4, first 2 shown]
	v_mov_b32_e32 v20, 0
	v_mov_b32_e32 v18, 0
	s_waitcnt vmcnt(0)
	v_mad_i64_i32 v[14:15], s[0:1], v12, s22, v[8:9]
	global_load_dwordx2 v[22:23], v[14:15], off
	global_load_dword v16, v13, s[14:15]
	s_waitcnt vmcnt(1)
	v_cmp_ne_u16_sdwa s[16:17], v22, v13 src0_sel:BYTE_0 src1_sel:DWORD
	s_and_saveexec_b64 s[0:1], s[16:17]
	s_cbranch_execz .LBB265_250
; %bb.245:                              ;   in Loop: Header=BB265_243 Depth=1
	v_cmp_ne_u16_sdwa s[18:19], v22, s25 src0_sel:BYTE_0 src1_sel:DWORD
	v_bfrev_b32_e32 v18, 1
	s_and_saveexec_b64 s[16:17], s[18:19]
	s_cbranch_execz .LBB265_249
; %bb.246:                              ;   in Loop: Header=BB265_243 Depth=1
	v_and_b32_e32 v12, 0x7f, v22
	v_cmp_ne_u32_e32 vcc, s26, v12
	v_mov_b32_e32 v18, 0x7fc02000
	s_and_saveexec_b64 s[18:19], vcc
	s_cbranch_execz .LBB265_248
; %bb.247:                              ;   in Loop: Header=BB265_243 Depth=1
	v_and_b32_e32 v18, 7, v22
	v_ffbh_u32_e32 v18, v18
	v_min_u32_e32 v18, 32, v18
	v_subrev_u32_e32 v19, 28, v18
	v_cmp_gt_u32_e32 vcc, 8, v12
	v_lshrrev_b32_e32 v21, 3, v12
	v_sub_u32_e32 v26, 29, v18
	v_cndmask_b32_e32 v12, 0, v19, vcc
	v_lshlrev_b64 v[18:19], v12, v[22:23]
	v_cndmask_b32_e32 v12, v21, v26, vcc
	v_lshlrev_b32_e32 v19, 8, v22
	v_lshl_add_u32 v12, v12, 10, v25
	v_lshlrev_b32_e32 v18, 7, v18
	v_and_or_b32 v12, v19, s27, v12
	v_and_or_b32 v12, v18, s29, v12
	v_cvt_f32_f16_e32 v18, v12
.LBB265_248:                            ;   in Loop: Header=BB265_243 Depth=1
	s_or_b64 exec, exec, s[18:19]
.LBB265_249:                            ;   in Loop: Header=BB265_243 Depth=1
	s_or_b64 exec, exec, s[16:17]
.LBB265_250:                            ;   in Loop: Header=BB265_243 Depth=1
	s_or_b64 exec, exec, s[0:1]
	v_lshrrev_b16_e32 v12, 8, v22
	v_cmp_ne_u16_e32 vcc, 0, v12
	s_and_saveexec_b64 s[0:1], vcc
	s_cbranch_execz .LBB265_256
; %bb.251:                              ;   in Loop: Header=BB265_243 Depth=1
	v_cmp_ne_u16_e32 vcc, s25, v12
	v_bfrev_b32_e32 v20, 1
	s_and_saveexec_b64 s[16:17], vcc
	s_cbranch_execz .LBB265_255
; %bb.252:                              ;   in Loop: Header=BB265_243 Depth=1
	v_and_b32_e32 v19, 0x7f, v12
	v_cmp_ne_u32_e32 vcc, s26, v19
	v_mov_b32_e32 v20, 0x7fc02000
	s_and_saveexec_b64 s[18:19], vcc
	s_cbranch_execz .LBB265_254
; %bb.253:                              ;   in Loop: Header=BB265_243 Depth=1
	v_and_b32_e32 v26, 7, v12
	v_ffbh_u32_e32 v20, v26
	v_min_u32_e32 v28, 32, v20
	v_subrev_u32_e32 v20, 28, v28
	v_lshlrev_b64 v[20:21], v20, v[12:13]
	v_lshrrev_b32_e32 v27, 3, v19
	v_sub_u32_e32 v21, 29, v28
	v_cmp_gt_u32_e32 vcc, 8, v19
	v_cndmask_b32_e32 v19, v27, v21, vcc
	v_and_b32_e32 v20, 7, v20
	v_lshlrev_b32_e32 v12, 8, v12
	v_lshl_add_u32 v19, v19, 10, v25
	v_cndmask_b32_e32 v20, v26, v20, vcc
	v_and_or_b32 v12, v12, s27, v19
	v_lshl_or_b32 v12, v20, 7, v12
	v_cvt_f32_f16_e32 v20, v12
.LBB265_254:                            ;   in Loop: Header=BB265_243 Depth=1
	s_or_b64 exec, exec, s[18:19]
.LBB265_255:                            ;   in Loop: Header=BB265_243 Depth=1
	s_or_b64 exec, exec, s[16:17]
.LBB265_256:                            ;   in Loop: Header=BB265_243 Depth=1
	s_or_b64 exec, exec, s[0:1]
	v_lshrrev_b32_e32 v12, 16, v22
	v_cmp_ne_u16_sdwa s[16:17], v12, v13 src0_sel:BYTE_0 src1_sel:DWORD
	v_mov_b32_e32 v21, 0
	v_mov_b32_e32 v19, 0
	s_and_saveexec_b64 s[0:1], s[16:17]
	s_cbranch_execz .LBB265_262
; %bb.257:                              ;   in Loop: Header=BB265_243 Depth=1
	v_cmp_ne_u16_sdwa s[18:19], v12, s25 src0_sel:BYTE_0 src1_sel:DWORD
	v_bfrev_b32_e32 v19, 1
	s_and_saveexec_b64 s[16:17], s[18:19]
	s_cbranch_execz .LBB265_261
; %bb.258:                              ;   in Loop: Header=BB265_243 Depth=1
	v_bfe_u32 v26, v22, 16, 7
	v_cmp_ne_u32_e32 vcc, s26, v26
	v_mov_b32_e32 v19, 0x7fc02000
	s_and_saveexec_b64 s[18:19], vcc
	s_cbranch_execz .LBB265_260
; %bb.259:                              ;   in Loop: Header=BB265_243 Depth=1
	v_and_b32_e32 v19, 7, v12
	v_ffbh_u32_e32 v28, v19
	v_min_u32_e32 v30, 32, v28
	v_subrev_u32_e32 v28, 28, v30
	v_lshlrev_b64 v[28:29], v28, v[12:13]
	v_lshrrev_b32_e32 v27, 3, v26
	v_sub_u32_e32 v29, 29, v30
	v_cmp_gt_u32_e32 vcc, 8, v26
	v_cndmask_b32_e32 v26, v27, v29, vcc
	v_and_b32_e32 v28, 7, v28
	v_lshlrev_b32_e32 v12, 8, v12
	v_lshl_add_u32 v26, v26, 10, v25
	v_cndmask_b32_e32 v19, v19, v28, vcc
	v_and_or_b32 v12, v12, s27, v26
	v_lshl_or_b32 v12, v19, 7, v12
	v_cvt_f32_f16_e32 v19, v12
.LBB265_260:                            ;   in Loop: Header=BB265_243 Depth=1
	s_or_b64 exec, exec, s[18:19]
.LBB265_261:                            ;   in Loop: Header=BB265_243 Depth=1
	s_or_b64 exec, exec, s[16:17]
.LBB265_262:                            ;   in Loop: Header=BB265_243 Depth=1
	s_or_b64 exec, exec, s[0:1]
	v_cmp_lt_u32_e32 vcc, s7, v22
	s_and_saveexec_b64 s[0:1], vcc
	s_cbranch_execz .LBB265_268
; %bb.263:                              ;   in Loop: Header=BB265_243 Depth=1
	v_lshrrev_b32_e32 v12, 24, v22
	v_cmp_ne_u32_e32 vcc, s25, v12
	v_bfrev_b32_e32 v21, 1
	s_and_saveexec_b64 s[16:17], vcc
	s_cbranch_execz .LBB265_267
; %bb.264:                              ;   in Loop: Header=BB265_243 Depth=1
	v_and_b32_e32 v26, 0x7f, v12
	v_cmp_ne_u32_e32 vcc, s26, v26
	v_mov_b32_e32 v21, 0x7fc02000
	s_and_saveexec_b64 s[18:19], vcc
	s_cbranch_execz .LBB265_266
; %bb.265:                              ;   in Loop: Header=BB265_243 Depth=1
	v_and_b32_e32 v21, 7, v12
	v_ffbh_u32_e32 v28, v21
	v_min_u32_e32 v30, 32, v28
	v_subrev_u32_e32 v28, 28, v30
	v_lshlrev_b64 v[28:29], v28, v[12:13]
	v_lshrrev_b32_e32 v27, 3, v26
	v_sub_u32_e32 v29, 29, v30
	v_cmp_gt_u32_e32 vcc, 8, v26
	v_cndmask_b32_e32 v26, v27, v29, vcc
	v_and_b32_e32 v28, 7, v28
	v_lshlrev_b32_e32 v12, 8, v12
	v_lshl_add_u32 v26, v26, 10, v25
	v_cndmask_b32_e32 v21, v21, v28, vcc
	v_and_or_b32 v12, v12, s27, v26
	v_lshl_or_b32 v12, v21, 7, v12
	v_cvt_f32_f16_e32 v21, v12
.LBB265_266:                            ;   in Loop: Header=BB265_243 Depth=1
	s_or_b64 exec, exec, s[18:19]
.LBB265_267:                            ;   in Loop: Header=BB265_243 Depth=1
	s_or_b64 exec, exec, s[16:17]
.LBB265_268:                            ;   in Loop: Header=BB265_243 Depth=1
	s_or_b64 exec, exec, s[0:1]
	v_mov_b32_e32 v12, v23
	v_cmp_ne_u16_sdwa s[16:17], v23, v13 src0_sel:BYTE_0 src1_sel:DWORD
	v_mov_b32_e32 v27, 0
	v_mov_b32_e32 v26, 0
	s_and_saveexec_b64 s[0:1], s[16:17]
	s_cbranch_execz .LBB265_274
; %bb.269:                              ;   in Loop: Header=BB265_243 Depth=1
	v_cmp_ne_u16_sdwa s[18:19], v23, s25 src0_sel:BYTE_0 src1_sel:DWORD
	v_bfrev_b32_e32 v26, 1
	s_and_saveexec_b64 s[16:17], s[18:19]
	s_cbranch_execz .LBB265_273
; %bb.270:                              ;   in Loop: Header=BB265_243 Depth=1
	v_and_b32_e32 v28, 0x7f, v23
	v_cmp_ne_u32_e32 vcc, s26, v28
	v_mov_b32_e32 v26, 0x7fc02000
	s_and_saveexec_b64 s[18:19], vcc
	s_cbranch_execz .LBB265_272
; %bb.271:                              ;   in Loop: Header=BB265_243 Depth=1
	v_and_b32_e32 v26, 7, v23
	v_ffbh_u32_e32 v26, v26
	v_min_u32_e32 v26, 32, v26
	v_subrev_u32_e32 v29, 28, v26
	v_cmp_gt_u32_e32 vcc, 8, v28
	v_lshrrev_b32_e32 v30, 3, v28
	v_sub_u32_e32 v26, 29, v26
	v_cndmask_b32_e32 v28, 0, v29, vcc
	v_lshlrev_b64 v[28:29], v28, v[12:13]
	v_cndmask_b32_e32 v26, v30, v26, vcc
	v_lshlrev_b32_e32 v29, 8, v23
	v_lshl_add_u32 v26, v26, 10, v25
	v_lshlrev_b32_e32 v28, 7, v28
	v_and_or_b32 v26, v29, s27, v26
	v_and_or_b32 v26, v28, s29, v26
	v_cvt_f32_f16_e32 v26, v26
.LBB265_272:                            ;   in Loop: Header=BB265_243 Depth=1
	s_or_b64 exec, exec, s[18:19]
.LBB265_273:                            ;   in Loop: Header=BB265_243 Depth=1
	s_or_b64 exec, exec, s[16:17]
.LBB265_274:                            ;   in Loop: Header=BB265_243 Depth=1
	s_or_b64 exec, exec, s[0:1]
	v_lshrrev_b16_e32 v12, 8, v12
	v_cmp_ne_u16_e32 vcc, 0, v12
	s_and_saveexec_b64 s[0:1], vcc
	s_cbranch_execz .LBB265_280
; %bb.275:                              ;   in Loop: Header=BB265_243 Depth=1
	v_cmp_ne_u16_e32 vcc, s25, v12
	v_bfrev_b32_e32 v27, 1
	s_and_saveexec_b64 s[16:17], vcc
	s_cbranch_execz .LBB265_279
; %bb.276:                              ;   in Loop: Header=BB265_243 Depth=1
	v_and_b32_e32 v28, 0x7f, v12
	v_cmp_ne_u32_e32 vcc, s26, v28
	v_mov_b32_e32 v27, 0x7fc02000
	s_and_saveexec_b64 s[18:19], vcc
	s_cbranch_execz .LBB265_278
; %bb.277:                              ;   in Loop: Header=BB265_243 Depth=1
	v_and_b32_e32 v27, 7, v12
	v_ffbh_u32_e32 v30, v27
	v_min_u32_e32 v32, 32, v30
	v_subrev_u32_e32 v30, 28, v32
	v_lshlrev_b64 v[30:31], v30, v[12:13]
	v_lshrrev_b32_e32 v29, 3, v28
	v_sub_u32_e32 v31, 29, v32
	v_cmp_gt_u32_e32 vcc, 8, v28
	v_cndmask_b32_e32 v28, v29, v31, vcc
	v_and_b32_e32 v30, 7, v30
	v_lshlrev_b32_e32 v12, 8, v12
	v_lshl_add_u32 v28, v28, 10, v25
	v_cndmask_b32_e32 v27, v27, v30, vcc
	v_and_or_b32 v12, v12, s27, v28
	v_lshl_or_b32 v12, v27, 7, v12
	v_cvt_f32_f16_e32 v27, v12
.LBB265_278:                            ;   in Loop: Header=BB265_243 Depth=1
	s_or_b64 exec, exec, s[18:19]
.LBB265_279:                            ;   in Loop: Header=BB265_243 Depth=1
	s_or_b64 exec, exec, s[16:17]
.LBB265_280:                            ;   in Loop: Header=BB265_243 Depth=1
	s_or_b64 exec, exec, s[0:1]
	v_lshrrev_b32_e32 v12, 16, v23
	v_cmp_ne_u16_sdwa s[16:17], v12, v13 src0_sel:BYTE_0 src1_sel:DWORD
	v_mov_b32_e32 v28, 0
	v_mov_b32_e32 v29, 0
	s_and_saveexec_b64 s[0:1], s[16:17]
	s_cbranch_execz .LBB265_286
; %bb.281:                              ;   in Loop: Header=BB265_243 Depth=1
	v_cmp_ne_u16_sdwa s[18:19], v12, s25 src0_sel:BYTE_0 src1_sel:DWORD
	v_bfrev_b32_e32 v29, 1
	s_and_saveexec_b64 s[16:17], s[18:19]
	s_cbranch_execz .LBB265_285
; %bb.282:                              ;   in Loop: Header=BB265_243 Depth=1
	v_bfe_u32 v30, v23, 16, 7
	v_cmp_ne_u32_e32 vcc, s26, v30
	v_mov_b32_e32 v29, 0x7fc02000
	s_and_saveexec_b64 s[18:19], vcc
	s_cbranch_execz .LBB265_284
; %bb.283:                              ;   in Loop: Header=BB265_243 Depth=1
	v_and_b32_e32 v29, 7, v12
	v_ffbh_u32_e32 v32, v29
	v_min_u32_e32 v32, 32, v32
	v_lshrrev_b32_e32 v31, 3, v30
	v_subrev_u32_e32 v36, 28, v32
	v_sub_u32_e32 v32, 29, v32
	v_cmp_gt_u32_e32 vcc, 8, v30
	v_lshlrev_b64 v[42:43], v36, v[12:13]
	v_cndmask_b32_e32 v30, v31, v32, vcc
	v_and_b32_e32 v36, 7, v42
	v_lshlrev_b32_e32 v12, 8, v12
	v_lshl_add_u32 v30, v30, 10, v25
	v_cndmask_b32_e32 v29, v29, v36, vcc
	v_and_or_b32 v12, v12, s27, v30
	v_lshl_or_b32 v12, v29, 7, v12
	v_cvt_f32_f16_e32 v29, v12
.LBB265_284:                            ;   in Loop: Header=BB265_243 Depth=1
	s_or_b64 exec, exec, s[18:19]
.LBB265_285:                            ;   in Loop: Header=BB265_243 Depth=1
	s_or_b64 exec, exec, s[16:17]
.LBB265_286:                            ;   in Loop: Header=BB265_243 Depth=1
	s_or_b64 exec, exec, s[0:1]
	v_cmp_lt_u64_e32 vcc, s[6:7], v[22:23]
	s_and_saveexec_b64 s[0:1], vcc
	s_cbranch_execz .LBB265_292
; %bb.287:                              ;   in Loop: Header=BB265_243 Depth=1
	v_lshrrev_b32_e32 v12, 24, v23
	v_cmp_ne_u32_e32 vcc, s25, v12
	v_bfrev_b32_e32 v28, 1
	s_and_saveexec_b64 s[16:17], vcc
	s_cbranch_execz .LBB265_291
; %bb.288:                              ;   in Loop: Header=BB265_243 Depth=1
	v_and_b32_e32 v22, 0x7f, v12
	v_cmp_ne_u32_e32 vcc, s26, v22
	v_mov_b32_e32 v28, 0x7fc02000
	s_and_saveexec_b64 s[18:19], vcc
	s_cbranch_execz .LBB265_290
; %bb.289:                              ;   in Loop: Header=BB265_243 Depth=1
	v_and_b32_e32 v23, 7, v12
	v_ffbh_u32_e32 v30, v23
	v_min_u32_e32 v32, 32, v30
	v_subrev_u32_e32 v30, 28, v32
	v_lshlrev_b64 v[30:31], v30, v[12:13]
	v_lshrrev_b32_e32 v28, 3, v22
	v_sub_u32_e32 v31, 29, v32
	v_cmp_gt_u32_e32 vcc, 8, v22
	v_cndmask_b32_e32 v22, v28, v31, vcc
	v_and_b32_e32 v30, 7, v30
	v_lshlrev_b32_e32 v12, 8, v12
	v_lshl_add_u32 v22, v22, 10, v25
	v_cndmask_b32_e32 v23, v23, v30, vcc
	v_and_or_b32 v12, v12, s27, v22
	v_lshl_or_b32 v12, v23, 7, v12
	v_cvt_f32_f16_e32 v28, v12
.LBB265_290:                            ;   in Loop: Header=BB265_243 Depth=1
	s_or_b64 exec, exec, s[18:19]
.LBB265_291:                            ;   in Loop: Header=BB265_243 Depth=1
	s_or_b64 exec, exec, s[16:17]
.LBB265_292:                            ;   in Loop: Header=BB265_243 Depth=1
	s_or_b64 exec, exec, s[0:1]
	s_waitcnt vmcnt(0)
	v_pk_mul_f32 v[20:21], v[16:17], v[20:21] op_sel_hi:[0,1]
	v_pk_mul_f32 v[18:19], v[16:17], v[18:19] op_sel_hi:[0,1]
	v_cvt_f16_f32_e32 v12, v21
	v_cvt_f16_f32_e32 v20, v20
	;; [unrolled: 1-line block ×4, first 2 shown]
	v_cmp_eq_u32_e32 vcc, s23, v6
	v_pack_b32_f16 v20, v20, v12
	v_add_u32_e32 v32, 1, v1
	v_pack_b32_f16 v18, v18, v19
	v_fma_mixlo_f16 v19, v16, v27, 0
	v_perm_b32 v12, v18, v20, s30
	v_perm_b32 v18, v18, v20, s38
	v_lshlrev_b32_e32 v19, 16, v19
	v_fma_mixlo_f16 v20, v16, v26, 0
	v_or_b32_sdwa v19, v19, v20 dst_sel:DWORD dst_unused:UNUSED_PAD src0_sel:DWORD src1_sel:WORD_0
	v_fma_mixlo_f16 v20, v16, v29, 0
	v_fma_mixlo_f16 v16, v16, v28, 0
	v_lshlrev_b32_e32 v16, 16, v16
	v_or_b32_sdwa v16, v16, v20 dst_sel:DWORD dst_unused:UNUSED_PAD src0_sel:DWORD src1_sel:WORD_0
	v_or_b32_e32 v31, 3, v1
	v_or_b32_e32 v30, 2, v1
	;; [unrolled: 1-line block ×6, first 2 shown]
	s_and_saveexec_b64 s[16:17], vcc
	s_cbranch_execz .LBB265_294
; %bb.293:                              ;   in Loop: Header=BB265_243 Depth=1
	v_lshrrev_b32_e32 v21, 16, v18
	v_cmp_gt_i32_e64 s[0:1], s24, v32
	v_cndmask_b32_e64 v21, 0, v21, s[0:1]
	v_cmp_gt_i32_e64 s[0:1], s41, v1
	v_cndmask_b32_e64 v18, 0, v18, s[0:1]
	v_perm_b32 v18, v21, v18, s39
	v_lshrrev_b32_e32 v21, 16, v12
	v_cmp_gt_i32_e64 s[0:1], s24, v31
	v_cndmask_b32_e64 v21, 0, v21, s[0:1]
	v_cmp_gt_i32_e64 s[0:1], s41, v30
	v_cndmask_b32_e64 v12, 0, v12, s[0:1]
	v_perm_b32 v12, v21, v12, s39
	v_lshrrev_b32_e32 v21, 16, v19
	v_cmp_gt_i32_e64 s[0:1], s24, v29
	v_cndmask_b32_e64 v21, 0, v21, s[0:1]
	v_cmp_gt_i32_e64 s[0:1], s41, v28
	v_cndmask_b32_e64 v19, 0, v19, s[0:1]
	v_lshrrev_b32_e32 v16, 16, v16
	v_cmp_gt_i32_e64 s[0:1], s24, v27
	v_cndmask_b32_e64 v16, 0, v16, s[0:1]
	v_cmp_gt_i32_e64 s[0:1], s41, v26
	v_cndmask_b32_e64 v20, 0, v20, s[0:1]
	v_perm_b32 v19, v21, v19, s39
	v_perm_b32 v16, v16, v20, s39
.LBB265_294:                            ;   in Loop: Header=BB265_243 Depth=1
	s_or_b64 exec, exec, s[16:17]
	v_and_b32_e32 v20, 0xffff, v33
	v_lshl_or_b32 v36, v34, 16, v20
	v_and_b32_e32 v20, 0xffff, v35
	v_lshl_or_b32 v35, v37, 16, v20
	;; [unrolled: 2-line block ×3, first 2 shown]
	v_and_b32_e32 v20, 0xffff, v40
	;;#ASMSTART
	v_pk_mul_f16 v18, v36, v18;

	;;#ASMEND
	;;#ASMSTART
	v_pk_mul_f16 v12, v35, v12;

	;;#ASMEND
	v_lshl_or_b32 v33, v41, 16, v20
	;;#ASMSTART
	v_pk_mul_f16 v19, v34, v19;

	;;#ASMEND
	;;#ASMSTART
	v_pk_mul_f16 v16, v33, v16;

	;;#ASMEND
	;;#ASMSTART
	v_pk_add_f16 v12, v18, v12;

	;;#ASMEND
	;;#ASMSTART
	v_pk_add_f16 v12, v12, v19;

	;;#ASMEND
	;;#ASMSTART
	v_pk_add_f16 v12, v12, v16;

	;;#ASMEND
	v_lshrrev_b32_e32 v16, 16, v12
	v_and_b32_e32 v12, 0xffff, v12
	;;#ASMSTART
	v_cvt_f32_f16 v37, v12;
	;;#ASMEND
	;;#ASMSTART
	v_cvt_f32_f16 v38, v16;
	;;#ASMEND
	global_load_dwordx2 v[22:23], v[14:15], off offset:512
	global_load_dword v16, v13, s[14:15]
	v_mov_b32_e32 v20, 0
	v_mov_b32_e32 v18, 0
	s_waitcnt vmcnt(1)
	v_cmp_ne_u16_sdwa s[0:1], v22, v13 src0_sel:BYTE_0 src1_sel:DWORD
	s_and_saveexec_b64 s[16:17], s[0:1]
	s_cbranch_execz .LBB265_300
; %bb.295:                              ;   in Loop: Header=BB265_243 Depth=1
	v_cmp_ne_u16_sdwa s[0:1], v22, s25 src0_sel:BYTE_0 src1_sel:DWORD
	v_bfrev_b32_e32 v18, 1
	s_and_saveexec_b64 s[18:19], s[0:1]
	s_cbranch_execz .LBB265_299
; %bb.296:                              ;   in Loop: Header=BB265_243 Depth=1
	v_and_b32_e32 v12, 0x7f, v22
	v_cmp_ne_u32_e64 s[0:1], s26, v12
	v_mov_b32_e32 v18, 0x7fc02000
	s_and_saveexec_b64 s[20:21], s[0:1]
	s_cbranch_execz .LBB265_298
; %bb.297:                              ;   in Loop: Header=BB265_243 Depth=1
	v_and_b32_e32 v18, 7, v22
	v_ffbh_u32_e32 v18, v18
	v_min_u32_e32 v18, 32, v18
	v_subrev_u32_e32 v19, 28, v18
	v_cmp_gt_u32_e64 s[0:1], 8, v12
	v_lshrrev_b32_e32 v21, 3, v12
	v_sub_u32_e32 v39, 29, v18
	v_cndmask_b32_e64 v12, 0, v19, s[0:1]
	v_lshlrev_b64 v[18:19], v12, v[22:23]
	v_cndmask_b32_e64 v12, v21, v39, s[0:1]
	v_lshlrev_b32_e32 v19, 8, v22
	v_lshl_add_u32 v12, v12, 10, v25
	v_lshlrev_b32_e32 v18, 7, v18
	v_and_or_b32 v12, v19, s27, v12
	v_and_or_b32 v12, v18, s29, v12
	v_cvt_f32_f16_e32 v18, v12
.LBB265_298:                            ;   in Loop: Header=BB265_243 Depth=1
	s_or_b64 exec, exec, s[20:21]
.LBB265_299:                            ;   in Loop: Header=BB265_243 Depth=1
	s_or_b64 exec, exec, s[18:19]
.LBB265_300:                            ;   in Loop: Header=BB265_243 Depth=1
	s_or_b64 exec, exec, s[16:17]
	v_lshrrev_b16_e32 v12, 8, v22
	v_cmp_ne_u16_e64 s[0:1], 0, v12
	s_and_saveexec_b64 s[16:17], s[0:1]
	s_cbranch_execz .LBB265_306
; %bb.301:                              ;   in Loop: Header=BB265_243 Depth=1
	v_cmp_ne_u16_e64 s[0:1], s25, v12
	v_bfrev_b32_e32 v20, 1
	s_and_saveexec_b64 s[18:19], s[0:1]
	s_cbranch_execz .LBB265_305
; %bb.302:                              ;   in Loop: Header=BB265_243 Depth=1
	v_and_b32_e32 v19, 0x7f, v12
	v_cmp_ne_u32_e64 s[0:1], s26, v19
	v_mov_b32_e32 v20, 0x7fc02000
	s_and_saveexec_b64 s[20:21], s[0:1]
	s_cbranch_execz .LBB265_304
; %bb.303:                              ;   in Loop: Header=BB265_243 Depth=1
	v_and_b32_e32 v39, 7, v12
	v_ffbh_u32_e32 v20, v39
	v_min_u32_e32 v41, 32, v20
	v_subrev_u32_e32 v20, 28, v41
	v_lshlrev_b64 v[20:21], v20, v[12:13]
	v_lshrrev_b32_e32 v40, 3, v19
	v_sub_u32_e32 v21, 29, v41
	v_cmp_gt_u32_e64 s[0:1], 8, v19
	v_cndmask_b32_e64 v19, v40, v21, s[0:1]
	v_and_b32_e32 v20, 7, v20
	v_lshlrev_b32_e32 v12, 8, v12
	v_lshl_add_u32 v19, v19, 10, v25
	v_cndmask_b32_e64 v20, v39, v20, s[0:1]
	v_and_or_b32 v12, v12, s27, v19
	v_lshl_or_b32 v12, v20, 7, v12
	v_cvt_f32_f16_e32 v20, v12
.LBB265_304:                            ;   in Loop: Header=BB265_243 Depth=1
	s_or_b64 exec, exec, s[20:21]
.LBB265_305:                            ;   in Loop: Header=BB265_243 Depth=1
	s_or_b64 exec, exec, s[18:19]
.LBB265_306:                            ;   in Loop: Header=BB265_243 Depth=1
	s_or_b64 exec, exec, s[16:17]
	v_lshrrev_b32_e32 v12, 16, v22
	v_cmp_ne_u16_sdwa s[0:1], v12, v13 src0_sel:BYTE_0 src1_sel:DWORD
	v_mov_b32_e32 v21, 0
	v_mov_b32_e32 v19, 0
	s_and_saveexec_b64 s[16:17], s[0:1]
	s_cbranch_execz .LBB265_312
; %bb.307:                              ;   in Loop: Header=BB265_243 Depth=1
	v_cmp_ne_u16_sdwa s[0:1], v12, s25 src0_sel:BYTE_0 src1_sel:DWORD
	v_bfrev_b32_e32 v19, 1
	s_and_saveexec_b64 s[18:19], s[0:1]
	s_cbranch_execz .LBB265_311
; %bb.308:                              ;   in Loop: Header=BB265_243 Depth=1
	v_bfe_u32 v39, v22, 16, 7
	v_cmp_ne_u32_e64 s[0:1], s26, v39
	v_mov_b32_e32 v19, 0x7fc02000
	s_and_saveexec_b64 s[20:21], s[0:1]
	s_cbranch_execz .LBB265_310
; %bb.309:                              ;   in Loop: Header=BB265_243 Depth=1
	v_and_b32_e32 v19, 7, v12
	v_ffbh_u32_e32 v40, v19
	v_min_u32_e32 v43, 32, v40
	v_subrev_u32_e32 v40, 28, v43
	v_lshlrev_b64 v[40:41], v40, v[12:13]
	v_lshrrev_b32_e32 v42, 3, v39
	v_sub_u32_e32 v41, 29, v43
	v_cmp_gt_u32_e64 s[0:1], 8, v39
	v_cndmask_b32_e64 v39, v42, v41, s[0:1]
	v_and_b32_e32 v40, 7, v40
	v_lshlrev_b32_e32 v12, 8, v12
	v_lshl_add_u32 v39, v39, 10, v25
	v_cndmask_b32_e64 v19, v19, v40, s[0:1]
	v_and_or_b32 v12, v12, s27, v39
	v_lshl_or_b32 v12, v19, 7, v12
	v_cvt_f32_f16_e32 v19, v12
.LBB265_310:                            ;   in Loop: Header=BB265_243 Depth=1
	s_or_b64 exec, exec, s[20:21]
.LBB265_311:                            ;   in Loop: Header=BB265_243 Depth=1
	s_or_b64 exec, exec, s[18:19]
.LBB265_312:                            ;   in Loop: Header=BB265_243 Depth=1
	s_or_b64 exec, exec, s[16:17]
	v_cmp_lt_u32_e64 s[0:1], s7, v22
	s_and_saveexec_b64 s[16:17], s[0:1]
	s_cbranch_execz .LBB265_318
; %bb.313:                              ;   in Loop: Header=BB265_243 Depth=1
	v_lshrrev_b32_e32 v12, 24, v22
	v_cmp_ne_u32_e64 s[0:1], s25, v12
	v_bfrev_b32_e32 v21, 1
	s_and_saveexec_b64 s[18:19], s[0:1]
	s_cbranch_execz .LBB265_317
; %bb.314:                              ;   in Loop: Header=BB265_243 Depth=1
	v_and_b32_e32 v39, 0x7f, v12
	v_cmp_ne_u32_e64 s[0:1], s26, v39
	v_mov_b32_e32 v21, 0x7fc02000
	s_and_saveexec_b64 s[20:21], s[0:1]
	s_cbranch_execz .LBB265_316
; %bb.315:                              ;   in Loop: Header=BB265_243 Depth=1
	v_and_b32_e32 v21, 7, v12
	v_ffbh_u32_e32 v40, v21
	v_min_u32_e32 v43, 32, v40
	v_subrev_u32_e32 v40, 28, v43
	v_lshlrev_b64 v[40:41], v40, v[12:13]
	v_lshrrev_b32_e32 v42, 3, v39
	v_sub_u32_e32 v41, 29, v43
	v_cmp_gt_u32_e64 s[0:1], 8, v39
	v_cndmask_b32_e64 v39, v42, v41, s[0:1]
	v_and_b32_e32 v40, 7, v40
	v_lshlrev_b32_e32 v12, 8, v12
	v_lshl_add_u32 v39, v39, 10, v25
	v_cndmask_b32_e64 v21, v21, v40, s[0:1]
	v_and_or_b32 v12, v12, s27, v39
	v_lshl_or_b32 v12, v21, 7, v12
	v_cvt_f32_f16_e32 v21, v12
.LBB265_316:                            ;   in Loop: Header=BB265_243 Depth=1
	s_or_b64 exec, exec, s[20:21]
.LBB265_317:                            ;   in Loop: Header=BB265_243 Depth=1
	s_or_b64 exec, exec, s[18:19]
.LBB265_318:                            ;   in Loop: Header=BB265_243 Depth=1
	s_or_b64 exec, exec, s[16:17]
	v_mov_b32_e32 v12, v23
	v_cmp_ne_u16_sdwa s[0:1], v23, v13 src0_sel:BYTE_0 src1_sel:DWORD
	v_mov_b32_e32 v40, 0
	v_mov_b32_e32 v39, 0
	s_and_saveexec_b64 s[16:17], s[0:1]
	s_cbranch_execz .LBB265_324
; %bb.319:                              ;   in Loop: Header=BB265_243 Depth=1
	v_cmp_ne_u16_sdwa s[0:1], v23, s25 src0_sel:BYTE_0 src1_sel:DWORD
	v_bfrev_b32_e32 v39, 1
	s_and_saveexec_b64 s[18:19], s[0:1]
	s_cbranch_execz .LBB265_323
; %bb.320:                              ;   in Loop: Header=BB265_243 Depth=1
	v_and_b32_e32 v41, 0x7f, v23
	v_cmp_ne_u32_e64 s[0:1], s26, v41
	v_mov_b32_e32 v39, 0x7fc02000
	s_and_saveexec_b64 s[20:21], s[0:1]
	s_cbranch_execz .LBB265_322
; %bb.321:                              ;   in Loop: Header=BB265_243 Depth=1
	v_and_b32_e32 v39, 7, v23
	v_ffbh_u32_e32 v39, v39
	v_min_u32_e32 v39, 32, v39
	v_subrev_u32_e32 v42, 28, v39
	v_cmp_gt_u32_e64 s[0:1], 8, v41
	v_lshrrev_b32_e32 v44, 3, v41
	v_sub_u32_e32 v39, 29, v39
	v_cndmask_b32_e64 v41, 0, v42, s[0:1]
	v_lshlrev_b64 v[42:43], v41, v[12:13]
	v_cndmask_b32_e64 v39, v44, v39, s[0:1]
	v_lshlrev_b32_e32 v41, 7, v42
	v_lshlrev_b32_e32 v42, 8, v23
	v_lshl_add_u32 v39, v39, 10, v25
	v_and_or_b32 v39, v42, s27, v39
	v_and_or_b32 v39, v41, s29, v39
	v_cvt_f32_f16_e32 v39, v39
.LBB265_322:                            ;   in Loop: Header=BB265_243 Depth=1
	s_or_b64 exec, exec, s[20:21]
.LBB265_323:                            ;   in Loop: Header=BB265_243 Depth=1
	s_or_b64 exec, exec, s[18:19]
.LBB265_324:                            ;   in Loop: Header=BB265_243 Depth=1
	s_or_b64 exec, exec, s[16:17]
	v_lshrrev_b16_e32 v12, 8, v12
	v_cmp_ne_u16_e64 s[0:1], 0, v12
	s_and_saveexec_b64 s[16:17], s[0:1]
	s_cbranch_execz .LBB265_330
; %bb.325:                              ;   in Loop: Header=BB265_243 Depth=1
	v_cmp_ne_u16_e64 s[0:1], s25, v12
	v_bfrev_b32_e32 v40, 1
	s_and_saveexec_b64 s[18:19], s[0:1]
	s_cbranch_execz .LBB265_329
; %bb.326:                              ;   in Loop: Header=BB265_243 Depth=1
	v_and_b32_e32 v41, 0x7f, v12
	v_cmp_ne_u32_e64 s[0:1], s26, v41
	v_mov_b32_e32 v40, 0x7fc02000
	s_and_saveexec_b64 s[20:21], s[0:1]
	s_cbranch_execz .LBB265_328
; %bb.327:                              ;   in Loop: Header=BB265_243 Depth=1
	v_and_b32_e32 v40, 7, v12
	v_ffbh_u32_e32 v42, v40
	v_min_u32_e32 v45, 32, v42
	v_subrev_u32_e32 v42, 28, v45
	v_lshlrev_b64 v[42:43], v42, v[12:13]
	v_lshrrev_b32_e32 v44, 3, v41
	v_sub_u32_e32 v43, 29, v45
	v_cmp_gt_u32_e64 s[0:1], 8, v41
	v_cndmask_b32_e64 v41, v44, v43, s[0:1]
	v_and_b32_e32 v42, 7, v42
	v_lshlrev_b32_e32 v12, 8, v12
	v_lshl_add_u32 v41, v41, 10, v25
	v_cndmask_b32_e64 v40, v40, v42, s[0:1]
	v_and_or_b32 v12, v12, s27, v41
	v_lshl_or_b32 v12, v40, 7, v12
	v_cvt_f32_f16_e32 v40, v12
.LBB265_328:                            ;   in Loop: Header=BB265_243 Depth=1
	s_or_b64 exec, exec, s[20:21]
.LBB265_329:                            ;   in Loop: Header=BB265_243 Depth=1
	s_or_b64 exec, exec, s[18:19]
.LBB265_330:                            ;   in Loop: Header=BB265_243 Depth=1
	s_or_b64 exec, exec, s[16:17]
	v_lshrrev_b32_e32 v12, 16, v23
	v_cmp_ne_u16_sdwa s[0:1], v12, v13 src0_sel:BYTE_0 src1_sel:DWORD
	v_mov_b32_e32 v41, 0
	v_mov_b32_e32 v42, 0
	s_and_saveexec_b64 s[16:17], s[0:1]
	s_cbranch_execz .LBB265_336
; %bb.331:                              ;   in Loop: Header=BB265_243 Depth=1
	v_cmp_ne_u16_sdwa s[0:1], v12, s25 src0_sel:BYTE_0 src1_sel:DWORD
	v_bfrev_b32_e32 v42, 1
	s_and_saveexec_b64 s[18:19], s[0:1]
	s_cbranch_execz .LBB265_335
; %bb.332:                              ;   in Loop: Header=BB265_243 Depth=1
	v_bfe_u32 v43, v23, 16, 7
	v_cmp_ne_u32_e64 s[0:1], s26, v43
	v_mov_b32_e32 v42, 0x7fc02000
	s_and_saveexec_b64 s[20:21], s[0:1]
	s_cbranch_execz .LBB265_334
; %bb.333:                              ;   in Loop: Header=BB265_243 Depth=1
	v_and_b32_e32 v42, 7, v12
	v_ffbh_u32_e32 v44, v42
	v_min_u32_e32 v47, 32, v44
	v_subrev_u32_e32 v44, 28, v47
	v_lshlrev_b64 v[44:45], v44, v[12:13]
	v_lshrrev_b32_e32 v46, 3, v43
	v_sub_u32_e32 v45, 29, v47
	v_cmp_gt_u32_e64 s[0:1], 8, v43
	v_cndmask_b32_e64 v43, v46, v45, s[0:1]
	v_and_b32_e32 v44, 7, v44
	v_lshlrev_b32_e32 v12, 8, v12
	v_lshl_add_u32 v43, v43, 10, v25
	v_cndmask_b32_e64 v42, v42, v44, s[0:1]
	v_and_or_b32 v12, v12, s27, v43
	v_lshl_or_b32 v12, v42, 7, v12
	v_cvt_f32_f16_e32 v42, v12
.LBB265_334:                            ;   in Loop: Header=BB265_243 Depth=1
	s_or_b64 exec, exec, s[20:21]
.LBB265_335:                            ;   in Loop: Header=BB265_243 Depth=1
	s_or_b64 exec, exec, s[18:19]
.LBB265_336:                            ;   in Loop: Header=BB265_243 Depth=1
	s_or_b64 exec, exec, s[16:17]
	v_cmp_lt_u64_e64 s[0:1], s[6:7], v[22:23]
	s_and_saveexec_b64 s[16:17], s[0:1]
	s_cbranch_execz .LBB265_342
; %bb.337:                              ;   in Loop: Header=BB265_243 Depth=1
	v_lshrrev_b32_e32 v12, 24, v23
	v_cmp_ne_u32_e64 s[0:1], s25, v12
	v_bfrev_b32_e32 v41, 1
	s_and_saveexec_b64 s[18:19], s[0:1]
	s_cbranch_execz .LBB265_341
; %bb.338:                              ;   in Loop: Header=BB265_243 Depth=1
	v_and_b32_e32 v22, 0x7f, v12
	v_cmp_ne_u32_e64 s[0:1], s26, v22
	v_mov_b32_e32 v41, 0x7fc02000
	s_and_saveexec_b64 s[20:21], s[0:1]
	s_cbranch_execz .LBB265_340
; %bb.339:                              ;   in Loop: Header=BB265_243 Depth=1
	v_and_b32_e32 v23, 7, v12
	v_ffbh_u32_e32 v43, v23
	v_min_u32_e32 v43, 32, v43
	v_lshrrev_b32_e32 v41, 3, v22
	v_subrev_u32_e32 v44, 28, v43
	v_sub_u32_e32 v43, 29, v43
	v_cmp_gt_u32_e64 s[0:1], 8, v22
	v_lshlrev_b64 v[44:45], v44, v[12:13]
	v_cndmask_b32_e64 v22, v41, v43, s[0:1]
	v_and_b32_e32 v44, 7, v44
	v_lshlrev_b32_e32 v12, 8, v12
	v_lshl_add_u32 v22, v22, 10, v25
	v_cndmask_b32_e64 v23, v23, v44, s[0:1]
	v_and_or_b32 v12, v12, s27, v22
	v_lshl_or_b32 v12, v23, 7, v12
	v_cvt_f32_f16_e32 v41, v12
.LBB265_340:                            ;   in Loop: Header=BB265_243 Depth=1
	s_or_b64 exec, exec, s[20:21]
.LBB265_341:                            ;   in Loop: Header=BB265_243 Depth=1
	s_or_b64 exec, exec, s[18:19]
.LBB265_342:                            ;   in Loop: Header=BB265_243 Depth=1
	s_or_b64 exec, exec, s[16:17]
	s_waitcnt vmcnt(0)
	v_pk_mul_f32 v[20:21], v[16:17], v[20:21] op_sel_hi:[0,1]
	v_pk_mul_f32 v[18:19], v[16:17], v[18:19] op_sel_hi:[0,1]
	v_cvt_f16_f32_e32 v12, v21
	v_cvt_f16_f32_e32 v20, v20
	;; [unrolled: 1-line block ×4, first 2 shown]
	v_pack_b32_f16 v20, v20, v12
	v_pack_b32_f16 v18, v18, v19
	v_fma_mixlo_f16 v19, v16, v40, 0
	v_perm_b32 v12, v18, v20, s30
	v_perm_b32 v18, v18, v20, s38
	v_lshlrev_b32_e32 v19, 16, v19
	v_fma_mixlo_f16 v20, v16, v39, 0
	v_or_b32_sdwa v19, v19, v20 dst_sel:DWORD dst_unused:UNUSED_PAD src0_sel:DWORD src1_sel:WORD_0
	v_fma_mixlo_f16 v20, v16, v42, 0
	v_fma_mixlo_f16 v16, v16, v41, 0
	v_lshlrev_b32_e32 v16, 16, v16
	v_or_b32_sdwa v16, v16, v20 dst_sel:DWORD dst_unused:UNUSED_PAD src0_sel:DWORD src1_sel:WORD_0
	s_and_saveexec_b64 s[16:17], vcc
	s_cbranch_execz .LBB265_344
; %bb.343:                              ;   in Loop: Header=BB265_243 Depth=1
	v_lshrrev_b32_e32 v21, 16, v18
	v_cmp_gt_i32_e64 s[0:1], s24, v32
	v_cndmask_b32_e64 v21, 0, v21, s[0:1]
	v_cmp_gt_i32_e64 s[0:1], s41, v1
	v_cndmask_b32_e64 v18, 0, v18, s[0:1]
	v_perm_b32 v18, v21, v18, s39
	v_lshrrev_b32_e32 v21, 16, v12
	v_cmp_gt_i32_e64 s[0:1], s24, v31
	v_cndmask_b32_e64 v21, 0, v21, s[0:1]
	v_cmp_gt_i32_e64 s[0:1], s41, v30
	v_cndmask_b32_e64 v12, 0, v12, s[0:1]
	v_perm_b32 v12, v21, v12, s39
	v_lshrrev_b32_e32 v21, 16, v19
	v_cmp_gt_i32_e64 s[0:1], s24, v29
	v_cndmask_b32_e64 v21, 0, v21, s[0:1]
	v_cmp_gt_i32_e64 s[0:1], s41, v28
	v_cndmask_b32_e64 v19, 0, v19, s[0:1]
	v_lshrrev_b32_e32 v16, 16, v16
	v_cmp_gt_i32_e64 s[0:1], s24, v27
	v_cndmask_b32_e64 v16, 0, v16, s[0:1]
	v_cmp_gt_i32_e64 s[0:1], s41, v26
	v_cndmask_b32_e64 v20, 0, v20, s[0:1]
	v_perm_b32 v19, v21, v19, s39
	v_perm_b32 v16, v16, v20, s39
.LBB265_344:                            ;   in Loop: Header=BB265_243 Depth=1
	s_or_b64 exec, exec, s[16:17]
	;;#ASMSTART
	v_pk_mul_f16 v18, v36, v18;

	;;#ASMEND
	;;#ASMSTART
	v_pk_mul_f16 v12, v35, v12;

	;;#ASMEND
	;;#ASMSTART
	v_pk_mul_f16 v19, v34, v19;

	;;#ASMEND
	;;#ASMSTART
	v_pk_mul_f16 v16, v33, v16;

	;;#ASMEND
	;;#ASMSTART
	v_pk_add_f16 v12, v18, v12;

	;;#ASMEND
	;;#ASMSTART
	v_pk_add_f16 v12, v12, v19;

	;;#ASMEND
	;;#ASMSTART
	v_pk_add_f16 v12, v12, v16;

	;;#ASMEND
	v_lshrrev_b32_e32 v16, 16, v12
	v_and_b32_e32 v12, 0xffff, v12
	;;#ASMSTART
	v_cvt_f32_f16 v39, v12;
	;;#ASMEND
	;;#ASMSTART
	v_cvt_f32_f16 v40, v16;
	;;#ASMEND
	global_load_dwordx2 v[22:23], v[14:15], off offset:1024
	global_load_dword v16, v13, s[14:15]
	v_mov_b32_e32 v20, 0
	v_mov_b32_e32 v18, 0
	s_waitcnt vmcnt(1)
	v_cmp_ne_u16_sdwa s[0:1], v22, v13 src0_sel:BYTE_0 src1_sel:DWORD
	s_and_saveexec_b64 s[16:17], s[0:1]
	s_cbranch_execz .LBB265_350
; %bb.345:                              ;   in Loop: Header=BB265_243 Depth=1
	v_cmp_ne_u16_sdwa s[0:1], v22, s25 src0_sel:BYTE_0 src1_sel:DWORD
	v_bfrev_b32_e32 v18, 1
	s_and_saveexec_b64 s[18:19], s[0:1]
	s_cbranch_execz .LBB265_349
; %bb.346:                              ;   in Loop: Header=BB265_243 Depth=1
	v_and_b32_e32 v12, 0x7f, v22
	v_cmp_ne_u32_e64 s[0:1], s26, v12
	v_mov_b32_e32 v18, 0x7fc02000
	s_and_saveexec_b64 s[20:21], s[0:1]
	s_cbranch_execz .LBB265_348
; %bb.347:                              ;   in Loop: Header=BB265_243 Depth=1
	v_and_b32_e32 v18, 7, v22
	v_ffbh_u32_e32 v18, v18
	v_min_u32_e32 v18, 32, v18
	v_subrev_u32_e32 v19, 28, v18
	v_cmp_gt_u32_e64 s[0:1], 8, v12
	v_lshrrev_b32_e32 v21, 3, v12
	v_sub_u32_e32 v41, 29, v18
	v_cndmask_b32_e64 v12, 0, v19, s[0:1]
	v_lshlrev_b64 v[18:19], v12, v[22:23]
	v_cndmask_b32_e64 v12, v21, v41, s[0:1]
	v_lshlrev_b32_e32 v19, 8, v22
	v_lshl_add_u32 v12, v12, 10, v25
	v_lshlrev_b32_e32 v18, 7, v18
	v_and_or_b32 v12, v19, s27, v12
	v_and_or_b32 v12, v18, s29, v12
	v_cvt_f32_f16_e32 v18, v12
.LBB265_348:                            ;   in Loop: Header=BB265_243 Depth=1
	s_or_b64 exec, exec, s[20:21]
.LBB265_349:                            ;   in Loop: Header=BB265_243 Depth=1
	s_or_b64 exec, exec, s[18:19]
.LBB265_350:                            ;   in Loop: Header=BB265_243 Depth=1
	s_or_b64 exec, exec, s[16:17]
	v_lshrrev_b16_e32 v12, 8, v22
	v_cmp_ne_u16_e64 s[0:1], 0, v12
	s_and_saveexec_b64 s[16:17], s[0:1]
	s_cbranch_execz .LBB265_356
; %bb.351:                              ;   in Loop: Header=BB265_243 Depth=1
	v_cmp_ne_u16_e64 s[0:1], s25, v12
	v_bfrev_b32_e32 v20, 1
	s_and_saveexec_b64 s[18:19], s[0:1]
	s_cbranch_execz .LBB265_355
; %bb.352:                              ;   in Loop: Header=BB265_243 Depth=1
	v_and_b32_e32 v19, 0x7f, v12
	v_cmp_ne_u32_e64 s[0:1], s26, v19
	v_mov_b32_e32 v20, 0x7fc02000
	s_and_saveexec_b64 s[20:21], s[0:1]
	s_cbranch_execz .LBB265_354
; %bb.353:                              ;   in Loop: Header=BB265_243 Depth=1
	v_and_b32_e32 v41, 7, v12
	v_ffbh_u32_e32 v20, v41
	v_min_u32_e32 v43, 32, v20
	v_subrev_u32_e32 v20, 28, v43
	v_lshlrev_b64 v[20:21], v20, v[12:13]
	v_lshrrev_b32_e32 v42, 3, v19
	v_sub_u32_e32 v21, 29, v43
	v_cmp_gt_u32_e64 s[0:1], 8, v19
	v_cndmask_b32_e64 v19, v42, v21, s[0:1]
	v_and_b32_e32 v20, 7, v20
	v_lshlrev_b32_e32 v12, 8, v12
	v_lshl_add_u32 v19, v19, 10, v25
	v_cndmask_b32_e64 v20, v41, v20, s[0:1]
	v_and_or_b32 v12, v12, s27, v19
	v_lshl_or_b32 v12, v20, 7, v12
	v_cvt_f32_f16_e32 v20, v12
.LBB265_354:                            ;   in Loop: Header=BB265_243 Depth=1
	s_or_b64 exec, exec, s[20:21]
.LBB265_355:                            ;   in Loop: Header=BB265_243 Depth=1
	s_or_b64 exec, exec, s[18:19]
.LBB265_356:                            ;   in Loop: Header=BB265_243 Depth=1
	s_or_b64 exec, exec, s[16:17]
	v_lshrrev_b32_e32 v12, 16, v22
	v_cmp_ne_u16_sdwa s[0:1], v12, v13 src0_sel:BYTE_0 src1_sel:DWORD
	v_mov_b32_e32 v21, 0
	v_mov_b32_e32 v19, 0
	s_and_saveexec_b64 s[16:17], s[0:1]
	s_cbranch_execz .LBB265_362
; %bb.357:                              ;   in Loop: Header=BB265_243 Depth=1
	v_cmp_ne_u16_sdwa s[0:1], v12, s25 src0_sel:BYTE_0 src1_sel:DWORD
	v_bfrev_b32_e32 v19, 1
	s_and_saveexec_b64 s[18:19], s[0:1]
	s_cbranch_execz .LBB265_361
; %bb.358:                              ;   in Loop: Header=BB265_243 Depth=1
	v_bfe_u32 v41, v22, 16, 7
	v_cmp_ne_u32_e64 s[0:1], s26, v41
	v_mov_b32_e32 v19, 0x7fc02000
	s_and_saveexec_b64 s[20:21], s[0:1]
	s_cbranch_execz .LBB265_360
; %bb.359:                              ;   in Loop: Header=BB265_243 Depth=1
	v_and_b32_e32 v19, 7, v12
	v_ffbh_u32_e32 v42, v19
	v_min_u32_e32 v45, 32, v42
	v_subrev_u32_e32 v42, 28, v45
	v_lshlrev_b64 v[42:43], v42, v[12:13]
	v_lshrrev_b32_e32 v44, 3, v41
	v_sub_u32_e32 v43, 29, v45
	v_cmp_gt_u32_e64 s[0:1], 8, v41
	v_cndmask_b32_e64 v41, v44, v43, s[0:1]
	v_and_b32_e32 v42, 7, v42
	v_lshlrev_b32_e32 v12, 8, v12
	v_lshl_add_u32 v41, v41, 10, v25
	v_cndmask_b32_e64 v19, v19, v42, s[0:1]
	v_and_or_b32 v12, v12, s27, v41
	v_lshl_or_b32 v12, v19, 7, v12
	v_cvt_f32_f16_e32 v19, v12
.LBB265_360:                            ;   in Loop: Header=BB265_243 Depth=1
	s_or_b64 exec, exec, s[20:21]
.LBB265_361:                            ;   in Loop: Header=BB265_243 Depth=1
	s_or_b64 exec, exec, s[18:19]
.LBB265_362:                            ;   in Loop: Header=BB265_243 Depth=1
	s_or_b64 exec, exec, s[16:17]
	v_cmp_lt_u32_e64 s[0:1], s7, v22
	s_and_saveexec_b64 s[16:17], s[0:1]
	s_cbranch_execz .LBB265_368
; %bb.363:                              ;   in Loop: Header=BB265_243 Depth=1
	v_lshrrev_b32_e32 v12, 24, v22
	v_cmp_ne_u32_e64 s[0:1], s25, v12
	v_bfrev_b32_e32 v21, 1
	s_and_saveexec_b64 s[18:19], s[0:1]
	s_cbranch_execz .LBB265_367
; %bb.364:                              ;   in Loop: Header=BB265_243 Depth=1
	v_and_b32_e32 v41, 0x7f, v12
	v_cmp_ne_u32_e64 s[0:1], s26, v41
	v_mov_b32_e32 v21, 0x7fc02000
	s_and_saveexec_b64 s[20:21], s[0:1]
	s_cbranch_execz .LBB265_366
; %bb.365:                              ;   in Loop: Header=BB265_243 Depth=1
	v_and_b32_e32 v21, 7, v12
	v_ffbh_u32_e32 v42, v21
	v_min_u32_e32 v45, 32, v42
	v_subrev_u32_e32 v42, 28, v45
	v_lshlrev_b64 v[42:43], v42, v[12:13]
	v_lshrrev_b32_e32 v44, 3, v41
	v_sub_u32_e32 v43, 29, v45
	v_cmp_gt_u32_e64 s[0:1], 8, v41
	v_cndmask_b32_e64 v41, v44, v43, s[0:1]
	v_and_b32_e32 v42, 7, v42
	v_lshlrev_b32_e32 v12, 8, v12
	v_lshl_add_u32 v41, v41, 10, v25
	v_cndmask_b32_e64 v21, v21, v42, s[0:1]
	v_and_or_b32 v12, v12, s27, v41
	v_lshl_or_b32 v12, v21, 7, v12
	v_cvt_f32_f16_e32 v21, v12
.LBB265_366:                            ;   in Loop: Header=BB265_243 Depth=1
	s_or_b64 exec, exec, s[20:21]
.LBB265_367:                            ;   in Loop: Header=BB265_243 Depth=1
	s_or_b64 exec, exec, s[18:19]
.LBB265_368:                            ;   in Loop: Header=BB265_243 Depth=1
	s_or_b64 exec, exec, s[16:17]
	v_mov_b32_e32 v12, v23
	v_cmp_ne_u16_sdwa s[0:1], v23, v13 src0_sel:BYTE_0 src1_sel:DWORD
	v_mov_b32_e32 v42, 0
	v_mov_b32_e32 v41, 0
	s_and_saveexec_b64 s[16:17], s[0:1]
	s_cbranch_execz .LBB265_374
; %bb.369:                              ;   in Loop: Header=BB265_243 Depth=1
	v_cmp_ne_u16_sdwa s[0:1], v23, s25 src0_sel:BYTE_0 src1_sel:DWORD
	v_bfrev_b32_e32 v41, 1
	s_and_saveexec_b64 s[18:19], s[0:1]
	s_cbranch_execz .LBB265_373
; %bb.370:                              ;   in Loop: Header=BB265_243 Depth=1
	v_and_b32_e32 v43, 0x7f, v23
	v_cmp_ne_u32_e64 s[0:1], s26, v43
	v_mov_b32_e32 v41, 0x7fc02000
	s_and_saveexec_b64 s[20:21], s[0:1]
	s_cbranch_execz .LBB265_372
; %bb.371:                              ;   in Loop: Header=BB265_243 Depth=1
	v_and_b32_e32 v41, 7, v23
	v_ffbh_u32_e32 v41, v41
	v_min_u32_e32 v41, 32, v41
	v_subrev_u32_e32 v44, 28, v41
	v_cmp_gt_u32_e64 s[0:1], 8, v43
	v_lshrrev_b32_e32 v46, 3, v43
	v_sub_u32_e32 v41, 29, v41
	v_cndmask_b32_e64 v43, 0, v44, s[0:1]
	v_lshlrev_b64 v[44:45], v43, v[12:13]
	v_cndmask_b32_e64 v41, v46, v41, s[0:1]
	v_lshlrev_b32_e32 v43, 7, v44
	v_lshlrev_b32_e32 v44, 8, v23
	v_lshl_add_u32 v41, v41, 10, v25
	v_and_or_b32 v41, v44, s27, v41
	v_and_or_b32 v41, v43, s29, v41
	v_cvt_f32_f16_e32 v41, v41
.LBB265_372:                            ;   in Loop: Header=BB265_243 Depth=1
	s_or_b64 exec, exec, s[20:21]
.LBB265_373:                            ;   in Loop: Header=BB265_243 Depth=1
	s_or_b64 exec, exec, s[18:19]
.LBB265_374:                            ;   in Loop: Header=BB265_243 Depth=1
	s_or_b64 exec, exec, s[16:17]
	v_lshrrev_b16_e32 v12, 8, v12
	v_cmp_ne_u16_e64 s[0:1], 0, v12
	s_and_saveexec_b64 s[16:17], s[0:1]
	s_cbranch_execz .LBB265_380
; %bb.375:                              ;   in Loop: Header=BB265_243 Depth=1
	v_cmp_ne_u16_e64 s[0:1], s25, v12
	v_bfrev_b32_e32 v42, 1
	s_and_saveexec_b64 s[18:19], s[0:1]
	s_cbranch_execz .LBB265_379
; %bb.376:                              ;   in Loop: Header=BB265_243 Depth=1
	v_and_b32_e32 v43, 0x7f, v12
	v_cmp_ne_u32_e64 s[0:1], s26, v43
	v_mov_b32_e32 v42, 0x7fc02000
	s_and_saveexec_b64 s[20:21], s[0:1]
	s_cbranch_execz .LBB265_378
; %bb.377:                              ;   in Loop: Header=BB265_243 Depth=1
	v_and_b32_e32 v42, 7, v12
	v_ffbh_u32_e32 v44, v42
	v_min_u32_e32 v47, 32, v44
	v_subrev_u32_e32 v44, 28, v47
	v_lshlrev_b64 v[44:45], v44, v[12:13]
	v_lshrrev_b32_e32 v46, 3, v43
	v_sub_u32_e32 v45, 29, v47
	v_cmp_gt_u32_e64 s[0:1], 8, v43
	v_cndmask_b32_e64 v43, v46, v45, s[0:1]
	v_and_b32_e32 v44, 7, v44
	v_lshlrev_b32_e32 v12, 8, v12
	v_lshl_add_u32 v43, v43, 10, v25
	v_cndmask_b32_e64 v42, v42, v44, s[0:1]
	v_and_or_b32 v12, v12, s27, v43
	v_lshl_or_b32 v12, v42, 7, v12
	v_cvt_f32_f16_e32 v42, v12
.LBB265_378:                            ;   in Loop: Header=BB265_243 Depth=1
	s_or_b64 exec, exec, s[20:21]
.LBB265_379:                            ;   in Loop: Header=BB265_243 Depth=1
	s_or_b64 exec, exec, s[18:19]
.LBB265_380:                            ;   in Loop: Header=BB265_243 Depth=1
	s_or_b64 exec, exec, s[16:17]
	v_lshrrev_b32_e32 v12, 16, v23
	v_cmp_ne_u16_sdwa s[0:1], v12, v13 src0_sel:BYTE_0 src1_sel:DWORD
	v_mov_b32_e32 v43, 0
	v_mov_b32_e32 v44, 0
	s_and_saveexec_b64 s[16:17], s[0:1]
	s_cbranch_execz .LBB265_386
; %bb.381:                              ;   in Loop: Header=BB265_243 Depth=1
	v_cmp_ne_u16_sdwa s[0:1], v12, s25 src0_sel:BYTE_0 src1_sel:DWORD
	v_bfrev_b32_e32 v44, 1
	s_and_saveexec_b64 s[18:19], s[0:1]
	s_cbranch_execz .LBB265_385
; %bb.382:                              ;   in Loop: Header=BB265_243 Depth=1
	v_bfe_u32 v45, v23, 16, 7
	v_cmp_ne_u32_e64 s[0:1], s26, v45
	v_mov_b32_e32 v44, 0x7fc02000
	s_and_saveexec_b64 s[20:21], s[0:1]
	s_cbranch_execz .LBB265_384
; %bb.383:                              ;   in Loop: Header=BB265_243 Depth=1
	v_and_b32_e32 v44, 7, v12
	v_ffbh_u32_e32 v46, v44
	v_min_u32_e32 v49, 32, v46
	v_subrev_u32_e32 v46, 28, v49
	v_lshlrev_b64 v[46:47], v46, v[12:13]
	v_lshrrev_b32_e32 v48, 3, v45
	v_sub_u32_e32 v47, 29, v49
	v_cmp_gt_u32_e64 s[0:1], 8, v45
	v_cndmask_b32_e64 v45, v48, v47, s[0:1]
	v_and_b32_e32 v46, 7, v46
	v_lshlrev_b32_e32 v12, 8, v12
	v_lshl_add_u32 v45, v45, 10, v25
	v_cndmask_b32_e64 v44, v44, v46, s[0:1]
	v_and_or_b32 v12, v12, s27, v45
	v_lshl_or_b32 v12, v44, 7, v12
	v_cvt_f32_f16_e32 v44, v12
.LBB265_384:                            ;   in Loop: Header=BB265_243 Depth=1
	s_or_b64 exec, exec, s[20:21]
.LBB265_385:                            ;   in Loop: Header=BB265_243 Depth=1
	s_or_b64 exec, exec, s[18:19]
.LBB265_386:                            ;   in Loop: Header=BB265_243 Depth=1
	s_or_b64 exec, exec, s[16:17]
	v_cmp_lt_u64_e64 s[0:1], s[6:7], v[22:23]
	s_and_saveexec_b64 s[16:17], s[0:1]
	s_cbranch_execz .LBB265_392
; %bb.387:                              ;   in Loop: Header=BB265_243 Depth=1
	v_lshrrev_b32_e32 v12, 24, v23
	v_cmp_ne_u32_e64 s[0:1], s25, v12
	v_bfrev_b32_e32 v43, 1
	s_and_saveexec_b64 s[18:19], s[0:1]
	s_cbranch_execz .LBB265_391
; %bb.388:                              ;   in Loop: Header=BB265_243 Depth=1
	v_and_b32_e32 v22, 0x7f, v12
	v_cmp_ne_u32_e64 s[0:1], s26, v22
	v_mov_b32_e32 v43, 0x7fc02000
	s_and_saveexec_b64 s[20:21], s[0:1]
	s_cbranch_execz .LBB265_390
; %bb.389:                              ;   in Loop: Header=BB265_243 Depth=1
	v_and_b32_e32 v23, 7, v12
	v_ffbh_u32_e32 v45, v23
	v_min_u32_e32 v45, 32, v45
	v_lshrrev_b32_e32 v43, 3, v22
	v_subrev_u32_e32 v46, 28, v45
	v_sub_u32_e32 v45, 29, v45
	v_cmp_gt_u32_e64 s[0:1], 8, v22
	v_lshlrev_b64 v[46:47], v46, v[12:13]
	v_cndmask_b32_e64 v22, v43, v45, s[0:1]
	v_and_b32_e32 v46, 7, v46
	v_lshlrev_b32_e32 v12, 8, v12
	v_lshl_add_u32 v22, v22, 10, v25
	v_cndmask_b32_e64 v23, v23, v46, s[0:1]
	v_and_or_b32 v12, v12, s27, v22
	v_lshl_or_b32 v12, v23, 7, v12
	v_cvt_f32_f16_e32 v43, v12
.LBB265_390:                            ;   in Loop: Header=BB265_243 Depth=1
	s_or_b64 exec, exec, s[20:21]
.LBB265_391:                            ;   in Loop: Header=BB265_243 Depth=1
	s_or_b64 exec, exec, s[18:19]
.LBB265_392:                            ;   in Loop: Header=BB265_243 Depth=1
	s_or_b64 exec, exec, s[16:17]
	s_waitcnt vmcnt(0)
	v_pk_mul_f32 v[20:21], v[16:17], v[20:21] op_sel_hi:[0,1]
	v_pk_mul_f32 v[18:19], v[16:17], v[18:19] op_sel_hi:[0,1]
	v_cvt_f16_f32_e32 v12, v21
	v_cvt_f16_f32_e32 v20, v20
	v_cvt_f16_f32_e32 v19, v19
	v_cvt_f16_f32_e32 v18, v18
	v_pack_b32_f16 v20, v20, v12
	v_pack_b32_f16 v18, v18, v19
	v_fma_mixlo_f16 v19, v16, v42, 0
	v_perm_b32 v12, v18, v20, s30
	v_perm_b32 v18, v18, v20, s38
	v_lshlrev_b32_e32 v19, 16, v19
	v_fma_mixlo_f16 v20, v16, v41, 0
	v_or_b32_sdwa v19, v19, v20 dst_sel:DWORD dst_unused:UNUSED_PAD src0_sel:DWORD src1_sel:WORD_0
	v_fma_mixlo_f16 v20, v16, v44, 0
	v_fma_mixlo_f16 v16, v16, v43, 0
	v_lshlrev_b32_e32 v16, 16, v16
	v_or_b32_sdwa v16, v16, v20 dst_sel:DWORD dst_unused:UNUSED_PAD src0_sel:DWORD src1_sel:WORD_0
	s_and_saveexec_b64 s[16:17], vcc
	s_cbranch_execz .LBB265_394
; %bb.393:                              ;   in Loop: Header=BB265_243 Depth=1
	v_lshrrev_b32_e32 v21, 16, v18
	v_cmp_gt_i32_e64 s[0:1], s24, v32
	v_cndmask_b32_e64 v21, 0, v21, s[0:1]
	v_cmp_gt_i32_e64 s[0:1], s41, v1
	v_cndmask_b32_e64 v18, 0, v18, s[0:1]
	v_perm_b32 v18, v21, v18, s39
	v_lshrrev_b32_e32 v21, 16, v12
	v_cmp_gt_i32_e64 s[0:1], s24, v31
	v_cndmask_b32_e64 v21, 0, v21, s[0:1]
	v_cmp_gt_i32_e64 s[0:1], s41, v30
	v_cndmask_b32_e64 v12, 0, v12, s[0:1]
	v_perm_b32 v12, v21, v12, s39
	v_lshrrev_b32_e32 v21, 16, v19
	v_cmp_gt_i32_e64 s[0:1], s24, v29
	v_cndmask_b32_e64 v21, 0, v21, s[0:1]
	v_cmp_gt_i32_e64 s[0:1], s41, v28
	v_cndmask_b32_e64 v19, 0, v19, s[0:1]
	v_lshrrev_b32_e32 v16, 16, v16
	v_cmp_gt_i32_e64 s[0:1], s24, v27
	v_cndmask_b32_e64 v16, 0, v16, s[0:1]
	v_cmp_gt_i32_e64 s[0:1], s41, v26
	v_cndmask_b32_e64 v20, 0, v20, s[0:1]
	v_perm_b32 v19, v21, v19, s39
	v_perm_b32 v16, v16, v20, s39
.LBB265_394:                            ;   in Loop: Header=BB265_243 Depth=1
	s_or_b64 exec, exec, s[16:17]
	;;#ASMSTART
	v_pk_mul_f16 v18, v36, v18;

	;;#ASMEND
	;;#ASMSTART
	v_pk_mul_f16 v12, v35, v12;

	;;#ASMEND
	;; [unrolled: 4-line block ×4, first 2 shown]
	;;#ASMSTART
	v_pk_add_f16 v12, v18, v12;

	;;#ASMEND
	;;#ASMSTART
	v_pk_add_f16 v12, v12, v19;

	;;#ASMEND
	;; [unrolled: 4-line block ×3, first 2 shown]
	v_lshrrev_b32_e32 v16, 16, v12
	v_and_b32_e32 v12, 0xffff, v12
	;;#ASMSTART
	v_cvt_f32_f16 v22, v12;
	;;#ASMEND
	;;#ASMSTART
	v_cvt_f32_f16 v23, v16;
	;;#ASMEND
	global_load_dwordx2 v[20:21], v[14:15], off offset:1536
	global_load_dword v16, v13, s[14:15]
	v_mov_b32_e32 v18, 0
	v_mov_b32_e32 v14, 0
	s_waitcnt vmcnt(1)
	v_cmp_ne_u16_sdwa s[0:1], v20, v13 src0_sel:BYTE_0 src1_sel:DWORD
	s_and_saveexec_b64 s[16:17], s[0:1]
	s_cbranch_execz .LBB265_400
; %bb.395:                              ;   in Loop: Header=BB265_243 Depth=1
	v_cmp_ne_u16_sdwa s[0:1], v20, s25 src0_sel:BYTE_0 src1_sel:DWORD
	v_bfrev_b32_e32 v14, 1
	s_and_saveexec_b64 s[18:19], s[0:1]
	s_cbranch_execz .LBB265_399
; %bb.396:                              ;   in Loop: Header=BB265_243 Depth=1
	v_and_b32_e32 v12, 0x7f, v20
	v_cmp_ne_u32_e64 s[0:1], s26, v12
	v_mov_b32_e32 v14, 0x7fc02000
	s_and_saveexec_b64 s[20:21], s[0:1]
	s_cbranch_execz .LBB265_398
; %bb.397:                              ;   in Loop: Header=BB265_243 Depth=1
	v_and_b32_e32 v14, 7, v20
	v_ffbh_u32_e32 v14, v14
	v_min_u32_e32 v14, 32, v14
	v_subrev_u32_e32 v15, 28, v14
	v_cmp_gt_u32_e64 s[0:1], 8, v12
	v_lshrrev_b32_e32 v19, 3, v12
	v_sub_u32_e32 v41, 29, v14
	v_cndmask_b32_e64 v12, 0, v15, s[0:1]
	v_lshlrev_b64 v[14:15], v12, v[20:21]
	v_cndmask_b32_e64 v12, v19, v41, s[0:1]
	v_lshlrev_b32_e32 v15, 8, v20
	v_lshl_add_u32 v12, v12, 10, v25
	v_lshlrev_b32_e32 v14, 7, v14
	v_and_or_b32 v12, v15, s27, v12
	v_and_or_b32 v12, v14, s29, v12
	v_cvt_f32_f16_e32 v14, v12
.LBB265_398:                            ;   in Loop: Header=BB265_243 Depth=1
	s_or_b64 exec, exec, s[20:21]
.LBB265_399:                            ;   in Loop: Header=BB265_243 Depth=1
	s_or_b64 exec, exec, s[18:19]
.LBB265_400:                            ;   in Loop: Header=BB265_243 Depth=1
	s_or_b64 exec, exec, s[16:17]
	v_lshrrev_b16_e32 v12, 8, v20
	v_cmp_ne_u16_e64 s[0:1], 0, v12
	s_and_saveexec_b64 s[16:17], s[0:1]
	s_cbranch_execz .LBB265_406
; %bb.401:                              ;   in Loop: Header=BB265_243 Depth=1
	v_cmp_ne_u16_e64 s[0:1], s25, v12
	v_bfrev_b32_e32 v18, 1
	s_and_saveexec_b64 s[18:19], s[0:1]
	s_cbranch_execz .LBB265_405
; %bb.402:                              ;   in Loop: Header=BB265_243 Depth=1
	v_and_b32_e32 v15, 0x7f, v12
	v_cmp_ne_u32_e64 s[0:1], s26, v15
	v_mov_b32_e32 v18, 0x7fc02000
	s_and_saveexec_b64 s[20:21], s[0:1]
	s_cbranch_execz .LBB265_404
; %bb.403:                              ;   in Loop: Header=BB265_243 Depth=1
	v_and_b32_e32 v41, 7, v12
	v_ffbh_u32_e32 v18, v41
	v_min_u32_e32 v43, 32, v18
	v_subrev_u32_e32 v18, 28, v43
	v_lshlrev_b64 v[18:19], v18, v[12:13]
	v_lshrrev_b32_e32 v42, 3, v15
	v_sub_u32_e32 v19, 29, v43
	v_cmp_gt_u32_e64 s[0:1], 8, v15
	v_cndmask_b32_e64 v15, v42, v19, s[0:1]
	v_and_b32_e32 v18, 7, v18
	v_lshlrev_b32_e32 v12, 8, v12
	v_lshl_add_u32 v15, v15, 10, v25
	v_cndmask_b32_e64 v18, v41, v18, s[0:1]
	v_and_or_b32 v12, v12, s27, v15
	v_lshl_or_b32 v12, v18, 7, v12
	v_cvt_f32_f16_e32 v18, v12
.LBB265_404:                            ;   in Loop: Header=BB265_243 Depth=1
	s_or_b64 exec, exec, s[20:21]
.LBB265_405:                            ;   in Loop: Header=BB265_243 Depth=1
	s_or_b64 exec, exec, s[18:19]
.LBB265_406:                            ;   in Loop: Header=BB265_243 Depth=1
	s_or_b64 exec, exec, s[16:17]
	v_lshrrev_b32_e32 v12, 16, v20
	v_cmp_ne_u16_sdwa s[0:1], v12, v13 src0_sel:BYTE_0 src1_sel:DWORD
	v_mov_b32_e32 v19, 0
	v_mov_b32_e32 v15, 0
	s_and_saveexec_b64 s[16:17], s[0:1]
	s_cbranch_execz .LBB265_412
; %bb.407:                              ;   in Loop: Header=BB265_243 Depth=1
	v_cmp_ne_u16_sdwa s[0:1], v12, s25 src0_sel:BYTE_0 src1_sel:DWORD
	v_bfrev_b32_e32 v15, 1
	s_and_saveexec_b64 s[18:19], s[0:1]
	s_cbranch_execz .LBB265_411
; %bb.408:                              ;   in Loop: Header=BB265_243 Depth=1
	v_bfe_u32 v41, v20, 16, 7
	v_cmp_ne_u32_e64 s[0:1], s26, v41
	v_mov_b32_e32 v15, 0x7fc02000
	s_and_saveexec_b64 s[20:21], s[0:1]
	s_cbranch_execz .LBB265_410
; %bb.409:                              ;   in Loop: Header=BB265_243 Depth=1
	v_and_b32_e32 v15, 7, v12
	v_ffbh_u32_e32 v42, v15
	v_min_u32_e32 v45, 32, v42
	v_subrev_u32_e32 v42, 28, v45
	v_lshlrev_b64 v[42:43], v42, v[12:13]
	v_lshrrev_b32_e32 v44, 3, v41
	v_sub_u32_e32 v43, 29, v45
	v_cmp_gt_u32_e64 s[0:1], 8, v41
	v_cndmask_b32_e64 v41, v44, v43, s[0:1]
	v_and_b32_e32 v42, 7, v42
	v_lshlrev_b32_e32 v12, 8, v12
	v_lshl_add_u32 v41, v41, 10, v25
	v_cndmask_b32_e64 v15, v15, v42, s[0:1]
	v_and_or_b32 v12, v12, s27, v41
	v_lshl_or_b32 v12, v15, 7, v12
	v_cvt_f32_f16_e32 v15, v12
.LBB265_410:                            ;   in Loop: Header=BB265_243 Depth=1
	s_or_b64 exec, exec, s[20:21]
.LBB265_411:                            ;   in Loop: Header=BB265_243 Depth=1
	s_or_b64 exec, exec, s[18:19]
.LBB265_412:                            ;   in Loop: Header=BB265_243 Depth=1
	s_or_b64 exec, exec, s[16:17]
	v_cmp_lt_u32_e64 s[0:1], s7, v20
	s_and_saveexec_b64 s[16:17], s[0:1]
	s_cbranch_execz .LBB265_418
; %bb.413:                              ;   in Loop: Header=BB265_243 Depth=1
	v_lshrrev_b32_e32 v12, 24, v20
	v_cmp_ne_u32_e64 s[0:1], s25, v12
	v_bfrev_b32_e32 v19, 1
	s_and_saveexec_b64 s[18:19], s[0:1]
	s_cbranch_execz .LBB265_417
; %bb.414:                              ;   in Loop: Header=BB265_243 Depth=1
	v_and_b32_e32 v41, 0x7f, v12
	v_cmp_ne_u32_e64 s[0:1], s26, v41
	v_mov_b32_e32 v19, 0x7fc02000
	s_and_saveexec_b64 s[20:21], s[0:1]
	s_cbranch_execz .LBB265_416
; %bb.415:                              ;   in Loop: Header=BB265_243 Depth=1
	v_and_b32_e32 v19, 7, v12
	v_ffbh_u32_e32 v42, v19
	v_min_u32_e32 v45, 32, v42
	v_subrev_u32_e32 v42, 28, v45
	v_lshlrev_b64 v[42:43], v42, v[12:13]
	v_lshrrev_b32_e32 v44, 3, v41
	v_sub_u32_e32 v43, 29, v45
	v_cmp_gt_u32_e64 s[0:1], 8, v41
	v_cndmask_b32_e64 v41, v44, v43, s[0:1]
	v_and_b32_e32 v42, 7, v42
	v_lshlrev_b32_e32 v12, 8, v12
	v_lshl_add_u32 v41, v41, 10, v25
	v_cndmask_b32_e64 v19, v19, v42, s[0:1]
	v_and_or_b32 v12, v12, s27, v41
	v_lshl_or_b32 v12, v19, 7, v12
	v_cvt_f32_f16_e32 v19, v12
.LBB265_416:                            ;   in Loop: Header=BB265_243 Depth=1
	s_or_b64 exec, exec, s[20:21]
.LBB265_417:                            ;   in Loop: Header=BB265_243 Depth=1
	s_or_b64 exec, exec, s[18:19]
.LBB265_418:                            ;   in Loop: Header=BB265_243 Depth=1
	s_or_b64 exec, exec, s[16:17]
	v_mov_b32_e32 v12, v21
	v_cmp_ne_u16_sdwa s[0:1], v21, v13 src0_sel:BYTE_0 src1_sel:DWORD
	v_mov_b32_e32 v42, 0
	v_mov_b32_e32 v41, 0
	s_and_saveexec_b64 s[16:17], s[0:1]
	s_cbranch_execz .LBB265_424
; %bb.419:                              ;   in Loop: Header=BB265_243 Depth=1
	v_cmp_ne_u16_sdwa s[0:1], v21, s25 src0_sel:BYTE_0 src1_sel:DWORD
	v_bfrev_b32_e32 v41, 1
	s_and_saveexec_b64 s[18:19], s[0:1]
	s_cbranch_execz .LBB265_423
; %bb.420:                              ;   in Loop: Header=BB265_243 Depth=1
	v_and_b32_e32 v43, 0x7f, v21
	v_cmp_ne_u32_e64 s[0:1], s26, v43
	v_mov_b32_e32 v41, 0x7fc02000
	s_and_saveexec_b64 s[20:21], s[0:1]
	s_cbranch_execz .LBB265_422
; %bb.421:                              ;   in Loop: Header=BB265_243 Depth=1
	v_and_b32_e32 v41, 7, v21
	v_ffbh_u32_e32 v41, v41
	v_min_u32_e32 v41, 32, v41
	v_subrev_u32_e32 v44, 28, v41
	v_cmp_gt_u32_e64 s[0:1], 8, v43
	v_lshrrev_b32_e32 v46, 3, v43
	v_sub_u32_e32 v41, 29, v41
	v_cndmask_b32_e64 v43, 0, v44, s[0:1]
	v_lshlrev_b64 v[44:45], v43, v[12:13]
	v_cndmask_b32_e64 v41, v46, v41, s[0:1]
	v_lshlrev_b32_e32 v43, 7, v44
	v_lshlrev_b32_e32 v44, 8, v21
	v_lshl_add_u32 v41, v41, 10, v25
	v_and_or_b32 v41, v44, s27, v41
	v_and_or_b32 v41, v43, s29, v41
	v_cvt_f32_f16_e32 v41, v41
.LBB265_422:                            ;   in Loop: Header=BB265_243 Depth=1
	s_or_b64 exec, exec, s[20:21]
.LBB265_423:                            ;   in Loop: Header=BB265_243 Depth=1
	s_or_b64 exec, exec, s[18:19]
.LBB265_424:                            ;   in Loop: Header=BB265_243 Depth=1
	s_or_b64 exec, exec, s[16:17]
	v_lshrrev_b16_e32 v12, 8, v12
	v_cmp_ne_u16_e64 s[0:1], 0, v12
	s_and_saveexec_b64 s[16:17], s[0:1]
	s_cbranch_execz .LBB265_430
; %bb.425:                              ;   in Loop: Header=BB265_243 Depth=1
	v_cmp_ne_u16_e64 s[0:1], s25, v12
	v_bfrev_b32_e32 v42, 1
	s_and_saveexec_b64 s[18:19], s[0:1]
	s_cbranch_execz .LBB265_429
; %bb.426:                              ;   in Loop: Header=BB265_243 Depth=1
	v_and_b32_e32 v43, 0x7f, v12
	v_cmp_ne_u32_e64 s[0:1], s26, v43
	v_mov_b32_e32 v42, 0x7fc02000
	s_and_saveexec_b64 s[20:21], s[0:1]
	s_cbranch_execz .LBB265_428
; %bb.427:                              ;   in Loop: Header=BB265_243 Depth=1
	v_and_b32_e32 v42, 7, v12
	v_ffbh_u32_e32 v44, v42
	v_min_u32_e32 v47, 32, v44
	v_subrev_u32_e32 v44, 28, v47
	v_lshlrev_b64 v[44:45], v44, v[12:13]
	v_lshrrev_b32_e32 v46, 3, v43
	v_sub_u32_e32 v45, 29, v47
	v_cmp_gt_u32_e64 s[0:1], 8, v43
	v_cndmask_b32_e64 v43, v46, v45, s[0:1]
	v_and_b32_e32 v44, 7, v44
	v_lshlrev_b32_e32 v12, 8, v12
	v_lshl_add_u32 v43, v43, 10, v25
	v_cndmask_b32_e64 v42, v42, v44, s[0:1]
	v_and_or_b32 v12, v12, s27, v43
	v_lshl_or_b32 v12, v42, 7, v12
	v_cvt_f32_f16_e32 v42, v12
.LBB265_428:                            ;   in Loop: Header=BB265_243 Depth=1
	s_or_b64 exec, exec, s[20:21]
.LBB265_429:                            ;   in Loop: Header=BB265_243 Depth=1
	s_or_b64 exec, exec, s[18:19]
.LBB265_430:                            ;   in Loop: Header=BB265_243 Depth=1
	s_or_b64 exec, exec, s[16:17]
	v_lshrrev_b32_e32 v12, 16, v21
	v_cmp_ne_u16_sdwa s[0:1], v12, v13 src0_sel:BYTE_0 src1_sel:DWORD
	v_mov_b32_e32 v43, 0
	v_mov_b32_e32 v44, 0
	s_and_saveexec_b64 s[16:17], s[0:1]
	s_cbranch_execz .LBB265_436
; %bb.431:                              ;   in Loop: Header=BB265_243 Depth=1
	v_cmp_ne_u16_sdwa s[0:1], v12, s25 src0_sel:BYTE_0 src1_sel:DWORD
	v_bfrev_b32_e32 v44, 1
	s_and_saveexec_b64 s[18:19], s[0:1]
	s_cbranch_execz .LBB265_435
; %bb.432:                              ;   in Loop: Header=BB265_243 Depth=1
	v_bfe_u32 v45, v21, 16, 7
	v_cmp_ne_u32_e64 s[0:1], s26, v45
	v_mov_b32_e32 v44, 0x7fc02000
	s_and_saveexec_b64 s[20:21], s[0:1]
	s_cbranch_execz .LBB265_434
; %bb.433:                              ;   in Loop: Header=BB265_243 Depth=1
	v_and_b32_e32 v44, 7, v12
	v_ffbh_u32_e32 v46, v44
	v_min_u32_e32 v49, 32, v46
	v_subrev_u32_e32 v46, 28, v49
	v_lshlrev_b64 v[46:47], v46, v[12:13]
	v_lshrrev_b32_e32 v48, 3, v45
	v_sub_u32_e32 v47, 29, v49
	v_cmp_gt_u32_e64 s[0:1], 8, v45
	v_cndmask_b32_e64 v45, v48, v47, s[0:1]
	v_and_b32_e32 v46, 7, v46
	v_lshlrev_b32_e32 v12, 8, v12
	v_lshl_add_u32 v45, v45, 10, v25
	v_cndmask_b32_e64 v44, v44, v46, s[0:1]
	v_and_or_b32 v12, v12, s27, v45
	v_lshl_or_b32 v12, v44, 7, v12
	v_cvt_f32_f16_e32 v44, v12
.LBB265_434:                            ;   in Loop: Header=BB265_243 Depth=1
	s_or_b64 exec, exec, s[20:21]
.LBB265_435:                            ;   in Loop: Header=BB265_243 Depth=1
	s_or_b64 exec, exec, s[18:19]
.LBB265_436:                            ;   in Loop: Header=BB265_243 Depth=1
	s_or_b64 exec, exec, s[16:17]
	v_cmp_lt_u64_e64 s[0:1], s[6:7], v[20:21]
	s_and_saveexec_b64 s[16:17], s[0:1]
	s_cbranch_execz .LBB265_442
; %bb.437:                              ;   in Loop: Header=BB265_243 Depth=1
	v_lshrrev_b32_e32 v12, 24, v21
	v_cmp_ne_u32_e64 s[0:1], s25, v12
	v_bfrev_b32_e32 v43, 1
	s_and_saveexec_b64 s[18:19], s[0:1]
	s_cbranch_execz .LBB265_441
; %bb.438:                              ;   in Loop: Header=BB265_243 Depth=1
	v_and_b32_e32 v20, 0x7f, v12
	v_cmp_ne_u32_e64 s[0:1], s26, v20
	v_mov_b32_e32 v43, 0x7fc02000
	s_and_saveexec_b64 s[20:21], s[0:1]
	s_cbranch_execz .LBB265_440
; %bb.439:                              ;   in Loop: Header=BB265_243 Depth=1
	v_and_b32_e32 v21, 7, v12
	v_ffbh_u32_e32 v45, v21
	v_min_u32_e32 v45, 32, v45
	v_lshrrev_b32_e32 v43, 3, v20
	v_subrev_u32_e32 v46, 28, v45
	v_sub_u32_e32 v45, 29, v45
	v_cmp_gt_u32_e64 s[0:1], 8, v20
	v_lshlrev_b64 v[46:47], v46, v[12:13]
	v_cndmask_b32_e64 v20, v43, v45, s[0:1]
	v_and_b32_e32 v46, 7, v46
	v_lshlrev_b32_e32 v12, 8, v12
	v_lshl_add_u32 v20, v20, 10, v25
	v_cndmask_b32_e64 v21, v21, v46, s[0:1]
	v_and_or_b32 v12, v12, s27, v20
	v_lshl_or_b32 v12, v21, 7, v12
	v_cvt_f32_f16_e32 v43, v12
.LBB265_440:                            ;   in Loop: Header=BB265_243 Depth=1
	s_or_b64 exec, exec, s[20:21]
.LBB265_441:                            ;   in Loop: Header=BB265_243 Depth=1
	s_or_b64 exec, exec, s[18:19]
.LBB265_442:                            ;   in Loop: Header=BB265_243 Depth=1
	s_or_b64 exec, exec, s[16:17]
	s_waitcnt vmcnt(0)
	v_pk_mul_f32 v[18:19], v[16:17], v[18:19] op_sel_hi:[0,1]
	v_pk_mul_f32 v[14:15], v[16:17], v[14:15] op_sel_hi:[0,1]
	v_cvt_f16_f32_e32 v12, v19
	v_cvt_f16_f32_e32 v18, v18
	;; [unrolled: 1-line block ×4, first 2 shown]
	v_pack_b32_f16 v18, v18, v12
	v_pack_b32_f16 v14, v14, v15
	v_perm_b32 v12, v14, v18, s30
	v_perm_b32 v15, v14, v18, s38
	v_fma_mixlo_f16 v14, v16, v42, 0
	v_lshlrev_b32_e32 v14, 16, v14
	v_fma_mixlo_f16 v18, v16, v41, 0
	v_or_b32_sdwa v14, v14, v18 dst_sel:DWORD dst_unused:UNUSED_PAD src0_sel:DWORD src1_sel:WORD_0
	v_fma_mixlo_f16 v18, v16, v44, 0
	v_fma_mixlo_f16 v16, v16, v43, 0
	v_lshlrev_b32_e32 v16, 16, v16
	v_or_b32_sdwa v16, v16, v18 dst_sel:DWORD dst_unused:UNUSED_PAD src0_sel:DWORD src1_sel:WORD_0
	s_and_saveexec_b64 s[0:1], vcc
	s_cbranch_execz .LBB265_241
; %bb.443:                              ;   in Loop: Header=BB265_243 Depth=1
	v_lshrrev_b32_e32 v19, 16, v15
	v_cmp_gt_i32_e32 vcc, s24, v32
	v_cndmask_b32_e32 v19, 0, v19, vcc
	v_cmp_gt_i32_e32 vcc, s41, v1
	v_cndmask_b32_e32 v15, 0, v15, vcc
	v_perm_b32 v15, v19, v15, s39
	v_lshrrev_b32_e32 v19, 16, v12
	v_cmp_gt_i32_e32 vcc, s24, v31
	v_cndmask_b32_e32 v19, 0, v19, vcc
	v_cmp_gt_i32_e32 vcc, s41, v30
	v_cndmask_b32_e32 v12, 0, v12, vcc
	v_perm_b32 v12, v19, v12, s39
	v_lshrrev_b32_e32 v19, 16, v14
	v_cmp_gt_i32_e32 vcc, s24, v29
	v_cndmask_b32_e32 v19, 0, v19, vcc
	v_cmp_gt_i32_e32 vcc, s41, v28
	v_cndmask_b32_e32 v14, 0, v14, vcc
	v_lshrrev_b32_e32 v16, 16, v16
	v_cmp_gt_i32_e32 vcc, s24, v27
	v_cndmask_b32_e32 v16, 0, v16, vcc
	v_cmp_gt_i32_e32 vcc, s41, v26
	v_cndmask_b32_e32 v18, 0, v18, vcc
	v_perm_b32 v14, v19, v14, s39
	v_perm_b32 v16, v16, v18, s39
	s_branch .LBB265_241
.LBB265_444:
	s_or_b64 exec, exec, s[10:11]
.LBB265_445:
	s_or_b64 exec, exec, s[4:5]
	v_and_b32_e32 v1, 0x3c0, v0
	v_cmp_eq_u32_e32 vcc, 64, v1
	s_barrier
	s_and_saveexec_b64 s[0:1], vcc
	s_cbranch_execz .LBB265_447
; %bb.446:
	v_lshlrev_b32_e32 v1, 2, v0
	v_mov_b32_e32 v7, 0x210
	v_or_b32_e32 v6, 0x300, v1
	v_lshl_add_u32 v7, v17, 2, v7
	v_add_u32_e32 v6, 0x210, v6
	v_add_u32_e32 v1, 0x210, v1
	ds_write_b32 v7, v2
	ds_write_b32 v1, v3
	ds_write_b32 v7, v4 offset:512
	ds_write_b32 v6, v5
.LBB265_447:
	s_or_b64 exec, exec, s[0:1]
	v_cmp_gt_u32_e32 vcc, 64, v0
	s_waitcnt lgkmcnt(0)
	s_barrier
	s_and_saveexec_b64 s[0:1], vcc
	s_cbranch_execz .LBB265_449
; %bb.448:
	v_mov_b32_e32 v1, 0x210
	v_lshl_add_u32 v1, v0, 2, v1
	ds_read2st64_b32 v[6:7], v1 offset0:2 offset1:3
	ds_read2st64_b32 v[8:9], v1 offset1:1
	s_waitcnt lgkmcnt(1)
	v_pk_add_f32 v[4:5], v[4:5], v[6:7]
	s_waitcnt lgkmcnt(0)
	v_pk_add_f32 v[2:3], v[2:3], v[8:9]
.LBB265_449:
	s_or_b64 exec, exec, s[0:1]
	s_barrier
	s_and_saveexec_b64 s[0:1], vcc
	s_cbranch_execz .LBB265_451
; %bb.450:
	s_lshl_b32 s0, s2, 8
	s_ashr_i32 s1, s0, 31
	s_lshl_b64 s[0:1], s[0:1], 1
	s_add_u32 s2, s34, s0
	s_mul_i32 s0, s33, s36
	s_addc_u32 s3, s35, s1
	s_ashr_i32 s1, s0, 31
	s_lshl_b64 s[0:1], s[0:1], 1
	s_add_u32 s2, s2, s0
	s_addc_u32 s3, s3, s1
	s_lshl_b32 s0, s8, 8
	s_ashr_i32 s1, s0, 31
	s_lshl_b64 s[0:1], s[0:1], 1
	s_add_u32 s0, s2, s0
	s_addc_u32 s1, s3, s1
	v_lshlrev_b32_e32 v0, 1, v0
	;;#ASMSTART
	v_cvt_f16_f32 v1, v2;

	;;#ASMEND
	global_store_short v0, v1, s[0:1]
	;;#ASMSTART
	v_cvt_f16_f32 v1, v3;

	;;#ASMEND
	global_store_short v0, v1, s[0:1] offset:128
	;;#ASMSTART
	v_cvt_f16_f32 v1, v4;

	;;#ASMEND
	global_store_short v0, v1, s[0:1] offset:256
	;; [unrolled: 5-line block ×3, first 2 shown]
.LBB265_451:
	s_endpgm
	.section	.rodata,"a",@progbits
	.p2align	6, 0x0
	.amdhsa_kernel _ZN4vllm25paged_attention_v2_kernelIthLi256ELi8ELi128ELNS_18Fp8KVCacheDataTypeE1ELb1ELi512EEEvPfS2_PT_PKS3_PKT0_S9_ifPKiSB_iPKfiiiSD_SD_iiiii
		.amdhsa_group_segment_fixed_size 528
		.amdhsa_private_segment_fixed_size 0
		.amdhsa_kernarg_size 400
		.amdhsa_user_sgpr_count 6
		.amdhsa_user_sgpr_private_segment_buffer 1
		.amdhsa_user_sgpr_dispatch_ptr 0
		.amdhsa_user_sgpr_queue_ptr 0
		.amdhsa_user_sgpr_kernarg_segment_ptr 1
		.amdhsa_user_sgpr_dispatch_id 0
		.amdhsa_user_sgpr_flat_scratch_init 0
		.amdhsa_user_sgpr_kernarg_preload_length 0
		.amdhsa_user_sgpr_kernarg_preload_offset 0
		.amdhsa_user_sgpr_private_segment_size 0
		.amdhsa_uses_dynamic_stack 0
		.amdhsa_system_sgpr_private_segment_wavefront_offset 0
		.amdhsa_system_sgpr_workgroup_id_x 1
		.amdhsa_system_sgpr_workgroup_id_y 1
		.amdhsa_system_sgpr_workgroup_id_z 1
		.amdhsa_system_sgpr_workgroup_info 0
		.amdhsa_system_vgpr_workitem_id 0
		.amdhsa_next_free_vgpr 79
		.amdhsa_next_free_sgpr 62
		.amdhsa_accum_offset 80
		.amdhsa_reserve_vcc 1
		.amdhsa_reserve_flat_scratch 0
		.amdhsa_float_round_mode_32 0
		.amdhsa_float_round_mode_16_64 0
		.amdhsa_float_denorm_mode_32 3
		.amdhsa_float_denorm_mode_16_64 3
		.amdhsa_dx10_clamp 1
		.amdhsa_ieee_mode 1
		.amdhsa_fp16_overflow 0
		.amdhsa_tg_split 0
		.amdhsa_exception_fp_ieee_invalid_op 0
		.amdhsa_exception_fp_denorm_src 0
		.amdhsa_exception_fp_ieee_div_zero 0
		.amdhsa_exception_fp_ieee_overflow 0
		.amdhsa_exception_fp_ieee_underflow 0
		.amdhsa_exception_fp_ieee_inexact 0
		.amdhsa_exception_int_div_zero 0
	.end_amdhsa_kernel
	.section	.text._ZN4vllm25paged_attention_v2_kernelIthLi256ELi8ELi128ELNS_18Fp8KVCacheDataTypeE1ELb1ELi512EEEvPfS2_PT_PKS3_PKT0_S9_ifPKiSB_iPKfiiiSD_SD_iiiii,"axG",@progbits,_ZN4vllm25paged_attention_v2_kernelIthLi256ELi8ELi128ELNS_18Fp8KVCacheDataTypeE1ELb1ELi512EEEvPfS2_PT_PKS3_PKT0_S9_ifPKiSB_iPKfiiiSD_SD_iiiii,comdat
.Lfunc_end265:
	.size	_ZN4vllm25paged_attention_v2_kernelIthLi256ELi8ELi128ELNS_18Fp8KVCacheDataTypeE1ELb1ELi512EEEvPfS2_PT_PKS3_PKT0_S9_ifPKiSB_iPKfiiiSD_SD_iiiii, .Lfunc_end265-_ZN4vllm25paged_attention_v2_kernelIthLi256ELi8ELi128ELNS_18Fp8KVCacheDataTypeE1ELb1ELi512EEEvPfS2_PT_PKS3_PKT0_S9_ifPKiSB_iPKfiiiSD_SD_iiiii
                                        ; -- End function
	.section	.AMDGPU.csdata,"",@progbits
; Kernel info:
; codeLenInByte = 19220
; NumSgprs: 66
; NumVgprs: 79
; NumAgprs: 0
; TotalNumVgprs: 79
; ScratchSize: 0
; MemoryBound: 0
; FloatMode: 240
; IeeeMode: 1
; LDSByteSize: 528 bytes/workgroup (compile time only)
; SGPRBlocks: 8
; VGPRBlocks: 9
; NumSGPRsForWavesPerEU: 66
; NumVGPRsForWavesPerEU: 79
; AccumOffset: 80
; Occupancy: 6
; WaveLimiterHint : 1
; COMPUTE_PGM_RSRC2:SCRATCH_EN: 0
; COMPUTE_PGM_RSRC2:USER_SGPR: 6
; COMPUTE_PGM_RSRC2:TRAP_HANDLER: 0
; COMPUTE_PGM_RSRC2:TGID_X_EN: 1
; COMPUTE_PGM_RSRC2:TGID_Y_EN: 1
; COMPUTE_PGM_RSRC2:TGID_Z_EN: 1
; COMPUTE_PGM_RSRC2:TIDIG_COMP_CNT: 0
; COMPUTE_PGM_RSRC3_GFX90A:ACCUM_OFFSET: 19
; COMPUTE_PGM_RSRC3_GFX90A:TG_SPLIT: 0
	.section	.text._ZN4vllm25paged_attention_v2_kernelIthLi32ELi8ELi128ELNS_18Fp8KVCacheDataTypeE1ELb0ELi512EEEvPfS2_PT_PKS3_PKT0_S9_ifPKiSB_iPKfiiiSD_SD_iiiii,"axG",@progbits,_ZN4vllm25paged_attention_v2_kernelIthLi32ELi8ELi128ELNS_18Fp8KVCacheDataTypeE1ELb0ELi512EEEvPfS2_PT_PKS3_PKT0_S9_ifPKiSB_iPKfiiiSD_SD_iiiii,comdat
	.protected	_ZN4vllm25paged_attention_v2_kernelIthLi32ELi8ELi128ELNS_18Fp8KVCacheDataTypeE1ELb0ELi512EEEvPfS2_PT_PKS3_PKT0_S9_ifPKiSB_iPKfiiiSD_SD_iiiii ; -- Begin function _ZN4vllm25paged_attention_v2_kernelIthLi32ELi8ELi128ELNS_18Fp8KVCacheDataTypeE1ELb0ELi512EEEvPfS2_PT_PKS3_PKT0_S9_ifPKiSB_iPKfiiiSD_SD_iiiii
	.globl	_ZN4vllm25paged_attention_v2_kernelIthLi32ELi8ELi128ELNS_18Fp8KVCacheDataTypeE1ELb0ELi512EEEvPfS2_PT_PKS3_PKT0_S9_ifPKiSB_iPKfiiiSD_SD_iiiii
	.p2align	8
	.type	_ZN4vllm25paged_attention_v2_kernelIthLi32ELi8ELi128ELNS_18Fp8KVCacheDataTypeE1ELb0ELi512EEEvPfS2_PT_PKS3_PKT0_S9_ifPKiSB_iPKfiiiSD_SD_iiiii,@function
_ZN4vllm25paged_attention_v2_kernelIthLi32ELi8ELi128ELNS_18Fp8KVCacheDataTypeE1ELb0ELi512EEEvPfS2_PT_PKS3_PKT0_S9_ifPKiSB_iPKfiiiSD_SD_iiiii: ; @_ZN4vllm25paged_attention_v2_kernelIthLi32ELi8ELi128ELNS_18Fp8KVCacheDataTypeE1ELb0ELi512EEEvPfS2_PT_PKS3_PKT0_S9_ifPKiSB_iPKfiiiSD_SD_iiiii
; %bb.0:
	s_load_dwordx2 s[0:1], s[4:5], 0x40
	s_mov_b32 s28, s7
	s_ashr_i32 s29, s7, 31
	s_lshl_b64 s[2:3], s[28:29], 2
	s_waitcnt lgkmcnt(0)
	s_add_u32 s0, s0, s2
	s_addc_u32 s1, s1, s3
	s_load_dword s29, s[0:1], 0x0
	s_lshl_b32 s46, s8, 9
	s_waitcnt lgkmcnt(0)
	s_cmp_ge_i32 s46, s29
	s_cbranch_scc1 .LBB266_126
; %bb.1:
	s_load_dword s9, s[4:5], 0x90
	s_load_dwordx2 s[10:11], s[4:5], 0x30
	s_mov_b32 s47, 0
	s_waitcnt lgkmcnt(0)
	s_abs_i32 s2, s9
	s_abs_i32 s0, s10
	v_cvt_f32_u32_e32 v1, s0
	s_sub_i32 s3, 0, s0
	s_xor_b32 s1, s9, s10
	s_ashr_i32 s1, s1, 31
	v_rcp_iflag_f32_e32 v1, v1
	v_mul_f32_e32 v1, 0x4f7ffffe, v1
	v_cvt_u32_f32_e32 v1, v1
	v_readfirstlane_b32 s7, v1
	s_mul_i32 s3, s3, s7
	s_mul_hi_u32 s3, s7, s3
	s_add_i32 s7, s7, s3
	s_mul_hi_u32 s3, s2, s7
	s_mul_i32 s7, s3, s0
	s_sub_i32 s2, s2, s7
	s_add_i32 s10, s3, 1
	s_sub_i32 s7, s2, s0
	s_cmp_ge_u32 s2, s0
	s_cselect_b32 s3, s10, s3
	s_cselect_b32 s2, s7, s2
	s_add_i32 s7, s3, 1
	s_cmp_ge_u32 s2, s0
	s_cselect_b32 s0, s7, s3
	s_xor_b32 s0, s0, s1
	s_sub_i32 s10, s0, s1
	s_abs_i32 s2, s10
	v_cvt_f32_u32_e32 v1, s2
	s_load_dwordx2 s[0:1], s[4:5], 0x50
	s_sub_i32 s7, 0, s2
	s_abs_i32 s3, s6
	v_rcp_iflag_f32_e32 v1, v1
	v_mul_f32_e32 v1, 0x4f7ffffe, v1
	v_cvt_u32_f32_e32 v1, v1
	v_readfirstlane_b32 s12, v1
	s_mul_i32 s7, s7, s12
	s_mul_hi_u32 s7, s12, s7
	s_add_i32 s12, s12, s7
	s_waitcnt lgkmcnt(0)
	s_cmp_eq_u64 s[0:1], 0
	s_mul_hi_u32 s12, s3, s12
	s_cbranch_scc1 .LBB266_3
; %bb.2:
	s_ashr_i32 s7, s6, 31
	s_lshl_b64 s[14:15], s[6:7], 2
	s_add_u32 s0, s0, s14
	s_addc_u32 s1, s1, s15
	s_load_dword s47, s[0:1], 0x0
.LBB266_3:
	s_load_dwordx4 s[16:19], s[4:5], 0x58
	s_ashr_i32 s7, s6, 31
	s_ashr_i32 s13, s10, 31
	v_and_b32_e32 v4, 7, v0
	s_lshl_b32 s24, s6, 5
	v_cmp_gt_u32_e32 vcc, 32, v0
	s_and_saveexec_b64 s[0:1], vcc
	s_cbranch_execz .LBB266_5
; %bb.4:
	s_load_dwordx2 s[14:15], s[4:5], 0x18
	s_waitcnt lgkmcnt(0)
	s_mul_i32 s20, s28, s16
	s_ashr_i32 s21, s20, 31
	s_lshl_b64 s[20:21], s[20:21], 1
	v_lshlrev_b32_e32 v1, 1, v0
	s_add_u32 s10, s14, s20
	s_addc_u32 s16, s15, s21
	s_ashr_i32 s25, s24, 31
	s_lshl_b64 s[14:15], s[24:25], 1
	s_add_u32 s14, s10, s14
	s_addc_u32 s15, s16, s15
	global_load_ushort v1, v1, s[14:15]
	v_lshrrev_b32_e32 v2, 2, v0
	v_and_b32_e32 v2, 0xfe, v2
	v_lshl_add_u32 v2, v4, 3, v2
	s_waitcnt vmcnt(0)
	ds_write_b16 v2, v1
.LBB266_5:
	s_or_b64 exec, exec, s[0:1]
	s_add_i32 s0, s29, 7
	s_ashr_i32 s1, s0, 31
	s_lshr_b32 s1, s1, 29
	s_add_i32 s0, s0, s1
	s_lshl_b32 s10, s8, 6
	s_mul_i32 s1, s12, s2
	s_waitcnt lgkmcnt(0)
	s_ashr_i32 s16, s0, 3
	s_add_i32 s0, s10, 64
	s_sub_i32 s1, s3, s1
	s_min_i32 s33, s0, s16
	s_xor_b32 s0, s7, s13
	s_add_i32 s3, s12, 1
	s_sub_i32 s7, s1, s2
	s_cmp_ge_u32 s1, s2
	s_cselect_b32 s3, s3, s12
	s_cselect_b32 s1, s7, s1
	s_add_i32 s7, s3, 1
	s_cmp_ge_u32 s1, s2
	s_load_dwordx2 s[30:31], s[4:5], 0x38
	s_load_dword s2, s[4:5], 0x48
	v_lshrrev_b32_e32 v13, 6, v0
	s_cselect_b32 s1, s7, s3
	s_xor_b32 s1, s1, s0
	v_or_b32_e32 v2, s10, v13
	s_waitcnt lgkmcnt(0)
	s_mul_i32 s34, s28, s2
	s_sub_i32 s7, s1, s0
	s_ashr_i32 s35, s34, 31
	v_cmp_gt_i32_e64 s[0:1], s33, v2
	v_cmp_le_i32_e32 vcc, s33, v2
	v_mbcnt_lo_u32_b32 v11, -1, 0
	s_barrier
	s_waitcnt lgkmcnt(0)
                                        ; implicit-def: $sgpr19
                                        ; implicit-def: $vgpr5
                                        ; implicit-def: $vgpr10
	s_and_saveexec_b64 s[2:3], vcc
	s_xor_b64 s[2:3], exec, s[2:3]
; %bb.6:
	v_mbcnt_hi_u32_b32 v5, -1, v11
	v_and_b32_e32 v1, 64, v5
	v_add_u32_e32 v10, 64, v1
	s_mov_b32 s19, 0xff7fffff
                                        ; implicit-def: $vgpr4
                                        ; implicit-def: $vgpr11
; %bb.7:
	s_or_saveexec_b64 s[38:39], s[2:3]
	s_load_dwordx4 s[20:23], s[4:5], 0x0
	s_load_dwordx2 s[26:27], s[4:5], 0x10
	s_load_dword s25, s[4:5], 0x98
	s_load_dwordx2 s[36:37], s[4:5], 0x28
	s_load_dwordx4 s[12:15], s[4:5], 0x68
	v_mov_b32_e32 v1, s19
	s_mul_i32 s7, s7, s18
	v_ashrrev_i32_e32 v3, 31, v2
	s_xor_b64 exec, exec, s[38:39]
	s_cbranch_execz .LBB266_37
; %bb.8:
	s_load_dwordx2 s[2:3], s[4:5], 0x20
	v_bfe_u32 v1, v0, 3, 3
	s_ashr_i32 s4, s7, 31
	v_lshlrev_b32_e32 v5, 4, v1
	v_lshlrev_b64 v[8:9], 2, v[2:3]
	s_waitcnt lgkmcnt(0)
	s_add_u32 s2, s2, s7
	s_addc_u32 s3, s3, s4
	v_add_co_u32_e32 v6, vcc, s2, v5
	s_sub_i32 s49, 1, s29
	v_lshlrev_b32_e32 v5, 3, v13
	s_lshl_b64 s[4:5], s[34:35], 2
	v_add3_u32 v16, s46, v5, v1
	v_lshlrev_b32_e32 v1, 2, v1
	s_add_u32 s4, s30, s4
	v_mov_b32_e32 v7, s3
	v_lshl_or_b32 v1, v13, 5, v1
	s_addc_u32 s5, s31, s5
	v_addc_co_u32_e32 v7, vcc, 0, v7, vcc
	v_add_u32_e32 v17, 0x50, v1
	v_mov_b32_e32 v1, s5
	v_add_co_u32_e64 v8, s[4:5], s4, v8
	s_mov_b32 s48, s17
	v_mov_b32_e32 v14, 0
	v_lshlrev_b32_e32 v15, 3, v4
	v_cmp_eq_u32_e32 vcc, 0, v4
	v_cmp_neq_f32_e64 s[2:3], s47, 0
	v_addc_co_u32_e64 v9, s[4:5], v1, v9, s[4:5]
	s_mov_b64 s[18:19], 0
	v_mov_b32_e32 v1, 0xff7fffff
	s_movk_i32 s50, 0x80
	s_movk_i32 s51, 0x7f
	v_mbcnt_hi_u32_b32 v5, -1, v11
	v_bfrev_b32_e32 v18, 60
	v_mov_b32_e32 v19, v2
	s_branch .LBB266_10
.LBB266_9:                              ;   in Loop: Header=BB266_10 Depth=1
	s_or_b64 exec, exec, s[40:41]
	v_add_u32_e32 v19, 2, v19
	v_cmp_le_i32_e64 s[4:5], s33, v19
	s_or_b64 s[18:19], s[4:5], s[18:19]
	v_add_co_u32_e64 v8, s[4:5], 8, v8
	v_add_u32_e32 v16, 16, v16
	v_add_u32_e32 v17, 64, v17
	v_addc_co_u32_e64 v9, s[4:5], 0, v9, s[4:5]
	s_andn2_b64 exec, exec, s[18:19]
	s_cbranch_execz .LBB266_36
.LBB266_10:                             ; =>This Inner Loop Header: Depth=1
	global_load_dword v10, v[8:9], off
	v_mov_b32_e32 v21, 0
	s_waitcnt vmcnt(0)
	v_mad_i64_i32 v[10:11], s[4:5], v10, s48, v[6:7]
	v_add_co_u32_e64 v10, s[4:5], v10, v4
	v_addc_co_u32_e64 v11, s[4:5], 0, v11, s[4:5]
	global_load_ubyte v22, v[10:11], off
	global_load_dword v20, v14, s[12:13]
	s_waitcnt vmcnt(1)
	v_cmp_ne_u16_e64 s[4:5], 0, v22
	s_and_saveexec_b64 s[40:41], s[4:5]
	s_cbranch_execz .LBB266_16
; %bb.11:                               ;   in Loop: Header=BB266_10 Depth=1
	v_cmp_ne_u16_e64 s[4:5], s50, v22
	v_bfrev_b32_e32 v21, 1
	s_and_saveexec_b64 s[42:43], s[4:5]
	s_cbranch_execz .LBB266_15
; %bb.12:                               ;   in Loop: Header=BB266_10 Depth=1
	s_waitcnt lgkmcnt(0)
	v_and_b32_e32 v12, 0xffff, v22
	v_and_b32_e32 v23, 0x7f, v12
	v_cmp_ne_u32_e64 s[4:5], s51, v23
	v_mov_b32_e32 v21, 0x7f800001
	s_and_saveexec_b64 s[44:45], s[4:5]
	s_cbranch_execz .LBB266_14
; %bb.13:                               ;   in Loop: Header=BB266_10 Depth=1
	v_and_b32_e32 v21, 7, v12
	v_ffbh_u32_e32 v24, v21
	v_min_u32_e32 v27, 32, v24
	v_subrev_u32_e32 v24, 28, v27
	v_lshlrev_b64 v[24:25], v24, v[12:13]
	v_lshrrev_b32_e32 v26, 3, v23
	v_sub_u32_e32 v12, 29, v27
	v_and_b32_e32 v24, 7, v24
	v_cmp_gt_u32_e64 s[4:5], 8, v23
	v_cndmask_b32_e64 v12, v26, v12, s[4:5]
	v_cndmask_b32_e64 v21, v21, v24, s[4:5]
	v_lshlrev_b32_e32 v22, 24, v22
	v_lshlrev_b32_e32 v21, 20, v21
	v_and_b32_e32 v22, 0x80000000, v22
	v_lshl_add_u32 v12, v12, 23, v18
	v_or3_b32 v21, v22, v12, v21
.LBB266_14:                             ;   in Loop: Header=BB266_10 Depth=1
	s_or_b64 exec, exec, s[44:45]
.LBB266_15:                             ;   in Loop: Header=BB266_10 Depth=1
	s_or_b64 exec, exec, s[42:43]
.LBB266_16:                             ;   in Loop: Header=BB266_10 Depth=1
	s_or_b64 exec, exec, s[40:41]
	global_load_ubyte v24, v[10:11], off offset:8
	v_mov_b32_e32 v22, 0
	v_mov_b32_e32 v23, 0
	s_waitcnt vmcnt(0)
	v_cmp_ne_u16_e64 s[4:5], 0, v24
	s_and_saveexec_b64 s[40:41], s[4:5]
	s_cbranch_execz .LBB266_22
; %bb.17:                               ;   in Loop: Header=BB266_10 Depth=1
	v_cmp_ne_u16_e64 s[4:5], s50, v24
	v_bfrev_b32_e32 v23, 1
	s_and_saveexec_b64 s[42:43], s[4:5]
	s_cbranch_execz .LBB266_21
; %bb.18:                               ;   in Loop: Header=BB266_10 Depth=1
	s_waitcnt lgkmcnt(0)
	v_and_b32_e32 v12, 0xffff, v24
	v_and_b32_e32 v25, 0x7f, v12
	v_cmp_ne_u32_e64 s[4:5], s51, v25
	v_mov_b32_e32 v23, 0x7f800001
	s_and_saveexec_b64 s[44:45], s[4:5]
	s_cbranch_execz .LBB266_20
; %bb.19:                               ;   in Loop: Header=BB266_10 Depth=1
	v_and_b32_e32 v23, 7, v12
	v_ffbh_u32_e32 v26, v23
	v_min_u32_e32 v29, 32, v26
	v_subrev_u32_e32 v26, 28, v29
	v_lshlrev_b64 v[26:27], v26, v[12:13]
	v_lshrrev_b32_e32 v28, 3, v25
	v_sub_u32_e32 v12, 29, v29
	v_and_b32_e32 v26, 7, v26
	v_cmp_gt_u32_e64 s[4:5], 8, v25
	v_cndmask_b32_e64 v12, v28, v12, s[4:5]
	v_cndmask_b32_e64 v23, v23, v26, s[4:5]
	v_lshlrev_b32_e32 v24, 24, v24
	v_lshlrev_b32_e32 v23, 20, v23
	v_and_b32_e32 v24, 0x80000000, v24
	v_lshl_add_u32 v12, v12, 23, v18
	v_or3_b32 v23, v24, v12, v23
.LBB266_20:                             ;   in Loop: Header=BB266_10 Depth=1
	s_or_b64 exec, exec, s[44:45]
.LBB266_21:                             ;   in Loop: Header=BB266_10 Depth=1
	s_or_b64 exec, exec, s[42:43]
.LBB266_22:                             ;   in Loop: Header=BB266_10 Depth=1
	s_or_b64 exec, exec, s[40:41]
	global_load_ubyte v24, v[10:11], off offset:128
	s_waitcnt vmcnt(0)
	v_cmp_ne_u16_e64 s[4:5], 0, v24
	s_and_saveexec_b64 s[40:41], s[4:5]
	s_cbranch_execz .LBB266_28
; %bb.23:                               ;   in Loop: Header=BB266_10 Depth=1
	v_cmp_ne_u16_e64 s[4:5], s50, v24
	v_bfrev_b32_e32 v22, 1
	s_and_saveexec_b64 s[42:43], s[4:5]
	s_cbranch_execz .LBB266_27
; %bb.24:                               ;   in Loop: Header=BB266_10 Depth=1
	s_waitcnt lgkmcnt(0)
	v_and_b32_e32 v12, 0xffff, v24
	v_and_b32_e32 v25, 0x7f, v12
	v_cmp_ne_u32_e64 s[4:5], s51, v25
	v_mov_b32_e32 v22, 0x7f800001
	s_and_saveexec_b64 s[44:45], s[4:5]
	s_cbranch_execz .LBB266_26
; %bb.25:                               ;   in Loop: Header=BB266_10 Depth=1
	v_and_b32_e32 v22, 7, v12
	v_ffbh_u32_e32 v26, v22
	v_min_u32_e32 v29, 32, v26
	v_subrev_u32_e32 v26, 28, v29
	v_lshlrev_b64 v[26:27], v26, v[12:13]
	v_lshrrev_b32_e32 v28, 3, v25
	v_sub_u32_e32 v12, 29, v29
	v_and_b32_e32 v26, 7, v26
	v_cmp_gt_u32_e64 s[4:5], 8, v25
	v_cndmask_b32_e64 v12, v28, v12, s[4:5]
	v_cndmask_b32_e64 v22, v22, v26, s[4:5]
	v_lshlrev_b32_e32 v24, 24, v24
	v_lshlrev_b32_e32 v22, 20, v22
	v_and_b32_e32 v24, 0x80000000, v24
	v_lshl_add_u32 v12, v12, 23, v18
	v_or3_b32 v22, v24, v12, v22
.LBB266_26:                             ;   in Loop: Header=BB266_10 Depth=1
	s_or_b64 exec, exec, s[44:45]
.LBB266_27:                             ;   in Loop: Header=BB266_10 Depth=1
	s_or_b64 exec, exec, s[42:43]
.LBB266_28:                             ;   in Loop: Header=BB266_10 Depth=1
	s_or_b64 exec, exec, s[40:41]
	s_waitcnt lgkmcnt(0)
	global_load_ubyte v12, v[10:11], off offset:136
	v_mov_b32_e32 v11, 0
	s_waitcnt vmcnt(0)
	v_cmp_ne_u16_e64 s[4:5], 0, v12
	s_and_saveexec_b64 s[40:41], s[4:5]
	s_cbranch_execz .LBB266_34
; %bb.29:                               ;   in Loop: Header=BB266_10 Depth=1
	v_cmp_ne_u16_e64 s[4:5], s50, v12
	v_bfrev_b32_e32 v11, 1
	s_and_saveexec_b64 s[42:43], s[4:5]
	s_cbranch_execz .LBB266_33
; %bb.30:                               ;   in Loop: Header=BB266_10 Depth=1
	v_and_b32_e32 v10, 0xffff, v12
	v_and_b32_e32 v24, 0x7f, v10
	v_cmp_ne_u32_e64 s[4:5], s51, v24
	v_mov_b32_e32 v11, 0x7f800001
	s_and_saveexec_b64 s[44:45], s[4:5]
	s_cbranch_execz .LBB266_32
; %bb.31:                               ;   in Loop: Header=BB266_10 Depth=1
	v_and_b32_e32 v25, 7, v10
	v_ffbh_u32_e32 v11, v25
	v_min_u32_e32 v27, 32, v11
	v_subrev_u32_e32 v11, 28, v27
	v_lshlrev_b64 v[10:11], v11, v[10:11]
	v_lshrrev_b32_e32 v26, 3, v24
	v_sub_u32_e32 v11, 29, v27
	v_and_b32_e32 v10, 7, v10
	v_cmp_gt_u32_e64 s[4:5], 8, v24
	v_cndmask_b32_e64 v11, v26, v11, s[4:5]
	v_cndmask_b32_e64 v10, v25, v10, s[4:5]
	v_lshlrev_b32_e32 v12, 24, v12
	v_lshlrev_b32_e32 v10, 20, v10
	v_and_b32_e32 v12, 0x80000000, v12
	v_lshl_add_u32 v11, v11, 23, v18
	v_or3_b32 v11, v12, v11, v10
.LBB266_32:                             ;   in Loop: Header=BB266_10 Depth=1
	s_or_b64 exec, exec, s[44:45]
.LBB266_33:                             ;   in Loop: Header=BB266_10 Depth=1
	s_or_b64 exec, exec, s[42:43]
.LBB266_34:                             ;   in Loop: Header=BB266_10 Depth=1
	s_or_b64 exec, exec, s[40:41]
	v_fma_mixlo_f16 v12, v20, v21, 0
	ds_read_u16 v10, v15
	v_and_b32_e32 v12, 0xffff, v12
	v_fma_mixlo_f16 v23, v20, v23, 0
	s_waitcnt lgkmcnt(0)
	;;#ASMSTART
	v_cvt_f32_f16 v10, v10;
	;;#ASMEND
	;;#ASMSTART
	v_cvt_f32_f16 v12, v12;
	;;#ASMEND
	ds_read_u16 v21, v15 offset:2
	v_and_b32_e32 v23, 0xffff, v23
	s_waitcnt lgkmcnt(0)
	;;#ASMSTART
	v_cvt_f32_f16 v21, v21;
	;;#ASMEND
	;;#ASMSTART
	v_cvt_f32_f16 v23, v23;
	;;#ASMEND
	v_fma_mixlo_f16 v22, v20, v22, 0
	v_fma_mixlo_f16 v11, v20, v11, 0
	v_mul_f32_e32 v20, v21, v23
	ds_read_u16 v24, v15 offset:4
	v_and_b32_e32 v22, 0xffff, v22
	v_fmac_f32_e32 v20, v10, v12
	s_waitcnt lgkmcnt(0)
	;;#ASMSTART
	v_cvt_f32_f16 v24, v24;
	;;#ASMEND
	;;#ASMSTART
	v_cvt_f32_f16 v22, v22;
	;;#ASMEND
	ds_read_u16 v25, v15 offset:6
	v_fmac_f32_e32 v20, v24, v22
	s_waitcnt lgkmcnt(0)
	;;#ASMSTART
	v_cvt_f32_f16 v10, v25;
	;;#ASMEND
	v_and_b32_e32 v11, 0xffff, v11
	;;#ASMSTART
	v_cvt_f32_f16 v11, v11;
	;;#ASMEND
	v_fmac_f32_e32 v20, v10, v11
	v_and_b32_e32 v10, 64, v5
	v_add_u32_e32 v10, 64, v10
	v_xor_b32_e32 v11, 4, v5
	v_cmp_lt_i32_e64 s[4:5], v11, v10
	v_cndmask_b32_e64 v11, v5, v11, s[4:5]
	v_lshlrev_b32_e32 v11, 2, v11
	ds_bpermute_b32 v11, v11, v20
	v_xor_b32_e32 v12, 2, v5
	v_cmp_lt_i32_e64 s[4:5], v12, v10
	v_cndmask_b32_e64 v12, v5, v12, s[4:5]
	v_lshlrev_b32_e32 v12, 2, v12
	s_waitcnt lgkmcnt(0)
	v_add_f32_e32 v11, v20, v11
	ds_bpermute_b32 v12, v12, v11
	s_waitcnt lgkmcnt(0)
	v_add_f32_e32 v11, v11, v12
	v_xor_b32_e32 v12, 1, v5
	v_cmp_lt_i32_e64 s[4:5], v12, v10
	v_cndmask_b32_e64 v12, v5, v12, s[4:5]
	v_lshlrev_b32_e32 v12, 2, v12
	ds_bpermute_b32 v12, v12, v11
	s_and_saveexec_b64 s[40:41], vcc
	s_cbranch_execz .LBB266_9
; %bb.35:                               ;   in Loop: Header=BB266_10 Depth=1
	v_add_u32_e32 v20, s49, v16
	v_cvt_f32_i32_e32 v20, v20
	s_waitcnt lgkmcnt(0)
	v_add_f32_e32 v11, v11, v12
	v_cmp_gt_i32_e64 s[4:5], s29, v16
	v_max_f32_e32 v12, v1, v1
	v_mul_f32_e32 v20, s47, v20
	v_cndmask_b32_e64 v20, 0, v20, s[2:3]
	v_fmac_f32_e32 v20, s11, v11
	v_cndmask_b32_e64 v11, 0, v20, s[4:5]
	ds_write_b32 v17, v11
	v_max_f32_e32 v11, v12, v20
	v_cndmask_b32_e64 v1, v1, v11, s[4:5]
	s_branch .LBB266_9
.LBB266_36:
	s_or_b64 exec, exec, s[18:19]
.LBB266_37:
	s_or_b64 exec, exec, s[38:39]
	v_xor_b32_e32 v4, 32, v5
	v_cmp_lt_i32_e32 vcc, v4, v10
	v_cndmask_b32_e32 v4, v5, v4, vcc
	v_lshlrev_b32_e32 v7, 2, v4
	ds_bpermute_b32 v4, v7, v1
	v_xor_b32_e32 v6, 16, v5
	v_max_f32_e32 v1, v1, v1
	v_cmp_lt_i32_e32 vcc, v6, v10
	v_xor_b32_e32 v8, 8, v5
	s_waitcnt lgkmcnt(0)
	v_max_f32_e32 v4, v4, v4
	v_max_f32_e32 v1, v1, v4
	v_cndmask_b32_e32 v4, v5, v6, vcc
	v_lshlrev_b32_e32 v9, 2, v4
	ds_bpermute_b32 v4, v9, v1
	v_cmp_lt_i32_e32 vcc, v8, v10
	s_waitcnt lgkmcnt(0)
	v_max_f32_e32 v4, v4, v4
	v_max_f32_e32 v6, v1, v4
	v_cndmask_b32_e32 v1, v5, v8, vcc
	v_lshlrev_b32_e32 v11, 2, v1
	ds_bpermute_b32 v8, v11, v6
	v_and_b32_e32 v1, 63, v0
	v_cmp_eq_u32_e32 vcc, 0, v1
	v_lshlrev_b32_e32 v4, 2, v13
	s_and_saveexec_b64 s[2:3], vcc
	s_cbranch_execz .LBB266_39
; %bb.38:
	s_waitcnt lgkmcnt(0)
	v_max_f32_e32 v8, v8, v8
	v_max_f32_e32 v6, v6, v6
	;; [unrolled: 1-line block ×3, first 2 shown]
	ds_write_b32 v4, v6 offset:64
.LBB266_39:
	s_or_b64 exec, exec, s[2:3]
	v_cmp_gt_u32_e64 s[2:3], 2, v1
	v_mov_b32_e32 v6, 0xff7fffff
	s_waitcnt lgkmcnt(0)
	v_lshlrev_b32_e32 v8, 2, v1
	s_barrier
	s_and_saveexec_b64 s[4:5], s[2:3]
	s_cbranch_execz .LBB266_41
; %bb.40:
	ds_read_b32 v6, v8 offset:64
.LBB266_41:
	s_or_b64 exec, exec, s[4:5]
	v_xor_b32_e32 v12, 1, v5
	v_cmp_lt_i32_e64 s[4:5], v12, v10
	v_cndmask_b32_e64 v12, v5, v12, s[4:5]
	v_lshlrev_b32_e32 v12, 2, v12
	s_waitcnt lgkmcnt(0)
	ds_bpermute_b32 v14, v12, v6
	v_max_f32_e32 v6, v6, v6
	s_sub_i32 s4, s33, s10
	s_lshl_b32 s4, s4, 3
	s_add_i32 s4, s4, s46
	s_waitcnt lgkmcnt(0)
	v_max_f32_e32 v14, v14, v14
	v_max_f32_e32 v6, v6, v14
	v_lshlrev_b32_e32 v14, 2, v5
	v_and_b32_e32 v14, 0xffffff00, v14
	ds_bpermute_b32 v6, v14, v6
	s_min_i32 s39, s4, s29
	s_sub_i32 s38, s39, s46
	v_cmp_gt_i32_e64 s[4:5], s38, v0
	v_mov_b32_e32 v15, 0
	s_and_saveexec_b64 s[12:13], s[4:5]
	s_cbranch_execz .LBB266_45
; %bb.42:
	v_mov_b32_e32 v15, 0x50
	v_lshl_add_u32 v16, v0, 2, v15
	s_mov_b64 s[18:19], 0
	v_mov_b32_e32 v15, 0
	v_mov_b32_e32 v17, v0
.LBB266_43:                             ; =>This Inner Loop Header: Depth=1
	ds_read_b32 v18, v16
	v_add_u32_e32 v17, 0x80, v17
	v_cmp_le_i32_e64 s[10:11], s38, v17
	s_or_b64 s[18:19], s[10:11], s[18:19]
	s_waitcnt lgkmcnt(0)
	v_sub_f32_e32 v18, v18, v6
	v_mul_f32_e32 v18, 0x3fb8aa3b, v18
	v_exp_f32_e32 v18, v18
	ds_write_b32 v16, v18
	v_add_f32_e32 v15, v15, v18
	v_add_u32_e32 v16, 0x200, v16
	s_andn2_b64 exec, exec, s[18:19]
	s_cbranch_execnz .LBB266_43
; %bb.44:
	s_or_b64 exec, exec, s[18:19]
.LBB266_45:
	s_or_b64 exec, exec, s[12:13]
	ds_bpermute_b32 v7, v7, v15
	s_waitcnt lgkmcnt(0)
	v_add_f32_e32 v7, v15, v7
	ds_bpermute_b32 v9, v9, v7
	s_waitcnt lgkmcnt(0)
	v_add_f32_e32 v7, v7, v9
	ds_bpermute_b32 v9, v11, v7
	v_xor_b32_e32 v11, 4, v5
	v_cmp_lt_i32_e64 s[10:11], v11, v10
	v_cndmask_b32_e64 v11, v5, v11, s[10:11]
	v_lshlrev_b32_e32 v11, 2, v11
	s_waitcnt lgkmcnt(0)
	v_add_f32_e32 v7, v7, v9
	ds_bpermute_b32 v9, v11, v7
	v_xor_b32_e32 v11, 2, v5
	v_cmp_lt_i32_e64 s[10:11], v11, v10
	v_cndmask_b32_e64 v5, v5, v11, s[10:11]
	v_lshlrev_b32_e32 v5, 2, v5
	s_waitcnt lgkmcnt(0)
	v_add_f32_e32 v7, v7, v9
	ds_bpermute_b32 v5, v5, v7
	s_waitcnt lgkmcnt(0)
	v_add_f32_e32 v5, v7, v5
	ds_bpermute_b32 v7, v12, v5
	s_waitcnt lgkmcnt(0)
	v_add_f32_e32 v5, v5, v7
	s_and_saveexec_b64 s[10:11], vcc
	s_cbranch_execz .LBB266_47
; %bb.46:
	ds_write_b32 v4, v5 offset:72
.LBB266_47:
	s_or_b64 exec, exec, s[10:11]
	s_waitcnt lgkmcnt(0)
	s_barrier
	s_and_saveexec_b64 s[10:11], s[2:3]
	s_cbranch_execz .LBB266_49
; %bb.48:
	ds_read_b32 v5, v8 offset:72
.LBB266_49:
	s_or_b64 exec, exec, s[10:11]
	s_waitcnt lgkmcnt(0)
	ds_bpermute_b32 v4, v12, v5
	s_waitcnt lgkmcnt(0)
	v_add_f32_e32 v4, v5, v4
	ds_bpermute_b32 v7, v14, v4
	s_and_saveexec_b64 s[2:3], s[4:5]
	s_cbranch_execz .LBB266_62
; %bb.50:
	s_waitcnt lgkmcnt(0)
	v_add_f32_e32 v4, 0x358637bd, v7
	v_div_scale_f32 v5, s[4:5], v4, v4, 1.0
	v_rcp_f32_e32 v8, v5
	v_div_scale_f32 v9, vcc, 1.0, v4, 1.0
	s_movk_i32 s4, 0x7f
	v_fma_f32 v10, -v5, v8, 1.0
	v_fmac_f32_e32 v8, v10, v8
	v_mul_f32_e32 v10, v9, v8
	v_fma_f32 v11, -v5, v10, v9
	v_fmac_f32_e32 v10, v11, v8
	v_fma_f32 v5, -v5, v10, v9
	v_div_fmas_f32 v5, v5, v8, v10
	v_div_fixup_f32 v4, v5, v4, 1.0
	v_xad_u32 v5, v0, -1, s39
	v_subrev_u32_e32 v8, s46, v5
	v_cmp_lt_u32_e32 vcc, s4, v8
	s_mov_b64 s[10:11], -1
	v_mov_b32_e32 v5, v0
	s_and_saveexec_b64 s[4:5], vcc
	s_cbranch_execz .LBB266_59
; %bb.51:
	v_lshrrev_b32_e32 v8, 7, v8
	v_add_u32_e32 v10, -1, v8
	v_lshrrev_b32_e32 v9, 1, v10
	v_mov_b32_e32 v5, v4
	v_add_u32_e32 v9, 1, v9
	v_cmp_lt_u32_e32 vcc, 13, v10
	v_mov_b32_e32 v12, 0
	s_and_saveexec_b64 s[10:11], vcc
	s_cbranch_execz .LBB266_55
; %bb.52:
	v_mov_b32_e32 v11, 0x50
	v_and_b32_e32 v10, -8, v9
	v_lshl_add_u32 v11, v0, 2, v11
	s_mov_b32 s18, 0
	s_mov_b64 s[12:13], 0
.LBB266_53:                             ; =>This Inner Loop Header: Depth=1
	ds_read2st64_b32 v[14:15], v11 offset1:2
	ds_read2st64_b32 v[16:17], v11 offset0:4 offset1:6
	ds_read2st64_b32 v[18:19], v11 offset0:8 offset1:10
	;; [unrolled: 1-line block ×3, first 2 shown]
	v_add_u32_e32 v10, -8, v10
	s_waitcnt lgkmcnt(3)
	v_pk_mul_f32 v[14:15], v[4:5], v[14:15]
	s_waitcnt lgkmcnt(2)
	v_pk_mul_f32 v[16:17], v[4:5], v[16:17]
	ds_write2st64_b32 v11, v14, v15 offset1:2
	ds_write2st64_b32 v11, v16, v17 offset0:4 offset1:6
	ds_read2st64_b32 v[16:17], v11 offset0:16 offset1:18
	s_waitcnt lgkmcnt(4)
	v_pk_mul_f32 v[14:15], v[4:5], v[18:19]
	ds_write2st64_b32 v11, v14, v15 offset0:8 offset1:10
	s_waitcnt lgkmcnt(4)
	v_pk_mul_f32 v[14:15], v[4:5], v[20:21]
	ds_write2st64_b32 v11, v14, v15 offset0:12 offset1:14
	ds_read2st64_b32 v[14:15], v11 offset0:20 offset1:22
	s_waitcnt lgkmcnt(3)
	v_pk_mul_f32 v[16:17], v[4:5], v[16:17]
	ds_read2st64_b32 v[18:19], v11 offset0:24 offset1:26
	ds_write2st64_b32 v11, v16, v17 offset0:16 offset1:18
	ds_read2st64_b32 v[16:17], v11 offset0:28 offset1:30
	s_waitcnt lgkmcnt(3)
	v_pk_mul_f32 v[14:15], v[4:5], v[14:15]
	ds_write2st64_b32 v11, v14, v15 offset0:20 offset1:22
	s_waitcnt lgkmcnt(3)
	v_pk_mul_f32 v[14:15], v[4:5], v[18:19]
	ds_write2st64_b32 v11, v14, v15 offset0:24 offset1:26
	s_waitcnt lgkmcnt(2)
	v_pk_mul_f32 v[14:15], v[4:5], v[16:17]
	s_add_i32 s18, s18, 16
	v_cmp_eq_u32_e32 vcc, 0, v10
	ds_write2st64_b32 v11, v14, v15 offset0:28 offset1:30
	v_add_u32_e32 v11, 0x2000, v11
	s_or_b64 s[12:13], vcc, s[12:13]
	v_mov_b32_e32 v12, s18
	s_andn2_b64 exec, exec, s[12:13]
	s_cbranch_execnz .LBB266_53
; %bb.54:
	s_or_b64 exec, exec, s[12:13]
.LBB266_55:
	s_or_b64 exec, exec, s[10:11]
	v_and_b32_e32 v9, 7, v9
	v_cmp_ne_u32_e32 vcc, 0, v9
	s_and_saveexec_b64 s[10:11], vcc
	s_cbranch_execz .LBB266_58
; %bb.56:
	v_lshlrev_b32_e32 v10, 9, v12
	v_lshlrev_b32_e32 v11, 2, v0
	s_movk_i32 s12, 0x50
	v_add3_u32 v10, v10, v11, s12
	s_mov_b64 s[12:13], 0
.LBB266_57:                             ; =>This Inner Loop Header: Depth=1
	ds_read2st64_b32 v[14:15], v10 offset1:2
	v_add_u32_e32 v9, -1, v9
	v_cmp_eq_u32_e32 vcc, 0, v9
	s_or_b64 s[12:13], vcc, s[12:13]
	s_waitcnt lgkmcnt(0)
	v_pk_mul_f32 v[14:15], v[4:5], v[14:15]
	ds_write2st64_b32 v10, v14, v15 offset1:2
	v_add_u32_e32 v10, 0x400, v10
	s_andn2_b64 exec, exec, s[12:13]
	s_cbranch_execnz .LBB266_57
.LBB266_58:
	s_or_b64 exec, exec, s[10:11]
	v_add_u32_e32 v8, 1, v8
	v_and_b32_e32 v9, 0x3fffffe, v8
	v_cmp_ne_u32_e32 vcc, v8, v9
	v_lshl_add_u32 v5, v9, 7, v0
	s_orn2_b64 s[10:11], vcc, exec
.LBB266_59:
	s_or_b64 exec, exec, s[4:5]
	s_and_b64 exec, exec, s[10:11]
	s_cbranch_execz .LBB266_62
; %bb.60:
	v_mov_b32_e32 v8, 0x50
	v_lshl_add_u32 v8, v5, 2, v8
	s_mov_b64 s[4:5], 0
.LBB266_61:                             ; =>This Inner Loop Header: Depth=1
	ds_read_b32 v9, v8
	v_add_u32_e32 v5, 0x80, v5
	v_cmp_le_i32_e32 vcc, s38, v5
	s_or_b64 s[4:5], vcc, s[4:5]
	s_waitcnt lgkmcnt(0)
	v_mul_f32_e32 v9, v4, v9
	ds_write_b32 v8, v9
	v_add_u32_e32 v8, 0x200, v8
	s_andn2_b64 exec, exec, s[4:5]
	s_cbranch_execnz .LBB266_61
.LBB266_62:
	s_or_b64 exec, exec, s[2:3]
	s_mul_i32 s2, s25, s28
	v_cmp_eq_u32_e32 vcc, 0, v0
	s_mul_i32 s2, s2, s9
	s_waitcnt lgkmcnt(0)
	s_barrier
	s_and_saveexec_b64 s[4:5], vcc
	s_cbranch_execz .LBB266_64
; %bb.63:
	s_ashr_i32 s3, s2, 31
	s_lshl_b64 s[10:11], s[2:3], 2
	s_add_u32 s3, s22, s10
	s_mul_i32 s12, s25, s6
	s_addc_u32 s9, s23, s11
	s_ashr_i32 s13, s12, 31
	s_lshl_b64 s[12:13], s[12:13], 2
	s_add_u32 s3, s3, s12
	s_addc_u32 s6, s9, s13
	s_ashr_i32 s9, s8, 31
	s_lshl_b64 s[18:19], s[8:9], 2
	s_add_u32 s22, s3, s18
	s_addc_u32 s23, s6, s19
	s_add_u32 s3, s20, s10
	s_addc_u32 s6, s21, s11
	s_add_u32 s3, s3, s12
	s_addc_u32 s6, s6, s13
	s_add_u32 s10, s3, s18
	v_mov_b32_e32 v4, 0
	s_addc_u32 s11, s6, s19
	global_store_dword v4, v6, s[22:23]
	global_store_dword v4, v7, s[10:11]
.LBB266_64:
	s_or_b64 exec, exec, s[4:5]
	v_mov_b32_e32 v11, 0
	s_and_saveexec_b64 s[4:5], s[0:1]
	s_cbranch_execz .LBB266_120
; %bb.65:
	s_ashr_i32 s0, s7, 31
	s_add_u32 s1, s36, s7
	s_addc_u32 s0, s37, s0
	v_lshlrev_b32_e32 v4, 3, v1
	v_mov_b32_e32 v7, s0
	v_add_co_u32_e64 v6, s[0:1], s1, v4
	v_addc_co_u32_e64 v7, s[0:1], 0, v7, s[0:1]
	s_add_i32 s9, s16, -1
	s_lshl_b64 s[0:1], s[34:35], 2
	s_add_u32 s0, s30, s0
	v_lshlrev_b64 v[8:9], 2, v[2:3]
	s_addc_u32 s1, s31, s1
	s_mov_b32 s6, -1
	v_mov_b32_e32 v4, 0x50
	v_mov_b32_e32 v3, s1
	v_add_co_u32_e64 v8, s[0:1], s0, v8
	v_cmp_gt_u32_e32 vcc, 32, v1
	s_mov_b32 s3, s17
	v_mov_b32_e32 v5, 0
	s_mov_b32 s7, 0xffffff
	s_mov_b32 s22, s29
	v_lshl_add_u32 v18, v13, 3, s46
	v_lshl_add_u32 v19, v13, 5, v4
	v_addc_co_u32_e64 v9, s[0:1], v3, v9, s[0:1]
	s_mov_b64 s[10:11], 0
	s_movk_i32 s23, 0x80
	s_movk_i32 s28, 0x7f
	s_mov_b32 s30, 0x8000
	s_movk_i32 s31, 0x380
	s_mov_b32 s34, 0x3020706
	s_mov_b32 s35, 0x1000504
	;; [unrolled: 1-line block ×3, first 2 shown]
	v_mov_b32_e32 v3, 0x2000
	v_mov_b32_e32 v11, 0
	s_branch .LBB266_68
.LBB266_66:                             ;   in Loop: Header=BB266_68 Depth=1
	s_or_b64 exec, exec, s[16:17]
	v_and_b32_e32 v14, 0xffff, v20
	v_and_b32_e32 v15, 0xffff, v22
	v_lshl_or_b32 v14, v21, 16, v14
	v_lshl_or_b32 v15, v23, 16, v15
	v_and_b32_e32 v16, 0xffff, v24
	v_and_b32_e32 v17, 0xffff, v26
	;;#ASMSTART
	v_pk_mul_f16 v12, v14, v12;

	;;#ASMEND
	;;#ASMSTART
	v_pk_mul_f16 v4, v15, v4;

	;;#ASMEND
	v_lshl_or_b32 v16, v25, 16, v16
	v_lshl_or_b32 v17, v27, 16, v17
	;;#ASMSTART
	v_pk_mul_f16 v13, v16, v13;

	;;#ASMEND
	;;#ASMSTART
	v_pk_mul_f16 v10, v17, v10;

	;;#ASMEND
	;;#ASMSTART
	v_pk_add_f16 v4, v12, v4;

	;;#ASMEND
	;;#ASMSTART
	v_pk_add_f16 v4, v4, v13;

	;;#ASMEND
	;;#ASMSTART
	v_pk_add_f16 v4, v4, v10;

	;;#ASMEND
	v_lshrrev_b32_e32 v10, 16, v4
	v_and_b32_e32 v4, 0xffff, v4
	;;#ASMSTART
	v_cvt_f32_f16 v4, v4;
	;;#ASMEND
	;;#ASMSTART
	v_cvt_f32_f16 v10, v10;
	;;#ASMEND
	v_add_f32_e32 v4, v4, v10
	v_add_f32_e32 v11, v11, v4
.LBB266_67:                             ;   in Loop: Header=BB266_68 Depth=1
	s_or_b64 exec, exec, s[12:13]
	v_add_u32_e32 v2, 2, v2
	v_cmp_le_i32_e64 s[0:1], s33, v2
	s_or_b64 s[10:11], s[0:1], s[10:11]
	v_add_co_u32_e64 v8, s[0:1], 8, v8
	v_add_u32_e32 v18, 16, v18
	v_add_u32_e32 v19, 64, v19
	v_addc_co_u32_e64 v9, s[0:1], 0, v9, s[0:1]
	s_andn2_b64 exec, exec, s[10:11]
	s_cbranch_execz .LBB266_119
.LBB266_68:                             ; =>This Inner Loop Header: Depth=1
	ds_read2_b64 v[12:15], v19 offset1:1
	ds_read2_b64 v[24:27], v19 offset0:2 offset1:3
	s_waitcnt lgkmcnt(1)
	;;#ASMSTART
	v_cvt_f16_f32 v20, v12;

	;;#ASMEND
	;;#ASMSTART
	v_cvt_f16_f32 v21, v13;

	;;#ASMEND
	;; [unrolled: 4-line block ×4, first 2 shown]
	s_waitcnt lgkmcnt(0)
	;;#ASMSTART
	v_cvt_f16_f32 v24, v24;

	;;#ASMEND
	;;#ASMSTART
	v_cvt_f16_f32 v25, v25;

	;;#ASMEND
	;; [unrolled: 4-line block ×4, first 2 shown]
	s_and_saveexec_b64 s[12:13], vcc
	s_cbranch_execz .LBB266_67
; %bb.69:                               ;   in Loop: Header=BB266_68 Depth=1
	global_load_dword v4, v[8:9], off
	v_mov_b32_e32 v14, 0
	s_waitcnt vmcnt(0)
	v_mad_i64_i32 v[12:13], s[0:1], v4, s3, v[6:7]
	global_load_dwordx2 v[16:17], v[12:13], off
	global_load_dword v10, v5, s[14:15]
	v_mov_b32_e32 v12, 0
	s_waitcnt vmcnt(1)
	v_cmp_ne_u16_sdwa s[0:1], v16, v5 src0_sel:BYTE_0 src1_sel:DWORD
	s_and_saveexec_b64 s[16:17], s[0:1]
	s_cbranch_execz .LBB266_75
; %bb.70:                               ;   in Loop: Header=BB266_68 Depth=1
	v_cmp_ne_u16_sdwa s[0:1], v16, s23 src0_sel:BYTE_0 src1_sel:DWORD
	v_bfrev_b32_e32 v12, 1
	s_and_saveexec_b64 s[18:19], s[0:1]
	s_cbranch_execz .LBB266_74
; %bb.71:                               ;   in Loop: Header=BB266_68 Depth=1
	v_and_b32_e32 v4, 0x7f, v16
	v_cmp_ne_u32_e64 s[0:1], s28, v4
	v_mov_b32_e32 v12, 0x7fc02000
	s_and_saveexec_b64 s[20:21], s[0:1]
	s_cbranch_execz .LBB266_73
; %bb.72:                               ;   in Loop: Header=BB266_68 Depth=1
	v_and_b32_e32 v12, 7, v16
	v_ffbh_u32_e32 v12, v12
	v_min_u32_e32 v12, 32, v12
	v_subrev_u32_e32 v13, 28, v12
	v_cmp_gt_u32_e64 s[0:1], 8, v4
	v_lshrrev_b32_e32 v15, 3, v4
	v_sub_u32_e32 v28, 29, v12
	v_cndmask_b32_e64 v4, 0, v13, s[0:1]
	v_lshlrev_b64 v[12:13], v4, v[16:17]
	v_cndmask_b32_e64 v4, v15, v28, s[0:1]
	v_lshlrev_b32_e32 v13, 8, v16
	v_lshl_add_u32 v4, v4, 10, v3
	v_lshlrev_b32_e32 v12, 7, v12
	v_and_or_b32 v4, v13, s30, v4
	v_and_or_b32 v4, v12, s31, v4
	v_cvt_f32_f16_e32 v12, v4
.LBB266_73:                             ;   in Loop: Header=BB266_68 Depth=1
	s_or_b64 exec, exec, s[20:21]
.LBB266_74:                             ;   in Loop: Header=BB266_68 Depth=1
	s_or_b64 exec, exec, s[18:19]
.LBB266_75:                             ;   in Loop: Header=BB266_68 Depth=1
	s_or_b64 exec, exec, s[16:17]
	v_lshrrev_b16_e32 v4, 8, v16
	v_cmp_ne_u16_e64 s[0:1], 0, v4
	s_and_saveexec_b64 s[16:17], s[0:1]
	s_cbranch_execz .LBB266_81
; %bb.76:                               ;   in Loop: Header=BB266_68 Depth=1
	v_cmp_ne_u16_e64 s[0:1], s23, v4
	v_bfrev_b32_e32 v14, 1
	s_and_saveexec_b64 s[18:19], s[0:1]
	s_cbranch_execz .LBB266_80
; %bb.77:                               ;   in Loop: Header=BB266_68 Depth=1
	v_and_b32_e32 v13, 0x7f, v4
	v_cmp_ne_u32_e64 s[0:1], s28, v13
	v_mov_b32_e32 v14, 0x7fc02000
	s_and_saveexec_b64 s[20:21], s[0:1]
	s_cbranch_execz .LBB266_79
; %bb.78:                               ;   in Loop: Header=BB266_68 Depth=1
	v_and_b32_e32 v28, 7, v4
	v_ffbh_u32_e32 v14, v28
	v_min_u32_e32 v30, 32, v14
	v_subrev_u32_e32 v14, 28, v30
	v_lshlrev_b64 v[14:15], v14, v[4:5]
	v_lshrrev_b32_e32 v29, 3, v13
	v_sub_u32_e32 v15, 29, v30
	v_cmp_gt_u32_e64 s[0:1], 8, v13
	v_cndmask_b32_e64 v13, v29, v15, s[0:1]
	v_and_b32_e32 v14, 7, v14
	v_lshlrev_b32_e32 v4, 8, v4
	v_lshl_add_u32 v13, v13, 10, v3
	v_cndmask_b32_e64 v14, v28, v14, s[0:1]
	v_and_or_b32 v4, v4, s30, v13
	v_lshl_or_b32 v4, v14, 7, v4
	v_cvt_f32_f16_e32 v14, v4
.LBB266_79:                             ;   in Loop: Header=BB266_68 Depth=1
	s_or_b64 exec, exec, s[20:21]
.LBB266_80:                             ;   in Loop: Header=BB266_68 Depth=1
	s_or_b64 exec, exec, s[18:19]
.LBB266_81:                             ;   in Loop: Header=BB266_68 Depth=1
	s_or_b64 exec, exec, s[16:17]
	v_lshrrev_b32_e32 v4, 16, v16
	v_cmp_ne_u16_sdwa s[0:1], v4, v5 src0_sel:BYTE_0 src1_sel:DWORD
	v_mov_b32_e32 v15, 0
	v_mov_b32_e32 v13, 0
	s_and_saveexec_b64 s[16:17], s[0:1]
	s_cbranch_execz .LBB266_87
; %bb.82:                               ;   in Loop: Header=BB266_68 Depth=1
	v_cmp_ne_u16_sdwa s[0:1], v4, s23 src0_sel:BYTE_0 src1_sel:DWORD
	v_bfrev_b32_e32 v13, 1
	s_and_saveexec_b64 s[18:19], s[0:1]
	s_cbranch_execz .LBB266_86
; %bb.83:                               ;   in Loop: Header=BB266_68 Depth=1
	v_bfe_u32 v28, v16, 16, 7
	v_cmp_ne_u32_e64 s[0:1], s28, v28
	v_mov_b32_e32 v13, 0x7fc02000
	s_and_saveexec_b64 s[20:21], s[0:1]
	s_cbranch_execz .LBB266_85
; %bb.84:                               ;   in Loop: Header=BB266_68 Depth=1
	v_and_b32_e32 v13, 7, v4
	v_ffbh_u32_e32 v30, v13
	v_min_u32_e32 v32, 32, v30
	v_subrev_u32_e32 v30, 28, v32
	v_lshlrev_b64 v[30:31], v30, v[4:5]
	v_lshrrev_b32_e32 v29, 3, v28
	v_sub_u32_e32 v31, 29, v32
	v_cmp_gt_u32_e64 s[0:1], 8, v28
	v_cndmask_b32_e64 v28, v29, v31, s[0:1]
	v_and_b32_e32 v30, 7, v30
	v_lshlrev_b32_e32 v4, 8, v4
	v_lshl_add_u32 v28, v28, 10, v3
	v_cndmask_b32_e64 v13, v13, v30, s[0:1]
	v_and_or_b32 v4, v4, s30, v28
	v_lshl_or_b32 v4, v13, 7, v4
	v_cvt_f32_f16_e32 v13, v4
.LBB266_85:                             ;   in Loop: Header=BB266_68 Depth=1
	s_or_b64 exec, exec, s[20:21]
.LBB266_86:                             ;   in Loop: Header=BB266_68 Depth=1
	s_or_b64 exec, exec, s[18:19]
.LBB266_87:                             ;   in Loop: Header=BB266_68 Depth=1
	s_or_b64 exec, exec, s[16:17]
	v_cmp_lt_u32_e64 s[0:1], s7, v16
	s_and_saveexec_b64 s[16:17], s[0:1]
	s_cbranch_execz .LBB266_93
; %bb.88:                               ;   in Loop: Header=BB266_68 Depth=1
	v_lshrrev_b32_e32 v4, 24, v16
	v_cmp_ne_u32_e64 s[0:1], s23, v4
	v_bfrev_b32_e32 v15, 1
	s_and_saveexec_b64 s[18:19], s[0:1]
	s_cbranch_execz .LBB266_92
; %bb.89:                               ;   in Loop: Header=BB266_68 Depth=1
	v_and_b32_e32 v28, 0x7f, v4
	v_cmp_ne_u32_e64 s[0:1], s28, v28
	v_mov_b32_e32 v15, 0x7fc02000
	s_and_saveexec_b64 s[20:21], s[0:1]
	s_cbranch_execz .LBB266_91
; %bb.90:                               ;   in Loop: Header=BB266_68 Depth=1
	v_and_b32_e32 v15, 7, v4
	v_ffbh_u32_e32 v30, v15
	v_min_u32_e32 v32, 32, v30
	v_subrev_u32_e32 v30, 28, v32
	v_lshlrev_b64 v[30:31], v30, v[4:5]
	v_lshrrev_b32_e32 v29, 3, v28
	v_sub_u32_e32 v31, 29, v32
	v_cmp_gt_u32_e64 s[0:1], 8, v28
	v_cndmask_b32_e64 v28, v29, v31, s[0:1]
	v_and_b32_e32 v30, 7, v30
	v_lshlrev_b32_e32 v4, 8, v4
	v_lshl_add_u32 v28, v28, 10, v3
	v_cndmask_b32_e64 v15, v15, v30, s[0:1]
	v_and_or_b32 v4, v4, s30, v28
	v_lshl_or_b32 v4, v15, 7, v4
	v_cvt_f32_f16_e32 v15, v4
.LBB266_91:                             ;   in Loop: Header=BB266_68 Depth=1
	s_or_b64 exec, exec, s[20:21]
.LBB266_92:                             ;   in Loop: Header=BB266_68 Depth=1
	s_or_b64 exec, exec, s[18:19]
.LBB266_93:                             ;   in Loop: Header=BB266_68 Depth=1
	s_or_b64 exec, exec, s[16:17]
	v_mov_b32_e32 v4, v17
	v_cmp_ne_u16_sdwa s[0:1], v17, v5 src0_sel:BYTE_0 src1_sel:DWORD
	v_mov_b32_e32 v29, 0
	v_mov_b32_e32 v28, 0
	s_and_saveexec_b64 s[16:17], s[0:1]
	s_cbranch_execz .LBB266_99
; %bb.94:                               ;   in Loop: Header=BB266_68 Depth=1
	v_cmp_ne_u16_sdwa s[0:1], v17, s23 src0_sel:BYTE_0 src1_sel:DWORD
	v_bfrev_b32_e32 v28, 1
	s_and_saveexec_b64 s[18:19], s[0:1]
	s_cbranch_execz .LBB266_98
; %bb.95:                               ;   in Loop: Header=BB266_68 Depth=1
	v_and_b32_e32 v30, 0x7f, v17
	v_cmp_ne_u32_e64 s[0:1], s28, v30
	v_mov_b32_e32 v28, 0x7fc02000
	s_and_saveexec_b64 s[20:21], s[0:1]
	s_cbranch_execz .LBB266_97
; %bb.96:                               ;   in Loop: Header=BB266_68 Depth=1
	v_and_b32_e32 v28, 7, v17
	v_ffbh_u32_e32 v28, v28
	v_min_u32_e32 v28, 32, v28
	v_subrev_u32_e32 v31, 28, v28
	v_cmp_gt_u32_e64 s[0:1], 8, v30
	v_lshrrev_b32_e32 v32, 3, v30
	v_sub_u32_e32 v28, 29, v28
	v_cndmask_b32_e64 v30, 0, v31, s[0:1]
	v_lshlrev_b64 v[30:31], v30, v[4:5]
	v_cndmask_b32_e64 v28, v32, v28, s[0:1]
	v_lshlrev_b32_e32 v31, 8, v17
	v_lshl_add_u32 v28, v28, 10, v3
	v_lshlrev_b32_e32 v30, 7, v30
	v_and_or_b32 v28, v31, s30, v28
	v_and_or_b32 v28, v30, s31, v28
	v_cvt_f32_f16_e32 v28, v28
.LBB266_97:                             ;   in Loop: Header=BB266_68 Depth=1
	s_or_b64 exec, exec, s[20:21]
.LBB266_98:                             ;   in Loop: Header=BB266_68 Depth=1
	s_or_b64 exec, exec, s[18:19]
.LBB266_99:                             ;   in Loop: Header=BB266_68 Depth=1
	s_or_b64 exec, exec, s[16:17]
	v_lshrrev_b16_e32 v4, 8, v4
	v_cmp_ne_u16_e64 s[0:1], 0, v4
	s_and_saveexec_b64 s[16:17], s[0:1]
	s_cbranch_execz .LBB266_105
; %bb.100:                              ;   in Loop: Header=BB266_68 Depth=1
	v_cmp_ne_u16_e64 s[0:1], s23, v4
	v_bfrev_b32_e32 v29, 1
	s_and_saveexec_b64 s[18:19], s[0:1]
	s_cbranch_execz .LBB266_104
; %bb.101:                              ;   in Loop: Header=BB266_68 Depth=1
	v_and_b32_e32 v30, 0x7f, v4
	v_cmp_ne_u32_e64 s[0:1], s28, v30
	v_mov_b32_e32 v29, 0x7fc02000
	s_and_saveexec_b64 s[20:21], s[0:1]
	s_cbranch_execz .LBB266_103
; %bb.102:                              ;   in Loop: Header=BB266_68 Depth=1
	v_and_b32_e32 v29, 7, v4
	v_ffbh_u32_e32 v32, v29
	v_min_u32_e32 v34, 32, v32
	v_subrev_u32_e32 v32, 28, v34
	v_lshlrev_b64 v[32:33], v32, v[4:5]
	v_lshrrev_b32_e32 v31, 3, v30
	v_sub_u32_e32 v33, 29, v34
	v_cmp_gt_u32_e64 s[0:1], 8, v30
	v_cndmask_b32_e64 v30, v31, v33, s[0:1]
	v_and_b32_e32 v32, 7, v32
	v_lshlrev_b32_e32 v4, 8, v4
	v_lshl_add_u32 v30, v30, 10, v3
	v_cndmask_b32_e64 v29, v29, v32, s[0:1]
	v_and_or_b32 v4, v4, s30, v30
	v_lshl_or_b32 v4, v29, 7, v4
	v_cvt_f32_f16_e32 v29, v4
.LBB266_103:                            ;   in Loop: Header=BB266_68 Depth=1
	s_or_b64 exec, exec, s[20:21]
.LBB266_104:                            ;   in Loop: Header=BB266_68 Depth=1
	s_or_b64 exec, exec, s[18:19]
.LBB266_105:                            ;   in Loop: Header=BB266_68 Depth=1
	s_or_b64 exec, exec, s[16:17]
	v_lshrrev_b32_e32 v4, 16, v17
	v_cmp_ne_u16_sdwa s[0:1], v4, v5 src0_sel:BYTE_0 src1_sel:DWORD
	v_mov_b32_e32 v30, 0
	v_mov_b32_e32 v31, 0
	s_and_saveexec_b64 s[16:17], s[0:1]
	s_cbranch_execz .LBB266_111
; %bb.106:                              ;   in Loop: Header=BB266_68 Depth=1
	v_cmp_ne_u16_sdwa s[0:1], v4, s23 src0_sel:BYTE_0 src1_sel:DWORD
	v_bfrev_b32_e32 v31, 1
	s_and_saveexec_b64 s[18:19], s[0:1]
	s_cbranch_execz .LBB266_110
; %bb.107:                              ;   in Loop: Header=BB266_68 Depth=1
	v_bfe_u32 v32, v17, 16, 7
	v_cmp_ne_u32_e64 s[0:1], s28, v32
	v_mov_b32_e32 v31, 0x7fc02000
	s_and_saveexec_b64 s[20:21], s[0:1]
	s_cbranch_execz .LBB266_109
; %bb.108:                              ;   in Loop: Header=BB266_68 Depth=1
	v_and_b32_e32 v31, 7, v4
	v_ffbh_u32_e32 v34, v31
	v_min_u32_e32 v36, 32, v34
	v_subrev_u32_e32 v34, 28, v36
	v_lshlrev_b64 v[34:35], v34, v[4:5]
	v_lshrrev_b32_e32 v33, 3, v32
	v_sub_u32_e32 v35, 29, v36
	v_cmp_gt_u32_e64 s[0:1], 8, v32
	v_cndmask_b32_e64 v32, v33, v35, s[0:1]
	v_and_b32_e32 v34, 7, v34
	v_lshlrev_b32_e32 v4, 8, v4
	v_lshl_add_u32 v32, v32, 10, v3
	v_cndmask_b32_e64 v31, v31, v34, s[0:1]
	v_and_or_b32 v4, v4, s30, v32
	v_lshl_or_b32 v4, v31, 7, v4
	v_cvt_f32_f16_e32 v31, v4
.LBB266_109:                            ;   in Loop: Header=BB266_68 Depth=1
	s_or_b64 exec, exec, s[20:21]
.LBB266_110:                            ;   in Loop: Header=BB266_68 Depth=1
	s_or_b64 exec, exec, s[18:19]
.LBB266_111:                            ;   in Loop: Header=BB266_68 Depth=1
	s_or_b64 exec, exec, s[16:17]
	v_cmp_lt_u64_e64 s[0:1], s[6:7], v[16:17]
	s_and_saveexec_b64 s[16:17], s[0:1]
	s_cbranch_execz .LBB266_117
; %bb.112:                              ;   in Loop: Header=BB266_68 Depth=1
	v_lshrrev_b32_e32 v4, 24, v17
	v_cmp_ne_u32_e64 s[0:1], s23, v4
	v_bfrev_b32_e32 v30, 1
	s_and_saveexec_b64 s[18:19], s[0:1]
	s_cbranch_execz .LBB266_116
; %bb.113:                              ;   in Loop: Header=BB266_68 Depth=1
	v_and_b32_e32 v16, 0x7f, v4
	v_cmp_ne_u32_e64 s[0:1], s28, v16
	v_mov_b32_e32 v30, 0x7fc02000
	s_and_saveexec_b64 s[20:21], s[0:1]
	s_cbranch_execz .LBB266_115
; %bb.114:                              ;   in Loop: Header=BB266_68 Depth=1
	v_and_b32_e32 v17, 7, v4
	v_ffbh_u32_e32 v32, v17
	v_min_u32_e32 v34, 32, v32
	v_subrev_u32_e32 v32, 28, v34
	v_lshlrev_b64 v[32:33], v32, v[4:5]
	v_lshrrev_b32_e32 v30, 3, v16
	v_sub_u32_e32 v33, 29, v34
	v_cmp_gt_u32_e64 s[0:1], 8, v16
	v_cndmask_b32_e64 v16, v30, v33, s[0:1]
	v_and_b32_e32 v32, 7, v32
	v_lshlrev_b32_e32 v4, 8, v4
	v_lshl_add_u32 v16, v16, 10, v3
	v_cndmask_b32_e64 v17, v17, v32, s[0:1]
	v_and_or_b32 v4, v4, s30, v16
	v_lshl_or_b32 v4, v17, 7, v4
	v_cvt_f32_f16_e32 v30, v4
.LBB266_115:                            ;   in Loop: Header=BB266_68 Depth=1
	s_or_b64 exec, exec, s[20:21]
.LBB266_116:                            ;   in Loop: Header=BB266_68 Depth=1
	s_or_b64 exec, exec, s[18:19]
.LBB266_117:                            ;   in Loop: Header=BB266_68 Depth=1
	s_or_b64 exec, exec, s[16:17]
	s_waitcnt vmcnt(0)
	v_pk_mul_f32 v[14:15], v[10:11], v[14:15] op_sel_hi:[0,1]
	v_pk_mul_f32 v[12:13], v[10:11], v[12:13] op_sel_hi:[0,1]
	v_cvt_f16_f32_e32 v4, v15
	v_cvt_f16_f32_e32 v14, v14
	;; [unrolled: 1-line block ×4, first 2 shown]
	v_cmp_eq_u32_e64 s[0:1], s9, v2
	v_pack_b32_f16 v14, v14, v4
	v_pack_b32_f16 v12, v12, v13
	v_fma_mixlo_f16 v13, v10, v29, 0
	v_perm_b32 v4, v12, v14, s34
	v_perm_b32 v12, v12, v14, s35
	v_lshlrev_b32_e32 v13, 16, v13
	v_fma_mixlo_f16 v14, v10, v28, 0
	v_or_b32_sdwa v13, v13, v14 dst_sel:DWORD dst_unused:UNUSED_PAD src0_sel:DWORD src1_sel:WORD_0
	v_fma_mixlo_f16 v14, v10, v31, 0
	v_fma_mixlo_f16 v10, v10, v30, 0
	v_lshlrev_b32_e32 v10, 16, v10
	v_or_b32_sdwa v10, v10, v14 dst_sel:DWORD dst_unused:UNUSED_PAD src0_sel:DWORD src1_sel:WORD_0
	s_and_saveexec_b64 s[16:17], s[0:1]
	s_cbranch_execz .LBB266_66
; %bb.118:                              ;   in Loop: Header=BB266_68 Depth=1
	v_add_u32_e32 v15, 1, v18
	v_lshrrev_b32_e32 v16, 16, v12
	v_cmp_gt_i32_e64 s[0:1], s22, v15
	v_cndmask_b32_e64 v15, 0, v16, s[0:1]
	v_cmp_gt_i32_e64 s[0:1], s29, v18
	v_cndmask_b32_e64 v12, 0, v12, s[0:1]
	v_perm_b32 v12, v15, v12, s36
	v_or_b32_e32 v15, 3, v18
	v_or_b32_e32 v16, 2, v18
	v_lshrrev_b32_e32 v17, 16, v4
	v_cmp_gt_i32_e64 s[0:1], s22, v15
	v_cndmask_b32_e64 v15, 0, v17, s[0:1]
	v_cmp_gt_i32_e64 s[0:1], s29, v16
	v_cndmask_b32_e64 v4, 0, v4, s[0:1]
	v_perm_b32 v4, v15, v4, s36
	v_or_b32_e32 v15, 5, v18
	v_or_b32_e32 v16, 4, v18
	;; [unrolled: 8-line block ×3, first 2 shown]
	v_lshrrev_b32_e32 v10, 16, v10
	v_cmp_gt_i32_e64 s[0:1], s22, v15
	v_cndmask_b32_e64 v10, 0, v10, s[0:1]
	v_cmp_gt_i32_e64 s[0:1], s29, v16
	v_cndmask_b32_e64 v14, 0, v14, s[0:1]
	v_perm_b32 v10, v10, v14, s36
	s_branch .LBB266_66
.LBB266_119:
	s_or_b64 exec, exec, s[10:11]
.LBB266_120:
	s_or_b64 exec, exec, s[4:5]
	v_and_b32_e32 v2, 0x3c0, v0
	v_cmp_eq_u32_e64 s[0:1], 64, v2
	v_cmp_gt_u32_e32 vcc, 32, v1
	s_and_b64 s[4:5], s[0:1], vcc
	s_barrier
	s_and_saveexec_b64 s[0:1], s[4:5]
	s_cbranch_execz .LBB266_122
; %bb.121:
	v_mov_b32_e32 v2, 0x50
	v_lshl_add_u32 v2, v1, 2, v2
	ds_write_b32 v2, v11
.LBB266_122:
	s_or_b64 exec, exec, s[0:1]
	v_cmp_gt_u32_e64 s[0:1], 64, v0
	s_and_b64 s[0:1], s[0:1], vcc
	s_waitcnt lgkmcnt(0)
	s_barrier
	s_and_saveexec_b64 s[4:5], s[0:1]
	s_cbranch_execz .LBB266_124
; %bb.123:
	v_mov_b32_e32 v0, 0x50
	v_lshl_add_u32 v0, v1, 2, v0
	ds_read_b32 v0, v0
	s_waitcnt lgkmcnt(0)
	v_add_f32_e32 v11, v11, v0
.LBB266_124:
	s_or_b64 exec, exec, s[4:5]
	s_barrier
	s_and_saveexec_b64 s[4:5], s[0:1]
	s_cbranch_execz .LBB266_126
; %bb.125:
	s_lshl_b32 s0, s2, 5
	s_ashr_i32 s1, s0, 31
	s_lshl_b64 s[0:1], s[0:1], 1
	s_add_u32 s2, s26, s0
	s_mul_i32 s0, s25, s24
	s_addc_u32 s3, s27, s1
	s_ashr_i32 s1, s0, 31
	s_lshl_b64 s[0:1], s[0:1], 1
	s_add_u32 s2, s2, s0
	s_addc_u32 s3, s3, s1
	s_lshl_b32 s0, s8, 5
	s_ashr_i32 s1, s0, 31
	s_lshl_b64 s[0:1], s[0:1], 1
	s_add_u32 s0, s2, s0
	s_addc_u32 s1, s3, s1
	v_lshlrev_b32_e32 v0, 1, v1
	;;#ASMSTART
	v_cvt_f16_f32 v1, v11;

	;;#ASMEND
	global_store_short v0, v1, s[0:1]
.LBB266_126:
	s_endpgm
	.section	.rodata,"a",@progbits
	.p2align	6, 0x0
	.amdhsa_kernel _ZN4vllm25paged_attention_v2_kernelIthLi32ELi8ELi128ELNS_18Fp8KVCacheDataTypeE1ELb0ELi512EEEvPfS2_PT_PKS3_PKT0_S9_ifPKiSB_iPKfiiiSD_SD_iiiii
		.amdhsa_group_segment_fixed_size 80
		.amdhsa_private_segment_fixed_size 0
		.amdhsa_kernarg_size 400
		.amdhsa_user_sgpr_count 6
		.amdhsa_user_sgpr_private_segment_buffer 1
		.amdhsa_user_sgpr_dispatch_ptr 0
		.amdhsa_user_sgpr_queue_ptr 0
		.amdhsa_user_sgpr_kernarg_segment_ptr 1
		.amdhsa_user_sgpr_dispatch_id 0
		.amdhsa_user_sgpr_flat_scratch_init 0
		.amdhsa_user_sgpr_kernarg_preload_length 0
		.amdhsa_user_sgpr_kernarg_preload_offset 0
		.amdhsa_user_sgpr_private_segment_size 0
		.amdhsa_uses_dynamic_stack 0
		.amdhsa_system_sgpr_private_segment_wavefront_offset 0
		.amdhsa_system_sgpr_workgroup_id_x 1
		.amdhsa_system_sgpr_workgroup_id_y 1
		.amdhsa_system_sgpr_workgroup_id_z 1
		.amdhsa_system_sgpr_workgroup_info 0
		.amdhsa_system_vgpr_workitem_id 0
		.amdhsa_next_free_vgpr 37
		.amdhsa_next_free_sgpr 52
		.amdhsa_accum_offset 40
		.amdhsa_reserve_vcc 1
		.amdhsa_reserve_flat_scratch 0
		.amdhsa_float_round_mode_32 0
		.amdhsa_float_round_mode_16_64 0
		.amdhsa_float_denorm_mode_32 3
		.amdhsa_float_denorm_mode_16_64 3
		.amdhsa_dx10_clamp 1
		.amdhsa_ieee_mode 1
		.amdhsa_fp16_overflow 0
		.amdhsa_tg_split 0
		.amdhsa_exception_fp_ieee_invalid_op 0
		.amdhsa_exception_fp_denorm_src 0
		.amdhsa_exception_fp_ieee_div_zero 0
		.amdhsa_exception_fp_ieee_overflow 0
		.amdhsa_exception_fp_ieee_underflow 0
		.amdhsa_exception_fp_ieee_inexact 0
		.amdhsa_exception_int_div_zero 0
	.end_amdhsa_kernel
	.section	.text._ZN4vllm25paged_attention_v2_kernelIthLi32ELi8ELi128ELNS_18Fp8KVCacheDataTypeE1ELb0ELi512EEEvPfS2_PT_PKS3_PKT0_S9_ifPKiSB_iPKfiiiSD_SD_iiiii,"axG",@progbits,_ZN4vllm25paged_attention_v2_kernelIthLi32ELi8ELi128ELNS_18Fp8KVCacheDataTypeE1ELb0ELi512EEEvPfS2_PT_PKS3_PKT0_S9_ifPKiSB_iPKfiiiSD_SD_iiiii,comdat
.Lfunc_end266:
	.size	_ZN4vllm25paged_attention_v2_kernelIthLi32ELi8ELi128ELNS_18Fp8KVCacheDataTypeE1ELb0ELi512EEEvPfS2_PT_PKS3_PKT0_S9_ifPKiSB_iPKfiiiSD_SD_iiiii, .Lfunc_end266-_ZN4vllm25paged_attention_v2_kernelIthLi32ELi8ELi128ELNS_18Fp8KVCacheDataTypeE1ELb0ELi512EEEvPfS2_PT_PKS3_PKT0_S9_ifPKiSB_iPKfiiiSD_SD_iiiii
                                        ; -- End function
	.section	.AMDGPU.csdata,"",@progbits
; Kernel info:
; codeLenInByte = 6172
; NumSgprs: 56
; NumVgprs: 37
; NumAgprs: 0
; TotalNumVgprs: 37
; ScratchSize: 0
; MemoryBound: 0
; FloatMode: 240
; IeeeMode: 1
; LDSByteSize: 80 bytes/workgroup (compile time only)
; SGPRBlocks: 6
; VGPRBlocks: 4
; NumSGPRsForWavesPerEU: 56
; NumVGPRsForWavesPerEU: 37
; AccumOffset: 40
; Occupancy: 8
; WaveLimiterHint : 1
; COMPUTE_PGM_RSRC2:SCRATCH_EN: 0
; COMPUTE_PGM_RSRC2:USER_SGPR: 6
; COMPUTE_PGM_RSRC2:TRAP_HANDLER: 0
; COMPUTE_PGM_RSRC2:TGID_X_EN: 1
; COMPUTE_PGM_RSRC2:TGID_Y_EN: 1
; COMPUTE_PGM_RSRC2:TGID_Z_EN: 1
; COMPUTE_PGM_RSRC2:TIDIG_COMP_CNT: 0
; COMPUTE_PGM_RSRC3_GFX90A:ACCUM_OFFSET: 9
; COMPUTE_PGM_RSRC3_GFX90A:TG_SPLIT: 0
	.section	.text._ZN4vllm25paged_attention_v2_kernelIthLi64ELi8ELi128ELNS_18Fp8KVCacheDataTypeE1ELb0ELi512EEEvPfS2_PT_PKS3_PKT0_S9_ifPKiSB_iPKfiiiSD_SD_iiiii,"axG",@progbits,_ZN4vllm25paged_attention_v2_kernelIthLi64ELi8ELi128ELNS_18Fp8KVCacheDataTypeE1ELb0ELi512EEEvPfS2_PT_PKS3_PKT0_S9_ifPKiSB_iPKfiiiSD_SD_iiiii,comdat
	.protected	_ZN4vllm25paged_attention_v2_kernelIthLi64ELi8ELi128ELNS_18Fp8KVCacheDataTypeE1ELb0ELi512EEEvPfS2_PT_PKS3_PKT0_S9_ifPKiSB_iPKfiiiSD_SD_iiiii ; -- Begin function _ZN4vllm25paged_attention_v2_kernelIthLi64ELi8ELi128ELNS_18Fp8KVCacheDataTypeE1ELb0ELi512EEEvPfS2_PT_PKS3_PKT0_S9_ifPKiSB_iPKfiiiSD_SD_iiiii
	.globl	_ZN4vllm25paged_attention_v2_kernelIthLi64ELi8ELi128ELNS_18Fp8KVCacheDataTypeE1ELb0ELi512EEEvPfS2_PT_PKS3_PKT0_S9_ifPKiSB_iPKfiiiSD_SD_iiiii
	.p2align	8
	.type	_ZN4vllm25paged_attention_v2_kernelIthLi64ELi8ELi128ELNS_18Fp8KVCacheDataTypeE1ELb0ELi512EEEvPfS2_PT_PKS3_PKT0_S9_ifPKiSB_iPKfiiiSD_SD_iiiii,@function
_ZN4vllm25paged_attention_v2_kernelIthLi64ELi8ELi128ELNS_18Fp8KVCacheDataTypeE1ELb0ELi512EEEvPfS2_PT_PKS3_PKT0_S9_ifPKiSB_iPKfiiiSD_SD_iiiii: ; @_ZN4vllm25paged_attention_v2_kernelIthLi64ELi8ELi128ELNS_18Fp8KVCacheDataTypeE1ELb0ELi512EEEvPfS2_PT_PKS3_PKT0_S9_ifPKiSB_iPKfiiiSD_SD_iiiii
; %bb.0:
	s_load_dwordx2 s[0:1], s[4:5], 0x40
	s_mov_b32 s28, s7
	s_ashr_i32 s29, s7, 31
	s_lshl_b64 s[2:3], s[28:29], 2
	s_waitcnt lgkmcnt(0)
	s_add_u32 s0, s0, s2
	s_addc_u32 s1, s1, s3
	s_load_dword s29, s[0:1], 0x0
	s_lshl_b32 s48, s8, 9
	s_waitcnt lgkmcnt(0)
	s_cmp_ge_i32 s48, s29
	s_cbranch_scc1 .LBB267_148
; %bb.1:
	s_load_dword s9, s[4:5], 0x90
	s_load_dwordx2 s[38:39], s[4:5], 0x30
	s_waitcnt lgkmcnt(0)
	s_abs_i32 s2, s9
	s_abs_i32 s0, s38
	v_cvt_f32_u32_e32 v1, s0
	s_sub_i32 s3, 0, s0
	s_xor_b32 s1, s9, s38
	s_ashr_i32 s1, s1, 31
	v_rcp_iflag_f32_e32 v1, v1
	v_mul_f32_e32 v1, 0x4f7ffffe, v1
	v_cvt_u32_f32_e32 v1, v1
	v_readfirstlane_b32 s7, v1
	s_mul_i32 s3, s3, s7
	s_mul_hi_u32 s3, s7, s3
	s_add_i32 s7, s7, s3
	s_mul_hi_u32 s3, s2, s7
	s_mul_i32 s7, s3, s0
	s_sub_i32 s2, s2, s7
	s_add_i32 s10, s3, 1
	s_sub_i32 s7, s2, s0
	s_cmp_ge_u32 s2, s0
	s_cselect_b32 s3, s10, s3
	s_cselect_b32 s2, s7, s2
	s_add_i32 s7, s3, 1
	s_cmp_ge_u32 s2, s0
	s_cselect_b32 s0, s7, s3
	s_xor_b32 s0, s0, s1
	s_sub_i32 s2, s0, s1
	s_abs_i32 s10, s2
	v_cvt_f32_u32_e32 v1, s10
	s_load_dwordx2 s[0:1], s[4:5], 0x50
	s_sub_i32 s3, 0, s10
	s_abs_i32 s11, s6
	v_rcp_iflag_f32_e32 v1, v1
	s_mov_b32 s7, 0
	v_mul_f32_e32 v1, 0x4f7ffffe, v1
	v_cvt_u32_f32_e32 v1, v1
	v_readfirstlane_b32 s12, v1
	s_mul_i32 s3, s3, s12
	s_mul_hi_u32 s3, s12, s3
	s_add_i32 s12, s12, s3
	s_waitcnt lgkmcnt(0)
	s_cmp_eq_u64 s[0:1], 0
	s_mul_hi_u32 s12, s11, s12
	s_cbranch_scc1 .LBB267_3
; %bb.2:
	s_ashr_i32 s7, s6, 31
	s_lshl_b64 s[14:15], s[6:7], 2
	s_add_u32 s0, s0, s14
	s_addc_u32 s1, s1, s15
	s_load_dword s7, s[0:1], 0x0
.LBB267_3:
	s_load_dwordx4 s[16:19], s[4:5], 0x58
	s_ashr_i32 s13, s6, 31
	s_ashr_i32 s14, s2, 31
	v_and_b32_e32 v4, 7, v0
	s_lshl_b32 s24, s6, 6
	v_cmp_gt_u32_e64 s[0:1], 64, v0
	s_and_saveexec_b64 s[2:3], s[0:1]
	s_cbranch_execz .LBB267_5
; %bb.4:
	s_load_dwordx2 s[20:21], s[4:5], 0x18
	s_waitcnt lgkmcnt(0)
	s_mul_i32 s22, s28, s16
	s_ashr_i32 s23, s22, 31
	s_lshl_b64 s[22:23], s[22:23], 1
	v_lshlrev_b32_e32 v1, 1, v0
	s_add_u32 s15, s20, s22
	s_addc_u32 s16, s21, s23
	s_ashr_i32 s25, s24, 31
	s_lshl_b64 s[20:21], s[24:25], 1
	s_add_u32 s20, s15, s20
	s_addc_u32 s21, s16, s21
	global_load_ushort v1, v1, s[20:21]
	v_lshrrev_b32_e32 v2, 2, v0
	v_and_b32_e32 v2, 0xfe, v2
	v_lshl_add_u32 v2, v4, 4, v2
	s_waitcnt vmcnt(0)
	ds_write_b16 v2, v1
.LBB267_5:
	s_or_b64 exec, exec, s[2:3]
	s_add_i32 s2, s29, 7
	s_ashr_i32 s3, s2, 31
	s_lshr_b32 s3, s3, 29
	s_add_i32 s2, s2, s3
	s_waitcnt lgkmcnt(0)
	s_lshl_b32 s16, s8, 6
	s_mul_i32 s3, s12, s10
	s_ashr_i32 s49, s2, 3
	s_add_i32 s2, s16, 64
	s_sub_i32 s3, s11, s3
	s_min_i32 s25, s2, s49
	s_xor_b32 s2, s13, s14
	s_add_i32 s11, s12, 1
	s_sub_i32 s13, s3, s10
	s_cmp_ge_u32 s3, s10
	s_cselect_b32 s11, s11, s12
	s_cselect_b32 s3, s13, s3
	s_add_i32 s12, s11, 1
	s_cmp_ge_u32 s3, s10
	s_load_dwordx2 s[30:31], s[4:5], 0x38
	s_load_dword s10, s[4:5], 0x48
	v_lshrrev_b32_e32 v1, 6, v0
	s_cselect_b32 s3, s12, s11
	s_xor_b32 s3, s3, s2
	v_or_b32_e32 v2, s16, v1
	s_waitcnt lgkmcnt(0)
	s_mul_i32 s34, s28, s10
	s_sub_i32 s50, s3, s2
	s_ashr_i32 s35, s34, 31
	v_cmp_gt_i32_e64 s[2:3], s25, v2
	v_cmp_le_i32_e32 vcc, s25, v2
	v_mbcnt_lo_u32_b32 v11, -1, 0
	s_barrier
	s_waitcnt lgkmcnt(0)
                                        ; implicit-def: $sgpr19
                                        ; implicit-def: $vgpr5
                                        ; implicit-def: $vgpr10
	s_and_saveexec_b64 s[10:11], vcc
	s_xor_b64 s[10:11], exec, s[10:11]
; %bb.6:
	v_mbcnt_hi_u32_b32 v5, -1, v11
	v_and_b32_e32 v3, 64, v5
	v_add_u32_e32 v10, 64, v3
	s_mov_b32 s19, 0xff7fffff
                                        ; implicit-def: $vgpr4
                                        ; implicit-def: $vgpr11
; %bb.7:
	s_or_saveexec_b64 s[40:41], s[10:11]
	s_load_dwordx4 s[20:23], s[4:5], 0x0
	s_load_dwordx2 s[26:27], s[4:5], 0x10
	s_load_dword s33, s[4:5], 0x98
	s_load_dwordx2 s[36:37], s[4:5], 0x28
	s_load_dwordx4 s[12:15], s[4:5], 0x68
	v_mov_b32_e32 v13, s19
	s_mul_i32 s50, s50, s18
	v_ashrrev_i32_e32 v3, 31, v2
	s_xor_b64 exec, exec, s[40:41]
	s_cbranch_execz .LBB267_61
; %bb.8:
	s_load_dwordx2 s[4:5], s[4:5], 0x20
	s_ashr_i32 s10, s50, 31
	v_bfe_u32 v5, v0, 3, 3
	v_lshlrev_b32_e32 v8, 3, v1
	v_lshlrev_b32_e32 v6, 4, v5
	s_waitcnt lgkmcnt(0)
	s_add_u32 s4, s4, s50
	s_addc_u32 s5, s5, s10
	s_sub_i32 s51, 1, s29
	s_lshl_b64 s[10:11], s[34:35], 2
	v_add3_u32 v16, s48, v8, v5
	v_lshlrev_b32_e32 v5, 2, v5
	s_add_u32 s10, s30, s10
	v_mov_b32_e32 v7, s5
	v_add_co_u32_e32 v6, vcc, s4, v6
	v_lshl_or_b32 v5, v1, 5, v5
	v_lshlrev_b64 v[8:9], 2, v[2:3]
	s_addc_u32 s11, s31, s11
	v_addc_co_u32_e32 v7, vcc, 0, v7, vcc
	v_add_u32_e32 v17, 0x90, v5
	v_mov_b32_e32 v5, s11
	v_add_co_u32_e64 v8, s[10:11], s10, v8
	s_mov_b32 s38, s17
	v_mov_b32_e32 v14, 0
	v_lshlrev_b32_e32 v15, 4, v4
	v_cmp_eq_u32_e32 vcc, 0, v4
	v_cmp_neq_f32_e64 s[4:5], s7, 0
	v_addc_co_u32_e64 v9, s[10:11], v5, v9, s[10:11]
	s_mov_b64 s[18:19], 0
	v_mov_b32_e32 v13, 0xff7fffff
	s_movk_i32 s52, 0x80
	s_movk_i32 s53, 0x7f
	v_mbcnt_hi_u32_b32 v5, -1, v11
	v_bfrev_b32_e32 v18, 60
	v_mov_b32_e32 v19, v2
	s_branch .LBB267_10
.LBB267_9:                              ;   in Loop: Header=BB267_10 Depth=1
	s_or_b64 exec, exec, s[42:43]
	v_add_u32_e32 v19, 2, v19
	v_cmp_le_i32_e64 s[10:11], s25, v19
	s_or_b64 s[18:19], s[10:11], s[18:19]
	v_add_co_u32_e64 v8, s[10:11], 8, v8
	v_add_u32_e32 v16, 16, v16
	v_add_u32_e32 v17, 64, v17
	v_addc_co_u32_e64 v9, s[10:11], 0, v9, s[10:11]
	s_andn2_b64 exec, exec, s[18:19]
	s_cbranch_execz .LBB267_60
.LBB267_10:                             ; =>This Inner Loop Header: Depth=1
	global_load_dword v10, v[8:9], off
	v_mov_b32_e32 v21, 0
	s_waitcnt vmcnt(0)
	v_mad_i64_i32 v[10:11], s[10:11], v10, s38, v[6:7]
	v_add_co_u32_e64 v10, s[10:11], v10, v4
	v_addc_co_u32_e64 v11, s[10:11], 0, v11, s[10:11]
	global_load_ubyte v22, v[10:11], off
	global_load_dword v20, v14, s[12:13]
	s_waitcnt vmcnt(1)
	v_cmp_ne_u16_e64 s[10:11], 0, v22
	s_and_saveexec_b64 s[42:43], s[10:11]
	s_cbranch_execz .LBB267_16
; %bb.11:                               ;   in Loop: Header=BB267_10 Depth=1
	v_cmp_ne_u16_e64 s[10:11], s52, v22
	v_bfrev_b32_e32 v21, 1
	s_and_saveexec_b64 s[44:45], s[10:11]
	s_cbranch_execz .LBB267_15
; %bb.12:                               ;   in Loop: Header=BB267_10 Depth=1
	s_waitcnt lgkmcnt(0)
	v_and_b32_e32 v12, 0xffff, v22
	v_and_b32_e32 v23, 0x7f, v12
	v_cmp_ne_u32_e64 s[10:11], s53, v23
	v_mov_b32_e32 v21, 0x7f800001
	s_and_saveexec_b64 s[46:47], s[10:11]
	s_cbranch_execz .LBB267_14
; %bb.13:                               ;   in Loop: Header=BB267_10 Depth=1
	v_and_b32_e32 v21, 7, v12
	v_ffbh_u32_e32 v24, v21
	v_min_u32_e32 v27, 32, v24
	v_subrev_u32_e32 v24, 28, v27
	v_lshlrev_b64 v[24:25], v24, v[12:13]
	v_lshrrev_b32_e32 v26, 3, v23
	v_sub_u32_e32 v12, 29, v27
	v_and_b32_e32 v24, 7, v24
	v_cmp_gt_u32_e64 s[10:11], 8, v23
	v_cndmask_b32_e64 v12, v26, v12, s[10:11]
	v_cndmask_b32_e64 v21, v21, v24, s[10:11]
	v_lshlrev_b32_e32 v22, 24, v22
	v_lshlrev_b32_e32 v21, 20, v21
	v_and_b32_e32 v22, 0x80000000, v22
	v_lshl_add_u32 v12, v12, 23, v18
	v_or3_b32 v21, v22, v12, v21
.LBB267_14:                             ;   in Loop: Header=BB267_10 Depth=1
	s_or_b64 exec, exec, s[46:47]
.LBB267_15:                             ;   in Loop: Header=BB267_10 Depth=1
	s_or_b64 exec, exec, s[44:45]
.LBB267_16:                             ;   in Loop: Header=BB267_10 Depth=1
	s_or_b64 exec, exec, s[42:43]
	global_load_ubyte v24, v[10:11], off offset:8
	v_mov_b32_e32 v22, 0
	v_mov_b32_e32 v23, 0
	s_waitcnt vmcnt(0)
	v_cmp_ne_u16_e64 s[10:11], 0, v24
	s_and_saveexec_b64 s[42:43], s[10:11]
	s_cbranch_execz .LBB267_22
; %bb.17:                               ;   in Loop: Header=BB267_10 Depth=1
	v_cmp_ne_u16_e64 s[10:11], s52, v24
	v_bfrev_b32_e32 v23, 1
	s_and_saveexec_b64 s[44:45], s[10:11]
	s_cbranch_execz .LBB267_21
; %bb.18:                               ;   in Loop: Header=BB267_10 Depth=1
	s_waitcnt lgkmcnt(0)
	v_and_b32_e32 v12, 0xffff, v24
	v_and_b32_e32 v25, 0x7f, v12
	v_cmp_ne_u32_e64 s[10:11], s53, v25
	v_mov_b32_e32 v23, 0x7f800001
	s_and_saveexec_b64 s[46:47], s[10:11]
	s_cbranch_execz .LBB267_20
; %bb.19:                               ;   in Loop: Header=BB267_10 Depth=1
	v_and_b32_e32 v23, 7, v12
	v_ffbh_u32_e32 v26, v23
	v_min_u32_e32 v29, 32, v26
	v_subrev_u32_e32 v26, 28, v29
	v_lshlrev_b64 v[26:27], v26, v[12:13]
	v_lshrrev_b32_e32 v28, 3, v25
	v_sub_u32_e32 v12, 29, v29
	v_and_b32_e32 v26, 7, v26
	v_cmp_gt_u32_e64 s[10:11], 8, v25
	v_cndmask_b32_e64 v12, v28, v12, s[10:11]
	v_cndmask_b32_e64 v23, v23, v26, s[10:11]
	v_lshlrev_b32_e32 v24, 24, v24
	v_lshlrev_b32_e32 v23, 20, v23
	v_and_b32_e32 v24, 0x80000000, v24
	v_lshl_add_u32 v12, v12, 23, v18
	v_or3_b32 v23, v24, v12, v23
.LBB267_20:                             ;   in Loop: Header=BB267_10 Depth=1
	s_or_b64 exec, exec, s[46:47]
.LBB267_21:                             ;   in Loop: Header=BB267_10 Depth=1
	s_or_b64 exec, exec, s[44:45]
.LBB267_22:                             ;   in Loop: Header=BB267_10 Depth=1
	s_or_b64 exec, exec, s[42:43]
	global_load_ubyte v24, v[10:11], off offset:128
	s_waitcnt vmcnt(0)
	v_cmp_ne_u16_e64 s[10:11], 0, v24
	s_and_saveexec_b64 s[42:43], s[10:11]
	s_cbranch_execz .LBB267_28
; %bb.23:                               ;   in Loop: Header=BB267_10 Depth=1
	v_cmp_ne_u16_e64 s[10:11], s52, v24
	v_bfrev_b32_e32 v22, 1
	s_and_saveexec_b64 s[44:45], s[10:11]
	s_cbranch_execz .LBB267_27
; %bb.24:                               ;   in Loop: Header=BB267_10 Depth=1
	s_waitcnt lgkmcnt(0)
	v_and_b32_e32 v12, 0xffff, v24
	v_and_b32_e32 v25, 0x7f, v12
	v_cmp_ne_u32_e64 s[10:11], s53, v25
	v_mov_b32_e32 v22, 0x7f800001
	s_and_saveexec_b64 s[46:47], s[10:11]
	s_cbranch_execz .LBB267_26
; %bb.25:                               ;   in Loop: Header=BB267_10 Depth=1
	v_and_b32_e32 v22, 7, v12
	v_ffbh_u32_e32 v26, v22
	v_min_u32_e32 v29, 32, v26
	v_subrev_u32_e32 v26, 28, v29
	v_lshlrev_b64 v[26:27], v26, v[12:13]
	v_lshrrev_b32_e32 v28, 3, v25
	v_sub_u32_e32 v12, 29, v29
	v_and_b32_e32 v26, 7, v26
	v_cmp_gt_u32_e64 s[10:11], 8, v25
	v_cndmask_b32_e64 v12, v28, v12, s[10:11]
	v_cndmask_b32_e64 v22, v22, v26, s[10:11]
	v_lshlrev_b32_e32 v24, 24, v24
	v_lshlrev_b32_e32 v22, 20, v22
	v_and_b32_e32 v24, 0x80000000, v24
	v_lshl_add_u32 v12, v12, 23, v18
	v_or3_b32 v22, v24, v12, v22
.LBB267_26:                             ;   in Loop: Header=BB267_10 Depth=1
	s_or_b64 exec, exec, s[46:47]
.LBB267_27:                             ;   in Loop: Header=BB267_10 Depth=1
	s_or_b64 exec, exec, s[44:45]
.LBB267_28:                             ;   in Loop: Header=BB267_10 Depth=1
	s_or_b64 exec, exec, s[42:43]
	global_load_ubyte v26, v[10:11], off offset:136
	v_mov_b32_e32 v24, 0
	v_mov_b32_e32 v25, 0
	s_waitcnt vmcnt(0)
	v_cmp_ne_u16_e64 s[10:11], 0, v26
	s_and_saveexec_b64 s[42:43], s[10:11]
	s_cbranch_execz .LBB267_34
; %bb.29:                               ;   in Loop: Header=BB267_10 Depth=1
	v_cmp_ne_u16_e64 s[10:11], s52, v26
	v_bfrev_b32_e32 v25, 1
	s_and_saveexec_b64 s[44:45], s[10:11]
	s_cbranch_execz .LBB267_33
; %bb.30:                               ;   in Loop: Header=BB267_10 Depth=1
	s_waitcnt lgkmcnt(0)
	v_and_b32_e32 v12, 0xffff, v26
	v_and_b32_e32 v27, 0x7f, v12
	v_cmp_ne_u32_e64 s[10:11], s53, v27
	v_mov_b32_e32 v25, 0x7f800001
	s_and_saveexec_b64 s[46:47], s[10:11]
	s_cbranch_execz .LBB267_32
; %bb.31:                               ;   in Loop: Header=BB267_10 Depth=1
	v_and_b32_e32 v25, 7, v12
	v_ffbh_u32_e32 v28, v25
	v_min_u32_e32 v31, 32, v28
	v_subrev_u32_e32 v28, 28, v31
	v_lshlrev_b64 v[28:29], v28, v[12:13]
	v_lshrrev_b32_e32 v30, 3, v27
	v_sub_u32_e32 v12, 29, v31
	v_and_b32_e32 v28, 7, v28
	v_cmp_gt_u32_e64 s[10:11], 8, v27
	v_cndmask_b32_e64 v12, v30, v12, s[10:11]
	v_cndmask_b32_e64 v25, v25, v28, s[10:11]
	v_lshlrev_b32_e32 v26, 24, v26
	v_lshlrev_b32_e32 v25, 20, v25
	v_and_b32_e32 v26, 0x80000000, v26
	v_lshl_add_u32 v12, v12, 23, v18
	v_or3_b32 v25, v26, v12, v25
.LBB267_32:                             ;   in Loop: Header=BB267_10 Depth=1
	s_or_b64 exec, exec, s[46:47]
.LBB267_33:                             ;   in Loop: Header=BB267_10 Depth=1
	s_or_b64 exec, exec, s[44:45]
.LBB267_34:                             ;   in Loop: Header=BB267_10 Depth=1
	s_or_b64 exec, exec, s[42:43]
	global_load_ubyte v26, v[10:11], off offset:256
	s_waitcnt vmcnt(0)
	v_cmp_ne_u16_e64 s[10:11], 0, v26
	s_and_saveexec_b64 s[42:43], s[10:11]
	s_cbranch_execz .LBB267_40
; %bb.35:                               ;   in Loop: Header=BB267_10 Depth=1
	v_cmp_ne_u16_e64 s[10:11], s52, v26
	v_bfrev_b32_e32 v24, 1
	s_and_saveexec_b64 s[44:45], s[10:11]
	s_cbranch_execz .LBB267_39
; %bb.36:                               ;   in Loop: Header=BB267_10 Depth=1
	s_waitcnt lgkmcnt(0)
	v_and_b32_e32 v12, 0xffff, v26
	v_and_b32_e32 v27, 0x7f, v12
	v_cmp_ne_u32_e64 s[10:11], s53, v27
	v_mov_b32_e32 v24, 0x7f800001
	s_and_saveexec_b64 s[46:47], s[10:11]
	s_cbranch_execz .LBB267_38
; %bb.37:                               ;   in Loop: Header=BB267_10 Depth=1
	v_and_b32_e32 v24, 7, v12
	v_ffbh_u32_e32 v28, v24
	v_min_u32_e32 v31, 32, v28
	v_subrev_u32_e32 v28, 28, v31
	v_lshlrev_b64 v[28:29], v28, v[12:13]
	v_lshrrev_b32_e32 v30, 3, v27
	v_sub_u32_e32 v12, 29, v31
	v_and_b32_e32 v28, 7, v28
	v_cmp_gt_u32_e64 s[10:11], 8, v27
	v_cndmask_b32_e64 v12, v30, v12, s[10:11]
	v_cndmask_b32_e64 v24, v24, v28, s[10:11]
	v_lshlrev_b32_e32 v26, 24, v26
	v_lshlrev_b32_e32 v24, 20, v24
	v_and_b32_e32 v26, 0x80000000, v26
	v_lshl_add_u32 v12, v12, 23, v18
	v_or3_b32 v24, v26, v12, v24
.LBB267_38:                             ;   in Loop: Header=BB267_10 Depth=1
	s_or_b64 exec, exec, s[46:47]
.LBB267_39:                             ;   in Loop: Header=BB267_10 Depth=1
	s_or_b64 exec, exec, s[44:45]
.LBB267_40:                             ;   in Loop: Header=BB267_10 Depth=1
	s_or_b64 exec, exec, s[42:43]
	global_load_ubyte v28, v[10:11], off offset:264
	v_mov_b32_e32 v26, 0
	v_mov_b32_e32 v27, 0
	s_waitcnt vmcnt(0)
	v_cmp_ne_u16_e64 s[10:11], 0, v28
	s_and_saveexec_b64 s[42:43], s[10:11]
	s_cbranch_execz .LBB267_46
; %bb.41:                               ;   in Loop: Header=BB267_10 Depth=1
	v_cmp_ne_u16_e64 s[10:11], s52, v28
	v_bfrev_b32_e32 v27, 1
	s_and_saveexec_b64 s[44:45], s[10:11]
	s_cbranch_execz .LBB267_45
; %bb.42:                               ;   in Loop: Header=BB267_10 Depth=1
	s_waitcnt lgkmcnt(0)
	v_and_b32_e32 v12, 0xffff, v28
	v_and_b32_e32 v29, 0x7f, v12
	v_cmp_ne_u32_e64 s[10:11], s53, v29
	v_mov_b32_e32 v27, 0x7f800001
	s_and_saveexec_b64 s[46:47], s[10:11]
	s_cbranch_execz .LBB267_44
; %bb.43:                               ;   in Loop: Header=BB267_10 Depth=1
	v_and_b32_e32 v27, 7, v12
	v_ffbh_u32_e32 v30, v27
	v_min_u32_e32 v33, 32, v30
	v_subrev_u32_e32 v30, 28, v33
	v_lshlrev_b64 v[30:31], v30, v[12:13]
	v_lshrrev_b32_e32 v32, 3, v29
	v_sub_u32_e32 v12, 29, v33
	v_and_b32_e32 v30, 7, v30
	v_cmp_gt_u32_e64 s[10:11], 8, v29
	v_cndmask_b32_e64 v12, v32, v12, s[10:11]
	v_cndmask_b32_e64 v27, v27, v30, s[10:11]
	v_lshlrev_b32_e32 v28, 24, v28
	v_lshlrev_b32_e32 v27, 20, v27
	v_and_b32_e32 v28, 0x80000000, v28
	v_lshl_add_u32 v12, v12, 23, v18
	v_or3_b32 v27, v28, v12, v27
.LBB267_44:                             ;   in Loop: Header=BB267_10 Depth=1
	s_or_b64 exec, exec, s[46:47]
.LBB267_45:                             ;   in Loop: Header=BB267_10 Depth=1
	s_or_b64 exec, exec, s[44:45]
.LBB267_46:                             ;   in Loop: Header=BB267_10 Depth=1
	s_or_b64 exec, exec, s[42:43]
	global_load_ubyte v28, v[10:11], off offset:384
	s_waitcnt vmcnt(0)
	v_cmp_ne_u16_e64 s[10:11], 0, v28
	s_and_saveexec_b64 s[42:43], s[10:11]
	s_cbranch_execz .LBB267_52
; %bb.47:                               ;   in Loop: Header=BB267_10 Depth=1
	v_cmp_ne_u16_e64 s[10:11], s52, v28
	v_bfrev_b32_e32 v26, 1
	s_and_saveexec_b64 s[44:45], s[10:11]
	s_cbranch_execz .LBB267_51
; %bb.48:                               ;   in Loop: Header=BB267_10 Depth=1
	s_waitcnt lgkmcnt(0)
	v_and_b32_e32 v12, 0xffff, v28
	v_and_b32_e32 v29, 0x7f, v12
	v_cmp_ne_u32_e64 s[10:11], s53, v29
	v_mov_b32_e32 v26, 0x7f800001
	s_and_saveexec_b64 s[46:47], s[10:11]
	s_cbranch_execz .LBB267_50
; %bb.49:                               ;   in Loop: Header=BB267_10 Depth=1
	v_and_b32_e32 v26, 7, v12
	v_ffbh_u32_e32 v30, v26
	v_min_u32_e32 v33, 32, v30
	v_subrev_u32_e32 v30, 28, v33
	v_lshlrev_b64 v[30:31], v30, v[12:13]
	v_lshrrev_b32_e32 v32, 3, v29
	v_sub_u32_e32 v12, 29, v33
	v_and_b32_e32 v30, 7, v30
	v_cmp_gt_u32_e64 s[10:11], 8, v29
	v_cndmask_b32_e64 v12, v32, v12, s[10:11]
	v_cndmask_b32_e64 v26, v26, v30, s[10:11]
	v_lshlrev_b32_e32 v28, 24, v28
	v_lshlrev_b32_e32 v26, 20, v26
	v_and_b32_e32 v28, 0x80000000, v28
	v_lshl_add_u32 v12, v12, 23, v18
	v_or3_b32 v26, v28, v12, v26
.LBB267_50:                             ;   in Loop: Header=BB267_10 Depth=1
	s_or_b64 exec, exec, s[46:47]
.LBB267_51:                             ;   in Loop: Header=BB267_10 Depth=1
	s_or_b64 exec, exec, s[44:45]
.LBB267_52:                             ;   in Loop: Header=BB267_10 Depth=1
	s_or_b64 exec, exec, s[42:43]
	s_waitcnt lgkmcnt(0)
	global_load_ubyte v12, v[10:11], off offset:392
	v_mov_b32_e32 v11, 0
	s_waitcnt vmcnt(0)
	v_cmp_ne_u16_e64 s[10:11], 0, v12
	s_and_saveexec_b64 s[42:43], s[10:11]
	s_cbranch_execz .LBB267_58
; %bb.53:                               ;   in Loop: Header=BB267_10 Depth=1
	v_cmp_ne_u16_e64 s[10:11], s52, v12
	v_bfrev_b32_e32 v11, 1
	s_and_saveexec_b64 s[44:45], s[10:11]
	s_cbranch_execz .LBB267_57
; %bb.54:                               ;   in Loop: Header=BB267_10 Depth=1
	v_and_b32_e32 v10, 0xffff, v12
	v_and_b32_e32 v28, 0x7f, v10
	v_cmp_ne_u32_e64 s[10:11], s53, v28
	v_mov_b32_e32 v11, 0x7f800001
	s_and_saveexec_b64 s[46:47], s[10:11]
	s_cbranch_execz .LBB267_56
; %bb.55:                               ;   in Loop: Header=BB267_10 Depth=1
	v_and_b32_e32 v29, 7, v10
	v_ffbh_u32_e32 v11, v29
	v_min_u32_e32 v31, 32, v11
	v_subrev_u32_e32 v11, 28, v31
	v_lshlrev_b64 v[10:11], v11, v[10:11]
	v_lshrrev_b32_e32 v30, 3, v28
	v_sub_u32_e32 v11, 29, v31
	v_and_b32_e32 v10, 7, v10
	v_cmp_gt_u32_e64 s[10:11], 8, v28
	v_cndmask_b32_e64 v11, v30, v11, s[10:11]
	v_cndmask_b32_e64 v10, v29, v10, s[10:11]
	v_lshlrev_b32_e32 v12, 24, v12
	v_lshlrev_b32_e32 v10, 20, v10
	v_and_b32_e32 v12, 0x80000000, v12
	v_lshl_add_u32 v11, v11, 23, v18
	v_or3_b32 v11, v12, v11, v10
.LBB267_56:                             ;   in Loop: Header=BB267_10 Depth=1
	s_or_b64 exec, exec, s[46:47]
.LBB267_57:                             ;   in Loop: Header=BB267_10 Depth=1
	s_or_b64 exec, exec, s[44:45]
.LBB267_58:                             ;   in Loop: Header=BB267_10 Depth=1
	s_or_b64 exec, exec, s[42:43]
	v_fma_mixlo_f16 v12, v20, v21, 0
	ds_read_u16 v10, v15
	v_and_b32_e32 v12, 0xffff, v12
	v_fma_mixlo_f16 v23, v20, v23, 0
	s_waitcnt lgkmcnt(0)
	;;#ASMSTART
	v_cvt_f32_f16 v10, v10;
	;;#ASMEND
	;;#ASMSTART
	v_cvt_f32_f16 v12, v12;
	;;#ASMEND
	ds_read_u16 v21, v15 offset:2
	v_and_b32_e32 v23, 0xffff, v23
	s_waitcnt lgkmcnt(0)
	;;#ASMSTART
	v_cvt_f32_f16 v21, v21;
	;;#ASMEND
	;;#ASMSTART
	v_cvt_f32_f16 v23, v23;
	;;#ASMEND
	v_fma_mixlo_f16 v22, v20, v22, 0
	v_fma_mixlo_f16 v25, v20, v25, 0
	;; [unrolled: 1-line block ×6, first 2 shown]
	v_mul_f32_e32 v20, v21, v23
	ds_read_u16 v28, v15 offset:4
	v_and_b32_e32 v22, 0xffff, v22
	v_fmac_f32_e32 v20, v10, v12
	s_waitcnt lgkmcnt(0)
	;;#ASMSTART
	v_cvt_f32_f16 v28, v28;
	;;#ASMEND
	;;#ASMSTART
	v_cvt_f32_f16 v22, v22;
	;;#ASMEND
	ds_read_u16 v29, v15 offset:6
	v_and_b32_e32 v25, 0xffff, v25
	v_fmac_f32_e32 v20, v28, v22
	s_waitcnt lgkmcnt(0)
	;;#ASMSTART
	v_cvt_f32_f16 v29, v29;
	;;#ASMEND
	;;#ASMSTART
	v_cvt_f32_f16 v25, v25;
	;;#ASMEND
	;; [unrolled: 10-line block ×4, first 2 shown]
	ds_read_u16 v32, v15 offset:12
	s_waitcnt lgkmcnt(0)
	;;#ASMSTART
	v_cvt_f32_f16 v10, v32;
	;;#ASMEND
	v_and_b32_e32 v12, 0xffff, v26
	v_fmac_f32_e32 v20, v31, v27
	;;#ASMSTART
	v_cvt_f32_f16 v12, v12;
	;;#ASMEND
	ds_read_u16 v21, v15 offset:14
	v_fmac_f32_e32 v20, v10, v12
	s_waitcnt lgkmcnt(0)
	;;#ASMSTART
	v_cvt_f32_f16 v10, v21;
	;;#ASMEND
	v_and_b32_e32 v11, 0xffff, v11
	;;#ASMSTART
	v_cvt_f32_f16 v11, v11;
	;;#ASMEND
	v_fmac_f32_e32 v20, v10, v11
	v_and_b32_e32 v10, 64, v5
	v_add_u32_e32 v10, 64, v10
	v_xor_b32_e32 v11, 4, v5
	v_cmp_lt_i32_e64 s[10:11], v11, v10
	v_cndmask_b32_e64 v11, v5, v11, s[10:11]
	v_lshlrev_b32_e32 v11, 2, v11
	ds_bpermute_b32 v11, v11, v20
	v_xor_b32_e32 v12, 2, v5
	v_cmp_lt_i32_e64 s[10:11], v12, v10
	v_cndmask_b32_e64 v12, v5, v12, s[10:11]
	v_lshlrev_b32_e32 v12, 2, v12
	s_waitcnt lgkmcnt(0)
	v_add_f32_e32 v11, v20, v11
	ds_bpermute_b32 v12, v12, v11
	s_waitcnt lgkmcnt(0)
	v_add_f32_e32 v11, v11, v12
	v_xor_b32_e32 v12, 1, v5
	v_cmp_lt_i32_e64 s[10:11], v12, v10
	v_cndmask_b32_e64 v12, v5, v12, s[10:11]
	v_lshlrev_b32_e32 v12, 2, v12
	ds_bpermute_b32 v12, v12, v11
	s_and_saveexec_b64 s[42:43], vcc
	s_cbranch_execz .LBB267_9
; %bb.59:                               ;   in Loop: Header=BB267_10 Depth=1
	v_add_u32_e32 v20, s51, v16
	v_cvt_f32_i32_e32 v20, v20
	s_waitcnt lgkmcnt(0)
	v_add_f32_e32 v11, v11, v12
	v_cmp_gt_i32_e64 s[10:11], s29, v16
	v_max_f32_e32 v12, v13, v13
	v_mul_f32_e32 v20, s7, v20
	v_cndmask_b32_e64 v20, 0, v20, s[4:5]
	v_fmac_f32_e32 v20, s39, v11
	v_cndmask_b32_e64 v11, 0, v20, s[10:11]
	ds_write_b32 v17, v11
	v_max_f32_e32 v11, v12, v20
	v_cndmask_b32_e64 v13, v13, v11, s[10:11]
	s_branch .LBB267_9
.LBB267_60:
	s_or_b64 exec, exec, s[18:19]
.LBB267_61:
	s_or_b64 exec, exec, s[40:41]
	v_xor_b32_e32 v4, 32, v5
	v_cmp_lt_i32_e32 vcc, v4, v10
	v_cndmask_b32_e32 v4, v5, v4, vcc
	v_lshlrev_b32_e32 v7, 2, v4
	ds_bpermute_b32 v4, v7, v13
	v_xor_b32_e32 v8, 16, v5
	v_max_f32_e32 v6, v13, v13
	v_cmp_lt_i32_e32 vcc, v8, v10
	v_and_b32_e32 v11, 63, v0
	s_waitcnt lgkmcnt(0)
	v_max_f32_e32 v4, v4, v4
	v_max_f32_e32 v4, v6, v4
	v_cndmask_b32_e32 v6, v5, v8, vcc
	v_lshlrev_b32_e32 v9, 2, v6
	ds_bpermute_b32 v6, v9, v4
	v_xor_b32_e32 v8, 8, v5
	v_cmp_lt_i32_e32 vcc, v8, v10
	s_waitcnt lgkmcnt(0)
	v_max_f32_e32 v6, v6, v6
	v_max_f32_e32 v6, v4, v6
	v_cndmask_b32_e32 v4, v5, v8, vcc
	v_lshlrev_b32_e32 v12, 2, v4
	ds_bpermute_b32 v8, v12, v6
	v_cmp_eq_u32_e32 vcc, 0, v11
	v_lshlrev_b32_e32 v4, 2, v1
	s_and_saveexec_b64 s[4:5], vcc
	s_cbranch_execz .LBB267_63
; %bb.62:
	s_waitcnt lgkmcnt(0)
	v_max_f32_e32 v8, v8, v8
	v_max_f32_e32 v6, v6, v6
	;; [unrolled: 1-line block ×3, first 2 shown]
	ds_write_b32 v4, v6 offset:128
.LBB267_63:
	s_or_b64 exec, exec, s[4:5]
	v_cmp_gt_u32_e64 s[4:5], 2, v11
	v_mov_b32_e32 v6, 0xff7fffff
	s_waitcnt lgkmcnt(0)
	v_lshlrev_b32_e32 v8, 2, v11
	s_barrier
	s_and_saveexec_b64 s[10:11], s[4:5]
	s_cbranch_execz .LBB267_65
; %bb.64:
	ds_read_b32 v6, v8 offset:128
.LBB267_65:
	s_or_b64 exec, exec, s[10:11]
	v_xor_b32_e32 v13, 1, v5
	v_cmp_lt_i32_e64 s[10:11], v13, v10
	v_cndmask_b32_e64 v13, v5, v13, s[10:11]
	v_lshlrev_b32_e32 v13, 2, v13
	s_waitcnt lgkmcnt(0)
	ds_bpermute_b32 v14, v13, v6
	v_max_f32_e32 v6, v6, v6
	s_sub_i32 s7, s25, s16
	s_lshl_b32 s7, s7, 3
	s_add_i32 s7, s7, s48
	s_waitcnt lgkmcnt(0)
	v_max_f32_e32 v14, v14, v14
	v_max_f32_e32 v6, v6, v14
	v_lshlrev_b32_e32 v14, 2, v5
	v_and_b32_e32 v14, 0xffffff00, v14
	ds_bpermute_b32 v6, v14, v6
	s_min_i32 s40, s7, s29
	s_sub_i32 s7, s40, s48
	v_cmp_gt_i32_e64 s[10:11], s7, v0
	v_mov_b32_e32 v15, 0
	s_and_saveexec_b64 s[18:19], s[10:11]
	s_cbranch_execz .LBB267_69
; %bb.66:
	v_mov_b32_e32 v15, 0x90
	v_lshl_add_u32 v16, v0, 2, v15
	s_mov_b64 s[38:39], 0
	v_mov_b32_e32 v15, 0
	v_mov_b32_e32 v17, v0
.LBB267_67:                             ; =>This Inner Loop Header: Depth=1
	ds_read_b32 v18, v16
	v_add_u32_e32 v17, 0x80, v17
	v_cmp_le_i32_e64 s[12:13], s7, v17
	s_or_b64 s[38:39], s[12:13], s[38:39]
	s_waitcnt lgkmcnt(0)
	v_sub_f32_e32 v18, v18, v6
	v_mul_f32_e32 v18, 0x3fb8aa3b, v18
	v_exp_f32_e32 v18, v18
	ds_write_b32 v16, v18
	v_add_f32_e32 v15, v15, v18
	v_add_u32_e32 v16, 0x200, v16
	s_andn2_b64 exec, exec, s[38:39]
	s_cbranch_execnz .LBB267_67
; %bb.68:
	s_or_b64 exec, exec, s[38:39]
.LBB267_69:
	s_or_b64 exec, exec, s[18:19]
	ds_bpermute_b32 v7, v7, v15
	s_waitcnt lgkmcnt(0)
	v_add_f32_e32 v7, v15, v7
	ds_bpermute_b32 v9, v9, v7
	s_waitcnt lgkmcnt(0)
	v_add_f32_e32 v7, v7, v9
	ds_bpermute_b32 v9, v12, v7
	v_xor_b32_e32 v12, 4, v5
	v_cmp_lt_i32_e64 s[12:13], v12, v10
	v_cndmask_b32_e64 v12, v5, v12, s[12:13]
	v_lshlrev_b32_e32 v12, 2, v12
	s_waitcnt lgkmcnt(0)
	v_add_f32_e32 v7, v7, v9
	ds_bpermute_b32 v9, v12, v7
	v_xor_b32_e32 v12, 2, v5
	v_cmp_lt_i32_e64 s[12:13], v12, v10
	v_cndmask_b32_e64 v5, v5, v12, s[12:13]
	v_lshlrev_b32_e32 v5, 2, v5
	s_waitcnt lgkmcnt(0)
	v_add_f32_e32 v7, v7, v9
	ds_bpermute_b32 v5, v5, v7
	s_waitcnt lgkmcnt(0)
	v_add_f32_e32 v5, v7, v5
	ds_bpermute_b32 v7, v13, v5
	s_waitcnt lgkmcnt(0)
	v_add_f32_e32 v5, v5, v7
	s_and_saveexec_b64 s[12:13], vcc
	s_cbranch_execz .LBB267_71
; %bb.70:
	ds_write_b32 v4, v5 offset:136
.LBB267_71:
	s_or_b64 exec, exec, s[12:13]
	s_waitcnt lgkmcnt(0)
	s_barrier
	s_and_saveexec_b64 s[12:13], s[4:5]
	s_cbranch_execz .LBB267_73
; %bb.72:
	ds_read_b32 v5, v8 offset:136
.LBB267_73:
	s_or_b64 exec, exec, s[12:13]
	s_waitcnt lgkmcnt(0)
	ds_bpermute_b32 v4, v13, v5
	s_waitcnt lgkmcnt(0)
	v_add_f32_e32 v4, v5, v4
	ds_bpermute_b32 v7, v14, v4
	s_and_saveexec_b64 s[4:5], s[10:11]
	s_cbranch_execz .LBB267_86
; %bb.74:
	s_waitcnt lgkmcnt(0)
	v_add_f32_e32 v4, 0x358637bd, v7
	v_div_scale_f32 v5, s[10:11], v4, v4, 1.0
	v_rcp_f32_e32 v8, v5
	v_div_scale_f32 v9, vcc, 1.0, v4, 1.0
	s_movk_i32 s10, 0x7f
	v_fma_f32 v10, -v5, v8, 1.0
	v_fmac_f32_e32 v8, v10, v8
	v_mul_f32_e32 v10, v9, v8
	v_fma_f32 v12, -v5, v10, v9
	v_fmac_f32_e32 v10, v12, v8
	v_fma_f32 v5, -v5, v10, v9
	v_div_fmas_f32 v5, v5, v8, v10
	v_div_fixup_f32 v4, v5, v4, 1.0
	v_xad_u32 v5, v0, -1, s40
	v_subrev_u32_e32 v8, s48, v5
	v_cmp_lt_u32_e32 vcc, s10, v8
	s_mov_b64 s[12:13], -1
	v_mov_b32_e32 v5, v0
	s_and_saveexec_b64 s[10:11], vcc
	s_cbranch_execz .LBB267_83
; %bb.75:
	v_lshrrev_b32_e32 v8, 7, v8
	v_add_u32_e32 v10, -1, v8
	v_lshrrev_b32_e32 v9, 1, v10
	v_mov_b32_e32 v5, v4
	v_add_u32_e32 v9, 1, v9
	v_cmp_lt_u32_e32 vcc, 13, v10
	v_mov_b32_e32 v13, 0
	s_and_saveexec_b64 s[12:13], vcc
	s_cbranch_execz .LBB267_79
; %bb.76:
	v_mov_b32_e32 v12, 0x90
	v_and_b32_e32 v10, -8, v9
	v_lshl_add_u32 v12, v0, 2, v12
	s_mov_b32 s38, 0
	s_mov_b64 s[18:19], 0
.LBB267_77:                             ; =>This Inner Loop Header: Depth=1
	ds_read2st64_b32 v[14:15], v12 offset1:2
	ds_read2st64_b32 v[16:17], v12 offset0:4 offset1:6
	ds_read2st64_b32 v[18:19], v12 offset0:8 offset1:10
	;; [unrolled: 1-line block ×3, first 2 shown]
	v_add_u32_e32 v10, -8, v10
	s_waitcnt lgkmcnt(3)
	v_pk_mul_f32 v[14:15], v[4:5], v[14:15]
	s_waitcnt lgkmcnt(2)
	v_pk_mul_f32 v[16:17], v[4:5], v[16:17]
	ds_write2st64_b32 v12, v14, v15 offset1:2
	ds_write2st64_b32 v12, v16, v17 offset0:4 offset1:6
	ds_read2st64_b32 v[16:17], v12 offset0:16 offset1:18
	s_waitcnt lgkmcnt(4)
	v_pk_mul_f32 v[14:15], v[4:5], v[18:19]
	ds_write2st64_b32 v12, v14, v15 offset0:8 offset1:10
	s_waitcnt lgkmcnt(4)
	v_pk_mul_f32 v[14:15], v[4:5], v[20:21]
	ds_write2st64_b32 v12, v14, v15 offset0:12 offset1:14
	ds_read2st64_b32 v[14:15], v12 offset0:20 offset1:22
	s_waitcnt lgkmcnt(3)
	v_pk_mul_f32 v[16:17], v[4:5], v[16:17]
	ds_read2st64_b32 v[18:19], v12 offset0:24 offset1:26
	ds_write2st64_b32 v12, v16, v17 offset0:16 offset1:18
	ds_read2st64_b32 v[16:17], v12 offset0:28 offset1:30
	s_waitcnt lgkmcnt(3)
	v_pk_mul_f32 v[14:15], v[4:5], v[14:15]
	ds_write2st64_b32 v12, v14, v15 offset0:20 offset1:22
	s_waitcnt lgkmcnt(3)
	v_pk_mul_f32 v[14:15], v[4:5], v[18:19]
	ds_write2st64_b32 v12, v14, v15 offset0:24 offset1:26
	s_waitcnt lgkmcnt(2)
	v_pk_mul_f32 v[14:15], v[4:5], v[16:17]
	s_add_i32 s38, s38, 16
	v_cmp_eq_u32_e32 vcc, 0, v10
	ds_write2st64_b32 v12, v14, v15 offset0:28 offset1:30
	v_add_u32_e32 v12, 0x2000, v12
	s_or_b64 s[18:19], vcc, s[18:19]
	v_mov_b32_e32 v13, s38
	s_andn2_b64 exec, exec, s[18:19]
	s_cbranch_execnz .LBB267_77
; %bb.78:
	s_or_b64 exec, exec, s[18:19]
.LBB267_79:
	s_or_b64 exec, exec, s[12:13]
	v_and_b32_e32 v9, 7, v9
	v_cmp_ne_u32_e32 vcc, 0, v9
	s_and_saveexec_b64 s[12:13], vcc
	s_cbranch_execz .LBB267_82
; %bb.80:
	v_lshlrev_b32_e32 v10, 9, v13
	v_lshlrev_b32_e32 v12, 2, v0
	s_movk_i32 s18, 0x90
	v_add3_u32 v10, v10, v12, s18
	s_mov_b64 s[18:19], 0
.LBB267_81:                             ; =>This Inner Loop Header: Depth=1
	ds_read2st64_b32 v[12:13], v10 offset1:2
	v_add_u32_e32 v9, -1, v9
	v_cmp_eq_u32_e32 vcc, 0, v9
	s_or_b64 s[18:19], vcc, s[18:19]
	s_waitcnt lgkmcnt(0)
	v_pk_mul_f32 v[12:13], v[4:5], v[12:13]
	ds_write2st64_b32 v10, v12, v13 offset1:2
	v_add_u32_e32 v10, 0x400, v10
	s_andn2_b64 exec, exec, s[18:19]
	s_cbranch_execnz .LBB267_81
.LBB267_82:
	s_or_b64 exec, exec, s[12:13]
	v_add_u32_e32 v8, 1, v8
	v_and_b32_e32 v9, 0x3fffffe, v8
	v_cmp_ne_u32_e32 vcc, v8, v9
	v_lshl_add_u32 v5, v9, 7, v0
	s_orn2_b64 s[12:13], vcc, exec
.LBB267_83:
	s_or_b64 exec, exec, s[10:11]
	s_and_b64 exec, exec, s[12:13]
	s_cbranch_execz .LBB267_86
; %bb.84:
	v_mov_b32_e32 v8, 0x90
	v_lshl_add_u32 v8, v5, 2, v8
	s_mov_b64 s[10:11], 0
.LBB267_85:                             ; =>This Inner Loop Header: Depth=1
	ds_read_b32 v9, v8
	v_add_u32_e32 v5, 0x80, v5
	v_cmp_le_i32_e32 vcc, s7, v5
	s_or_b64 s[10:11], vcc, s[10:11]
	s_waitcnt lgkmcnt(0)
	v_mul_f32_e32 v9, v4, v9
	ds_write_b32 v8, v9
	v_add_u32_e32 v8, 0x200, v8
	s_andn2_b64 exec, exec, s[10:11]
	s_cbranch_execnz .LBB267_85
.LBB267_86:
	s_or_b64 exec, exec, s[4:5]
	s_mul_i32 s4, s33, s28
	v_cmp_eq_u32_e32 vcc, 0, v0
	s_mul_i32 s4, s4, s9
	s_waitcnt lgkmcnt(0)
	s_barrier
	s_and_saveexec_b64 s[10:11], vcc
	s_cbranch_execz .LBB267_88
; %bb.87:
	s_ashr_i32 s5, s4, 31
	s_lshl_b64 s[12:13], s[4:5], 2
	s_add_u32 s5, s22, s12
	s_mul_i32 s6, s33, s6
	s_addc_u32 s9, s23, s13
	s_ashr_i32 s7, s6, 31
	s_lshl_b64 s[6:7], s[6:7], 2
	s_add_u32 s5, s5, s6
	s_addc_u32 s19, s9, s7
	s_ashr_i32 s9, s8, 31
	s_lshl_b64 s[8:9], s[8:9], 2
	s_add_u32 s18, s5, s8
	s_addc_u32 s19, s19, s9
	s_add_u32 s5, s20, s12
	s_addc_u32 s12, s21, s13
	;; [unrolled: 2-line block ×3, first 2 shown]
	s_add_u32 s6, s5, s8
	v_mov_b32_e32 v4, 0
	s_addc_u32 s7, s7, s9
	global_store_dword v4, v6, s[18:19]
	global_store_dword v4, v7, s[6:7]
.LBB267_88:
	s_or_b64 exec, exec, s[10:11]
	v_mov_b32_e32 v18, 0
	s_and_saveexec_b64 s[6:7], s[2:3]
	s_cbranch_execz .LBB267_142
; %bb.89:
	s_ashr_i32 s2, s50, 31
	s_add_u32 s3, s36, s50
	s_addc_u32 s2, s37, s2
	v_lshlrev_b32_e32 v4, 3, v11
	s_add_i32 s49, s49, -1
	s_lshl_b64 s[8:9], s[34:35], 2
	v_mov_b32_e32 v7, s2
	v_add_co_u32_e32 v6, vcc, s3, v4
	s_add_u32 s8, s30, s8
	v_addc_co_u32_e32 v7, vcc, 0, v7, vcc
	v_lshlrev_b64 v[8:9], 2, v[2:3]
	s_addc_u32 s9, s31, s9
	s_mov_b32 s2, -1
	v_mov_b32_e32 v4, 0x90
	v_mov_b32_e32 v3, s9
	v_add_co_u32_e32 v8, vcc, s8, v8
	s_mov_b32 s5, s17
	v_mov_b32_e32 v5, 0
	s_mov_b32 s3, 0xffffff
	s_mov_b32 s17, s29
	v_lshl_add_u32 v19, v1, 3, s48
	v_lshl_add_u32 v1, v1, 5, v4
	v_addc_co_u32_e32 v9, vcc, v3, v9, vcc
	s_mov_b64 s[8:9], 0
	s_movk_i32 s20, 0x80
	s_movk_i32 s21, 0x7f
	s_mov_b32 s22, 0x8000
	s_movk_i32 s23, 0x380
	s_mov_b32 s28, 0x3020706
	s_mov_b32 s30, 0x1000504
	;; [unrolled: 1-line block ×3, first 2 shown]
	v_mov_b32_e32 v3, 0x2000
	v_mov_b32_e32 v18, 0
	s_branch .LBB267_91
.LBB267_90:                             ;   in Loop: Header=BB267_91 Depth=1
	s_or_b64 exec, exec, s[10:11]
	v_and_b32_e32 v14, 0xffff, v20
	v_and_b32_e32 v15, 0xffff, v22
	v_lshl_or_b32 v14, v21, 16, v14
	v_lshl_or_b32 v15, v23, 16, v15
	v_and_b32_e32 v16, 0xffff, v24
	v_and_b32_e32 v17, 0xffff, v26
	;;#ASMSTART
	v_pk_mul_f16 v12, v14, v12;

	;;#ASMEND
	;;#ASMSTART
	v_pk_mul_f16 v4, v15, v4;

	;;#ASMEND
	v_lshl_or_b32 v16, v25, 16, v16
	v_lshl_or_b32 v17, v27, 16, v17
	;;#ASMSTART
	v_pk_mul_f16 v13, v16, v13;

	;;#ASMEND
	;;#ASMSTART
	v_pk_mul_f16 v10, v17, v10;

	;;#ASMEND
	;;#ASMSTART
	v_pk_add_f16 v4, v12, v4;

	;;#ASMEND
	;;#ASMSTART
	v_pk_add_f16 v4, v4, v13;
	;; [unrolled: 4-line block ×3, first 2 shown]

	;;#ASMEND
	v_lshrrev_b32_e32 v10, 16, v4
	v_and_b32_e32 v4, 0xffff, v4
	v_add_u32_e32 v2, 2, v2
	;;#ASMSTART
	v_cvt_f32_f16 v4, v4;
	;;#ASMEND
	v_cmp_le_i32_e32 vcc, s25, v2
	;;#ASMSTART
	v_cvt_f32_f16 v10, v10;
	;;#ASMEND
	v_add_f32_e32 v4, v4, v10
	s_or_b64 s[8:9], vcc, s[8:9]
	v_add_co_u32_e32 v8, vcc, 8, v8
	v_add_f32_e32 v18, v18, v4
	v_add_u32_e32 v19, 16, v19
	v_add_u32_e32 v1, 64, v1
	v_addc_co_u32_e32 v9, vcc, 0, v9, vcc
	s_andn2_b64 exec, exec, s[8:9]
	s_cbranch_execz .LBB267_141
.LBB267_91:                             ; =>This Inner Loop Header: Depth=1
	global_load_dword v4, v[8:9], off
	ds_read2_b64 v[12:15], v1 offset1:1
	ds_read2_b64 v[24:27], v1 offset0:2 offset1:3
	s_waitcnt lgkmcnt(1)
	;;#ASMSTART
	v_cvt_f16_f32 v20, v12;

	;;#ASMEND
	;;#ASMSTART
	v_cvt_f16_f32 v21, v13;

	;;#ASMEND
	;; [unrolled: 4-line block ×4, first 2 shown]
	s_waitcnt lgkmcnt(0)
	;;#ASMSTART
	v_cvt_f16_f32 v24, v24;

	;;#ASMEND
	;;#ASMSTART
	v_cvt_f16_f32 v25, v25;

	;;#ASMEND
	;; [unrolled: 4-line block ×4, first 2 shown]
	s_waitcnt vmcnt(0)
	v_mad_i64_i32 v[12:13], s[10:11], v4, s5, v[6:7]
	global_load_dwordx2 v[14:15], v[12:13], off
	global_load_dword v10, v5, s[14:15]
	v_mov_b32_e32 v12, 0
	s_waitcnt vmcnt(1)
	v_cmp_ne_u16_sdwa s[12:13], v14, v5 src0_sel:BYTE_0 src1_sel:DWORD
	s_and_saveexec_b64 s[10:11], s[12:13]
	s_cbranch_execz .LBB267_97
; %bb.92:                               ;   in Loop: Header=BB267_91 Depth=1
	v_cmp_ne_u16_sdwa s[18:19], v14, s20 src0_sel:BYTE_0 src1_sel:DWORD
	v_bfrev_b32_e32 v12, 1
	s_and_saveexec_b64 s[12:13], s[18:19]
	s_cbranch_execz .LBB267_96
; %bb.93:                               ;   in Loop: Header=BB267_91 Depth=1
	v_and_b32_e32 v4, 0x7f, v14
	v_cmp_ne_u32_e32 vcc, s21, v4
	v_mov_b32_e32 v12, 0x7fc02000
	s_and_saveexec_b64 s[18:19], vcc
	s_cbranch_execz .LBB267_95
; %bb.94:                               ;   in Loop: Header=BB267_91 Depth=1
	v_and_b32_e32 v12, 7, v14
	v_ffbh_u32_e32 v12, v12
	v_min_u32_e32 v12, 32, v12
	v_subrev_u32_e32 v13, 28, v12
	v_cmp_gt_u32_e32 vcc, 8, v4
	v_lshrrev_b32_e32 v16, 3, v4
	v_sub_u32_e32 v17, 29, v12
	v_cndmask_b32_e32 v4, 0, v13, vcc
	v_lshlrev_b64 v[12:13], v4, v[14:15]
	v_cndmask_b32_e32 v4, v16, v17, vcc
	v_lshlrev_b32_e32 v13, 8, v14
	v_lshl_add_u32 v4, v4, 10, v3
	v_lshlrev_b32_e32 v12, 7, v12
	v_and_or_b32 v4, v13, s22, v4
	v_and_or_b32 v4, v12, s23, v4
	v_cvt_f32_f16_e32 v12, v4
.LBB267_95:                             ;   in Loop: Header=BB267_91 Depth=1
	s_or_b64 exec, exec, s[18:19]
.LBB267_96:                             ;   in Loop: Header=BB267_91 Depth=1
	s_or_b64 exec, exec, s[12:13]
.LBB267_97:                             ;   in Loop: Header=BB267_91 Depth=1
	s_or_b64 exec, exec, s[10:11]
	v_lshrrev_b16_e32 v4, 8, v14
	v_cmp_ne_u16_e32 vcc, 0, v4
	v_mov_b32_e32 v13, 0
	v_mov_b32_e32 v16, 0
	s_and_saveexec_b64 s[10:11], vcc
	s_cbranch_execz .LBB267_103
; %bb.98:                               ;   in Loop: Header=BB267_91 Depth=1
	v_cmp_ne_u16_e32 vcc, s20, v4
	v_bfrev_b32_e32 v16, 1
	s_and_saveexec_b64 s[12:13], vcc
	s_cbranch_execz .LBB267_102
; %bb.99:                               ;   in Loop: Header=BB267_91 Depth=1
	v_and_b32_e32 v17, 0x7f, v4
	v_cmp_ne_u32_e32 vcc, s21, v17
	v_mov_b32_e32 v16, 0x7fc02000
	s_and_saveexec_b64 s[18:19], vcc
	s_cbranch_execz .LBB267_101
; %bb.100:                              ;   in Loop: Header=BB267_91 Depth=1
	v_and_b32_e32 v16, 7, v4
	v_ffbh_u32_e32 v28, v16
	v_min_u32_e32 v31, 32, v28
	v_subrev_u32_e32 v28, 28, v31
	v_lshlrev_b64 v[28:29], v28, v[4:5]
	v_lshrrev_b32_e32 v30, 3, v17
	v_sub_u32_e32 v29, 29, v31
	v_cmp_gt_u32_e32 vcc, 8, v17
	v_cndmask_b32_e32 v17, v30, v29, vcc
	v_and_b32_e32 v28, 7, v28
	v_lshlrev_b32_e32 v4, 8, v4
	v_lshl_add_u32 v17, v17, 10, v3
	v_cndmask_b32_e32 v16, v16, v28, vcc
	v_and_or_b32 v4, v4, s22, v17
	v_lshl_or_b32 v4, v16, 7, v4
	v_cvt_f32_f16_e32 v16, v4
.LBB267_101:                            ;   in Loop: Header=BB267_91 Depth=1
	s_or_b64 exec, exec, s[18:19]
.LBB267_102:                            ;   in Loop: Header=BB267_91 Depth=1
	s_or_b64 exec, exec, s[12:13]
.LBB267_103:                            ;   in Loop: Header=BB267_91 Depth=1
	s_or_b64 exec, exec, s[10:11]
	v_lshrrev_b32_e32 v4, 16, v14
	v_cmp_ne_u16_sdwa s[12:13], v4, v5 src0_sel:BYTE_0 src1_sel:DWORD
	s_and_saveexec_b64 s[10:11], s[12:13]
	s_cbranch_execz .LBB267_109
; %bb.104:                              ;   in Loop: Header=BB267_91 Depth=1
	v_cmp_ne_u16_sdwa s[18:19], v4, s20 src0_sel:BYTE_0 src1_sel:DWORD
	v_bfrev_b32_e32 v13, 1
	s_and_saveexec_b64 s[12:13], s[18:19]
	s_cbranch_execz .LBB267_108
; %bb.105:                              ;   in Loop: Header=BB267_91 Depth=1
	v_bfe_u32 v17, v14, 16, 7
	v_cmp_ne_u32_e32 vcc, s21, v17
	v_mov_b32_e32 v13, 0x7fc02000
	s_and_saveexec_b64 s[18:19], vcc
	s_cbranch_execz .LBB267_107
; %bb.106:                              ;   in Loop: Header=BB267_91 Depth=1
	v_and_b32_e32 v13, 7, v4
	v_ffbh_u32_e32 v28, v13
	v_min_u32_e32 v31, 32, v28
	v_subrev_u32_e32 v28, 28, v31
	v_lshlrev_b64 v[28:29], v28, v[4:5]
	v_lshrrev_b32_e32 v30, 3, v17
	v_sub_u32_e32 v29, 29, v31
	v_cmp_gt_u32_e32 vcc, 8, v17
	v_cndmask_b32_e32 v17, v30, v29, vcc
	v_and_b32_e32 v28, 7, v28
	v_lshlrev_b32_e32 v4, 8, v4
	v_lshl_add_u32 v17, v17, 10, v3
	v_cndmask_b32_e32 v13, v13, v28, vcc
	v_and_or_b32 v4, v4, s22, v17
	v_lshl_or_b32 v4, v13, 7, v4
	v_cvt_f32_f16_e32 v13, v4
.LBB267_107:                            ;   in Loop: Header=BB267_91 Depth=1
	s_or_b64 exec, exec, s[18:19]
.LBB267_108:                            ;   in Loop: Header=BB267_91 Depth=1
	s_or_b64 exec, exec, s[12:13]
.LBB267_109:                            ;   in Loop: Header=BB267_91 Depth=1
	s_or_b64 exec, exec, s[10:11]
	v_cmp_lt_u32_e32 vcc, s3, v14
	v_mov_b32_e32 v28, 0
	v_mov_b32_e32 v17, 0
	s_and_saveexec_b64 s[10:11], vcc
	s_cbranch_execz .LBB267_115
; %bb.110:                              ;   in Loop: Header=BB267_91 Depth=1
	v_lshrrev_b32_e32 v4, 24, v14
	v_cmp_ne_u32_e32 vcc, s20, v4
	v_bfrev_b32_e32 v17, 1
	s_and_saveexec_b64 s[12:13], vcc
	s_cbranch_execz .LBB267_114
; %bb.111:                              ;   in Loop: Header=BB267_91 Depth=1
	v_and_b32_e32 v29, 0x7f, v4
	v_cmp_ne_u32_e32 vcc, s21, v29
	v_mov_b32_e32 v17, 0x7fc02000
	s_and_saveexec_b64 s[18:19], vcc
	s_cbranch_execz .LBB267_113
; %bb.112:                              ;   in Loop: Header=BB267_91 Depth=1
	v_and_b32_e32 v17, 7, v4
	v_ffbh_u32_e32 v30, v17
	v_min_u32_e32 v33, 32, v30
	v_subrev_u32_e32 v30, 28, v33
	v_lshlrev_b64 v[30:31], v30, v[4:5]
	v_lshrrev_b32_e32 v32, 3, v29
	v_sub_u32_e32 v31, 29, v33
	v_cmp_gt_u32_e32 vcc, 8, v29
	v_cndmask_b32_e32 v29, v32, v31, vcc
	v_and_b32_e32 v30, 7, v30
	v_lshlrev_b32_e32 v4, 8, v4
	v_lshl_add_u32 v29, v29, 10, v3
	v_cndmask_b32_e32 v17, v17, v30, vcc
	v_and_or_b32 v4, v4, s22, v29
	v_lshl_or_b32 v4, v17, 7, v4
	v_cvt_f32_f16_e32 v17, v4
.LBB267_113:                            ;   in Loop: Header=BB267_91 Depth=1
	s_or_b64 exec, exec, s[18:19]
.LBB267_114:                            ;   in Loop: Header=BB267_91 Depth=1
	s_or_b64 exec, exec, s[12:13]
.LBB267_115:                            ;   in Loop: Header=BB267_91 Depth=1
	s_or_b64 exec, exec, s[10:11]
	v_mov_b32_e32 v4, v15
	v_cmp_ne_u16_sdwa s[12:13], v15, v5 src0_sel:BYTE_0 src1_sel:DWORD
	s_and_saveexec_b64 s[10:11], s[12:13]
	s_cbranch_execz .LBB267_121
; %bb.116:                              ;   in Loop: Header=BB267_91 Depth=1
	v_cmp_ne_u16_sdwa s[18:19], v15, s20 src0_sel:BYTE_0 src1_sel:DWORD
	v_bfrev_b32_e32 v28, 1
	s_and_saveexec_b64 s[12:13], s[18:19]
	s_cbranch_execz .LBB267_120
; %bb.117:                              ;   in Loop: Header=BB267_91 Depth=1
	v_and_b32_e32 v29, 0x7f, v15
	v_cmp_ne_u32_e32 vcc, s21, v29
	v_mov_b32_e32 v28, 0x7fc02000
	s_and_saveexec_b64 s[18:19], vcc
	s_cbranch_execz .LBB267_119
; %bb.118:                              ;   in Loop: Header=BB267_91 Depth=1
	v_and_b32_e32 v28, 7, v15
	v_ffbh_u32_e32 v28, v28
	v_min_u32_e32 v28, 32, v28
	v_subrev_u32_e32 v31, 28, v28
	v_cmp_gt_u32_e32 vcc, 8, v29
	v_sub_u32_e32 v32, 29, v28
	v_cndmask_b32_e32 v28, 0, v31, vcc
	v_lshrrev_b32_e32 v30, 3, v29
	v_lshlrev_b64 v[28:29], v28, v[4:5]
	v_cndmask_b32_e32 v29, v30, v32, vcc
	v_lshlrev_b32_e32 v30, 8, v15
	v_lshl_add_u32 v29, v29, 10, v3
	v_lshlrev_b32_e32 v28, 7, v28
	v_and_or_b32 v29, v30, s22, v29
	v_and_or_b32 v28, v28, s23, v29
	v_cvt_f32_f16_e32 v28, v28
.LBB267_119:                            ;   in Loop: Header=BB267_91 Depth=1
	s_or_b64 exec, exec, s[18:19]
.LBB267_120:                            ;   in Loop: Header=BB267_91 Depth=1
	s_or_b64 exec, exec, s[12:13]
.LBB267_121:                            ;   in Loop: Header=BB267_91 Depth=1
	s_or_b64 exec, exec, s[10:11]
	v_lshrrev_b16_e32 v4, 8, v4
	v_cmp_ne_u16_e32 vcc, 0, v4
	v_mov_b32_e32 v29, 0
	v_mov_b32_e32 v30, 0
	s_and_saveexec_b64 s[10:11], vcc
	s_cbranch_execz .LBB267_127
; %bb.122:                              ;   in Loop: Header=BB267_91 Depth=1
	v_cmp_ne_u16_e32 vcc, s20, v4
	v_bfrev_b32_e32 v30, 1
	s_and_saveexec_b64 s[12:13], vcc
	s_cbranch_execz .LBB267_126
; %bb.123:                              ;   in Loop: Header=BB267_91 Depth=1
	v_and_b32_e32 v31, 0x7f, v4
	v_cmp_ne_u32_e32 vcc, s21, v31
	v_mov_b32_e32 v30, 0x7fc02000
	s_and_saveexec_b64 s[18:19], vcc
	s_cbranch_execz .LBB267_125
; %bb.124:                              ;   in Loop: Header=BB267_91 Depth=1
	v_and_b32_e32 v30, 7, v4
	v_ffbh_u32_e32 v32, v30
	v_min_u32_e32 v35, 32, v32
	v_subrev_u32_e32 v32, 28, v35
	v_lshlrev_b64 v[32:33], v32, v[4:5]
	v_lshrrev_b32_e32 v34, 3, v31
	v_sub_u32_e32 v33, 29, v35
	v_cmp_gt_u32_e32 vcc, 8, v31
	v_cndmask_b32_e32 v31, v34, v33, vcc
	v_and_b32_e32 v32, 7, v32
	v_lshlrev_b32_e32 v4, 8, v4
	v_lshl_add_u32 v31, v31, 10, v3
	v_cndmask_b32_e32 v30, v30, v32, vcc
	v_and_or_b32 v4, v4, s22, v31
	v_lshl_or_b32 v4, v30, 7, v4
	v_cvt_f32_f16_e32 v30, v4
.LBB267_125:                            ;   in Loop: Header=BB267_91 Depth=1
	s_or_b64 exec, exec, s[18:19]
.LBB267_126:                            ;   in Loop: Header=BB267_91 Depth=1
	s_or_b64 exec, exec, s[12:13]
.LBB267_127:                            ;   in Loop: Header=BB267_91 Depth=1
	s_or_b64 exec, exec, s[10:11]
	v_lshrrev_b32_e32 v4, 16, v15
	v_cmp_ne_u16_sdwa s[12:13], v4, v5 src0_sel:BYTE_0 src1_sel:DWORD
	s_and_saveexec_b64 s[10:11], s[12:13]
	s_cbranch_execz .LBB267_133
; %bb.128:                              ;   in Loop: Header=BB267_91 Depth=1
	v_cmp_ne_u16_sdwa s[18:19], v4, s20 src0_sel:BYTE_0 src1_sel:DWORD
	v_bfrev_b32_e32 v29, 1
	s_and_saveexec_b64 s[12:13], s[18:19]
	s_cbranch_execz .LBB267_132
; %bb.129:                              ;   in Loop: Header=BB267_91 Depth=1
	v_bfe_u32 v31, v15, 16, 7
	v_cmp_ne_u32_e32 vcc, s21, v31
	v_mov_b32_e32 v29, 0x7fc02000
	s_and_saveexec_b64 s[18:19], vcc
	s_cbranch_execz .LBB267_131
; %bb.130:                              ;   in Loop: Header=BB267_91 Depth=1
	v_and_b32_e32 v29, 7, v4
	v_ffbh_u32_e32 v32, v29
	v_min_u32_e32 v35, 32, v32
	v_subrev_u32_e32 v32, 28, v35
	v_lshlrev_b64 v[32:33], v32, v[4:5]
	v_lshrrev_b32_e32 v34, 3, v31
	v_sub_u32_e32 v33, 29, v35
	v_cmp_gt_u32_e32 vcc, 8, v31
	v_cndmask_b32_e32 v31, v34, v33, vcc
	v_and_b32_e32 v32, 7, v32
	v_lshlrev_b32_e32 v4, 8, v4
	v_lshl_add_u32 v31, v31, 10, v3
	v_cndmask_b32_e32 v29, v29, v32, vcc
	v_and_or_b32 v4, v4, s22, v31
	v_lshl_or_b32 v4, v29, 7, v4
	v_cvt_f32_f16_e32 v29, v4
.LBB267_131:                            ;   in Loop: Header=BB267_91 Depth=1
	s_or_b64 exec, exec, s[18:19]
.LBB267_132:                            ;   in Loop: Header=BB267_91 Depth=1
	s_or_b64 exec, exec, s[12:13]
.LBB267_133:                            ;   in Loop: Header=BB267_91 Depth=1
	s_or_b64 exec, exec, s[10:11]
	v_cmp_lt_u64_e32 vcc, s[2:3], v[14:15]
	v_mov_b32_e32 v14, 0
	s_and_saveexec_b64 s[10:11], vcc
	s_cbranch_execz .LBB267_139
; %bb.134:                              ;   in Loop: Header=BB267_91 Depth=1
	v_lshrrev_b32_e32 v4, 24, v15
	v_cmp_ne_u32_e32 vcc, s20, v4
	v_bfrev_b32_e32 v14, 1
	s_and_saveexec_b64 s[12:13], vcc
	s_cbranch_execz .LBB267_138
; %bb.135:                              ;   in Loop: Header=BB267_91 Depth=1
	v_and_b32_e32 v15, 0x7f, v4
	v_cmp_ne_u32_e32 vcc, s21, v15
	v_mov_b32_e32 v14, 0x7fc02000
	s_and_saveexec_b64 s[18:19], vcc
	s_cbranch_execz .LBB267_137
; %bb.136:                              ;   in Loop: Header=BB267_91 Depth=1
	v_and_b32_e32 v14, 7, v4
	v_ffbh_u32_e32 v32, v14
	v_min_u32_e32 v34, 32, v32
	v_subrev_u32_e32 v32, 28, v34
	v_lshlrev_b64 v[32:33], v32, v[4:5]
	v_lshrrev_b32_e32 v31, 3, v15
	v_sub_u32_e32 v33, 29, v34
	v_cmp_gt_u32_e32 vcc, 8, v15
	v_cndmask_b32_e32 v15, v31, v33, vcc
	v_and_b32_e32 v32, 7, v32
	v_lshlrev_b32_e32 v4, 8, v4
	v_lshl_add_u32 v15, v15, 10, v3
	v_cndmask_b32_e32 v14, v14, v32, vcc
	v_and_or_b32 v4, v4, s22, v15
	v_lshl_or_b32 v4, v14, 7, v4
	v_cvt_f32_f16_e32 v14, v4
.LBB267_137:                            ;   in Loop: Header=BB267_91 Depth=1
	s_or_b64 exec, exec, s[18:19]
.LBB267_138:                            ;   in Loop: Header=BB267_91 Depth=1
	s_or_b64 exec, exec, s[12:13]
.LBB267_139:                            ;   in Loop: Header=BB267_91 Depth=1
	s_or_b64 exec, exec, s[10:11]
	s_waitcnt vmcnt(0)
	v_pk_mul_f32 v[16:17], v[10:11], v[16:17] op_sel_hi:[0,1]
	v_pk_mul_f32 v[12:13], v[10:11], v[12:13] op_sel_hi:[0,1]
	v_cvt_f16_f32_e32 v4, v17
	v_cvt_f16_f32_e32 v15, v16
	;; [unrolled: 1-line block ×4, first 2 shown]
	v_cmp_eq_u32_e32 vcc, s49, v2
	v_pack_b32_f16 v15, v15, v4
	v_pack_b32_f16 v12, v12, v13
	v_fma_mixlo_f16 v13, v10, v30, 0
	v_perm_b32 v4, v12, v15, s28
	v_perm_b32 v12, v12, v15, s30
	v_lshlrev_b32_e32 v13, 16, v13
	v_fma_mixlo_f16 v15, v10, v28, 0
	v_or_b32_sdwa v13, v13, v15 dst_sel:DWORD dst_unused:UNUSED_PAD src0_sel:DWORD src1_sel:WORD_0
	v_fma_mixlo_f16 v15, v10, v29, 0
	v_fma_mixlo_f16 v10, v10, v14, 0
	v_lshlrev_b32_e32 v10, 16, v10
	v_or_b32_sdwa v10, v10, v15 dst_sel:DWORD dst_unused:UNUSED_PAD src0_sel:DWORD src1_sel:WORD_0
	s_and_saveexec_b64 s[10:11], vcc
	s_cbranch_execz .LBB267_90
; %bb.140:                              ;   in Loop: Header=BB267_91 Depth=1
	v_add_u32_e32 v14, 1, v19
	v_lshrrev_b32_e32 v16, 16, v12
	v_cmp_gt_i32_e32 vcc, s17, v14
	v_cndmask_b32_e32 v14, 0, v16, vcc
	v_cmp_gt_i32_e32 vcc, s29, v19
	v_cndmask_b32_e32 v12, 0, v12, vcc
	v_perm_b32 v12, v14, v12, s31
	v_or_b32_e32 v14, 3, v19
	v_or_b32_e32 v16, 2, v19
	v_lshrrev_b32_e32 v17, 16, v4
	v_cmp_gt_i32_e32 vcc, s17, v14
	v_cndmask_b32_e32 v14, 0, v17, vcc
	v_cmp_gt_i32_e32 vcc, s29, v16
	v_cndmask_b32_e32 v4, 0, v4, vcc
	v_perm_b32 v4, v14, v4, s31
	v_or_b32_e32 v14, 5, v19
	v_or_b32_e32 v16, 4, v19
	;; [unrolled: 8-line block ×3, first 2 shown]
	v_lshrrev_b32_e32 v10, 16, v10
	v_cmp_gt_i32_e32 vcc, s17, v14
	v_cndmask_b32_e32 v10, 0, v10, vcc
	v_cmp_gt_i32_e32 vcc, s29, v16
	v_cndmask_b32_e32 v14, 0, v15, vcc
	v_perm_b32 v10, v10, v14, s31
	s_branch .LBB267_90
.LBB267_141:
	s_or_b64 exec, exec, s[8:9]
.LBB267_142:
	s_or_b64 exec, exec, s[6:7]
	v_and_b32_e32 v0, 0x3c0, v0
	v_cmp_eq_u32_e32 vcc, 64, v0
	s_barrier
	s_and_saveexec_b64 s[2:3], vcc
	s_cbranch_execz .LBB267_144
; %bb.143:
	v_mov_b32_e32 v0, 0x90
	v_lshl_add_u32 v0, v11, 2, v0
	ds_write_b32 v0, v18
.LBB267_144:
	s_or_b64 exec, exec, s[2:3]
	s_waitcnt lgkmcnt(0)
	s_barrier
	s_and_saveexec_b64 s[2:3], s[0:1]
	s_cbranch_execz .LBB267_146
; %bb.145:
	v_mov_b32_e32 v0, 0x90
	v_lshl_add_u32 v0, v11, 2, v0
	ds_read_b32 v0, v0
	s_waitcnt lgkmcnt(0)
	v_add_f32_e32 v18, v18, v0
.LBB267_146:
	s_or_b64 exec, exec, s[2:3]
	s_barrier
	s_and_saveexec_b64 s[2:3], s[0:1]
	s_cbranch_execz .LBB267_148
; %bb.147:
	s_lshl_b32 s0, s4, 6
	s_ashr_i32 s1, s0, 31
	s_lshl_b64 s[0:1], s[0:1], 1
	s_add_u32 s2, s26, s0
	s_mul_i32 s0, s33, s24
	s_addc_u32 s3, s27, s1
	s_ashr_i32 s1, s0, 31
	s_lshl_b64 s[0:1], s[0:1], 1
	s_add_u32 s2, s2, s0
	s_addc_u32 s3, s3, s1
	s_ashr_i32 s17, s16, 31
	s_lshl_b64 s[0:1], s[16:17], 1
	s_add_u32 s0, s2, s0
	s_addc_u32 s1, s3, s1
	v_lshlrev_b32_e32 v0, 1, v11
	;;#ASMSTART
	v_cvt_f16_f32 v1, v18;

	;;#ASMEND
	global_store_short v0, v1, s[0:1]
.LBB267_148:
	s_endpgm
	.section	.rodata,"a",@progbits
	.p2align	6, 0x0
	.amdhsa_kernel _ZN4vllm25paged_attention_v2_kernelIthLi64ELi8ELi128ELNS_18Fp8KVCacheDataTypeE1ELb0ELi512EEEvPfS2_PT_PKS3_PKT0_S9_ifPKiSB_iPKfiiiSD_SD_iiiii
		.amdhsa_group_segment_fixed_size 144
		.amdhsa_private_segment_fixed_size 0
		.amdhsa_kernarg_size 400
		.amdhsa_user_sgpr_count 6
		.amdhsa_user_sgpr_private_segment_buffer 1
		.amdhsa_user_sgpr_dispatch_ptr 0
		.amdhsa_user_sgpr_queue_ptr 0
		.amdhsa_user_sgpr_kernarg_segment_ptr 1
		.amdhsa_user_sgpr_dispatch_id 0
		.amdhsa_user_sgpr_flat_scratch_init 0
		.amdhsa_user_sgpr_kernarg_preload_length 0
		.amdhsa_user_sgpr_kernarg_preload_offset 0
		.amdhsa_user_sgpr_private_segment_size 0
		.amdhsa_uses_dynamic_stack 0
		.amdhsa_system_sgpr_private_segment_wavefront_offset 0
		.amdhsa_system_sgpr_workgroup_id_x 1
		.amdhsa_system_sgpr_workgroup_id_y 1
		.amdhsa_system_sgpr_workgroup_id_z 1
		.amdhsa_system_sgpr_workgroup_info 0
		.amdhsa_system_vgpr_workitem_id 0
		.amdhsa_next_free_vgpr 36
		.amdhsa_next_free_sgpr 54
		.amdhsa_accum_offset 36
		.amdhsa_reserve_vcc 1
		.amdhsa_reserve_flat_scratch 0
		.amdhsa_float_round_mode_32 0
		.amdhsa_float_round_mode_16_64 0
		.amdhsa_float_denorm_mode_32 3
		.amdhsa_float_denorm_mode_16_64 3
		.amdhsa_dx10_clamp 1
		.amdhsa_ieee_mode 1
		.amdhsa_fp16_overflow 0
		.amdhsa_tg_split 0
		.amdhsa_exception_fp_ieee_invalid_op 0
		.amdhsa_exception_fp_denorm_src 0
		.amdhsa_exception_fp_ieee_div_zero 0
		.amdhsa_exception_fp_ieee_overflow 0
		.amdhsa_exception_fp_ieee_underflow 0
		.amdhsa_exception_fp_ieee_inexact 0
		.amdhsa_exception_int_div_zero 0
	.end_amdhsa_kernel
	.section	.text._ZN4vllm25paged_attention_v2_kernelIthLi64ELi8ELi128ELNS_18Fp8KVCacheDataTypeE1ELb0ELi512EEEvPfS2_PT_PKS3_PKT0_S9_ifPKiSB_iPKfiiiSD_SD_iiiii,"axG",@progbits,_ZN4vllm25paged_attention_v2_kernelIthLi64ELi8ELi128ELNS_18Fp8KVCacheDataTypeE1ELb0ELi512EEEvPfS2_PT_PKS3_PKT0_S9_ifPKiSB_iPKfiiiSD_SD_iiiii,comdat
.Lfunc_end267:
	.size	_ZN4vllm25paged_attention_v2_kernelIthLi64ELi8ELi128ELNS_18Fp8KVCacheDataTypeE1ELb0ELi512EEEvPfS2_PT_PKS3_PKT0_S9_ifPKiSB_iPKfiiiSD_SD_iiiii, .Lfunc_end267-_ZN4vllm25paged_attention_v2_kernelIthLi64ELi8ELi128ELNS_18Fp8KVCacheDataTypeE1ELb0ELi512EEEvPfS2_PT_PKS3_PKT0_S9_ifPKiSB_iPKfiiiSD_SD_iiiii
                                        ; -- End function
	.section	.AMDGPU.csdata,"",@progbits
; Kernel info:
; codeLenInByte = 6868
; NumSgprs: 58
; NumVgprs: 36
; NumAgprs: 0
; TotalNumVgprs: 36
; ScratchSize: 0
; MemoryBound: 0
; FloatMode: 240
; IeeeMode: 1
; LDSByteSize: 144 bytes/workgroup (compile time only)
; SGPRBlocks: 7
; VGPRBlocks: 4
; NumSGPRsForWavesPerEU: 58
; NumVGPRsForWavesPerEU: 36
; AccumOffset: 36
; Occupancy: 8
; WaveLimiterHint : 1
; COMPUTE_PGM_RSRC2:SCRATCH_EN: 0
; COMPUTE_PGM_RSRC2:USER_SGPR: 6
; COMPUTE_PGM_RSRC2:TRAP_HANDLER: 0
; COMPUTE_PGM_RSRC2:TGID_X_EN: 1
; COMPUTE_PGM_RSRC2:TGID_Y_EN: 1
; COMPUTE_PGM_RSRC2:TGID_Z_EN: 1
; COMPUTE_PGM_RSRC2:TIDIG_COMP_CNT: 0
; COMPUTE_PGM_RSRC3_GFX90A:ACCUM_OFFSET: 8
; COMPUTE_PGM_RSRC3_GFX90A:TG_SPLIT: 0
	.section	.text._ZN4vllm25paged_attention_v2_kernelIthLi80ELi8ELi128ELNS_18Fp8KVCacheDataTypeE1ELb0ELi512EEEvPfS2_PT_PKS3_PKT0_S9_ifPKiSB_iPKfiiiSD_SD_iiiii,"axG",@progbits,_ZN4vllm25paged_attention_v2_kernelIthLi80ELi8ELi128ELNS_18Fp8KVCacheDataTypeE1ELb0ELi512EEEvPfS2_PT_PKS3_PKT0_S9_ifPKiSB_iPKfiiiSD_SD_iiiii,comdat
	.protected	_ZN4vllm25paged_attention_v2_kernelIthLi80ELi8ELi128ELNS_18Fp8KVCacheDataTypeE1ELb0ELi512EEEvPfS2_PT_PKS3_PKT0_S9_ifPKiSB_iPKfiiiSD_SD_iiiii ; -- Begin function _ZN4vllm25paged_attention_v2_kernelIthLi80ELi8ELi128ELNS_18Fp8KVCacheDataTypeE1ELb0ELi512EEEvPfS2_PT_PKS3_PKT0_S9_ifPKiSB_iPKfiiiSD_SD_iiiii
	.globl	_ZN4vllm25paged_attention_v2_kernelIthLi80ELi8ELi128ELNS_18Fp8KVCacheDataTypeE1ELb0ELi512EEEvPfS2_PT_PKS3_PKT0_S9_ifPKiSB_iPKfiiiSD_SD_iiiii
	.p2align	8
	.type	_ZN4vllm25paged_attention_v2_kernelIthLi80ELi8ELi128ELNS_18Fp8KVCacheDataTypeE1ELb0ELi512EEEvPfS2_PT_PKS3_PKT0_S9_ifPKiSB_iPKfiiiSD_SD_iiiii,@function
_ZN4vllm25paged_attention_v2_kernelIthLi80ELi8ELi128ELNS_18Fp8KVCacheDataTypeE1ELb0ELi512EEEvPfS2_PT_PKS3_PKT0_S9_ifPKiSB_iPKfiiiSD_SD_iiiii: ; @_ZN4vllm25paged_attention_v2_kernelIthLi80ELi8ELi128ELNS_18Fp8KVCacheDataTypeE1ELb0ELi512EEEvPfS2_PT_PKS3_PKT0_S9_ifPKiSB_iPKfiiiSD_SD_iiiii
; %bb.0:
	s_load_dwordx2 s[0:1], s[4:5], 0x40
	s_mov_b32 s28, s7
	s_ashr_i32 s29, s7, 31
	s_lshl_b64 s[2:3], s[28:29], 2
	s_waitcnt lgkmcnt(0)
	s_add_u32 s0, s0, s2
	s_addc_u32 s1, s1, s3
	s_load_dword s33, s[0:1], 0x0
	s_lshl_b32 s29, s8, 9
	s_waitcnt lgkmcnt(0)
	s_cmp_ge_i32 s29, s33
	s_cbranch_scc1 .LBB268_216
; %bb.1:
	s_load_dword s9, s[4:5], 0x90
	s_load_dwordx2 s[38:39], s[4:5], 0x30
	s_waitcnt lgkmcnt(0)
	s_abs_i32 s2, s9
	s_abs_i32 s0, s38
	v_cvt_f32_u32_e32 v1, s0
	s_sub_i32 s3, 0, s0
	s_xor_b32 s1, s9, s38
	s_ashr_i32 s1, s1, 31
	v_rcp_iflag_f32_e32 v1, v1
	s_mov_b32 s38, 0
	v_mul_f32_e32 v1, 0x4f7ffffe, v1
	v_cvt_u32_f32_e32 v1, v1
	v_readfirstlane_b32 s7, v1
	s_mul_i32 s3, s3, s7
	s_mul_hi_u32 s3, s7, s3
	s_add_i32 s7, s7, s3
	s_mul_hi_u32 s3, s2, s7
	s_mul_i32 s7, s3, s0
	s_sub_i32 s2, s2, s7
	s_add_i32 s10, s3, 1
	s_sub_i32 s7, s2, s0
	s_cmp_ge_u32 s2, s0
	s_cselect_b32 s3, s10, s3
	s_cselect_b32 s2, s7, s2
	s_add_i32 s7, s3, 1
	s_cmp_ge_u32 s2, s0
	s_cselect_b32 s0, s7, s3
	s_xor_b32 s0, s0, s1
	s_sub_i32 s2, s0, s1
	s_abs_i32 s10, s2
	v_cvt_f32_u32_e32 v1, s10
	s_load_dwordx2 s[0:1], s[4:5], 0x50
	s_sub_i32 s3, 0, s10
	s_abs_i32 s11, s6
	v_rcp_iflag_f32_e32 v1, v1
	v_mul_f32_e32 v1, 0x4f7ffffe, v1
	v_cvt_u32_f32_e32 v1, v1
	v_readfirstlane_b32 s7, v1
	s_mul_i32 s3, s3, s7
	s_mul_hi_u32 s3, s7, s3
	s_add_i32 s7, s7, s3
	s_waitcnt lgkmcnt(0)
	s_cmp_eq_u64 s[0:1], 0
	s_mul_hi_u32 s12, s11, s7
	s_cbranch_scc1 .LBB268_3
; %bb.2:
	s_ashr_i32 s7, s6, 31
	s_lshl_b64 s[14:15], s[6:7], 2
	s_add_u32 s0, s0, s14
	s_addc_u32 s1, s1, s15
	s_load_dword s38, s[0:1], 0x0
.LBB268_3:
	s_load_dwordx4 s[16:19], s[4:5], 0x58
	s_movk_i32 s0, 0x50
	s_ashr_i32 s13, s6, 31
	s_ashr_i32 s14, s2, 31
	v_and_b32_e32 v4, 7, v0
	s_mul_i32 s24, s6, 0x50
	v_cmp_gt_u32_e64 s[0:1], s0, v0
	v_lshlrev_b32_e32 v1, 1, v0
	s_and_saveexec_b64 s[2:3], s[0:1]
	s_cbranch_execz .LBB268_5
; %bb.4:
	s_load_dwordx2 s[20:21], s[4:5], 0x18
	s_waitcnt lgkmcnt(0)
	s_mul_i32 s22, s28, s16
	s_ashr_i32 s23, s22, 31
	s_lshl_b64 s[22:23], s[22:23], 1
	v_lshrrev_b32_e32 v3, 2, v0
	s_add_u32 s7, s20, s22
	s_addc_u32 s15, s21, s23
	s_ashr_i32 s25, s24, 31
	s_lshl_b64 s[20:21], s[24:25], 1
	s_add_u32 s20, s7, s20
	s_addc_u32 s21, s15, s21
	global_load_ushort v2, v1, s[20:21]
	v_and_b32_e32 v3, 0xfe, v3
	v_mad_u32_u24 v3, v4, 20, v3
	s_waitcnt vmcnt(0)
	ds_write_b16 v3, v2
.LBB268_5:
	s_or_b64 exec, exec, s[2:3]
	s_add_i32 s2, s33, 7
	s_ashr_i32 s3, s2, 31
	s_lshr_b32 s3, s3, 29
	s_add_i32 s2, s2, s3
	s_lshl_b32 s7, s8, 6
	s_mul_i32 s3, s12, s10
	s_waitcnt lgkmcnt(0)
	s_ashr_i32 s16, s2, 3
	s_add_i32 s2, s7, 64
	s_sub_i32 s3, s11, s3
	s_min_i32 s48, s2, s16
	s_xor_b32 s2, s13, s14
	s_add_i32 s11, s12, 1
	s_sub_i32 s13, s3, s10
	s_cmp_ge_u32 s3, s10
	s_cselect_b32 s11, s11, s12
	s_cselect_b32 s3, s13, s3
	s_add_i32 s12, s11, 1
	s_cmp_ge_u32 s3, s10
	s_load_dwordx2 s[30:31], s[4:5], 0x38
	s_load_dword s10, s[4:5], 0x48
	v_lshrrev_b32_e32 v13, 6, v0
	s_cselect_b32 s3, s12, s11
	s_xor_b32 s3, s3, s2
	v_or_b32_e32 v2, s7, v13
	s_waitcnt lgkmcnt(0)
	s_mul_i32 s34, s28, s10
	s_sub_i32 s49, s3, s2
	s_ashr_i32 s35, s34, 31
	v_cmp_gt_i32_e64 s[2:3], s48, v2
	v_cmp_le_i32_e32 vcc, s48, v2
	v_mbcnt_lo_u32_b32 v11, -1, 0
	s_barrier
	s_waitcnt lgkmcnt(0)
                                        ; implicit-def: $sgpr19
                                        ; implicit-def: $vgpr5
                                        ; implicit-def: $vgpr10
	s_and_saveexec_b64 s[10:11], vcc
	s_xor_b64 s[10:11], exec, s[10:11]
; %bb.6:
	v_mbcnt_hi_u32_b32 v5, -1, v11
	v_and_b32_e32 v3, 64, v5
	v_add_u32_e32 v10, 64, v3
	s_mov_b32 s19, 0xff7fffff
                                        ; implicit-def: $vgpr4
                                        ; implicit-def: $vgpr11
; %bb.7:
	s_or_saveexec_b64 s[40:41], s[10:11]
	s_load_dwordx4 s[20:23], s[4:5], 0x0
	s_load_dwordx2 s[26:27], s[4:5], 0x10
	s_load_dword s25, s[4:5], 0x98
	s_load_dwordx2 s[36:37], s[4:5], 0x28
	s_load_dwordx4 s[12:15], s[4:5], 0x68
	v_mov_b32_e32 v14, s19
	s_mul_i32 s49, s49, s18
	v_ashrrev_i32_e32 v3, 31, v2
	s_xor_b64 exec, exec, s[40:41]
	s_cbranch_execz .LBB268_73
; %bb.8:
	s_load_dwordx2 s[4:5], s[4:5], 0x20
	s_ashr_i32 s10, s49, 31
	v_bfe_u32 v5, v0, 3, 3
	v_lshlrev_b32_e32 v8, 3, v13
	v_lshlrev_b32_e32 v6, 4, v5
	s_waitcnt lgkmcnt(0)
	s_add_u32 s4, s4, s49
	s_addc_u32 s5, s5, s10
	s_sub_i32 s51, 1, s33
	s_lshl_b64 s[10:11], s[34:35], 2
	v_add3_u32 v17, s29, v8, v5
	v_lshlrev_b32_e32 v5, 2, v5
	s_add_u32 s10, s30, s10
	v_mov_b32_e32 v7, s5
	v_add_co_u32_e32 v6, vcc, s4, v6
	v_lshl_or_b32 v5, v13, 5, v5
	v_lshlrev_b64 v[8:9], 2, v[2:3]
	s_addc_u32 s11, s31, s11
	v_addc_co_u32_e32 v7, vcc, 0, v7, vcc
	v_add_u32_e32 v18, 0xb0, v5
	v_mov_b32_e32 v5, s11
	v_add_co_u32_e64 v8, s[10:11], s10, v8
	s_mov_b32 s50, s17
	v_mov_b32_e32 v15, 0
	v_mul_u32_u24_e32 v16, 20, v4
	v_cmp_eq_u32_e32 vcc, 0, v4
	v_cmp_neq_f32_e64 s[4:5], s38, 0
	v_addc_co_u32_e64 v9, s[10:11], v5, v9, s[10:11]
	s_mov_b64 s[18:19], 0
	v_mov_b32_e32 v14, 0xff7fffff
	s_movk_i32 s52, 0x80
	s_movk_i32 s53, 0x7f
	v_mbcnt_hi_u32_b32 v5, -1, v11
	v_bfrev_b32_e32 v19, 60
	v_mov_b32_e32 v20, v2
	s_branch .LBB268_10
.LBB268_9:                              ;   in Loop: Header=BB268_10 Depth=1
	s_or_b64 exec, exec, s[42:43]
	v_add_u32_e32 v20, 2, v20
	v_cmp_le_i32_e64 s[10:11], s48, v20
	s_or_b64 s[18:19], s[10:11], s[18:19]
	v_add_co_u32_e64 v8, s[10:11], 8, v8
	v_add_u32_e32 v17, 16, v17
	v_add_u32_e32 v18, 64, v18
	v_addc_co_u32_e64 v9, s[10:11], 0, v9, s[10:11]
	s_andn2_b64 exec, exec, s[18:19]
	s_cbranch_execz .LBB268_72
.LBB268_10:                             ; =>This Inner Loop Header: Depth=1
	global_load_dword v10, v[8:9], off
	v_mov_b32_e32 v22, 0
	s_waitcnt vmcnt(0)
	v_mad_i64_i32 v[10:11], s[10:11], v10, s50, v[6:7]
	v_add_co_u32_e64 v10, s[10:11], v10, v4
	v_addc_co_u32_e64 v11, s[10:11], 0, v11, s[10:11]
	global_load_ubyte v23, v[10:11], off
	global_load_dword v21, v15, s[12:13]
	s_waitcnt vmcnt(1)
	v_cmp_ne_u16_e64 s[10:11], 0, v23
	s_and_saveexec_b64 s[42:43], s[10:11]
	s_cbranch_execz .LBB268_16
; %bb.11:                               ;   in Loop: Header=BB268_10 Depth=1
	v_cmp_ne_u16_e64 s[10:11], s52, v23
	v_bfrev_b32_e32 v22, 1
	s_and_saveexec_b64 s[44:45], s[10:11]
	s_cbranch_execz .LBB268_15
; %bb.12:                               ;   in Loop: Header=BB268_10 Depth=1
	s_waitcnt lgkmcnt(0)
	v_and_b32_e32 v12, 0xffff, v23
	v_and_b32_e32 v24, 0x7f, v12
	v_cmp_ne_u32_e64 s[10:11], s53, v24
	v_mov_b32_e32 v22, 0x7f800001
	s_and_saveexec_b64 s[46:47], s[10:11]
	s_cbranch_execz .LBB268_14
; %bb.13:                               ;   in Loop: Header=BB268_10 Depth=1
	v_and_b32_e32 v22, 7, v12
	v_ffbh_u32_e32 v26, v22
	v_min_u32_e32 v28, 32, v26
	v_subrev_u32_e32 v26, 28, v28
	v_lshlrev_b64 v[26:27], v26, v[12:13]
	v_lshrrev_b32_e32 v25, 3, v24
	v_sub_u32_e32 v12, 29, v28
	v_and_b32_e32 v26, 7, v26
	v_cmp_gt_u32_e64 s[10:11], 8, v24
	v_cndmask_b32_e64 v12, v25, v12, s[10:11]
	v_cndmask_b32_e64 v22, v22, v26, s[10:11]
	v_lshlrev_b32_e32 v23, 24, v23
	v_lshlrev_b32_e32 v22, 20, v22
	v_and_b32_e32 v23, 0x80000000, v23
	v_lshl_add_u32 v12, v12, 23, v19
	v_or3_b32 v22, v23, v12, v22
.LBB268_14:                             ;   in Loop: Header=BB268_10 Depth=1
	s_or_b64 exec, exec, s[46:47]
.LBB268_15:                             ;   in Loop: Header=BB268_10 Depth=1
	s_or_b64 exec, exec, s[44:45]
.LBB268_16:                             ;   in Loop: Header=BB268_10 Depth=1
	s_or_b64 exec, exec, s[42:43]
	global_load_ubyte v25, v[10:11], off offset:8
	v_mov_b32_e32 v23, 0
	v_mov_b32_e32 v24, 0
	s_waitcnt vmcnt(0)
	v_cmp_ne_u16_e64 s[10:11], 0, v25
	s_and_saveexec_b64 s[42:43], s[10:11]
	s_cbranch_execz .LBB268_22
; %bb.17:                               ;   in Loop: Header=BB268_10 Depth=1
	v_cmp_ne_u16_e64 s[10:11], s52, v25
	v_bfrev_b32_e32 v24, 1
	s_and_saveexec_b64 s[44:45], s[10:11]
	s_cbranch_execz .LBB268_21
; %bb.18:                               ;   in Loop: Header=BB268_10 Depth=1
	s_waitcnt lgkmcnt(0)
	v_and_b32_e32 v12, 0xffff, v25
	v_and_b32_e32 v26, 0x7f, v12
	v_cmp_ne_u32_e64 s[10:11], s53, v26
	v_mov_b32_e32 v24, 0x7f800001
	s_and_saveexec_b64 s[46:47], s[10:11]
	s_cbranch_execz .LBB268_20
; %bb.19:                               ;   in Loop: Header=BB268_10 Depth=1
	v_and_b32_e32 v24, 7, v12
	v_ffbh_u32_e32 v28, v24
	v_min_u32_e32 v30, 32, v28
	v_subrev_u32_e32 v28, 28, v30
	v_lshlrev_b64 v[28:29], v28, v[12:13]
	v_lshrrev_b32_e32 v27, 3, v26
	v_sub_u32_e32 v12, 29, v30
	v_and_b32_e32 v28, 7, v28
	v_cmp_gt_u32_e64 s[10:11], 8, v26
	v_cndmask_b32_e64 v12, v27, v12, s[10:11]
	v_cndmask_b32_e64 v24, v24, v28, s[10:11]
	v_lshlrev_b32_e32 v25, 24, v25
	v_lshlrev_b32_e32 v24, 20, v24
	v_and_b32_e32 v25, 0x80000000, v25
	v_lshl_add_u32 v12, v12, 23, v19
	v_or3_b32 v24, v25, v12, v24
.LBB268_20:                             ;   in Loop: Header=BB268_10 Depth=1
	s_or_b64 exec, exec, s[46:47]
.LBB268_21:                             ;   in Loop: Header=BB268_10 Depth=1
	s_or_b64 exec, exec, s[44:45]
.LBB268_22:                             ;   in Loop: Header=BB268_10 Depth=1
	s_or_b64 exec, exec, s[42:43]
	global_load_ubyte v25, v[10:11], off offset:128
	s_waitcnt vmcnt(0)
	v_cmp_ne_u16_e64 s[10:11], 0, v25
	s_and_saveexec_b64 s[42:43], s[10:11]
	s_cbranch_execz .LBB268_28
; %bb.23:                               ;   in Loop: Header=BB268_10 Depth=1
	v_cmp_ne_u16_e64 s[10:11], s52, v25
	v_bfrev_b32_e32 v23, 1
	s_and_saveexec_b64 s[44:45], s[10:11]
	s_cbranch_execz .LBB268_27
; %bb.24:                               ;   in Loop: Header=BB268_10 Depth=1
	s_waitcnt lgkmcnt(0)
	v_and_b32_e32 v12, 0xffff, v25
	v_and_b32_e32 v26, 0x7f, v12
	v_cmp_ne_u32_e64 s[10:11], s53, v26
	v_mov_b32_e32 v23, 0x7f800001
	s_and_saveexec_b64 s[46:47], s[10:11]
	s_cbranch_execz .LBB268_26
; %bb.25:                               ;   in Loop: Header=BB268_10 Depth=1
	v_and_b32_e32 v23, 7, v12
	v_ffbh_u32_e32 v28, v23
	v_min_u32_e32 v30, 32, v28
	v_subrev_u32_e32 v28, 28, v30
	v_lshlrev_b64 v[28:29], v28, v[12:13]
	v_lshrrev_b32_e32 v27, 3, v26
	v_sub_u32_e32 v12, 29, v30
	v_and_b32_e32 v28, 7, v28
	v_cmp_gt_u32_e64 s[10:11], 8, v26
	v_cndmask_b32_e64 v12, v27, v12, s[10:11]
	v_cndmask_b32_e64 v23, v23, v28, s[10:11]
	v_lshlrev_b32_e32 v25, 24, v25
	v_lshlrev_b32_e32 v23, 20, v23
	v_and_b32_e32 v25, 0x80000000, v25
	v_lshl_add_u32 v12, v12, 23, v19
	v_or3_b32 v23, v25, v12, v23
.LBB268_26:                             ;   in Loop: Header=BB268_10 Depth=1
	s_or_b64 exec, exec, s[46:47]
.LBB268_27:                             ;   in Loop: Header=BB268_10 Depth=1
	s_or_b64 exec, exec, s[44:45]
.LBB268_28:                             ;   in Loop: Header=BB268_10 Depth=1
	s_or_b64 exec, exec, s[42:43]
	global_load_ubyte v27, v[10:11], off offset:136
	v_mov_b32_e32 v25, 0
	v_mov_b32_e32 v26, 0
	s_waitcnt vmcnt(0)
	v_cmp_ne_u16_e64 s[10:11], 0, v27
	s_and_saveexec_b64 s[42:43], s[10:11]
	s_cbranch_execz .LBB268_34
; %bb.29:                               ;   in Loop: Header=BB268_10 Depth=1
	v_cmp_ne_u16_e64 s[10:11], s52, v27
	v_bfrev_b32_e32 v26, 1
	s_and_saveexec_b64 s[44:45], s[10:11]
	s_cbranch_execz .LBB268_33
; %bb.30:                               ;   in Loop: Header=BB268_10 Depth=1
	s_waitcnt lgkmcnt(0)
	v_and_b32_e32 v12, 0xffff, v27
	v_and_b32_e32 v28, 0x7f, v12
	v_cmp_ne_u32_e64 s[10:11], s53, v28
	v_mov_b32_e32 v26, 0x7f800001
	s_and_saveexec_b64 s[46:47], s[10:11]
	s_cbranch_execz .LBB268_32
; %bb.31:                               ;   in Loop: Header=BB268_10 Depth=1
	v_and_b32_e32 v26, 7, v12
	v_ffbh_u32_e32 v30, v26
	v_min_u32_e32 v32, 32, v30
	v_subrev_u32_e32 v30, 28, v32
	v_lshlrev_b64 v[30:31], v30, v[12:13]
	v_lshrrev_b32_e32 v29, 3, v28
	v_sub_u32_e32 v12, 29, v32
	v_and_b32_e32 v30, 7, v30
	v_cmp_gt_u32_e64 s[10:11], 8, v28
	v_cndmask_b32_e64 v12, v29, v12, s[10:11]
	v_cndmask_b32_e64 v26, v26, v30, s[10:11]
	v_lshlrev_b32_e32 v27, 24, v27
	v_lshlrev_b32_e32 v26, 20, v26
	v_and_b32_e32 v27, 0x80000000, v27
	v_lshl_add_u32 v12, v12, 23, v19
	v_or3_b32 v26, v27, v12, v26
.LBB268_32:                             ;   in Loop: Header=BB268_10 Depth=1
	s_or_b64 exec, exec, s[46:47]
.LBB268_33:                             ;   in Loop: Header=BB268_10 Depth=1
	s_or_b64 exec, exec, s[44:45]
.LBB268_34:                             ;   in Loop: Header=BB268_10 Depth=1
	s_or_b64 exec, exec, s[42:43]
	global_load_ubyte v27, v[10:11], off offset:256
	s_waitcnt vmcnt(0)
	v_cmp_ne_u16_e64 s[10:11], 0, v27
	s_and_saveexec_b64 s[42:43], s[10:11]
	s_cbranch_execz .LBB268_40
; %bb.35:                               ;   in Loop: Header=BB268_10 Depth=1
	v_cmp_ne_u16_e64 s[10:11], s52, v27
	v_bfrev_b32_e32 v25, 1
	s_and_saveexec_b64 s[44:45], s[10:11]
	s_cbranch_execz .LBB268_39
; %bb.36:                               ;   in Loop: Header=BB268_10 Depth=1
	s_waitcnt lgkmcnt(0)
	v_and_b32_e32 v12, 0xffff, v27
	v_and_b32_e32 v28, 0x7f, v12
	v_cmp_ne_u32_e64 s[10:11], s53, v28
	v_mov_b32_e32 v25, 0x7f800001
	s_and_saveexec_b64 s[46:47], s[10:11]
	s_cbranch_execz .LBB268_38
; %bb.37:                               ;   in Loop: Header=BB268_10 Depth=1
	v_and_b32_e32 v25, 7, v12
	v_ffbh_u32_e32 v30, v25
	v_min_u32_e32 v32, 32, v30
	v_subrev_u32_e32 v30, 28, v32
	v_lshlrev_b64 v[30:31], v30, v[12:13]
	v_lshrrev_b32_e32 v29, 3, v28
	v_sub_u32_e32 v12, 29, v32
	v_and_b32_e32 v30, 7, v30
	v_cmp_gt_u32_e64 s[10:11], 8, v28
	v_cndmask_b32_e64 v12, v29, v12, s[10:11]
	v_cndmask_b32_e64 v25, v25, v30, s[10:11]
	v_lshlrev_b32_e32 v27, 24, v27
	v_lshlrev_b32_e32 v25, 20, v25
	v_and_b32_e32 v27, 0x80000000, v27
	v_lshl_add_u32 v12, v12, 23, v19
	v_or3_b32 v25, v27, v12, v25
.LBB268_38:                             ;   in Loop: Header=BB268_10 Depth=1
	s_or_b64 exec, exec, s[46:47]
.LBB268_39:                             ;   in Loop: Header=BB268_10 Depth=1
	s_or_b64 exec, exec, s[44:45]
.LBB268_40:                             ;   in Loop: Header=BB268_10 Depth=1
	s_or_b64 exec, exec, s[42:43]
	global_load_ubyte v29, v[10:11], off offset:264
	v_mov_b32_e32 v27, 0
	v_mov_b32_e32 v28, 0
	s_waitcnt vmcnt(0)
	v_cmp_ne_u16_e64 s[10:11], 0, v29
	s_and_saveexec_b64 s[42:43], s[10:11]
	s_cbranch_execz .LBB268_46
; %bb.41:                               ;   in Loop: Header=BB268_10 Depth=1
	v_cmp_ne_u16_e64 s[10:11], s52, v29
	v_bfrev_b32_e32 v28, 1
	s_and_saveexec_b64 s[44:45], s[10:11]
	s_cbranch_execz .LBB268_45
; %bb.42:                               ;   in Loop: Header=BB268_10 Depth=1
	s_waitcnt lgkmcnt(0)
	v_and_b32_e32 v12, 0xffff, v29
	v_and_b32_e32 v30, 0x7f, v12
	v_cmp_ne_u32_e64 s[10:11], s53, v30
	v_mov_b32_e32 v28, 0x7f800001
	s_and_saveexec_b64 s[46:47], s[10:11]
	s_cbranch_execz .LBB268_44
; %bb.43:                               ;   in Loop: Header=BB268_10 Depth=1
	v_and_b32_e32 v28, 7, v12
	v_ffbh_u32_e32 v32, v28
	v_min_u32_e32 v34, 32, v32
	v_subrev_u32_e32 v32, 28, v34
	v_lshlrev_b64 v[32:33], v32, v[12:13]
	v_lshrrev_b32_e32 v31, 3, v30
	v_sub_u32_e32 v12, 29, v34
	v_and_b32_e32 v32, 7, v32
	v_cmp_gt_u32_e64 s[10:11], 8, v30
	v_cndmask_b32_e64 v12, v31, v12, s[10:11]
	v_cndmask_b32_e64 v28, v28, v32, s[10:11]
	v_lshlrev_b32_e32 v29, 24, v29
	v_lshlrev_b32_e32 v28, 20, v28
	v_and_b32_e32 v29, 0x80000000, v29
	v_lshl_add_u32 v12, v12, 23, v19
	v_or3_b32 v28, v29, v12, v28
.LBB268_44:                             ;   in Loop: Header=BB268_10 Depth=1
	s_or_b64 exec, exec, s[46:47]
.LBB268_45:                             ;   in Loop: Header=BB268_10 Depth=1
	s_or_b64 exec, exec, s[44:45]
.LBB268_46:                             ;   in Loop: Header=BB268_10 Depth=1
	s_or_b64 exec, exec, s[42:43]
	global_load_ubyte v29, v[10:11], off offset:384
	s_waitcnt vmcnt(0)
	v_cmp_ne_u16_e64 s[10:11], 0, v29
	s_and_saveexec_b64 s[42:43], s[10:11]
	s_cbranch_execz .LBB268_52
; %bb.47:                               ;   in Loop: Header=BB268_10 Depth=1
	v_cmp_ne_u16_e64 s[10:11], s52, v29
	v_bfrev_b32_e32 v27, 1
	s_and_saveexec_b64 s[44:45], s[10:11]
	s_cbranch_execz .LBB268_51
; %bb.48:                               ;   in Loop: Header=BB268_10 Depth=1
	s_waitcnt lgkmcnt(0)
	v_and_b32_e32 v12, 0xffff, v29
	v_and_b32_e32 v30, 0x7f, v12
	v_cmp_ne_u32_e64 s[10:11], s53, v30
	v_mov_b32_e32 v27, 0x7f800001
	s_and_saveexec_b64 s[46:47], s[10:11]
	s_cbranch_execz .LBB268_50
; %bb.49:                               ;   in Loop: Header=BB268_10 Depth=1
	v_and_b32_e32 v27, 7, v12
	v_ffbh_u32_e32 v32, v27
	v_min_u32_e32 v34, 32, v32
	v_subrev_u32_e32 v32, 28, v34
	v_lshlrev_b64 v[32:33], v32, v[12:13]
	v_lshrrev_b32_e32 v31, 3, v30
	v_sub_u32_e32 v12, 29, v34
	v_and_b32_e32 v32, 7, v32
	v_cmp_gt_u32_e64 s[10:11], 8, v30
	v_cndmask_b32_e64 v12, v31, v12, s[10:11]
	v_cndmask_b32_e64 v27, v27, v32, s[10:11]
	v_lshlrev_b32_e32 v29, 24, v29
	v_lshlrev_b32_e32 v27, 20, v27
	v_and_b32_e32 v29, 0x80000000, v29
	v_lshl_add_u32 v12, v12, 23, v19
	v_or3_b32 v27, v29, v12, v27
.LBB268_50:                             ;   in Loop: Header=BB268_10 Depth=1
	s_or_b64 exec, exec, s[46:47]
.LBB268_51:                             ;   in Loop: Header=BB268_10 Depth=1
	s_or_b64 exec, exec, s[44:45]
.LBB268_52:                             ;   in Loop: Header=BB268_10 Depth=1
	s_or_b64 exec, exec, s[42:43]
	global_load_ubyte v31, v[10:11], off offset:392
	v_mov_b32_e32 v29, 0
	v_mov_b32_e32 v30, 0
	s_waitcnt vmcnt(0)
	v_cmp_ne_u16_e64 s[10:11], 0, v31
	s_and_saveexec_b64 s[42:43], s[10:11]
	s_cbranch_execz .LBB268_58
; %bb.53:                               ;   in Loop: Header=BB268_10 Depth=1
	v_cmp_ne_u16_e64 s[10:11], s52, v31
	v_bfrev_b32_e32 v30, 1
	s_and_saveexec_b64 s[44:45], s[10:11]
	s_cbranch_execz .LBB268_57
; %bb.54:                               ;   in Loop: Header=BB268_10 Depth=1
	s_waitcnt lgkmcnt(0)
	v_and_b32_e32 v12, 0xffff, v31
	v_and_b32_e32 v32, 0x7f, v12
	v_cmp_ne_u32_e64 s[10:11], s53, v32
	v_mov_b32_e32 v30, 0x7f800001
	s_and_saveexec_b64 s[46:47], s[10:11]
	s_cbranch_execz .LBB268_56
; %bb.55:                               ;   in Loop: Header=BB268_10 Depth=1
	v_and_b32_e32 v30, 7, v12
	v_ffbh_u32_e32 v34, v30
	v_min_u32_e32 v36, 32, v34
	v_subrev_u32_e32 v34, 28, v36
	v_lshlrev_b64 v[34:35], v34, v[12:13]
	v_lshrrev_b32_e32 v33, 3, v32
	v_sub_u32_e32 v12, 29, v36
	v_and_b32_e32 v34, 7, v34
	v_cmp_gt_u32_e64 s[10:11], 8, v32
	v_cndmask_b32_e64 v12, v33, v12, s[10:11]
	v_cndmask_b32_e64 v30, v30, v34, s[10:11]
	v_lshlrev_b32_e32 v31, 24, v31
	v_lshlrev_b32_e32 v30, 20, v30
	v_and_b32_e32 v31, 0x80000000, v31
	v_lshl_add_u32 v12, v12, 23, v19
	v_or3_b32 v30, v31, v12, v30
.LBB268_56:                             ;   in Loop: Header=BB268_10 Depth=1
	s_or_b64 exec, exec, s[46:47]
.LBB268_57:                             ;   in Loop: Header=BB268_10 Depth=1
	s_or_b64 exec, exec, s[44:45]
.LBB268_58:                             ;   in Loop: Header=BB268_10 Depth=1
	s_or_b64 exec, exec, s[42:43]
	global_load_ubyte v31, v[10:11], off offset:512
	s_waitcnt vmcnt(0)
	v_cmp_ne_u16_e64 s[10:11], 0, v31
	s_and_saveexec_b64 s[42:43], s[10:11]
	s_cbranch_execz .LBB268_64
; %bb.59:                               ;   in Loop: Header=BB268_10 Depth=1
	v_cmp_ne_u16_e64 s[10:11], s52, v31
	v_bfrev_b32_e32 v29, 1
	s_and_saveexec_b64 s[44:45], s[10:11]
	s_cbranch_execz .LBB268_63
; %bb.60:                               ;   in Loop: Header=BB268_10 Depth=1
	s_waitcnt lgkmcnt(0)
	v_and_b32_e32 v12, 0xffff, v31
	v_and_b32_e32 v32, 0x7f, v12
	v_cmp_ne_u32_e64 s[10:11], s53, v32
	v_mov_b32_e32 v29, 0x7f800001
	s_and_saveexec_b64 s[46:47], s[10:11]
	s_cbranch_execz .LBB268_62
; %bb.61:                               ;   in Loop: Header=BB268_10 Depth=1
	v_and_b32_e32 v29, 7, v12
	v_ffbh_u32_e32 v34, v29
	v_min_u32_e32 v36, 32, v34
	v_subrev_u32_e32 v34, 28, v36
	v_lshlrev_b64 v[34:35], v34, v[12:13]
	v_lshrrev_b32_e32 v33, 3, v32
	v_sub_u32_e32 v12, 29, v36
	v_and_b32_e32 v34, 7, v34
	v_cmp_gt_u32_e64 s[10:11], 8, v32
	v_cndmask_b32_e64 v12, v33, v12, s[10:11]
	v_cndmask_b32_e64 v29, v29, v34, s[10:11]
	v_lshlrev_b32_e32 v31, 24, v31
	v_lshlrev_b32_e32 v29, 20, v29
	v_and_b32_e32 v31, 0x80000000, v31
	v_lshl_add_u32 v12, v12, 23, v19
	v_or3_b32 v29, v31, v12, v29
.LBB268_62:                             ;   in Loop: Header=BB268_10 Depth=1
	s_or_b64 exec, exec, s[46:47]
.LBB268_63:                             ;   in Loop: Header=BB268_10 Depth=1
	s_or_b64 exec, exec, s[44:45]
.LBB268_64:                             ;   in Loop: Header=BB268_10 Depth=1
	s_or_b64 exec, exec, s[42:43]
	s_waitcnt lgkmcnt(0)
	global_load_ubyte v12, v[10:11], off offset:520
	v_mov_b32_e32 v11, 0
	s_waitcnt vmcnt(0)
	v_cmp_ne_u16_e64 s[10:11], 0, v12
	s_and_saveexec_b64 s[42:43], s[10:11]
	s_cbranch_execz .LBB268_70
; %bb.65:                               ;   in Loop: Header=BB268_10 Depth=1
	v_cmp_ne_u16_e64 s[10:11], s52, v12
	v_bfrev_b32_e32 v11, 1
	s_and_saveexec_b64 s[44:45], s[10:11]
	s_cbranch_execz .LBB268_69
; %bb.66:                               ;   in Loop: Header=BB268_10 Depth=1
	v_and_b32_e32 v10, 0xffff, v12
	v_and_b32_e32 v31, 0x7f, v10
	v_cmp_ne_u32_e64 s[10:11], s53, v31
	v_mov_b32_e32 v11, 0x7f800001
	s_and_saveexec_b64 s[46:47], s[10:11]
	s_cbranch_execz .LBB268_68
; %bb.67:                               ;   in Loop: Header=BB268_10 Depth=1
	v_and_b32_e32 v32, 7, v10
	v_ffbh_u32_e32 v11, v32
	v_min_u32_e32 v34, 32, v11
	v_subrev_u32_e32 v11, 28, v34
	v_lshlrev_b64 v[10:11], v11, v[10:11]
	v_lshrrev_b32_e32 v33, 3, v31
	v_sub_u32_e32 v11, 29, v34
	v_and_b32_e32 v10, 7, v10
	v_cmp_gt_u32_e64 s[10:11], 8, v31
	v_cndmask_b32_e64 v11, v33, v11, s[10:11]
	v_cndmask_b32_e64 v10, v32, v10, s[10:11]
	v_lshlrev_b32_e32 v12, 24, v12
	v_lshlrev_b32_e32 v10, 20, v10
	v_and_b32_e32 v12, 0x80000000, v12
	v_lshl_add_u32 v11, v11, 23, v19
	v_or3_b32 v11, v12, v11, v10
.LBB268_68:                             ;   in Loop: Header=BB268_10 Depth=1
	s_or_b64 exec, exec, s[46:47]
.LBB268_69:                             ;   in Loop: Header=BB268_10 Depth=1
	s_or_b64 exec, exec, s[44:45]
.LBB268_70:                             ;   in Loop: Header=BB268_10 Depth=1
	s_or_b64 exec, exec, s[42:43]
	v_fma_mixlo_f16 v12, v21, v22, 0
	ds_read_u16 v10, v16
	v_and_b32_e32 v12, 0xffff, v12
	v_fma_mixlo_f16 v24, v21, v24, 0
	s_waitcnt lgkmcnt(0)
	;;#ASMSTART
	v_cvt_f32_f16 v10, v10;
	;;#ASMEND
	;;#ASMSTART
	v_cvt_f32_f16 v12, v12;
	;;#ASMEND
	ds_read_u16 v22, v16 offset:2
	v_and_b32_e32 v24, 0xffff, v24
	s_waitcnt lgkmcnt(0)
	;;#ASMSTART
	v_cvt_f32_f16 v22, v22;
	;;#ASMEND
	;;#ASMSTART
	v_cvt_f32_f16 v24, v24;
	;;#ASMEND
	v_fma_mixlo_f16 v23, v21, v23, 0
	v_fma_mixlo_f16 v26, v21, v26, 0
	;; [unrolled: 1-line block ×8, first 2 shown]
	v_mul_f32_e32 v21, v22, v24
	ds_read_u16 v31, v16 offset:4
	v_and_b32_e32 v23, 0xffff, v23
	v_fmac_f32_e32 v21, v10, v12
	s_waitcnt lgkmcnt(0)
	;;#ASMSTART
	v_cvt_f32_f16 v31, v31;
	;;#ASMEND
	;;#ASMSTART
	v_cvt_f32_f16 v23, v23;
	;;#ASMEND
	ds_read_u16 v32, v16 offset:6
	v_and_b32_e32 v26, 0xffff, v26
	v_fmac_f32_e32 v21, v31, v23
	s_waitcnt lgkmcnt(0)
	;;#ASMSTART
	v_cvt_f32_f16 v32, v32;
	;;#ASMEND
	;;#ASMSTART
	v_cvt_f32_f16 v26, v26;
	;;#ASMEND
	;; [unrolled: 10-line block ×5, first 2 shown]
	v_and_b32_e32 v24, 0xffff, v30
	v_fmac_f32_e32 v21, v35, v27
	ds_read_u16 v36, v16 offset:14
	s_waitcnt lgkmcnt(0)
	;;#ASMSTART
	v_cvt_f32_f16 v22, v36;
	;;#ASMEND
	;;#ASMSTART
	v_cvt_f32_f16 v24, v24;
	;;#ASMEND
	ds_read_u16 v30, v16 offset:16
	s_waitcnt lgkmcnt(0)
	;;#ASMSTART
	v_cvt_f32_f16 v10, v30;
	;;#ASMEND
	v_and_b32_e32 v12, 0xffff, v29
	v_fmac_f32_e32 v21, v22, v24
	;;#ASMSTART
	v_cvt_f32_f16 v12, v12;
	;;#ASMEND
	ds_read_u16 v23, v16 offset:18
	v_fmac_f32_e32 v21, v10, v12
	s_waitcnt lgkmcnt(0)
	;;#ASMSTART
	v_cvt_f32_f16 v10, v23;
	;;#ASMEND
	v_and_b32_e32 v11, 0xffff, v11
	;;#ASMSTART
	v_cvt_f32_f16 v11, v11;
	;;#ASMEND
	v_fmac_f32_e32 v21, v10, v11
	v_and_b32_e32 v10, 64, v5
	v_add_u32_e32 v10, 64, v10
	v_xor_b32_e32 v11, 4, v5
	v_cmp_lt_i32_e64 s[10:11], v11, v10
	v_cndmask_b32_e64 v11, v5, v11, s[10:11]
	v_lshlrev_b32_e32 v11, 2, v11
	ds_bpermute_b32 v11, v11, v21
	v_xor_b32_e32 v12, 2, v5
	v_cmp_lt_i32_e64 s[10:11], v12, v10
	v_cndmask_b32_e64 v12, v5, v12, s[10:11]
	v_lshlrev_b32_e32 v12, 2, v12
	s_waitcnt lgkmcnt(0)
	v_add_f32_e32 v11, v21, v11
	ds_bpermute_b32 v12, v12, v11
	s_waitcnt lgkmcnt(0)
	v_add_f32_e32 v11, v11, v12
	v_xor_b32_e32 v12, 1, v5
	v_cmp_lt_i32_e64 s[10:11], v12, v10
	v_cndmask_b32_e64 v12, v5, v12, s[10:11]
	v_lshlrev_b32_e32 v12, 2, v12
	ds_bpermute_b32 v12, v12, v11
	s_and_saveexec_b64 s[42:43], vcc
	s_cbranch_execz .LBB268_9
; %bb.71:                               ;   in Loop: Header=BB268_10 Depth=1
	v_add_u32_e32 v21, s51, v17
	v_cvt_f32_i32_e32 v21, v21
	s_waitcnt lgkmcnt(0)
	v_add_f32_e32 v11, v11, v12
	v_cmp_gt_i32_e64 s[10:11], s33, v17
	v_max_f32_e32 v12, v14, v14
	v_mul_f32_e32 v21, s38, v21
	v_cndmask_b32_e64 v21, 0, v21, s[4:5]
	v_fmac_f32_e32 v21, s39, v11
	v_cndmask_b32_e64 v11, 0, v21, s[10:11]
	ds_write_b32 v18, v11
	v_max_f32_e32 v11, v12, v21
	v_cndmask_b32_e64 v14, v14, v11, s[10:11]
	s_branch .LBB268_9
.LBB268_72:
	s_or_b64 exec, exec, s[18:19]
.LBB268_73:
	s_or_b64 exec, exec, s[40:41]
	v_xor_b32_e32 v4, 32, v5
	v_cmp_lt_i32_e32 vcc, v4, v10
	v_cndmask_b32_e32 v4, v5, v4, vcc
	v_lshlrev_b32_e32 v8, 2, v4
	ds_bpermute_b32 v4, v8, v14
	v_xor_b32_e32 v7, 16, v5
	v_max_f32_e32 v6, v14, v14
	v_cmp_lt_i32_e32 vcc, v7, v10
	s_waitcnt lgkmcnt(0)
	v_max_f32_e32 v4, v4, v4
	v_max_f32_e32 v4, v6, v4
	v_cndmask_b32_e32 v6, v5, v7, vcc
	v_lshlrev_b32_e32 v11, 2, v6
	ds_bpermute_b32 v6, v11, v4
	v_xor_b32_e32 v7, 8, v5
	v_cmp_lt_i32_e32 vcc, v7, v10
	s_waitcnt lgkmcnt(0)
	v_max_f32_e32 v6, v6, v6
	v_max_f32_e32 v6, v4, v6
	v_cndmask_b32_e32 v4, v5, v7, vcc
	v_lshlrev_b32_e32 v12, 2, v4
	ds_bpermute_b32 v9, v12, v6
	v_and_b32_e32 v7, 63, v0
	v_cmp_eq_u32_e32 vcc, 0, v7
	v_lshlrev_b32_e32 v4, 2, v13
	s_and_saveexec_b64 s[4:5], vcc
	s_cbranch_execz .LBB268_75
; %bb.74:
	s_waitcnt lgkmcnt(0)
	v_max_f32_e32 v9, v9, v9
	v_max_f32_e32 v6, v6, v6
	;; [unrolled: 1-line block ×3, first 2 shown]
	ds_write_b32 v4, v6 offset:160
.LBB268_75:
	s_or_b64 exec, exec, s[4:5]
	v_cmp_gt_u32_e64 s[4:5], 2, v7
	v_mov_b32_e32 v6, 0xff7fffff
	s_waitcnt lgkmcnt(0)
	v_lshlrev_b32_e32 v9, 2, v7
	s_barrier
	s_and_saveexec_b64 s[10:11], s[4:5]
	s_cbranch_execz .LBB268_77
; %bb.76:
	ds_read_b32 v6, v9 offset:160
.LBB268_77:
	s_or_b64 exec, exec, s[10:11]
	v_xor_b32_e32 v14, 1, v5
	v_cmp_lt_i32_e64 s[10:11], v14, v10
	v_cndmask_b32_e64 v14, v5, v14, s[10:11]
	v_lshlrev_b32_e32 v14, 2, v14
	s_waitcnt lgkmcnt(0)
	ds_bpermute_b32 v15, v14, v6
	v_max_f32_e32 v6, v6, v6
	s_sub_i32 s7, s48, s7
	s_lshl_b32 s7, s7, 3
	s_add_i32 s7, s7, s29
	s_waitcnt lgkmcnt(0)
	v_max_f32_e32 v15, v15, v15
	v_max_f32_e32 v6, v6, v15
	v_lshlrev_b32_e32 v15, 2, v5
	v_and_b32_e32 v15, 0xffffff00, v15
	ds_bpermute_b32 v6, v15, v6
	s_min_i32 s40, s7, s33
	s_sub_i32 s7, s40, s29
	v_cmp_gt_i32_e64 s[10:11], s7, v0
	v_mov_b32_e32 v16, 0
	s_and_saveexec_b64 s[18:19], s[10:11]
	s_cbranch_execz .LBB268_81
; %bb.78:
	v_mov_b32_e32 v16, 0xb0
	v_lshl_add_u32 v17, v0, 2, v16
	s_mov_b64 s[38:39], 0
	v_mov_b32_e32 v16, 0
	v_mov_b32_e32 v18, v0
.LBB268_79:                             ; =>This Inner Loop Header: Depth=1
	ds_read_b32 v19, v17
	v_add_u32_e32 v18, 0x80, v18
	v_cmp_le_i32_e64 s[12:13], s7, v18
	s_or_b64 s[38:39], s[12:13], s[38:39]
	s_waitcnt lgkmcnt(0)
	v_sub_f32_e32 v19, v19, v6
	v_mul_f32_e32 v19, 0x3fb8aa3b, v19
	v_exp_f32_e32 v19, v19
	ds_write_b32 v17, v19
	v_add_f32_e32 v16, v16, v19
	v_add_u32_e32 v17, 0x200, v17
	s_andn2_b64 exec, exec, s[38:39]
	s_cbranch_execnz .LBB268_79
; %bb.80:
	s_or_b64 exec, exec, s[38:39]
.LBB268_81:
	s_or_b64 exec, exec, s[18:19]
	ds_bpermute_b32 v8, v8, v16
	s_waitcnt lgkmcnt(0)
	v_add_f32_e32 v8, v16, v8
	ds_bpermute_b32 v11, v11, v8
	s_waitcnt lgkmcnt(0)
	v_add_f32_e32 v8, v8, v11
	ds_bpermute_b32 v11, v12, v8
	v_xor_b32_e32 v12, 4, v5
	v_cmp_lt_i32_e64 s[12:13], v12, v10
	v_cndmask_b32_e64 v12, v5, v12, s[12:13]
	v_lshlrev_b32_e32 v12, 2, v12
	s_waitcnt lgkmcnt(0)
	v_add_f32_e32 v8, v8, v11
	ds_bpermute_b32 v11, v12, v8
	v_xor_b32_e32 v12, 2, v5
	v_cmp_lt_i32_e64 s[12:13], v12, v10
	v_cndmask_b32_e64 v5, v5, v12, s[12:13]
	v_lshlrev_b32_e32 v5, 2, v5
	s_waitcnt lgkmcnt(0)
	v_add_f32_e32 v8, v8, v11
	ds_bpermute_b32 v5, v5, v8
	s_waitcnt lgkmcnt(0)
	v_add_f32_e32 v5, v8, v5
	ds_bpermute_b32 v8, v14, v5
	s_waitcnt lgkmcnt(0)
	v_add_f32_e32 v5, v5, v8
	s_and_saveexec_b64 s[12:13], vcc
	s_cbranch_execz .LBB268_83
; %bb.82:
	ds_write_b32 v4, v5 offset:168
.LBB268_83:
	s_or_b64 exec, exec, s[12:13]
	s_waitcnt lgkmcnt(0)
	s_barrier
	s_and_saveexec_b64 s[12:13], s[4:5]
	s_cbranch_execz .LBB268_85
; %bb.84:
	ds_read_b32 v5, v9 offset:168
.LBB268_85:
	s_or_b64 exec, exec, s[12:13]
	s_waitcnt lgkmcnt(0)
	ds_bpermute_b32 v4, v14, v5
	s_waitcnt lgkmcnt(0)
	v_add_f32_e32 v4, v5, v4
	ds_bpermute_b32 v8, v15, v4
	s_and_saveexec_b64 s[4:5], s[10:11]
	s_cbranch_execz .LBB268_98
; %bb.86:
	s_waitcnt lgkmcnt(0)
	v_add_f32_e32 v4, 0x358637bd, v8
	v_div_scale_f32 v5, s[10:11], v4, v4, 1.0
	v_rcp_f32_e32 v9, v5
	v_div_scale_f32 v10, vcc, 1.0, v4, 1.0
	s_movk_i32 s10, 0x7f
	v_fma_f32 v11, -v5, v9, 1.0
	v_fmac_f32_e32 v9, v11, v9
	v_mul_f32_e32 v11, v10, v9
	v_fma_f32 v12, -v5, v11, v10
	v_fmac_f32_e32 v11, v12, v9
	v_fma_f32 v5, -v5, v11, v10
	v_div_fmas_f32 v5, v5, v9, v11
	v_div_fixup_f32 v4, v5, v4, 1.0
	v_xad_u32 v5, v0, -1, s40
	v_subrev_u32_e32 v9, s29, v5
	v_cmp_lt_u32_e32 vcc, s10, v9
	s_mov_b64 s[12:13], -1
	v_mov_b32_e32 v5, v0
	s_and_saveexec_b64 s[10:11], vcc
	s_cbranch_execz .LBB268_95
; %bb.87:
	v_lshrrev_b32_e32 v9, 7, v9
	v_add_u32_e32 v11, -1, v9
	v_lshrrev_b32_e32 v10, 1, v11
	v_mov_b32_e32 v5, v4
	v_add_u32_e32 v10, 1, v10
	v_cmp_lt_u32_e32 vcc, 13, v11
	v_mov_b32_e32 v14, 0
	s_and_saveexec_b64 s[12:13], vcc
	s_cbranch_execz .LBB268_91
; %bb.88:
	v_mov_b32_e32 v12, 0xb0
	v_and_b32_e32 v11, -8, v10
	v_lshl_add_u32 v12, v0, 2, v12
	s_mov_b32 s38, 0
	s_mov_b64 s[18:19], 0
.LBB268_89:                             ; =>This Inner Loop Header: Depth=1
	ds_read2st64_b32 v[14:15], v12 offset1:2
	ds_read2st64_b32 v[16:17], v12 offset0:4 offset1:6
	ds_read2st64_b32 v[18:19], v12 offset0:8 offset1:10
	;; [unrolled: 1-line block ×3, first 2 shown]
	v_add_u32_e32 v11, -8, v11
	s_waitcnt lgkmcnt(3)
	v_pk_mul_f32 v[14:15], v[4:5], v[14:15]
	s_waitcnt lgkmcnt(2)
	v_pk_mul_f32 v[16:17], v[4:5], v[16:17]
	ds_write2st64_b32 v12, v14, v15 offset1:2
	ds_write2st64_b32 v12, v16, v17 offset0:4 offset1:6
	ds_read2st64_b32 v[16:17], v12 offset0:16 offset1:18
	s_waitcnt lgkmcnt(4)
	v_pk_mul_f32 v[14:15], v[4:5], v[18:19]
	ds_write2st64_b32 v12, v14, v15 offset0:8 offset1:10
	s_waitcnt lgkmcnt(4)
	v_pk_mul_f32 v[14:15], v[4:5], v[20:21]
	ds_write2st64_b32 v12, v14, v15 offset0:12 offset1:14
	ds_read2st64_b32 v[14:15], v12 offset0:20 offset1:22
	s_waitcnt lgkmcnt(3)
	v_pk_mul_f32 v[16:17], v[4:5], v[16:17]
	ds_read2st64_b32 v[18:19], v12 offset0:24 offset1:26
	ds_write2st64_b32 v12, v16, v17 offset0:16 offset1:18
	ds_read2st64_b32 v[16:17], v12 offset0:28 offset1:30
	s_waitcnt lgkmcnt(3)
	v_pk_mul_f32 v[14:15], v[4:5], v[14:15]
	ds_write2st64_b32 v12, v14, v15 offset0:20 offset1:22
	s_waitcnt lgkmcnt(3)
	v_pk_mul_f32 v[14:15], v[4:5], v[18:19]
	ds_write2st64_b32 v12, v14, v15 offset0:24 offset1:26
	s_waitcnt lgkmcnt(2)
	v_pk_mul_f32 v[14:15], v[4:5], v[16:17]
	s_add_i32 s38, s38, 16
	v_cmp_eq_u32_e32 vcc, 0, v11
	ds_write2st64_b32 v12, v14, v15 offset0:28 offset1:30
	v_add_u32_e32 v12, 0x2000, v12
	s_or_b64 s[18:19], vcc, s[18:19]
	v_mov_b32_e32 v14, s38
	s_andn2_b64 exec, exec, s[18:19]
	s_cbranch_execnz .LBB268_89
; %bb.90:
	s_or_b64 exec, exec, s[18:19]
.LBB268_91:
	s_or_b64 exec, exec, s[12:13]
	v_and_b32_e32 v10, 7, v10
	v_cmp_ne_u32_e32 vcc, 0, v10
	s_and_saveexec_b64 s[12:13], vcc
	s_cbranch_execz .LBB268_94
; %bb.92:
	v_lshlrev_b32_e32 v11, 9, v14
	v_lshlrev_b32_e32 v12, 2, v0
	s_movk_i32 s18, 0xb0
	v_add3_u32 v11, v11, v12, s18
	s_mov_b64 s[18:19], 0
.LBB268_93:                             ; =>This Inner Loop Header: Depth=1
	ds_read2st64_b32 v[14:15], v11 offset1:2
	v_add_u32_e32 v10, -1, v10
	v_cmp_eq_u32_e32 vcc, 0, v10
	s_or_b64 s[18:19], vcc, s[18:19]
	s_waitcnt lgkmcnt(0)
	v_pk_mul_f32 v[14:15], v[4:5], v[14:15]
	ds_write2st64_b32 v11, v14, v15 offset1:2
	v_add_u32_e32 v11, 0x400, v11
	s_andn2_b64 exec, exec, s[18:19]
	s_cbranch_execnz .LBB268_93
.LBB268_94:
	s_or_b64 exec, exec, s[12:13]
	v_add_u32_e32 v9, 1, v9
	v_and_b32_e32 v10, 0x3fffffe, v9
	v_cmp_ne_u32_e32 vcc, v9, v10
	v_lshl_add_u32 v5, v10, 7, v0
	s_orn2_b64 s[12:13], vcc, exec
.LBB268_95:
	s_or_b64 exec, exec, s[10:11]
	s_and_b64 exec, exec, s[12:13]
	s_cbranch_execz .LBB268_98
; %bb.96:
	v_mov_b32_e32 v9, 0xb0
	v_lshl_add_u32 v9, v5, 2, v9
	s_mov_b64 s[10:11], 0
.LBB268_97:                             ; =>This Inner Loop Header: Depth=1
	ds_read_b32 v10, v9
	v_add_u32_e32 v5, 0x80, v5
	v_cmp_le_i32_e32 vcc, s7, v5
	s_or_b64 s[10:11], vcc, s[10:11]
	s_waitcnt lgkmcnt(0)
	v_mul_f32_e32 v10, v4, v10
	ds_write_b32 v9, v10
	v_add_u32_e32 v9, 0x200, v9
	s_andn2_b64 exec, exec, s[10:11]
	s_cbranch_execnz .LBB268_97
.LBB268_98:
	s_or_b64 exec, exec, s[4:5]
	s_mul_i32 s5, s25, s28
	s_mov_b32 s4, 0
	v_cmp_eq_u32_e32 vcc, 0, v0
	s_mul_i32 s10, s5, s9
	s_waitcnt lgkmcnt(0)
	s_barrier
	s_and_saveexec_b64 s[12:13], vcc
	s_cbranch_execz .LBB268_100
; %bb.99:
	s_ashr_i32 s11, s10, 31
	s_lshl_b64 s[18:19], s[10:11], 2
	s_add_u32 s5, s22, s18
	s_mul_i32 s6, s25, s6
	s_addc_u32 s9, s23, s19
	s_ashr_i32 s7, s6, 31
	s_lshl_b64 s[6:7], s[6:7], 2
	s_add_u32 s5, s5, s6
	s_addc_u32 s11, s9, s7
	s_ashr_i32 s9, s8, 31
	s_lshl_b64 s[22:23], s[8:9], 2
	s_add_u32 s38, s5, s22
	s_addc_u32 s39, s11, s23
	s_add_u32 s5, s20, s18
	s_addc_u32 s9, s21, s19
	;; [unrolled: 2-line block ×3, first 2 shown]
	s_add_u32 s6, s5, s22
	v_mov_b32_e32 v4, 0
	s_addc_u32 s7, s7, s23
	global_store_dword v4, v6, s[38:39]
	global_store_dword v4, v8, s[6:7]
.LBB268_100:
	s_or_b64 exec, exec, s[12:13]
	s_mov_b32 s5, s4
	v_pk_mov_b32 v[4:5], s[4:5], s[4:5] op_sel:[0,1]
	s_and_saveexec_b64 s[6:7], s[2:3]
	s_cbranch_execz .LBB268_206
; %bb.101:
	s_ashr_i32 s2, s49, 31
	s_add_u32 s4, s36, s49
	s_addc_u32 s5, s37, s2
	v_or_b32_e32 v4, 64, v7
	s_movk_i32 s2, 0x50
	s_add_i32 s11, s16, -1
	v_cmp_gt_u32_e32 vcc, s2, v4
	s_lshl_b64 s[2:3], s[34:35], 2
	v_lshlrev_b32_e32 v10, 3, v4
	v_mov_b32_e32 v4, 0xb0
	s_add_u32 s2, s30, s2
	s_mov_b32 s18, 0
	v_lshl_add_u32 v26, v13, 5, v4
	v_lshlrev_b64 v[4:5], 2, v[2:3]
	s_addc_u32 s3, s31, s3
	s_mov_b32 s12, -1
	v_mov_b32_e32 v3, s3
	v_add_co_u32_e64 v12, s[2:3], s2, v4
	s_mov_b32 s19, s18
	s_mov_b32 s9, s17
	;; [unrolled: 1-line block ×3, first 2 shown]
	v_lshlrev_b32_e32 v6, 3, v7
	v_mov_b32_e32 v9, 0
	s_mov_b32 s36, s33
	v_lshl_add_u32 v11, v13, 3, s29
	v_addc_co_u32_e64 v13, s[2:3], v3, v5, s[2:3]
	s_mov_b64 s[16:17], 0
	v_pk_mov_b32 v[4:5], s[18:19], s[18:19] op_sel:[0,1]
	v_pk_mov_b32 v[14:15], s[4:5], s[4:5] op_sel:[0,1]
	s_movk_i32 s30, 0x80
	s_movk_i32 s31, 0x7f
	s_mov_b32 s34, 0x8000
	s_movk_i32 s35, 0x380
	s_mov_b32 s37, 0x3020706
	s_mov_b32 s38, 0x1000504
	;; [unrolled: 1-line block ×3, first 2 shown]
	v_mov_b32_e32 v3, 0x2000
	s_branch .LBB268_104
.LBB268_102:                            ;   in Loop: Header=BB268_104 Depth=1
	s_or_b64 exec, exec, s[4:5]
	;;#ASMSTART
	v_pk_mul_f16 v18, v28, v18;

	;;#ASMEND
	;;#ASMSTART
	v_pk_mul_f16 v8, v27, v8;

	;;#ASMEND
	;;#ASMSTART
	v_pk_mul_f16 v17, v25, v17;

	;;#ASMEND
	;;#ASMSTART
	v_pk_mul_f16 v16, v24, v16;

	;;#ASMEND
	;;#ASMSTART
	v_pk_add_f16 v8, v18, v8;

	;;#ASMEND
	;;#ASMSTART
	v_pk_add_f16 v8, v8, v17;

	;;#ASMEND
	;; [unrolled: 4-line block ×3, first 2 shown]
	v_lshrrev_b32_e32 v16, 16, v8
	v_and_b32_e32 v8, 0xffff, v8
	;;#ASMSTART
	v_cvt_f32_f16 v8, v8;
	;;#ASMEND
	;;#ASMSTART
	v_cvt_f32_f16 v16, v16;
	;;#ASMEND
	v_add_f32_e32 v8, v8, v16
	v_add_f32_e32 v5, v5, v8
.LBB268_103:                            ;   in Loop: Header=BB268_104 Depth=1
	s_or_b64 exec, exec, s[18:19]
	v_add_u32_e32 v2, 2, v2
	v_cmp_le_i32_e64 s[2:3], s48, v2
	s_or_b64 s[16:17], s[2:3], s[16:17]
	v_add_co_u32_e64 v12, s[2:3], 8, v12
	v_add_u32_e32 v11, 16, v11
	v_add_u32_e32 v26, 64, v26
	v_addc_co_u32_e64 v13, s[2:3], 0, v13, s[2:3]
	s_andn2_b64 exec, exec, s[16:17]
	s_cbranch_execz .LBB268_205
.LBB268_104:                            ; =>This Inner Loop Header: Depth=1
	global_load_dword v8, v[12:13], off
	ds_read2_b64 v[20:23], v26 offset1:1
	ds_read2_b64 v[32:35], v26 offset0:2 offset1:3
	s_waitcnt lgkmcnt(1)
	;;#ASMSTART
	v_cvt_f16_f32 v19, v20;

	;;#ASMEND
	;;#ASMSTART
	v_cvt_f16_f32 v27, v21;

	;;#ASMEND
	;; [unrolled: 4-line block ×4, first 2 shown]
	s_waitcnt lgkmcnt(0)
	;;#ASMSTART
	v_cvt_f16_f32 v31, v32;

	;;#ASMEND
	;;#ASMSTART
	v_cvt_f16_f32 v32, v33;

	;;#ASMEND
	;; [unrolled: 4-line block ×4, first 2 shown]
	s_waitcnt vmcnt(0)
	v_mad_i64_i32 v[16:17], s[2:3], v8, s9, v[14:15]
	v_add_co_u32_e64 v20, s[2:3], v16, v6
	v_addc_co_u32_e64 v21, s[2:3], 0, v17, s[2:3]
	global_load_dwordx2 v[22:23], v[20:21], off
	global_load_dword v18, v9, s[14:15]
	v_mov_b32_e32 v20, 0
	s_waitcnt vmcnt(1)
	v_cmp_ne_u16_sdwa s[2:3], v22, v9 src0_sel:BYTE_0 src1_sel:DWORD
	s_and_saveexec_b64 s[4:5], s[2:3]
	s_cbranch_execz .LBB268_110
; %bb.105:                              ;   in Loop: Header=BB268_104 Depth=1
	v_cmp_ne_u16_sdwa s[2:3], v22, s30 src0_sel:BYTE_0 src1_sel:DWORD
	v_bfrev_b32_e32 v20, 1
	s_and_saveexec_b64 s[18:19], s[2:3]
	s_cbranch_execz .LBB268_109
; %bb.106:                              ;   in Loop: Header=BB268_104 Depth=1
	v_and_b32_e32 v8, 0x7f, v22
	v_cmp_ne_u32_e64 s[2:3], s31, v8
	v_mov_b32_e32 v20, 0x7fc02000
	s_and_saveexec_b64 s[20:21], s[2:3]
	s_cbranch_execz .LBB268_108
; %bb.107:                              ;   in Loop: Header=BB268_104 Depth=1
	v_and_b32_e32 v20, 7, v22
	v_ffbh_u32_e32 v20, v20
	v_min_u32_e32 v20, 32, v20
	v_subrev_u32_e32 v21, 28, v20
	v_cmp_gt_u32_e64 s[2:3], 8, v8
	v_lshrrev_b32_e32 v24, 3, v8
	v_sub_u32_e32 v25, 29, v20
	v_cndmask_b32_e64 v8, 0, v21, s[2:3]
	v_lshlrev_b64 v[20:21], v8, v[22:23]
	v_cndmask_b32_e64 v8, v24, v25, s[2:3]
	v_lshlrev_b32_e32 v21, 8, v22
	v_lshl_add_u32 v8, v8, 10, v3
	v_lshlrev_b32_e32 v20, 7, v20
	v_and_or_b32 v8, v21, s34, v8
	v_and_or_b32 v8, v20, s35, v8
	v_cvt_f32_f16_e32 v20, v8
.LBB268_108:                            ;   in Loop: Header=BB268_104 Depth=1
	s_or_b64 exec, exec, s[20:21]
.LBB268_109:                            ;   in Loop: Header=BB268_104 Depth=1
	s_or_b64 exec, exec, s[18:19]
.LBB268_110:                            ;   in Loop: Header=BB268_104 Depth=1
	s_or_b64 exec, exec, s[4:5]
	v_lshrrev_b16_e32 v8, 8, v22
	v_cmp_ne_u16_e64 s[2:3], 0, v8
	v_mov_b32_e32 v21, 0
	v_mov_b32_e32 v24, 0
	s_and_saveexec_b64 s[4:5], s[2:3]
	s_cbranch_execz .LBB268_116
; %bb.111:                              ;   in Loop: Header=BB268_104 Depth=1
	v_cmp_ne_u16_e64 s[2:3], s30, v8
	v_bfrev_b32_e32 v24, 1
	s_and_saveexec_b64 s[18:19], s[2:3]
	s_cbranch_execz .LBB268_115
; %bb.112:                              ;   in Loop: Header=BB268_104 Depth=1
	v_and_b32_e32 v25, 0x7f, v8
	v_cmp_ne_u32_e64 s[2:3], s31, v25
	v_mov_b32_e32 v24, 0x7fc02000
	s_and_saveexec_b64 s[20:21], s[2:3]
	s_cbranch_execz .LBB268_114
; %bb.113:                              ;   in Loop: Header=BB268_104 Depth=1
	v_and_b32_e32 v24, 7, v8
	v_ffbh_u32_e32 v35, v24
	v_min_u32_e32 v35, 32, v35
	v_lshrrev_b32_e32 v28, 3, v25
	v_subrev_u32_e32 v36, 28, v35
	v_sub_u32_e32 v35, 29, v35
	v_cmp_gt_u32_e64 s[2:3], 8, v25
	v_lshlrev_b64 v[36:37], v36, v[8:9]
	v_cndmask_b32_e64 v25, v28, v35, s[2:3]
	v_and_b32_e32 v36, 7, v36
	v_lshlrev_b32_e32 v8, 8, v8
	v_lshl_add_u32 v25, v25, 10, v3
	v_cndmask_b32_e64 v24, v24, v36, s[2:3]
	v_and_or_b32 v8, v8, s34, v25
	v_lshl_or_b32 v8, v24, 7, v8
	v_cvt_f32_f16_e32 v24, v8
.LBB268_114:                            ;   in Loop: Header=BB268_104 Depth=1
	s_or_b64 exec, exec, s[20:21]
.LBB268_115:                            ;   in Loop: Header=BB268_104 Depth=1
	s_or_b64 exec, exec, s[18:19]
.LBB268_116:                            ;   in Loop: Header=BB268_104 Depth=1
	s_or_b64 exec, exec, s[4:5]
	v_lshrrev_b32_e32 v8, 16, v22
	v_cmp_ne_u16_sdwa s[2:3], v8, v9 src0_sel:BYTE_0 src1_sel:DWORD
	s_and_saveexec_b64 s[4:5], s[2:3]
	s_cbranch_execz .LBB268_122
; %bb.117:                              ;   in Loop: Header=BB268_104 Depth=1
	v_cmp_ne_u16_sdwa s[2:3], v8, s30 src0_sel:BYTE_0 src1_sel:DWORD
	v_bfrev_b32_e32 v21, 1
	s_and_saveexec_b64 s[18:19], s[2:3]
	s_cbranch_execz .LBB268_121
; %bb.118:                              ;   in Loop: Header=BB268_104 Depth=1
	v_bfe_u32 v25, v22, 16, 7
	v_cmp_ne_u32_e64 s[2:3], s31, v25
	v_mov_b32_e32 v21, 0x7fc02000
	s_and_saveexec_b64 s[20:21], s[2:3]
	s_cbranch_execz .LBB268_120
; %bb.119:                              ;   in Loop: Header=BB268_104 Depth=1
	v_and_b32_e32 v21, 7, v8
	v_ffbh_u32_e32 v35, v21
	v_min_u32_e32 v35, 32, v35
	v_lshrrev_b32_e32 v28, 3, v25
	v_subrev_u32_e32 v36, 28, v35
	v_sub_u32_e32 v35, 29, v35
	v_cmp_gt_u32_e64 s[2:3], 8, v25
	v_lshlrev_b64 v[36:37], v36, v[8:9]
	v_cndmask_b32_e64 v25, v28, v35, s[2:3]
	v_and_b32_e32 v36, 7, v36
	v_lshlrev_b32_e32 v8, 8, v8
	v_lshl_add_u32 v25, v25, 10, v3
	v_cndmask_b32_e64 v21, v21, v36, s[2:3]
	v_and_or_b32 v8, v8, s34, v25
	v_lshl_or_b32 v8, v21, 7, v8
	v_cvt_f32_f16_e32 v21, v8
.LBB268_120:                            ;   in Loop: Header=BB268_104 Depth=1
	s_or_b64 exec, exec, s[20:21]
.LBB268_121:                            ;   in Loop: Header=BB268_104 Depth=1
	s_or_b64 exec, exec, s[18:19]
.LBB268_122:                            ;   in Loop: Header=BB268_104 Depth=1
	s_or_b64 exec, exec, s[4:5]
	v_cmp_lt_u32_e64 s[2:3], s13, v22
	v_mov_b32_e32 v28, 0
	v_mov_b32_e32 v25, 0
	s_and_saveexec_b64 s[4:5], s[2:3]
	s_cbranch_execz .LBB268_128
; %bb.123:                              ;   in Loop: Header=BB268_104 Depth=1
	v_lshrrev_b32_e32 v8, 24, v22
	v_cmp_ne_u32_e64 s[2:3], s30, v8
	v_bfrev_b32_e32 v25, 1
	s_and_saveexec_b64 s[18:19], s[2:3]
	s_cbranch_execz .LBB268_127
; %bb.124:                              ;   in Loop: Header=BB268_104 Depth=1
	v_and_b32_e32 v35, 0x7f, v8
	v_cmp_ne_u32_e64 s[2:3], s31, v35
	v_mov_b32_e32 v25, 0x7fc02000
	s_and_saveexec_b64 s[20:21], s[2:3]
	s_cbranch_execz .LBB268_126
; %bb.125:                              ;   in Loop: Header=BB268_104 Depth=1
	v_and_b32_e32 v25, 7, v8
	v_ffbh_u32_e32 v36, v25
	v_min_u32_e32 v39, 32, v36
	v_subrev_u32_e32 v36, 28, v39
	v_lshlrev_b64 v[36:37], v36, v[8:9]
	v_lshrrev_b32_e32 v38, 3, v35
	v_sub_u32_e32 v37, 29, v39
	v_cmp_gt_u32_e64 s[2:3], 8, v35
	v_cndmask_b32_e64 v35, v38, v37, s[2:3]
	v_and_b32_e32 v36, 7, v36
	v_lshlrev_b32_e32 v8, 8, v8
	v_lshl_add_u32 v35, v35, 10, v3
	v_cndmask_b32_e64 v25, v25, v36, s[2:3]
	v_and_or_b32 v8, v8, s34, v35
	v_lshl_or_b32 v8, v25, 7, v8
	v_cvt_f32_f16_e32 v25, v8
.LBB268_126:                            ;   in Loop: Header=BB268_104 Depth=1
	s_or_b64 exec, exec, s[20:21]
.LBB268_127:                            ;   in Loop: Header=BB268_104 Depth=1
	s_or_b64 exec, exec, s[18:19]
.LBB268_128:                            ;   in Loop: Header=BB268_104 Depth=1
	s_or_b64 exec, exec, s[4:5]
	v_mov_b32_e32 v8, v23
	v_cmp_ne_u16_sdwa s[2:3], v23, v9 src0_sel:BYTE_0 src1_sel:DWORD
	s_and_saveexec_b64 s[4:5], s[2:3]
	s_cbranch_execz .LBB268_134
; %bb.129:                              ;   in Loop: Header=BB268_104 Depth=1
	v_cmp_ne_u16_sdwa s[2:3], v23, s30 src0_sel:BYTE_0 src1_sel:DWORD
	v_bfrev_b32_e32 v28, 1
	s_and_saveexec_b64 s[18:19], s[2:3]
	s_cbranch_execz .LBB268_133
; %bb.130:                              ;   in Loop: Header=BB268_104 Depth=1
	v_and_b32_e32 v35, 0x7f, v23
	v_cmp_ne_u32_e64 s[2:3], s31, v35
	v_mov_b32_e32 v28, 0x7fc02000
	s_and_saveexec_b64 s[20:21], s[2:3]
	s_cbranch_execz .LBB268_132
; %bb.131:                              ;   in Loop: Header=BB268_104 Depth=1
	v_and_b32_e32 v28, 7, v23
	v_ffbh_u32_e32 v28, v28
	v_min_u32_e32 v28, 32, v28
	v_subrev_u32_e32 v36, 28, v28
	v_cmp_gt_u32_e64 s[2:3], 8, v35
	v_lshrrev_b32_e32 v38, 3, v35
	v_sub_u32_e32 v28, 29, v28
	v_cndmask_b32_e64 v35, 0, v36, s[2:3]
	v_lshlrev_b64 v[36:37], v35, v[8:9]
	v_cndmask_b32_e64 v28, v38, v28, s[2:3]
	v_lshlrev_b32_e32 v35, 7, v36
	v_lshlrev_b32_e32 v36, 8, v23
	v_lshl_add_u32 v28, v28, 10, v3
	v_and_or_b32 v28, v36, s34, v28
	v_and_or_b32 v28, v35, s35, v28
	v_cvt_f32_f16_e32 v28, v28
.LBB268_132:                            ;   in Loop: Header=BB268_104 Depth=1
	s_or_b64 exec, exec, s[20:21]
.LBB268_133:                            ;   in Loop: Header=BB268_104 Depth=1
	s_or_b64 exec, exec, s[18:19]
.LBB268_134:                            ;   in Loop: Header=BB268_104 Depth=1
	s_or_b64 exec, exec, s[4:5]
	v_lshrrev_b16_e32 v8, 8, v8
	v_cmp_ne_u16_e64 s[2:3], 0, v8
	v_mov_b32_e32 v35, 0
	v_mov_b32_e32 v36, 0
	s_and_saveexec_b64 s[4:5], s[2:3]
	s_cbranch_execz .LBB268_140
; %bb.135:                              ;   in Loop: Header=BB268_104 Depth=1
	v_cmp_ne_u16_e64 s[2:3], s30, v8
	v_bfrev_b32_e32 v36, 1
	s_and_saveexec_b64 s[18:19], s[2:3]
	s_cbranch_execz .LBB268_139
; %bb.136:                              ;   in Loop: Header=BB268_104 Depth=1
	v_and_b32_e32 v37, 0x7f, v8
	v_cmp_ne_u32_e64 s[2:3], s31, v37
	v_mov_b32_e32 v36, 0x7fc02000
	s_and_saveexec_b64 s[20:21], s[2:3]
	s_cbranch_execz .LBB268_138
; %bb.137:                              ;   in Loop: Header=BB268_104 Depth=1
	v_and_b32_e32 v36, 7, v8
	v_ffbh_u32_e32 v38, v36
	v_min_u32_e32 v41, 32, v38
	v_subrev_u32_e32 v38, 28, v41
	v_lshlrev_b64 v[38:39], v38, v[8:9]
	v_lshrrev_b32_e32 v40, 3, v37
	v_sub_u32_e32 v39, 29, v41
	v_cmp_gt_u32_e64 s[2:3], 8, v37
	v_cndmask_b32_e64 v37, v40, v39, s[2:3]
	v_and_b32_e32 v38, 7, v38
	v_lshlrev_b32_e32 v8, 8, v8
	v_lshl_add_u32 v37, v37, 10, v3
	v_cndmask_b32_e64 v36, v36, v38, s[2:3]
	v_and_or_b32 v8, v8, s34, v37
	v_lshl_or_b32 v8, v36, 7, v8
	v_cvt_f32_f16_e32 v36, v8
.LBB268_138:                            ;   in Loop: Header=BB268_104 Depth=1
	s_or_b64 exec, exec, s[20:21]
.LBB268_139:                            ;   in Loop: Header=BB268_104 Depth=1
	s_or_b64 exec, exec, s[18:19]
.LBB268_140:                            ;   in Loop: Header=BB268_104 Depth=1
	s_or_b64 exec, exec, s[4:5]
	v_lshrrev_b32_e32 v8, 16, v23
	v_cmp_ne_u16_sdwa s[2:3], v8, v9 src0_sel:BYTE_0 src1_sel:DWORD
	s_and_saveexec_b64 s[4:5], s[2:3]
	s_cbranch_execz .LBB268_146
; %bb.141:                              ;   in Loop: Header=BB268_104 Depth=1
	v_cmp_ne_u16_sdwa s[2:3], v8, s30 src0_sel:BYTE_0 src1_sel:DWORD
	v_bfrev_b32_e32 v35, 1
	s_and_saveexec_b64 s[18:19], s[2:3]
	s_cbranch_execz .LBB268_145
; %bb.142:                              ;   in Loop: Header=BB268_104 Depth=1
	v_bfe_u32 v37, v23, 16, 7
	v_cmp_ne_u32_e64 s[2:3], s31, v37
	v_mov_b32_e32 v35, 0x7fc02000
	s_and_saveexec_b64 s[20:21], s[2:3]
	s_cbranch_execz .LBB268_144
; %bb.143:                              ;   in Loop: Header=BB268_104 Depth=1
	v_and_b32_e32 v35, 7, v8
	v_ffbh_u32_e32 v38, v35
	v_min_u32_e32 v41, 32, v38
	v_subrev_u32_e32 v38, 28, v41
	v_lshlrev_b64 v[38:39], v38, v[8:9]
	v_lshrrev_b32_e32 v40, 3, v37
	v_sub_u32_e32 v39, 29, v41
	v_cmp_gt_u32_e64 s[2:3], 8, v37
	v_cndmask_b32_e64 v37, v40, v39, s[2:3]
	v_and_b32_e32 v38, 7, v38
	v_lshlrev_b32_e32 v8, 8, v8
	v_lshl_add_u32 v37, v37, 10, v3
	v_cndmask_b32_e64 v35, v35, v38, s[2:3]
	v_and_or_b32 v8, v8, s34, v37
	v_lshl_or_b32 v8, v35, 7, v8
	v_cvt_f32_f16_e32 v35, v8
.LBB268_144:                            ;   in Loop: Header=BB268_104 Depth=1
	s_or_b64 exec, exec, s[20:21]
.LBB268_145:                            ;   in Loop: Header=BB268_104 Depth=1
	s_or_b64 exec, exec, s[18:19]
.LBB268_146:                            ;   in Loop: Header=BB268_104 Depth=1
	s_or_b64 exec, exec, s[4:5]
	v_cmp_lt_u64_e64 s[2:3], s[12:13], v[22:23]
	v_mov_b32_e32 v22, 0
	s_and_saveexec_b64 s[4:5], s[2:3]
	s_cbranch_execz .LBB268_152
; %bb.147:                              ;   in Loop: Header=BB268_104 Depth=1
	v_lshrrev_b32_e32 v8, 24, v23
	v_cmp_ne_u32_e64 s[2:3], s30, v8
	v_bfrev_b32_e32 v22, 1
	s_and_saveexec_b64 s[18:19], s[2:3]
	s_cbranch_execz .LBB268_151
; %bb.148:                              ;   in Loop: Header=BB268_104 Depth=1
	v_and_b32_e32 v23, 0x7f, v8
	v_cmp_ne_u32_e64 s[2:3], s31, v23
	v_mov_b32_e32 v22, 0x7fc02000
	s_and_saveexec_b64 s[20:21], s[2:3]
	s_cbranch_execz .LBB268_150
; %bb.149:                              ;   in Loop: Header=BB268_104 Depth=1
	v_and_b32_e32 v22, 7, v8
	v_ffbh_u32_e32 v38, v22
	v_min_u32_e32 v40, 32, v38
	v_subrev_u32_e32 v38, 28, v40
	v_lshlrev_b64 v[38:39], v38, v[8:9]
	v_lshrrev_b32_e32 v37, 3, v23
	v_sub_u32_e32 v39, 29, v40
	v_cmp_gt_u32_e64 s[2:3], 8, v23
	v_cndmask_b32_e64 v23, v37, v39, s[2:3]
	v_and_b32_e32 v38, 7, v38
	v_lshlrev_b32_e32 v8, 8, v8
	v_lshl_add_u32 v23, v23, 10, v3
	v_cndmask_b32_e64 v22, v22, v38, s[2:3]
	v_and_or_b32 v8, v8, s34, v23
	v_lshl_or_b32 v8, v22, 7, v8
	v_cvt_f32_f16_e32 v22, v8
.LBB268_150:                            ;   in Loop: Header=BB268_104 Depth=1
	s_or_b64 exec, exec, s[20:21]
.LBB268_151:                            ;   in Loop: Header=BB268_104 Depth=1
	s_or_b64 exec, exec, s[18:19]
.LBB268_152:                            ;   in Loop: Header=BB268_104 Depth=1
	s_or_b64 exec, exec, s[4:5]
	s_waitcnt vmcnt(0)
	v_pk_mul_f32 v[24:25], v[18:19], v[24:25] op_sel_hi:[0,1]
	v_pk_mul_f32 v[20:21], v[18:19], v[20:21] op_sel_hi:[0,1]
	v_cvt_f16_f32_e32 v8, v25
	v_cvt_f16_f32_e32 v23, v24
	v_cvt_f16_f32_e32 v21, v21
	v_cvt_f16_f32_e32 v20, v20
	v_cmp_eq_u32_e64 s[2:3], s11, v2
	v_pack_b32_f16 v23, v23, v8
	v_pack_b32_f16 v20, v20, v21
	v_fma_mixlo_f16 v21, v18, v36, 0
	v_perm_b32 v8, v20, v23, s37
	v_perm_b32 v20, v20, v23, s38
	v_lshlrev_b32_e32 v21, 16, v21
	v_fma_mixlo_f16 v23, v18, v28, 0
	v_or_b32_sdwa v21, v21, v23 dst_sel:DWORD dst_unused:UNUSED_PAD src0_sel:DWORD src1_sel:WORD_0
	v_fma_mixlo_f16 v23, v18, v35, 0
	v_fma_mixlo_f16 v18, v18, v22, 0
	v_lshlrev_b32_e32 v18, 16, v18
	v_or_b32_sdwa v18, v18, v23 dst_sel:DWORD dst_unused:UNUSED_PAD src0_sel:DWORD src1_sel:WORD_0
	s_and_saveexec_b64 s[18:19], s[2:3]
	s_cbranch_execz .LBB268_154
; %bb.153:                              ;   in Loop: Header=BB268_104 Depth=1
	v_add_u32_e32 v22, 1, v11
	v_lshrrev_b32_e32 v24, 16, v20
	v_cmp_gt_i32_e64 s[4:5], s36, v22
	v_cndmask_b32_e64 v22, 0, v24, s[4:5]
	v_cmp_gt_i32_e64 s[4:5], s33, v11
	v_cndmask_b32_e64 v20, 0, v20, s[4:5]
	v_perm_b32 v20, v22, v20, s39
	v_or_b32_e32 v22, 3, v11
	v_or_b32_e32 v24, 2, v11
	v_lshrrev_b32_e32 v25, 16, v8
	v_cmp_gt_i32_e64 s[4:5], s36, v22
	v_cndmask_b32_e64 v22, 0, v25, s[4:5]
	v_cmp_gt_i32_e64 s[4:5], s33, v24
	v_cndmask_b32_e64 v8, 0, v8, s[4:5]
	v_perm_b32 v8, v22, v8, s39
	v_or_b32_e32 v22, 5, v11
	v_or_b32_e32 v24, 4, v11
	;; [unrolled: 8-line block ×3, first 2 shown]
	v_lshrrev_b32_e32 v18, 16, v18
	v_cmp_gt_i32_e64 s[4:5], s36, v22
	v_cndmask_b32_e64 v18, 0, v18, s[4:5]
	v_cmp_gt_i32_e64 s[4:5], s33, v24
	v_cndmask_b32_e64 v22, 0, v23, s[4:5]
	v_perm_b32 v18, v18, v22, s39
.LBB268_154:                            ;   in Loop: Header=BB268_104 Depth=1
	s_or_b64 exec, exec, s[18:19]
	v_and_b32_e32 v19, 0xffff, v19
	v_lshl_or_b32 v28, v27, 16, v19
	v_and_b32_e32 v19, 0xffff, v29
	v_lshl_or_b32 v27, v30, 16, v19
	v_and_b32_e32 v19, 0xffff, v31
	v_lshl_or_b32 v25, v32, 16, v19
	v_and_b32_e32 v19, 0xffff, v33
	v_lshl_or_b32 v24, v34, 16, v19
	;;#ASMSTART
	v_pk_mul_f16 v19, v28, v20;

	;;#ASMEND
	;;#ASMSTART
	v_pk_mul_f16 v8, v27, v8;

	;;#ASMEND
	;; [unrolled: 4-line block ×4, first 2 shown]
	;;#ASMSTART
	v_pk_add_f16 v8, v19, v8;

	;;#ASMEND
	;;#ASMSTART
	v_pk_add_f16 v8, v8, v20;

	;;#ASMEND
	;; [unrolled: 4-line block ×3, first 2 shown]
	v_lshrrev_b32_e32 v18, 16, v8
	v_and_b32_e32 v8, 0xffff, v8
	;;#ASMSTART
	v_cvt_f32_f16 v8, v8;
	;;#ASMEND
	;;#ASMSTART
	v_cvt_f32_f16 v18, v18;
	;;#ASMEND
	v_add_f32_e32 v8, v8, v18
	v_add_f32_e32 v4, v4, v8
	s_and_saveexec_b64 s[18:19], vcc
	s_cbranch_execz .LBB268_103
; %bb.155:                              ;   in Loop: Header=BB268_104 Depth=1
	v_add_co_u32_e64 v18, s[4:5], v16, v10
	v_addc_co_u32_e64 v19, s[4:5], 0, v17, s[4:5]
	global_load_dwordx2 v[22:23], v[18:19], off
	global_load_dword v16, v9, s[14:15]
	v_mov_b32_e32 v20, 0
	v_mov_b32_e32 v18, 0
	s_waitcnt vmcnt(1)
	v_cmp_ne_u16_sdwa s[4:5], v22, v9 src0_sel:BYTE_0 src1_sel:DWORD
	s_and_saveexec_b64 s[20:21], s[4:5]
	s_cbranch_execz .LBB268_161
; %bb.156:                              ;   in Loop: Header=BB268_104 Depth=1
	v_cmp_ne_u16_sdwa s[4:5], v22, s30 src0_sel:BYTE_0 src1_sel:DWORD
	v_bfrev_b32_e32 v18, 1
	s_and_saveexec_b64 s[22:23], s[4:5]
	s_cbranch_execz .LBB268_160
; %bb.157:                              ;   in Loop: Header=BB268_104 Depth=1
	v_and_b32_e32 v8, 0x7f, v22
	v_cmp_ne_u32_e64 s[4:5], s31, v8
	v_mov_b32_e32 v18, 0x7fc02000
	s_and_saveexec_b64 s[28:29], s[4:5]
	s_cbranch_execz .LBB268_159
; %bb.158:                              ;   in Loop: Header=BB268_104 Depth=1
	v_and_b32_e32 v17, 7, v22
	v_ffbh_u32_e32 v17, v17
	v_min_u32_e32 v17, 32, v17
	v_subrev_u32_e32 v18, 28, v17
	v_cmp_gt_u32_e64 s[4:5], 8, v8
	v_lshrrev_b32_e32 v21, 3, v8
	v_sub_u32_e32 v17, 29, v17
	v_cndmask_b32_e64 v8, 0, v18, s[4:5]
	v_lshlrev_b64 v[18:19], v8, v[22:23]
	v_cndmask_b32_e64 v8, v21, v17, s[4:5]
	v_lshlrev_b32_e32 v17, 7, v18
	v_lshlrev_b32_e32 v18, 8, v22
	v_lshl_add_u32 v8, v8, 10, v3
	v_and_or_b32 v8, v18, s34, v8
	v_and_or_b32 v8, v17, s35, v8
	v_cvt_f32_f16_e32 v18, v8
.LBB268_159:                            ;   in Loop: Header=BB268_104 Depth=1
	s_or_b64 exec, exec, s[28:29]
.LBB268_160:                            ;   in Loop: Header=BB268_104 Depth=1
	s_or_b64 exec, exec, s[22:23]
.LBB268_161:                            ;   in Loop: Header=BB268_104 Depth=1
	s_or_b64 exec, exec, s[20:21]
	v_lshrrev_b16_e32 v8, 8, v22
	v_cmp_ne_u16_e64 s[4:5], 0, v8
	s_and_saveexec_b64 s[20:21], s[4:5]
	s_cbranch_execz .LBB268_167
; %bb.162:                              ;   in Loop: Header=BB268_104 Depth=1
	v_cmp_ne_u16_e64 s[4:5], s30, v8
	v_bfrev_b32_e32 v20, 1
	s_and_saveexec_b64 s[22:23], s[4:5]
	s_cbranch_execz .LBB268_166
; %bb.163:                              ;   in Loop: Header=BB268_104 Depth=1
	v_and_b32_e32 v17, 0x7f, v8
	v_cmp_ne_u32_e64 s[4:5], s31, v17
	v_mov_b32_e32 v20, 0x7fc02000
	s_and_saveexec_b64 s[28:29], s[4:5]
	s_cbranch_execz .LBB268_165
; %bb.164:                              ;   in Loop: Header=BB268_104 Depth=1
	v_and_b32_e32 v19, 7, v8
	v_ffbh_u32_e32 v20, v19
	v_min_u32_e32 v30, 32, v20
	v_subrev_u32_e32 v20, 28, v30
	v_lshlrev_b64 v[20:21], v20, v[8:9]
	v_lshrrev_b32_e32 v29, 3, v17
	v_sub_u32_e32 v21, 29, v30
	v_cmp_gt_u32_e64 s[4:5], 8, v17
	v_cndmask_b32_e64 v17, v29, v21, s[4:5]
	v_and_b32_e32 v20, 7, v20
	v_lshlrev_b32_e32 v8, 8, v8
	v_lshl_add_u32 v17, v17, 10, v3
	v_cndmask_b32_e64 v19, v19, v20, s[4:5]
	v_and_or_b32 v8, v8, s34, v17
	v_lshl_or_b32 v8, v19, 7, v8
	v_cvt_f32_f16_e32 v20, v8
.LBB268_165:                            ;   in Loop: Header=BB268_104 Depth=1
	s_or_b64 exec, exec, s[28:29]
.LBB268_166:                            ;   in Loop: Header=BB268_104 Depth=1
	s_or_b64 exec, exec, s[22:23]
.LBB268_167:                            ;   in Loop: Header=BB268_104 Depth=1
	s_or_b64 exec, exec, s[20:21]
	v_lshrrev_b32_e32 v8, 16, v22
	v_cmp_ne_u16_sdwa s[4:5], v8, v9 src0_sel:BYTE_0 src1_sel:DWORD
	v_mov_b32_e32 v21, 0
	v_mov_b32_e32 v19, 0
	s_and_saveexec_b64 s[20:21], s[4:5]
	s_cbranch_execz .LBB268_173
; %bb.168:                              ;   in Loop: Header=BB268_104 Depth=1
	v_cmp_ne_u16_sdwa s[4:5], v8, s30 src0_sel:BYTE_0 src1_sel:DWORD
	v_bfrev_b32_e32 v19, 1
	s_and_saveexec_b64 s[22:23], s[4:5]
	s_cbranch_execz .LBB268_172
; %bb.169:                              ;   in Loop: Header=BB268_104 Depth=1
	v_bfe_u32 v17, v22, 16, 7
	v_cmp_ne_u32_e64 s[4:5], s31, v17
	v_mov_b32_e32 v19, 0x7fc02000
	s_and_saveexec_b64 s[28:29], s[4:5]
	s_cbranch_execz .LBB268_171
; %bb.170:                              ;   in Loop: Header=BB268_104 Depth=1
	v_and_b32_e32 v19, 7, v8
	v_ffbh_u32_e32 v30, v19
	v_min_u32_e32 v32, 32, v30
	v_subrev_u32_e32 v30, 28, v32
	v_lshlrev_b64 v[30:31], v30, v[8:9]
	v_lshrrev_b32_e32 v29, 3, v17
	v_sub_u32_e32 v31, 29, v32
	v_cmp_gt_u32_e64 s[4:5], 8, v17
	v_cndmask_b32_e64 v17, v29, v31, s[4:5]
	v_and_b32_e32 v30, 7, v30
	v_lshlrev_b32_e32 v8, 8, v8
	v_lshl_add_u32 v17, v17, 10, v3
	v_cndmask_b32_e64 v19, v19, v30, s[4:5]
	v_and_or_b32 v8, v8, s34, v17
	v_lshl_or_b32 v8, v19, 7, v8
	v_cvt_f32_f16_e32 v19, v8
.LBB268_171:                            ;   in Loop: Header=BB268_104 Depth=1
	s_or_b64 exec, exec, s[28:29]
.LBB268_172:                            ;   in Loop: Header=BB268_104 Depth=1
	s_or_b64 exec, exec, s[22:23]
.LBB268_173:                            ;   in Loop: Header=BB268_104 Depth=1
	s_or_b64 exec, exec, s[20:21]
	v_cmp_lt_u32_e64 s[4:5], s13, v22
	s_and_saveexec_b64 s[20:21], s[4:5]
	s_cbranch_execz .LBB268_179
; %bb.174:                              ;   in Loop: Header=BB268_104 Depth=1
	v_lshrrev_b32_e32 v8, 24, v22
	v_cmp_ne_u32_e64 s[4:5], s30, v8
	v_bfrev_b32_e32 v21, 1
	s_and_saveexec_b64 s[22:23], s[4:5]
	s_cbranch_execz .LBB268_178
; %bb.175:                              ;   in Loop: Header=BB268_104 Depth=1
	v_and_b32_e32 v17, 0x7f, v8
	v_cmp_ne_u32_e64 s[4:5], s31, v17
	v_mov_b32_e32 v21, 0x7fc02000
	s_and_saveexec_b64 s[28:29], s[4:5]
	s_cbranch_execz .LBB268_177
; %bb.176:                              ;   in Loop: Header=BB268_104 Depth=1
	v_and_b32_e32 v21, 7, v8
	v_ffbh_u32_e32 v30, v21
	v_min_u32_e32 v32, 32, v30
	v_subrev_u32_e32 v30, 28, v32
	v_lshlrev_b64 v[30:31], v30, v[8:9]
	v_lshrrev_b32_e32 v29, 3, v17
	v_sub_u32_e32 v31, 29, v32
	v_cmp_gt_u32_e64 s[4:5], 8, v17
	v_cndmask_b32_e64 v17, v29, v31, s[4:5]
	v_and_b32_e32 v30, 7, v30
	v_lshlrev_b32_e32 v8, 8, v8
	v_lshl_add_u32 v17, v17, 10, v3
	v_cndmask_b32_e64 v21, v21, v30, s[4:5]
	v_and_or_b32 v8, v8, s34, v17
	v_lshl_or_b32 v8, v21, 7, v8
	v_cvt_f32_f16_e32 v21, v8
.LBB268_177:                            ;   in Loop: Header=BB268_104 Depth=1
	s_or_b64 exec, exec, s[28:29]
.LBB268_178:                            ;   in Loop: Header=BB268_104 Depth=1
	s_or_b64 exec, exec, s[22:23]
.LBB268_179:                            ;   in Loop: Header=BB268_104 Depth=1
	s_or_b64 exec, exec, s[20:21]
	v_mov_b32_e32 v8, v23
	v_cmp_ne_u16_sdwa s[4:5], v23, v9 src0_sel:BYTE_0 src1_sel:DWORD
	v_mov_b32_e32 v29, 0
	v_mov_b32_e32 v17, 0
	s_and_saveexec_b64 s[20:21], s[4:5]
	s_cbranch_execz .LBB268_185
; %bb.180:                              ;   in Loop: Header=BB268_104 Depth=1
	v_cmp_ne_u16_sdwa s[4:5], v23, s30 src0_sel:BYTE_0 src1_sel:DWORD
	v_bfrev_b32_e32 v17, 1
	s_and_saveexec_b64 s[22:23], s[4:5]
	s_cbranch_execz .LBB268_184
; %bb.181:                              ;   in Loop: Header=BB268_104 Depth=1
	v_and_b32_e32 v30, 0x7f, v23
	v_cmp_ne_u32_e64 s[4:5], s31, v30
	v_mov_b32_e32 v17, 0x7fc02000
	s_and_saveexec_b64 s[28:29], s[4:5]
	s_cbranch_execz .LBB268_183
; %bb.182:                              ;   in Loop: Header=BB268_104 Depth=1
	v_and_b32_e32 v17, 7, v23
	v_ffbh_u32_e32 v17, v17
	v_min_u32_e32 v17, 32, v17
	v_subrev_u32_e32 v31, 28, v17
	v_cmp_gt_u32_e64 s[4:5], 8, v30
	v_lshrrev_b32_e32 v32, 3, v30
	v_sub_u32_e32 v17, 29, v17
	v_cndmask_b32_e64 v30, 0, v31, s[4:5]
	v_lshlrev_b64 v[30:31], v30, v[8:9]
	v_cndmask_b32_e64 v17, v32, v17, s[4:5]
	v_lshlrev_b32_e32 v31, 8, v23
	v_lshl_add_u32 v17, v17, 10, v3
	v_lshlrev_b32_e32 v30, 7, v30
	v_and_or_b32 v17, v31, s34, v17
	v_and_or_b32 v17, v30, s35, v17
	v_cvt_f32_f16_e32 v17, v17
.LBB268_183:                            ;   in Loop: Header=BB268_104 Depth=1
	s_or_b64 exec, exec, s[28:29]
.LBB268_184:                            ;   in Loop: Header=BB268_104 Depth=1
	s_or_b64 exec, exec, s[22:23]
.LBB268_185:                            ;   in Loop: Header=BB268_104 Depth=1
	s_or_b64 exec, exec, s[20:21]
	v_lshrrev_b16_e32 v8, 8, v8
	v_cmp_ne_u16_e64 s[4:5], 0, v8
	s_and_saveexec_b64 s[20:21], s[4:5]
	s_cbranch_execz .LBB268_191
; %bb.186:                              ;   in Loop: Header=BB268_104 Depth=1
	v_cmp_ne_u16_e64 s[4:5], s30, v8
	v_bfrev_b32_e32 v29, 1
	s_and_saveexec_b64 s[22:23], s[4:5]
	s_cbranch_execz .LBB268_190
; %bb.187:                              ;   in Loop: Header=BB268_104 Depth=1
	v_and_b32_e32 v30, 0x7f, v8
	v_cmp_ne_u32_e64 s[4:5], s31, v30
	v_mov_b32_e32 v29, 0x7fc02000
	s_and_saveexec_b64 s[28:29], s[4:5]
	s_cbranch_execz .LBB268_189
; %bb.188:                              ;   in Loop: Header=BB268_104 Depth=1
	v_and_b32_e32 v29, 7, v8
	v_ffbh_u32_e32 v32, v29
	v_min_u32_e32 v34, 32, v32
	v_subrev_u32_e32 v32, 28, v34
	v_lshlrev_b64 v[32:33], v32, v[8:9]
	v_lshrrev_b32_e32 v31, 3, v30
	v_sub_u32_e32 v33, 29, v34
	v_cmp_gt_u32_e64 s[4:5], 8, v30
	v_cndmask_b32_e64 v30, v31, v33, s[4:5]
	v_and_b32_e32 v32, 7, v32
	v_lshlrev_b32_e32 v8, 8, v8
	v_lshl_add_u32 v30, v30, 10, v3
	v_cndmask_b32_e64 v29, v29, v32, s[4:5]
	v_and_or_b32 v8, v8, s34, v30
	v_lshl_or_b32 v8, v29, 7, v8
	v_cvt_f32_f16_e32 v29, v8
.LBB268_189:                            ;   in Loop: Header=BB268_104 Depth=1
	s_or_b64 exec, exec, s[28:29]
.LBB268_190:                            ;   in Loop: Header=BB268_104 Depth=1
	s_or_b64 exec, exec, s[22:23]
.LBB268_191:                            ;   in Loop: Header=BB268_104 Depth=1
	s_or_b64 exec, exec, s[20:21]
	v_lshrrev_b32_e32 v8, 16, v23
	v_cmp_ne_u16_sdwa s[4:5], v8, v9 src0_sel:BYTE_0 src1_sel:DWORD
	v_mov_b32_e32 v30, 0
	v_mov_b32_e32 v31, 0
	s_and_saveexec_b64 s[20:21], s[4:5]
	s_cbranch_execz .LBB268_197
; %bb.192:                              ;   in Loop: Header=BB268_104 Depth=1
	v_cmp_ne_u16_sdwa s[4:5], v8, s30 src0_sel:BYTE_0 src1_sel:DWORD
	v_bfrev_b32_e32 v31, 1
	s_and_saveexec_b64 s[22:23], s[4:5]
	s_cbranch_execz .LBB268_196
; %bb.193:                              ;   in Loop: Header=BB268_104 Depth=1
	v_bfe_u32 v32, v23, 16, 7
	v_cmp_ne_u32_e64 s[4:5], s31, v32
	v_mov_b32_e32 v31, 0x7fc02000
	s_and_saveexec_b64 s[28:29], s[4:5]
	s_cbranch_execz .LBB268_195
; %bb.194:                              ;   in Loop: Header=BB268_104 Depth=1
	v_and_b32_e32 v31, 7, v8
	v_ffbh_u32_e32 v34, v31
	v_min_u32_e32 v36, 32, v34
	v_subrev_u32_e32 v34, 28, v36
	v_lshlrev_b64 v[34:35], v34, v[8:9]
	v_lshrrev_b32_e32 v33, 3, v32
	v_sub_u32_e32 v35, 29, v36
	v_cmp_gt_u32_e64 s[4:5], 8, v32
	v_cndmask_b32_e64 v32, v33, v35, s[4:5]
	v_and_b32_e32 v34, 7, v34
	v_lshlrev_b32_e32 v8, 8, v8
	v_lshl_add_u32 v32, v32, 10, v3
	v_cndmask_b32_e64 v31, v31, v34, s[4:5]
	v_and_or_b32 v8, v8, s34, v32
	v_lshl_or_b32 v8, v31, 7, v8
	v_cvt_f32_f16_e32 v31, v8
.LBB268_195:                            ;   in Loop: Header=BB268_104 Depth=1
	s_or_b64 exec, exec, s[28:29]
.LBB268_196:                            ;   in Loop: Header=BB268_104 Depth=1
	s_or_b64 exec, exec, s[22:23]
.LBB268_197:                            ;   in Loop: Header=BB268_104 Depth=1
	s_or_b64 exec, exec, s[20:21]
	v_cmp_lt_u64_e64 s[4:5], s[12:13], v[22:23]
	s_and_saveexec_b64 s[20:21], s[4:5]
	s_cbranch_execz .LBB268_203
; %bb.198:                              ;   in Loop: Header=BB268_104 Depth=1
	v_lshrrev_b32_e32 v8, 24, v23
	v_cmp_ne_u32_e64 s[4:5], s30, v8
	v_bfrev_b32_e32 v30, 1
	s_and_saveexec_b64 s[22:23], s[4:5]
	s_cbranch_execz .LBB268_202
; %bb.199:                              ;   in Loop: Header=BB268_104 Depth=1
	v_and_b32_e32 v22, 0x7f, v8
	v_cmp_ne_u32_e64 s[4:5], s31, v22
	v_mov_b32_e32 v30, 0x7fc02000
	s_and_saveexec_b64 s[28:29], s[4:5]
	s_cbranch_execz .LBB268_201
; %bb.200:                              ;   in Loop: Header=BB268_104 Depth=1
	v_and_b32_e32 v23, 7, v8
	v_ffbh_u32_e32 v32, v23
	v_min_u32_e32 v34, 32, v32
	v_subrev_u32_e32 v32, 28, v34
	v_lshlrev_b64 v[32:33], v32, v[8:9]
	v_lshrrev_b32_e32 v30, 3, v22
	v_sub_u32_e32 v33, 29, v34
	v_cmp_gt_u32_e64 s[4:5], 8, v22
	v_cndmask_b32_e64 v22, v30, v33, s[4:5]
	v_and_b32_e32 v32, 7, v32
	v_lshlrev_b32_e32 v8, 8, v8
	v_lshl_add_u32 v22, v22, 10, v3
	v_cndmask_b32_e64 v23, v23, v32, s[4:5]
	v_and_or_b32 v8, v8, s34, v22
	v_lshl_or_b32 v8, v23, 7, v8
	v_cvt_f32_f16_e32 v30, v8
.LBB268_201:                            ;   in Loop: Header=BB268_104 Depth=1
	s_or_b64 exec, exec, s[28:29]
.LBB268_202:                            ;   in Loop: Header=BB268_104 Depth=1
	s_or_b64 exec, exec, s[22:23]
.LBB268_203:                            ;   in Loop: Header=BB268_104 Depth=1
	s_or_b64 exec, exec, s[20:21]
	s_waitcnt vmcnt(0)
	v_pk_mul_f32 v[18:19], v[16:17], v[18:19] op_sel_hi:[0,1]
	v_cvt_f16_f32_e32 v19, v19
	v_cvt_f16_f32_e32 v18, v18
	v_pk_mul_f32 v[20:21], v[16:17], v[20:21] op_sel_hi:[0,1]
	v_cvt_f16_f32_e32 v8, v21
	v_cvt_f16_f32_e32 v20, v20
	v_pack_b32_f16 v18, v18, v19
	v_fma_mixlo_f16 v19, v16, v29, 0
	v_lshlrev_b32_e32 v19, 16, v19
	v_fma_mixlo_f16 v17, v16, v17, 0
	v_or_b32_sdwa v17, v19, v17 dst_sel:DWORD dst_unused:UNUSED_PAD src0_sel:DWORD src1_sel:WORD_0
	v_fma_mixlo_f16 v19, v16, v31, 0
	v_fma_mixlo_f16 v16, v16, v30, 0
	v_pack_b32_f16 v20, v20, v8
	v_lshlrev_b32_e32 v16, 16, v16
	v_perm_b32 v8, v18, v20, s37
	v_perm_b32 v18, v18, v20, s38
	v_or_b32_sdwa v16, v16, v19 dst_sel:DWORD dst_unused:UNUSED_PAD src0_sel:DWORD src1_sel:WORD_0
	s_and_saveexec_b64 s[4:5], s[2:3]
	s_cbranch_execz .LBB268_102
; %bb.204:                              ;   in Loop: Header=BB268_104 Depth=1
	v_add_u32_e32 v20, 1, v11
	v_lshrrev_b32_e32 v21, 16, v18
	v_cmp_gt_i32_e64 s[2:3], s36, v20
	v_cndmask_b32_e64 v20, 0, v21, s[2:3]
	v_cmp_gt_i32_e64 s[2:3], s33, v11
	v_cndmask_b32_e64 v18, 0, v18, s[2:3]
	v_perm_b32 v18, v20, v18, s39
	v_or_b32_e32 v20, 3, v11
	v_or_b32_e32 v21, 2, v11
	v_lshrrev_b32_e32 v22, 16, v8
	v_cmp_gt_i32_e64 s[2:3], s36, v20
	v_cndmask_b32_e64 v20, 0, v22, s[2:3]
	v_cmp_gt_i32_e64 s[2:3], s33, v21
	v_cndmask_b32_e64 v8, 0, v8, s[2:3]
	v_perm_b32 v8, v20, v8, s39
	v_or_b32_e32 v20, 5, v11
	v_or_b32_e32 v21, 4, v11
	;; [unrolled: 8-line block ×3, first 2 shown]
	v_lshrrev_b32_e32 v16, 16, v16
	v_cmp_gt_i32_e64 s[2:3], s36, v20
	v_cndmask_b32_e64 v16, 0, v16, s[2:3]
	v_cmp_gt_i32_e64 s[2:3], s33, v21
	v_cndmask_b32_e64 v19, 0, v19, s[2:3]
	v_perm_b32 v16, v16, v19, s39
	s_branch .LBB268_102
.LBB268_205:
	s_or_b64 exec, exec, s[16:17]
.LBB268_206:
	s_or_b64 exec, exec, s[6:7]
	v_and_b32_e32 v2, 0x3c0, v0
	v_cmp_eq_u32_e32 vcc, 64, v2
	s_barrier
	s_and_saveexec_b64 s[2:3], vcc
	s_cbranch_execz .LBB268_209
; %bb.207:
	v_mov_b32_e32 v2, 0xb0
	v_lshl_add_u32 v3, v7, 2, v2
	ds_write_b32 v3, v4
	s_and_b64 exec, exec, s[0:1]
	s_cbranch_execz .LBB268_209
; %bb.208:
	v_lshl_add_u32 v2, v0, 2, v2
	ds_write_b32 v2, v5
.LBB268_209:
	s_or_b64 exec, exec, s[2:3]
	v_cmp_gt_u32_e32 vcc, 64, v0
	v_or_b32_e32 v2, 64, v0
	s_waitcnt lgkmcnt(0)
	s_barrier
	s_and_saveexec_b64 s[2:3], vcc
	s_cbranch_execz .LBB268_213
; %bb.210:
	v_mov_b32_e32 v3, 0xb0
	v_lshl_add_u32 v0, v0, 2, v3
	ds_read_b32 v3, v0
	s_movk_i32 s0, 0x50
	v_cmp_gt_u32_e64 s[0:1], s0, v2
	s_waitcnt lgkmcnt(0)
	v_add_f32_e32 v4, v4, v3
	s_and_saveexec_b64 s[4:5], s[0:1]
	s_cbranch_execz .LBB268_212
; %bb.211:
	ds_read_b32 v0, v0 offset:256
	s_waitcnt lgkmcnt(0)
	v_add_f32_e32 v5, v5, v0
.LBB268_212:
	s_or_b64 exec, exec, s[4:5]
.LBB268_213:
	s_or_b64 exec, exec, s[2:3]
	s_barrier
	s_and_saveexec_b64 s[0:1], vcc
	s_cbranch_execz .LBB268_216
; %bb.214:
	s_mul_i32 s0, s10, 0x50
	s_ashr_i32 s1, s0, 31
	s_lshl_b64 s[0:1], s[0:1], 1
	s_add_u32 s3, s26, s0
	s_mul_i32 s0, s25, s24
	s_addc_u32 s4, s27, s1
	s_ashr_i32 s1, s0, 31
	s_lshl_b64 s[0:1], s[0:1], 1
	s_add_u32 s3, s3, s0
	s_mul_i32 s0, s8, 0x50
	s_addc_u32 s4, s4, s1
	s_ashr_i32 s1, s0, 31
	s_lshl_b64 s[0:1], s[0:1], 1
	s_movk_i32 s2, 0x50
	s_add_u32 s0, s3, s0
	s_addc_u32 s1, s4, s1
	v_cmp_gt_u32_e32 vcc, s2, v2
	;;#ASMSTART
	v_cvt_f16_f32 v0, v4;

	;;#ASMEND
	global_store_short v1, v0, s[0:1]
	s_and_b64 exec, exec, vcc
	s_cbranch_execz .LBB268_216
; %bb.215:
	v_mov_b32_e32 v2, s1
	v_add_co_u32_e32 v0, vcc, s0, v1
	v_addc_co_u32_e32 v1, vcc, 0, v2, vcc
	;;#ASMSTART
	v_cvt_f16_f32 v2, v5;

	;;#ASMEND
	global_store_short v[0:1], v2, off offset:128
.LBB268_216:
	s_endpgm
	.section	.rodata,"a",@progbits
	.p2align	6, 0x0
	.amdhsa_kernel _ZN4vllm25paged_attention_v2_kernelIthLi80ELi8ELi128ELNS_18Fp8KVCacheDataTypeE1ELb0ELi512EEEvPfS2_PT_PKS3_PKT0_S9_ifPKiSB_iPKfiiiSD_SD_iiiii
		.amdhsa_group_segment_fixed_size 176
		.amdhsa_private_segment_fixed_size 0
		.amdhsa_kernarg_size 400
		.amdhsa_user_sgpr_count 6
		.amdhsa_user_sgpr_private_segment_buffer 1
		.amdhsa_user_sgpr_dispatch_ptr 0
		.amdhsa_user_sgpr_queue_ptr 0
		.amdhsa_user_sgpr_kernarg_segment_ptr 1
		.amdhsa_user_sgpr_dispatch_id 0
		.amdhsa_user_sgpr_flat_scratch_init 0
		.amdhsa_user_sgpr_kernarg_preload_length 0
		.amdhsa_user_sgpr_kernarg_preload_offset 0
		.amdhsa_user_sgpr_private_segment_size 0
		.amdhsa_uses_dynamic_stack 0
		.amdhsa_system_sgpr_private_segment_wavefront_offset 0
		.amdhsa_system_sgpr_workgroup_id_x 1
		.amdhsa_system_sgpr_workgroup_id_y 1
		.amdhsa_system_sgpr_workgroup_id_z 1
		.amdhsa_system_sgpr_workgroup_info 0
		.amdhsa_system_vgpr_workitem_id 0
		.amdhsa_next_free_vgpr 42
		.amdhsa_next_free_sgpr 54
		.amdhsa_accum_offset 44
		.amdhsa_reserve_vcc 1
		.amdhsa_reserve_flat_scratch 0
		.amdhsa_float_round_mode_32 0
		.amdhsa_float_round_mode_16_64 0
		.amdhsa_float_denorm_mode_32 3
		.amdhsa_float_denorm_mode_16_64 3
		.amdhsa_dx10_clamp 1
		.amdhsa_ieee_mode 1
		.amdhsa_fp16_overflow 0
		.amdhsa_tg_split 0
		.amdhsa_exception_fp_ieee_invalid_op 0
		.amdhsa_exception_fp_denorm_src 0
		.amdhsa_exception_fp_ieee_div_zero 0
		.amdhsa_exception_fp_ieee_overflow 0
		.amdhsa_exception_fp_ieee_underflow 0
		.amdhsa_exception_fp_ieee_inexact 0
		.amdhsa_exception_int_div_zero 0
	.end_amdhsa_kernel
	.section	.text._ZN4vllm25paged_attention_v2_kernelIthLi80ELi8ELi128ELNS_18Fp8KVCacheDataTypeE1ELb0ELi512EEEvPfS2_PT_PKS3_PKT0_S9_ifPKiSB_iPKfiiiSD_SD_iiiii,"axG",@progbits,_ZN4vllm25paged_attention_v2_kernelIthLi80ELi8ELi128ELNS_18Fp8KVCacheDataTypeE1ELb0ELi512EEEvPfS2_PT_PKS3_PKT0_S9_ifPKiSB_iPKfiiiSD_SD_iiiii,comdat
.Lfunc_end268:
	.size	_ZN4vllm25paged_attention_v2_kernelIthLi80ELi8ELi128ELNS_18Fp8KVCacheDataTypeE1ELb0ELi512EEEvPfS2_PT_PKS3_PKT0_S9_ifPKiSB_iPKfiiiSD_SD_iiiii, .Lfunc_end268-_ZN4vllm25paged_attention_v2_kernelIthLi80ELi8ELi128ELNS_18Fp8KVCacheDataTypeE1ELb0ELi512EEEvPfS2_PT_PKS3_PKT0_S9_ifPKiSB_iPKfiiiSD_SD_iiiii
                                        ; -- End function
	.section	.AMDGPU.csdata,"",@progbits
; Kernel info:
; codeLenInByte = 9712
; NumSgprs: 58
; NumVgprs: 42
; NumAgprs: 0
; TotalNumVgprs: 42
; ScratchSize: 0
; MemoryBound: 0
; FloatMode: 240
; IeeeMode: 1
; LDSByteSize: 176 bytes/workgroup (compile time only)
; SGPRBlocks: 7
; VGPRBlocks: 5
; NumSGPRsForWavesPerEU: 58
; NumVGPRsForWavesPerEU: 42
; AccumOffset: 44
; Occupancy: 8
; WaveLimiterHint : 1
; COMPUTE_PGM_RSRC2:SCRATCH_EN: 0
; COMPUTE_PGM_RSRC2:USER_SGPR: 6
; COMPUTE_PGM_RSRC2:TRAP_HANDLER: 0
; COMPUTE_PGM_RSRC2:TGID_X_EN: 1
; COMPUTE_PGM_RSRC2:TGID_Y_EN: 1
; COMPUTE_PGM_RSRC2:TGID_Z_EN: 1
; COMPUTE_PGM_RSRC2:TIDIG_COMP_CNT: 0
; COMPUTE_PGM_RSRC3_GFX90A:ACCUM_OFFSET: 10
; COMPUTE_PGM_RSRC3_GFX90A:TG_SPLIT: 0
	.section	.text._ZN4vllm25paged_attention_v2_kernelIthLi96ELi8ELi128ELNS_18Fp8KVCacheDataTypeE1ELb0ELi512EEEvPfS2_PT_PKS3_PKT0_S9_ifPKiSB_iPKfiiiSD_SD_iiiii,"axG",@progbits,_ZN4vllm25paged_attention_v2_kernelIthLi96ELi8ELi128ELNS_18Fp8KVCacheDataTypeE1ELb0ELi512EEEvPfS2_PT_PKS3_PKT0_S9_ifPKiSB_iPKfiiiSD_SD_iiiii,comdat
	.protected	_ZN4vllm25paged_attention_v2_kernelIthLi96ELi8ELi128ELNS_18Fp8KVCacheDataTypeE1ELb0ELi512EEEvPfS2_PT_PKS3_PKT0_S9_ifPKiSB_iPKfiiiSD_SD_iiiii ; -- Begin function _ZN4vllm25paged_attention_v2_kernelIthLi96ELi8ELi128ELNS_18Fp8KVCacheDataTypeE1ELb0ELi512EEEvPfS2_PT_PKS3_PKT0_S9_ifPKiSB_iPKfiiiSD_SD_iiiii
	.globl	_ZN4vllm25paged_attention_v2_kernelIthLi96ELi8ELi128ELNS_18Fp8KVCacheDataTypeE1ELb0ELi512EEEvPfS2_PT_PKS3_PKT0_S9_ifPKiSB_iPKfiiiSD_SD_iiiii
	.p2align	8
	.type	_ZN4vllm25paged_attention_v2_kernelIthLi96ELi8ELi128ELNS_18Fp8KVCacheDataTypeE1ELb0ELi512EEEvPfS2_PT_PKS3_PKT0_S9_ifPKiSB_iPKfiiiSD_SD_iiiii,@function
_ZN4vllm25paged_attention_v2_kernelIthLi96ELi8ELi128ELNS_18Fp8KVCacheDataTypeE1ELb0ELi512EEEvPfS2_PT_PKS3_PKT0_S9_ifPKiSB_iPKfiiiSD_SD_iiiii: ; @_ZN4vllm25paged_attention_v2_kernelIthLi96ELi8ELi128ELNS_18Fp8KVCacheDataTypeE1ELb0ELi512EEEvPfS2_PT_PKS3_PKT0_S9_ifPKiSB_iPKfiiiSD_SD_iiiii
; %bb.0:
	s_load_dwordx2 s[0:1], s[4:5], 0x40
	s_mov_b32 s28, s7
	s_ashr_i32 s29, s7, 31
	s_lshl_b64 s[2:3], s[28:29], 2
	s_waitcnt lgkmcnt(0)
	s_add_u32 s0, s0, s2
	s_addc_u32 s1, s1, s3
	s_load_dword s33, s[0:1], 0x0
	s_lshl_b32 s29, s8, 9
	s_waitcnt lgkmcnt(0)
	s_cmp_ge_i32 s29, s33
	s_cbranch_scc1 .LBB269_228
; %bb.1:
	s_load_dword s9, s[4:5], 0x90
	s_load_dwordx2 s[38:39], s[4:5], 0x30
	s_waitcnt lgkmcnt(0)
	s_abs_i32 s2, s9
	s_abs_i32 s0, s38
	v_cvt_f32_u32_e32 v1, s0
	s_sub_i32 s3, 0, s0
	s_xor_b32 s1, s9, s38
	s_ashr_i32 s1, s1, 31
	v_rcp_iflag_f32_e32 v1, v1
	s_mov_b32 s38, 0
	v_mul_f32_e32 v1, 0x4f7ffffe, v1
	v_cvt_u32_f32_e32 v1, v1
	v_readfirstlane_b32 s7, v1
	s_mul_i32 s3, s3, s7
	s_mul_hi_u32 s3, s7, s3
	s_add_i32 s7, s7, s3
	s_mul_hi_u32 s3, s2, s7
	s_mul_i32 s7, s3, s0
	s_sub_i32 s2, s2, s7
	s_add_i32 s10, s3, 1
	s_sub_i32 s7, s2, s0
	s_cmp_ge_u32 s2, s0
	s_cselect_b32 s3, s10, s3
	s_cselect_b32 s2, s7, s2
	s_add_i32 s7, s3, 1
	s_cmp_ge_u32 s2, s0
	s_cselect_b32 s0, s7, s3
	s_xor_b32 s0, s0, s1
	s_sub_i32 s2, s0, s1
	s_abs_i32 s10, s2
	v_cvt_f32_u32_e32 v1, s10
	s_load_dwordx2 s[0:1], s[4:5], 0x50
	s_sub_i32 s3, 0, s10
	s_abs_i32 s11, s6
	v_rcp_iflag_f32_e32 v1, v1
	v_mul_f32_e32 v1, 0x4f7ffffe, v1
	v_cvt_u32_f32_e32 v1, v1
	v_readfirstlane_b32 s7, v1
	s_mul_i32 s3, s3, s7
	s_mul_hi_u32 s3, s7, s3
	s_add_i32 s7, s7, s3
	s_waitcnt lgkmcnt(0)
	s_cmp_eq_u64 s[0:1], 0
	s_mul_hi_u32 s12, s11, s7
	s_cbranch_scc1 .LBB269_3
; %bb.2:
	s_ashr_i32 s7, s6, 31
	s_lshl_b64 s[14:15], s[6:7], 2
	s_add_u32 s0, s0, s14
	s_addc_u32 s1, s1, s15
	s_load_dword s38, s[0:1], 0x0
.LBB269_3:
	s_load_dwordx4 s[16:19], s[4:5], 0x58
	s_movk_i32 s0, 0x60
	s_ashr_i32 s13, s6, 31
	s_ashr_i32 s14, s2, 31
	v_and_b32_e32 v4, 7, v0
	s_mul_i32 s24, s6, 0x60
	v_cmp_gt_u32_e64 s[0:1], s0, v0
	v_lshlrev_b32_e32 v1, 1, v0
	s_and_saveexec_b64 s[2:3], s[0:1]
	s_cbranch_execz .LBB269_5
; %bb.4:
	s_load_dwordx2 s[20:21], s[4:5], 0x18
	s_waitcnt lgkmcnt(0)
	s_mul_i32 s22, s28, s16
	s_ashr_i32 s23, s22, 31
	s_lshl_b64 s[22:23], s[22:23], 1
	v_lshrrev_b32_e32 v3, 2, v0
	s_add_u32 s7, s20, s22
	s_addc_u32 s15, s21, s23
	s_ashr_i32 s25, s24, 31
	s_lshl_b64 s[20:21], s[24:25], 1
	s_add_u32 s20, s7, s20
	s_addc_u32 s21, s15, s21
	global_load_ushort v2, v1, s[20:21]
	v_and_b32_e32 v3, 0xfe, v3
	v_mad_u32_u24 v3, v4, 24, v3
	s_waitcnt vmcnt(0)
	ds_write_b16 v3, v2
.LBB269_5:
	s_or_b64 exec, exec, s[2:3]
	s_add_i32 s2, s33, 7
	s_ashr_i32 s3, s2, 31
	s_lshr_b32 s3, s3, 29
	s_add_i32 s2, s2, s3
	s_lshl_b32 s7, s8, 6
	s_mul_i32 s3, s12, s10
	s_waitcnt lgkmcnt(0)
	s_ashr_i32 s16, s2, 3
	s_add_i32 s2, s7, 64
	s_sub_i32 s3, s11, s3
	s_min_i32 s48, s2, s16
	s_xor_b32 s2, s13, s14
	s_add_i32 s11, s12, 1
	s_sub_i32 s13, s3, s10
	s_cmp_ge_u32 s3, s10
	s_cselect_b32 s11, s11, s12
	s_cselect_b32 s3, s13, s3
	s_add_i32 s12, s11, 1
	s_cmp_ge_u32 s3, s10
	s_load_dwordx2 s[30:31], s[4:5], 0x38
	s_load_dword s10, s[4:5], 0x48
	v_lshrrev_b32_e32 v13, 6, v0
	s_cselect_b32 s3, s12, s11
	s_xor_b32 s3, s3, s2
	v_or_b32_e32 v2, s7, v13
	s_waitcnt lgkmcnt(0)
	s_mul_i32 s34, s28, s10
	s_sub_i32 s49, s3, s2
	s_ashr_i32 s35, s34, 31
	v_cmp_gt_i32_e64 s[2:3], s48, v2
	v_cmp_le_i32_e32 vcc, s48, v2
	v_mbcnt_lo_u32_b32 v11, -1, 0
	s_barrier
	s_waitcnt lgkmcnt(0)
                                        ; implicit-def: $sgpr19
                                        ; implicit-def: $vgpr5
                                        ; implicit-def: $vgpr10
	s_and_saveexec_b64 s[10:11], vcc
	s_xor_b64 s[10:11], exec, s[10:11]
; %bb.6:
	v_mbcnt_hi_u32_b32 v5, -1, v11
	v_and_b32_e32 v3, 64, v5
	v_add_u32_e32 v10, 64, v3
	s_mov_b32 s19, 0xff7fffff
                                        ; implicit-def: $vgpr4
                                        ; implicit-def: $vgpr11
; %bb.7:
	s_or_saveexec_b64 s[40:41], s[10:11]
	s_load_dwordx4 s[20:23], s[4:5], 0x0
	s_load_dwordx2 s[26:27], s[4:5], 0x10
	s_load_dword s25, s[4:5], 0x98
	s_load_dwordx2 s[36:37], s[4:5], 0x28
	s_load_dwordx4 s[12:15], s[4:5], 0x68
	v_mov_b32_e32 v14, s19
	s_mul_i32 s49, s49, s18
	v_ashrrev_i32_e32 v3, 31, v2
	s_xor_b64 exec, exec, s[40:41]
	s_cbranch_execz .LBB269_85
; %bb.8:
	s_load_dwordx2 s[4:5], s[4:5], 0x20
	s_ashr_i32 s10, s49, 31
	v_bfe_u32 v5, v0, 3, 3
	v_lshlrev_b32_e32 v8, 3, v13
	v_lshlrev_b32_e32 v6, 4, v5
	s_waitcnt lgkmcnt(0)
	s_add_u32 s4, s4, s49
	s_addc_u32 s5, s5, s10
	s_sub_i32 s51, 1, s33
	s_lshl_b64 s[10:11], s[34:35], 2
	v_add3_u32 v17, s29, v8, v5
	v_lshlrev_b32_e32 v5, 2, v5
	s_add_u32 s10, s30, s10
	v_mov_b32_e32 v7, s5
	v_add_co_u32_e32 v6, vcc, s4, v6
	v_lshl_or_b32 v5, v13, 5, v5
	v_lshlrev_b64 v[8:9], 2, v[2:3]
	s_addc_u32 s11, s31, s11
	v_addc_co_u32_e32 v7, vcc, 0, v7, vcc
	v_add_u32_e32 v18, 0xd0, v5
	v_mov_b32_e32 v5, s11
	v_add_co_u32_e64 v8, s[10:11], s10, v8
	s_mov_b32 s50, s17
	v_mov_b32_e32 v15, 0
	v_mul_u32_u24_e32 v16, 24, v4
	v_cmp_eq_u32_e32 vcc, 0, v4
	v_cmp_neq_f32_e64 s[4:5], s38, 0
	v_addc_co_u32_e64 v9, s[10:11], v5, v9, s[10:11]
	s_mov_b64 s[18:19], 0
	v_mov_b32_e32 v14, 0xff7fffff
	s_movk_i32 s52, 0x80
	s_movk_i32 s53, 0x7f
	v_mbcnt_hi_u32_b32 v5, -1, v11
	v_bfrev_b32_e32 v19, 60
	v_mov_b32_e32 v20, v2
	s_branch .LBB269_10
.LBB269_9:                              ;   in Loop: Header=BB269_10 Depth=1
	s_or_b64 exec, exec, s[42:43]
	v_add_u32_e32 v20, 2, v20
	v_cmp_le_i32_e64 s[10:11], s48, v20
	s_or_b64 s[18:19], s[10:11], s[18:19]
	v_add_co_u32_e64 v8, s[10:11], 8, v8
	v_add_u32_e32 v17, 16, v17
	v_add_u32_e32 v18, 64, v18
	v_addc_co_u32_e64 v9, s[10:11], 0, v9, s[10:11]
	s_andn2_b64 exec, exec, s[18:19]
	s_cbranch_execz .LBB269_84
.LBB269_10:                             ; =>This Inner Loop Header: Depth=1
	global_load_dword v10, v[8:9], off
	v_mov_b32_e32 v22, 0
	s_waitcnt vmcnt(0)
	v_mad_i64_i32 v[10:11], s[10:11], v10, s50, v[6:7]
	v_add_co_u32_e64 v10, s[10:11], v10, v4
	v_addc_co_u32_e64 v11, s[10:11], 0, v11, s[10:11]
	global_load_ubyte v23, v[10:11], off
	global_load_dword v21, v15, s[12:13]
	s_waitcnt vmcnt(1)
	v_cmp_ne_u16_e64 s[10:11], 0, v23
	s_and_saveexec_b64 s[42:43], s[10:11]
	s_cbranch_execz .LBB269_16
; %bb.11:                               ;   in Loop: Header=BB269_10 Depth=1
	v_cmp_ne_u16_e64 s[10:11], s52, v23
	v_bfrev_b32_e32 v22, 1
	s_and_saveexec_b64 s[44:45], s[10:11]
	s_cbranch_execz .LBB269_15
; %bb.12:                               ;   in Loop: Header=BB269_10 Depth=1
	s_waitcnt lgkmcnt(0)
	v_and_b32_e32 v12, 0xffff, v23
	v_and_b32_e32 v24, 0x7f, v12
	v_cmp_ne_u32_e64 s[10:11], s53, v24
	v_mov_b32_e32 v22, 0x7f800001
	s_and_saveexec_b64 s[46:47], s[10:11]
	s_cbranch_execz .LBB269_14
; %bb.13:                               ;   in Loop: Header=BB269_10 Depth=1
	v_and_b32_e32 v22, 7, v12
	v_ffbh_u32_e32 v26, v22
	v_min_u32_e32 v28, 32, v26
	v_subrev_u32_e32 v26, 28, v28
	v_lshlrev_b64 v[26:27], v26, v[12:13]
	v_lshrrev_b32_e32 v25, 3, v24
	v_sub_u32_e32 v12, 29, v28
	v_and_b32_e32 v26, 7, v26
	v_cmp_gt_u32_e64 s[10:11], 8, v24
	v_cndmask_b32_e64 v12, v25, v12, s[10:11]
	v_cndmask_b32_e64 v22, v22, v26, s[10:11]
	v_lshlrev_b32_e32 v23, 24, v23
	v_lshlrev_b32_e32 v22, 20, v22
	v_and_b32_e32 v23, 0x80000000, v23
	v_lshl_add_u32 v12, v12, 23, v19
	v_or3_b32 v22, v23, v12, v22
.LBB269_14:                             ;   in Loop: Header=BB269_10 Depth=1
	s_or_b64 exec, exec, s[46:47]
.LBB269_15:                             ;   in Loop: Header=BB269_10 Depth=1
	s_or_b64 exec, exec, s[44:45]
.LBB269_16:                             ;   in Loop: Header=BB269_10 Depth=1
	s_or_b64 exec, exec, s[42:43]
	global_load_ubyte v25, v[10:11], off offset:8
	v_mov_b32_e32 v23, 0
	v_mov_b32_e32 v24, 0
	s_waitcnt vmcnt(0)
	v_cmp_ne_u16_e64 s[10:11], 0, v25
	s_and_saveexec_b64 s[42:43], s[10:11]
	s_cbranch_execz .LBB269_22
; %bb.17:                               ;   in Loop: Header=BB269_10 Depth=1
	v_cmp_ne_u16_e64 s[10:11], s52, v25
	v_bfrev_b32_e32 v24, 1
	s_and_saveexec_b64 s[44:45], s[10:11]
	s_cbranch_execz .LBB269_21
; %bb.18:                               ;   in Loop: Header=BB269_10 Depth=1
	s_waitcnt lgkmcnt(0)
	v_and_b32_e32 v12, 0xffff, v25
	v_and_b32_e32 v26, 0x7f, v12
	v_cmp_ne_u32_e64 s[10:11], s53, v26
	v_mov_b32_e32 v24, 0x7f800001
	s_and_saveexec_b64 s[46:47], s[10:11]
	s_cbranch_execz .LBB269_20
; %bb.19:                               ;   in Loop: Header=BB269_10 Depth=1
	v_and_b32_e32 v24, 7, v12
	v_ffbh_u32_e32 v28, v24
	v_min_u32_e32 v30, 32, v28
	v_subrev_u32_e32 v28, 28, v30
	v_lshlrev_b64 v[28:29], v28, v[12:13]
	v_lshrrev_b32_e32 v27, 3, v26
	v_sub_u32_e32 v12, 29, v30
	v_and_b32_e32 v28, 7, v28
	v_cmp_gt_u32_e64 s[10:11], 8, v26
	v_cndmask_b32_e64 v12, v27, v12, s[10:11]
	v_cndmask_b32_e64 v24, v24, v28, s[10:11]
	v_lshlrev_b32_e32 v25, 24, v25
	v_lshlrev_b32_e32 v24, 20, v24
	v_and_b32_e32 v25, 0x80000000, v25
	v_lshl_add_u32 v12, v12, 23, v19
	v_or3_b32 v24, v25, v12, v24
.LBB269_20:                             ;   in Loop: Header=BB269_10 Depth=1
	s_or_b64 exec, exec, s[46:47]
.LBB269_21:                             ;   in Loop: Header=BB269_10 Depth=1
	s_or_b64 exec, exec, s[44:45]
.LBB269_22:                             ;   in Loop: Header=BB269_10 Depth=1
	s_or_b64 exec, exec, s[42:43]
	global_load_ubyte v25, v[10:11], off offset:128
	s_waitcnt vmcnt(0)
	v_cmp_ne_u16_e64 s[10:11], 0, v25
	s_and_saveexec_b64 s[42:43], s[10:11]
	s_cbranch_execz .LBB269_28
; %bb.23:                               ;   in Loop: Header=BB269_10 Depth=1
	v_cmp_ne_u16_e64 s[10:11], s52, v25
	v_bfrev_b32_e32 v23, 1
	s_and_saveexec_b64 s[44:45], s[10:11]
	s_cbranch_execz .LBB269_27
; %bb.24:                               ;   in Loop: Header=BB269_10 Depth=1
	s_waitcnt lgkmcnt(0)
	v_and_b32_e32 v12, 0xffff, v25
	v_and_b32_e32 v26, 0x7f, v12
	v_cmp_ne_u32_e64 s[10:11], s53, v26
	v_mov_b32_e32 v23, 0x7f800001
	s_and_saveexec_b64 s[46:47], s[10:11]
	s_cbranch_execz .LBB269_26
; %bb.25:                               ;   in Loop: Header=BB269_10 Depth=1
	v_and_b32_e32 v23, 7, v12
	v_ffbh_u32_e32 v28, v23
	v_min_u32_e32 v30, 32, v28
	v_subrev_u32_e32 v28, 28, v30
	v_lshlrev_b64 v[28:29], v28, v[12:13]
	v_lshrrev_b32_e32 v27, 3, v26
	v_sub_u32_e32 v12, 29, v30
	v_and_b32_e32 v28, 7, v28
	v_cmp_gt_u32_e64 s[10:11], 8, v26
	v_cndmask_b32_e64 v12, v27, v12, s[10:11]
	v_cndmask_b32_e64 v23, v23, v28, s[10:11]
	v_lshlrev_b32_e32 v25, 24, v25
	v_lshlrev_b32_e32 v23, 20, v23
	v_and_b32_e32 v25, 0x80000000, v25
	v_lshl_add_u32 v12, v12, 23, v19
	v_or3_b32 v23, v25, v12, v23
.LBB269_26:                             ;   in Loop: Header=BB269_10 Depth=1
	s_or_b64 exec, exec, s[46:47]
.LBB269_27:                             ;   in Loop: Header=BB269_10 Depth=1
	s_or_b64 exec, exec, s[44:45]
.LBB269_28:                             ;   in Loop: Header=BB269_10 Depth=1
	s_or_b64 exec, exec, s[42:43]
	global_load_ubyte v27, v[10:11], off offset:136
	v_mov_b32_e32 v25, 0
	v_mov_b32_e32 v26, 0
	s_waitcnt vmcnt(0)
	v_cmp_ne_u16_e64 s[10:11], 0, v27
	s_and_saveexec_b64 s[42:43], s[10:11]
	s_cbranch_execz .LBB269_34
; %bb.29:                               ;   in Loop: Header=BB269_10 Depth=1
	v_cmp_ne_u16_e64 s[10:11], s52, v27
	v_bfrev_b32_e32 v26, 1
	s_and_saveexec_b64 s[44:45], s[10:11]
	s_cbranch_execz .LBB269_33
; %bb.30:                               ;   in Loop: Header=BB269_10 Depth=1
	s_waitcnt lgkmcnt(0)
	v_and_b32_e32 v12, 0xffff, v27
	v_and_b32_e32 v28, 0x7f, v12
	v_cmp_ne_u32_e64 s[10:11], s53, v28
	v_mov_b32_e32 v26, 0x7f800001
	s_and_saveexec_b64 s[46:47], s[10:11]
	s_cbranch_execz .LBB269_32
; %bb.31:                               ;   in Loop: Header=BB269_10 Depth=1
	v_and_b32_e32 v26, 7, v12
	v_ffbh_u32_e32 v30, v26
	v_min_u32_e32 v32, 32, v30
	v_subrev_u32_e32 v30, 28, v32
	v_lshlrev_b64 v[30:31], v30, v[12:13]
	v_lshrrev_b32_e32 v29, 3, v28
	v_sub_u32_e32 v12, 29, v32
	v_and_b32_e32 v30, 7, v30
	v_cmp_gt_u32_e64 s[10:11], 8, v28
	v_cndmask_b32_e64 v12, v29, v12, s[10:11]
	v_cndmask_b32_e64 v26, v26, v30, s[10:11]
	v_lshlrev_b32_e32 v27, 24, v27
	v_lshlrev_b32_e32 v26, 20, v26
	v_and_b32_e32 v27, 0x80000000, v27
	v_lshl_add_u32 v12, v12, 23, v19
	v_or3_b32 v26, v27, v12, v26
.LBB269_32:                             ;   in Loop: Header=BB269_10 Depth=1
	s_or_b64 exec, exec, s[46:47]
.LBB269_33:                             ;   in Loop: Header=BB269_10 Depth=1
	s_or_b64 exec, exec, s[44:45]
.LBB269_34:                             ;   in Loop: Header=BB269_10 Depth=1
	s_or_b64 exec, exec, s[42:43]
	global_load_ubyte v27, v[10:11], off offset:256
	s_waitcnt vmcnt(0)
	v_cmp_ne_u16_e64 s[10:11], 0, v27
	s_and_saveexec_b64 s[42:43], s[10:11]
	s_cbranch_execz .LBB269_40
; %bb.35:                               ;   in Loop: Header=BB269_10 Depth=1
	v_cmp_ne_u16_e64 s[10:11], s52, v27
	v_bfrev_b32_e32 v25, 1
	s_and_saveexec_b64 s[44:45], s[10:11]
	s_cbranch_execz .LBB269_39
; %bb.36:                               ;   in Loop: Header=BB269_10 Depth=1
	s_waitcnt lgkmcnt(0)
	v_and_b32_e32 v12, 0xffff, v27
	v_and_b32_e32 v28, 0x7f, v12
	v_cmp_ne_u32_e64 s[10:11], s53, v28
	v_mov_b32_e32 v25, 0x7f800001
	s_and_saveexec_b64 s[46:47], s[10:11]
	s_cbranch_execz .LBB269_38
; %bb.37:                               ;   in Loop: Header=BB269_10 Depth=1
	v_and_b32_e32 v25, 7, v12
	v_ffbh_u32_e32 v30, v25
	v_min_u32_e32 v32, 32, v30
	v_subrev_u32_e32 v30, 28, v32
	v_lshlrev_b64 v[30:31], v30, v[12:13]
	v_lshrrev_b32_e32 v29, 3, v28
	v_sub_u32_e32 v12, 29, v32
	v_and_b32_e32 v30, 7, v30
	v_cmp_gt_u32_e64 s[10:11], 8, v28
	v_cndmask_b32_e64 v12, v29, v12, s[10:11]
	v_cndmask_b32_e64 v25, v25, v30, s[10:11]
	v_lshlrev_b32_e32 v27, 24, v27
	v_lshlrev_b32_e32 v25, 20, v25
	v_and_b32_e32 v27, 0x80000000, v27
	v_lshl_add_u32 v12, v12, 23, v19
	v_or3_b32 v25, v27, v12, v25
.LBB269_38:                             ;   in Loop: Header=BB269_10 Depth=1
	s_or_b64 exec, exec, s[46:47]
.LBB269_39:                             ;   in Loop: Header=BB269_10 Depth=1
	s_or_b64 exec, exec, s[44:45]
.LBB269_40:                             ;   in Loop: Header=BB269_10 Depth=1
	s_or_b64 exec, exec, s[42:43]
	global_load_ubyte v29, v[10:11], off offset:264
	v_mov_b32_e32 v27, 0
	v_mov_b32_e32 v28, 0
	s_waitcnt vmcnt(0)
	v_cmp_ne_u16_e64 s[10:11], 0, v29
	s_and_saveexec_b64 s[42:43], s[10:11]
	s_cbranch_execz .LBB269_46
; %bb.41:                               ;   in Loop: Header=BB269_10 Depth=1
	v_cmp_ne_u16_e64 s[10:11], s52, v29
	v_bfrev_b32_e32 v28, 1
	s_and_saveexec_b64 s[44:45], s[10:11]
	s_cbranch_execz .LBB269_45
; %bb.42:                               ;   in Loop: Header=BB269_10 Depth=1
	s_waitcnt lgkmcnt(0)
	v_and_b32_e32 v12, 0xffff, v29
	v_and_b32_e32 v30, 0x7f, v12
	v_cmp_ne_u32_e64 s[10:11], s53, v30
	v_mov_b32_e32 v28, 0x7f800001
	s_and_saveexec_b64 s[46:47], s[10:11]
	s_cbranch_execz .LBB269_44
; %bb.43:                               ;   in Loop: Header=BB269_10 Depth=1
	v_and_b32_e32 v28, 7, v12
	v_ffbh_u32_e32 v32, v28
	v_min_u32_e32 v34, 32, v32
	v_subrev_u32_e32 v32, 28, v34
	v_lshlrev_b64 v[32:33], v32, v[12:13]
	v_lshrrev_b32_e32 v31, 3, v30
	v_sub_u32_e32 v12, 29, v34
	v_and_b32_e32 v32, 7, v32
	v_cmp_gt_u32_e64 s[10:11], 8, v30
	v_cndmask_b32_e64 v12, v31, v12, s[10:11]
	v_cndmask_b32_e64 v28, v28, v32, s[10:11]
	v_lshlrev_b32_e32 v29, 24, v29
	v_lshlrev_b32_e32 v28, 20, v28
	v_and_b32_e32 v29, 0x80000000, v29
	v_lshl_add_u32 v12, v12, 23, v19
	v_or3_b32 v28, v29, v12, v28
.LBB269_44:                             ;   in Loop: Header=BB269_10 Depth=1
	s_or_b64 exec, exec, s[46:47]
.LBB269_45:                             ;   in Loop: Header=BB269_10 Depth=1
	s_or_b64 exec, exec, s[44:45]
.LBB269_46:                             ;   in Loop: Header=BB269_10 Depth=1
	s_or_b64 exec, exec, s[42:43]
	global_load_ubyte v29, v[10:11], off offset:384
	s_waitcnt vmcnt(0)
	v_cmp_ne_u16_e64 s[10:11], 0, v29
	s_and_saveexec_b64 s[42:43], s[10:11]
	s_cbranch_execz .LBB269_52
; %bb.47:                               ;   in Loop: Header=BB269_10 Depth=1
	v_cmp_ne_u16_e64 s[10:11], s52, v29
	v_bfrev_b32_e32 v27, 1
	s_and_saveexec_b64 s[44:45], s[10:11]
	s_cbranch_execz .LBB269_51
; %bb.48:                               ;   in Loop: Header=BB269_10 Depth=1
	s_waitcnt lgkmcnt(0)
	v_and_b32_e32 v12, 0xffff, v29
	v_and_b32_e32 v30, 0x7f, v12
	v_cmp_ne_u32_e64 s[10:11], s53, v30
	v_mov_b32_e32 v27, 0x7f800001
	s_and_saveexec_b64 s[46:47], s[10:11]
	s_cbranch_execz .LBB269_50
; %bb.49:                               ;   in Loop: Header=BB269_10 Depth=1
	v_and_b32_e32 v27, 7, v12
	v_ffbh_u32_e32 v32, v27
	v_min_u32_e32 v34, 32, v32
	v_subrev_u32_e32 v32, 28, v34
	v_lshlrev_b64 v[32:33], v32, v[12:13]
	v_lshrrev_b32_e32 v31, 3, v30
	v_sub_u32_e32 v12, 29, v34
	v_and_b32_e32 v32, 7, v32
	v_cmp_gt_u32_e64 s[10:11], 8, v30
	v_cndmask_b32_e64 v12, v31, v12, s[10:11]
	v_cndmask_b32_e64 v27, v27, v32, s[10:11]
	v_lshlrev_b32_e32 v29, 24, v29
	v_lshlrev_b32_e32 v27, 20, v27
	v_and_b32_e32 v29, 0x80000000, v29
	v_lshl_add_u32 v12, v12, 23, v19
	v_or3_b32 v27, v29, v12, v27
.LBB269_50:                             ;   in Loop: Header=BB269_10 Depth=1
	s_or_b64 exec, exec, s[46:47]
.LBB269_51:                             ;   in Loop: Header=BB269_10 Depth=1
	s_or_b64 exec, exec, s[44:45]
.LBB269_52:                             ;   in Loop: Header=BB269_10 Depth=1
	s_or_b64 exec, exec, s[42:43]
	global_load_ubyte v31, v[10:11], off offset:392
	v_mov_b32_e32 v29, 0
	v_mov_b32_e32 v30, 0
	s_waitcnt vmcnt(0)
	v_cmp_ne_u16_e64 s[10:11], 0, v31
	s_and_saveexec_b64 s[42:43], s[10:11]
	s_cbranch_execz .LBB269_58
; %bb.53:                               ;   in Loop: Header=BB269_10 Depth=1
	v_cmp_ne_u16_e64 s[10:11], s52, v31
	v_bfrev_b32_e32 v30, 1
	s_and_saveexec_b64 s[44:45], s[10:11]
	s_cbranch_execz .LBB269_57
; %bb.54:                               ;   in Loop: Header=BB269_10 Depth=1
	s_waitcnt lgkmcnt(0)
	v_and_b32_e32 v12, 0xffff, v31
	v_and_b32_e32 v32, 0x7f, v12
	v_cmp_ne_u32_e64 s[10:11], s53, v32
	v_mov_b32_e32 v30, 0x7f800001
	s_and_saveexec_b64 s[46:47], s[10:11]
	s_cbranch_execz .LBB269_56
; %bb.55:                               ;   in Loop: Header=BB269_10 Depth=1
	v_and_b32_e32 v30, 7, v12
	v_ffbh_u32_e32 v34, v30
	v_min_u32_e32 v36, 32, v34
	v_subrev_u32_e32 v34, 28, v36
	v_lshlrev_b64 v[34:35], v34, v[12:13]
	v_lshrrev_b32_e32 v33, 3, v32
	v_sub_u32_e32 v12, 29, v36
	v_and_b32_e32 v34, 7, v34
	v_cmp_gt_u32_e64 s[10:11], 8, v32
	v_cndmask_b32_e64 v12, v33, v12, s[10:11]
	v_cndmask_b32_e64 v30, v30, v34, s[10:11]
	v_lshlrev_b32_e32 v31, 24, v31
	v_lshlrev_b32_e32 v30, 20, v30
	v_and_b32_e32 v31, 0x80000000, v31
	v_lshl_add_u32 v12, v12, 23, v19
	v_or3_b32 v30, v31, v12, v30
.LBB269_56:                             ;   in Loop: Header=BB269_10 Depth=1
	s_or_b64 exec, exec, s[46:47]
.LBB269_57:                             ;   in Loop: Header=BB269_10 Depth=1
	s_or_b64 exec, exec, s[44:45]
.LBB269_58:                             ;   in Loop: Header=BB269_10 Depth=1
	s_or_b64 exec, exec, s[42:43]
	global_load_ubyte v31, v[10:11], off offset:512
	s_waitcnt vmcnt(0)
	v_cmp_ne_u16_e64 s[10:11], 0, v31
	s_and_saveexec_b64 s[42:43], s[10:11]
	s_cbranch_execz .LBB269_64
; %bb.59:                               ;   in Loop: Header=BB269_10 Depth=1
	v_cmp_ne_u16_e64 s[10:11], s52, v31
	v_bfrev_b32_e32 v29, 1
	s_and_saveexec_b64 s[44:45], s[10:11]
	s_cbranch_execz .LBB269_63
; %bb.60:                               ;   in Loop: Header=BB269_10 Depth=1
	s_waitcnt lgkmcnt(0)
	v_and_b32_e32 v12, 0xffff, v31
	v_and_b32_e32 v32, 0x7f, v12
	v_cmp_ne_u32_e64 s[10:11], s53, v32
	v_mov_b32_e32 v29, 0x7f800001
	s_and_saveexec_b64 s[46:47], s[10:11]
	s_cbranch_execz .LBB269_62
; %bb.61:                               ;   in Loop: Header=BB269_10 Depth=1
	v_and_b32_e32 v29, 7, v12
	v_ffbh_u32_e32 v34, v29
	v_min_u32_e32 v36, 32, v34
	v_subrev_u32_e32 v34, 28, v36
	v_lshlrev_b64 v[34:35], v34, v[12:13]
	v_lshrrev_b32_e32 v33, 3, v32
	v_sub_u32_e32 v12, 29, v36
	v_and_b32_e32 v34, 7, v34
	v_cmp_gt_u32_e64 s[10:11], 8, v32
	v_cndmask_b32_e64 v12, v33, v12, s[10:11]
	v_cndmask_b32_e64 v29, v29, v34, s[10:11]
	v_lshlrev_b32_e32 v31, 24, v31
	v_lshlrev_b32_e32 v29, 20, v29
	v_and_b32_e32 v31, 0x80000000, v31
	v_lshl_add_u32 v12, v12, 23, v19
	v_or3_b32 v29, v31, v12, v29
.LBB269_62:                             ;   in Loop: Header=BB269_10 Depth=1
	s_or_b64 exec, exec, s[46:47]
.LBB269_63:                             ;   in Loop: Header=BB269_10 Depth=1
	s_or_b64 exec, exec, s[44:45]
.LBB269_64:                             ;   in Loop: Header=BB269_10 Depth=1
	s_or_b64 exec, exec, s[42:43]
	global_load_ubyte v33, v[10:11], off offset:520
	v_mov_b32_e32 v31, 0
	v_mov_b32_e32 v32, 0
	s_waitcnt vmcnt(0)
	v_cmp_ne_u16_e64 s[10:11], 0, v33
	s_and_saveexec_b64 s[42:43], s[10:11]
	s_cbranch_execz .LBB269_70
; %bb.65:                               ;   in Loop: Header=BB269_10 Depth=1
	v_cmp_ne_u16_e64 s[10:11], s52, v33
	v_bfrev_b32_e32 v32, 1
	s_and_saveexec_b64 s[44:45], s[10:11]
	s_cbranch_execz .LBB269_69
; %bb.66:                               ;   in Loop: Header=BB269_10 Depth=1
	s_waitcnt lgkmcnt(0)
	v_and_b32_e32 v12, 0xffff, v33
	v_and_b32_e32 v34, 0x7f, v12
	v_cmp_ne_u32_e64 s[10:11], s53, v34
	v_mov_b32_e32 v32, 0x7f800001
	s_and_saveexec_b64 s[46:47], s[10:11]
	s_cbranch_execz .LBB269_68
; %bb.67:                               ;   in Loop: Header=BB269_10 Depth=1
	v_and_b32_e32 v32, 7, v12
	v_ffbh_u32_e32 v36, v32
	v_min_u32_e32 v38, 32, v36
	v_subrev_u32_e32 v36, 28, v38
	v_lshlrev_b64 v[36:37], v36, v[12:13]
	v_lshrrev_b32_e32 v35, 3, v34
	v_sub_u32_e32 v12, 29, v38
	v_and_b32_e32 v36, 7, v36
	v_cmp_gt_u32_e64 s[10:11], 8, v34
	v_cndmask_b32_e64 v12, v35, v12, s[10:11]
	v_cndmask_b32_e64 v32, v32, v36, s[10:11]
	v_lshlrev_b32_e32 v33, 24, v33
	v_lshlrev_b32_e32 v32, 20, v32
	v_and_b32_e32 v33, 0x80000000, v33
	v_lshl_add_u32 v12, v12, 23, v19
	v_or3_b32 v32, v33, v12, v32
.LBB269_68:                             ;   in Loop: Header=BB269_10 Depth=1
	s_or_b64 exec, exec, s[46:47]
.LBB269_69:                             ;   in Loop: Header=BB269_10 Depth=1
	s_or_b64 exec, exec, s[44:45]
.LBB269_70:                             ;   in Loop: Header=BB269_10 Depth=1
	s_or_b64 exec, exec, s[42:43]
	global_load_ubyte v33, v[10:11], off offset:640
	s_waitcnt vmcnt(0)
	v_cmp_ne_u16_e64 s[10:11], 0, v33
	s_and_saveexec_b64 s[42:43], s[10:11]
	s_cbranch_execz .LBB269_76
; %bb.71:                               ;   in Loop: Header=BB269_10 Depth=1
	v_cmp_ne_u16_e64 s[10:11], s52, v33
	v_bfrev_b32_e32 v31, 1
	s_and_saveexec_b64 s[44:45], s[10:11]
	s_cbranch_execz .LBB269_75
; %bb.72:                               ;   in Loop: Header=BB269_10 Depth=1
	s_waitcnt lgkmcnt(0)
	v_and_b32_e32 v12, 0xffff, v33
	v_and_b32_e32 v34, 0x7f, v12
	v_cmp_ne_u32_e64 s[10:11], s53, v34
	v_mov_b32_e32 v31, 0x7f800001
	s_and_saveexec_b64 s[46:47], s[10:11]
	s_cbranch_execz .LBB269_74
; %bb.73:                               ;   in Loop: Header=BB269_10 Depth=1
	v_and_b32_e32 v31, 7, v12
	v_ffbh_u32_e32 v36, v31
	v_min_u32_e32 v38, 32, v36
	v_subrev_u32_e32 v36, 28, v38
	v_lshlrev_b64 v[36:37], v36, v[12:13]
	v_lshrrev_b32_e32 v35, 3, v34
	v_sub_u32_e32 v12, 29, v38
	v_and_b32_e32 v36, 7, v36
	v_cmp_gt_u32_e64 s[10:11], 8, v34
	v_cndmask_b32_e64 v12, v35, v12, s[10:11]
	v_cndmask_b32_e64 v31, v31, v36, s[10:11]
	v_lshlrev_b32_e32 v33, 24, v33
	v_lshlrev_b32_e32 v31, 20, v31
	v_and_b32_e32 v33, 0x80000000, v33
	v_lshl_add_u32 v12, v12, 23, v19
	v_or3_b32 v31, v33, v12, v31
.LBB269_74:                             ;   in Loop: Header=BB269_10 Depth=1
	s_or_b64 exec, exec, s[46:47]
.LBB269_75:                             ;   in Loop: Header=BB269_10 Depth=1
	s_or_b64 exec, exec, s[44:45]
.LBB269_76:                             ;   in Loop: Header=BB269_10 Depth=1
	s_or_b64 exec, exec, s[42:43]
	s_waitcnt lgkmcnt(0)
	global_load_ubyte v12, v[10:11], off offset:648
	v_mov_b32_e32 v11, 0
	s_waitcnt vmcnt(0)
	v_cmp_ne_u16_e64 s[10:11], 0, v12
	s_and_saveexec_b64 s[42:43], s[10:11]
	s_cbranch_execz .LBB269_82
; %bb.77:                               ;   in Loop: Header=BB269_10 Depth=1
	v_cmp_ne_u16_e64 s[10:11], s52, v12
	v_bfrev_b32_e32 v11, 1
	s_and_saveexec_b64 s[44:45], s[10:11]
	s_cbranch_execz .LBB269_81
; %bb.78:                               ;   in Loop: Header=BB269_10 Depth=1
	v_and_b32_e32 v10, 0xffff, v12
	v_and_b32_e32 v33, 0x7f, v10
	v_cmp_ne_u32_e64 s[10:11], s53, v33
	v_mov_b32_e32 v11, 0x7f800001
	s_and_saveexec_b64 s[46:47], s[10:11]
	s_cbranch_execz .LBB269_80
; %bb.79:                               ;   in Loop: Header=BB269_10 Depth=1
	v_and_b32_e32 v34, 7, v10
	v_ffbh_u32_e32 v11, v34
	v_min_u32_e32 v36, 32, v11
	v_subrev_u32_e32 v11, 28, v36
	v_lshlrev_b64 v[10:11], v11, v[10:11]
	v_lshrrev_b32_e32 v35, 3, v33
	v_sub_u32_e32 v11, 29, v36
	v_and_b32_e32 v10, 7, v10
	v_cmp_gt_u32_e64 s[10:11], 8, v33
	v_cndmask_b32_e64 v11, v35, v11, s[10:11]
	v_cndmask_b32_e64 v10, v34, v10, s[10:11]
	v_lshlrev_b32_e32 v12, 24, v12
	v_lshlrev_b32_e32 v10, 20, v10
	v_and_b32_e32 v12, 0x80000000, v12
	v_lshl_add_u32 v11, v11, 23, v19
	v_or3_b32 v11, v12, v11, v10
.LBB269_80:                             ;   in Loop: Header=BB269_10 Depth=1
	s_or_b64 exec, exec, s[46:47]
.LBB269_81:                             ;   in Loop: Header=BB269_10 Depth=1
	s_or_b64 exec, exec, s[44:45]
.LBB269_82:                             ;   in Loop: Header=BB269_10 Depth=1
	s_or_b64 exec, exec, s[42:43]
	v_fma_mixlo_f16 v12, v21, v22, 0
	ds_read_u16 v10, v16
	v_and_b32_e32 v12, 0xffff, v12
	v_fma_mixlo_f16 v24, v21, v24, 0
	s_waitcnt lgkmcnt(0)
	;;#ASMSTART
	v_cvt_f32_f16 v10, v10;
	;;#ASMEND
	;;#ASMSTART
	v_cvt_f32_f16 v12, v12;
	;;#ASMEND
	ds_read_u16 v22, v16 offset:2
	v_and_b32_e32 v24, 0xffff, v24
	s_waitcnt lgkmcnt(0)
	;;#ASMSTART
	v_cvt_f32_f16 v22, v22;
	;;#ASMEND
	;;#ASMSTART
	v_cvt_f32_f16 v24, v24;
	;;#ASMEND
	v_fma_mixlo_f16 v23, v21, v23, 0
	v_fma_mixlo_f16 v26, v21, v26, 0
	;; [unrolled: 1-line block ×10, first 2 shown]
	v_mul_f32_e32 v21, v22, v24
	ds_read_u16 v33, v16 offset:4
	v_and_b32_e32 v23, 0xffff, v23
	v_fmac_f32_e32 v21, v10, v12
	s_waitcnt lgkmcnt(0)
	;;#ASMSTART
	v_cvt_f32_f16 v33, v33;
	;;#ASMEND
	;;#ASMSTART
	v_cvt_f32_f16 v23, v23;
	;;#ASMEND
	ds_read_u16 v34, v16 offset:6
	v_and_b32_e32 v26, 0xffff, v26
	v_fmac_f32_e32 v21, v33, v23
	s_waitcnt lgkmcnt(0)
	;;#ASMSTART
	v_cvt_f32_f16 v34, v34;
	;;#ASMEND
	;;#ASMSTART
	v_cvt_f32_f16 v26, v26;
	;;#ASMEND
	;; [unrolled: 10-line block ×7, first 2 shown]
	v_and_b32_e32 v12, 0xffff, v32
	v_fmac_f32_e32 v21, v39, v29
	ds_read_u16 v40, v16 offset:18
	s_waitcnt lgkmcnt(0)
	;;#ASMSTART
	v_cvt_f32_f16 v10, v40;
	;;#ASMEND
	;;#ASMSTART
	v_cvt_f32_f16 v12, v12;
	;;#ASMEND
	ds_read_u16 v22, v16 offset:20
	v_and_b32_e32 v23, 0xffff, v31
	v_fmac_f32_e32 v21, v10, v12
	s_waitcnt lgkmcnt(0)
	;;#ASMSTART
	v_cvt_f32_f16 v22, v22;
	;;#ASMEND
	;;#ASMSTART
	v_cvt_f32_f16 v23, v23;
	;;#ASMEND
	ds_read_u16 v24, v16 offset:22
	v_fmac_f32_e32 v21, v22, v23
	s_waitcnt lgkmcnt(0)
	;;#ASMSTART
	v_cvt_f32_f16 v10, v24;
	;;#ASMEND
	v_and_b32_e32 v11, 0xffff, v11
	;;#ASMSTART
	v_cvt_f32_f16 v11, v11;
	;;#ASMEND
	v_fmac_f32_e32 v21, v10, v11
	v_and_b32_e32 v10, 64, v5
	v_add_u32_e32 v10, 64, v10
	v_xor_b32_e32 v11, 4, v5
	v_cmp_lt_i32_e64 s[10:11], v11, v10
	v_cndmask_b32_e64 v11, v5, v11, s[10:11]
	v_lshlrev_b32_e32 v11, 2, v11
	ds_bpermute_b32 v11, v11, v21
	v_xor_b32_e32 v12, 2, v5
	v_cmp_lt_i32_e64 s[10:11], v12, v10
	v_cndmask_b32_e64 v12, v5, v12, s[10:11]
	v_lshlrev_b32_e32 v12, 2, v12
	s_waitcnt lgkmcnt(0)
	v_add_f32_e32 v11, v21, v11
	ds_bpermute_b32 v12, v12, v11
	s_waitcnt lgkmcnt(0)
	v_add_f32_e32 v11, v11, v12
	v_xor_b32_e32 v12, 1, v5
	v_cmp_lt_i32_e64 s[10:11], v12, v10
	v_cndmask_b32_e64 v12, v5, v12, s[10:11]
	v_lshlrev_b32_e32 v12, 2, v12
	ds_bpermute_b32 v12, v12, v11
	s_and_saveexec_b64 s[42:43], vcc
	s_cbranch_execz .LBB269_9
; %bb.83:                               ;   in Loop: Header=BB269_10 Depth=1
	v_add_u32_e32 v21, s51, v17
	v_cvt_f32_i32_e32 v21, v21
	s_waitcnt lgkmcnt(0)
	v_add_f32_e32 v11, v11, v12
	v_cmp_gt_i32_e64 s[10:11], s33, v17
	v_max_f32_e32 v12, v14, v14
	v_mul_f32_e32 v21, s38, v21
	v_cndmask_b32_e64 v21, 0, v21, s[4:5]
	v_fmac_f32_e32 v21, s39, v11
	v_cndmask_b32_e64 v11, 0, v21, s[10:11]
	ds_write_b32 v18, v11
	v_max_f32_e32 v11, v12, v21
	v_cndmask_b32_e64 v14, v14, v11, s[10:11]
	s_branch .LBB269_9
.LBB269_84:
	s_or_b64 exec, exec, s[18:19]
.LBB269_85:
	s_or_b64 exec, exec, s[40:41]
	v_xor_b32_e32 v4, 32, v5
	v_cmp_lt_i32_e32 vcc, v4, v10
	v_cndmask_b32_e32 v4, v5, v4, vcc
	v_lshlrev_b32_e32 v8, 2, v4
	ds_bpermute_b32 v4, v8, v14
	v_xor_b32_e32 v7, 16, v5
	v_max_f32_e32 v6, v14, v14
	v_cmp_lt_i32_e32 vcc, v7, v10
	s_waitcnt lgkmcnt(0)
	v_max_f32_e32 v4, v4, v4
	v_max_f32_e32 v4, v6, v4
	v_cndmask_b32_e32 v6, v5, v7, vcc
	v_lshlrev_b32_e32 v11, 2, v6
	ds_bpermute_b32 v6, v11, v4
	v_xor_b32_e32 v7, 8, v5
	v_cmp_lt_i32_e32 vcc, v7, v10
	s_waitcnt lgkmcnt(0)
	v_max_f32_e32 v6, v6, v6
	v_max_f32_e32 v6, v4, v6
	v_cndmask_b32_e32 v4, v5, v7, vcc
	v_lshlrev_b32_e32 v12, 2, v4
	ds_bpermute_b32 v9, v12, v6
	v_and_b32_e32 v7, 63, v0
	v_cmp_eq_u32_e32 vcc, 0, v7
	v_lshlrev_b32_e32 v4, 2, v13
	s_and_saveexec_b64 s[4:5], vcc
	s_cbranch_execz .LBB269_87
; %bb.86:
	s_waitcnt lgkmcnt(0)
	v_max_f32_e32 v9, v9, v9
	v_max_f32_e32 v6, v6, v6
	;; [unrolled: 1-line block ×3, first 2 shown]
	ds_write_b32 v4, v6 offset:192
.LBB269_87:
	s_or_b64 exec, exec, s[4:5]
	v_cmp_gt_u32_e64 s[4:5], 2, v7
	v_mov_b32_e32 v6, 0xff7fffff
	s_waitcnt lgkmcnt(0)
	v_lshlrev_b32_e32 v9, 2, v7
	s_barrier
	s_and_saveexec_b64 s[10:11], s[4:5]
	s_cbranch_execz .LBB269_89
; %bb.88:
	ds_read_b32 v6, v9 offset:192
.LBB269_89:
	s_or_b64 exec, exec, s[10:11]
	v_xor_b32_e32 v14, 1, v5
	v_cmp_lt_i32_e64 s[10:11], v14, v10
	v_cndmask_b32_e64 v14, v5, v14, s[10:11]
	v_lshlrev_b32_e32 v14, 2, v14
	s_waitcnt lgkmcnt(0)
	ds_bpermute_b32 v15, v14, v6
	v_max_f32_e32 v6, v6, v6
	s_sub_i32 s7, s48, s7
	s_lshl_b32 s7, s7, 3
	s_add_i32 s7, s7, s29
	s_waitcnt lgkmcnt(0)
	v_max_f32_e32 v15, v15, v15
	v_max_f32_e32 v6, v6, v15
	v_lshlrev_b32_e32 v15, 2, v5
	v_and_b32_e32 v15, 0xffffff00, v15
	ds_bpermute_b32 v6, v15, v6
	s_min_i32 s40, s7, s33
	s_sub_i32 s7, s40, s29
	v_cmp_gt_i32_e64 s[10:11], s7, v0
	v_mov_b32_e32 v16, 0
	s_and_saveexec_b64 s[18:19], s[10:11]
	s_cbranch_execz .LBB269_93
; %bb.90:
	v_mov_b32_e32 v16, 0xd0
	v_lshl_add_u32 v17, v0, 2, v16
	s_mov_b64 s[38:39], 0
	v_mov_b32_e32 v16, 0
	v_mov_b32_e32 v18, v0
.LBB269_91:                             ; =>This Inner Loop Header: Depth=1
	ds_read_b32 v19, v17
	v_add_u32_e32 v18, 0x80, v18
	v_cmp_le_i32_e64 s[12:13], s7, v18
	s_or_b64 s[38:39], s[12:13], s[38:39]
	s_waitcnt lgkmcnt(0)
	v_sub_f32_e32 v19, v19, v6
	v_mul_f32_e32 v19, 0x3fb8aa3b, v19
	v_exp_f32_e32 v19, v19
	ds_write_b32 v17, v19
	v_add_f32_e32 v16, v16, v19
	v_add_u32_e32 v17, 0x200, v17
	s_andn2_b64 exec, exec, s[38:39]
	s_cbranch_execnz .LBB269_91
; %bb.92:
	s_or_b64 exec, exec, s[38:39]
.LBB269_93:
	s_or_b64 exec, exec, s[18:19]
	ds_bpermute_b32 v8, v8, v16
	s_waitcnt lgkmcnt(0)
	v_add_f32_e32 v8, v16, v8
	ds_bpermute_b32 v11, v11, v8
	s_waitcnt lgkmcnt(0)
	v_add_f32_e32 v8, v8, v11
	ds_bpermute_b32 v11, v12, v8
	v_xor_b32_e32 v12, 4, v5
	v_cmp_lt_i32_e64 s[12:13], v12, v10
	v_cndmask_b32_e64 v12, v5, v12, s[12:13]
	v_lshlrev_b32_e32 v12, 2, v12
	s_waitcnt lgkmcnt(0)
	v_add_f32_e32 v8, v8, v11
	ds_bpermute_b32 v11, v12, v8
	v_xor_b32_e32 v12, 2, v5
	v_cmp_lt_i32_e64 s[12:13], v12, v10
	v_cndmask_b32_e64 v5, v5, v12, s[12:13]
	v_lshlrev_b32_e32 v5, 2, v5
	s_waitcnt lgkmcnt(0)
	v_add_f32_e32 v8, v8, v11
	ds_bpermute_b32 v5, v5, v8
	s_waitcnt lgkmcnt(0)
	v_add_f32_e32 v5, v8, v5
	ds_bpermute_b32 v8, v14, v5
	s_waitcnt lgkmcnt(0)
	v_add_f32_e32 v5, v5, v8
	s_and_saveexec_b64 s[12:13], vcc
	s_cbranch_execz .LBB269_95
; %bb.94:
	ds_write_b32 v4, v5 offset:200
.LBB269_95:
	s_or_b64 exec, exec, s[12:13]
	s_waitcnt lgkmcnt(0)
	s_barrier
	s_and_saveexec_b64 s[12:13], s[4:5]
	s_cbranch_execz .LBB269_97
; %bb.96:
	ds_read_b32 v5, v9 offset:200
.LBB269_97:
	s_or_b64 exec, exec, s[12:13]
	s_waitcnt lgkmcnt(0)
	ds_bpermute_b32 v4, v14, v5
	s_waitcnt lgkmcnt(0)
	v_add_f32_e32 v4, v5, v4
	ds_bpermute_b32 v8, v15, v4
	s_and_saveexec_b64 s[4:5], s[10:11]
	s_cbranch_execz .LBB269_110
; %bb.98:
	s_waitcnt lgkmcnt(0)
	v_add_f32_e32 v4, 0x358637bd, v8
	v_div_scale_f32 v5, s[10:11], v4, v4, 1.0
	v_rcp_f32_e32 v9, v5
	v_div_scale_f32 v10, vcc, 1.0, v4, 1.0
	s_movk_i32 s10, 0x7f
	v_fma_f32 v11, -v5, v9, 1.0
	v_fmac_f32_e32 v9, v11, v9
	v_mul_f32_e32 v11, v10, v9
	v_fma_f32 v12, -v5, v11, v10
	v_fmac_f32_e32 v11, v12, v9
	v_fma_f32 v5, -v5, v11, v10
	v_div_fmas_f32 v5, v5, v9, v11
	v_div_fixup_f32 v4, v5, v4, 1.0
	v_xad_u32 v5, v0, -1, s40
	v_subrev_u32_e32 v9, s29, v5
	v_cmp_lt_u32_e32 vcc, s10, v9
	s_mov_b64 s[12:13], -1
	v_mov_b32_e32 v5, v0
	s_and_saveexec_b64 s[10:11], vcc
	s_cbranch_execz .LBB269_107
; %bb.99:
	v_lshrrev_b32_e32 v9, 7, v9
	v_add_u32_e32 v11, -1, v9
	v_lshrrev_b32_e32 v10, 1, v11
	v_mov_b32_e32 v5, v4
	v_add_u32_e32 v10, 1, v10
	v_cmp_lt_u32_e32 vcc, 13, v11
	v_mov_b32_e32 v14, 0
	s_and_saveexec_b64 s[12:13], vcc
	s_cbranch_execz .LBB269_103
; %bb.100:
	v_mov_b32_e32 v12, 0xd0
	v_and_b32_e32 v11, -8, v10
	v_lshl_add_u32 v12, v0, 2, v12
	s_mov_b32 s38, 0
	s_mov_b64 s[18:19], 0
.LBB269_101:                            ; =>This Inner Loop Header: Depth=1
	ds_read2st64_b32 v[14:15], v12 offset1:2
	ds_read2st64_b32 v[16:17], v12 offset0:4 offset1:6
	ds_read2st64_b32 v[18:19], v12 offset0:8 offset1:10
	;; [unrolled: 1-line block ×3, first 2 shown]
	v_add_u32_e32 v11, -8, v11
	s_waitcnt lgkmcnt(3)
	v_pk_mul_f32 v[14:15], v[4:5], v[14:15]
	s_waitcnt lgkmcnt(2)
	v_pk_mul_f32 v[16:17], v[4:5], v[16:17]
	ds_write2st64_b32 v12, v14, v15 offset1:2
	ds_write2st64_b32 v12, v16, v17 offset0:4 offset1:6
	ds_read2st64_b32 v[16:17], v12 offset0:16 offset1:18
	s_waitcnt lgkmcnt(4)
	v_pk_mul_f32 v[14:15], v[4:5], v[18:19]
	ds_write2st64_b32 v12, v14, v15 offset0:8 offset1:10
	s_waitcnt lgkmcnt(4)
	v_pk_mul_f32 v[14:15], v[4:5], v[20:21]
	ds_write2st64_b32 v12, v14, v15 offset0:12 offset1:14
	ds_read2st64_b32 v[14:15], v12 offset0:20 offset1:22
	s_waitcnt lgkmcnt(3)
	v_pk_mul_f32 v[16:17], v[4:5], v[16:17]
	ds_read2st64_b32 v[18:19], v12 offset0:24 offset1:26
	ds_write2st64_b32 v12, v16, v17 offset0:16 offset1:18
	ds_read2st64_b32 v[16:17], v12 offset0:28 offset1:30
	s_waitcnt lgkmcnt(3)
	v_pk_mul_f32 v[14:15], v[4:5], v[14:15]
	ds_write2st64_b32 v12, v14, v15 offset0:20 offset1:22
	s_waitcnt lgkmcnt(3)
	v_pk_mul_f32 v[14:15], v[4:5], v[18:19]
	ds_write2st64_b32 v12, v14, v15 offset0:24 offset1:26
	s_waitcnt lgkmcnt(2)
	v_pk_mul_f32 v[14:15], v[4:5], v[16:17]
	s_add_i32 s38, s38, 16
	v_cmp_eq_u32_e32 vcc, 0, v11
	ds_write2st64_b32 v12, v14, v15 offset0:28 offset1:30
	v_add_u32_e32 v12, 0x2000, v12
	s_or_b64 s[18:19], vcc, s[18:19]
	v_mov_b32_e32 v14, s38
	s_andn2_b64 exec, exec, s[18:19]
	s_cbranch_execnz .LBB269_101
; %bb.102:
	s_or_b64 exec, exec, s[18:19]
.LBB269_103:
	s_or_b64 exec, exec, s[12:13]
	v_and_b32_e32 v10, 7, v10
	v_cmp_ne_u32_e32 vcc, 0, v10
	s_and_saveexec_b64 s[12:13], vcc
	s_cbranch_execz .LBB269_106
; %bb.104:
	v_lshlrev_b32_e32 v11, 9, v14
	v_lshlrev_b32_e32 v12, 2, v0
	s_movk_i32 s18, 0xd0
	v_add3_u32 v11, v11, v12, s18
	s_mov_b64 s[18:19], 0
.LBB269_105:                            ; =>This Inner Loop Header: Depth=1
	ds_read2st64_b32 v[14:15], v11 offset1:2
	v_add_u32_e32 v10, -1, v10
	v_cmp_eq_u32_e32 vcc, 0, v10
	s_or_b64 s[18:19], vcc, s[18:19]
	s_waitcnt lgkmcnt(0)
	v_pk_mul_f32 v[14:15], v[4:5], v[14:15]
	ds_write2st64_b32 v11, v14, v15 offset1:2
	v_add_u32_e32 v11, 0x400, v11
	s_andn2_b64 exec, exec, s[18:19]
	s_cbranch_execnz .LBB269_105
.LBB269_106:
	s_or_b64 exec, exec, s[12:13]
	v_add_u32_e32 v9, 1, v9
	v_and_b32_e32 v10, 0x3fffffe, v9
	v_cmp_ne_u32_e32 vcc, v9, v10
	v_lshl_add_u32 v5, v10, 7, v0
	s_orn2_b64 s[12:13], vcc, exec
.LBB269_107:
	s_or_b64 exec, exec, s[10:11]
	s_and_b64 exec, exec, s[12:13]
	s_cbranch_execz .LBB269_110
; %bb.108:
	v_mov_b32_e32 v9, 0xd0
	v_lshl_add_u32 v9, v5, 2, v9
	s_mov_b64 s[10:11], 0
.LBB269_109:                            ; =>This Inner Loop Header: Depth=1
	ds_read_b32 v10, v9
	v_add_u32_e32 v5, 0x80, v5
	v_cmp_le_i32_e32 vcc, s7, v5
	s_or_b64 s[10:11], vcc, s[10:11]
	s_waitcnt lgkmcnt(0)
	v_mul_f32_e32 v10, v4, v10
	ds_write_b32 v9, v10
	v_add_u32_e32 v9, 0x200, v9
	s_andn2_b64 exec, exec, s[10:11]
	s_cbranch_execnz .LBB269_109
.LBB269_110:
	s_or_b64 exec, exec, s[4:5]
	s_mul_i32 s5, s25, s28
	s_mov_b32 s4, 0
	v_cmp_eq_u32_e32 vcc, 0, v0
	s_mul_i32 s10, s5, s9
	s_waitcnt lgkmcnt(0)
	s_barrier
	s_and_saveexec_b64 s[12:13], vcc
	s_cbranch_execz .LBB269_112
; %bb.111:
	s_ashr_i32 s11, s10, 31
	s_lshl_b64 s[18:19], s[10:11], 2
	s_add_u32 s5, s22, s18
	s_mul_i32 s6, s25, s6
	s_addc_u32 s9, s23, s19
	s_ashr_i32 s7, s6, 31
	s_lshl_b64 s[6:7], s[6:7], 2
	s_add_u32 s5, s5, s6
	s_addc_u32 s11, s9, s7
	s_ashr_i32 s9, s8, 31
	s_lshl_b64 s[22:23], s[8:9], 2
	s_add_u32 s38, s5, s22
	s_addc_u32 s39, s11, s23
	s_add_u32 s5, s20, s18
	s_addc_u32 s9, s21, s19
	;; [unrolled: 2-line block ×3, first 2 shown]
	s_add_u32 s6, s5, s22
	v_mov_b32_e32 v4, 0
	s_addc_u32 s7, s7, s23
	global_store_dword v4, v6, s[38:39]
	global_store_dword v4, v8, s[6:7]
.LBB269_112:
	s_or_b64 exec, exec, s[12:13]
	s_mov_b32 s5, s4
	v_pk_mov_b32 v[4:5], s[4:5], s[4:5] op_sel:[0,1]
	s_and_saveexec_b64 s[6:7], s[2:3]
	s_cbranch_execz .LBB269_218
; %bb.113:
	s_ashr_i32 s2, s49, 31
	s_add_u32 s4, s36, s49
	s_addc_u32 s5, s37, s2
	v_or_b32_e32 v4, 64, v7
	s_movk_i32 s2, 0x60
	s_add_i32 s11, s16, -1
	v_cmp_gt_u32_e32 vcc, s2, v4
	s_lshl_b64 s[2:3], s[34:35], 2
	v_lshlrev_b32_e32 v10, 3, v4
	v_mov_b32_e32 v4, 0xd0
	s_add_u32 s2, s30, s2
	s_mov_b32 s18, 0
	v_lshl_add_u32 v26, v13, 5, v4
	v_lshlrev_b64 v[4:5], 2, v[2:3]
	s_addc_u32 s3, s31, s3
	s_mov_b32 s12, -1
	v_mov_b32_e32 v3, s3
	v_add_co_u32_e64 v12, s[2:3], s2, v4
	s_mov_b32 s19, s18
	s_mov_b32 s9, s17
	;; [unrolled: 1-line block ×3, first 2 shown]
	v_lshlrev_b32_e32 v6, 3, v7
	v_mov_b32_e32 v9, 0
	s_mov_b32 s36, s33
	v_lshl_add_u32 v11, v13, 3, s29
	v_addc_co_u32_e64 v13, s[2:3], v3, v5, s[2:3]
	s_mov_b64 s[16:17], 0
	v_pk_mov_b32 v[4:5], s[18:19], s[18:19] op_sel:[0,1]
	v_pk_mov_b32 v[14:15], s[4:5], s[4:5] op_sel:[0,1]
	s_movk_i32 s30, 0x80
	s_movk_i32 s31, 0x7f
	s_mov_b32 s34, 0x8000
	s_movk_i32 s35, 0x380
	s_mov_b32 s37, 0x3020706
	s_mov_b32 s38, 0x1000504
	;; [unrolled: 1-line block ×3, first 2 shown]
	v_mov_b32_e32 v3, 0x2000
	s_branch .LBB269_116
.LBB269_114:                            ;   in Loop: Header=BB269_116 Depth=1
	s_or_b64 exec, exec, s[4:5]
	;;#ASMSTART
	v_pk_mul_f16 v18, v28, v18;

	;;#ASMEND
	;;#ASMSTART
	v_pk_mul_f16 v8, v27, v8;

	;;#ASMEND
	;; [unrolled: 4-line block ×4, first 2 shown]
	;;#ASMSTART
	v_pk_add_f16 v8, v18, v8;

	;;#ASMEND
	;;#ASMSTART
	v_pk_add_f16 v8, v8, v17;

	;;#ASMEND
	;;#ASMSTART
	v_pk_add_f16 v8, v8, v16;

	;;#ASMEND
	v_lshrrev_b32_e32 v16, 16, v8
	v_and_b32_e32 v8, 0xffff, v8
	;;#ASMSTART
	v_cvt_f32_f16 v8, v8;
	;;#ASMEND
	;;#ASMSTART
	v_cvt_f32_f16 v16, v16;
	;;#ASMEND
	v_add_f32_e32 v8, v8, v16
	v_add_f32_e32 v5, v5, v8
.LBB269_115:                            ;   in Loop: Header=BB269_116 Depth=1
	s_or_b64 exec, exec, s[18:19]
	v_add_u32_e32 v2, 2, v2
	v_cmp_le_i32_e64 s[2:3], s48, v2
	s_or_b64 s[16:17], s[2:3], s[16:17]
	v_add_co_u32_e64 v12, s[2:3], 8, v12
	v_add_u32_e32 v11, 16, v11
	v_add_u32_e32 v26, 64, v26
	v_addc_co_u32_e64 v13, s[2:3], 0, v13, s[2:3]
	s_andn2_b64 exec, exec, s[16:17]
	s_cbranch_execz .LBB269_217
.LBB269_116:                            ; =>This Inner Loop Header: Depth=1
	global_load_dword v8, v[12:13], off
	ds_read2_b64 v[20:23], v26 offset1:1
	ds_read2_b64 v[32:35], v26 offset0:2 offset1:3
	s_waitcnt lgkmcnt(1)
	;;#ASMSTART
	v_cvt_f16_f32 v19, v20;

	;;#ASMEND
	;;#ASMSTART
	v_cvt_f16_f32 v27, v21;

	;;#ASMEND
	;; [unrolled: 4-line block ×4, first 2 shown]
	s_waitcnt lgkmcnt(0)
	;;#ASMSTART
	v_cvt_f16_f32 v31, v32;

	;;#ASMEND
	;;#ASMSTART
	v_cvt_f16_f32 v32, v33;

	;;#ASMEND
	;; [unrolled: 4-line block ×4, first 2 shown]
	s_waitcnt vmcnt(0)
	v_mad_i64_i32 v[16:17], s[2:3], v8, s9, v[14:15]
	v_add_co_u32_e64 v20, s[2:3], v16, v6
	v_addc_co_u32_e64 v21, s[2:3], 0, v17, s[2:3]
	global_load_dwordx2 v[22:23], v[20:21], off
	global_load_dword v18, v9, s[14:15]
	v_mov_b32_e32 v20, 0
	s_waitcnt vmcnt(1)
	v_cmp_ne_u16_sdwa s[2:3], v22, v9 src0_sel:BYTE_0 src1_sel:DWORD
	s_and_saveexec_b64 s[4:5], s[2:3]
	s_cbranch_execz .LBB269_122
; %bb.117:                              ;   in Loop: Header=BB269_116 Depth=1
	v_cmp_ne_u16_sdwa s[2:3], v22, s30 src0_sel:BYTE_0 src1_sel:DWORD
	v_bfrev_b32_e32 v20, 1
	s_and_saveexec_b64 s[18:19], s[2:3]
	s_cbranch_execz .LBB269_121
; %bb.118:                              ;   in Loop: Header=BB269_116 Depth=1
	v_and_b32_e32 v8, 0x7f, v22
	v_cmp_ne_u32_e64 s[2:3], s31, v8
	v_mov_b32_e32 v20, 0x7fc02000
	s_and_saveexec_b64 s[20:21], s[2:3]
	s_cbranch_execz .LBB269_120
; %bb.119:                              ;   in Loop: Header=BB269_116 Depth=1
	v_and_b32_e32 v20, 7, v22
	v_ffbh_u32_e32 v20, v20
	v_min_u32_e32 v20, 32, v20
	v_subrev_u32_e32 v21, 28, v20
	v_cmp_gt_u32_e64 s[2:3], 8, v8
	v_lshrrev_b32_e32 v24, 3, v8
	v_sub_u32_e32 v25, 29, v20
	v_cndmask_b32_e64 v8, 0, v21, s[2:3]
	v_lshlrev_b64 v[20:21], v8, v[22:23]
	v_cndmask_b32_e64 v8, v24, v25, s[2:3]
	v_lshlrev_b32_e32 v21, 8, v22
	v_lshl_add_u32 v8, v8, 10, v3
	v_lshlrev_b32_e32 v20, 7, v20
	v_and_or_b32 v8, v21, s34, v8
	v_and_or_b32 v8, v20, s35, v8
	v_cvt_f32_f16_e32 v20, v8
.LBB269_120:                            ;   in Loop: Header=BB269_116 Depth=1
	s_or_b64 exec, exec, s[20:21]
.LBB269_121:                            ;   in Loop: Header=BB269_116 Depth=1
	s_or_b64 exec, exec, s[18:19]
.LBB269_122:                            ;   in Loop: Header=BB269_116 Depth=1
	s_or_b64 exec, exec, s[4:5]
	v_lshrrev_b16_e32 v8, 8, v22
	v_cmp_ne_u16_e64 s[2:3], 0, v8
	v_mov_b32_e32 v21, 0
	v_mov_b32_e32 v24, 0
	s_and_saveexec_b64 s[4:5], s[2:3]
	s_cbranch_execz .LBB269_128
; %bb.123:                              ;   in Loop: Header=BB269_116 Depth=1
	v_cmp_ne_u16_e64 s[2:3], s30, v8
	v_bfrev_b32_e32 v24, 1
	s_and_saveexec_b64 s[18:19], s[2:3]
	s_cbranch_execz .LBB269_127
; %bb.124:                              ;   in Loop: Header=BB269_116 Depth=1
	v_and_b32_e32 v25, 0x7f, v8
	v_cmp_ne_u32_e64 s[2:3], s31, v25
	v_mov_b32_e32 v24, 0x7fc02000
	s_and_saveexec_b64 s[20:21], s[2:3]
	s_cbranch_execz .LBB269_126
; %bb.125:                              ;   in Loop: Header=BB269_116 Depth=1
	v_and_b32_e32 v24, 7, v8
	v_ffbh_u32_e32 v35, v24
	v_min_u32_e32 v35, 32, v35
	v_lshrrev_b32_e32 v28, 3, v25
	v_subrev_u32_e32 v36, 28, v35
	v_sub_u32_e32 v35, 29, v35
	v_cmp_gt_u32_e64 s[2:3], 8, v25
	v_lshlrev_b64 v[36:37], v36, v[8:9]
	v_cndmask_b32_e64 v25, v28, v35, s[2:3]
	v_and_b32_e32 v36, 7, v36
	v_lshlrev_b32_e32 v8, 8, v8
	v_lshl_add_u32 v25, v25, 10, v3
	v_cndmask_b32_e64 v24, v24, v36, s[2:3]
	v_and_or_b32 v8, v8, s34, v25
	v_lshl_or_b32 v8, v24, 7, v8
	v_cvt_f32_f16_e32 v24, v8
.LBB269_126:                            ;   in Loop: Header=BB269_116 Depth=1
	s_or_b64 exec, exec, s[20:21]
.LBB269_127:                            ;   in Loop: Header=BB269_116 Depth=1
	s_or_b64 exec, exec, s[18:19]
.LBB269_128:                            ;   in Loop: Header=BB269_116 Depth=1
	s_or_b64 exec, exec, s[4:5]
	v_lshrrev_b32_e32 v8, 16, v22
	v_cmp_ne_u16_sdwa s[2:3], v8, v9 src0_sel:BYTE_0 src1_sel:DWORD
	s_and_saveexec_b64 s[4:5], s[2:3]
	s_cbranch_execz .LBB269_134
; %bb.129:                              ;   in Loop: Header=BB269_116 Depth=1
	v_cmp_ne_u16_sdwa s[2:3], v8, s30 src0_sel:BYTE_0 src1_sel:DWORD
	v_bfrev_b32_e32 v21, 1
	s_and_saveexec_b64 s[18:19], s[2:3]
	s_cbranch_execz .LBB269_133
; %bb.130:                              ;   in Loop: Header=BB269_116 Depth=1
	v_bfe_u32 v25, v22, 16, 7
	v_cmp_ne_u32_e64 s[2:3], s31, v25
	v_mov_b32_e32 v21, 0x7fc02000
	s_and_saveexec_b64 s[20:21], s[2:3]
	s_cbranch_execz .LBB269_132
; %bb.131:                              ;   in Loop: Header=BB269_116 Depth=1
	v_and_b32_e32 v21, 7, v8
	v_ffbh_u32_e32 v35, v21
	v_min_u32_e32 v35, 32, v35
	v_lshrrev_b32_e32 v28, 3, v25
	v_subrev_u32_e32 v36, 28, v35
	v_sub_u32_e32 v35, 29, v35
	v_cmp_gt_u32_e64 s[2:3], 8, v25
	v_lshlrev_b64 v[36:37], v36, v[8:9]
	v_cndmask_b32_e64 v25, v28, v35, s[2:3]
	v_and_b32_e32 v36, 7, v36
	v_lshlrev_b32_e32 v8, 8, v8
	v_lshl_add_u32 v25, v25, 10, v3
	v_cndmask_b32_e64 v21, v21, v36, s[2:3]
	v_and_or_b32 v8, v8, s34, v25
	v_lshl_or_b32 v8, v21, 7, v8
	v_cvt_f32_f16_e32 v21, v8
.LBB269_132:                            ;   in Loop: Header=BB269_116 Depth=1
	s_or_b64 exec, exec, s[20:21]
.LBB269_133:                            ;   in Loop: Header=BB269_116 Depth=1
	s_or_b64 exec, exec, s[18:19]
.LBB269_134:                            ;   in Loop: Header=BB269_116 Depth=1
	s_or_b64 exec, exec, s[4:5]
	v_cmp_lt_u32_e64 s[2:3], s13, v22
	v_mov_b32_e32 v28, 0
	v_mov_b32_e32 v25, 0
	s_and_saveexec_b64 s[4:5], s[2:3]
	s_cbranch_execz .LBB269_140
; %bb.135:                              ;   in Loop: Header=BB269_116 Depth=1
	v_lshrrev_b32_e32 v8, 24, v22
	v_cmp_ne_u32_e64 s[2:3], s30, v8
	v_bfrev_b32_e32 v25, 1
	s_and_saveexec_b64 s[18:19], s[2:3]
	s_cbranch_execz .LBB269_139
; %bb.136:                              ;   in Loop: Header=BB269_116 Depth=1
	v_and_b32_e32 v35, 0x7f, v8
	v_cmp_ne_u32_e64 s[2:3], s31, v35
	v_mov_b32_e32 v25, 0x7fc02000
	s_and_saveexec_b64 s[20:21], s[2:3]
	s_cbranch_execz .LBB269_138
; %bb.137:                              ;   in Loop: Header=BB269_116 Depth=1
	v_and_b32_e32 v25, 7, v8
	v_ffbh_u32_e32 v36, v25
	v_min_u32_e32 v39, 32, v36
	v_subrev_u32_e32 v36, 28, v39
	v_lshlrev_b64 v[36:37], v36, v[8:9]
	v_lshrrev_b32_e32 v38, 3, v35
	v_sub_u32_e32 v37, 29, v39
	v_cmp_gt_u32_e64 s[2:3], 8, v35
	v_cndmask_b32_e64 v35, v38, v37, s[2:3]
	v_and_b32_e32 v36, 7, v36
	v_lshlrev_b32_e32 v8, 8, v8
	v_lshl_add_u32 v35, v35, 10, v3
	v_cndmask_b32_e64 v25, v25, v36, s[2:3]
	v_and_or_b32 v8, v8, s34, v35
	v_lshl_or_b32 v8, v25, 7, v8
	v_cvt_f32_f16_e32 v25, v8
.LBB269_138:                            ;   in Loop: Header=BB269_116 Depth=1
	s_or_b64 exec, exec, s[20:21]
.LBB269_139:                            ;   in Loop: Header=BB269_116 Depth=1
	s_or_b64 exec, exec, s[18:19]
.LBB269_140:                            ;   in Loop: Header=BB269_116 Depth=1
	s_or_b64 exec, exec, s[4:5]
	v_mov_b32_e32 v8, v23
	v_cmp_ne_u16_sdwa s[2:3], v23, v9 src0_sel:BYTE_0 src1_sel:DWORD
	s_and_saveexec_b64 s[4:5], s[2:3]
	s_cbranch_execz .LBB269_146
; %bb.141:                              ;   in Loop: Header=BB269_116 Depth=1
	v_cmp_ne_u16_sdwa s[2:3], v23, s30 src0_sel:BYTE_0 src1_sel:DWORD
	v_bfrev_b32_e32 v28, 1
	s_and_saveexec_b64 s[18:19], s[2:3]
	s_cbranch_execz .LBB269_145
; %bb.142:                              ;   in Loop: Header=BB269_116 Depth=1
	v_and_b32_e32 v35, 0x7f, v23
	v_cmp_ne_u32_e64 s[2:3], s31, v35
	v_mov_b32_e32 v28, 0x7fc02000
	s_and_saveexec_b64 s[20:21], s[2:3]
	s_cbranch_execz .LBB269_144
; %bb.143:                              ;   in Loop: Header=BB269_116 Depth=1
	v_and_b32_e32 v28, 7, v23
	v_ffbh_u32_e32 v28, v28
	v_min_u32_e32 v28, 32, v28
	v_subrev_u32_e32 v36, 28, v28
	v_cmp_gt_u32_e64 s[2:3], 8, v35
	v_lshrrev_b32_e32 v38, 3, v35
	v_sub_u32_e32 v28, 29, v28
	v_cndmask_b32_e64 v35, 0, v36, s[2:3]
	v_lshlrev_b64 v[36:37], v35, v[8:9]
	v_cndmask_b32_e64 v28, v38, v28, s[2:3]
	v_lshlrev_b32_e32 v35, 7, v36
	v_lshlrev_b32_e32 v36, 8, v23
	v_lshl_add_u32 v28, v28, 10, v3
	v_and_or_b32 v28, v36, s34, v28
	v_and_or_b32 v28, v35, s35, v28
	v_cvt_f32_f16_e32 v28, v28
.LBB269_144:                            ;   in Loop: Header=BB269_116 Depth=1
	s_or_b64 exec, exec, s[20:21]
.LBB269_145:                            ;   in Loop: Header=BB269_116 Depth=1
	s_or_b64 exec, exec, s[18:19]
.LBB269_146:                            ;   in Loop: Header=BB269_116 Depth=1
	s_or_b64 exec, exec, s[4:5]
	v_lshrrev_b16_e32 v8, 8, v8
	v_cmp_ne_u16_e64 s[2:3], 0, v8
	v_mov_b32_e32 v35, 0
	v_mov_b32_e32 v36, 0
	s_and_saveexec_b64 s[4:5], s[2:3]
	s_cbranch_execz .LBB269_152
; %bb.147:                              ;   in Loop: Header=BB269_116 Depth=1
	v_cmp_ne_u16_e64 s[2:3], s30, v8
	v_bfrev_b32_e32 v36, 1
	s_and_saveexec_b64 s[18:19], s[2:3]
	s_cbranch_execz .LBB269_151
; %bb.148:                              ;   in Loop: Header=BB269_116 Depth=1
	v_and_b32_e32 v37, 0x7f, v8
	v_cmp_ne_u32_e64 s[2:3], s31, v37
	v_mov_b32_e32 v36, 0x7fc02000
	s_and_saveexec_b64 s[20:21], s[2:3]
	s_cbranch_execz .LBB269_150
; %bb.149:                              ;   in Loop: Header=BB269_116 Depth=1
	v_and_b32_e32 v36, 7, v8
	v_ffbh_u32_e32 v38, v36
	v_min_u32_e32 v41, 32, v38
	v_subrev_u32_e32 v38, 28, v41
	v_lshlrev_b64 v[38:39], v38, v[8:9]
	v_lshrrev_b32_e32 v40, 3, v37
	v_sub_u32_e32 v39, 29, v41
	v_cmp_gt_u32_e64 s[2:3], 8, v37
	v_cndmask_b32_e64 v37, v40, v39, s[2:3]
	v_and_b32_e32 v38, 7, v38
	v_lshlrev_b32_e32 v8, 8, v8
	v_lshl_add_u32 v37, v37, 10, v3
	v_cndmask_b32_e64 v36, v36, v38, s[2:3]
	v_and_or_b32 v8, v8, s34, v37
	v_lshl_or_b32 v8, v36, 7, v8
	v_cvt_f32_f16_e32 v36, v8
.LBB269_150:                            ;   in Loop: Header=BB269_116 Depth=1
	s_or_b64 exec, exec, s[20:21]
.LBB269_151:                            ;   in Loop: Header=BB269_116 Depth=1
	s_or_b64 exec, exec, s[18:19]
.LBB269_152:                            ;   in Loop: Header=BB269_116 Depth=1
	s_or_b64 exec, exec, s[4:5]
	v_lshrrev_b32_e32 v8, 16, v23
	v_cmp_ne_u16_sdwa s[2:3], v8, v9 src0_sel:BYTE_0 src1_sel:DWORD
	s_and_saveexec_b64 s[4:5], s[2:3]
	s_cbranch_execz .LBB269_158
; %bb.153:                              ;   in Loop: Header=BB269_116 Depth=1
	v_cmp_ne_u16_sdwa s[2:3], v8, s30 src0_sel:BYTE_0 src1_sel:DWORD
	v_bfrev_b32_e32 v35, 1
	s_and_saveexec_b64 s[18:19], s[2:3]
	s_cbranch_execz .LBB269_157
; %bb.154:                              ;   in Loop: Header=BB269_116 Depth=1
	v_bfe_u32 v37, v23, 16, 7
	v_cmp_ne_u32_e64 s[2:3], s31, v37
	v_mov_b32_e32 v35, 0x7fc02000
	s_and_saveexec_b64 s[20:21], s[2:3]
	s_cbranch_execz .LBB269_156
; %bb.155:                              ;   in Loop: Header=BB269_116 Depth=1
	v_and_b32_e32 v35, 7, v8
	v_ffbh_u32_e32 v38, v35
	v_min_u32_e32 v41, 32, v38
	v_subrev_u32_e32 v38, 28, v41
	v_lshlrev_b64 v[38:39], v38, v[8:9]
	v_lshrrev_b32_e32 v40, 3, v37
	v_sub_u32_e32 v39, 29, v41
	v_cmp_gt_u32_e64 s[2:3], 8, v37
	v_cndmask_b32_e64 v37, v40, v39, s[2:3]
	v_and_b32_e32 v38, 7, v38
	v_lshlrev_b32_e32 v8, 8, v8
	v_lshl_add_u32 v37, v37, 10, v3
	v_cndmask_b32_e64 v35, v35, v38, s[2:3]
	v_and_or_b32 v8, v8, s34, v37
	v_lshl_or_b32 v8, v35, 7, v8
	v_cvt_f32_f16_e32 v35, v8
.LBB269_156:                            ;   in Loop: Header=BB269_116 Depth=1
	s_or_b64 exec, exec, s[20:21]
.LBB269_157:                            ;   in Loop: Header=BB269_116 Depth=1
	s_or_b64 exec, exec, s[18:19]
.LBB269_158:                            ;   in Loop: Header=BB269_116 Depth=1
	s_or_b64 exec, exec, s[4:5]
	v_cmp_lt_u64_e64 s[2:3], s[12:13], v[22:23]
	v_mov_b32_e32 v22, 0
	s_and_saveexec_b64 s[4:5], s[2:3]
	s_cbranch_execz .LBB269_164
; %bb.159:                              ;   in Loop: Header=BB269_116 Depth=1
	v_lshrrev_b32_e32 v8, 24, v23
	v_cmp_ne_u32_e64 s[2:3], s30, v8
	v_bfrev_b32_e32 v22, 1
	s_and_saveexec_b64 s[18:19], s[2:3]
	s_cbranch_execz .LBB269_163
; %bb.160:                              ;   in Loop: Header=BB269_116 Depth=1
	v_and_b32_e32 v23, 0x7f, v8
	v_cmp_ne_u32_e64 s[2:3], s31, v23
	v_mov_b32_e32 v22, 0x7fc02000
	s_and_saveexec_b64 s[20:21], s[2:3]
	s_cbranch_execz .LBB269_162
; %bb.161:                              ;   in Loop: Header=BB269_116 Depth=1
	v_and_b32_e32 v22, 7, v8
	v_ffbh_u32_e32 v38, v22
	v_min_u32_e32 v40, 32, v38
	v_subrev_u32_e32 v38, 28, v40
	v_lshlrev_b64 v[38:39], v38, v[8:9]
	v_lshrrev_b32_e32 v37, 3, v23
	v_sub_u32_e32 v39, 29, v40
	v_cmp_gt_u32_e64 s[2:3], 8, v23
	v_cndmask_b32_e64 v23, v37, v39, s[2:3]
	v_and_b32_e32 v38, 7, v38
	v_lshlrev_b32_e32 v8, 8, v8
	v_lshl_add_u32 v23, v23, 10, v3
	v_cndmask_b32_e64 v22, v22, v38, s[2:3]
	v_and_or_b32 v8, v8, s34, v23
	v_lshl_or_b32 v8, v22, 7, v8
	v_cvt_f32_f16_e32 v22, v8
.LBB269_162:                            ;   in Loop: Header=BB269_116 Depth=1
	s_or_b64 exec, exec, s[20:21]
.LBB269_163:                            ;   in Loop: Header=BB269_116 Depth=1
	s_or_b64 exec, exec, s[18:19]
.LBB269_164:                            ;   in Loop: Header=BB269_116 Depth=1
	s_or_b64 exec, exec, s[4:5]
	s_waitcnt vmcnt(0)
	v_pk_mul_f32 v[24:25], v[18:19], v[24:25] op_sel_hi:[0,1]
	v_pk_mul_f32 v[20:21], v[18:19], v[20:21] op_sel_hi:[0,1]
	v_cvt_f16_f32_e32 v8, v25
	v_cvt_f16_f32_e32 v23, v24
	;; [unrolled: 1-line block ×4, first 2 shown]
	v_cmp_eq_u32_e64 s[2:3], s11, v2
	v_pack_b32_f16 v23, v23, v8
	v_pack_b32_f16 v20, v20, v21
	v_fma_mixlo_f16 v21, v18, v36, 0
	v_perm_b32 v8, v20, v23, s37
	v_perm_b32 v20, v20, v23, s38
	v_lshlrev_b32_e32 v21, 16, v21
	v_fma_mixlo_f16 v23, v18, v28, 0
	v_or_b32_sdwa v21, v21, v23 dst_sel:DWORD dst_unused:UNUSED_PAD src0_sel:DWORD src1_sel:WORD_0
	v_fma_mixlo_f16 v23, v18, v35, 0
	v_fma_mixlo_f16 v18, v18, v22, 0
	v_lshlrev_b32_e32 v18, 16, v18
	v_or_b32_sdwa v18, v18, v23 dst_sel:DWORD dst_unused:UNUSED_PAD src0_sel:DWORD src1_sel:WORD_0
	s_and_saveexec_b64 s[18:19], s[2:3]
	s_cbranch_execz .LBB269_166
; %bb.165:                              ;   in Loop: Header=BB269_116 Depth=1
	v_add_u32_e32 v22, 1, v11
	v_lshrrev_b32_e32 v24, 16, v20
	v_cmp_gt_i32_e64 s[4:5], s36, v22
	v_cndmask_b32_e64 v22, 0, v24, s[4:5]
	v_cmp_gt_i32_e64 s[4:5], s33, v11
	v_cndmask_b32_e64 v20, 0, v20, s[4:5]
	v_perm_b32 v20, v22, v20, s39
	v_or_b32_e32 v22, 3, v11
	v_or_b32_e32 v24, 2, v11
	v_lshrrev_b32_e32 v25, 16, v8
	v_cmp_gt_i32_e64 s[4:5], s36, v22
	v_cndmask_b32_e64 v22, 0, v25, s[4:5]
	v_cmp_gt_i32_e64 s[4:5], s33, v24
	v_cndmask_b32_e64 v8, 0, v8, s[4:5]
	v_perm_b32 v8, v22, v8, s39
	v_or_b32_e32 v22, 5, v11
	v_or_b32_e32 v24, 4, v11
	;; [unrolled: 8-line block ×3, first 2 shown]
	v_lshrrev_b32_e32 v18, 16, v18
	v_cmp_gt_i32_e64 s[4:5], s36, v22
	v_cndmask_b32_e64 v18, 0, v18, s[4:5]
	v_cmp_gt_i32_e64 s[4:5], s33, v24
	v_cndmask_b32_e64 v22, 0, v23, s[4:5]
	v_perm_b32 v18, v18, v22, s39
.LBB269_166:                            ;   in Loop: Header=BB269_116 Depth=1
	s_or_b64 exec, exec, s[18:19]
	v_and_b32_e32 v19, 0xffff, v19
	v_lshl_or_b32 v28, v27, 16, v19
	v_and_b32_e32 v19, 0xffff, v29
	v_lshl_or_b32 v27, v30, 16, v19
	;; [unrolled: 2-line block ×4, first 2 shown]
	;;#ASMSTART
	v_pk_mul_f16 v19, v28, v20;

	;;#ASMEND
	;;#ASMSTART
	v_pk_mul_f16 v8, v27, v8;

	;;#ASMEND
	;; [unrolled: 4-line block ×4, first 2 shown]
	;;#ASMSTART
	v_pk_add_f16 v8, v19, v8;

	;;#ASMEND
	;;#ASMSTART
	v_pk_add_f16 v8, v8, v20;

	;;#ASMEND
	;; [unrolled: 4-line block ×3, first 2 shown]
	v_lshrrev_b32_e32 v18, 16, v8
	v_and_b32_e32 v8, 0xffff, v8
	;;#ASMSTART
	v_cvt_f32_f16 v8, v8;
	;;#ASMEND
	;;#ASMSTART
	v_cvt_f32_f16 v18, v18;
	;;#ASMEND
	v_add_f32_e32 v8, v8, v18
	v_add_f32_e32 v4, v4, v8
	s_and_saveexec_b64 s[18:19], vcc
	s_cbranch_execz .LBB269_115
; %bb.167:                              ;   in Loop: Header=BB269_116 Depth=1
	v_add_co_u32_e64 v18, s[4:5], v16, v10
	v_addc_co_u32_e64 v19, s[4:5], 0, v17, s[4:5]
	global_load_dwordx2 v[22:23], v[18:19], off
	global_load_dword v16, v9, s[14:15]
	v_mov_b32_e32 v20, 0
	v_mov_b32_e32 v18, 0
	s_waitcnt vmcnt(1)
	v_cmp_ne_u16_sdwa s[4:5], v22, v9 src0_sel:BYTE_0 src1_sel:DWORD
	s_and_saveexec_b64 s[20:21], s[4:5]
	s_cbranch_execz .LBB269_173
; %bb.168:                              ;   in Loop: Header=BB269_116 Depth=1
	v_cmp_ne_u16_sdwa s[4:5], v22, s30 src0_sel:BYTE_0 src1_sel:DWORD
	v_bfrev_b32_e32 v18, 1
	s_and_saveexec_b64 s[22:23], s[4:5]
	s_cbranch_execz .LBB269_172
; %bb.169:                              ;   in Loop: Header=BB269_116 Depth=1
	v_and_b32_e32 v8, 0x7f, v22
	v_cmp_ne_u32_e64 s[4:5], s31, v8
	v_mov_b32_e32 v18, 0x7fc02000
	s_and_saveexec_b64 s[28:29], s[4:5]
	s_cbranch_execz .LBB269_171
; %bb.170:                              ;   in Loop: Header=BB269_116 Depth=1
	v_and_b32_e32 v17, 7, v22
	v_ffbh_u32_e32 v17, v17
	v_min_u32_e32 v17, 32, v17
	v_subrev_u32_e32 v18, 28, v17
	v_cmp_gt_u32_e64 s[4:5], 8, v8
	v_lshrrev_b32_e32 v21, 3, v8
	v_sub_u32_e32 v17, 29, v17
	v_cndmask_b32_e64 v8, 0, v18, s[4:5]
	v_lshlrev_b64 v[18:19], v8, v[22:23]
	v_cndmask_b32_e64 v8, v21, v17, s[4:5]
	v_lshlrev_b32_e32 v17, 7, v18
	v_lshlrev_b32_e32 v18, 8, v22
	v_lshl_add_u32 v8, v8, 10, v3
	v_and_or_b32 v8, v18, s34, v8
	v_and_or_b32 v8, v17, s35, v8
	v_cvt_f32_f16_e32 v18, v8
.LBB269_171:                            ;   in Loop: Header=BB269_116 Depth=1
	s_or_b64 exec, exec, s[28:29]
.LBB269_172:                            ;   in Loop: Header=BB269_116 Depth=1
	s_or_b64 exec, exec, s[22:23]
.LBB269_173:                            ;   in Loop: Header=BB269_116 Depth=1
	s_or_b64 exec, exec, s[20:21]
	v_lshrrev_b16_e32 v8, 8, v22
	v_cmp_ne_u16_e64 s[4:5], 0, v8
	s_and_saveexec_b64 s[20:21], s[4:5]
	s_cbranch_execz .LBB269_179
; %bb.174:                              ;   in Loop: Header=BB269_116 Depth=1
	v_cmp_ne_u16_e64 s[4:5], s30, v8
	v_bfrev_b32_e32 v20, 1
	s_and_saveexec_b64 s[22:23], s[4:5]
	s_cbranch_execz .LBB269_178
; %bb.175:                              ;   in Loop: Header=BB269_116 Depth=1
	v_and_b32_e32 v17, 0x7f, v8
	v_cmp_ne_u32_e64 s[4:5], s31, v17
	v_mov_b32_e32 v20, 0x7fc02000
	s_and_saveexec_b64 s[28:29], s[4:5]
	s_cbranch_execz .LBB269_177
; %bb.176:                              ;   in Loop: Header=BB269_116 Depth=1
	v_and_b32_e32 v19, 7, v8
	v_ffbh_u32_e32 v20, v19
	v_min_u32_e32 v30, 32, v20
	v_subrev_u32_e32 v20, 28, v30
	v_lshlrev_b64 v[20:21], v20, v[8:9]
	v_lshrrev_b32_e32 v29, 3, v17
	v_sub_u32_e32 v21, 29, v30
	v_cmp_gt_u32_e64 s[4:5], 8, v17
	v_cndmask_b32_e64 v17, v29, v21, s[4:5]
	v_and_b32_e32 v20, 7, v20
	v_lshlrev_b32_e32 v8, 8, v8
	v_lshl_add_u32 v17, v17, 10, v3
	v_cndmask_b32_e64 v19, v19, v20, s[4:5]
	v_and_or_b32 v8, v8, s34, v17
	v_lshl_or_b32 v8, v19, 7, v8
	v_cvt_f32_f16_e32 v20, v8
.LBB269_177:                            ;   in Loop: Header=BB269_116 Depth=1
	s_or_b64 exec, exec, s[28:29]
.LBB269_178:                            ;   in Loop: Header=BB269_116 Depth=1
	s_or_b64 exec, exec, s[22:23]
.LBB269_179:                            ;   in Loop: Header=BB269_116 Depth=1
	s_or_b64 exec, exec, s[20:21]
	v_lshrrev_b32_e32 v8, 16, v22
	v_cmp_ne_u16_sdwa s[4:5], v8, v9 src0_sel:BYTE_0 src1_sel:DWORD
	v_mov_b32_e32 v21, 0
	v_mov_b32_e32 v19, 0
	s_and_saveexec_b64 s[20:21], s[4:5]
	s_cbranch_execz .LBB269_185
; %bb.180:                              ;   in Loop: Header=BB269_116 Depth=1
	v_cmp_ne_u16_sdwa s[4:5], v8, s30 src0_sel:BYTE_0 src1_sel:DWORD
	v_bfrev_b32_e32 v19, 1
	s_and_saveexec_b64 s[22:23], s[4:5]
	s_cbranch_execz .LBB269_184
; %bb.181:                              ;   in Loop: Header=BB269_116 Depth=1
	v_bfe_u32 v17, v22, 16, 7
	v_cmp_ne_u32_e64 s[4:5], s31, v17
	v_mov_b32_e32 v19, 0x7fc02000
	s_and_saveexec_b64 s[28:29], s[4:5]
	s_cbranch_execz .LBB269_183
; %bb.182:                              ;   in Loop: Header=BB269_116 Depth=1
	v_and_b32_e32 v19, 7, v8
	v_ffbh_u32_e32 v30, v19
	v_min_u32_e32 v32, 32, v30
	v_subrev_u32_e32 v30, 28, v32
	v_lshlrev_b64 v[30:31], v30, v[8:9]
	v_lshrrev_b32_e32 v29, 3, v17
	v_sub_u32_e32 v31, 29, v32
	v_cmp_gt_u32_e64 s[4:5], 8, v17
	v_cndmask_b32_e64 v17, v29, v31, s[4:5]
	v_and_b32_e32 v30, 7, v30
	v_lshlrev_b32_e32 v8, 8, v8
	v_lshl_add_u32 v17, v17, 10, v3
	v_cndmask_b32_e64 v19, v19, v30, s[4:5]
	v_and_or_b32 v8, v8, s34, v17
	v_lshl_or_b32 v8, v19, 7, v8
	v_cvt_f32_f16_e32 v19, v8
.LBB269_183:                            ;   in Loop: Header=BB269_116 Depth=1
	s_or_b64 exec, exec, s[28:29]
.LBB269_184:                            ;   in Loop: Header=BB269_116 Depth=1
	s_or_b64 exec, exec, s[22:23]
.LBB269_185:                            ;   in Loop: Header=BB269_116 Depth=1
	s_or_b64 exec, exec, s[20:21]
	v_cmp_lt_u32_e64 s[4:5], s13, v22
	s_and_saveexec_b64 s[20:21], s[4:5]
	s_cbranch_execz .LBB269_191
; %bb.186:                              ;   in Loop: Header=BB269_116 Depth=1
	v_lshrrev_b32_e32 v8, 24, v22
	v_cmp_ne_u32_e64 s[4:5], s30, v8
	v_bfrev_b32_e32 v21, 1
	s_and_saveexec_b64 s[22:23], s[4:5]
	s_cbranch_execz .LBB269_190
; %bb.187:                              ;   in Loop: Header=BB269_116 Depth=1
	v_and_b32_e32 v17, 0x7f, v8
	v_cmp_ne_u32_e64 s[4:5], s31, v17
	v_mov_b32_e32 v21, 0x7fc02000
	s_and_saveexec_b64 s[28:29], s[4:5]
	s_cbranch_execz .LBB269_189
; %bb.188:                              ;   in Loop: Header=BB269_116 Depth=1
	v_and_b32_e32 v21, 7, v8
	v_ffbh_u32_e32 v30, v21
	v_min_u32_e32 v32, 32, v30
	v_subrev_u32_e32 v30, 28, v32
	v_lshlrev_b64 v[30:31], v30, v[8:9]
	v_lshrrev_b32_e32 v29, 3, v17
	v_sub_u32_e32 v31, 29, v32
	v_cmp_gt_u32_e64 s[4:5], 8, v17
	v_cndmask_b32_e64 v17, v29, v31, s[4:5]
	v_and_b32_e32 v30, 7, v30
	v_lshlrev_b32_e32 v8, 8, v8
	v_lshl_add_u32 v17, v17, 10, v3
	v_cndmask_b32_e64 v21, v21, v30, s[4:5]
	v_and_or_b32 v8, v8, s34, v17
	v_lshl_or_b32 v8, v21, 7, v8
	v_cvt_f32_f16_e32 v21, v8
.LBB269_189:                            ;   in Loop: Header=BB269_116 Depth=1
	s_or_b64 exec, exec, s[28:29]
.LBB269_190:                            ;   in Loop: Header=BB269_116 Depth=1
	s_or_b64 exec, exec, s[22:23]
.LBB269_191:                            ;   in Loop: Header=BB269_116 Depth=1
	s_or_b64 exec, exec, s[20:21]
	v_mov_b32_e32 v8, v23
	v_cmp_ne_u16_sdwa s[4:5], v23, v9 src0_sel:BYTE_0 src1_sel:DWORD
	v_mov_b32_e32 v29, 0
	v_mov_b32_e32 v17, 0
	s_and_saveexec_b64 s[20:21], s[4:5]
	s_cbranch_execz .LBB269_197
; %bb.192:                              ;   in Loop: Header=BB269_116 Depth=1
	v_cmp_ne_u16_sdwa s[4:5], v23, s30 src0_sel:BYTE_0 src1_sel:DWORD
	v_bfrev_b32_e32 v17, 1
	s_and_saveexec_b64 s[22:23], s[4:5]
	s_cbranch_execz .LBB269_196
; %bb.193:                              ;   in Loop: Header=BB269_116 Depth=1
	v_and_b32_e32 v30, 0x7f, v23
	v_cmp_ne_u32_e64 s[4:5], s31, v30
	v_mov_b32_e32 v17, 0x7fc02000
	s_and_saveexec_b64 s[28:29], s[4:5]
	s_cbranch_execz .LBB269_195
; %bb.194:                              ;   in Loop: Header=BB269_116 Depth=1
	v_and_b32_e32 v17, 7, v23
	v_ffbh_u32_e32 v17, v17
	v_min_u32_e32 v17, 32, v17
	v_subrev_u32_e32 v31, 28, v17
	v_cmp_gt_u32_e64 s[4:5], 8, v30
	v_lshrrev_b32_e32 v32, 3, v30
	v_sub_u32_e32 v17, 29, v17
	v_cndmask_b32_e64 v30, 0, v31, s[4:5]
	v_lshlrev_b64 v[30:31], v30, v[8:9]
	v_cndmask_b32_e64 v17, v32, v17, s[4:5]
	v_lshlrev_b32_e32 v31, 8, v23
	v_lshl_add_u32 v17, v17, 10, v3
	v_lshlrev_b32_e32 v30, 7, v30
	v_and_or_b32 v17, v31, s34, v17
	v_and_or_b32 v17, v30, s35, v17
	v_cvt_f32_f16_e32 v17, v17
.LBB269_195:                            ;   in Loop: Header=BB269_116 Depth=1
	s_or_b64 exec, exec, s[28:29]
.LBB269_196:                            ;   in Loop: Header=BB269_116 Depth=1
	s_or_b64 exec, exec, s[22:23]
.LBB269_197:                            ;   in Loop: Header=BB269_116 Depth=1
	s_or_b64 exec, exec, s[20:21]
	v_lshrrev_b16_e32 v8, 8, v8
	v_cmp_ne_u16_e64 s[4:5], 0, v8
	s_and_saveexec_b64 s[20:21], s[4:5]
	s_cbranch_execz .LBB269_203
; %bb.198:                              ;   in Loop: Header=BB269_116 Depth=1
	v_cmp_ne_u16_e64 s[4:5], s30, v8
	v_bfrev_b32_e32 v29, 1
	s_and_saveexec_b64 s[22:23], s[4:5]
	s_cbranch_execz .LBB269_202
; %bb.199:                              ;   in Loop: Header=BB269_116 Depth=1
	v_and_b32_e32 v30, 0x7f, v8
	v_cmp_ne_u32_e64 s[4:5], s31, v30
	v_mov_b32_e32 v29, 0x7fc02000
	s_and_saveexec_b64 s[28:29], s[4:5]
	s_cbranch_execz .LBB269_201
; %bb.200:                              ;   in Loop: Header=BB269_116 Depth=1
	v_and_b32_e32 v29, 7, v8
	v_ffbh_u32_e32 v32, v29
	v_min_u32_e32 v34, 32, v32
	v_subrev_u32_e32 v32, 28, v34
	v_lshlrev_b64 v[32:33], v32, v[8:9]
	v_lshrrev_b32_e32 v31, 3, v30
	v_sub_u32_e32 v33, 29, v34
	v_cmp_gt_u32_e64 s[4:5], 8, v30
	v_cndmask_b32_e64 v30, v31, v33, s[4:5]
	v_and_b32_e32 v32, 7, v32
	v_lshlrev_b32_e32 v8, 8, v8
	v_lshl_add_u32 v30, v30, 10, v3
	v_cndmask_b32_e64 v29, v29, v32, s[4:5]
	v_and_or_b32 v8, v8, s34, v30
	v_lshl_or_b32 v8, v29, 7, v8
	v_cvt_f32_f16_e32 v29, v8
.LBB269_201:                            ;   in Loop: Header=BB269_116 Depth=1
	s_or_b64 exec, exec, s[28:29]
.LBB269_202:                            ;   in Loop: Header=BB269_116 Depth=1
	s_or_b64 exec, exec, s[22:23]
.LBB269_203:                            ;   in Loop: Header=BB269_116 Depth=1
	s_or_b64 exec, exec, s[20:21]
	v_lshrrev_b32_e32 v8, 16, v23
	v_cmp_ne_u16_sdwa s[4:5], v8, v9 src0_sel:BYTE_0 src1_sel:DWORD
	v_mov_b32_e32 v30, 0
	v_mov_b32_e32 v31, 0
	s_and_saveexec_b64 s[20:21], s[4:5]
	s_cbranch_execz .LBB269_209
; %bb.204:                              ;   in Loop: Header=BB269_116 Depth=1
	v_cmp_ne_u16_sdwa s[4:5], v8, s30 src0_sel:BYTE_0 src1_sel:DWORD
	v_bfrev_b32_e32 v31, 1
	s_and_saveexec_b64 s[22:23], s[4:5]
	s_cbranch_execz .LBB269_208
; %bb.205:                              ;   in Loop: Header=BB269_116 Depth=1
	v_bfe_u32 v32, v23, 16, 7
	v_cmp_ne_u32_e64 s[4:5], s31, v32
	v_mov_b32_e32 v31, 0x7fc02000
	s_and_saveexec_b64 s[28:29], s[4:5]
	s_cbranch_execz .LBB269_207
; %bb.206:                              ;   in Loop: Header=BB269_116 Depth=1
	v_and_b32_e32 v31, 7, v8
	v_ffbh_u32_e32 v34, v31
	v_min_u32_e32 v36, 32, v34
	v_subrev_u32_e32 v34, 28, v36
	v_lshlrev_b64 v[34:35], v34, v[8:9]
	v_lshrrev_b32_e32 v33, 3, v32
	v_sub_u32_e32 v35, 29, v36
	v_cmp_gt_u32_e64 s[4:5], 8, v32
	v_cndmask_b32_e64 v32, v33, v35, s[4:5]
	v_and_b32_e32 v34, 7, v34
	v_lshlrev_b32_e32 v8, 8, v8
	v_lshl_add_u32 v32, v32, 10, v3
	v_cndmask_b32_e64 v31, v31, v34, s[4:5]
	v_and_or_b32 v8, v8, s34, v32
	v_lshl_or_b32 v8, v31, 7, v8
	v_cvt_f32_f16_e32 v31, v8
.LBB269_207:                            ;   in Loop: Header=BB269_116 Depth=1
	s_or_b64 exec, exec, s[28:29]
.LBB269_208:                            ;   in Loop: Header=BB269_116 Depth=1
	s_or_b64 exec, exec, s[22:23]
.LBB269_209:                            ;   in Loop: Header=BB269_116 Depth=1
	s_or_b64 exec, exec, s[20:21]
	v_cmp_lt_u64_e64 s[4:5], s[12:13], v[22:23]
	s_and_saveexec_b64 s[20:21], s[4:5]
	s_cbranch_execz .LBB269_215
; %bb.210:                              ;   in Loop: Header=BB269_116 Depth=1
	v_lshrrev_b32_e32 v8, 24, v23
	v_cmp_ne_u32_e64 s[4:5], s30, v8
	v_bfrev_b32_e32 v30, 1
	s_and_saveexec_b64 s[22:23], s[4:5]
	s_cbranch_execz .LBB269_214
; %bb.211:                              ;   in Loop: Header=BB269_116 Depth=1
	v_and_b32_e32 v22, 0x7f, v8
	v_cmp_ne_u32_e64 s[4:5], s31, v22
	v_mov_b32_e32 v30, 0x7fc02000
	s_and_saveexec_b64 s[28:29], s[4:5]
	s_cbranch_execz .LBB269_213
; %bb.212:                              ;   in Loop: Header=BB269_116 Depth=1
	v_and_b32_e32 v23, 7, v8
	v_ffbh_u32_e32 v32, v23
	v_min_u32_e32 v34, 32, v32
	v_subrev_u32_e32 v32, 28, v34
	v_lshlrev_b64 v[32:33], v32, v[8:9]
	v_lshrrev_b32_e32 v30, 3, v22
	v_sub_u32_e32 v33, 29, v34
	v_cmp_gt_u32_e64 s[4:5], 8, v22
	v_cndmask_b32_e64 v22, v30, v33, s[4:5]
	v_and_b32_e32 v32, 7, v32
	v_lshlrev_b32_e32 v8, 8, v8
	v_lshl_add_u32 v22, v22, 10, v3
	v_cndmask_b32_e64 v23, v23, v32, s[4:5]
	v_and_or_b32 v8, v8, s34, v22
	v_lshl_or_b32 v8, v23, 7, v8
	v_cvt_f32_f16_e32 v30, v8
.LBB269_213:                            ;   in Loop: Header=BB269_116 Depth=1
	s_or_b64 exec, exec, s[28:29]
.LBB269_214:                            ;   in Loop: Header=BB269_116 Depth=1
	s_or_b64 exec, exec, s[22:23]
.LBB269_215:                            ;   in Loop: Header=BB269_116 Depth=1
	s_or_b64 exec, exec, s[20:21]
	s_waitcnt vmcnt(0)
	v_pk_mul_f32 v[18:19], v[16:17], v[18:19] op_sel_hi:[0,1]
	v_cvt_f16_f32_e32 v19, v19
	v_cvt_f16_f32_e32 v18, v18
	v_pk_mul_f32 v[20:21], v[16:17], v[20:21] op_sel_hi:[0,1]
	v_cvt_f16_f32_e32 v8, v21
	v_cvt_f16_f32_e32 v20, v20
	v_pack_b32_f16 v18, v18, v19
	v_fma_mixlo_f16 v19, v16, v29, 0
	v_lshlrev_b32_e32 v19, 16, v19
	v_fma_mixlo_f16 v17, v16, v17, 0
	v_or_b32_sdwa v17, v19, v17 dst_sel:DWORD dst_unused:UNUSED_PAD src0_sel:DWORD src1_sel:WORD_0
	v_fma_mixlo_f16 v19, v16, v31, 0
	v_fma_mixlo_f16 v16, v16, v30, 0
	v_pack_b32_f16 v20, v20, v8
	v_lshlrev_b32_e32 v16, 16, v16
	v_perm_b32 v8, v18, v20, s37
	v_perm_b32 v18, v18, v20, s38
	v_or_b32_sdwa v16, v16, v19 dst_sel:DWORD dst_unused:UNUSED_PAD src0_sel:DWORD src1_sel:WORD_0
	s_and_saveexec_b64 s[4:5], s[2:3]
	s_cbranch_execz .LBB269_114
; %bb.216:                              ;   in Loop: Header=BB269_116 Depth=1
	v_add_u32_e32 v20, 1, v11
	v_lshrrev_b32_e32 v21, 16, v18
	v_cmp_gt_i32_e64 s[2:3], s36, v20
	v_cndmask_b32_e64 v20, 0, v21, s[2:3]
	v_cmp_gt_i32_e64 s[2:3], s33, v11
	v_cndmask_b32_e64 v18, 0, v18, s[2:3]
	v_perm_b32 v18, v20, v18, s39
	v_or_b32_e32 v20, 3, v11
	v_or_b32_e32 v21, 2, v11
	v_lshrrev_b32_e32 v22, 16, v8
	v_cmp_gt_i32_e64 s[2:3], s36, v20
	v_cndmask_b32_e64 v20, 0, v22, s[2:3]
	v_cmp_gt_i32_e64 s[2:3], s33, v21
	v_cndmask_b32_e64 v8, 0, v8, s[2:3]
	v_perm_b32 v8, v20, v8, s39
	v_or_b32_e32 v20, 5, v11
	v_or_b32_e32 v21, 4, v11
	;; [unrolled: 8-line block ×3, first 2 shown]
	v_lshrrev_b32_e32 v16, 16, v16
	v_cmp_gt_i32_e64 s[2:3], s36, v20
	v_cndmask_b32_e64 v16, 0, v16, s[2:3]
	v_cmp_gt_i32_e64 s[2:3], s33, v21
	v_cndmask_b32_e64 v19, 0, v19, s[2:3]
	v_perm_b32 v16, v16, v19, s39
	s_branch .LBB269_114
.LBB269_217:
	s_or_b64 exec, exec, s[16:17]
.LBB269_218:
	s_or_b64 exec, exec, s[6:7]
	v_and_b32_e32 v2, 0x3c0, v0
	v_cmp_eq_u32_e32 vcc, 64, v2
	s_barrier
	s_and_saveexec_b64 s[2:3], vcc
	s_cbranch_execz .LBB269_221
; %bb.219:
	v_mov_b32_e32 v2, 0xd0
	v_lshl_add_u32 v3, v7, 2, v2
	ds_write_b32 v3, v4
	s_and_b64 exec, exec, s[0:1]
	s_cbranch_execz .LBB269_221
; %bb.220:
	v_lshl_add_u32 v2, v0, 2, v2
	ds_write_b32 v2, v5
.LBB269_221:
	s_or_b64 exec, exec, s[2:3]
	v_cmp_gt_u32_e32 vcc, 64, v0
	v_or_b32_e32 v2, 64, v0
	s_waitcnt lgkmcnt(0)
	s_barrier
	s_and_saveexec_b64 s[2:3], vcc
	s_cbranch_execz .LBB269_225
; %bb.222:
	v_mov_b32_e32 v3, 0xd0
	v_lshl_add_u32 v0, v0, 2, v3
	ds_read_b32 v3, v0
	s_movk_i32 s0, 0x60
	v_cmp_gt_u32_e64 s[0:1], s0, v2
	s_waitcnt lgkmcnt(0)
	v_add_f32_e32 v4, v4, v3
	s_and_saveexec_b64 s[4:5], s[0:1]
	s_cbranch_execz .LBB269_224
; %bb.223:
	ds_read_b32 v0, v0 offset:256
	s_waitcnt lgkmcnt(0)
	v_add_f32_e32 v5, v5, v0
.LBB269_224:
	s_or_b64 exec, exec, s[4:5]
.LBB269_225:
	s_or_b64 exec, exec, s[2:3]
	s_barrier
	s_and_saveexec_b64 s[0:1], vcc
	s_cbranch_execz .LBB269_228
; %bb.226:
	s_mul_i32 s0, s10, 0x60
	s_ashr_i32 s1, s0, 31
	s_lshl_b64 s[0:1], s[0:1], 1
	s_add_u32 s3, s26, s0
	s_mul_i32 s0, s25, s24
	s_addc_u32 s4, s27, s1
	s_ashr_i32 s1, s0, 31
	s_lshl_b64 s[0:1], s[0:1], 1
	s_add_u32 s3, s3, s0
	s_mul_i32 s0, s8, 0x60
	s_addc_u32 s4, s4, s1
	s_ashr_i32 s1, s0, 31
	s_lshl_b64 s[0:1], s[0:1], 1
	s_movk_i32 s2, 0x60
	s_add_u32 s0, s3, s0
	s_addc_u32 s1, s4, s1
	v_cmp_gt_u32_e32 vcc, s2, v2
	;;#ASMSTART
	v_cvt_f16_f32 v0, v4;

	;;#ASMEND
	global_store_short v1, v0, s[0:1]
	s_and_b64 exec, exec, vcc
	s_cbranch_execz .LBB269_228
; %bb.227:
	v_mov_b32_e32 v2, s1
	v_add_co_u32_e32 v0, vcc, s0, v1
	v_addc_co_u32_e32 v1, vcc, 0, v2, vcc
	;;#ASMSTART
	v_cvt_f16_f32 v2, v5;

	;;#ASMEND
	global_store_short v[0:1], v2, off offset:128
.LBB269_228:
	s_endpgm
	.section	.rodata,"a",@progbits
	.p2align	6, 0x0
	.amdhsa_kernel _ZN4vllm25paged_attention_v2_kernelIthLi96ELi8ELi128ELNS_18Fp8KVCacheDataTypeE1ELb0ELi512EEEvPfS2_PT_PKS3_PKT0_S9_ifPKiSB_iPKfiiiSD_SD_iiiii
		.amdhsa_group_segment_fixed_size 208
		.amdhsa_private_segment_fixed_size 0
		.amdhsa_kernarg_size 400
		.amdhsa_user_sgpr_count 6
		.amdhsa_user_sgpr_private_segment_buffer 1
		.amdhsa_user_sgpr_dispatch_ptr 0
		.amdhsa_user_sgpr_queue_ptr 0
		.amdhsa_user_sgpr_kernarg_segment_ptr 1
		.amdhsa_user_sgpr_dispatch_id 0
		.amdhsa_user_sgpr_flat_scratch_init 0
		.amdhsa_user_sgpr_kernarg_preload_length 0
		.amdhsa_user_sgpr_kernarg_preload_offset 0
		.amdhsa_user_sgpr_private_segment_size 0
		.amdhsa_uses_dynamic_stack 0
		.amdhsa_system_sgpr_private_segment_wavefront_offset 0
		.amdhsa_system_sgpr_workgroup_id_x 1
		.amdhsa_system_sgpr_workgroup_id_y 1
		.amdhsa_system_sgpr_workgroup_id_z 1
		.amdhsa_system_sgpr_workgroup_info 0
		.amdhsa_system_vgpr_workitem_id 0
		.amdhsa_next_free_vgpr 42
		.amdhsa_next_free_sgpr 54
		.amdhsa_accum_offset 44
		.amdhsa_reserve_vcc 1
		.amdhsa_reserve_flat_scratch 0
		.amdhsa_float_round_mode_32 0
		.amdhsa_float_round_mode_16_64 0
		.amdhsa_float_denorm_mode_32 3
		.amdhsa_float_denorm_mode_16_64 3
		.amdhsa_dx10_clamp 1
		.amdhsa_ieee_mode 1
		.amdhsa_fp16_overflow 0
		.amdhsa_tg_split 0
		.amdhsa_exception_fp_ieee_invalid_op 0
		.amdhsa_exception_fp_denorm_src 0
		.amdhsa_exception_fp_ieee_div_zero 0
		.amdhsa_exception_fp_ieee_overflow 0
		.amdhsa_exception_fp_ieee_underflow 0
		.amdhsa_exception_fp_ieee_inexact 0
		.amdhsa_exception_int_div_zero 0
	.end_amdhsa_kernel
	.section	.text._ZN4vllm25paged_attention_v2_kernelIthLi96ELi8ELi128ELNS_18Fp8KVCacheDataTypeE1ELb0ELi512EEEvPfS2_PT_PKS3_PKT0_S9_ifPKiSB_iPKfiiiSD_SD_iiiii,"axG",@progbits,_ZN4vllm25paged_attention_v2_kernelIthLi96ELi8ELi128ELNS_18Fp8KVCacheDataTypeE1ELb0ELi512EEEvPfS2_PT_PKS3_PKT0_S9_ifPKiSB_iPKfiiiSD_SD_iiiii,comdat
.Lfunc_end269:
	.size	_ZN4vllm25paged_attention_v2_kernelIthLi96ELi8ELi128ELNS_18Fp8KVCacheDataTypeE1ELb0ELi512EEEvPfS2_PT_PKS3_PKT0_S9_ifPKiSB_iPKfiiiSD_SD_iiiii, .Lfunc_end269-_ZN4vllm25paged_attention_v2_kernelIthLi96ELi8ELi128ELNS_18Fp8KVCacheDataTypeE1ELb0ELi512EEEvPfS2_PT_PKS3_PKT0_S9_ifPKiSB_iPKfiiiSD_SD_iiiii
                                        ; -- End function
	.section	.AMDGPU.csdata,"",@progbits
; Kernel info:
; codeLenInByte = 10208
; NumSgprs: 58
; NumVgprs: 42
; NumAgprs: 0
; TotalNumVgprs: 42
; ScratchSize: 0
; MemoryBound: 0
; FloatMode: 240
; IeeeMode: 1
; LDSByteSize: 208 bytes/workgroup (compile time only)
; SGPRBlocks: 7
; VGPRBlocks: 5
; NumSGPRsForWavesPerEU: 58
; NumVGPRsForWavesPerEU: 42
; AccumOffset: 44
; Occupancy: 8
; WaveLimiterHint : 1
; COMPUTE_PGM_RSRC2:SCRATCH_EN: 0
; COMPUTE_PGM_RSRC2:USER_SGPR: 6
; COMPUTE_PGM_RSRC2:TRAP_HANDLER: 0
; COMPUTE_PGM_RSRC2:TGID_X_EN: 1
; COMPUTE_PGM_RSRC2:TGID_Y_EN: 1
; COMPUTE_PGM_RSRC2:TGID_Z_EN: 1
; COMPUTE_PGM_RSRC2:TIDIG_COMP_CNT: 0
; COMPUTE_PGM_RSRC3_GFX90A:ACCUM_OFFSET: 10
; COMPUTE_PGM_RSRC3_GFX90A:TG_SPLIT: 0
	.section	.text._ZN4vllm25paged_attention_v2_kernelIthLi112ELi8ELi128ELNS_18Fp8KVCacheDataTypeE1ELb0ELi512EEEvPfS2_PT_PKS3_PKT0_S9_ifPKiSB_iPKfiiiSD_SD_iiiii,"axG",@progbits,_ZN4vllm25paged_attention_v2_kernelIthLi112ELi8ELi128ELNS_18Fp8KVCacheDataTypeE1ELb0ELi512EEEvPfS2_PT_PKS3_PKT0_S9_ifPKiSB_iPKfiiiSD_SD_iiiii,comdat
	.protected	_ZN4vllm25paged_attention_v2_kernelIthLi112ELi8ELi128ELNS_18Fp8KVCacheDataTypeE1ELb0ELi512EEEvPfS2_PT_PKS3_PKT0_S9_ifPKiSB_iPKfiiiSD_SD_iiiii ; -- Begin function _ZN4vllm25paged_attention_v2_kernelIthLi112ELi8ELi128ELNS_18Fp8KVCacheDataTypeE1ELb0ELi512EEEvPfS2_PT_PKS3_PKT0_S9_ifPKiSB_iPKfiiiSD_SD_iiiii
	.globl	_ZN4vllm25paged_attention_v2_kernelIthLi112ELi8ELi128ELNS_18Fp8KVCacheDataTypeE1ELb0ELi512EEEvPfS2_PT_PKS3_PKT0_S9_ifPKiSB_iPKfiiiSD_SD_iiiii
	.p2align	8
	.type	_ZN4vllm25paged_attention_v2_kernelIthLi112ELi8ELi128ELNS_18Fp8KVCacheDataTypeE1ELb0ELi512EEEvPfS2_PT_PKS3_PKT0_S9_ifPKiSB_iPKfiiiSD_SD_iiiii,@function
_ZN4vllm25paged_attention_v2_kernelIthLi112ELi8ELi128ELNS_18Fp8KVCacheDataTypeE1ELb0ELi512EEEvPfS2_PT_PKS3_PKT0_S9_ifPKiSB_iPKfiiiSD_SD_iiiii: ; @_ZN4vllm25paged_attention_v2_kernelIthLi112ELi8ELi128ELNS_18Fp8KVCacheDataTypeE1ELb0ELi512EEEvPfS2_PT_PKS3_PKT0_S9_ifPKiSB_iPKfiiiSD_SD_iiiii
; %bb.0:
	s_load_dwordx2 s[0:1], s[4:5], 0x40
	s_mov_b32 s28, s7
	s_ashr_i32 s29, s7, 31
	s_lshl_b64 s[2:3], s[28:29], 2
	s_waitcnt lgkmcnt(0)
	s_add_u32 s0, s0, s2
	s_addc_u32 s1, s1, s3
	s_load_dword s33, s[0:1], 0x0
	s_lshl_b32 s29, s8, 9
	s_waitcnt lgkmcnt(0)
	s_cmp_ge_i32 s29, s33
	s_cbranch_scc1 .LBB270_240
; %bb.1:
	s_load_dword s9, s[4:5], 0x90
	s_load_dwordx2 s[38:39], s[4:5], 0x30
	s_waitcnt lgkmcnt(0)
	s_abs_i32 s2, s9
	s_abs_i32 s0, s38
	v_cvt_f32_u32_e32 v1, s0
	s_sub_i32 s3, 0, s0
	s_xor_b32 s1, s9, s38
	s_ashr_i32 s1, s1, 31
	v_rcp_iflag_f32_e32 v1, v1
	s_mov_b32 s38, 0
	v_mul_f32_e32 v1, 0x4f7ffffe, v1
	v_cvt_u32_f32_e32 v1, v1
	v_readfirstlane_b32 s7, v1
	s_mul_i32 s3, s3, s7
	s_mul_hi_u32 s3, s7, s3
	s_add_i32 s7, s7, s3
	s_mul_hi_u32 s3, s2, s7
	s_mul_i32 s7, s3, s0
	s_sub_i32 s2, s2, s7
	s_add_i32 s10, s3, 1
	s_sub_i32 s7, s2, s0
	s_cmp_ge_u32 s2, s0
	s_cselect_b32 s3, s10, s3
	s_cselect_b32 s2, s7, s2
	s_add_i32 s7, s3, 1
	s_cmp_ge_u32 s2, s0
	s_cselect_b32 s0, s7, s3
	s_xor_b32 s0, s0, s1
	s_sub_i32 s2, s0, s1
	s_abs_i32 s10, s2
	v_cvt_f32_u32_e32 v1, s10
	s_load_dwordx2 s[0:1], s[4:5], 0x50
	s_sub_i32 s3, 0, s10
	s_abs_i32 s11, s6
	v_rcp_iflag_f32_e32 v1, v1
	v_mul_f32_e32 v1, 0x4f7ffffe, v1
	v_cvt_u32_f32_e32 v1, v1
	v_readfirstlane_b32 s7, v1
	s_mul_i32 s3, s3, s7
	s_mul_hi_u32 s3, s7, s3
	s_add_i32 s7, s7, s3
	s_waitcnt lgkmcnt(0)
	s_cmp_eq_u64 s[0:1], 0
	s_mul_hi_u32 s12, s11, s7
	s_cbranch_scc1 .LBB270_3
; %bb.2:
	s_ashr_i32 s7, s6, 31
	s_lshl_b64 s[14:15], s[6:7], 2
	s_add_u32 s0, s0, s14
	s_addc_u32 s1, s1, s15
	s_load_dword s38, s[0:1], 0x0
.LBB270_3:
	s_load_dwordx4 s[16:19], s[4:5], 0x58
	s_movk_i32 s0, 0x70
	s_ashr_i32 s13, s6, 31
	s_ashr_i32 s14, s2, 31
	v_and_b32_e32 v4, 7, v0
	s_mul_i32 s24, s6, 0x70
	v_cmp_gt_u32_e64 s[0:1], s0, v0
	v_lshlrev_b32_e32 v1, 1, v0
	s_and_saveexec_b64 s[2:3], s[0:1]
	s_cbranch_execz .LBB270_5
; %bb.4:
	s_load_dwordx2 s[20:21], s[4:5], 0x18
	s_waitcnt lgkmcnt(0)
	s_mul_i32 s22, s28, s16
	s_ashr_i32 s23, s22, 31
	s_lshl_b64 s[22:23], s[22:23], 1
	v_lshrrev_b32_e32 v3, 2, v0
	s_add_u32 s7, s20, s22
	s_addc_u32 s15, s21, s23
	s_ashr_i32 s25, s24, 31
	s_lshl_b64 s[20:21], s[24:25], 1
	s_add_u32 s20, s7, s20
	s_addc_u32 s21, s15, s21
	global_load_ushort v2, v1, s[20:21]
	v_and_b32_e32 v3, 0xfe, v3
	v_mad_u32_u24 v3, v4, 28, v3
	s_waitcnt vmcnt(0)
	ds_write_b16 v3, v2
.LBB270_5:
	s_or_b64 exec, exec, s[2:3]
	s_add_i32 s2, s33, 7
	s_ashr_i32 s3, s2, 31
	s_lshr_b32 s3, s3, 29
	s_add_i32 s2, s2, s3
	s_lshl_b32 s7, s8, 6
	s_mul_i32 s3, s12, s10
	s_waitcnt lgkmcnt(0)
	s_ashr_i32 s16, s2, 3
	s_add_i32 s2, s7, 64
	s_sub_i32 s3, s11, s3
	s_min_i32 s48, s2, s16
	s_xor_b32 s2, s13, s14
	s_add_i32 s11, s12, 1
	s_sub_i32 s13, s3, s10
	s_cmp_ge_u32 s3, s10
	s_cselect_b32 s11, s11, s12
	s_cselect_b32 s3, s13, s3
	s_add_i32 s12, s11, 1
	s_cmp_ge_u32 s3, s10
	s_load_dwordx2 s[30:31], s[4:5], 0x38
	s_load_dword s10, s[4:5], 0x48
	v_lshrrev_b32_e32 v13, 6, v0
	s_cselect_b32 s3, s12, s11
	s_xor_b32 s3, s3, s2
	v_or_b32_e32 v2, s7, v13
	s_waitcnt lgkmcnt(0)
	s_mul_i32 s34, s28, s10
	s_sub_i32 s49, s3, s2
	s_ashr_i32 s35, s34, 31
	v_cmp_gt_i32_e64 s[2:3], s48, v2
	v_cmp_le_i32_e32 vcc, s48, v2
	v_mbcnt_lo_u32_b32 v11, -1, 0
	s_barrier
	s_waitcnt lgkmcnt(0)
                                        ; implicit-def: $sgpr19
                                        ; implicit-def: $vgpr5
                                        ; implicit-def: $vgpr10
	s_and_saveexec_b64 s[10:11], vcc
	s_xor_b64 s[10:11], exec, s[10:11]
; %bb.6:
	v_mbcnt_hi_u32_b32 v5, -1, v11
	v_and_b32_e32 v3, 64, v5
	v_add_u32_e32 v10, 64, v3
	s_mov_b32 s19, 0xff7fffff
                                        ; implicit-def: $vgpr4
                                        ; implicit-def: $vgpr11
; %bb.7:
	s_or_saveexec_b64 s[40:41], s[10:11]
	s_load_dwordx4 s[20:23], s[4:5], 0x0
	s_load_dwordx2 s[26:27], s[4:5], 0x10
	s_load_dword s25, s[4:5], 0x98
	s_load_dwordx2 s[36:37], s[4:5], 0x28
	s_load_dwordx4 s[12:15], s[4:5], 0x68
	v_mov_b32_e32 v14, s19
	s_mul_i32 s49, s49, s18
	v_ashrrev_i32_e32 v3, 31, v2
	s_xor_b64 exec, exec, s[40:41]
	s_cbranch_execz .LBB270_97
; %bb.8:
	s_load_dwordx2 s[4:5], s[4:5], 0x20
	s_ashr_i32 s10, s49, 31
	v_bfe_u32 v5, v0, 3, 3
	v_lshlrev_b32_e32 v8, 3, v13
	v_lshlrev_b32_e32 v6, 4, v5
	s_waitcnt lgkmcnt(0)
	s_add_u32 s4, s4, s49
	s_addc_u32 s5, s5, s10
	s_sub_i32 s51, 1, s33
	s_lshl_b64 s[10:11], s[34:35], 2
	v_add3_u32 v17, s29, v8, v5
	v_lshlrev_b32_e32 v5, 2, v5
	s_add_u32 s10, s30, s10
	v_mov_b32_e32 v7, s5
	v_add_co_u32_e32 v6, vcc, s4, v6
	v_lshl_or_b32 v5, v13, 5, v5
	v_lshlrev_b64 v[8:9], 2, v[2:3]
	s_addc_u32 s11, s31, s11
	v_addc_co_u32_e32 v7, vcc, 0, v7, vcc
	v_add_u32_e32 v18, 0xf0, v5
	v_mov_b32_e32 v5, s11
	v_add_co_u32_e64 v8, s[10:11], s10, v8
	s_mov_b32 s50, s17
	v_mov_b32_e32 v15, 0
	v_mul_u32_u24_e32 v16, 28, v4
	v_cmp_eq_u32_e32 vcc, 0, v4
	v_cmp_neq_f32_e64 s[4:5], s38, 0
	v_addc_co_u32_e64 v9, s[10:11], v5, v9, s[10:11]
	s_mov_b64 s[18:19], 0
	v_mov_b32_e32 v14, 0xff7fffff
	s_movk_i32 s52, 0x80
	s_movk_i32 s53, 0x7f
	v_mbcnt_hi_u32_b32 v5, -1, v11
	v_bfrev_b32_e32 v19, 60
	v_mov_b32_e32 v20, v2
	s_branch .LBB270_10
.LBB270_9:                              ;   in Loop: Header=BB270_10 Depth=1
	s_or_b64 exec, exec, s[42:43]
	v_add_u32_e32 v20, 2, v20
	v_cmp_le_i32_e64 s[10:11], s48, v20
	s_or_b64 s[18:19], s[10:11], s[18:19]
	v_add_co_u32_e64 v8, s[10:11], 8, v8
	v_add_u32_e32 v17, 16, v17
	v_add_u32_e32 v18, 64, v18
	v_addc_co_u32_e64 v9, s[10:11], 0, v9, s[10:11]
	s_andn2_b64 exec, exec, s[18:19]
	s_cbranch_execz .LBB270_96
.LBB270_10:                             ; =>This Inner Loop Header: Depth=1
	global_load_dword v10, v[8:9], off
	v_mov_b32_e32 v22, 0
	s_waitcnt vmcnt(0)
	v_mad_i64_i32 v[10:11], s[10:11], v10, s50, v[6:7]
	v_add_co_u32_e64 v10, s[10:11], v10, v4
	v_addc_co_u32_e64 v11, s[10:11], 0, v11, s[10:11]
	global_load_ubyte v23, v[10:11], off
	global_load_dword v21, v15, s[12:13]
	s_waitcnt vmcnt(1)
	v_cmp_ne_u16_e64 s[10:11], 0, v23
	s_and_saveexec_b64 s[42:43], s[10:11]
	s_cbranch_execz .LBB270_16
; %bb.11:                               ;   in Loop: Header=BB270_10 Depth=1
	v_cmp_ne_u16_e64 s[10:11], s52, v23
	v_bfrev_b32_e32 v22, 1
	s_and_saveexec_b64 s[44:45], s[10:11]
	s_cbranch_execz .LBB270_15
; %bb.12:                               ;   in Loop: Header=BB270_10 Depth=1
	s_waitcnt lgkmcnt(0)
	v_and_b32_e32 v12, 0xffff, v23
	v_and_b32_e32 v24, 0x7f, v12
	v_cmp_ne_u32_e64 s[10:11], s53, v24
	v_mov_b32_e32 v22, 0x7f800001
	s_and_saveexec_b64 s[46:47], s[10:11]
	s_cbranch_execz .LBB270_14
; %bb.13:                               ;   in Loop: Header=BB270_10 Depth=1
	v_and_b32_e32 v22, 7, v12
	v_ffbh_u32_e32 v26, v22
	v_min_u32_e32 v28, 32, v26
	v_subrev_u32_e32 v26, 28, v28
	v_lshlrev_b64 v[26:27], v26, v[12:13]
	v_lshrrev_b32_e32 v25, 3, v24
	v_sub_u32_e32 v12, 29, v28
	v_and_b32_e32 v26, 7, v26
	v_cmp_gt_u32_e64 s[10:11], 8, v24
	v_cndmask_b32_e64 v12, v25, v12, s[10:11]
	v_cndmask_b32_e64 v22, v22, v26, s[10:11]
	v_lshlrev_b32_e32 v23, 24, v23
	v_lshlrev_b32_e32 v22, 20, v22
	v_and_b32_e32 v23, 0x80000000, v23
	v_lshl_add_u32 v12, v12, 23, v19
	v_or3_b32 v22, v23, v12, v22
.LBB270_14:                             ;   in Loop: Header=BB270_10 Depth=1
	s_or_b64 exec, exec, s[46:47]
.LBB270_15:                             ;   in Loop: Header=BB270_10 Depth=1
	s_or_b64 exec, exec, s[44:45]
.LBB270_16:                             ;   in Loop: Header=BB270_10 Depth=1
	s_or_b64 exec, exec, s[42:43]
	global_load_ubyte v25, v[10:11], off offset:8
	v_mov_b32_e32 v23, 0
	v_mov_b32_e32 v24, 0
	s_waitcnt vmcnt(0)
	v_cmp_ne_u16_e64 s[10:11], 0, v25
	s_and_saveexec_b64 s[42:43], s[10:11]
	s_cbranch_execz .LBB270_22
; %bb.17:                               ;   in Loop: Header=BB270_10 Depth=1
	v_cmp_ne_u16_e64 s[10:11], s52, v25
	v_bfrev_b32_e32 v24, 1
	s_and_saveexec_b64 s[44:45], s[10:11]
	s_cbranch_execz .LBB270_21
; %bb.18:                               ;   in Loop: Header=BB270_10 Depth=1
	s_waitcnt lgkmcnt(0)
	v_and_b32_e32 v12, 0xffff, v25
	v_and_b32_e32 v26, 0x7f, v12
	v_cmp_ne_u32_e64 s[10:11], s53, v26
	v_mov_b32_e32 v24, 0x7f800001
	s_and_saveexec_b64 s[46:47], s[10:11]
	s_cbranch_execz .LBB270_20
; %bb.19:                               ;   in Loop: Header=BB270_10 Depth=1
	v_and_b32_e32 v24, 7, v12
	v_ffbh_u32_e32 v28, v24
	v_min_u32_e32 v30, 32, v28
	v_subrev_u32_e32 v28, 28, v30
	v_lshlrev_b64 v[28:29], v28, v[12:13]
	v_lshrrev_b32_e32 v27, 3, v26
	v_sub_u32_e32 v12, 29, v30
	v_and_b32_e32 v28, 7, v28
	v_cmp_gt_u32_e64 s[10:11], 8, v26
	v_cndmask_b32_e64 v12, v27, v12, s[10:11]
	v_cndmask_b32_e64 v24, v24, v28, s[10:11]
	v_lshlrev_b32_e32 v25, 24, v25
	v_lshlrev_b32_e32 v24, 20, v24
	v_and_b32_e32 v25, 0x80000000, v25
	v_lshl_add_u32 v12, v12, 23, v19
	v_or3_b32 v24, v25, v12, v24
.LBB270_20:                             ;   in Loop: Header=BB270_10 Depth=1
	s_or_b64 exec, exec, s[46:47]
.LBB270_21:                             ;   in Loop: Header=BB270_10 Depth=1
	s_or_b64 exec, exec, s[44:45]
.LBB270_22:                             ;   in Loop: Header=BB270_10 Depth=1
	s_or_b64 exec, exec, s[42:43]
	global_load_ubyte v25, v[10:11], off offset:128
	s_waitcnt vmcnt(0)
	v_cmp_ne_u16_e64 s[10:11], 0, v25
	s_and_saveexec_b64 s[42:43], s[10:11]
	s_cbranch_execz .LBB270_28
; %bb.23:                               ;   in Loop: Header=BB270_10 Depth=1
	v_cmp_ne_u16_e64 s[10:11], s52, v25
	v_bfrev_b32_e32 v23, 1
	s_and_saveexec_b64 s[44:45], s[10:11]
	s_cbranch_execz .LBB270_27
; %bb.24:                               ;   in Loop: Header=BB270_10 Depth=1
	s_waitcnt lgkmcnt(0)
	v_and_b32_e32 v12, 0xffff, v25
	v_and_b32_e32 v26, 0x7f, v12
	v_cmp_ne_u32_e64 s[10:11], s53, v26
	v_mov_b32_e32 v23, 0x7f800001
	s_and_saveexec_b64 s[46:47], s[10:11]
	s_cbranch_execz .LBB270_26
; %bb.25:                               ;   in Loop: Header=BB270_10 Depth=1
	v_and_b32_e32 v23, 7, v12
	v_ffbh_u32_e32 v28, v23
	v_min_u32_e32 v30, 32, v28
	v_subrev_u32_e32 v28, 28, v30
	v_lshlrev_b64 v[28:29], v28, v[12:13]
	v_lshrrev_b32_e32 v27, 3, v26
	v_sub_u32_e32 v12, 29, v30
	v_and_b32_e32 v28, 7, v28
	v_cmp_gt_u32_e64 s[10:11], 8, v26
	v_cndmask_b32_e64 v12, v27, v12, s[10:11]
	v_cndmask_b32_e64 v23, v23, v28, s[10:11]
	v_lshlrev_b32_e32 v25, 24, v25
	v_lshlrev_b32_e32 v23, 20, v23
	v_and_b32_e32 v25, 0x80000000, v25
	v_lshl_add_u32 v12, v12, 23, v19
	v_or3_b32 v23, v25, v12, v23
.LBB270_26:                             ;   in Loop: Header=BB270_10 Depth=1
	s_or_b64 exec, exec, s[46:47]
.LBB270_27:                             ;   in Loop: Header=BB270_10 Depth=1
	s_or_b64 exec, exec, s[44:45]
.LBB270_28:                             ;   in Loop: Header=BB270_10 Depth=1
	s_or_b64 exec, exec, s[42:43]
	global_load_ubyte v27, v[10:11], off offset:136
	v_mov_b32_e32 v25, 0
	v_mov_b32_e32 v26, 0
	s_waitcnt vmcnt(0)
	v_cmp_ne_u16_e64 s[10:11], 0, v27
	s_and_saveexec_b64 s[42:43], s[10:11]
	s_cbranch_execz .LBB270_34
; %bb.29:                               ;   in Loop: Header=BB270_10 Depth=1
	v_cmp_ne_u16_e64 s[10:11], s52, v27
	v_bfrev_b32_e32 v26, 1
	s_and_saveexec_b64 s[44:45], s[10:11]
	s_cbranch_execz .LBB270_33
; %bb.30:                               ;   in Loop: Header=BB270_10 Depth=1
	s_waitcnt lgkmcnt(0)
	v_and_b32_e32 v12, 0xffff, v27
	v_and_b32_e32 v28, 0x7f, v12
	v_cmp_ne_u32_e64 s[10:11], s53, v28
	v_mov_b32_e32 v26, 0x7f800001
	s_and_saveexec_b64 s[46:47], s[10:11]
	s_cbranch_execz .LBB270_32
; %bb.31:                               ;   in Loop: Header=BB270_10 Depth=1
	v_and_b32_e32 v26, 7, v12
	v_ffbh_u32_e32 v30, v26
	v_min_u32_e32 v32, 32, v30
	v_subrev_u32_e32 v30, 28, v32
	v_lshlrev_b64 v[30:31], v30, v[12:13]
	v_lshrrev_b32_e32 v29, 3, v28
	v_sub_u32_e32 v12, 29, v32
	v_and_b32_e32 v30, 7, v30
	v_cmp_gt_u32_e64 s[10:11], 8, v28
	v_cndmask_b32_e64 v12, v29, v12, s[10:11]
	v_cndmask_b32_e64 v26, v26, v30, s[10:11]
	v_lshlrev_b32_e32 v27, 24, v27
	v_lshlrev_b32_e32 v26, 20, v26
	v_and_b32_e32 v27, 0x80000000, v27
	v_lshl_add_u32 v12, v12, 23, v19
	v_or3_b32 v26, v27, v12, v26
.LBB270_32:                             ;   in Loop: Header=BB270_10 Depth=1
	s_or_b64 exec, exec, s[46:47]
.LBB270_33:                             ;   in Loop: Header=BB270_10 Depth=1
	s_or_b64 exec, exec, s[44:45]
.LBB270_34:                             ;   in Loop: Header=BB270_10 Depth=1
	s_or_b64 exec, exec, s[42:43]
	global_load_ubyte v27, v[10:11], off offset:256
	s_waitcnt vmcnt(0)
	v_cmp_ne_u16_e64 s[10:11], 0, v27
	s_and_saveexec_b64 s[42:43], s[10:11]
	s_cbranch_execz .LBB270_40
; %bb.35:                               ;   in Loop: Header=BB270_10 Depth=1
	v_cmp_ne_u16_e64 s[10:11], s52, v27
	v_bfrev_b32_e32 v25, 1
	s_and_saveexec_b64 s[44:45], s[10:11]
	s_cbranch_execz .LBB270_39
; %bb.36:                               ;   in Loop: Header=BB270_10 Depth=1
	s_waitcnt lgkmcnt(0)
	v_and_b32_e32 v12, 0xffff, v27
	v_and_b32_e32 v28, 0x7f, v12
	v_cmp_ne_u32_e64 s[10:11], s53, v28
	v_mov_b32_e32 v25, 0x7f800001
	s_and_saveexec_b64 s[46:47], s[10:11]
	s_cbranch_execz .LBB270_38
; %bb.37:                               ;   in Loop: Header=BB270_10 Depth=1
	v_and_b32_e32 v25, 7, v12
	v_ffbh_u32_e32 v30, v25
	v_min_u32_e32 v32, 32, v30
	v_subrev_u32_e32 v30, 28, v32
	v_lshlrev_b64 v[30:31], v30, v[12:13]
	v_lshrrev_b32_e32 v29, 3, v28
	v_sub_u32_e32 v12, 29, v32
	v_and_b32_e32 v30, 7, v30
	v_cmp_gt_u32_e64 s[10:11], 8, v28
	v_cndmask_b32_e64 v12, v29, v12, s[10:11]
	v_cndmask_b32_e64 v25, v25, v30, s[10:11]
	v_lshlrev_b32_e32 v27, 24, v27
	v_lshlrev_b32_e32 v25, 20, v25
	v_and_b32_e32 v27, 0x80000000, v27
	v_lshl_add_u32 v12, v12, 23, v19
	v_or3_b32 v25, v27, v12, v25
.LBB270_38:                             ;   in Loop: Header=BB270_10 Depth=1
	s_or_b64 exec, exec, s[46:47]
.LBB270_39:                             ;   in Loop: Header=BB270_10 Depth=1
	s_or_b64 exec, exec, s[44:45]
.LBB270_40:                             ;   in Loop: Header=BB270_10 Depth=1
	s_or_b64 exec, exec, s[42:43]
	global_load_ubyte v29, v[10:11], off offset:264
	v_mov_b32_e32 v27, 0
	v_mov_b32_e32 v28, 0
	s_waitcnt vmcnt(0)
	v_cmp_ne_u16_e64 s[10:11], 0, v29
	s_and_saveexec_b64 s[42:43], s[10:11]
	s_cbranch_execz .LBB270_46
; %bb.41:                               ;   in Loop: Header=BB270_10 Depth=1
	v_cmp_ne_u16_e64 s[10:11], s52, v29
	v_bfrev_b32_e32 v28, 1
	s_and_saveexec_b64 s[44:45], s[10:11]
	s_cbranch_execz .LBB270_45
; %bb.42:                               ;   in Loop: Header=BB270_10 Depth=1
	s_waitcnt lgkmcnt(0)
	v_and_b32_e32 v12, 0xffff, v29
	v_and_b32_e32 v30, 0x7f, v12
	v_cmp_ne_u32_e64 s[10:11], s53, v30
	v_mov_b32_e32 v28, 0x7f800001
	s_and_saveexec_b64 s[46:47], s[10:11]
	s_cbranch_execz .LBB270_44
; %bb.43:                               ;   in Loop: Header=BB270_10 Depth=1
	v_and_b32_e32 v28, 7, v12
	v_ffbh_u32_e32 v32, v28
	v_min_u32_e32 v34, 32, v32
	v_subrev_u32_e32 v32, 28, v34
	v_lshlrev_b64 v[32:33], v32, v[12:13]
	v_lshrrev_b32_e32 v31, 3, v30
	v_sub_u32_e32 v12, 29, v34
	v_and_b32_e32 v32, 7, v32
	v_cmp_gt_u32_e64 s[10:11], 8, v30
	v_cndmask_b32_e64 v12, v31, v12, s[10:11]
	v_cndmask_b32_e64 v28, v28, v32, s[10:11]
	v_lshlrev_b32_e32 v29, 24, v29
	v_lshlrev_b32_e32 v28, 20, v28
	v_and_b32_e32 v29, 0x80000000, v29
	v_lshl_add_u32 v12, v12, 23, v19
	v_or3_b32 v28, v29, v12, v28
.LBB270_44:                             ;   in Loop: Header=BB270_10 Depth=1
	s_or_b64 exec, exec, s[46:47]
.LBB270_45:                             ;   in Loop: Header=BB270_10 Depth=1
	s_or_b64 exec, exec, s[44:45]
.LBB270_46:                             ;   in Loop: Header=BB270_10 Depth=1
	s_or_b64 exec, exec, s[42:43]
	global_load_ubyte v29, v[10:11], off offset:384
	s_waitcnt vmcnt(0)
	v_cmp_ne_u16_e64 s[10:11], 0, v29
	s_and_saveexec_b64 s[42:43], s[10:11]
	s_cbranch_execz .LBB270_52
; %bb.47:                               ;   in Loop: Header=BB270_10 Depth=1
	v_cmp_ne_u16_e64 s[10:11], s52, v29
	v_bfrev_b32_e32 v27, 1
	s_and_saveexec_b64 s[44:45], s[10:11]
	s_cbranch_execz .LBB270_51
; %bb.48:                               ;   in Loop: Header=BB270_10 Depth=1
	s_waitcnt lgkmcnt(0)
	v_and_b32_e32 v12, 0xffff, v29
	v_and_b32_e32 v30, 0x7f, v12
	v_cmp_ne_u32_e64 s[10:11], s53, v30
	v_mov_b32_e32 v27, 0x7f800001
	s_and_saveexec_b64 s[46:47], s[10:11]
	s_cbranch_execz .LBB270_50
; %bb.49:                               ;   in Loop: Header=BB270_10 Depth=1
	v_and_b32_e32 v27, 7, v12
	v_ffbh_u32_e32 v32, v27
	v_min_u32_e32 v34, 32, v32
	v_subrev_u32_e32 v32, 28, v34
	v_lshlrev_b64 v[32:33], v32, v[12:13]
	v_lshrrev_b32_e32 v31, 3, v30
	v_sub_u32_e32 v12, 29, v34
	v_and_b32_e32 v32, 7, v32
	v_cmp_gt_u32_e64 s[10:11], 8, v30
	v_cndmask_b32_e64 v12, v31, v12, s[10:11]
	v_cndmask_b32_e64 v27, v27, v32, s[10:11]
	v_lshlrev_b32_e32 v29, 24, v29
	v_lshlrev_b32_e32 v27, 20, v27
	v_and_b32_e32 v29, 0x80000000, v29
	v_lshl_add_u32 v12, v12, 23, v19
	v_or3_b32 v27, v29, v12, v27
.LBB270_50:                             ;   in Loop: Header=BB270_10 Depth=1
	s_or_b64 exec, exec, s[46:47]
.LBB270_51:                             ;   in Loop: Header=BB270_10 Depth=1
	s_or_b64 exec, exec, s[44:45]
.LBB270_52:                             ;   in Loop: Header=BB270_10 Depth=1
	s_or_b64 exec, exec, s[42:43]
	global_load_ubyte v31, v[10:11], off offset:392
	v_mov_b32_e32 v29, 0
	v_mov_b32_e32 v30, 0
	s_waitcnt vmcnt(0)
	v_cmp_ne_u16_e64 s[10:11], 0, v31
	s_and_saveexec_b64 s[42:43], s[10:11]
	s_cbranch_execz .LBB270_58
; %bb.53:                               ;   in Loop: Header=BB270_10 Depth=1
	v_cmp_ne_u16_e64 s[10:11], s52, v31
	v_bfrev_b32_e32 v30, 1
	s_and_saveexec_b64 s[44:45], s[10:11]
	s_cbranch_execz .LBB270_57
; %bb.54:                               ;   in Loop: Header=BB270_10 Depth=1
	s_waitcnt lgkmcnt(0)
	v_and_b32_e32 v12, 0xffff, v31
	v_and_b32_e32 v32, 0x7f, v12
	v_cmp_ne_u32_e64 s[10:11], s53, v32
	v_mov_b32_e32 v30, 0x7f800001
	s_and_saveexec_b64 s[46:47], s[10:11]
	s_cbranch_execz .LBB270_56
; %bb.55:                               ;   in Loop: Header=BB270_10 Depth=1
	v_and_b32_e32 v30, 7, v12
	v_ffbh_u32_e32 v34, v30
	v_min_u32_e32 v36, 32, v34
	v_subrev_u32_e32 v34, 28, v36
	v_lshlrev_b64 v[34:35], v34, v[12:13]
	v_lshrrev_b32_e32 v33, 3, v32
	v_sub_u32_e32 v12, 29, v36
	v_and_b32_e32 v34, 7, v34
	v_cmp_gt_u32_e64 s[10:11], 8, v32
	v_cndmask_b32_e64 v12, v33, v12, s[10:11]
	v_cndmask_b32_e64 v30, v30, v34, s[10:11]
	v_lshlrev_b32_e32 v31, 24, v31
	v_lshlrev_b32_e32 v30, 20, v30
	v_and_b32_e32 v31, 0x80000000, v31
	v_lshl_add_u32 v12, v12, 23, v19
	v_or3_b32 v30, v31, v12, v30
.LBB270_56:                             ;   in Loop: Header=BB270_10 Depth=1
	s_or_b64 exec, exec, s[46:47]
.LBB270_57:                             ;   in Loop: Header=BB270_10 Depth=1
	s_or_b64 exec, exec, s[44:45]
.LBB270_58:                             ;   in Loop: Header=BB270_10 Depth=1
	s_or_b64 exec, exec, s[42:43]
	global_load_ubyte v31, v[10:11], off offset:512
	s_waitcnt vmcnt(0)
	v_cmp_ne_u16_e64 s[10:11], 0, v31
	s_and_saveexec_b64 s[42:43], s[10:11]
	s_cbranch_execz .LBB270_64
; %bb.59:                               ;   in Loop: Header=BB270_10 Depth=1
	v_cmp_ne_u16_e64 s[10:11], s52, v31
	v_bfrev_b32_e32 v29, 1
	s_and_saveexec_b64 s[44:45], s[10:11]
	s_cbranch_execz .LBB270_63
; %bb.60:                               ;   in Loop: Header=BB270_10 Depth=1
	s_waitcnt lgkmcnt(0)
	v_and_b32_e32 v12, 0xffff, v31
	v_and_b32_e32 v32, 0x7f, v12
	v_cmp_ne_u32_e64 s[10:11], s53, v32
	v_mov_b32_e32 v29, 0x7f800001
	s_and_saveexec_b64 s[46:47], s[10:11]
	s_cbranch_execz .LBB270_62
; %bb.61:                               ;   in Loop: Header=BB270_10 Depth=1
	v_and_b32_e32 v29, 7, v12
	v_ffbh_u32_e32 v34, v29
	v_min_u32_e32 v36, 32, v34
	v_subrev_u32_e32 v34, 28, v36
	v_lshlrev_b64 v[34:35], v34, v[12:13]
	v_lshrrev_b32_e32 v33, 3, v32
	v_sub_u32_e32 v12, 29, v36
	v_and_b32_e32 v34, 7, v34
	v_cmp_gt_u32_e64 s[10:11], 8, v32
	v_cndmask_b32_e64 v12, v33, v12, s[10:11]
	v_cndmask_b32_e64 v29, v29, v34, s[10:11]
	v_lshlrev_b32_e32 v31, 24, v31
	v_lshlrev_b32_e32 v29, 20, v29
	v_and_b32_e32 v31, 0x80000000, v31
	v_lshl_add_u32 v12, v12, 23, v19
	v_or3_b32 v29, v31, v12, v29
.LBB270_62:                             ;   in Loop: Header=BB270_10 Depth=1
	s_or_b64 exec, exec, s[46:47]
.LBB270_63:                             ;   in Loop: Header=BB270_10 Depth=1
	s_or_b64 exec, exec, s[44:45]
.LBB270_64:                             ;   in Loop: Header=BB270_10 Depth=1
	s_or_b64 exec, exec, s[42:43]
	global_load_ubyte v33, v[10:11], off offset:520
	v_mov_b32_e32 v31, 0
	v_mov_b32_e32 v32, 0
	s_waitcnt vmcnt(0)
	v_cmp_ne_u16_e64 s[10:11], 0, v33
	s_and_saveexec_b64 s[42:43], s[10:11]
	s_cbranch_execz .LBB270_70
; %bb.65:                               ;   in Loop: Header=BB270_10 Depth=1
	v_cmp_ne_u16_e64 s[10:11], s52, v33
	v_bfrev_b32_e32 v32, 1
	s_and_saveexec_b64 s[44:45], s[10:11]
	s_cbranch_execz .LBB270_69
; %bb.66:                               ;   in Loop: Header=BB270_10 Depth=1
	s_waitcnt lgkmcnt(0)
	v_and_b32_e32 v12, 0xffff, v33
	v_and_b32_e32 v34, 0x7f, v12
	v_cmp_ne_u32_e64 s[10:11], s53, v34
	v_mov_b32_e32 v32, 0x7f800001
	s_and_saveexec_b64 s[46:47], s[10:11]
	s_cbranch_execz .LBB270_68
; %bb.67:                               ;   in Loop: Header=BB270_10 Depth=1
	v_and_b32_e32 v32, 7, v12
	v_ffbh_u32_e32 v36, v32
	v_min_u32_e32 v38, 32, v36
	v_subrev_u32_e32 v36, 28, v38
	v_lshlrev_b64 v[36:37], v36, v[12:13]
	v_lshrrev_b32_e32 v35, 3, v34
	v_sub_u32_e32 v12, 29, v38
	v_and_b32_e32 v36, 7, v36
	v_cmp_gt_u32_e64 s[10:11], 8, v34
	v_cndmask_b32_e64 v12, v35, v12, s[10:11]
	v_cndmask_b32_e64 v32, v32, v36, s[10:11]
	v_lshlrev_b32_e32 v33, 24, v33
	v_lshlrev_b32_e32 v32, 20, v32
	v_and_b32_e32 v33, 0x80000000, v33
	v_lshl_add_u32 v12, v12, 23, v19
	v_or3_b32 v32, v33, v12, v32
.LBB270_68:                             ;   in Loop: Header=BB270_10 Depth=1
	s_or_b64 exec, exec, s[46:47]
.LBB270_69:                             ;   in Loop: Header=BB270_10 Depth=1
	s_or_b64 exec, exec, s[44:45]
.LBB270_70:                             ;   in Loop: Header=BB270_10 Depth=1
	s_or_b64 exec, exec, s[42:43]
	global_load_ubyte v33, v[10:11], off offset:640
	s_waitcnt vmcnt(0)
	v_cmp_ne_u16_e64 s[10:11], 0, v33
	s_and_saveexec_b64 s[42:43], s[10:11]
	s_cbranch_execz .LBB270_76
; %bb.71:                               ;   in Loop: Header=BB270_10 Depth=1
	v_cmp_ne_u16_e64 s[10:11], s52, v33
	v_bfrev_b32_e32 v31, 1
	s_and_saveexec_b64 s[44:45], s[10:11]
	s_cbranch_execz .LBB270_75
; %bb.72:                               ;   in Loop: Header=BB270_10 Depth=1
	s_waitcnt lgkmcnt(0)
	v_and_b32_e32 v12, 0xffff, v33
	v_and_b32_e32 v34, 0x7f, v12
	v_cmp_ne_u32_e64 s[10:11], s53, v34
	v_mov_b32_e32 v31, 0x7f800001
	s_and_saveexec_b64 s[46:47], s[10:11]
	s_cbranch_execz .LBB270_74
; %bb.73:                               ;   in Loop: Header=BB270_10 Depth=1
	v_and_b32_e32 v31, 7, v12
	v_ffbh_u32_e32 v36, v31
	v_min_u32_e32 v38, 32, v36
	v_subrev_u32_e32 v36, 28, v38
	v_lshlrev_b64 v[36:37], v36, v[12:13]
	v_lshrrev_b32_e32 v35, 3, v34
	v_sub_u32_e32 v12, 29, v38
	v_and_b32_e32 v36, 7, v36
	v_cmp_gt_u32_e64 s[10:11], 8, v34
	v_cndmask_b32_e64 v12, v35, v12, s[10:11]
	v_cndmask_b32_e64 v31, v31, v36, s[10:11]
	v_lshlrev_b32_e32 v33, 24, v33
	v_lshlrev_b32_e32 v31, 20, v31
	v_and_b32_e32 v33, 0x80000000, v33
	v_lshl_add_u32 v12, v12, 23, v19
	v_or3_b32 v31, v33, v12, v31
.LBB270_74:                             ;   in Loop: Header=BB270_10 Depth=1
	s_or_b64 exec, exec, s[46:47]
.LBB270_75:                             ;   in Loop: Header=BB270_10 Depth=1
	s_or_b64 exec, exec, s[44:45]
.LBB270_76:                             ;   in Loop: Header=BB270_10 Depth=1
	s_or_b64 exec, exec, s[42:43]
	global_load_ubyte v35, v[10:11], off offset:648
	v_mov_b32_e32 v34, 0
	v_mov_b32_e32 v33, 0
	s_waitcnt vmcnt(0)
	v_cmp_ne_u16_e64 s[10:11], 0, v35
	s_and_saveexec_b64 s[42:43], s[10:11]
	s_cbranch_execz .LBB270_82
; %bb.77:                               ;   in Loop: Header=BB270_10 Depth=1
	v_cmp_ne_u16_e64 s[10:11], s52, v35
	v_bfrev_b32_e32 v33, 1
	s_and_saveexec_b64 s[44:45], s[10:11]
	s_cbranch_execz .LBB270_81
; %bb.78:                               ;   in Loop: Header=BB270_10 Depth=1
	s_waitcnt lgkmcnt(0)
	v_and_b32_e32 v12, 0xffff, v35
	v_and_b32_e32 v36, 0x7f, v12
	v_cmp_ne_u32_e64 s[10:11], s53, v36
	v_mov_b32_e32 v33, 0x7f800001
	s_and_saveexec_b64 s[46:47], s[10:11]
	s_cbranch_execz .LBB270_80
; %bb.79:                               ;   in Loop: Header=BB270_10 Depth=1
	v_and_b32_e32 v33, 7, v12
	v_ffbh_u32_e32 v38, v33
	v_min_u32_e32 v40, 32, v38
	v_subrev_u32_e32 v38, 28, v40
	v_lshlrev_b64 v[38:39], v38, v[12:13]
	v_lshrrev_b32_e32 v37, 3, v36
	v_sub_u32_e32 v12, 29, v40
	v_and_b32_e32 v38, 7, v38
	v_cmp_gt_u32_e64 s[10:11], 8, v36
	v_cndmask_b32_e64 v12, v37, v12, s[10:11]
	v_cndmask_b32_e64 v33, v33, v38, s[10:11]
	v_lshlrev_b32_e32 v35, 24, v35
	v_lshlrev_b32_e32 v33, 20, v33
	v_and_b32_e32 v35, 0x80000000, v35
	v_lshl_add_u32 v12, v12, 23, v19
	v_or3_b32 v33, v35, v12, v33
.LBB270_80:                             ;   in Loop: Header=BB270_10 Depth=1
	s_or_b64 exec, exec, s[46:47]
.LBB270_81:                             ;   in Loop: Header=BB270_10 Depth=1
	s_or_b64 exec, exec, s[44:45]
.LBB270_82:                             ;   in Loop: Header=BB270_10 Depth=1
	s_or_b64 exec, exec, s[42:43]
	global_load_ubyte v35, v[10:11], off offset:768
	s_waitcnt vmcnt(0)
	v_cmp_ne_u16_e64 s[10:11], 0, v35
	s_and_saveexec_b64 s[42:43], s[10:11]
	s_cbranch_execz .LBB270_88
; %bb.83:                               ;   in Loop: Header=BB270_10 Depth=1
	v_cmp_ne_u16_e64 s[10:11], s52, v35
	v_bfrev_b32_e32 v34, 1
	s_and_saveexec_b64 s[44:45], s[10:11]
	s_cbranch_execz .LBB270_87
; %bb.84:                               ;   in Loop: Header=BB270_10 Depth=1
	s_waitcnt lgkmcnt(0)
	v_and_b32_e32 v12, 0xffff, v35
	v_and_b32_e32 v36, 0x7f, v12
	v_cmp_ne_u32_e64 s[10:11], s53, v36
	v_mov_b32_e32 v34, 0x7f800001
	s_and_saveexec_b64 s[46:47], s[10:11]
	s_cbranch_execz .LBB270_86
; %bb.85:                               ;   in Loop: Header=BB270_10 Depth=1
	v_and_b32_e32 v34, 7, v12
	v_ffbh_u32_e32 v38, v34
	v_min_u32_e32 v40, 32, v38
	v_subrev_u32_e32 v38, 28, v40
	v_lshlrev_b64 v[38:39], v38, v[12:13]
	v_lshrrev_b32_e32 v37, 3, v36
	v_sub_u32_e32 v12, 29, v40
	v_and_b32_e32 v38, 7, v38
	v_cmp_gt_u32_e64 s[10:11], 8, v36
	v_cndmask_b32_e64 v12, v37, v12, s[10:11]
	v_cndmask_b32_e64 v34, v34, v38, s[10:11]
	v_lshlrev_b32_e32 v35, 24, v35
	v_lshlrev_b32_e32 v34, 20, v34
	v_and_b32_e32 v35, 0x80000000, v35
	v_lshl_add_u32 v12, v12, 23, v19
	v_or3_b32 v34, v35, v12, v34
.LBB270_86:                             ;   in Loop: Header=BB270_10 Depth=1
	s_or_b64 exec, exec, s[46:47]
.LBB270_87:                             ;   in Loop: Header=BB270_10 Depth=1
	s_or_b64 exec, exec, s[44:45]
.LBB270_88:                             ;   in Loop: Header=BB270_10 Depth=1
	s_or_b64 exec, exec, s[42:43]
	s_waitcnt lgkmcnt(0)
	global_load_ubyte v12, v[10:11], off offset:776
	v_mov_b32_e32 v11, 0
	s_waitcnt vmcnt(0)
	v_cmp_ne_u16_e64 s[10:11], 0, v12
	s_and_saveexec_b64 s[42:43], s[10:11]
	s_cbranch_execz .LBB270_94
; %bb.89:                               ;   in Loop: Header=BB270_10 Depth=1
	v_cmp_ne_u16_e64 s[10:11], s52, v12
	v_bfrev_b32_e32 v11, 1
	s_and_saveexec_b64 s[44:45], s[10:11]
	s_cbranch_execz .LBB270_93
; %bb.90:                               ;   in Loop: Header=BB270_10 Depth=1
	v_and_b32_e32 v10, 0xffff, v12
	v_and_b32_e32 v35, 0x7f, v10
	v_cmp_ne_u32_e64 s[10:11], s53, v35
	v_mov_b32_e32 v11, 0x7f800001
	s_and_saveexec_b64 s[46:47], s[10:11]
	s_cbranch_execz .LBB270_92
; %bb.91:                               ;   in Loop: Header=BB270_10 Depth=1
	v_and_b32_e32 v36, 7, v10
	v_ffbh_u32_e32 v11, v36
	v_min_u32_e32 v38, 32, v11
	v_subrev_u32_e32 v11, 28, v38
	v_lshlrev_b64 v[10:11], v11, v[10:11]
	v_lshrrev_b32_e32 v37, 3, v35
	v_sub_u32_e32 v11, 29, v38
	v_and_b32_e32 v10, 7, v10
	v_cmp_gt_u32_e64 s[10:11], 8, v35
	v_cndmask_b32_e64 v11, v37, v11, s[10:11]
	v_cndmask_b32_e64 v10, v36, v10, s[10:11]
	v_lshlrev_b32_e32 v12, 24, v12
	v_lshlrev_b32_e32 v10, 20, v10
	v_and_b32_e32 v12, 0x80000000, v12
	v_lshl_add_u32 v11, v11, 23, v19
	v_or3_b32 v11, v12, v11, v10
.LBB270_92:                             ;   in Loop: Header=BB270_10 Depth=1
	s_or_b64 exec, exec, s[46:47]
.LBB270_93:                             ;   in Loop: Header=BB270_10 Depth=1
	s_or_b64 exec, exec, s[44:45]
.LBB270_94:                             ;   in Loop: Header=BB270_10 Depth=1
	s_or_b64 exec, exec, s[42:43]
	v_fma_mixlo_f16 v12, v21, v22, 0
	ds_read_u16 v10, v16
	v_and_b32_e32 v12, 0xffff, v12
	v_fma_mixlo_f16 v24, v21, v24, 0
	s_waitcnt lgkmcnt(0)
	;;#ASMSTART
	v_cvt_f32_f16 v10, v10;
	;;#ASMEND
	;;#ASMSTART
	v_cvt_f32_f16 v12, v12;
	;;#ASMEND
	ds_read_u16 v22, v16 offset:2
	v_and_b32_e32 v24, 0xffff, v24
	s_waitcnt lgkmcnt(0)
	;;#ASMSTART
	v_cvt_f32_f16 v22, v22;
	;;#ASMEND
	;;#ASMSTART
	v_cvt_f32_f16 v24, v24;
	;;#ASMEND
	v_fma_mixlo_f16 v23, v21, v23, 0
	v_fma_mixlo_f16 v26, v21, v26, 0
	;; [unrolled: 1-line block ×12, first 2 shown]
	v_mul_f32_e32 v21, v22, v24
	ds_read_u16 v35, v16 offset:4
	v_and_b32_e32 v23, 0xffff, v23
	v_fmac_f32_e32 v21, v10, v12
	s_waitcnt lgkmcnt(0)
	;;#ASMSTART
	v_cvt_f32_f16 v35, v35;
	;;#ASMEND
	;;#ASMSTART
	v_cvt_f32_f16 v23, v23;
	;;#ASMEND
	ds_read_u16 v36, v16 offset:6
	v_and_b32_e32 v26, 0xffff, v26
	v_fmac_f32_e32 v21, v35, v23
	s_waitcnt lgkmcnt(0)
	;;#ASMSTART
	v_cvt_f32_f16 v36, v36;
	;;#ASMEND
	;;#ASMSTART
	v_cvt_f32_f16 v26, v26;
	;;#ASMEND
	;; [unrolled: 10-line block ×8, first 2 shown]
	v_and_b32_e32 v24, 0xffff, v31
	v_fmac_f32_e32 v21, v42, v32
	ds_read_u16 v43, v16 offset:20
	s_waitcnt lgkmcnt(0)
	;;#ASMSTART
	v_cvt_f32_f16 v22, v43;
	;;#ASMEND
	;;#ASMSTART
	v_cvt_f32_f16 v24, v24;
	;;#ASMEND
	v_and_b32_e32 v12, 0xffff, v33
	v_fmac_f32_e32 v21, v22, v24
	ds_read_u16 v31, v16 offset:22
	s_waitcnt lgkmcnt(0)
	;;#ASMSTART
	v_cvt_f32_f16 v10, v31;
	;;#ASMEND
	;;#ASMSTART
	v_cvt_f32_f16 v12, v12;
	;;#ASMEND
	ds_read_u16 v23, v16 offset:24
	v_and_b32_e32 v25, 0xffff, v34
	v_fmac_f32_e32 v21, v10, v12
	s_waitcnt lgkmcnt(0)
	;;#ASMSTART
	v_cvt_f32_f16 v23, v23;
	;;#ASMEND
	;;#ASMSTART
	v_cvt_f32_f16 v25, v25;
	;;#ASMEND
	ds_read_u16 v26, v16 offset:26
	v_fmac_f32_e32 v21, v23, v25
	s_waitcnt lgkmcnt(0)
	;;#ASMSTART
	v_cvt_f32_f16 v10, v26;
	;;#ASMEND
	v_and_b32_e32 v11, 0xffff, v11
	;;#ASMSTART
	v_cvt_f32_f16 v11, v11;
	;;#ASMEND
	v_fmac_f32_e32 v21, v10, v11
	v_and_b32_e32 v10, 64, v5
	v_add_u32_e32 v10, 64, v10
	v_xor_b32_e32 v11, 4, v5
	v_cmp_lt_i32_e64 s[10:11], v11, v10
	v_cndmask_b32_e64 v11, v5, v11, s[10:11]
	v_lshlrev_b32_e32 v11, 2, v11
	ds_bpermute_b32 v11, v11, v21
	v_xor_b32_e32 v12, 2, v5
	v_cmp_lt_i32_e64 s[10:11], v12, v10
	v_cndmask_b32_e64 v12, v5, v12, s[10:11]
	v_lshlrev_b32_e32 v12, 2, v12
	s_waitcnt lgkmcnt(0)
	v_add_f32_e32 v11, v21, v11
	ds_bpermute_b32 v12, v12, v11
	s_waitcnt lgkmcnt(0)
	v_add_f32_e32 v11, v11, v12
	v_xor_b32_e32 v12, 1, v5
	v_cmp_lt_i32_e64 s[10:11], v12, v10
	v_cndmask_b32_e64 v12, v5, v12, s[10:11]
	v_lshlrev_b32_e32 v12, 2, v12
	ds_bpermute_b32 v12, v12, v11
	s_and_saveexec_b64 s[42:43], vcc
	s_cbranch_execz .LBB270_9
; %bb.95:                               ;   in Loop: Header=BB270_10 Depth=1
	v_add_u32_e32 v21, s51, v17
	v_cvt_f32_i32_e32 v21, v21
	s_waitcnt lgkmcnt(0)
	v_add_f32_e32 v11, v11, v12
	v_cmp_gt_i32_e64 s[10:11], s33, v17
	v_max_f32_e32 v12, v14, v14
	v_mul_f32_e32 v21, s38, v21
	v_cndmask_b32_e64 v21, 0, v21, s[4:5]
	v_fmac_f32_e32 v21, s39, v11
	v_cndmask_b32_e64 v11, 0, v21, s[10:11]
	ds_write_b32 v18, v11
	v_max_f32_e32 v11, v12, v21
	v_cndmask_b32_e64 v14, v14, v11, s[10:11]
	s_branch .LBB270_9
.LBB270_96:
	s_or_b64 exec, exec, s[18:19]
.LBB270_97:
	s_or_b64 exec, exec, s[40:41]
	v_xor_b32_e32 v4, 32, v5
	v_cmp_lt_i32_e32 vcc, v4, v10
	v_cndmask_b32_e32 v4, v5, v4, vcc
	v_lshlrev_b32_e32 v7, 2, v4
	ds_bpermute_b32 v4, v7, v14
	v_xor_b32_e32 v8, 16, v5
	v_max_f32_e32 v6, v14, v14
	v_cmp_lt_i32_e32 vcc, v8, v10
	v_and_b32_e32 v9, 63, v0
	s_waitcnt lgkmcnt(0)
	v_max_f32_e32 v4, v4, v4
	v_max_f32_e32 v4, v6, v4
	v_cndmask_b32_e32 v6, v5, v8, vcc
	v_lshlrev_b32_e32 v11, 2, v6
	ds_bpermute_b32 v6, v11, v4
	v_xor_b32_e32 v8, 8, v5
	v_cmp_lt_i32_e32 vcc, v8, v10
	s_waitcnt lgkmcnt(0)
	v_max_f32_e32 v6, v6, v6
	v_max_f32_e32 v6, v4, v6
	v_cndmask_b32_e32 v4, v5, v8, vcc
	v_lshlrev_b32_e32 v12, 2, v4
	ds_bpermute_b32 v8, v12, v6
	v_cmp_eq_u32_e32 vcc, 0, v9
	v_lshlrev_b32_e32 v4, 2, v13
	s_and_saveexec_b64 s[4:5], vcc
	s_cbranch_execz .LBB270_99
; %bb.98:
	s_waitcnt lgkmcnt(0)
	v_max_f32_e32 v8, v8, v8
	v_max_f32_e32 v6, v6, v6
	;; [unrolled: 1-line block ×3, first 2 shown]
	ds_write_b32 v4, v6 offset:224
.LBB270_99:
	s_or_b64 exec, exec, s[4:5]
	v_cmp_gt_u32_e64 s[4:5], 2, v9
	v_mov_b32_e32 v6, 0xff7fffff
	s_waitcnt lgkmcnt(0)
	v_lshlrev_b32_e32 v8, 2, v9
	s_barrier
	s_and_saveexec_b64 s[10:11], s[4:5]
	s_cbranch_execz .LBB270_101
; %bb.100:
	ds_read_b32 v6, v8 offset:224
.LBB270_101:
	s_or_b64 exec, exec, s[10:11]
	v_xor_b32_e32 v14, 1, v5
	v_cmp_lt_i32_e64 s[10:11], v14, v10
	v_cndmask_b32_e64 v14, v5, v14, s[10:11]
	v_lshlrev_b32_e32 v14, 2, v14
	s_waitcnt lgkmcnt(0)
	ds_bpermute_b32 v15, v14, v6
	v_max_f32_e32 v6, v6, v6
	s_sub_i32 s7, s48, s7
	s_lshl_b32 s7, s7, 3
	s_add_i32 s7, s7, s29
	s_waitcnt lgkmcnt(0)
	v_max_f32_e32 v15, v15, v15
	v_max_f32_e32 v6, v6, v15
	v_lshlrev_b32_e32 v15, 2, v5
	v_and_b32_e32 v15, 0xffffff00, v15
	ds_bpermute_b32 v6, v15, v6
	s_min_i32 s40, s7, s33
	s_sub_i32 s7, s40, s29
	v_cmp_gt_i32_e64 s[10:11], s7, v0
	v_mov_b32_e32 v16, 0
	s_and_saveexec_b64 s[18:19], s[10:11]
	s_cbranch_execz .LBB270_105
; %bb.102:
	v_mov_b32_e32 v16, 0xf0
	v_lshl_add_u32 v17, v0, 2, v16
	s_mov_b64 s[38:39], 0
	v_mov_b32_e32 v16, 0
	v_mov_b32_e32 v18, v0
.LBB270_103:                            ; =>This Inner Loop Header: Depth=1
	ds_read_b32 v19, v17
	v_add_u32_e32 v18, 0x80, v18
	v_cmp_le_i32_e64 s[12:13], s7, v18
	s_or_b64 s[38:39], s[12:13], s[38:39]
	s_waitcnt lgkmcnt(0)
	v_sub_f32_e32 v19, v19, v6
	v_mul_f32_e32 v19, 0x3fb8aa3b, v19
	v_exp_f32_e32 v19, v19
	ds_write_b32 v17, v19
	v_add_f32_e32 v16, v16, v19
	v_add_u32_e32 v17, 0x200, v17
	s_andn2_b64 exec, exec, s[38:39]
	s_cbranch_execnz .LBB270_103
; %bb.104:
	s_or_b64 exec, exec, s[38:39]
.LBB270_105:
	s_or_b64 exec, exec, s[18:19]
	ds_bpermute_b32 v7, v7, v16
	s_waitcnt lgkmcnt(0)
	v_add_f32_e32 v7, v16, v7
	ds_bpermute_b32 v11, v11, v7
	s_waitcnt lgkmcnt(0)
	v_add_f32_e32 v7, v7, v11
	ds_bpermute_b32 v11, v12, v7
	v_xor_b32_e32 v12, 4, v5
	v_cmp_lt_i32_e64 s[12:13], v12, v10
	v_cndmask_b32_e64 v12, v5, v12, s[12:13]
	v_lshlrev_b32_e32 v12, 2, v12
	s_waitcnt lgkmcnt(0)
	v_add_f32_e32 v7, v7, v11
	ds_bpermute_b32 v11, v12, v7
	v_xor_b32_e32 v12, 2, v5
	v_cmp_lt_i32_e64 s[12:13], v12, v10
	v_cndmask_b32_e64 v5, v5, v12, s[12:13]
	v_lshlrev_b32_e32 v5, 2, v5
	s_waitcnt lgkmcnt(0)
	v_add_f32_e32 v7, v7, v11
	ds_bpermute_b32 v5, v5, v7
	s_waitcnt lgkmcnt(0)
	v_add_f32_e32 v5, v7, v5
	ds_bpermute_b32 v7, v14, v5
	s_waitcnt lgkmcnt(0)
	v_add_f32_e32 v5, v5, v7
	s_and_saveexec_b64 s[12:13], vcc
	s_cbranch_execz .LBB270_107
; %bb.106:
	ds_write_b32 v4, v5 offset:232
.LBB270_107:
	s_or_b64 exec, exec, s[12:13]
	s_waitcnt lgkmcnt(0)
	s_barrier
	s_and_saveexec_b64 s[12:13], s[4:5]
	s_cbranch_execz .LBB270_109
; %bb.108:
	ds_read_b32 v5, v8 offset:232
.LBB270_109:
	s_or_b64 exec, exec, s[12:13]
	s_waitcnt lgkmcnt(0)
	ds_bpermute_b32 v4, v14, v5
	s_waitcnt lgkmcnt(0)
	v_add_f32_e32 v4, v5, v4
	ds_bpermute_b32 v7, v15, v4
	s_and_saveexec_b64 s[4:5], s[10:11]
	s_cbranch_execz .LBB270_122
; %bb.110:
	s_waitcnt lgkmcnt(0)
	v_add_f32_e32 v4, 0x358637bd, v7
	v_div_scale_f32 v5, s[10:11], v4, v4, 1.0
	v_rcp_f32_e32 v8, v5
	v_div_scale_f32 v10, vcc, 1.0, v4, 1.0
	s_movk_i32 s10, 0x7f
	v_fma_f32 v11, -v5, v8, 1.0
	v_fmac_f32_e32 v8, v11, v8
	v_mul_f32_e32 v11, v10, v8
	v_fma_f32 v12, -v5, v11, v10
	v_fmac_f32_e32 v11, v12, v8
	v_fma_f32 v5, -v5, v11, v10
	v_div_fmas_f32 v5, v5, v8, v11
	v_div_fixup_f32 v4, v5, v4, 1.0
	v_xad_u32 v5, v0, -1, s40
	v_subrev_u32_e32 v8, s29, v5
	v_cmp_lt_u32_e32 vcc, s10, v8
	s_mov_b64 s[12:13], -1
	v_mov_b32_e32 v5, v0
	s_and_saveexec_b64 s[10:11], vcc
	s_cbranch_execz .LBB270_119
; %bb.111:
	v_lshrrev_b32_e32 v8, 7, v8
	v_add_u32_e32 v11, -1, v8
	v_lshrrev_b32_e32 v10, 1, v11
	v_mov_b32_e32 v5, v4
	v_add_u32_e32 v10, 1, v10
	v_cmp_lt_u32_e32 vcc, 13, v11
	v_mov_b32_e32 v14, 0
	s_and_saveexec_b64 s[12:13], vcc
	s_cbranch_execz .LBB270_115
; %bb.112:
	v_mov_b32_e32 v12, 0xf0
	v_and_b32_e32 v11, -8, v10
	v_lshl_add_u32 v12, v0, 2, v12
	s_mov_b32 s38, 0
	s_mov_b64 s[18:19], 0
.LBB270_113:                            ; =>This Inner Loop Header: Depth=1
	ds_read2st64_b32 v[14:15], v12 offset1:2
	ds_read2st64_b32 v[16:17], v12 offset0:4 offset1:6
	ds_read2st64_b32 v[18:19], v12 offset0:8 offset1:10
	;; [unrolled: 1-line block ×3, first 2 shown]
	v_add_u32_e32 v11, -8, v11
	s_waitcnt lgkmcnt(3)
	v_pk_mul_f32 v[14:15], v[4:5], v[14:15]
	s_waitcnt lgkmcnt(2)
	v_pk_mul_f32 v[16:17], v[4:5], v[16:17]
	ds_write2st64_b32 v12, v14, v15 offset1:2
	ds_write2st64_b32 v12, v16, v17 offset0:4 offset1:6
	ds_read2st64_b32 v[16:17], v12 offset0:16 offset1:18
	s_waitcnt lgkmcnt(4)
	v_pk_mul_f32 v[14:15], v[4:5], v[18:19]
	ds_write2st64_b32 v12, v14, v15 offset0:8 offset1:10
	s_waitcnt lgkmcnt(4)
	v_pk_mul_f32 v[14:15], v[4:5], v[20:21]
	ds_write2st64_b32 v12, v14, v15 offset0:12 offset1:14
	ds_read2st64_b32 v[14:15], v12 offset0:20 offset1:22
	s_waitcnt lgkmcnt(3)
	v_pk_mul_f32 v[16:17], v[4:5], v[16:17]
	ds_read2st64_b32 v[18:19], v12 offset0:24 offset1:26
	ds_write2st64_b32 v12, v16, v17 offset0:16 offset1:18
	ds_read2st64_b32 v[16:17], v12 offset0:28 offset1:30
	s_waitcnt lgkmcnt(3)
	v_pk_mul_f32 v[14:15], v[4:5], v[14:15]
	ds_write2st64_b32 v12, v14, v15 offset0:20 offset1:22
	s_waitcnt lgkmcnt(3)
	v_pk_mul_f32 v[14:15], v[4:5], v[18:19]
	ds_write2st64_b32 v12, v14, v15 offset0:24 offset1:26
	s_waitcnt lgkmcnt(2)
	v_pk_mul_f32 v[14:15], v[4:5], v[16:17]
	s_add_i32 s38, s38, 16
	v_cmp_eq_u32_e32 vcc, 0, v11
	ds_write2st64_b32 v12, v14, v15 offset0:28 offset1:30
	v_add_u32_e32 v12, 0x2000, v12
	s_or_b64 s[18:19], vcc, s[18:19]
	v_mov_b32_e32 v14, s38
	s_andn2_b64 exec, exec, s[18:19]
	s_cbranch_execnz .LBB270_113
; %bb.114:
	s_or_b64 exec, exec, s[18:19]
.LBB270_115:
	s_or_b64 exec, exec, s[12:13]
	v_and_b32_e32 v10, 7, v10
	v_cmp_ne_u32_e32 vcc, 0, v10
	s_and_saveexec_b64 s[12:13], vcc
	s_cbranch_execz .LBB270_118
; %bb.116:
	v_lshlrev_b32_e32 v11, 9, v14
	v_lshlrev_b32_e32 v12, 2, v0
	s_movk_i32 s18, 0xf0
	v_add3_u32 v11, v11, v12, s18
	s_mov_b64 s[18:19], 0
.LBB270_117:                            ; =>This Inner Loop Header: Depth=1
	ds_read2st64_b32 v[14:15], v11 offset1:2
	v_add_u32_e32 v10, -1, v10
	v_cmp_eq_u32_e32 vcc, 0, v10
	s_or_b64 s[18:19], vcc, s[18:19]
	s_waitcnt lgkmcnt(0)
	v_pk_mul_f32 v[14:15], v[4:5], v[14:15]
	ds_write2st64_b32 v11, v14, v15 offset1:2
	v_add_u32_e32 v11, 0x400, v11
	s_andn2_b64 exec, exec, s[18:19]
	s_cbranch_execnz .LBB270_117
.LBB270_118:
	s_or_b64 exec, exec, s[12:13]
	v_add_u32_e32 v8, 1, v8
	v_and_b32_e32 v10, 0x3fffffe, v8
	v_cmp_ne_u32_e32 vcc, v8, v10
	v_lshl_add_u32 v5, v10, 7, v0
	s_orn2_b64 s[12:13], vcc, exec
.LBB270_119:
	s_or_b64 exec, exec, s[10:11]
	s_and_b64 exec, exec, s[12:13]
	s_cbranch_execz .LBB270_122
; %bb.120:
	v_mov_b32_e32 v8, 0xf0
	v_lshl_add_u32 v8, v5, 2, v8
	s_mov_b64 s[10:11], 0
.LBB270_121:                            ; =>This Inner Loop Header: Depth=1
	ds_read_b32 v10, v8
	v_add_u32_e32 v5, 0x80, v5
	v_cmp_le_i32_e32 vcc, s7, v5
	s_or_b64 s[10:11], vcc, s[10:11]
	s_waitcnt lgkmcnt(0)
	v_mul_f32_e32 v10, v4, v10
	ds_write_b32 v8, v10
	v_add_u32_e32 v8, 0x200, v8
	s_andn2_b64 exec, exec, s[10:11]
	s_cbranch_execnz .LBB270_121
.LBB270_122:
	s_or_b64 exec, exec, s[4:5]
	s_mul_i32 s4, s25, s28
	v_cmp_eq_u32_e32 vcc, 0, v0
	s_mul_i32 s10, s4, s9
	s_waitcnt lgkmcnt(0)
	s_barrier
	s_and_saveexec_b64 s[4:5], vcc
	s_cbranch_execz .LBB270_124
; %bb.123:
	s_ashr_i32 s11, s10, 31
	s_lshl_b64 s[12:13], s[10:11], 2
	s_add_u32 s9, s22, s12
	s_mul_i32 s6, s25, s6
	s_addc_u32 s11, s23, s13
	s_ashr_i32 s7, s6, 31
	s_lshl_b64 s[6:7], s[6:7], 2
	s_add_u32 s22, s9, s6
	s_addc_u32 s11, s11, s7
	s_ashr_i32 s9, s8, 31
	s_lshl_b64 s[18:19], s[8:9], 2
	s_add_u32 s22, s22, s18
	s_addc_u32 s23, s11, s19
	s_add_u32 s9, s20, s12
	s_addc_u32 s11, s21, s13
	;; [unrolled: 2-line block ×3, first 2 shown]
	s_add_u32 s6, s6, s18
	v_mov_b32_e32 v4, 0
	s_addc_u32 s7, s7, s19
	global_store_dword v4, v6, s[22:23]
	global_store_dword v4, v7, s[6:7]
.LBB270_124:
	s_or_b64 exec, exec, s[4:5]
	v_mov_b32_e32 v24, 0
	v_mov_b32_e32 v5, 0
	s_and_saveexec_b64 s[6:7], s[2:3]
	s_cbranch_execz .LBB270_230
; %bb.125:
	s_ashr_i32 s2, s49, 31
	s_add_u32 s4, s36, s49
	s_addc_u32 s5, s37, s2
	v_or_b32_e32 v5, 64, v9
	s_movk_i32 s2, 0x70
	s_add_i32 s11, s16, -1
	v_cmp_gt_u32_e32 vcc, s2, v5
	s_lshl_b64 s[2:3], s[34:35], 2
	s_add_u32 s2, s30, s2
	v_lshlrev_b64 v[10:11], 2, v[2:3]
	s_addc_u32 s3, s31, s3
	s_mov_b32 s12, -1
	v_lshlrev_b32_e32 v8, 3, v5
	v_mov_b32_e32 v5, 0xf0
	v_mov_b32_e32 v3, s3
	v_add_co_u32_e64 v10, s[2:3], s2, v10
	s_mov_b32 s9, s17
	s_mov_b32 s13, 0xffffff
	v_lshlrev_b32_e32 v4, 3, v9
	v_mov_b32_e32 v7, 0
	s_mov_b32 s36, s33
	v_lshl_add_u32 v25, v13, 3, s29
	v_lshl_add_u32 v26, v13, 5, v5
	v_addc_co_u32_e64 v11, s[2:3], v3, v11, s[2:3]
	s_mov_b64 s[16:17], 0
	v_pk_mov_b32 v[12:13], s[4:5], s[4:5] op_sel:[0,1]
	s_movk_i32 s30, 0x80
	s_movk_i32 s31, 0x7f
	s_mov_b32 s34, 0x8000
	s_movk_i32 s35, 0x380
	s_mov_b32 s37, 0x3020706
	s_mov_b32 s38, 0x1000504
	;; [unrolled: 1-line block ×3, first 2 shown]
	v_mov_b32_e32 v3, 0x2000
	v_mov_b32_e32 v5, 0
	;; [unrolled: 1-line block ×3, first 2 shown]
	s_branch .LBB270_128
.LBB270_126:                            ;   in Loop: Header=BB270_128 Depth=1
	s_or_b64 exec, exec, s[4:5]
	;;#ASMSTART
	v_pk_mul_f16 v16, v30, v16;

	;;#ASMEND
	;;#ASMSTART
	v_pk_mul_f16 v6, v29, v6;

	;;#ASMEND
	;; [unrolled: 4-line block ×4, first 2 shown]
	;;#ASMSTART
	v_pk_add_f16 v6, v16, v6;

	;;#ASMEND
	;;#ASMSTART
	v_pk_add_f16 v6, v6, v15;

	;;#ASMEND
	;; [unrolled: 4-line block ×3, first 2 shown]
	v_lshrrev_b32_e32 v14, 16, v6
	v_and_b32_e32 v6, 0xffff, v6
	;;#ASMSTART
	v_cvt_f32_f16 v6, v6;
	;;#ASMEND
	;;#ASMSTART
	v_cvt_f32_f16 v14, v14;
	;;#ASMEND
	v_add_f32_e32 v6, v6, v14
	v_add_f32_e32 v5, v5, v6
.LBB270_127:                            ;   in Loop: Header=BB270_128 Depth=1
	s_or_b64 exec, exec, s[18:19]
	v_add_u32_e32 v2, 2, v2
	v_cmp_le_i32_e64 s[2:3], s48, v2
	v_add_f32_e32 v6, v22, v23
	s_or_b64 s[16:17], s[2:3], s[16:17]
	v_add_co_u32_e64 v10, s[2:3], 8, v10
	v_add_f32_e32 v24, v24, v6
	v_add_u32_e32 v25, 16, v25
	v_add_u32_e32 v26, 64, v26
	v_addc_co_u32_e64 v11, s[2:3], 0, v11, s[2:3]
	s_andn2_b64 exec, exec, s[16:17]
	s_cbranch_execz .LBB270_229
.LBB270_128:                            ; =>This Inner Loop Header: Depth=1
	global_load_dword v6, v[10:11], off
	ds_read2_b64 v[18:21], v26 offset1:1
	ds_read2_b64 v[32:35], v26 offset0:2 offset1:3
	s_waitcnt lgkmcnt(1)
	;;#ASMSTART
	v_cvt_f16_f32 v17, v18;

	;;#ASMEND
	;;#ASMSTART
	v_cvt_f16_f32 v27, v19;

	;;#ASMEND
	;; [unrolled: 4-line block ×4, first 2 shown]
	s_waitcnt lgkmcnt(0)
	;;#ASMSTART
	v_cvt_f16_f32 v31, v32;

	;;#ASMEND
	;;#ASMSTART
	v_cvt_f16_f32 v32, v33;

	;;#ASMEND
	;; [unrolled: 4-line block ×4, first 2 shown]
	s_waitcnt vmcnt(0)
	v_mad_i64_i32 v[14:15], s[2:3], v6, s9, v[12:13]
	v_add_co_u32_e64 v18, s[2:3], v14, v4
	v_addc_co_u32_e64 v19, s[2:3], 0, v15, s[2:3]
	global_load_dwordx2 v[20:21], v[18:19], off
	global_load_dword v16, v7, s[14:15]
	v_mov_b32_e32 v18, 0
	s_waitcnt vmcnt(1)
	v_cmp_ne_u16_sdwa s[2:3], v20, v7 src0_sel:BYTE_0 src1_sel:DWORD
	s_and_saveexec_b64 s[4:5], s[2:3]
	s_cbranch_execz .LBB270_134
; %bb.129:                              ;   in Loop: Header=BB270_128 Depth=1
	v_cmp_ne_u16_sdwa s[2:3], v20, s30 src0_sel:BYTE_0 src1_sel:DWORD
	v_bfrev_b32_e32 v18, 1
	s_and_saveexec_b64 s[18:19], s[2:3]
	s_cbranch_execz .LBB270_133
; %bb.130:                              ;   in Loop: Header=BB270_128 Depth=1
	v_and_b32_e32 v6, 0x7f, v20
	v_cmp_ne_u32_e64 s[2:3], s31, v6
	v_mov_b32_e32 v18, 0x7fc02000
	s_and_saveexec_b64 s[20:21], s[2:3]
	s_cbranch_execz .LBB270_132
; %bb.131:                              ;   in Loop: Header=BB270_128 Depth=1
	v_and_b32_e32 v18, 7, v20
	v_ffbh_u32_e32 v18, v18
	v_min_u32_e32 v18, 32, v18
	v_subrev_u32_e32 v19, 28, v18
	v_cmp_gt_u32_e64 s[2:3], 8, v6
	v_lshrrev_b32_e32 v22, 3, v6
	v_sub_u32_e32 v23, 29, v18
	v_cndmask_b32_e64 v6, 0, v19, s[2:3]
	v_lshlrev_b64 v[18:19], v6, v[20:21]
	v_cndmask_b32_e64 v6, v22, v23, s[2:3]
	v_lshlrev_b32_e32 v19, 8, v20
	v_lshl_add_u32 v6, v6, 10, v3
	v_lshlrev_b32_e32 v18, 7, v18
	v_and_or_b32 v6, v19, s34, v6
	v_and_or_b32 v6, v18, s35, v6
	v_cvt_f32_f16_e32 v18, v6
.LBB270_132:                            ;   in Loop: Header=BB270_128 Depth=1
	s_or_b64 exec, exec, s[20:21]
.LBB270_133:                            ;   in Loop: Header=BB270_128 Depth=1
	s_or_b64 exec, exec, s[18:19]
.LBB270_134:                            ;   in Loop: Header=BB270_128 Depth=1
	s_or_b64 exec, exec, s[4:5]
	v_lshrrev_b16_e32 v6, 8, v20
	v_cmp_ne_u16_e64 s[2:3], 0, v6
	v_mov_b32_e32 v19, 0
	v_mov_b32_e32 v22, 0
	s_and_saveexec_b64 s[4:5], s[2:3]
	s_cbranch_execz .LBB270_140
; %bb.135:                              ;   in Loop: Header=BB270_128 Depth=1
	v_cmp_ne_u16_e64 s[2:3], s30, v6
	v_bfrev_b32_e32 v22, 1
	s_and_saveexec_b64 s[18:19], s[2:3]
	s_cbranch_execz .LBB270_139
; %bb.136:                              ;   in Loop: Header=BB270_128 Depth=1
	v_and_b32_e32 v23, 0x7f, v6
	v_cmp_ne_u32_e64 s[2:3], s31, v23
	v_mov_b32_e32 v22, 0x7fc02000
	s_and_saveexec_b64 s[20:21], s[2:3]
	s_cbranch_execz .LBB270_138
; %bb.137:                              ;   in Loop: Header=BB270_128 Depth=1
	v_and_b32_e32 v22, 7, v6
	v_ffbh_u32_e32 v35, v22
	v_min_u32_e32 v35, 32, v35
	v_lshrrev_b32_e32 v30, 3, v23
	v_subrev_u32_e32 v36, 28, v35
	v_sub_u32_e32 v35, 29, v35
	v_cmp_gt_u32_e64 s[2:3], 8, v23
	v_lshlrev_b64 v[36:37], v36, v[6:7]
	v_cndmask_b32_e64 v23, v30, v35, s[2:3]
	v_and_b32_e32 v36, 7, v36
	v_lshlrev_b32_e32 v6, 8, v6
	v_lshl_add_u32 v23, v23, 10, v3
	v_cndmask_b32_e64 v22, v22, v36, s[2:3]
	v_and_or_b32 v6, v6, s34, v23
	v_lshl_or_b32 v6, v22, 7, v6
	v_cvt_f32_f16_e32 v22, v6
.LBB270_138:                            ;   in Loop: Header=BB270_128 Depth=1
	s_or_b64 exec, exec, s[20:21]
.LBB270_139:                            ;   in Loop: Header=BB270_128 Depth=1
	s_or_b64 exec, exec, s[18:19]
.LBB270_140:                            ;   in Loop: Header=BB270_128 Depth=1
	s_or_b64 exec, exec, s[4:5]
	v_lshrrev_b32_e32 v6, 16, v20
	v_cmp_ne_u16_sdwa s[2:3], v6, v7 src0_sel:BYTE_0 src1_sel:DWORD
	s_and_saveexec_b64 s[4:5], s[2:3]
	s_cbranch_execz .LBB270_146
; %bb.141:                              ;   in Loop: Header=BB270_128 Depth=1
	v_cmp_ne_u16_sdwa s[2:3], v6, s30 src0_sel:BYTE_0 src1_sel:DWORD
	v_bfrev_b32_e32 v19, 1
	s_and_saveexec_b64 s[18:19], s[2:3]
	s_cbranch_execz .LBB270_145
; %bb.142:                              ;   in Loop: Header=BB270_128 Depth=1
	v_bfe_u32 v23, v20, 16, 7
	v_cmp_ne_u32_e64 s[2:3], s31, v23
	v_mov_b32_e32 v19, 0x7fc02000
	s_and_saveexec_b64 s[20:21], s[2:3]
	s_cbranch_execz .LBB270_144
; %bb.143:                              ;   in Loop: Header=BB270_128 Depth=1
	v_and_b32_e32 v19, 7, v6
	v_ffbh_u32_e32 v35, v19
	v_min_u32_e32 v35, 32, v35
	v_lshrrev_b32_e32 v30, 3, v23
	v_subrev_u32_e32 v36, 28, v35
	v_sub_u32_e32 v35, 29, v35
	v_cmp_gt_u32_e64 s[2:3], 8, v23
	v_lshlrev_b64 v[36:37], v36, v[6:7]
	v_cndmask_b32_e64 v23, v30, v35, s[2:3]
	v_and_b32_e32 v36, 7, v36
	v_lshlrev_b32_e32 v6, 8, v6
	v_lshl_add_u32 v23, v23, 10, v3
	v_cndmask_b32_e64 v19, v19, v36, s[2:3]
	v_and_or_b32 v6, v6, s34, v23
	v_lshl_or_b32 v6, v19, 7, v6
	v_cvt_f32_f16_e32 v19, v6
.LBB270_144:                            ;   in Loop: Header=BB270_128 Depth=1
	s_or_b64 exec, exec, s[20:21]
.LBB270_145:                            ;   in Loop: Header=BB270_128 Depth=1
	s_or_b64 exec, exec, s[18:19]
.LBB270_146:                            ;   in Loop: Header=BB270_128 Depth=1
	s_or_b64 exec, exec, s[4:5]
	v_cmp_lt_u32_e64 s[2:3], s13, v20
	v_mov_b32_e32 v30, 0
	v_mov_b32_e32 v23, 0
	s_and_saveexec_b64 s[4:5], s[2:3]
	s_cbranch_execz .LBB270_152
; %bb.147:                              ;   in Loop: Header=BB270_128 Depth=1
	v_lshrrev_b32_e32 v6, 24, v20
	v_cmp_ne_u32_e64 s[2:3], s30, v6
	v_bfrev_b32_e32 v23, 1
	s_and_saveexec_b64 s[18:19], s[2:3]
	s_cbranch_execz .LBB270_151
; %bb.148:                              ;   in Loop: Header=BB270_128 Depth=1
	v_and_b32_e32 v35, 0x7f, v6
	v_cmp_ne_u32_e64 s[2:3], s31, v35
	v_mov_b32_e32 v23, 0x7fc02000
	s_and_saveexec_b64 s[20:21], s[2:3]
	s_cbranch_execz .LBB270_150
; %bb.149:                              ;   in Loop: Header=BB270_128 Depth=1
	v_and_b32_e32 v23, 7, v6
	v_ffbh_u32_e32 v36, v23
	v_min_u32_e32 v39, 32, v36
	v_subrev_u32_e32 v36, 28, v39
	v_lshlrev_b64 v[36:37], v36, v[6:7]
	v_lshrrev_b32_e32 v38, 3, v35
	v_sub_u32_e32 v37, 29, v39
	v_cmp_gt_u32_e64 s[2:3], 8, v35
	v_cndmask_b32_e64 v35, v38, v37, s[2:3]
	v_and_b32_e32 v36, 7, v36
	v_lshlrev_b32_e32 v6, 8, v6
	v_lshl_add_u32 v35, v35, 10, v3
	v_cndmask_b32_e64 v23, v23, v36, s[2:3]
	v_and_or_b32 v6, v6, s34, v35
	v_lshl_or_b32 v6, v23, 7, v6
	v_cvt_f32_f16_e32 v23, v6
.LBB270_150:                            ;   in Loop: Header=BB270_128 Depth=1
	s_or_b64 exec, exec, s[20:21]
.LBB270_151:                            ;   in Loop: Header=BB270_128 Depth=1
	s_or_b64 exec, exec, s[18:19]
.LBB270_152:                            ;   in Loop: Header=BB270_128 Depth=1
	s_or_b64 exec, exec, s[4:5]
	v_mov_b32_e32 v6, v21
	v_cmp_ne_u16_sdwa s[2:3], v21, v7 src0_sel:BYTE_0 src1_sel:DWORD
	s_and_saveexec_b64 s[4:5], s[2:3]
	s_cbranch_execz .LBB270_158
; %bb.153:                              ;   in Loop: Header=BB270_128 Depth=1
	v_cmp_ne_u16_sdwa s[2:3], v21, s30 src0_sel:BYTE_0 src1_sel:DWORD
	v_bfrev_b32_e32 v30, 1
	s_and_saveexec_b64 s[18:19], s[2:3]
	s_cbranch_execz .LBB270_157
; %bb.154:                              ;   in Loop: Header=BB270_128 Depth=1
	v_and_b32_e32 v35, 0x7f, v21
	v_cmp_ne_u32_e64 s[2:3], s31, v35
	v_mov_b32_e32 v30, 0x7fc02000
	s_and_saveexec_b64 s[20:21], s[2:3]
	s_cbranch_execz .LBB270_156
; %bb.155:                              ;   in Loop: Header=BB270_128 Depth=1
	v_and_b32_e32 v30, 7, v21
	v_ffbh_u32_e32 v30, v30
	v_min_u32_e32 v30, 32, v30
	v_subrev_u32_e32 v36, 28, v30
	v_cmp_gt_u32_e64 s[2:3], 8, v35
	v_lshrrev_b32_e32 v38, 3, v35
	v_sub_u32_e32 v30, 29, v30
	v_cndmask_b32_e64 v35, 0, v36, s[2:3]
	v_lshlrev_b64 v[36:37], v35, v[6:7]
	v_cndmask_b32_e64 v30, v38, v30, s[2:3]
	v_lshlrev_b32_e32 v35, 7, v36
	v_lshlrev_b32_e32 v36, 8, v21
	v_lshl_add_u32 v30, v30, 10, v3
	v_and_or_b32 v30, v36, s34, v30
	v_and_or_b32 v30, v35, s35, v30
	v_cvt_f32_f16_e32 v30, v30
.LBB270_156:                            ;   in Loop: Header=BB270_128 Depth=1
	s_or_b64 exec, exec, s[20:21]
.LBB270_157:                            ;   in Loop: Header=BB270_128 Depth=1
	s_or_b64 exec, exec, s[18:19]
.LBB270_158:                            ;   in Loop: Header=BB270_128 Depth=1
	s_or_b64 exec, exec, s[4:5]
	v_lshrrev_b16_e32 v6, 8, v6
	v_cmp_ne_u16_e64 s[2:3], 0, v6
	v_mov_b32_e32 v35, 0
	v_mov_b32_e32 v36, 0
	s_and_saveexec_b64 s[4:5], s[2:3]
	s_cbranch_execz .LBB270_164
; %bb.159:                              ;   in Loop: Header=BB270_128 Depth=1
	v_cmp_ne_u16_e64 s[2:3], s30, v6
	v_bfrev_b32_e32 v36, 1
	s_and_saveexec_b64 s[18:19], s[2:3]
	s_cbranch_execz .LBB270_163
; %bb.160:                              ;   in Loop: Header=BB270_128 Depth=1
	v_and_b32_e32 v37, 0x7f, v6
	v_cmp_ne_u32_e64 s[2:3], s31, v37
	v_mov_b32_e32 v36, 0x7fc02000
	s_and_saveexec_b64 s[20:21], s[2:3]
	s_cbranch_execz .LBB270_162
; %bb.161:                              ;   in Loop: Header=BB270_128 Depth=1
	v_and_b32_e32 v36, 7, v6
	v_ffbh_u32_e32 v38, v36
	v_min_u32_e32 v41, 32, v38
	v_subrev_u32_e32 v38, 28, v41
	v_lshlrev_b64 v[38:39], v38, v[6:7]
	v_lshrrev_b32_e32 v40, 3, v37
	v_sub_u32_e32 v39, 29, v41
	v_cmp_gt_u32_e64 s[2:3], 8, v37
	v_cndmask_b32_e64 v37, v40, v39, s[2:3]
	v_and_b32_e32 v38, 7, v38
	v_lshlrev_b32_e32 v6, 8, v6
	v_lshl_add_u32 v37, v37, 10, v3
	v_cndmask_b32_e64 v36, v36, v38, s[2:3]
	v_and_or_b32 v6, v6, s34, v37
	v_lshl_or_b32 v6, v36, 7, v6
	v_cvt_f32_f16_e32 v36, v6
.LBB270_162:                            ;   in Loop: Header=BB270_128 Depth=1
	s_or_b64 exec, exec, s[20:21]
.LBB270_163:                            ;   in Loop: Header=BB270_128 Depth=1
	s_or_b64 exec, exec, s[18:19]
.LBB270_164:                            ;   in Loop: Header=BB270_128 Depth=1
	s_or_b64 exec, exec, s[4:5]
	v_lshrrev_b32_e32 v6, 16, v21
	v_cmp_ne_u16_sdwa s[2:3], v6, v7 src0_sel:BYTE_0 src1_sel:DWORD
	s_and_saveexec_b64 s[4:5], s[2:3]
	s_cbranch_execz .LBB270_170
; %bb.165:                              ;   in Loop: Header=BB270_128 Depth=1
	v_cmp_ne_u16_sdwa s[2:3], v6, s30 src0_sel:BYTE_0 src1_sel:DWORD
	v_bfrev_b32_e32 v35, 1
	s_and_saveexec_b64 s[18:19], s[2:3]
	s_cbranch_execz .LBB270_169
; %bb.166:                              ;   in Loop: Header=BB270_128 Depth=1
	v_bfe_u32 v37, v21, 16, 7
	v_cmp_ne_u32_e64 s[2:3], s31, v37
	v_mov_b32_e32 v35, 0x7fc02000
	s_and_saveexec_b64 s[20:21], s[2:3]
	s_cbranch_execz .LBB270_168
; %bb.167:                              ;   in Loop: Header=BB270_128 Depth=1
	v_and_b32_e32 v35, 7, v6
	v_ffbh_u32_e32 v38, v35
	v_min_u32_e32 v41, 32, v38
	v_subrev_u32_e32 v38, 28, v41
	v_lshlrev_b64 v[38:39], v38, v[6:7]
	v_lshrrev_b32_e32 v40, 3, v37
	v_sub_u32_e32 v39, 29, v41
	v_cmp_gt_u32_e64 s[2:3], 8, v37
	v_cndmask_b32_e64 v37, v40, v39, s[2:3]
	v_and_b32_e32 v38, 7, v38
	v_lshlrev_b32_e32 v6, 8, v6
	v_lshl_add_u32 v37, v37, 10, v3
	v_cndmask_b32_e64 v35, v35, v38, s[2:3]
	v_and_or_b32 v6, v6, s34, v37
	v_lshl_or_b32 v6, v35, 7, v6
	v_cvt_f32_f16_e32 v35, v6
.LBB270_168:                            ;   in Loop: Header=BB270_128 Depth=1
	s_or_b64 exec, exec, s[20:21]
.LBB270_169:                            ;   in Loop: Header=BB270_128 Depth=1
	s_or_b64 exec, exec, s[18:19]
.LBB270_170:                            ;   in Loop: Header=BB270_128 Depth=1
	s_or_b64 exec, exec, s[4:5]
	v_cmp_lt_u64_e64 s[2:3], s[12:13], v[20:21]
	v_mov_b32_e32 v20, 0
	s_and_saveexec_b64 s[4:5], s[2:3]
	s_cbranch_execz .LBB270_176
; %bb.171:                              ;   in Loop: Header=BB270_128 Depth=1
	v_lshrrev_b32_e32 v6, 24, v21
	v_cmp_ne_u32_e64 s[2:3], s30, v6
	v_bfrev_b32_e32 v20, 1
	s_and_saveexec_b64 s[18:19], s[2:3]
	s_cbranch_execz .LBB270_175
; %bb.172:                              ;   in Loop: Header=BB270_128 Depth=1
	v_and_b32_e32 v21, 0x7f, v6
	v_cmp_ne_u32_e64 s[2:3], s31, v21
	v_mov_b32_e32 v20, 0x7fc02000
	s_and_saveexec_b64 s[20:21], s[2:3]
	s_cbranch_execz .LBB270_174
; %bb.173:                              ;   in Loop: Header=BB270_128 Depth=1
	v_and_b32_e32 v20, 7, v6
	v_ffbh_u32_e32 v38, v20
	v_min_u32_e32 v40, 32, v38
	v_subrev_u32_e32 v38, 28, v40
	v_lshlrev_b64 v[38:39], v38, v[6:7]
	v_lshrrev_b32_e32 v37, 3, v21
	v_sub_u32_e32 v39, 29, v40
	v_cmp_gt_u32_e64 s[2:3], 8, v21
	v_cndmask_b32_e64 v21, v37, v39, s[2:3]
	v_and_b32_e32 v38, 7, v38
	v_lshlrev_b32_e32 v6, 8, v6
	v_lshl_add_u32 v21, v21, 10, v3
	v_cndmask_b32_e64 v20, v20, v38, s[2:3]
	v_and_or_b32 v6, v6, s34, v21
	v_lshl_or_b32 v6, v20, 7, v6
	v_cvt_f32_f16_e32 v20, v6
.LBB270_174:                            ;   in Loop: Header=BB270_128 Depth=1
	s_or_b64 exec, exec, s[20:21]
.LBB270_175:                            ;   in Loop: Header=BB270_128 Depth=1
	s_or_b64 exec, exec, s[18:19]
.LBB270_176:                            ;   in Loop: Header=BB270_128 Depth=1
	s_or_b64 exec, exec, s[4:5]
	s_waitcnt vmcnt(0)
	v_pk_mul_f32 v[22:23], v[16:17], v[22:23] op_sel_hi:[0,1]
	v_pk_mul_f32 v[18:19], v[16:17], v[18:19] op_sel_hi:[0,1]
	v_cvt_f16_f32_e32 v6, v23
	v_cvt_f16_f32_e32 v21, v22
	;; [unrolled: 1-line block ×4, first 2 shown]
	v_cmp_eq_u32_e64 s[2:3], s11, v2
	v_pack_b32_f16 v21, v21, v6
	v_pack_b32_f16 v18, v18, v19
	v_fma_mixlo_f16 v19, v16, v36, 0
	v_perm_b32 v6, v18, v21, s37
	v_perm_b32 v18, v18, v21, s38
	v_lshlrev_b32_e32 v19, 16, v19
	v_fma_mixlo_f16 v21, v16, v30, 0
	v_or_b32_sdwa v19, v19, v21 dst_sel:DWORD dst_unused:UNUSED_PAD src0_sel:DWORD src1_sel:WORD_0
	v_fma_mixlo_f16 v21, v16, v35, 0
	v_fma_mixlo_f16 v16, v16, v20, 0
	v_lshlrev_b32_e32 v16, 16, v16
	v_or_b32_sdwa v16, v16, v21 dst_sel:DWORD dst_unused:UNUSED_PAD src0_sel:DWORD src1_sel:WORD_0
	s_and_saveexec_b64 s[18:19], s[2:3]
	s_cbranch_execz .LBB270_178
; %bb.177:                              ;   in Loop: Header=BB270_128 Depth=1
	v_add_u32_e32 v20, 1, v25
	v_lshrrev_b32_e32 v22, 16, v18
	v_cmp_gt_i32_e64 s[4:5], s36, v20
	v_cndmask_b32_e64 v20, 0, v22, s[4:5]
	v_cmp_gt_i32_e64 s[4:5], s33, v25
	v_cndmask_b32_e64 v18, 0, v18, s[4:5]
	v_perm_b32 v18, v20, v18, s39
	v_or_b32_e32 v20, 3, v25
	v_or_b32_e32 v22, 2, v25
	v_lshrrev_b32_e32 v23, 16, v6
	v_cmp_gt_i32_e64 s[4:5], s36, v20
	v_cndmask_b32_e64 v20, 0, v23, s[4:5]
	v_cmp_gt_i32_e64 s[4:5], s33, v22
	v_cndmask_b32_e64 v6, 0, v6, s[4:5]
	v_perm_b32 v6, v20, v6, s39
	v_or_b32_e32 v20, 5, v25
	v_or_b32_e32 v22, 4, v25
	;; [unrolled: 8-line block ×3, first 2 shown]
	v_lshrrev_b32_e32 v16, 16, v16
	v_cmp_gt_i32_e64 s[4:5], s36, v20
	v_cndmask_b32_e64 v16, 0, v16, s[4:5]
	v_cmp_gt_i32_e64 s[4:5], s33, v22
	v_cndmask_b32_e64 v20, 0, v21, s[4:5]
	v_perm_b32 v16, v16, v20, s39
.LBB270_178:                            ;   in Loop: Header=BB270_128 Depth=1
	s_or_b64 exec, exec, s[18:19]
	v_and_b32_e32 v17, 0xffff, v17
	v_lshl_or_b32 v30, v27, 16, v17
	v_and_b32_e32 v17, 0xffff, v28
	v_lshl_or_b32 v29, v29, 16, v17
	;; [unrolled: 2-line block ×4, first 2 shown]
	;;#ASMSTART
	v_pk_mul_f16 v17, v30, v18;

	;;#ASMEND
	;;#ASMSTART
	v_pk_mul_f16 v6, v29, v6;

	;;#ASMEND
	;; [unrolled: 4-line block ×4, first 2 shown]
	;;#ASMSTART
	v_pk_add_f16 v6, v17, v6;

	;;#ASMEND
	;;#ASMSTART
	v_pk_add_f16 v6, v6, v18;

	;;#ASMEND
	;; [unrolled: 4-line block ×3, first 2 shown]
	v_lshrrev_b32_e32 v16, 16, v6
	v_and_b32_e32 v6, 0xffff, v6
	;;#ASMSTART
	v_cvt_f32_f16 v22, v6;
	;;#ASMEND
	;;#ASMSTART
	v_cvt_f32_f16 v23, v16;
	;;#ASMEND
	s_and_saveexec_b64 s[18:19], vcc
	s_cbranch_execz .LBB270_127
; %bb.179:                              ;   in Loop: Header=BB270_128 Depth=1
	v_add_co_u32_e64 v16, s[4:5], v14, v8
	v_addc_co_u32_e64 v17, s[4:5], 0, v15, s[4:5]
	global_load_dwordx2 v[20:21], v[16:17], off
	global_load_dword v14, v7, s[14:15]
	v_mov_b32_e32 v18, 0
	v_mov_b32_e32 v16, 0
	s_waitcnt vmcnt(1)
	v_cmp_ne_u16_sdwa s[4:5], v20, v7 src0_sel:BYTE_0 src1_sel:DWORD
	s_and_saveexec_b64 s[20:21], s[4:5]
	s_cbranch_execz .LBB270_185
; %bb.180:                              ;   in Loop: Header=BB270_128 Depth=1
	v_cmp_ne_u16_sdwa s[4:5], v20, s30 src0_sel:BYTE_0 src1_sel:DWORD
	v_bfrev_b32_e32 v16, 1
	s_and_saveexec_b64 s[22:23], s[4:5]
	s_cbranch_execz .LBB270_184
; %bb.181:                              ;   in Loop: Header=BB270_128 Depth=1
	v_and_b32_e32 v6, 0x7f, v20
	v_cmp_ne_u32_e64 s[4:5], s31, v6
	v_mov_b32_e32 v16, 0x7fc02000
	s_and_saveexec_b64 s[28:29], s[4:5]
	s_cbranch_execz .LBB270_183
; %bb.182:                              ;   in Loop: Header=BB270_128 Depth=1
	v_and_b32_e32 v15, 7, v20
	v_ffbh_u32_e32 v15, v15
	v_min_u32_e32 v15, 32, v15
	v_subrev_u32_e32 v16, 28, v15
	v_cmp_gt_u32_e64 s[4:5], 8, v6
	v_lshrrev_b32_e32 v19, 3, v6
	v_sub_u32_e32 v15, 29, v15
	v_cndmask_b32_e64 v6, 0, v16, s[4:5]
	v_lshlrev_b64 v[16:17], v6, v[20:21]
	v_cndmask_b32_e64 v6, v19, v15, s[4:5]
	v_lshlrev_b32_e32 v15, 7, v16
	v_lshlrev_b32_e32 v16, 8, v20
	v_lshl_add_u32 v6, v6, 10, v3
	v_and_or_b32 v6, v16, s34, v6
	v_and_or_b32 v6, v15, s35, v6
	v_cvt_f32_f16_e32 v16, v6
.LBB270_183:                            ;   in Loop: Header=BB270_128 Depth=1
	s_or_b64 exec, exec, s[28:29]
.LBB270_184:                            ;   in Loop: Header=BB270_128 Depth=1
	s_or_b64 exec, exec, s[22:23]
.LBB270_185:                            ;   in Loop: Header=BB270_128 Depth=1
	s_or_b64 exec, exec, s[20:21]
	v_lshrrev_b16_e32 v6, 8, v20
	v_cmp_ne_u16_e64 s[4:5], 0, v6
	s_and_saveexec_b64 s[20:21], s[4:5]
	s_cbranch_execz .LBB270_191
; %bb.186:                              ;   in Loop: Header=BB270_128 Depth=1
	v_cmp_ne_u16_e64 s[4:5], s30, v6
	v_bfrev_b32_e32 v18, 1
	s_and_saveexec_b64 s[22:23], s[4:5]
	s_cbranch_execz .LBB270_190
; %bb.187:                              ;   in Loop: Header=BB270_128 Depth=1
	v_and_b32_e32 v15, 0x7f, v6
	v_cmp_ne_u32_e64 s[4:5], s31, v15
	v_mov_b32_e32 v18, 0x7fc02000
	s_and_saveexec_b64 s[28:29], s[4:5]
	s_cbranch_execz .LBB270_189
; %bb.188:                              ;   in Loop: Header=BB270_128 Depth=1
	v_and_b32_e32 v17, 7, v6
	v_ffbh_u32_e32 v18, v17
	v_min_u32_e32 v32, 32, v18
	v_subrev_u32_e32 v18, 28, v32
	v_lshlrev_b64 v[18:19], v18, v[6:7]
	v_lshrrev_b32_e32 v31, 3, v15
	v_sub_u32_e32 v19, 29, v32
	v_cmp_gt_u32_e64 s[4:5], 8, v15
	v_cndmask_b32_e64 v15, v31, v19, s[4:5]
	v_and_b32_e32 v18, 7, v18
	v_lshlrev_b32_e32 v6, 8, v6
	v_lshl_add_u32 v15, v15, 10, v3
	v_cndmask_b32_e64 v17, v17, v18, s[4:5]
	v_and_or_b32 v6, v6, s34, v15
	v_lshl_or_b32 v6, v17, 7, v6
	v_cvt_f32_f16_e32 v18, v6
.LBB270_189:                            ;   in Loop: Header=BB270_128 Depth=1
	s_or_b64 exec, exec, s[28:29]
.LBB270_190:                            ;   in Loop: Header=BB270_128 Depth=1
	s_or_b64 exec, exec, s[22:23]
.LBB270_191:                            ;   in Loop: Header=BB270_128 Depth=1
	s_or_b64 exec, exec, s[20:21]
	v_lshrrev_b32_e32 v6, 16, v20
	v_cmp_ne_u16_sdwa s[4:5], v6, v7 src0_sel:BYTE_0 src1_sel:DWORD
	v_mov_b32_e32 v19, 0
	v_mov_b32_e32 v17, 0
	s_and_saveexec_b64 s[20:21], s[4:5]
	s_cbranch_execz .LBB270_197
; %bb.192:                              ;   in Loop: Header=BB270_128 Depth=1
	v_cmp_ne_u16_sdwa s[4:5], v6, s30 src0_sel:BYTE_0 src1_sel:DWORD
	v_bfrev_b32_e32 v17, 1
	s_and_saveexec_b64 s[22:23], s[4:5]
	s_cbranch_execz .LBB270_196
; %bb.193:                              ;   in Loop: Header=BB270_128 Depth=1
	v_bfe_u32 v15, v20, 16, 7
	v_cmp_ne_u32_e64 s[4:5], s31, v15
	v_mov_b32_e32 v17, 0x7fc02000
	s_and_saveexec_b64 s[28:29], s[4:5]
	s_cbranch_execz .LBB270_195
; %bb.194:                              ;   in Loop: Header=BB270_128 Depth=1
	v_and_b32_e32 v17, 7, v6
	v_ffbh_u32_e32 v32, v17
	v_min_u32_e32 v34, 32, v32
	v_subrev_u32_e32 v32, 28, v34
	v_lshlrev_b64 v[32:33], v32, v[6:7]
	v_lshrrev_b32_e32 v31, 3, v15
	v_sub_u32_e32 v33, 29, v34
	v_cmp_gt_u32_e64 s[4:5], 8, v15
	v_cndmask_b32_e64 v15, v31, v33, s[4:5]
	v_and_b32_e32 v32, 7, v32
	v_lshlrev_b32_e32 v6, 8, v6
	v_lshl_add_u32 v15, v15, 10, v3
	v_cndmask_b32_e64 v17, v17, v32, s[4:5]
	v_and_or_b32 v6, v6, s34, v15
	v_lshl_or_b32 v6, v17, 7, v6
	v_cvt_f32_f16_e32 v17, v6
.LBB270_195:                            ;   in Loop: Header=BB270_128 Depth=1
	s_or_b64 exec, exec, s[28:29]
.LBB270_196:                            ;   in Loop: Header=BB270_128 Depth=1
	s_or_b64 exec, exec, s[22:23]
.LBB270_197:                            ;   in Loop: Header=BB270_128 Depth=1
	s_or_b64 exec, exec, s[20:21]
	v_cmp_lt_u32_e64 s[4:5], s13, v20
	s_and_saveexec_b64 s[20:21], s[4:5]
	s_cbranch_execz .LBB270_203
; %bb.198:                              ;   in Loop: Header=BB270_128 Depth=1
	v_lshrrev_b32_e32 v6, 24, v20
	v_cmp_ne_u32_e64 s[4:5], s30, v6
	v_bfrev_b32_e32 v19, 1
	s_and_saveexec_b64 s[22:23], s[4:5]
	s_cbranch_execz .LBB270_202
; %bb.199:                              ;   in Loop: Header=BB270_128 Depth=1
	v_and_b32_e32 v15, 0x7f, v6
	v_cmp_ne_u32_e64 s[4:5], s31, v15
	v_mov_b32_e32 v19, 0x7fc02000
	s_and_saveexec_b64 s[28:29], s[4:5]
	s_cbranch_execz .LBB270_201
; %bb.200:                              ;   in Loop: Header=BB270_128 Depth=1
	v_and_b32_e32 v19, 7, v6
	v_ffbh_u32_e32 v32, v19
	v_min_u32_e32 v34, 32, v32
	v_subrev_u32_e32 v32, 28, v34
	v_lshlrev_b64 v[32:33], v32, v[6:7]
	v_lshrrev_b32_e32 v31, 3, v15
	v_sub_u32_e32 v33, 29, v34
	v_cmp_gt_u32_e64 s[4:5], 8, v15
	v_cndmask_b32_e64 v15, v31, v33, s[4:5]
	v_and_b32_e32 v32, 7, v32
	v_lshlrev_b32_e32 v6, 8, v6
	v_lshl_add_u32 v15, v15, 10, v3
	v_cndmask_b32_e64 v19, v19, v32, s[4:5]
	v_and_or_b32 v6, v6, s34, v15
	v_lshl_or_b32 v6, v19, 7, v6
	v_cvt_f32_f16_e32 v19, v6
.LBB270_201:                            ;   in Loop: Header=BB270_128 Depth=1
	s_or_b64 exec, exec, s[28:29]
.LBB270_202:                            ;   in Loop: Header=BB270_128 Depth=1
	s_or_b64 exec, exec, s[22:23]
.LBB270_203:                            ;   in Loop: Header=BB270_128 Depth=1
	s_or_b64 exec, exec, s[20:21]
	v_mov_b32_e32 v6, v21
	v_cmp_ne_u16_sdwa s[4:5], v21, v7 src0_sel:BYTE_0 src1_sel:DWORD
	v_mov_b32_e32 v31, 0
	v_mov_b32_e32 v15, 0
	s_and_saveexec_b64 s[20:21], s[4:5]
	s_cbranch_execz .LBB270_209
; %bb.204:                              ;   in Loop: Header=BB270_128 Depth=1
	v_cmp_ne_u16_sdwa s[4:5], v21, s30 src0_sel:BYTE_0 src1_sel:DWORD
	v_bfrev_b32_e32 v15, 1
	s_and_saveexec_b64 s[22:23], s[4:5]
	s_cbranch_execz .LBB270_208
; %bb.205:                              ;   in Loop: Header=BB270_128 Depth=1
	v_and_b32_e32 v32, 0x7f, v21
	v_cmp_ne_u32_e64 s[4:5], s31, v32
	v_mov_b32_e32 v15, 0x7fc02000
	s_and_saveexec_b64 s[28:29], s[4:5]
	s_cbranch_execz .LBB270_207
; %bb.206:                              ;   in Loop: Header=BB270_128 Depth=1
	v_and_b32_e32 v15, 7, v21
	v_ffbh_u32_e32 v15, v15
	v_min_u32_e32 v15, 32, v15
	v_subrev_u32_e32 v33, 28, v15
	v_cmp_gt_u32_e64 s[4:5], 8, v32
	v_lshrrev_b32_e32 v34, 3, v32
	v_sub_u32_e32 v15, 29, v15
	v_cndmask_b32_e64 v32, 0, v33, s[4:5]
	v_lshlrev_b64 v[32:33], v32, v[6:7]
	v_cndmask_b32_e64 v15, v34, v15, s[4:5]
	v_lshlrev_b32_e32 v33, 8, v21
	v_lshl_add_u32 v15, v15, 10, v3
	v_lshlrev_b32_e32 v32, 7, v32
	v_and_or_b32 v15, v33, s34, v15
	v_and_or_b32 v15, v32, s35, v15
	v_cvt_f32_f16_e32 v15, v15
.LBB270_207:                            ;   in Loop: Header=BB270_128 Depth=1
	s_or_b64 exec, exec, s[28:29]
.LBB270_208:                            ;   in Loop: Header=BB270_128 Depth=1
	s_or_b64 exec, exec, s[22:23]
.LBB270_209:                            ;   in Loop: Header=BB270_128 Depth=1
	s_or_b64 exec, exec, s[20:21]
	v_lshrrev_b16_e32 v6, 8, v6
	v_cmp_ne_u16_e64 s[4:5], 0, v6
	s_and_saveexec_b64 s[20:21], s[4:5]
	s_cbranch_execz .LBB270_215
; %bb.210:                              ;   in Loop: Header=BB270_128 Depth=1
	v_cmp_ne_u16_e64 s[4:5], s30, v6
	v_bfrev_b32_e32 v31, 1
	s_and_saveexec_b64 s[22:23], s[4:5]
	s_cbranch_execz .LBB270_214
; %bb.211:                              ;   in Loop: Header=BB270_128 Depth=1
	v_and_b32_e32 v32, 0x7f, v6
	v_cmp_ne_u32_e64 s[4:5], s31, v32
	v_mov_b32_e32 v31, 0x7fc02000
	s_and_saveexec_b64 s[28:29], s[4:5]
	s_cbranch_execz .LBB270_213
; %bb.212:                              ;   in Loop: Header=BB270_128 Depth=1
	v_and_b32_e32 v31, 7, v6
	v_ffbh_u32_e32 v34, v31
	v_min_u32_e32 v36, 32, v34
	v_subrev_u32_e32 v34, 28, v36
	v_lshlrev_b64 v[34:35], v34, v[6:7]
	v_lshrrev_b32_e32 v33, 3, v32
	v_sub_u32_e32 v35, 29, v36
	v_cmp_gt_u32_e64 s[4:5], 8, v32
	v_cndmask_b32_e64 v32, v33, v35, s[4:5]
	v_and_b32_e32 v34, 7, v34
	v_lshlrev_b32_e32 v6, 8, v6
	v_lshl_add_u32 v32, v32, 10, v3
	v_cndmask_b32_e64 v31, v31, v34, s[4:5]
	v_and_or_b32 v6, v6, s34, v32
	v_lshl_or_b32 v6, v31, 7, v6
	v_cvt_f32_f16_e32 v31, v6
.LBB270_213:                            ;   in Loop: Header=BB270_128 Depth=1
	s_or_b64 exec, exec, s[28:29]
.LBB270_214:                            ;   in Loop: Header=BB270_128 Depth=1
	s_or_b64 exec, exec, s[22:23]
.LBB270_215:                            ;   in Loop: Header=BB270_128 Depth=1
	s_or_b64 exec, exec, s[20:21]
	v_lshrrev_b32_e32 v6, 16, v21
	v_cmp_ne_u16_sdwa s[4:5], v6, v7 src0_sel:BYTE_0 src1_sel:DWORD
	v_mov_b32_e32 v32, 0
	v_mov_b32_e32 v33, 0
	s_and_saveexec_b64 s[20:21], s[4:5]
	s_cbranch_execz .LBB270_221
; %bb.216:                              ;   in Loop: Header=BB270_128 Depth=1
	v_cmp_ne_u16_sdwa s[4:5], v6, s30 src0_sel:BYTE_0 src1_sel:DWORD
	v_bfrev_b32_e32 v33, 1
	s_and_saveexec_b64 s[22:23], s[4:5]
	s_cbranch_execz .LBB270_220
; %bb.217:                              ;   in Loop: Header=BB270_128 Depth=1
	v_bfe_u32 v34, v21, 16, 7
	v_cmp_ne_u32_e64 s[4:5], s31, v34
	v_mov_b32_e32 v33, 0x7fc02000
	s_and_saveexec_b64 s[28:29], s[4:5]
	s_cbranch_execz .LBB270_219
; %bb.218:                              ;   in Loop: Header=BB270_128 Depth=1
	v_and_b32_e32 v33, 7, v6
	v_ffbh_u32_e32 v36, v33
	v_min_u32_e32 v38, 32, v36
	v_subrev_u32_e32 v36, 28, v38
	v_lshlrev_b64 v[36:37], v36, v[6:7]
	v_lshrrev_b32_e32 v35, 3, v34
	v_sub_u32_e32 v37, 29, v38
	v_cmp_gt_u32_e64 s[4:5], 8, v34
	v_cndmask_b32_e64 v34, v35, v37, s[4:5]
	v_and_b32_e32 v36, 7, v36
	v_lshlrev_b32_e32 v6, 8, v6
	v_lshl_add_u32 v34, v34, 10, v3
	v_cndmask_b32_e64 v33, v33, v36, s[4:5]
	v_and_or_b32 v6, v6, s34, v34
	v_lshl_or_b32 v6, v33, 7, v6
	v_cvt_f32_f16_e32 v33, v6
.LBB270_219:                            ;   in Loop: Header=BB270_128 Depth=1
	s_or_b64 exec, exec, s[28:29]
.LBB270_220:                            ;   in Loop: Header=BB270_128 Depth=1
	s_or_b64 exec, exec, s[22:23]
.LBB270_221:                            ;   in Loop: Header=BB270_128 Depth=1
	s_or_b64 exec, exec, s[20:21]
	v_cmp_lt_u64_e64 s[4:5], s[12:13], v[20:21]
	s_and_saveexec_b64 s[20:21], s[4:5]
	s_cbranch_execz .LBB270_227
; %bb.222:                              ;   in Loop: Header=BB270_128 Depth=1
	v_lshrrev_b32_e32 v6, 24, v21
	v_cmp_ne_u32_e64 s[4:5], s30, v6
	v_bfrev_b32_e32 v32, 1
	s_and_saveexec_b64 s[22:23], s[4:5]
	s_cbranch_execz .LBB270_226
; %bb.223:                              ;   in Loop: Header=BB270_128 Depth=1
	v_and_b32_e32 v20, 0x7f, v6
	v_cmp_ne_u32_e64 s[4:5], s31, v20
	v_mov_b32_e32 v32, 0x7fc02000
	s_and_saveexec_b64 s[28:29], s[4:5]
	s_cbranch_execz .LBB270_225
; %bb.224:                              ;   in Loop: Header=BB270_128 Depth=1
	v_and_b32_e32 v21, 7, v6
	v_ffbh_u32_e32 v34, v21
	v_min_u32_e32 v36, 32, v34
	v_subrev_u32_e32 v34, 28, v36
	v_lshlrev_b64 v[34:35], v34, v[6:7]
	v_lshrrev_b32_e32 v32, 3, v20
	v_sub_u32_e32 v35, 29, v36
	v_cmp_gt_u32_e64 s[4:5], 8, v20
	v_cndmask_b32_e64 v20, v32, v35, s[4:5]
	v_and_b32_e32 v34, 7, v34
	v_lshlrev_b32_e32 v6, 8, v6
	v_lshl_add_u32 v20, v20, 10, v3
	v_cndmask_b32_e64 v21, v21, v34, s[4:5]
	v_and_or_b32 v6, v6, s34, v20
	v_lshl_or_b32 v6, v21, 7, v6
	v_cvt_f32_f16_e32 v32, v6
.LBB270_225:                            ;   in Loop: Header=BB270_128 Depth=1
	s_or_b64 exec, exec, s[28:29]
.LBB270_226:                            ;   in Loop: Header=BB270_128 Depth=1
	s_or_b64 exec, exec, s[22:23]
.LBB270_227:                            ;   in Loop: Header=BB270_128 Depth=1
	s_or_b64 exec, exec, s[20:21]
	s_waitcnt vmcnt(0)
	v_pk_mul_f32 v[16:17], v[14:15], v[16:17] op_sel_hi:[0,1]
	v_cvt_f16_f32_e32 v17, v17
	v_cvt_f16_f32_e32 v16, v16
	v_pk_mul_f32 v[18:19], v[14:15], v[18:19] op_sel_hi:[0,1]
	v_cvt_f16_f32_e32 v6, v19
	v_cvt_f16_f32_e32 v18, v18
	v_pack_b32_f16 v16, v16, v17
	v_fma_mixlo_f16 v17, v14, v31, 0
	v_lshlrev_b32_e32 v17, 16, v17
	v_fma_mixlo_f16 v15, v14, v15, 0
	v_or_b32_sdwa v15, v17, v15 dst_sel:DWORD dst_unused:UNUSED_PAD src0_sel:DWORD src1_sel:WORD_0
	v_fma_mixlo_f16 v17, v14, v33, 0
	v_fma_mixlo_f16 v14, v14, v32, 0
	v_pack_b32_f16 v18, v18, v6
	v_lshlrev_b32_e32 v14, 16, v14
	v_perm_b32 v6, v16, v18, s37
	v_perm_b32 v16, v16, v18, s38
	v_or_b32_sdwa v14, v14, v17 dst_sel:DWORD dst_unused:UNUSED_PAD src0_sel:DWORD src1_sel:WORD_0
	s_and_saveexec_b64 s[4:5], s[2:3]
	s_cbranch_execz .LBB270_126
; %bb.228:                              ;   in Loop: Header=BB270_128 Depth=1
	v_add_u32_e32 v18, 1, v25
	v_lshrrev_b32_e32 v19, 16, v16
	v_cmp_gt_i32_e64 s[2:3], s36, v18
	v_cndmask_b32_e64 v18, 0, v19, s[2:3]
	v_cmp_gt_i32_e64 s[2:3], s33, v25
	v_cndmask_b32_e64 v16, 0, v16, s[2:3]
	v_perm_b32 v16, v18, v16, s39
	v_or_b32_e32 v18, 3, v25
	v_or_b32_e32 v19, 2, v25
	v_lshrrev_b32_e32 v20, 16, v6
	v_cmp_gt_i32_e64 s[2:3], s36, v18
	v_cndmask_b32_e64 v18, 0, v20, s[2:3]
	v_cmp_gt_i32_e64 s[2:3], s33, v19
	v_cndmask_b32_e64 v6, 0, v6, s[2:3]
	v_perm_b32 v6, v18, v6, s39
	v_or_b32_e32 v18, 5, v25
	v_or_b32_e32 v19, 4, v25
	;; [unrolled: 8-line block ×3, first 2 shown]
	v_lshrrev_b32_e32 v14, 16, v14
	v_cmp_gt_i32_e64 s[2:3], s36, v18
	v_cndmask_b32_e64 v14, 0, v14, s[2:3]
	v_cmp_gt_i32_e64 s[2:3], s33, v19
	v_cndmask_b32_e64 v17, 0, v17, s[2:3]
	v_perm_b32 v14, v14, v17, s39
	s_branch .LBB270_126
.LBB270_229:
	s_or_b64 exec, exec, s[16:17]
.LBB270_230:
	s_or_b64 exec, exec, s[6:7]
	v_and_b32_e32 v2, 0x3c0, v0
	v_cmp_eq_u32_e32 vcc, 64, v2
	s_barrier
	s_and_saveexec_b64 s[2:3], vcc
	s_cbranch_execz .LBB270_233
; %bb.231:
	v_mov_b32_e32 v2, 0xf0
	v_lshl_add_u32 v3, v9, 2, v2
	ds_write_b32 v3, v24
	s_and_b64 exec, exec, s[0:1]
	s_cbranch_execz .LBB270_233
; %bb.232:
	v_lshl_add_u32 v2, v0, 2, v2
	ds_write_b32 v2, v5
.LBB270_233:
	s_or_b64 exec, exec, s[2:3]
	v_cmp_gt_u32_e32 vcc, 64, v0
	v_or_b32_e32 v2, 64, v0
	s_waitcnt lgkmcnt(0)
	s_barrier
	s_and_saveexec_b64 s[2:3], vcc
	s_cbranch_execz .LBB270_237
; %bb.234:
	v_mov_b32_e32 v3, 0xf0
	v_lshl_add_u32 v3, v0, 2, v3
	ds_read_b32 v0, v3
	s_movk_i32 s0, 0x70
	v_cmp_gt_u32_e64 s[0:1], s0, v2
	s_and_saveexec_b64 s[4:5], s[0:1]
	s_cbranch_execz .LBB270_236
; %bb.235:
	ds_read_b32 v3, v3 offset:256
	s_waitcnt lgkmcnt(0)
	v_add_f32_e32 v5, v5, v3
.LBB270_236:
	s_or_b64 exec, exec, s[4:5]
	s_waitcnt lgkmcnt(0)
	v_add_f32_e32 v24, v24, v0
.LBB270_237:
	s_or_b64 exec, exec, s[2:3]
	s_barrier
	s_and_saveexec_b64 s[0:1], vcc
	s_cbranch_execz .LBB270_240
; %bb.238:
	s_mul_i32 s0, s10, 0x70
	s_ashr_i32 s1, s0, 31
	s_lshl_b64 s[0:1], s[0:1], 1
	s_add_u32 s3, s26, s0
	s_mul_i32 s0, s25, s24
	s_addc_u32 s4, s27, s1
	s_ashr_i32 s1, s0, 31
	s_lshl_b64 s[0:1], s[0:1], 1
	s_add_u32 s3, s3, s0
	s_mul_i32 s0, s8, 0x70
	s_addc_u32 s4, s4, s1
	s_ashr_i32 s1, s0, 31
	s_lshl_b64 s[0:1], s[0:1], 1
	s_movk_i32 s2, 0x70
	s_add_u32 s0, s3, s0
	s_addc_u32 s1, s4, s1
	v_cmp_gt_u32_e32 vcc, s2, v2
	;;#ASMSTART
	v_cvt_f16_f32 v0, v24;

	;;#ASMEND
	global_store_short v1, v0, s[0:1]
	s_and_b64 exec, exec, vcc
	s_cbranch_execz .LBB270_240
; %bb.239:
	v_mov_b32_e32 v2, s1
	v_add_co_u32_e32 v0, vcc, s0, v1
	v_addc_co_u32_e32 v1, vcc, 0, v2, vcc
	;;#ASMSTART
	v_cvt_f16_f32 v2, v5;

	;;#ASMEND
	global_store_short v[0:1], v2, off offset:128
.LBB270_240:
	s_endpgm
	.section	.rodata,"a",@progbits
	.p2align	6, 0x0
	.amdhsa_kernel _ZN4vllm25paged_attention_v2_kernelIthLi112ELi8ELi128ELNS_18Fp8KVCacheDataTypeE1ELb0ELi512EEEvPfS2_PT_PKS3_PKT0_S9_ifPKiSB_iPKfiiiSD_SD_iiiii
		.amdhsa_group_segment_fixed_size 240
		.amdhsa_private_segment_fixed_size 0
		.amdhsa_kernarg_size 400
		.amdhsa_user_sgpr_count 6
		.amdhsa_user_sgpr_private_segment_buffer 1
		.amdhsa_user_sgpr_dispatch_ptr 0
		.amdhsa_user_sgpr_queue_ptr 0
		.amdhsa_user_sgpr_kernarg_segment_ptr 1
		.amdhsa_user_sgpr_dispatch_id 0
		.amdhsa_user_sgpr_flat_scratch_init 0
		.amdhsa_user_sgpr_kernarg_preload_length 0
		.amdhsa_user_sgpr_kernarg_preload_offset 0
		.amdhsa_user_sgpr_private_segment_size 0
		.amdhsa_uses_dynamic_stack 0
		.amdhsa_system_sgpr_private_segment_wavefront_offset 0
		.amdhsa_system_sgpr_workgroup_id_x 1
		.amdhsa_system_sgpr_workgroup_id_y 1
		.amdhsa_system_sgpr_workgroup_id_z 1
		.amdhsa_system_sgpr_workgroup_info 0
		.amdhsa_system_vgpr_workitem_id 0
		.amdhsa_next_free_vgpr 44
		.amdhsa_next_free_sgpr 54
		.amdhsa_accum_offset 44
		.amdhsa_reserve_vcc 1
		.amdhsa_reserve_flat_scratch 0
		.amdhsa_float_round_mode_32 0
		.amdhsa_float_round_mode_16_64 0
		.amdhsa_float_denorm_mode_32 3
		.amdhsa_float_denorm_mode_16_64 3
		.amdhsa_dx10_clamp 1
		.amdhsa_ieee_mode 1
		.amdhsa_fp16_overflow 0
		.amdhsa_tg_split 0
		.amdhsa_exception_fp_ieee_invalid_op 0
		.amdhsa_exception_fp_denorm_src 0
		.amdhsa_exception_fp_ieee_div_zero 0
		.amdhsa_exception_fp_ieee_overflow 0
		.amdhsa_exception_fp_ieee_underflow 0
		.amdhsa_exception_fp_ieee_inexact 0
		.amdhsa_exception_int_div_zero 0
	.end_amdhsa_kernel
	.section	.text._ZN4vllm25paged_attention_v2_kernelIthLi112ELi8ELi128ELNS_18Fp8KVCacheDataTypeE1ELb0ELi512EEEvPfS2_PT_PKS3_PKT0_S9_ifPKiSB_iPKfiiiSD_SD_iiiii,"axG",@progbits,_ZN4vllm25paged_attention_v2_kernelIthLi112ELi8ELi128ELNS_18Fp8KVCacheDataTypeE1ELb0ELi512EEEvPfS2_PT_PKS3_PKT0_S9_ifPKiSB_iPKfiiiSD_SD_iiiii,comdat
.Lfunc_end270:
	.size	_ZN4vllm25paged_attention_v2_kernelIthLi112ELi8ELi128ELNS_18Fp8KVCacheDataTypeE1ELb0ELi512EEEvPfS2_PT_PKS3_PKT0_S9_ifPKiSB_iPKfiiiSD_SD_iiiii, .Lfunc_end270-_ZN4vllm25paged_attention_v2_kernelIthLi112ELi8ELi128ELNS_18Fp8KVCacheDataTypeE1ELb0ELi512EEEvPfS2_PT_PKS3_PKT0_S9_ifPKiSB_iPKfiiiSD_SD_iiiii
                                        ; -- End function
	.section	.AMDGPU.csdata,"",@progbits
; Kernel info:
; codeLenInByte = 10688
; NumSgprs: 58
; NumVgprs: 44
; NumAgprs: 0
; TotalNumVgprs: 44
; ScratchSize: 0
; MemoryBound: 0
; FloatMode: 240
; IeeeMode: 1
; LDSByteSize: 240 bytes/workgroup (compile time only)
; SGPRBlocks: 7
; VGPRBlocks: 5
; NumSGPRsForWavesPerEU: 58
; NumVGPRsForWavesPerEU: 44
; AccumOffset: 44
; Occupancy: 8
; WaveLimiterHint : 1
; COMPUTE_PGM_RSRC2:SCRATCH_EN: 0
; COMPUTE_PGM_RSRC2:USER_SGPR: 6
; COMPUTE_PGM_RSRC2:TRAP_HANDLER: 0
; COMPUTE_PGM_RSRC2:TGID_X_EN: 1
; COMPUTE_PGM_RSRC2:TGID_Y_EN: 1
; COMPUTE_PGM_RSRC2:TGID_Z_EN: 1
; COMPUTE_PGM_RSRC2:TIDIG_COMP_CNT: 0
; COMPUTE_PGM_RSRC3_GFX90A:ACCUM_OFFSET: 10
; COMPUTE_PGM_RSRC3_GFX90A:TG_SPLIT: 0
	.section	.text._ZN4vllm25paged_attention_v2_kernelIthLi120ELi8ELi128ELNS_18Fp8KVCacheDataTypeE1ELb0ELi512EEEvPfS2_PT_PKS3_PKT0_S9_ifPKiSB_iPKfiiiSD_SD_iiiii,"axG",@progbits,_ZN4vllm25paged_attention_v2_kernelIthLi120ELi8ELi128ELNS_18Fp8KVCacheDataTypeE1ELb0ELi512EEEvPfS2_PT_PKS3_PKT0_S9_ifPKiSB_iPKfiiiSD_SD_iiiii,comdat
	.protected	_ZN4vllm25paged_attention_v2_kernelIthLi120ELi8ELi128ELNS_18Fp8KVCacheDataTypeE1ELb0ELi512EEEvPfS2_PT_PKS3_PKT0_S9_ifPKiSB_iPKfiiiSD_SD_iiiii ; -- Begin function _ZN4vllm25paged_attention_v2_kernelIthLi120ELi8ELi128ELNS_18Fp8KVCacheDataTypeE1ELb0ELi512EEEvPfS2_PT_PKS3_PKT0_S9_ifPKiSB_iPKfiiiSD_SD_iiiii
	.globl	_ZN4vllm25paged_attention_v2_kernelIthLi120ELi8ELi128ELNS_18Fp8KVCacheDataTypeE1ELb0ELi512EEEvPfS2_PT_PKS3_PKT0_S9_ifPKiSB_iPKfiiiSD_SD_iiiii
	.p2align	8
	.type	_ZN4vllm25paged_attention_v2_kernelIthLi120ELi8ELi128ELNS_18Fp8KVCacheDataTypeE1ELb0ELi512EEEvPfS2_PT_PKS3_PKT0_S9_ifPKiSB_iPKfiiiSD_SD_iiiii,@function
_ZN4vllm25paged_attention_v2_kernelIthLi120ELi8ELi128ELNS_18Fp8KVCacheDataTypeE1ELb0ELi512EEEvPfS2_PT_PKS3_PKT0_S9_ifPKiSB_iPKfiiiSD_SD_iiiii: ; @_ZN4vllm25paged_attention_v2_kernelIthLi120ELi8ELi128ELNS_18Fp8KVCacheDataTypeE1ELb0ELi512EEEvPfS2_PT_PKS3_PKT0_S9_ifPKiSB_iPKfiiiSD_SD_iiiii
; %bb.0:
	s_load_dwordx2 s[0:1], s[4:5], 0x40
	s_mov_b32 s28, s7
	s_ashr_i32 s29, s7, 31
	s_lshl_b64 s[2:3], s[28:29], 2
	s_waitcnt lgkmcnt(0)
	s_add_u32 s0, s0, s2
	s_addc_u32 s1, s1, s3
	s_load_dword s33, s[0:1], 0x0
	s_lshl_b32 s29, s8, 9
	s_waitcnt lgkmcnt(0)
	s_cmp_ge_i32 s29, s33
	s_cbranch_scc1 .LBB271_246
; %bb.1:
	s_load_dword s9, s[4:5], 0x90
	s_load_dwordx2 s[38:39], s[4:5], 0x30
	s_waitcnt lgkmcnt(0)
	s_abs_i32 s2, s9
	s_abs_i32 s0, s38
	v_cvt_f32_u32_e32 v1, s0
	s_sub_i32 s3, 0, s0
	s_xor_b32 s1, s9, s38
	s_ashr_i32 s1, s1, 31
	v_rcp_iflag_f32_e32 v1, v1
	s_mov_b32 s38, 0
	v_mul_f32_e32 v1, 0x4f7ffffe, v1
	v_cvt_u32_f32_e32 v1, v1
	v_readfirstlane_b32 s7, v1
	s_mul_i32 s3, s3, s7
	s_mul_hi_u32 s3, s7, s3
	s_add_i32 s7, s7, s3
	s_mul_hi_u32 s3, s2, s7
	s_mul_i32 s7, s3, s0
	s_sub_i32 s2, s2, s7
	s_add_i32 s10, s3, 1
	s_sub_i32 s7, s2, s0
	s_cmp_ge_u32 s2, s0
	s_cselect_b32 s3, s10, s3
	s_cselect_b32 s2, s7, s2
	s_add_i32 s7, s3, 1
	s_cmp_ge_u32 s2, s0
	s_cselect_b32 s0, s7, s3
	s_xor_b32 s0, s0, s1
	s_sub_i32 s2, s0, s1
	s_abs_i32 s10, s2
	v_cvt_f32_u32_e32 v1, s10
	s_load_dwordx2 s[0:1], s[4:5], 0x50
	s_sub_i32 s3, 0, s10
	s_abs_i32 s11, s6
	v_rcp_iflag_f32_e32 v1, v1
	v_mul_f32_e32 v1, 0x4f7ffffe, v1
	v_cvt_u32_f32_e32 v1, v1
	v_readfirstlane_b32 s7, v1
	s_mul_i32 s3, s3, s7
	s_mul_hi_u32 s3, s7, s3
	s_add_i32 s7, s7, s3
	s_waitcnt lgkmcnt(0)
	s_cmp_eq_u64 s[0:1], 0
	s_mul_hi_u32 s12, s11, s7
	s_cbranch_scc1 .LBB271_3
; %bb.2:
	s_ashr_i32 s7, s6, 31
	s_lshl_b64 s[14:15], s[6:7], 2
	s_add_u32 s0, s0, s14
	s_addc_u32 s1, s1, s15
	s_load_dword s38, s[0:1], 0x0
.LBB271_3:
	s_load_dwordx4 s[16:19], s[4:5], 0x58
	s_movk_i32 s0, 0x78
	s_ashr_i32 s13, s6, 31
	s_ashr_i32 s14, s2, 31
	v_and_b32_e32 v4, 7, v0
	s_mul_i32 s24, s6, 0x78
	v_cmp_gt_u32_e64 s[0:1], s0, v0
	v_lshlrev_b32_e32 v1, 1, v0
	s_and_saveexec_b64 s[2:3], s[0:1]
	s_cbranch_execz .LBB271_5
; %bb.4:
	s_load_dwordx2 s[20:21], s[4:5], 0x18
	s_waitcnt lgkmcnt(0)
	s_mul_i32 s22, s28, s16
	s_ashr_i32 s23, s22, 31
	s_lshl_b64 s[22:23], s[22:23], 1
	v_lshrrev_b32_e32 v3, 2, v0
	s_add_u32 s7, s20, s22
	s_addc_u32 s15, s21, s23
	s_ashr_i32 s25, s24, 31
	s_lshl_b64 s[20:21], s[24:25], 1
	s_add_u32 s20, s7, s20
	s_addc_u32 s21, s15, s21
	global_load_ushort v2, v1, s[20:21]
	v_and_b32_e32 v3, 0xfe, v3
	v_mad_u32_u24 v3, v4, 30, v3
	s_waitcnt vmcnt(0)
	ds_write_b16 v3, v2
.LBB271_5:
	s_or_b64 exec, exec, s[2:3]
	s_add_i32 s2, s33, 7
	s_ashr_i32 s3, s2, 31
	s_lshr_b32 s3, s3, 29
	s_add_i32 s2, s2, s3
	s_lshl_b32 s7, s8, 6
	s_mul_i32 s3, s12, s10
	s_waitcnt lgkmcnt(0)
	s_ashr_i32 s16, s2, 3
	s_add_i32 s2, s7, 64
	s_sub_i32 s3, s11, s3
	s_min_i32 s48, s2, s16
	s_xor_b32 s2, s13, s14
	s_add_i32 s11, s12, 1
	s_sub_i32 s13, s3, s10
	s_cmp_ge_u32 s3, s10
	s_cselect_b32 s11, s11, s12
	s_cselect_b32 s3, s13, s3
	s_add_i32 s12, s11, 1
	s_cmp_ge_u32 s3, s10
	s_load_dwordx2 s[30:31], s[4:5], 0x38
	s_load_dword s10, s[4:5], 0x48
	v_lshrrev_b32_e32 v13, 6, v0
	s_cselect_b32 s3, s12, s11
	s_xor_b32 s3, s3, s2
	v_or_b32_e32 v2, s7, v13
	s_waitcnt lgkmcnt(0)
	s_mul_i32 s34, s28, s10
	s_sub_i32 s49, s3, s2
	s_ashr_i32 s35, s34, 31
	v_cmp_gt_i32_e64 s[2:3], s48, v2
	v_cmp_le_i32_e32 vcc, s48, v2
	v_mbcnt_lo_u32_b32 v11, -1, 0
	s_barrier
	s_waitcnt lgkmcnt(0)
                                        ; implicit-def: $sgpr19
                                        ; implicit-def: $vgpr5
                                        ; implicit-def: $vgpr10
	s_and_saveexec_b64 s[10:11], vcc
	s_xor_b64 s[10:11], exec, s[10:11]
; %bb.6:
	v_mbcnt_hi_u32_b32 v5, -1, v11
	v_and_b32_e32 v3, 64, v5
	v_add_u32_e32 v10, 64, v3
	s_mov_b32 s19, 0xff7fffff
                                        ; implicit-def: $vgpr4
                                        ; implicit-def: $vgpr11
; %bb.7:
	s_or_saveexec_b64 s[40:41], s[10:11]
	s_load_dwordx4 s[20:23], s[4:5], 0x0
	s_load_dwordx2 s[26:27], s[4:5], 0x10
	s_load_dword s25, s[4:5], 0x98
	s_load_dwordx2 s[36:37], s[4:5], 0x28
	s_load_dwordx4 s[12:15], s[4:5], 0x68
	v_mov_b32_e32 v14, s19
	s_mul_i32 s49, s49, s18
	v_ashrrev_i32_e32 v3, 31, v2
	s_xor_b64 exec, exec, s[40:41]
	s_cbranch_execz .LBB271_103
; %bb.8:
	s_load_dwordx2 s[4:5], s[4:5], 0x20
	s_ashr_i32 s10, s49, 31
	v_bfe_u32 v5, v0, 3, 3
	v_lshlrev_b32_e32 v8, 3, v13
	v_lshlrev_b32_e32 v6, 4, v5
	s_waitcnt lgkmcnt(0)
	s_add_u32 s4, s4, s49
	s_addc_u32 s5, s5, s10
	s_sub_i32 s51, 1, s33
	s_lshl_b64 s[10:11], s[34:35], 2
	v_add3_u32 v17, s29, v8, v5
	v_lshlrev_b32_e32 v5, 2, v5
	s_add_u32 s10, s30, s10
	v_mov_b32_e32 v7, s5
	v_add_co_u32_e32 v6, vcc, s4, v6
	v_lshl_or_b32 v5, v13, 5, v5
	v_lshlrev_b64 v[8:9], 2, v[2:3]
	s_addc_u32 s11, s31, s11
	v_addc_co_u32_e32 v7, vcc, 0, v7, vcc
	v_add_u32_e32 v18, 0x100, v5
	v_mov_b32_e32 v5, s11
	v_add_co_u32_e64 v8, s[10:11], s10, v8
	s_mov_b32 s50, s17
	v_mov_b32_e32 v15, 0
	v_mul_u32_u24_e32 v16, 30, v4
	v_cmp_eq_u32_e32 vcc, 0, v4
	v_cmp_neq_f32_e64 s[4:5], s38, 0
	v_addc_co_u32_e64 v9, s[10:11], v5, v9, s[10:11]
	s_mov_b64 s[18:19], 0
	v_mov_b32_e32 v14, 0xff7fffff
	s_movk_i32 s52, 0x80
	s_movk_i32 s53, 0x7f
	v_mbcnt_hi_u32_b32 v5, -1, v11
	v_bfrev_b32_e32 v19, 60
	v_mov_b32_e32 v20, v2
	s_branch .LBB271_10
.LBB271_9:                              ;   in Loop: Header=BB271_10 Depth=1
	s_or_b64 exec, exec, s[42:43]
	v_add_u32_e32 v20, 2, v20
	v_cmp_le_i32_e64 s[10:11], s48, v20
	s_or_b64 s[18:19], s[10:11], s[18:19]
	v_add_co_u32_e64 v8, s[10:11], 8, v8
	v_add_u32_e32 v17, 16, v17
	v_add_u32_e32 v18, 64, v18
	v_addc_co_u32_e64 v9, s[10:11], 0, v9, s[10:11]
	s_andn2_b64 exec, exec, s[18:19]
	s_cbranch_execz .LBB271_102
.LBB271_10:                             ; =>This Inner Loop Header: Depth=1
	global_load_dword v10, v[8:9], off
	v_mov_b32_e32 v22, 0
	s_waitcnt vmcnt(0)
	v_mad_i64_i32 v[10:11], s[10:11], v10, s50, v[6:7]
	v_add_co_u32_e64 v10, s[10:11], v10, v4
	v_addc_co_u32_e64 v11, s[10:11], 0, v11, s[10:11]
	global_load_ubyte v23, v[10:11], off
	global_load_dword v21, v15, s[12:13]
	s_waitcnt vmcnt(1)
	v_cmp_ne_u16_e64 s[10:11], 0, v23
	s_and_saveexec_b64 s[42:43], s[10:11]
	s_cbranch_execz .LBB271_16
; %bb.11:                               ;   in Loop: Header=BB271_10 Depth=1
	v_cmp_ne_u16_e64 s[10:11], s52, v23
	v_bfrev_b32_e32 v22, 1
	s_and_saveexec_b64 s[44:45], s[10:11]
	s_cbranch_execz .LBB271_15
; %bb.12:                               ;   in Loop: Header=BB271_10 Depth=1
	s_waitcnt lgkmcnt(0)
	v_and_b32_e32 v12, 0xffff, v23
	v_and_b32_e32 v24, 0x7f, v12
	v_cmp_ne_u32_e64 s[10:11], s53, v24
	v_mov_b32_e32 v22, 0x7f800001
	s_and_saveexec_b64 s[46:47], s[10:11]
	s_cbranch_execz .LBB271_14
; %bb.13:                               ;   in Loop: Header=BB271_10 Depth=1
	v_and_b32_e32 v22, 7, v12
	v_ffbh_u32_e32 v26, v22
	v_min_u32_e32 v28, 32, v26
	v_subrev_u32_e32 v26, 28, v28
	v_lshlrev_b64 v[26:27], v26, v[12:13]
	v_lshrrev_b32_e32 v25, 3, v24
	v_sub_u32_e32 v12, 29, v28
	v_and_b32_e32 v26, 7, v26
	v_cmp_gt_u32_e64 s[10:11], 8, v24
	v_cndmask_b32_e64 v12, v25, v12, s[10:11]
	v_cndmask_b32_e64 v22, v22, v26, s[10:11]
	v_lshlrev_b32_e32 v23, 24, v23
	v_lshlrev_b32_e32 v22, 20, v22
	v_and_b32_e32 v23, 0x80000000, v23
	v_lshl_add_u32 v12, v12, 23, v19
	v_or3_b32 v22, v23, v12, v22
.LBB271_14:                             ;   in Loop: Header=BB271_10 Depth=1
	s_or_b64 exec, exec, s[46:47]
.LBB271_15:                             ;   in Loop: Header=BB271_10 Depth=1
	s_or_b64 exec, exec, s[44:45]
.LBB271_16:                             ;   in Loop: Header=BB271_10 Depth=1
	s_or_b64 exec, exec, s[42:43]
	global_load_ubyte v25, v[10:11], off offset:8
	v_mov_b32_e32 v23, 0
	v_mov_b32_e32 v24, 0
	s_waitcnt vmcnt(0)
	v_cmp_ne_u16_e64 s[10:11], 0, v25
	s_and_saveexec_b64 s[42:43], s[10:11]
	s_cbranch_execz .LBB271_22
; %bb.17:                               ;   in Loop: Header=BB271_10 Depth=1
	v_cmp_ne_u16_e64 s[10:11], s52, v25
	v_bfrev_b32_e32 v24, 1
	s_and_saveexec_b64 s[44:45], s[10:11]
	s_cbranch_execz .LBB271_21
; %bb.18:                               ;   in Loop: Header=BB271_10 Depth=1
	s_waitcnt lgkmcnt(0)
	v_and_b32_e32 v12, 0xffff, v25
	v_and_b32_e32 v26, 0x7f, v12
	v_cmp_ne_u32_e64 s[10:11], s53, v26
	v_mov_b32_e32 v24, 0x7f800001
	s_and_saveexec_b64 s[46:47], s[10:11]
	s_cbranch_execz .LBB271_20
; %bb.19:                               ;   in Loop: Header=BB271_10 Depth=1
	v_and_b32_e32 v24, 7, v12
	v_ffbh_u32_e32 v28, v24
	v_min_u32_e32 v30, 32, v28
	v_subrev_u32_e32 v28, 28, v30
	v_lshlrev_b64 v[28:29], v28, v[12:13]
	v_lshrrev_b32_e32 v27, 3, v26
	v_sub_u32_e32 v12, 29, v30
	v_and_b32_e32 v28, 7, v28
	v_cmp_gt_u32_e64 s[10:11], 8, v26
	v_cndmask_b32_e64 v12, v27, v12, s[10:11]
	v_cndmask_b32_e64 v24, v24, v28, s[10:11]
	v_lshlrev_b32_e32 v25, 24, v25
	v_lshlrev_b32_e32 v24, 20, v24
	v_and_b32_e32 v25, 0x80000000, v25
	v_lshl_add_u32 v12, v12, 23, v19
	v_or3_b32 v24, v25, v12, v24
.LBB271_20:                             ;   in Loop: Header=BB271_10 Depth=1
	s_or_b64 exec, exec, s[46:47]
.LBB271_21:                             ;   in Loop: Header=BB271_10 Depth=1
	s_or_b64 exec, exec, s[44:45]
.LBB271_22:                             ;   in Loop: Header=BB271_10 Depth=1
	s_or_b64 exec, exec, s[42:43]
	global_load_ubyte v25, v[10:11], off offset:128
	s_waitcnt vmcnt(0)
	v_cmp_ne_u16_e64 s[10:11], 0, v25
	s_and_saveexec_b64 s[42:43], s[10:11]
	s_cbranch_execz .LBB271_28
; %bb.23:                               ;   in Loop: Header=BB271_10 Depth=1
	v_cmp_ne_u16_e64 s[10:11], s52, v25
	v_bfrev_b32_e32 v23, 1
	s_and_saveexec_b64 s[44:45], s[10:11]
	s_cbranch_execz .LBB271_27
; %bb.24:                               ;   in Loop: Header=BB271_10 Depth=1
	s_waitcnt lgkmcnt(0)
	v_and_b32_e32 v12, 0xffff, v25
	v_and_b32_e32 v26, 0x7f, v12
	v_cmp_ne_u32_e64 s[10:11], s53, v26
	v_mov_b32_e32 v23, 0x7f800001
	s_and_saveexec_b64 s[46:47], s[10:11]
	s_cbranch_execz .LBB271_26
; %bb.25:                               ;   in Loop: Header=BB271_10 Depth=1
	v_and_b32_e32 v23, 7, v12
	v_ffbh_u32_e32 v28, v23
	v_min_u32_e32 v30, 32, v28
	v_subrev_u32_e32 v28, 28, v30
	v_lshlrev_b64 v[28:29], v28, v[12:13]
	v_lshrrev_b32_e32 v27, 3, v26
	v_sub_u32_e32 v12, 29, v30
	v_and_b32_e32 v28, 7, v28
	v_cmp_gt_u32_e64 s[10:11], 8, v26
	v_cndmask_b32_e64 v12, v27, v12, s[10:11]
	v_cndmask_b32_e64 v23, v23, v28, s[10:11]
	v_lshlrev_b32_e32 v25, 24, v25
	v_lshlrev_b32_e32 v23, 20, v23
	v_and_b32_e32 v25, 0x80000000, v25
	v_lshl_add_u32 v12, v12, 23, v19
	v_or3_b32 v23, v25, v12, v23
.LBB271_26:                             ;   in Loop: Header=BB271_10 Depth=1
	s_or_b64 exec, exec, s[46:47]
.LBB271_27:                             ;   in Loop: Header=BB271_10 Depth=1
	s_or_b64 exec, exec, s[44:45]
.LBB271_28:                             ;   in Loop: Header=BB271_10 Depth=1
	s_or_b64 exec, exec, s[42:43]
	global_load_ubyte v27, v[10:11], off offset:136
	v_mov_b32_e32 v25, 0
	v_mov_b32_e32 v26, 0
	s_waitcnt vmcnt(0)
	v_cmp_ne_u16_e64 s[10:11], 0, v27
	s_and_saveexec_b64 s[42:43], s[10:11]
	s_cbranch_execz .LBB271_34
; %bb.29:                               ;   in Loop: Header=BB271_10 Depth=1
	v_cmp_ne_u16_e64 s[10:11], s52, v27
	v_bfrev_b32_e32 v26, 1
	s_and_saveexec_b64 s[44:45], s[10:11]
	s_cbranch_execz .LBB271_33
; %bb.30:                               ;   in Loop: Header=BB271_10 Depth=1
	s_waitcnt lgkmcnt(0)
	v_and_b32_e32 v12, 0xffff, v27
	v_and_b32_e32 v28, 0x7f, v12
	v_cmp_ne_u32_e64 s[10:11], s53, v28
	v_mov_b32_e32 v26, 0x7f800001
	s_and_saveexec_b64 s[46:47], s[10:11]
	s_cbranch_execz .LBB271_32
; %bb.31:                               ;   in Loop: Header=BB271_10 Depth=1
	v_and_b32_e32 v26, 7, v12
	v_ffbh_u32_e32 v30, v26
	v_min_u32_e32 v32, 32, v30
	v_subrev_u32_e32 v30, 28, v32
	v_lshlrev_b64 v[30:31], v30, v[12:13]
	v_lshrrev_b32_e32 v29, 3, v28
	v_sub_u32_e32 v12, 29, v32
	v_and_b32_e32 v30, 7, v30
	v_cmp_gt_u32_e64 s[10:11], 8, v28
	v_cndmask_b32_e64 v12, v29, v12, s[10:11]
	v_cndmask_b32_e64 v26, v26, v30, s[10:11]
	v_lshlrev_b32_e32 v27, 24, v27
	v_lshlrev_b32_e32 v26, 20, v26
	v_and_b32_e32 v27, 0x80000000, v27
	v_lshl_add_u32 v12, v12, 23, v19
	v_or3_b32 v26, v27, v12, v26
.LBB271_32:                             ;   in Loop: Header=BB271_10 Depth=1
	s_or_b64 exec, exec, s[46:47]
.LBB271_33:                             ;   in Loop: Header=BB271_10 Depth=1
	s_or_b64 exec, exec, s[44:45]
.LBB271_34:                             ;   in Loop: Header=BB271_10 Depth=1
	s_or_b64 exec, exec, s[42:43]
	global_load_ubyte v27, v[10:11], off offset:256
	s_waitcnt vmcnt(0)
	v_cmp_ne_u16_e64 s[10:11], 0, v27
	s_and_saveexec_b64 s[42:43], s[10:11]
	s_cbranch_execz .LBB271_40
; %bb.35:                               ;   in Loop: Header=BB271_10 Depth=1
	v_cmp_ne_u16_e64 s[10:11], s52, v27
	v_bfrev_b32_e32 v25, 1
	s_and_saveexec_b64 s[44:45], s[10:11]
	s_cbranch_execz .LBB271_39
; %bb.36:                               ;   in Loop: Header=BB271_10 Depth=1
	s_waitcnt lgkmcnt(0)
	v_and_b32_e32 v12, 0xffff, v27
	v_and_b32_e32 v28, 0x7f, v12
	v_cmp_ne_u32_e64 s[10:11], s53, v28
	v_mov_b32_e32 v25, 0x7f800001
	s_and_saveexec_b64 s[46:47], s[10:11]
	s_cbranch_execz .LBB271_38
; %bb.37:                               ;   in Loop: Header=BB271_10 Depth=1
	v_and_b32_e32 v25, 7, v12
	v_ffbh_u32_e32 v30, v25
	v_min_u32_e32 v32, 32, v30
	v_subrev_u32_e32 v30, 28, v32
	v_lshlrev_b64 v[30:31], v30, v[12:13]
	v_lshrrev_b32_e32 v29, 3, v28
	v_sub_u32_e32 v12, 29, v32
	v_and_b32_e32 v30, 7, v30
	v_cmp_gt_u32_e64 s[10:11], 8, v28
	v_cndmask_b32_e64 v12, v29, v12, s[10:11]
	v_cndmask_b32_e64 v25, v25, v30, s[10:11]
	v_lshlrev_b32_e32 v27, 24, v27
	v_lshlrev_b32_e32 v25, 20, v25
	v_and_b32_e32 v27, 0x80000000, v27
	v_lshl_add_u32 v12, v12, 23, v19
	v_or3_b32 v25, v27, v12, v25
.LBB271_38:                             ;   in Loop: Header=BB271_10 Depth=1
	s_or_b64 exec, exec, s[46:47]
.LBB271_39:                             ;   in Loop: Header=BB271_10 Depth=1
	s_or_b64 exec, exec, s[44:45]
.LBB271_40:                             ;   in Loop: Header=BB271_10 Depth=1
	s_or_b64 exec, exec, s[42:43]
	global_load_ubyte v29, v[10:11], off offset:264
	v_mov_b32_e32 v27, 0
	v_mov_b32_e32 v28, 0
	s_waitcnt vmcnt(0)
	v_cmp_ne_u16_e64 s[10:11], 0, v29
	s_and_saveexec_b64 s[42:43], s[10:11]
	s_cbranch_execz .LBB271_46
; %bb.41:                               ;   in Loop: Header=BB271_10 Depth=1
	v_cmp_ne_u16_e64 s[10:11], s52, v29
	v_bfrev_b32_e32 v28, 1
	s_and_saveexec_b64 s[44:45], s[10:11]
	s_cbranch_execz .LBB271_45
; %bb.42:                               ;   in Loop: Header=BB271_10 Depth=1
	s_waitcnt lgkmcnt(0)
	v_and_b32_e32 v12, 0xffff, v29
	v_and_b32_e32 v30, 0x7f, v12
	v_cmp_ne_u32_e64 s[10:11], s53, v30
	v_mov_b32_e32 v28, 0x7f800001
	s_and_saveexec_b64 s[46:47], s[10:11]
	s_cbranch_execz .LBB271_44
; %bb.43:                               ;   in Loop: Header=BB271_10 Depth=1
	v_and_b32_e32 v28, 7, v12
	v_ffbh_u32_e32 v32, v28
	v_min_u32_e32 v34, 32, v32
	v_subrev_u32_e32 v32, 28, v34
	v_lshlrev_b64 v[32:33], v32, v[12:13]
	v_lshrrev_b32_e32 v31, 3, v30
	v_sub_u32_e32 v12, 29, v34
	v_and_b32_e32 v32, 7, v32
	v_cmp_gt_u32_e64 s[10:11], 8, v30
	v_cndmask_b32_e64 v12, v31, v12, s[10:11]
	v_cndmask_b32_e64 v28, v28, v32, s[10:11]
	v_lshlrev_b32_e32 v29, 24, v29
	v_lshlrev_b32_e32 v28, 20, v28
	v_and_b32_e32 v29, 0x80000000, v29
	v_lshl_add_u32 v12, v12, 23, v19
	v_or3_b32 v28, v29, v12, v28
.LBB271_44:                             ;   in Loop: Header=BB271_10 Depth=1
	s_or_b64 exec, exec, s[46:47]
.LBB271_45:                             ;   in Loop: Header=BB271_10 Depth=1
	s_or_b64 exec, exec, s[44:45]
.LBB271_46:                             ;   in Loop: Header=BB271_10 Depth=1
	s_or_b64 exec, exec, s[42:43]
	global_load_ubyte v29, v[10:11], off offset:384
	s_waitcnt vmcnt(0)
	v_cmp_ne_u16_e64 s[10:11], 0, v29
	s_and_saveexec_b64 s[42:43], s[10:11]
	s_cbranch_execz .LBB271_52
; %bb.47:                               ;   in Loop: Header=BB271_10 Depth=1
	v_cmp_ne_u16_e64 s[10:11], s52, v29
	v_bfrev_b32_e32 v27, 1
	s_and_saveexec_b64 s[44:45], s[10:11]
	s_cbranch_execz .LBB271_51
; %bb.48:                               ;   in Loop: Header=BB271_10 Depth=1
	s_waitcnt lgkmcnt(0)
	v_and_b32_e32 v12, 0xffff, v29
	v_and_b32_e32 v30, 0x7f, v12
	v_cmp_ne_u32_e64 s[10:11], s53, v30
	v_mov_b32_e32 v27, 0x7f800001
	s_and_saveexec_b64 s[46:47], s[10:11]
	s_cbranch_execz .LBB271_50
; %bb.49:                               ;   in Loop: Header=BB271_10 Depth=1
	v_and_b32_e32 v27, 7, v12
	v_ffbh_u32_e32 v32, v27
	v_min_u32_e32 v34, 32, v32
	v_subrev_u32_e32 v32, 28, v34
	v_lshlrev_b64 v[32:33], v32, v[12:13]
	v_lshrrev_b32_e32 v31, 3, v30
	v_sub_u32_e32 v12, 29, v34
	v_and_b32_e32 v32, 7, v32
	v_cmp_gt_u32_e64 s[10:11], 8, v30
	v_cndmask_b32_e64 v12, v31, v12, s[10:11]
	v_cndmask_b32_e64 v27, v27, v32, s[10:11]
	v_lshlrev_b32_e32 v29, 24, v29
	v_lshlrev_b32_e32 v27, 20, v27
	v_and_b32_e32 v29, 0x80000000, v29
	v_lshl_add_u32 v12, v12, 23, v19
	v_or3_b32 v27, v29, v12, v27
.LBB271_50:                             ;   in Loop: Header=BB271_10 Depth=1
	s_or_b64 exec, exec, s[46:47]
.LBB271_51:                             ;   in Loop: Header=BB271_10 Depth=1
	s_or_b64 exec, exec, s[44:45]
.LBB271_52:                             ;   in Loop: Header=BB271_10 Depth=1
	s_or_b64 exec, exec, s[42:43]
	global_load_ubyte v31, v[10:11], off offset:392
	v_mov_b32_e32 v29, 0
	v_mov_b32_e32 v30, 0
	s_waitcnt vmcnt(0)
	v_cmp_ne_u16_e64 s[10:11], 0, v31
	s_and_saveexec_b64 s[42:43], s[10:11]
	s_cbranch_execz .LBB271_58
; %bb.53:                               ;   in Loop: Header=BB271_10 Depth=1
	v_cmp_ne_u16_e64 s[10:11], s52, v31
	v_bfrev_b32_e32 v30, 1
	s_and_saveexec_b64 s[44:45], s[10:11]
	s_cbranch_execz .LBB271_57
; %bb.54:                               ;   in Loop: Header=BB271_10 Depth=1
	s_waitcnt lgkmcnt(0)
	v_and_b32_e32 v12, 0xffff, v31
	v_and_b32_e32 v32, 0x7f, v12
	v_cmp_ne_u32_e64 s[10:11], s53, v32
	v_mov_b32_e32 v30, 0x7f800001
	s_and_saveexec_b64 s[46:47], s[10:11]
	s_cbranch_execz .LBB271_56
; %bb.55:                               ;   in Loop: Header=BB271_10 Depth=1
	v_and_b32_e32 v30, 7, v12
	v_ffbh_u32_e32 v34, v30
	v_min_u32_e32 v36, 32, v34
	v_subrev_u32_e32 v34, 28, v36
	v_lshlrev_b64 v[34:35], v34, v[12:13]
	v_lshrrev_b32_e32 v33, 3, v32
	v_sub_u32_e32 v12, 29, v36
	v_and_b32_e32 v34, 7, v34
	v_cmp_gt_u32_e64 s[10:11], 8, v32
	v_cndmask_b32_e64 v12, v33, v12, s[10:11]
	v_cndmask_b32_e64 v30, v30, v34, s[10:11]
	v_lshlrev_b32_e32 v31, 24, v31
	v_lshlrev_b32_e32 v30, 20, v30
	v_and_b32_e32 v31, 0x80000000, v31
	v_lshl_add_u32 v12, v12, 23, v19
	v_or3_b32 v30, v31, v12, v30
.LBB271_56:                             ;   in Loop: Header=BB271_10 Depth=1
	s_or_b64 exec, exec, s[46:47]
.LBB271_57:                             ;   in Loop: Header=BB271_10 Depth=1
	s_or_b64 exec, exec, s[44:45]
.LBB271_58:                             ;   in Loop: Header=BB271_10 Depth=1
	s_or_b64 exec, exec, s[42:43]
	global_load_ubyte v31, v[10:11], off offset:512
	s_waitcnt vmcnt(0)
	v_cmp_ne_u16_e64 s[10:11], 0, v31
	s_and_saveexec_b64 s[42:43], s[10:11]
	s_cbranch_execz .LBB271_64
; %bb.59:                               ;   in Loop: Header=BB271_10 Depth=1
	v_cmp_ne_u16_e64 s[10:11], s52, v31
	v_bfrev_b32_e32 v29, 1
	s_and_saveexec_b64 s[44:45], s[10:11]
	s_cbranch_execz .LBB271_63
; %bb.60:                               ;   in Loop: Header=BB271_10 Depth=1
	s_waitcnt lgkmcnt(0)
	v_and_b32_e32 v12, 0xffff, v31
	v_and_b32_e32 v32, 0x7f, v12
	v_cmp_ne_u32_e64 s[10:11], s53, v32
	v_mov_b32_e32 v29, 0x7f800001
	s_and_saveexec_b64 s[46:47], s[10:11]
	s_cbranch_execz .LBB271_62
; %bb.61:                               ;   in Loop: Header=BB271_10 Depth=1
	v_and_b32_e32 v29, 7, v12
	v_ffbh_u32_e32 v34, v29
	v_min_u32_e32 v36, 32, v34
	v_subrev_u32_e32 v34, 28, v36
	v_lshlrev_b64 v[34:35], v34, v[12:13]
	v_lshrrev_b32_e32 v33, 3, v32
	v_sub_u32_e32 v12, 29, v36
	v_and_b32_e32 v34, 7, v34
	v_cmp_gt_u32_e64 s[10:11], 8, v32
	v_cndmask_b32_e64 v12, v33, v12, s[10:11]
	v_cndmask_b32_e64 v29, v29, v34, s[10:11]
	v_lshlrev_b32_e32 v31, 24, v31
	v_lshlrev_b32_e32 v29, 20, v29
	v_and_b32_e32 v31, 0x80000000, v31
	v_lshl_add_u32 v12, v12, 23, v19
	v_or3_b32 v29, v31, v12, v29
.LBB271_62:                             ;   in Loop: Header=BB271_10 Depth=1
	s_or_b64 exec, exec, s[46:47]
.LBB271_63:                             ;   in Loop: Header=BB271_10 Depth=1
	s_or_b64 exec, exec, s[44:45]
.LBB271_64:                             ;   in Loop: Header=BB271_10 Depth=1
	s_or_b64 exec, exec, s[42:43]
	global_load_ubyte v33, v[10:11], off offset:520
	v_mov_b32_e32 v31, 0
	v_mov_b32_e32 v32, 0
	s_waitcnt vmcnt(0)
	v_cmp_ne_u16_e64 s[10:11], 0, v33
	s_and_saveexec_b64 s[42:43], s[10:11]
	s_cbranch_execz .LBB271_70
; %bb.65:                               ;   in Loop: Header=BB271_10 Depth=1
	v_cmp_ne_u16_e64 s[10:11], s52, v33
	v_bfrev_b32_e32 v32, 1
	s_and_saveexec_b64 s[44:45], s[10:11]
	s_cbranch_execz .LBB271_69
; %bb.66:                               ;   in Loop: Header=BB271_10 Depth=1
	s_waitcnt lgkmcnt(0)
	v_and_b32_e32 v12, 0xffff, v33
	v_and_b32_e32 v34, 0x7f, v12
	v_cmp_ne_u32_e64 s[10:11], s53, v34
	v_mov_b32_e32 v32, 0x7f800001
	s_and_saveexec_b64 s[46:47], s[10:11]
	s_cbranch_execz .LBB271_68
; %bb.67:                               ;   in Loop: Header=BB271_10 Depth=1
	v_and_b32_e32 v32, 7, v12
	v_ffbh_u32_e32 v36, v32
	v_min_u32_e32 v38, 32, v36
	v_subrev_u32_e32 v36, 28, v38
	v_lshlrev_b64 v[36:37], v36, v[12:13]
	v_lshrrev_b32_e32 v35, 3, v34
	v_sub_u32_e32 v12, 29, v38
	v_and_b32_e32 v36, 7, v36
	v_cmp_gt_u32_e64 s[10:11], 8, v34
	v_cndmask_b32_e64 v12, v35, v12, s[10:11]
	v_cndmask_b32_e64 v32, v32, v36, s[10:11]
	v_lshlrev_b32_e32 v33, 24, v33
	v_lshlrev_b32_e32 v32, 20, v32
	v_and_b32_e32 v33, 0x80000000, v33
	v_lshl_add_u32 v12, v12, 23, v19
	v_or3_b32 v32, v33, v12, v32
.LBB271_68:                             ;   in Loop: Header=BB271_10 Depth=1
	s_or_b64 exec, exec, s[46:47]
.LBB271_69:                             ;   in Loop: Header=BB271_10 Depth=1
	s_or_b64 exec, exec, s[44:45]
.LBB271_70:                             ;   in Loop: Header=BB271_10 Depth=1
	s_or_b64 exec, exec, s[42:43]
	global_load_ubyte v33, v[10:11], off offset:640
	s_waitcnt vmcnt(0)
	v_cmp_ne_u16_e64 s[10:11], 0, v33
	s_and_saveexec_b64 s[42:43], s[10:11]
	s_cbranch_execz .LBB271_76
; %bb.71:                               ;   in Loop: Header=BB271_10 Depth=1
	v_cmp_ne_u16_e64 s[10:11], s52, v33
	v_bfrev_b32_e32 v31, 1
	s_and_saveexec_b64 s[44:45], s[10:11]
	s_cbranch_execz .LBB271_75
; %bb.72:                               ;   in Loop: Header=BB271_10 Depth=1
	s_waitcnt lgkmcnt(0)
	v_and_b32_e32 v12, 0xffff, v33
	v_and_b32_e32 v34, 0x7f, v12
	v_cmp_ne_u32_e64 s[10:11], s53, v34
	v_mov_b32_e32 v31, 0x7f800001
	s_and_saveexec_b64 s[46:47], s[10:11]
	s_cbranch_execz .LBB271_74
; %bb.73:                               ;   in Loop: Header=BB271_10 Depth=1
	v_and_b32_e32 v31, 7, v12
	v_ffbh_u32_e32 v36, v31
	v_min_u32_e32 v38, 32, v36
	v_subrev_u32_e32 v36, 28, v38
	v_lshlrev_b64 v[36:37], v36, v[12:13]
	v_lshrrev_b32_e32 v35, 3, v34
	v_sub_u32_e32 v12, 29, v38
	v_and_b32_e32 v36, 7, v36
	v_cmp_gt_u32_e64 s[10:11], 8, v34
	v_cndmask_b32_e64 v12, v35, v12, s[10:11]
	v_cndmask_b32_e64 v31, v31, v36, s[10:11]
	v_lshlrev_b32_e32 v33, 24, v33
	v_lshlrev_b32_e32 v31, 20, v31
	v_and_b32_e32 v33, 0x80000000, v33
	v_lshl_add_u32 v12, v12, 23, v19
	v_or3_b32 v31, v33, v12, v31
.LBB271_74:                             ;   in Loop: Header=BB271_10 Depth=1
	s_or_b64 exec, exec, s[46:47]
.LBB271_75:                             ;   in Loop: Header=BB271_10 Depth=1
	s_or_b64 exec, exec, s[44:45]
.LBB271_76:                             ;   in Loop: Header=BB271_10 Depth=1
	s_or_b64 exec, exec, s[42:43]
	global_load_ubyte v35, v[10:11], off offset:648
	v_mov_b32_e32 v34, 0
	v_mov_b32_e32 v33, 0
	s_waitcnt vmcnt(0)
	v_cmp_ne_u16_e64 s[10:11], 0, v35
	s_and_saveexec_b64 s[42:43], s[10:11]
	s_cbranch_execz .LBB271_82
; %bb.77:                               ;   in Loop: Header=BB271_10 Depth=1
	v_cmp_ne_u16_e64 s[10:11], s52, v35
	v_bfrev_b32_e32 v33, 1
	s_and_saveexec_b64 s[44:45], s[10:11]
	s_cbranch_execz .LBB271_81
; %bb.78:                               ;   in Loop: Header=BB271_10 Depth=1
	s_waitcnt lgkmcnt(0)
	v_and_b32_e32 v12, 0xffff, v35
	v_and_b32_e32 v36, 0x7f, v12
	v_cmp_ne_u32_e64 s[10:11], s53, v36
	v_mov_b32_e32 v33, 0x7f800001
	s_and_saveexec_b64 s[46:47], s[10:11]
	s_cbranch_execz .LBB271_80
; %bb.79:                               ;   in Loop: Header=BB271_10 Depth=1
	v_and_b32_e32 v33, 7, v12
	v_ffbh_u32_e32 v38, v33
	v_min_u32_e32 v40, 32, v38
	v_subrev_u32_e32 v38, 28, v40
	v_lshlrev_b64 v[38:39], v38, v[12:13]
	v_lshrrev_b32_e32 v37, 3, v36
	v_sub_u32_e32 v12, 29, v40
	v_and_b32_e32 v38, 7, v38
	v_cmp_gt_u32_e64 s[10:11], 8, v36
	v_cndmask_b32_e64 v12, v37, v12, s[10:11]
	v_cndmask_b32_e64 v33, v33, v38, s[10:11]
	v_lshlrev_b32_e32 v35, 24, v35
	v_lshlrev_b32_e32 v33, 20, v33
	v_and_b32_e32 v35, 0x80000000, v35
	v_lshl_add_u32 v12, v12, 23, v19
	v_or3_b32 v33, v35, v12, v33
.LBB271_80:                             ;   in Loop: Header=BB271_10 Depth=1
	s_or_b64 exec, exec, s[46:47]
.LBB271_81:                             ;   in Loop: Header=BB271_10 Depth=1
	s_or_b64 exec, exec, s[44:45]
.LBB271_82:                             ;   in Loop: Header=BB271_10 Depth=1
	s_or_b64 exec, exec, s[42:43]
	global_load_ubyte v35, v[10:11], off offset:768
	s_waitcnt vmcnt(0)
	v_cmp_ne_u16_e64 s[10:11], 0, v35
	s_and_saveexec_b64 s[42:43], s[10:11]
	s_cbranch_execz .LBB271_88
; %bb.83:                               ;   in Loop: Header=BB271_10 Depth=1
	v_cmp_ne_u16_e64 s[10:11], s52, v35
	v_bfrev_b32_e32 v34, 1
	s_and_saveexec_b64 s[44:45], s[10:11]
	s_cbranch_execz .LBB271_87
; %bb.84:                               ;   in Loop: Header=BB271_10 Depth=1
	s_waitcnt lgkmcnt(0)
	v_and_b32_e32 v12, 0xffff, v35
	v_and_b32_e32 v36, 0x7f, v12
	v_cmp_ne_u32_e64 s[10:11], s53, v36
	v_mov_b32_e32 v34, 0x7f800001
	s_and_saveexec_b64 s[46:47], s[10:11]
	s_cbranch_execz .LBB271_86
; %bb.85:                               ;   in Loop: Header=BB271_10 Depth=1
	v_and_b32_e32 v34, 7, v12
	v_ffbh_u32_e32 v38, v34
	v_min_u32_e32 v40, 32, v38
	v_subrev_u32_e32 v38, 28, v40
	v_lshlrev_b64 v[38:39], v38, v[12:13]
	v_lshrrev_b32_e32 v37, 3, v36
	v_sub_u32_e32 v12, 29, v40
	v_and_b32_e32 v38, 7, v38
	v_cmp_gt_u32_e64 s[10:11], 8, v36
	v_cndmask_b32_e64 v12, v37, v12, s[10:11]
	v_cndmask_b32_e64 v34, v34, v38, s[10:11]
	v_lshlrev_b32_e32 v35, 24, v35
	v_lshlrev_b32_e32 v34, 20, v34
	v_and_b32_e32 v35, 0x80000000, v35
	v_lshl_add_u32 v12, v12, 23, v19
	v_or3_b32 v34, v35, v12, v34
.LBB271_86:                             ;   in Loop: Header=BB271_10 Depth=1
	s_or_b64 exec, exec, s[46:47]
.LBB271_87:                             ;   in Loop: Header=BB271_10 Depth=1
	s_or_b64 exec, exec, s[44:45]
.LBB271_88:                             ;   in Loop: Header=BB271_10 Depth=1
	s_or_b64 exec, exec, s[42:43]
	global_load_ubyte v37, v[10:11], off offset:776
	v_mov_b32_e32 v35, 0
	v_mov_b32_e32 v36, 0
	s_waitcnt vmcnt(0)
	v_cmp_ne_u16_e64 s[10:11], 0, v37
	s_and_saveexec_b64 s[42:43], s[10:11]
	s_cbranch_execz .LBB271_94
; %bb.89:                               ;   in Loop: Header=BB271_10 Depth=1
	v_cmp_ne_u16_e64 s[10:11], s52, v37
	v_bfrev_b32_e32 v36, 1
	s_and_saveexec_b64 s[44:45], s[10:11]
	s_cbranch_execz .LBB271_93
; %bb.90:                               ;   in Loop: Header=BB271_10 Depth=1
	s_waitcnt lgkmcnt(0)
	v_and_b32_e32 v12, 0xffff, v37
	v_and_b32_e32 v38, 0x7f, v12
	v_cmp_ne_u32_e64 s[10:11], s53, v38
	v_mov_b32_e32 v36, 0x7f800001
	s_and_saveexec_b64 s[46:47], s[10:11]
	s_cbranch_execz .LBB271_92
; %bb.91:                               ;   in Loop: Header=BB271_10 Depth=1
	v_and_b32_e32 v36, 7, v12
	v_ffbh_u32_e32 v40, v36
	v_min_u32_e32 v42, 32, v40
	v_subrev_u32_e32 v40, 28, v42
	v_lshlrev_b64 v[40:41], v40, v[12:13]
	v_lshrrev_b32_e32 v39, 3, v38
	v_sub_u32_e32 v12, 29, v42
	v_and_b32_e32 v40, 7, v40
	v_cmp_gt_u32_e64 s[10:11], 8, v38
	v_cndmask_b32_e64 v12, v39, v12, s[10:11]
	v_cndmask_b32_e64 v36, v36, v40, s[10:11]
	v_lshlrev_b32_e32 v37, 24, v37
	v_lshlrev_b32_e32 v36, 20, v36
	v_and_b32_e32 v37, 0x80000000, v37
	v_lshl_add_u32 v12, v12, 23, v19
	v_or3_b32 v36, v37, v12, v36
.LBB271_92:                             ;   in Loop: Header=BB271_10 Depth=1
	s_or_b64 exec, exec, s[46:47]
.LBB271_93:                             ;   in Loop: Header=BB271_10 Depth=1
	s_or_b64 exec, exec, s[44:45]
.LBB271_94:                             ;   in Loop: Header=BB271_10 Depth=1
	s_or_b64 exec, exec, s[42:43]
	global_load_ubyte v11, v[10:11], off offset:896
	s_waitcnt vmcnt(0)
	v_cmp_ne_u16_e64 s[10:11], 0, v11
	s_and_saveexec_b64 s[42:43], s[10:11]
	s_cbranch_execz .LBB271_100
; %bb.95:                               ;   in Loop: Header=BB271_10 Depth=1
	v_cmp_ne_u16_e64 s[10:11], s52, v11
	v_bfrev_b32_e32 v35, 1
	s_and_saveexec_b64 s[44:45], s[10:11]
	s_cbranch_execz .LBB271_99
; %bb.96:                               ;   in Loop: Header=BB271_10 Depth=1
	v_and_b32_e32 v10, 0xffff, v11
	s_waitcnt lgkmcnt(0)
	v_and_b32_e32 v12, 0x7f, v10
	v_cmp_ne_u32_e64 s[10:11], s53, v12
	v_mov_b32_e32 v35, 0x7f800001
	s_and_saveexec_b64 s[46:47], s[10:11]
	s_cbranch_execz .LBB271_98
; %bb.97:                               ;   in Loop: Header=BB271_10 Depth=1
	v_and_b32_e32 v35, 7, v10
	v_ffbh_u32_e32 v38, v35
	v_min_u32_e32 v40, 32, v38
	v_subrev_u32_e32 v38, 28, v40
	v_lshlrev_b64 v[38:39], v38, v[10:11]
	v_lshrrev_b32_e32 v37, 3, v12
	v_sub_u32_e32 v10, 29, v40
	v_and_b32_e32 v38, 7, v38
	v_cmp_gt_u32_e64 s[10:11], 8, v12
	v_cndmask_b32_e64 v10, v37, v10, s[10:11]
	v_cndmask_b32_e64 v12, v35, v38, s[10:11]
	v_lshlrev_b32_e32 v11, 24, v11
	v_lshlrev_b32_e32 v12, 20, v12
	v_and_b32_e32 v11, 0x80000000, v11
	v_lshl_add_u32 v10, v10, 23, v19
	v_or3_b32 v35, v11, v10, v12
.LBB271_98:                             ;   in Loop: Header=BB271_10 Depth=1
	s_or_b64 exec, exec, s[46:47]
.LBB271_99:                             ;   in Loop: Header=BB271_10 Depth=1
	s_or_b64 exec, exec, s[44:45]
.LBB271_100:                            ;   in Loop: Header=BB271_10 Depth=1
	s_or_b64 exec, exec, s[42:43]
	v_fma_mixlo_f16 v11, v21, v22, 0
	ds_read_u16 v10, v16
	v_and_b32_e32 v11, 0xffff, v11
	s_waitcnt lgkmcnt(0)
	;;#ASMSTART
	v_cvt_f32_f16 v10, v10;
	;;#ASMEND
	;;#ASMSTART
	v_cvt_f32_f16 v11, v11;
	;;#ASMEND
	ds_read_u16 v12, v16 offset:2
	v_fma_mixlo_f16 v22, v21, v24, 0
	v_and_b32_e32 v22, 0xffff, v22
	s_waitcnt lgkmcnt(0)
	;;#ASMSTART
	v_cvt_f32_f16 v12, v12;
	;;#ASMEND
	;;#ASMSTART
	v_cvt_f32_f16 v22, v22;
	;;#ASMEND
	v_fma_mixlo_f16 v23, v21, v23, 0
	v_mul_f32_e32 v12, v12, v22
	ds_read_u16 v24, v16 offset:4
	v_and_b32_e32 v23, 0xffff, v23
	v_fma_mixlo_f16 v26, v21, v26, 0
	v_fmac_f32_e32 v12, v10, v11
	s_waitcnt lgkmcnt(0)
	;;#ASMSTART
	v_cvt_f32_f16 v24, v24;
	;;#ASMEND
	;;#ASMSTART
	v_cvt_f32_f16 v23, v23;
	;;#ASMEND
	ds_read_u16 v37, v16 offset:6
	v_and_b32_e32 v26, 0xffff, v26
	v_fma_mixlo_f16 v25, v21, v25, 0
	v_fmac_f32_e32 v12, v24, v23
	s_waitcnt lgkmcnt(0)
	;;#ASMSTART
	v_cvt_f32_f16 v37, v37;
	;;#ASMEND
	;;#ASMSTART
	v_cvt_f32_f16 v26, v26;
	;;#ASMEND
	;; [unrolled: 11-line block ×8, first 2 shown]
	ds_read_u16 v44, v16 offset:20
	v_and_b32_e32 v31, 0xffff, v31
	v_fma_mixlo_f16 v33, v21, v33, 0
	v_fmac_f32_e32 v12, v43, v32
	v_fma_mixlo_f16 v34, v21, v34, 0
	s_waitcnt lgkmcnt(0)
	;;#ASMSTART
	v_cvt_f32_f16 v44, v44;
	;;#ASMEND
	;;#ASMSTART
	v_cvt_f32_f16 v31, v31;
	;;#ASMEND
	v_and_b32_e32 v11, 0xffff, v33
	v_fmac_f32_e32 v12, v44, v31
	v_fma_mixlo_f16 v36, v21, v36, 0
	ds_read_u16 v45, v16 offset:22
	s_waitcnt lgkmcnt(0)
	;;#ASMSTART
	v_cvt_f32_f16 v10, v45;
	;;#ASMEND
	;;#ASMSTART
	v_cvt_f32_f16 v11, v11;
	;;#ASMEND
	ds_read_u16 v22, v16 offset:24
	v_and_b32_e32 v23, 0xffff, v34
	v_fmac_f32_e32 v12, v10, v11
	v_fma_mixlo_f16 v21, v21, v35, 0
	s_waitcnt lgkmcnt(0)
	;;#ASMSTART
	v_cvt_f32_f16 v22, v22;
	;;#ASMEND
	;;#ASMSTART
	v_cvt_f32_f16 v23, v23;
	;;#ASMEND
	ds_read_u16 v24, v16 offset:26
	v_and_b32_e32 v25, 0xffff, v36
	v_fmac_f32_e32 v12, v22, v23
	s_waitcnt lgkmcnt(0)
	;;#ASMSTART
	v_cvt_f32_f16 v24, v24;
	;;#ASMEND
	;;#ASMSTART
	v_cvt_f32_f16 v25, v25;
	;;#ASMEND
	ds_read_u16 v26, v16 offset:28
	v_fmac_f32_e32 v12, v24, v25
	s_waitcnt lgkmcnt(0)
	;;#ASMSTART
	v_cvt_f32_f16 v10, v26;
	;;#ASMEND
	v_and_b32_e32 v11, 0xffff, v21
	;;#ASMSTART
	v_cvt_f32_f16 v11, v11;
	;;#ASMEND
	v_fmac_f32_e32 v12, v10, v11
	v_and_b32_e32 v10, 64, v5
	v_add_u32_e32 v10, 64, v10
	v_xor_b32_e32 v11, 4, v5
	v_cmp_lt_i32_e64 s[10:11], v11, v10
	v_cndmask_b32_e64 v11, v5, v11, s[10:11]
	v_lshlrev_b32_e32 v11, 2, v11
	ds_bpermute_b32 v11, v11, v12
	s_waitcnt lgkmcnt(0)
	v_add_f32_e32 v11, v12, v11
	v_xor_b32_e32 v12, 2, v5
	v_cmp_lt_i32_e64 s[10:11], v12, v10
	v_cndmask_b32_e64 v12, v5, v12, s[10:11]
	v_lshlrev_b32_e32 v12, 2, v12
	ds_bpermute_b32 v12, v12, v11
	s_waitcnt lgkmcnt(0)
	v_add_f32_e32 v11, v11, v12
	v_xor_b32_e32 v12, 1, v5
	v_cmp_lt_i32_e64 s[10:11], v12, v10
	v_cndmask_b32_e64 v12, v5, v12, s[10:11]
	v_lshlrev_b32_e32 v12, 2, v12
	ds_bpermute_b32 v12, v12, v11
	s_and_saveexec_b64 s[42:43], vcc
	s_cbranch_execz .LBB271_9
; %bb.101:                              ;   in Loop: Header=BB271_10 Depth=1
	v_add_u32_e32 v21, s51, v17
	v_cvt_f32_i32_e32 v21, v21
	s_waitcnt lgkmcnt(0)
	v_add_f32_e32 v11, v11, v12
	v_cmp_gt_i32_e64 s[10:11], s33, v17
	v_max_f32_e32 v12, v14, v14
	v_mul_f32_e32 v21, s38, v21
	v_cndmask_b32_e64 v21, 0, v21, s[4:5]
	v_fmac_f32_e32 v21, s39, v11
	v_cndmask_b32_e64 v11, 0, v21, s[10:11]
	ds_write_b32 v18, v11
	v_max_f32_e32 v11, v12, v21
	v_cndmask_b32_e64 v14, v14, v11, s[10:11]
	s_branch .LBB271_9
.LBB271_102:
	s_or_b64 exec, exec, s[18:19]
.LBB271_103:
	s_or_b64 exec, exec, s[40:41]
	v_xor_b32_e32 v4, 32, v5
	v_cmp_lt_i32_e32 vcc, v4, v10
	v_cndmask_b32_e32 v4, v5, v4, vcc
	v_lshlrev_b32_e32 v7, 2, v4
	ds_bpermute_b32 v4, v7, v14
	v_xor_b32_e32 v8, 16, v5
	v_max_f32_e32 v6, v14, v14
	v_cmp_lt_i32_e32 vcc, v8, v10
	v_and_b32_e32 v9, 63, v0
	s_waitcnt lgkmcnt(0)
	v_max_f32_e32 v4, v4, v4
	v_max_f32_e32 v4, v6, v4
	v_cndmask_b32_e32 v6, v5, v8, vcc
	v_lshlrev_b32_e32 v11, 2, v6
	ds_bpermute_b32 v6, v11, v4
	v_xor_b32_e32 v8, 8, v5
	v_cmp_lt_i32_e32 vcc, v8, v10
	s_waitcnt lgkmcnt(0)
	v_max_f32_e32 v6, v6, v6
	v_max_f32_e32 v6, v4, v6
	v_cndmask_b32_e32 v4, v5, v8, vcc
	v_lshlrev_b32_e32 v12, 2, v4
	ds_bpermute_b32 v8, v12, v6
	v_cmp_eq_u32_e32 vcc, 0, v9
	v_lshlrev_b32_e32 v4, 2, v13
	s_and_saveexec_b64 s[4:5], vcc
	s_cbranch_execz .LBB271_105
; %bb.104:
	s_waitcnt lgkmcnt(0)
	v_max_f32_e32 v8, v8, v8
	v_max_f32_e32 v6, v6, v6
	;; [unrolled: 1-line block ×3, first 2 shown]
	ds_write_b32 v4, v6 offset:240
.LBB271_105:
	s_or_b64 exec, exec, s[4:5]
	v_cmp_gt_u32_e64 s[4:5], 2, v9
	v_mov_b32_e32 v6, 0xff7fffff
	s_waitcnt lgkmcnt(0)
	v_lshlrev_b32_e32 v8, 2, v9
	s_barrier
	s_and_saveexec_b64 s[10:11], s[4:5]
	s_cbranch_execz .LBB271_107
; %bb.106:
	ds_read_b32 v6, v8 offset:240
.LBB271_107:
	s_or_b64 exec, exec, s[10:11]
	v_xor_b32_e32 v14, 1, v5
	v_cmp_lt_i32_e64 s[10:11], v14, v10
	v_cndmask_b32_e64 v14, v5, v14, s[10:11]
	v_lshlrev_b32_e32 v14, 2, v14
	s_waitcnt lgkmcnt(0)
	ds_bpermute_b32 v15, v14, v6
	v_max_f32_e32 v6, v6, v6
	s_sub_i32 s7, s48, s7
	s_lshl_b32 s7, s7, 3
	s_add_i32 s7, s7, s29
	s_waitcnt lgkmcnt(0)
	v_max_f32_e32 v15, v15, v15
	v_max_f32_e32 v6, v6, v15
	v_lshlrev_b32_e32 v15, 2, v5
	v_and_b32_e32 v15, 0xffffff00, v15
	ds_bpermute_b32 v6, v15, v6
	s_min_i32 s40, s7, s33
	s_sub_i32 s7, s40, s29
	v_cmp_gt_i32_e64 s[10:11], s7, v0
	v_mov_b32_e32 v16, 0
	s_and_saveexec_b64 s[18:19], s[10:11]
	s_cbranch_execz .LBB271_111
; %bb.108:
	v_mov_b32_e32 v16, 0x100
	v_lshl_add_u32 v17, v0, 2, v16
	s_mov_b64 s[38:39], 0
	v_mov_b32_e32 v16, 0
	v_mov_b32_e32 v18, v0
.LBB271_109:                            ; =>This Inner Loop Header: Depth=1
	ds_read_b32 v19, v17
	v_add_u32_e32 v18, 0x80, v18
	v_cmp_le_i32_e64 s[12:13], s7, v18
	s_or_b64 s[38:39], s[12:13], s[38:39]
	s_waitcnt lgkmcnt(0)
	v_sub_f32_e32 v19, v19, v6
	v_mul_f32_e32 v19, 0x3fb8aa3b, v19
	v_exp_f32_e32 v19, v19
	ds_write_b32 v17, v19
	v_add_f32_e32 v16, v16, v19
	v_add_u32_e32 v17, 0x200, v17
	s_andn2_b64 exec, exec, s[38:39]
	s_cbranch_execnz .LBB271_109
; %bb.110:
	s_or_b64 exec, exec, s[38:39]
.LBB271_111:
	s_or_b64 exec, exec, s[18:19]
	ds_bpermute_b32 v7, v7, v16
	s_waitcnt lgkmcnt(0)
	v_add_f32_e32 v7, v16, v7
	ds_bpermute_b32 v11, v11, v7
	s_waitcnt lgkmcnt(0)
	v_add_f32_e32 v7, v7, v11
	ds_bpermute_b32 v11, v12, v7
	v_xor_b32_e32 v12, 4, v5
	v_cmp_lt_i32_e64 s[12:13], v12, v10
	v_cndmask_b32_e64 v12, v5, v12, s[12:13]
	v_lshlrev_b32_e32 v12, 2, v12
	s_waitcnt lgkmcnt(0)
	v_add_f32_e32 v7, v7, v11
	ds_bpermute_b32 v11, v12, v7
	v_xor_b32_e32 v12, 2, v5
	v_cmp_lt_i32_e64 s[12:13], v12, v10
	v_cndmask_b32_e64 v5, v5, v12, s[12:13]
	v_lshlrev_b32_e32 v5, 2, v5
	s_waitcnt lgkmcnt(0)
	v_add_f32_e32 v7, v7, v11
	ds_bpermute_b32 v5, v5, v7
	s_waitcnt lgkmcnt(0)
	v_add_f32_e32 v5, v7, v5
	ds_bpermute_b32 v7, v14, v5
	s_waitcnt lgkmcnt(0)
	v_add_f32_e32 v5, v5, v7
	s_and_saveexec_b64 s[12:13], vcc
	s_cbranch_execz .LBB271_113
; %bb.112:
	ds_write_b32 v4, v5 offset:248
.LBB271_113:
	s_or_b64 exec, exec, s[12:13]
	s_waitcnt lgkmcnt(0)
	s_barrier
	s_and_saveexec_b64 s[12:13], s[4:5]
	s_cbranch_execz .LBB271_115
; %bb.114:
	ds_read_b32 v5, v8 offset:248
.LBB271_115:
	s_or_b64 exec, exec, s[12:13]
	s_waitcnt lgkmcnt(0)
	ds_bpermute_b32 v4, v14, v5
	s_waitcnt lgkmcnt(0)
	v_add_f32_e32 v4, v5, v4
	ds_bpermute_b32 v7, v15, v4
	s_and_saveexec_b64 s[4:5], s[10:11]
	s_cbranch_execz .LBB271_128
; %bb.116:
	s_waitcnt lgkmcnt(0)
	v_add_f32_e32 v4, 0x358637bd, v7
	v_div_scale_f32 v5, s[10:11], v4, v4, 1.0
	v_rcp_f32_e32 v8, v5
	v_div_scale_f32 v10, vcc, 1.0, v4, 1.0
	s_movk_i32 s10, 0x7f
	v_fma_f32 v11, -v5, v8, 1.0
	v_fmac_f32_e32 v8, v11, v8
	v_mul_f32_e32 v11, v10, v8
	v_fma_f32 v12, -v5, v11, v10
	v_fmac_f32_e32 v11, v12, v8
	v_fma_f32 v5, -v5, v11, v10
	v_div_fmas_f32 v5, v5, v8, v11
	v_div_fixup_f32 v4, v5, v4, 1.0
	v_xad_u32 v5, v0, -1, s40
	v_subrev_u32_e32 v8, s29, v5
	v_cmp_lt_u32_e32 vcc, s10, v8
	s_mov_b64 s[12:13], -1
	v_mov_b32_e32 v5, v0
	s_and_saveexec_b64 s[10:11], vcc
	s_cbranch_execz .LBB271_125
; %bb.117:
	v_lshrrev_b32_e32 v8, 7, v8
	v_add_u32_e32 v11, -1, v8
	v_lshrrev_b32_e32 v10, 1, v11
	v_mov_b32_e32 v5, v4
	v_add_u32_e32 v10, 1, v10
	v_cmp_lt_u32_e32 vcc, 13, v11
	v_mov_b32_e32 v14, 0
	s_and_saveexec_b64 s[12:13], vcc
	s_cbranch_execz .LBB271_121
; %bb.118:
	v_mov_b32_e32 v12, 0x100
	v_and_b32_e32 v11, -8, v10
	v_lshl_add_u32 v12, v0, 2, v12
	s_mov_b32 s38, 0
	s_mov_b64 s[18:19], 0
.LBB271_119:                            ; =>This Inner Loop Header: Depth=1
	ds_read2st64_b32 v[14:15], v12 offset1:2
	ds_read2st64_b32 v[16:17], v12 offset0:4 offset1:6
	ds_read2st64_b32 v[18:19], v12 offset0:8 offset1:10
	;; [unrolled: 1-line block ×3, first 2 shown]
	v_add_u32_e32 v11, -8, v11
	s_waitcnt lgkmcnt(3)
	v_pk_mul_f32 v[14:15], v[4:5], v[14:15]
	s_waitcnt lgkmcnt(2)
	v_pk_mul_f32 v[16:17], v[4:5], v[16:17]
	ds_write2st64_b32 v12, v14, v15 offset1:2
	ds_write2st64_b32 v12, v16, v17 offset0:4 offset1:6
	ds_read2st64_b32 v[16:17], v12 offset0:16 offset1:18
	s_waitcnt lgkmcnt(4)
	v_pk_mul_f32 v[14:15], v[4:5], v[18:19]
	ds_write2st64_b32 v12, v14, v15 offset0:8 offset1:10
	s_waitcnt lgkmcnt(4)
	v_pk_mul_f32 v[14:15], v[4:5], v[20:21]
	ds_write2st64_b32 v12, v14, v15 offset0:12 offset1:14
	ds_read2st64_b32 v[14:15], v12 offset0:20 offset1:22
	s_waitcnt lgkmcnt(3)
	v_pk_mul_f32 v[16:17], v[4:5], v[16:17]
	ds_read2st64_b32 v[18:19], v12 offset0:24 offset1:26
	ds_write2st64_b32 v12, v16, v17 offset0:16 offset1:18
	ds_read2st64_b32 v[16:17], v12 offset0:28 offset1:30
	s_waitcnt lgkmcnt(3)
	v_pk_mul_f32 v[14:15], v[4:5], v[14:15]
	ds_write2st64_b32 v12, v14, v15 offset0:20 offset1:22
	s_waitcnt lgkmcnt(3)
	v_pk_mul_f32 v[14:15], v[4:5], v[18:19]
	ds_write2st64_b32 v12, v14, v15 offset0:24 offset1:26
	s_waitcnt lgkmcnt(2)
	v_pk_mul_f32 v[14:15], v[4:5], v[16:17]
	s_add_i32 s38, s38, 16
	v_cmp_eq_u32_e32 vcc, 0, v11
	ds_write2st64_b32 v12, v14, v15 offset0:28 offset1:30
	v_add_u32_e32 v12, 0x2000, v12
	s_or_b64 s[18:19], vcc, s[18:19]
	v_mov_b32_e32 v14, s38
	s_andn2_b64 exec, exec, s[18:19]
	s_cbranch_execnz .LBB271_119
; %bb.120:
	s_or_b64 exec, exec, s[18:19]
.LBB271_121:
	s_or_b64 exec, exec, s[12:13]
	v_and_b32_e32 v10, 7, v10
	v_cmp_ne_u32_e32 vcc, 0, v10
	s_and_saveexec_b64 s[12:13], vcc
	s_cbranch_execz .LBB271_124
; %bb.122:
	v_lshlrev_b32_e32 v11, 9, v14
	v_lshlrev_b32_e32 v12, 2, v0
	s_movk_i32 s18, 0x100
	v_add3_u32 v11, v11, v12, s18
	s_mov_b64 s[18:19], 0
.LBB271_123:                            ; =>This Inner Loop Header: Depth=1
	ds_read2st64_b32 v[14:15], v11 offset1:2
	v_add_u32_e32 v10, -1, v10
	v_cmp_eq_u32_e32 vcc, 0, v10
	s_or_b64 s[18:19], vcc, s[18:19]
	s_waitcnt lgkmcnt(0)
	v_pk_mul_f32 v[14:15], v[4:5], v[14:15]
	ds_write2st64_b32 v11, v14, v15 offset1:2
	v_add_u32_e32 v11, 0x400, v11
	s_andn2_b64 exec, exec, s[18:19]
	s_cbranch_execnz .LBB271_123
.LBB271_124:
	s_or_b64 exec, exec, s[12:13]
	v_add_u32_e32 v8, 1, v8
	v_and_b32_e32 v10, 0x3fffffe, v8
	v_cmp_ne_u32_e32 vcc, v8, v10
	v_lshl_add_u32 v5, v10, 7, v0
	s_orn2_b64 s[12:13], vcc, exec
.LBB271_125:
	s_or_b64 exec, exec, s[10:11]
	s_and_b64 exec, exec, s[12:13]
	s_cbranch_execz .LBB271_128
; %bb.126:
	v_mov_b32_e32 v8, 0x100
	v_lshl_add_u32 v8, v5, 2, v8
	s_mov_b64 s[10:11], 0
.LBB271_127:                            ; =>This Inner Loop Header: Depth=1
	ds_read_b32 v10, v8
	v_add_u32_e32 v5, 0x80, v5
	v_cmp_le_i32_e32 vcc, s7, v5
	s_or_b64 s[10:11], vcc, s[10:11]
	s_waitcnt lgkmcnt(0)
	v_mul_f32_e32 v10, v4, v10
	ds_write_b32 v8, v10
	v_add_u32_e32 v8, 0x200, v8
	s_andn2_b64 exec, exec, s[10:11]
	s_cbranch_execnz .LBB271_127
.LBB271_128:
	s_or_b64 exec, exec, s[4:5]
	s_mul_i32 s4, s25, s28
	v_cmp_eq_u32_e32 vcc, 0, v0
	s_mul_i32 s10, s4, s9
	s_waitcnt lgkmcnt(0)
	s_barrier
	s_and_saveexec_b64 s[4:5], vcc
	s_cbranch_execz .LBB271_130
; %bb.129:
	s_ashr_i32 s11, s10, 31
	s_lshl_b64 s[12:13], s[10:11], 2
	s_add_u32 s9, s22, s12
	s_mul_i32 s6, s25, s6
	s_addc_u32 s11, s23, s13
	s_ashr_i32 s7, s6, 31
	s_lshl_b64 s[6:7], s[6:7], 2
	s_add_u32 s22, s9, s6
	s_addc_u32 s11, s11, s7
	s_ashr_i32 s9, s8, 31
	s_lshl_b64 s[18:19], s[8:9], 2
	s_add_u32 s22, s22, s18
	s_addc_u32 s23, s11, s19
	s_add_u32 s9, s20, s12
	s_addc_u32 s11, s21, s13
	;; [unrolled: 2-line block ×3, first 2 shown]
	s_add_u32 s6, s6, s18
	v_mov_b32_e32 v4, 0
	s_addc_u32 s7, s7, s19
	global_store_dword v4, v6, s[22:23]
	global_store_dword v4, v7, s[6:7]
.LBB271_130:
	s_or_b64 exec, exec, s[4:5]
	v_mov_b32_e32 v24, 0
	v_mov_b32_e32 v5, 0
	s_and_saveexec_b64 s[6:7], s[2:3]
	s_cbranch_execz .LBB271_236
; %bb.131:
	s_ashr_i32 s2, s49, 31
	s_add_u32 s4, s36, s49
	s_addc_u32 s5, s37, s2
	v_or_b32_e32 v5, 64, v9
	s_movk_i32 s2, 0x78
	s_add_i32 s11, s16, -1
	v_cmp_gt_u32_e32 vcc, s2, v5
	s_lshl_b64 s[2:3], s[34:35], 2
	s_add_u32 s2, s30, s2
	v_lshlrev_b64 v[10:11], 2, v[2:3]
	s_addc_u32 s3, s31, s3
	s_mov_b32 s12, -1
	v_lshlrev_b32_e32 v8, 3, v5
	v_mov_b32_e32 v5, 0x100
	v_mov_b32_e32 v3, s3
	v_add_co_u32_e64 v10, s[2:3], s2, v10
	s_mov_b32 s9, s17
	s_mov_b32 s13, 0xffffff
	v_lshlrev_b32_e32 v4, 3, v9
	v_mov_b32_e32 v7, 0
	s_mov_b32 s36, s33
	v_lshl_add_u32 v25, v13, 3, s29
	v_lshl_add_u32 v26, v13, 5, v5
	v_addc_co_u32_e64 v11, s[2:3], v3, v11, s[2:3]
	s_mov_b64 s[16:17], 0
	v_pk_mov_b32 v[12:13], s[4:5], s[4:5] op_sel:[0,1]
	s_movk_i32 s30, 0x80
	s_movk_i32 s31, 0x7f
	s_mov_b32 s34, 0x8000
	s_movk_i32 s35, 0x380
	s_mov_b32 s37, 0x3020706
	s_mov_b32 s38, 0x1000504
	;; [unrolled: 1-line block ×3, first 2 shown]
	v_mov_b32_e32 v3, 0x2000
	v_mov_b32_e32 v5, 0
	;; [unrolled: 1-line block ×3, first 2 shown]
	s_branch .LBB271_134
.LBB271_132:                            ;   in Loop: Header=BB271_134 Depth=1
	s_or_b64 exec, exec, s[4:5]
	;;#ASMSTART
	v_pk_mul_f16 v16, v30, v16;

	;;#ASMEND
	;;#ASMSTART
	v_pk_mul_f16 v6, v29, v6;

	;;#ASMEND
	;; [unrolled: 4-line block ×4, first 2 shown]
	;;#ASMSTART
	v_pk_add_f16 v6, v16, v6;

	;;#ASMEND
	;;#ASMSTART
	v_pk_add_f16 v6, v6, v15;

	;;#ASMEND
	;; [unrolled: 4-line block ×3, first 2 shown]
	v_lshrrev_b32_e32 v14, 16, v6
	v_and_b32_e32 v6, 0xffff, v6
	;;#ASMSTART
	v_cvt_f32_f16 v6, v6;
	;;#ASMEND
	;;#ASMSTART
	v_cvt_f32_f16 v14, v14;
	;;#ASMEND
	v_add_f32_e32 v6, v6, v14
	v_add_f32_e32 v5, v5, v6
.LBB271_133:                            ;   in Loop: Header=BB271_134 Depth=1
	s_or_b64 exec, exec, s[18:19]
	v_add_u32_e32 v2, 2, v2
	v_cmp_le_i32_e64 s[2:3], s48, v2
	v_add_f32_e32 v6, v22, v23
	s_or_b64 s[16:17], s[2:3], s[16:17]
	v_add_co_u32_e64 v10, s[2:3], 8, v10
	v_add_f32_e32 v24, v24, v6
	v_add_u32_e32 v25, 16, v25
	v_add_u32_e32 v26, 64, v26
	v_addc_co_u32_e64 v11, s[2:3], 0, v11, s[2:3]
	s_andn2_b64 exec, exec, s[16:17]
	s_cbranch_execz .LBB271_235
.LBB271_134:                            ; =>This Inner Loop Header: Depth=1
	global_load_dword v6, v[10:11], off
	ds_read2_b64 v[18:21], v26 offset1:1
	ds_read2_b64 v[32:35], v26 offset0:2 offset1:3
	s_waitcnt lgkmcnt(1)
	;;#ASMSTART
	v_cvt_f16_f32 v17, v18;

	;;#ASMEND
	;;#ASMSTART
	v_cvt_f16_f32 v27, v19;

	;;#ASMEND
	;;#ASMSTART
	v_cvt_f16_f32 v28, v20;

	;;#ASMEND
	;;#ASMSTART
	v_cvt_f16_f32 v29, v21;

	;;#ASMEND
	s_waitcnt lgkmcnt(0)
	;;#ASMSTART
	v_cvt_f16_f32 v31, v32;

	;;#ASMEND
	;;#ASMSTART
	v_cvt_f16_f32 v32, v33;

	;;#ASMEND
	;; [unrolled: 4-line block ×4, first 2 shown]
	s_waitcnt vmcnt(0)
	v_mad_i64_i32 v[14:15], s[2:3], v6, s9, v[12:13]
	v_add_co_u32_e64 v18, s[2:3], v14, v4
	v_addc_co_u32_e64 v19, s[2:3], 0, v15, s[2:3]
	global_load_dwordx2 v[20:21], v[18:19], off
	global_load_dword v16, v7, s[14:15]
	v_mov_b32_e32 v18, 0
	s_waitcnt vmcnt(1)
	v_cmp_ne_u16_sdwa s[2:3], v20, v7 src0_sel:BYTE_0 src1_sel:DWORD
	s_and_saveexec_b64 s[4:5], s[2:3]
	s_cbranch_execz .LBB271_140
; %bb.135:                              ;   in Loop: Header=BB271_134 Depth=1
	v_cmp_ne_u16_sdwa s[2:3], v20, s30 src0_sel:BYTE_0 src1_sel:DWORD
	v_bfrev_b32_e32 v18, 1
	s_and_saveexec_b64 s[18:19], s[2:3]
	s_cbranch_execz .LBB271_139
; %bb.136:                              ;   in Loop: Header=BB271_134 Depth=1
	v_and_b32_e32 v6, 0x7f, v20
	v_cmp_ne_u32_e64 s[2:3], s31, v6
	v_mov_b32_e32 v18, 0x7fc02000
	s_and_saveexec_b64 s[20:21], s[2:3]
	s_cbranch_execz .LBB271_138
; %bb.137:                              ;   in Loop: Header=BB271_134 Depth=1
	v_and_b32_e32 v18, 7, v20
	v_ffbh_u32_e32 v18, v18
	v_min_u32_e32 v18, 32, v18
	v_subrev_u32_e32 v19, 28, v18
	v_cmp_gt_u32_e64 s[2:3], 8, v6
	v_lshrrev_b32_e32 v22, 3, v6
	v_sub_u32_e32 v23, 29, v18
	v_cndmask_b32_e64 v6, 0, v19, s[2:3]
	v_lshlrev_b64 v[18:19], v6, v[20:21]
	v_cndmask_b32_e64 v6, v22, v23, s[2:3]
	v_lshlrev_b32_e32 v19, 8, v20
	v_lshl_add_u32 v6, v6, 10, v3
	v_lshlrev_b32_e32 v18, 7, v18
	v_and_or_b32 v6, v19, s34, v6
	v_and_or_b32 v6, v18, s35, v6
	v_cvt_f32_f16_e32 v18, v6
.LBB271_138:                            ;   in Loop: Header=BB271_134 Depth=1
	s_or_b64 exec, exec, s[20:21]
.LBB271_139:                            ;   in Loop: Header=BB271_134 Depth=1
	s_or_b64 exec, exec, s[18:19]
.LBB271_140:                            ;   in Loop: Header=BB271_134 Depth=1
	s_or_b64 exec, exec, s[4:5]
	v_lshrrev_b16_e32 v6, 8, v20
	v_cmp_ne_u16_e64 s[2:3], 0, v6
	v_mov_b32_e32 v19, 0
	v_mov_b32_e32 v22, 0
	s_and_saveexec_b64 s[4:5], s[2:3]
	s_cbranch_execz .LBB271_146
; %bb.141:                              ;   in Loop: Header=BB271_134 Depth=1
	v_cmp_ne_u16_e64 s[2:3], s30, v6
	v_bfrev_b32_e32 v22, 1
	s_and_saveexec_b64 s[18:19], s[2:3]
	s_cbranch_execz .LBB271_145
; %bb.142:                              ;   in Loop: Header=BB271_134 Depth=1
	v_and_b32_e32 v23, 0x7f, v6
	v_cmp_ne_u32_e64 s[2:3], s31, v23
	v_mov_b32_e32 v22, 0x7fc02000
	s_and_saveexec_b64 s[20:21], s[2:3]
	s_cbranch_execz .LBB271_144
; %bb.143:                              ;   in Loop: Header=BB271_134 Depth=1
	v_and_b32_e32 v22, 7, v6
	v_ffbh_u32_e32 v35, v22
	v_min_u32_e32 v35, 32, v35
	v_lshrrev_b32_e32 v30, 3, v23
	v_subrev_u32_e32 v36, 28, v35
	v_sub_u32_e32 v35, 29, v35
	v_cmp_gt_u32_e64 s[2:3], 8, v23
	v_lshlrev_b64 v[36:37], v36, v[6:7]
	v_cndmask_b32_e64 v23, v30, v35, s[2:3]
	v_and_b32_e32 v36, 7, v36
	v_lshlrev_b32_e32 v6, 8, v6
	v_lshl_add_u32 v23, v23, 10, v3
	v_cndmask_b32_e64 v22, v22, v36, s[2:3]
	v_and_or_b32 v6, v6, s34, v23
	v_lshl_or_b32 v6, v22, 7, v6
	v_cvt_f32_f16_e32 v22, v6
.LBB271_144:                            ;   in Loop: Header=BB271_134 Depth=1
	s_or_b64 exec, exec, s[20:21]
.LBB271_145:                            ;   in Loop: Header=BB271_134 Depth=1
	s_or_b64 exec, exec, s[18:19]
.LBB271_146:                            ;   in Loop: Header=BB271_134 Depth=1
	s_or_b64 exec, exec, s[4:5]
	v_lshrrev_b32_e32 v6, 16, v20
	v_cmp_ne_u16_sdwa s[2:3], v6, v7 src0_sel:BYTE_0 src1_sel:DWORD
	s_and_saveexec_b64 s[4:5], s[2:3]
	s_cbranch_execz .LBB271_152
; %bb.147:                              ;   in Loop: Header=BB271_134 Depth=1
	v_cmp_ne_u16_sdwa s[2:3], v6, s30 src0_sel:BYTE_0 src1_sel:DWORD
	v_bfrev_b32_e32 v19, 1
	s_and_saveexec_b64 s[18:19], s[2:3]
	s_cbranch_execz .LBB271_151
; %bb.148:                              ;   in Loop: Header=BB271_134 Depth=1
	v_bfe_u32 v23, v20, 16, 7
	v_cmp_ne_u32_e64 s[2:3], s31, v23
	v_mov_b32_e32 v19, 0x7fc02000
	s_and_saveexec_b64 s[20:21], s[2:3]
	s_cbranch_execz .LBB271_150
; %bb.149:                              ;   in Loop: Header=BB271_134 Depth=1
	v_and_b32_e32 v19, 7, v6
	v_ffbh_u32_e32 v35, v19
	v_min_u32_e32 v35, 32, v35
	v_lshrrev_b32_e32 v30, 3, v23
	v_subrev_u32_e32 v36, 28, v35
	v_sub_u32_e32 v35, 29, v35
	v_cmp_gt_u32_e64 s[2:3], 8, v23
	v_lshlrev_b64 v[36:37], v36, v[6:7]
	v_cndmask_b32_e64 v23, v30, v35, s[2:3]
	v_and_b32_e32 v36, 7, v36
	v_lshlrev_b32_e32 v6, 8, v6
	v_lshl_add_u32 v23, v23, 10, v3
	v_cndmask_b32_e64 v19, v19, v36, s[2:3]
	v_and_or_b32 v6, v6, s34, v23
	v_lshl_or_b32 v6, v19, 7, v6
	v_cvt_f32_f16_e32 v19, v6
.LBB271_150:                            ;   in Loop: Header=BB271_134 Depth=1
	s_or_b64 exec, exec, s[20:21]
.LBB271_151:                            ;   in Loop: Header=BB271_134 Depth=1
	s_or_b64 exec, exec, s[18:19]
.LBB271_152:                            ;   in Loop: Header=BB271_134 Depth=1
	s_or_b64 exec, exec, s[4:5]
	v_cmp_lt_u32_e64 s[2:3], s13, v20
	v_mov_b32_e32 v30, 0
	v_mov_b32_e32 v23, 0
	s_and_saveexec_b64 s[4:5], s[2:3]
	s_cbranch_execz .LBB271_158
; %bb.153:                              ;   in Loop: Header=BB271_134 Depth=1
	v_lshrrev_b32_e32 v6, 24, v20
	v_cmp_ne_u32_e64 s[2:3], s30, v6
	v_bfrev_b32_e32 v23, 1
	s_and_saveexec_b64 s[18:19], s[2:3]
	s_cbranch_execz .LBB271_157
; %bb.154:                              ;   in Loop: Header=BB271_134 Depth=1
	v_and_b32_e32 v35, 0x7f, v6
	v_cmp_ne_u32_e64 s[2:3], s31, v35
	v_mov_b32_e32 v23, 0x7fc02000
	s_and_saveexec_b64 s[20:21], s[2:3]
	s_cbranch_execz .LBB271_156
; %bb.155:                              ;   in Loop: Header=BB271_134 Depth=1
	v_and_b32_e32 v23, 7, v6
	v_ffbh_u32_e32 v36, v23
	v_min_u32_e32 v39, 32, v36
	v_subrev_u32_e32 v36, 28, v39
	v_lshlrev_b64 v[36:37], v36, v[6:7]
	v_lshrrev_b32_e32 v38, 3, v35
	v_sub_u32_e32 v37, 29, v39
	v_cmp_gt_u32_e64 s[2:3], 8, v35
	v_cndmask_b32_e64 v35, v38, v37, s[2:3]
	v_and_b32_e32 v36, 7, v36
	v_lshlrev_b32_e32 v6, 8, v6
	v_lshl_add_u32 v35, v35, 10, v3
	v_cndmask_b32_e64 v23, v23, v36, s[2:3]
	v_and_or_b32 v6, v6, s34, v35
	v_lshl_or_b32 v6, v23, 7, v6
	v_cvt_f32_f16_e32 v23, v6
.LBB271_156:                            ;   in Loop: Header=BB271_134 Depth=1
	s_or_b64 exec, exec, s[20:21]
.LBB271_157:                            ;   in Loop: Header=BB271_134 Depth=1
	s_or_b64 exec, exec, s[18:19]
.LBB271_158:                            ;   in Loop: Header=BB271_134 Depth=1
	s_or_b64 exec, exec, s[4:5]
	v_mov_b32_e32 v6, v21
	v_cmp_ne_u16_sdwa s[2:3], v21, v7 src0_sel:BYTE_0 src1_sel:DWORD
	s_and_saveexec_b64 s[4:5], s[2:3]
	s_cbranch_execz .LBB271_164
; %bb.159:                              ;   in Loop: Header=BB271_134 Depth=1
	v_cmp_ne_u16_sdwa s[2:3], v21, s30 src0_sel:BYTE_0 src1_sel:DWORD
	v_bfrev_b32_e32 v30, 1
	s_and_saveexec_b64 s[18:19], s[2:3]
	s_cbranch_execz .LBB271_163
; %bb.160:                              ;   in Loop: Header=BB271_134 Depth=1
	v_and_b32_e32 v35, 0x7f, v21
	v_cmp_ne_u32_e64 s[2:3], s31, v35
	v_mov_b32_e32 v30, 0x7fc02000
	s_and_saveexec_b64 s[20:21], s[2:3]
	s_cbranch_execz .LBB271_162
; %bb.161:                              ;   in Loop: Header=BB271_134 Depth=1
	v_and_b32_e32 v30, 7, v21
	v_ffbh_u32_e32 v30, v30
	v_min_u32_e32 v30, 32, v30
	v_subrev_u32_e32 v36, 28, v30
	v_cmp_gt_u32_e64 s[2:3], 8, v35
	v_lshrrev_b32_e32 v38, 3, v35
	v_sub_u32_e32 v30, 29, v30
	v_cndmask_b32_e64 v35, 0, v36, s[2:3]
	v_lshlrev_b64 v[36:37], v35, v[6:7]
	v_cndmask_b32_e64 v30, v38, v30, s[2:3]
	v_lshlrev_b32_e32 v35, 7, v36
	v_lshlrev_b32_e32 v36, 8, v21
	v_lshl_add_u32 v30, v30, 10, v3
	v_and_or_b32 v30, v36, s34, v30
	v_and_or_b32 v30, v35, s35, v30
	v_cvt_f32_f16_e32 v30, v30
.LBB271_162:                            ;   in Loop: Header=BB271_134 Depth=1
	s_or_b64 exec, exec, s[20:21]
.LBB271_163:                            ;   in Loop: Header=BB271_134 Depth=1
	s_or_b64 exec, exec, s[18:19]
.LBB271_164:                            ;   in Loop: Header=BB271_134 Depth=1
	s_or_b64 exec, exec, s[4:5]
	v_lshrrev_b16_e32 v6, 8, v6
	v_cmp_ne_u16_e64 s[2:3], 0, v6
	v_mov_b32_e32 v35, 0
	v_mov_b32_e32 v36, 0
	s_and_saveexec_b64 s[4:5], s[2:3]
	s_cbranch_execz .LBB271_170
; %bb.165:                              ;   in Loop: Header=BB271_134 Depth=1
	v_cmp_ne_u16_e64 s[2:3], s30, v6
	v_bfrev_b32_e32 v36, 1
	s_and_saveexec_b64 s[18:19], s[2:3]
	s_cbranch_execz .LBB271_169
; %bb.166:                              ;   in Loop: Header=BB271_134 Depth=1
	v_and_b32_e32 v37, 0x7f, v6
	v_cmp_ne_u32_e64 s[2:3], s31, v37
	v_mov_b32_e32 v36, 0x7fc02000
	s_and_saveexec_b64 s[20:21], s[2:3]
	s_cbranch_execz .LBB271_168
; %bb.167:                              ;   in Loop: Header=BB271_134 Depth=1
	v_and_b32_e32 v36, 7, v6
	v_ffbh_u32_e32 v38, v36
	v_min_u32_e32 v41, 32, v38
	v_subrev_u32_e32 v38, 28, v41
	v_lshlrev_b64 v[38:39], v38, v[6:7]
	v_lshrrev_b32_e32 v40, 3, v37
	v_sub_u32_e32 v39, 29, v41
	v_cmp_gt_u32_e64 s[2:3], 8, v37
	v_cndmask_b32_e64 v37, v40, v39, s[2:3]
	v_and_b32_e32 v38, 7, v38
	v_lshlrev_b32_e32 v6, 8, v6
	v_lshl_add_u32 v37, v37, 10, v3
	v_cndmask_b32_e64 v36, v36, v38, s[2:3]
	v_and_or_b32 v6, v6, s34, v37
	v_lshl_or_b32 v6, v36, 7, v6
	v_cvt_f32_f16_e32 v36, v6
.LBB271_168:                            ;   in Loop: Header=BB271_134 Depth=1
	s_or_b64 exec, exec, s[20:21]
.LBB271_169:                            ;   in Loop: Header=BB271_134 Depth=1
	s_or_b64 exec, exec, s[18:19]
.LBB271_170:                            ;   in Loop: Header=BB271_134 Depth=1
	s_or_b64 exec, exec, s[4:5]
	v_lshrrev_b32_e32 v6, 16, v21
	v_cmp_ne_u16_sdwa s[2:3], v6, v7 src0_sel:BYTE_0 src1_sel:DWORD
	s_and_saveexec_b64 s[4:5], s[2:3]
	s_cbranch_execz .LBB271_176
; %bb.171:                              ;   in Loop: Header=BB271_134 Depth=1
	v_cmp_ne_u16_sdwa s[2:3], v6, s30 src0_sel:BYTE_0 src1_sel:DWORD
	v_bfrev_b32_e32 v35, 1
	s_and_saveexec_b64 s[18:19], s[2:3]
	s_cbranch_execz .LBB271_175
; %bb.172:                              ;   in Loop: Header=BB271_134 Depth=1
	v_bfe_u32 v37, v21, 16, 7
	v_cmp_ne_u32_e64 s[2:3], s31, v37
	v_mov_b32_e32 v35, 0x7fc02000
	s_and_saveexec_b64 s[20:21], s[2:3]
	s_cbranch_execz .LBB271_174
; %bb.173:                              ;   in Loop: Header=BB271_134 Depth=1
	v_and_b32_e32 v35, 7, v6
	v_ffbh_u32_e32 v38, v35
	v_min_u32_e32 v41, 32, v38
	v_subrev_u32_e32 v38, 28, v41
	v_lshlrev_b64 v[38:39], v38, v[6:7]
	v_lshrrev_b32_e32 v40, 3, v37
	v_sub_u32_e32 v39, 29, v41
	v_cmp_gt_u32_e64 s[2:3], 8, v37
	v_cndmask_b32_e64 v37, v40, v39, s[2:3]
	v_and_b32_e32 v38, 7, v38
	v_lshlrev_b32_e32 v6, 8, v6
	v_lshl_add_u32 v37, v37, 10, v3
	v_cndmask_b32_e64 v35, v35, v38, s[2:3]
	v_and_or_b32 v6, v6, s34, v37
	v_lshl_or_b32 v6, v35, 7, v6
	v_cvt_f32_f16_e32 v35, v6
.LBB271_174:                            ;   in Loop: Header=BB271_134 Depth=1
	s_or_b64 exec, exec, s[20:21]
.LBB271_175:                            ;   in Loop: Header=BB271_134 Depth=1
	s_or_b64 exec, exec, s[18:19]
.LBB271_176:                            ;   in Loop: Header=BB271_134 Depth=1
	s_or_b64 exec, exec, s[4:5]
	v_cmp_lt_u64_e64 s[2:3], s[12:13], v[20:21]
	v_mov_b32_e32 v20, 0
	s_and_saveexec_b64 s[4:5], s[2:3]
	s_cbranch_execz .LBB271_182
; %bb.177:                              ;   in Loop: Header=BB271_134 Depth=1
	v_lshrrev_b32_e32 v6, 24, v21
	v_cmp_ne_u32_e64 s[2:3], s30, v6
	v_bfrev_b32_e32 v20, 1
	s_and_saveexec_b64 s[18:19], s[2:3]
	s_cbranch_execz .LBB271_181
; %bb.178:                              ;   in Loop: Header=BB271_134 Depth=1
	v_and_b32_e32 v21, 0x7f, v6
	v_cmp_ne_u32_e64 s[2:3], s31, v21
	v_mov_b32_e32 v20, 0x7fc02000
	s_and_saveexec_b64 s[20:21], s[2:3]
	s_cbranch_execz .LBB271_180
; %bb.179:                              ;   in Loop: Header=BB271_134 Depth=1
	v_and_b32_e32 v20, 7, v6
	v_ffbh_u32_e32 v38, v20
	v_min_u32_e32 v40, 32, v38
	v_subrev_u32_e32 v38, 28, v40
	v_lshlrev_b64 v[38:39], v38, v[6:7]
	v_lshrrev_b32_e32 v37, 3, v21
	v_sub_u32_e32 v39, 29, v40
	v_cmp_gt_u32_e64 s[2:3], 8, v21
	v_cndmask_b32_e64 v21, v37, v39, s[2:3]
	v_and_b32_e32 v38, 7, v38
	v_lshlrev_b32_e32 v6, 8, v6
	v_lshl_add_u32 v21, v21, 10, v3
	v_cndmask_b32_e64 v20, v20, v38, s[2:3]
	v_and_or_b32 v6, v6, s34, v21
	v_lshl_or_b32 v6, v20, 7, v6
	v_cvt_f32_f16_e32 v20, v6
.LBB271_180:                            ;   in Loop: Header=BB271_134 Depth=1
	s_or_b64 exec, exec, s[20:21]
.LBB271_181:                            ;   in Loop: Header=BB271_134 Depth=1
	s_or_b64 exec, exec, s[18:19]
.LBB271_182:                            ;   in Loop: Header=BB271_134 Depth=1
	s_or_b64 exec, exec, s[4:5]
	s_waitcnt vmcnt(0)
	v_pk_mul_f32 v[22:23], v[16:17], v[22:23] op_sel_hi:[0,1]
	v_pk_mul_f32 v[18:19], v[16:17], v[18:19] op_sel_hi:[0,1]
	v_cvt_f16_f32_e32 v6, v23
	v_cvt_f16_f32_e32 v21, v22
	v_cvt_f16_f32_e32 v19, v19
	v_cvt_f16_f32_e32 v18, v18
	v_cmp_eq_u32_e64 s[2:3], s11, v2
	v_pack_b32_f16 v21, v21, v6
	v_pack_b32_f16 v18, v18, v19
	v_fma_mixlo_f16 v19, v16, v36, 0
	v_perm_b32 v6, v18, v21, s37
	v_perm_b32 v18, v18, v21, s38
	v_lshlrev_b32_e32 v19, 16, v19
	v_fma_mixlo_f16 v21, v16, v30, 0
	v_or_b32_sdwa v19, v19, v21 dst_sel:DWORD dst_unused:UNUSED_PAD src0_sel:DWORD src1_sel:WORD_0
	v_fma_mixlo_f16 v21, v16, v35, 0
	v_fma_mixlo_f16 v16, v16, v20, 0
	v_lshlrev_b32_e32 v16, 16, v16
	v_or_b32_sdwa v16, v16, v21 dst_sel:DWORD dst_unused:UNUSED_PAD src0_sel:DWORD src1_sel:WORD_0
	s_and_saveexec_b64 s[18:19], s[2:3]
	s_cbranch_execz .LBB271_184
; %bb.183:                              ;   in Loop: Header=BB271_134 Depth=1
	v_add_u32_e32 v20, 1, v25
	v_lshrrev_b32_e32 v22, 16, v18
	v_cmp_gt_i32_e64 s[4:5], s36, v20
	v_cndmask_b32_e64 v20, 0, v22, s[4:5]
	v_cmp_gt_i32_e64 s[4:5], s33, v25
	v_cndmask_b32_e64 v18, 0, v18, s[4:5]
	v_perm_b32 v18, v20, v18, s39
	v_or_b32_e32 v20, 3, v25
	v_or_b32_e32 v22, 2, v25
	v_lshrrev_b32_e32 v23, 16, v6
	v_cmp_gt_i32_e64 s[4:5], s36, v20
	v_cndmask_b32_e64 v20, 0, v23, s[4:5]
	v_cmp_gt_i32_e64 s[4:5], s33, v22
	v_cndmask_b32_e64 v6, 0, v6, s[4:5]
	v_perm_b32 v6, v20, v6, s39
	v_or_b32_e32 v20, 5, v25
	v_or_b32_e32 v22, 4, v25
	;; [unrolled: 8-line block ×3, first 2 shown]
	v_lshrrev_b32_e32 v16, 16, v16
	v_cmp_gt_i32_e64 s[4:5], s36, v20
	v_cndmask_b32_e64 v16, 0, v16, s[4:5]
	v_cmp_gt_i32_e64 s[4:5], s33, v22
	v_cndmask_b32_e64 v20, 0, v21, s[4:5]
	v_perm_b32 v16, v16, v20, s39
.LBB271_184:                            ;   in Loop: Header=BB271_134 Depth=1
	s_or_b64 exec, exec, s[18:19]
	v_and_b32_e32 v17, 0xffff, v17
	v_lshl_or_b32 v30, v27, 16, v17
	v_and_b32_e32 v17, 0xffff, v28
	v_lshl_or_b32 v29, v29, 16, v17
	;; [unrolled: 2-line block ×4, first 2 shown]
	;;#ASMSTART
	v_pk_mul_f16 v17, v30, v18;

	;;#ASMEND
	;;#ASMSTART
	v_pk_mul_f16 v6, v29, v6;

	;;#ASMEND
	;; [unrolled: 4-line block ×4, first 2 shown]
	;;#ASMSTART
	v_pk_add_f16 v6, v17, v6;

	;;#ASMEND
	;;#ASMSTART
	v_pk_add_f16 v6, v6, v18;

	;;#ASMEND
	;; [unrolled: 4-line block ×3, first 2 shown]
	v_lshrrev_b32_e32 v16, 16, v6
	v_and_b32_e32 v6, 0xffff, v6
	;;#ASMSTART
	v_cvt_f32_f16 v22, v6;
	;;#ASMEND
	;;#ASMSTART
	v_cvt_f32_f16 v23, v16;
	;;#ASMEND
	s_and_saveexec_b64 s[18:19], vcc
	s_cbranch_execz .LBB271_133
; %bb.185:                              ;   in Loop: Header=BB271_134 Depth=1
	v_add_co_u32_e64 v16, s[4:5], v14, v8
	v_addc_co_u32_e64 v17, s[4:5], 0, v15, s[4:5]
	global_load_dwordx2 v[20:21], v[16:17], off
	global_load_dword v14, v7, s[14:15]
	v_mov_b32_e32 v18, 0
	v_mov_b32_e32 v16, 0
	s_waitcnt vmcnt(1)
	v_cmp_ne_u16_sdwa s[4:5], v20, v7 src0_sel:BYTE_0 src1_sel:DWORD
	s_and_saveexec_b64 s[20:21], s[4:5]
	s_cbranch_execz .LBB271_191
; %bb.186:                              ;   in Loop: Header=BB271_134 Depth=1
	v_cmp_ne_u16_sdwa s[4:5], v20, s30 src0_sel:BYTE_0 src1_sel:DWORD
	v_bfrev_b32_e32 v16, 1
	s_and_saveexec_b64 s[22:23], s[4:5]
	s_cbranch_execz .LBB271_190
; %bb.187:                              ;   in Loop: Header=BB271_134 Depth=1
	v_and_b32_e32 v6, 0x7f, v20
	v_cmp_ne_u32_e64 s[4:5], s31, v6
	v_mov_b32_e32 v16, 0x7fc02000
	s_and_saveexec_b64 s[28:29], s[4:5]
	s_cbranch_execz .LBB271_189
; %bb.188:                              ;   in Loop: Header=BB271_134 Depth=1
	v_and_b32_e32 v15, 7, v20
	v_ffbh_u32_e32 v15, v15
	v_min_u32_e32 v15, 32, v15
	v_subrev_u32_e32 v16, 28, v15
	v_cmp_gt_u32_e64 s[4:5], 8, v6
	v_lshrrev_b32_e32 v19, 3, v6
	v_sub_u32_e32 v15, 29, v15
	v_cndmask_b32_e64 v6, 0, v16, s[4:5]
	v_lshlrev_b64 v[16:17], v6, v[20:21]
	v_cndmask_b32_e64 v6, v19, v15, s[4:5]
	v_lshlrev_b32_e32 v15, 7, v16
	v_lshlrev_b32_e32 v16, 8, v20
	v_lshl_add_u32 v6, v6, 10, v3
	v_and_or_b32 v6, v16, s34, v6
	v_and_or_b32 v6, v15, s35, v6
	v_cvt_f32_f16_e32 v16, v6
.LBB271_189:                            ;   in Loop: Header=BB271_134 Depth=1
	s_or_b64 exec, exec, s[28:29]
.LBB271_190:                            ;   in Loop: Header=BB271_134 Depth=1
	s_or_b64 exec, exec, s[22:23]
.LBB271_191:                            ;   in Loop: Header=BB271_134 Depth=1
	s_or_b64 exec, exec, s[20:21]
	v_lshrrev_b16_e32 v6, 8, v20
	v_cmp_ne_u16_e64 s[4:5], 0, v6
	s_and_saveexec_b64 s[20:21], s[4:5]
	s_cbranch_execz .LBB271_197
; %bb.192:                              ;   in Loop: Header=BB271_134 Depth=1
	v_cmp_ne_u16_e64 s[4:5], s30, v6
	v_bfrev_b32_e32 v18, 1
	s_and_saveexec_b64 s[22:23], s[4:5]
	s_cbranch_execz .LBB271_196
; %bb.193:                              ;   in Loop: Header=BB271_134 Depth=1
	v_and_b32_e32 v15, 0x7f, v6
	v_cmp_ne_u32_e64 s[4:5], s31, v15
	v_mov_b32_e32 v18, 0x7fc02000
	s_and_saveexec_b64 s[28:29], s[4:5]
	s_cbranch_execz .LBB271_195
; %bb.194:                              ;   in Loop: Header=BB271_134 Depth=1
	v_and_b32_e32 v17, 7, v6
	v_ffbh_u32_e32 v18, v17
	v_min_u32_e32 v32, 32, v18
	v_subrev_u32_e32 v18, 28, v32
	v_lshlrev_b64 v[18:19], v18, v[6:7]
	v_lshrrev_b32_e32 v31, 3, v15
	v_sub_u32_e32 v19, 29, v32
	v_cmp_gt_u32_e64 s[4:5], 8, v15
	v_cndmask_b32_e64 v15, v31, v19, s[4:5]
	v_and_b32_e32 v18, 7, v18
	v_lshlrev_b32_e32 v6, 8, v6
	v_lshl_add_u32 v15, v15, 10, v3
	v_cndmask_b32_e64 v17, v17, v18, s[4:5]
	v_and_or_b32 v6, v6, s34, v15
	v_lshl_or_b32 v6, v17, 7, v6
	v_cvt_f32_f16_e32 v18, v6
.LBB271_195:                            ;   in Loop: Header=BB271_134 Depth=1
	s_or_b64 exec, exec, s[28:29]
.LBB271_196:                            ;   in Loop: Header=BB271_134 Depth=1
	s_or_b64 exec, exec, s[22:23]
.LBB271_197:                            ;   in Loop: Header=BB271_134 Depth=1
	s_or_b64 exec, exec, s[20:21]
	v_lshrrev_b32_e32 v6, 16, v20
	v_cmp_ne_u16_sdwa s[4:5], v6, v7 src0_sel:BYTE_0 src1_sel:DWORD
	v_mov_b32_e32 v19, 0
	v_mov_b32_e32 v17, 0
	s_and_saveexec_b64 s[20:21], s[4:5]
	s_cbranch_execz .LBB271_203
; %bb.198:                              ;   in Loop: Header=BB271_134 Depth=1
	v_cmp_ne_u16_sdwa s[4:5], v6, s30 src0_sel:BYTE_0 src1_sel:DWORD
	v_bfrev_b32_e32 v17, 1
	s_and_saveexec_b64 s[22:23], s[4:5]
	s_cbranch_execz .LBB271_202
; %bb.199:                              ;   in Loop: Header=BB271_134 Depth=1
	v_bfe_u32 v15, v20, 16, 7
	v_cmp_ne_u32_e64 s[4:5], s31, v15
	v_mov_b32_e32 v17, 0x7fc02000
	s_and_saveexec_b64 s[28:29], s[4:5]
	s_cbranch_execz .LBB271_201
; %bb.200:                              ;   in Loop: Header=BB271_134 Depth=1
	v_and_b32_e32 v17, 7, v6
	v_ffbh_u32_e32 v32, v17
	v_min_u32_e32 v34, 32, v32
	v_subrev_u32_e32 v32, 28, v34
	v_lshlrev_b64 v[32:33], v32, v[6:7]
	v_lshrrev_b32_e32 v31, 3, v15
	v_sub_u32_e32 v33, 29, v34
	v_cmp_gt_u32_e64 s[4:5], 8, v15
	v_cndmask_b32_e64 v15, v31, v33, s[4:5]
	v_and_b32_e32 v32, 7, v32
	v_lshlrev_b32_e32 v6, 8, v6
	v_lshl_add_u32 v15, v15, 10, v3
	v_cndmask_b32_e64 v17, v17, v32, s[4:5]
	v_and_or_b32 v6, v6, s34, v15
	v_lshl_or_b32 v6, v17, 7, v6
	v_cvt_f32_f16_e32 v17, v6
.LBB271_201:                            ;   in Loop: Header=BB271_134 Depth=1
	s_or_b64 exec, exec, s[28:29]
.LBB271_202:                            ;   in Loop: Header=BB271_134 Depth=1
	s_or_b64 exec, exec, s[22:23]
.LBB271_203:                            ;   in Loop: Header=BB271_134 Depth=1
	s_or_b64 exec, exec, s[20:21]
	v_cmp_lt_u32_e64 s[4:5], s13, v20
	s_and_saveexec_b64 s[20:21], s[4:5]
	s_cbranch_execz .LBB271_209
; %bb.204:                              ;   in Loop: Header=BB271_134 Depth=1
	v_lshrrev_b32_e32 v6, 24, v20
	v_cmp_ne_u32_e64 s[4:5], s30, v6
	v_bfrev_b32_e32 v19, 1
	s_and_saveexec_b64 s[22:23], s[4:5]
	s_cbranch_execz .LBB271_208
; %bb.205:                              ;   in Loop: Header=BB271_134 Depth=1
	v_and_b32_e32 v15, 0x7f, v6
	v_cmp_ne_u32_e64 s[4:5], s31, v15
	v_mov_b32_e32 v19, 0x7fc02000
	s_and_saveexec_b64 s[28:29], s[4:5]
	s_cbranch_execz .LBB271_207
; %bb.206:                              ;   in Loop: Header=BB271_134 Depth=1
	v_and_b32_e32 v19, 7, v6
	v_ffbh_u32_e32 v32, v19
	v_min_u32_e32 v34, 32, v32
	v_subrev_u32_e32 v32, 28, v34
	v_lshlrev_b64 v[32:33], v32, v[6:7]
	v_lshrrev_b32_e32 v31, 3, v15
	v_sub_u32_e32 v33, 29, v34
	v_cmp_gt_u32_e64 s[4:5], 8, v15
	v_cndmask_b32_e64 v15, v31, v33, s[4:5]
	v_and_b32_e32 v32, 7, v32
	v_lshlrev_b32_e32 v6, 8, v6
	v_lshl_add_u32 v15, v15, 10, v3
	v_cndmask_b32_e64 v19, v19, v32, s[4:5]
	v_and_or_b32 v6, v6, s34, v15
	v_lshl_or_b32 v6, v19, 7, v6
	v_cvt_f32_f16_e32 v19, v6
.LBB271_207:                            ;   in Loop: Header=BB271_134 Depth=1
	s_or_b64 exec, exec, s[28:29]
.LBB271_208:                            ;   in Loop: Header=BB271_134 Depth=1
	s_or_b64 exec, exec, s[22:23]
.LBB271_209:                            ;   in Loop: Header=BB271_134 Depth=1
	s_or_b64 exec, exec, s[20:21]
	v_mov_b32_e32 v6, v21
	v_cmp_ne_u16_sdwa s[4:5], v21, v7 src0_sel:BYTE_0 src1_sel:DWORD
	v_mov_b32_e32 v31, 0
	v_mov_b32_e32 v15, 0
	s_and_saveexec_b64 s[20:21], s[4:5]
	s_cbranch_execz .LBB271_215
; %bb.210:                              ;   in Loop: Header=BB271_134 Depth=1
	v_cmp_ne_u16_sdwa s[4:5], v21, s30 src0_sel:BYTE_0 src1_sel:DWORD
	v_bfrev_b32_e32 v15, 1
	s_and_saveexec_b64 s[22:23], s[4:5]
	s_cbranch_execz .LBB271_214
; %bb.211:                              ;   in Loop: Header=BB271_134 Depth=1
	v_and_b32_e32 v32, 0x7f, v21
	v_cmp_ne_u32_e64 s[4:5], s31, v32
	v_mov_b32_e32 v15, 0x7fc02000
	s_and_saveexec_b64 s[28:29], s[4:5]
	s_cbranch_execz .LBB271_213
; %bb.212:                              ;   in Loop: Header=BB271_134 Depth=1
	v_and_b32_e32 v15, 7, v21
	v_ffbh_u32_e32 v15, v15
	v_min_u32_e32 v15, 32, v15
	v_subrev_u32_e32 v33, 28, v15
	v_cmp_gt_u32_e64 s[4:5], 8, v32
	v_lshrrev_b32_e32 v34, 3, v32
	v_sub_u32_e32 v15, 29, v15
	v_cndmask_b32_e64 v32, 0, v33, s[4:5]
	v_lshlrev_b64 v[32:33], v32, v[6:7]
	v_cndmask_b32_e64 v15, v34, v15, s[4:5]
	v_lshlrev_b32_e32 v33, 8, v21
	v_lshl_add_u32 v15, v15, 10, v3
	v_lshlrev_b32_e32 v32, 7, v32
	v_and_or_b32 v15, v33, s34, v15
	v_and_or_b32 v15, v32, s35, v15
	v_cvt_f32_f16_e32 v15, v15
.LBB271_213:                            ;   in Loop: Header=BB271_134 Depth=1
	s_or_b64 exec, exec, s[28:29]
.LBB271_214:                            ;   in Loop: Header=BB271_134 Depth=1
	s_or_b64 exec, exec, s[22:23]
.LBB271_215:                            ;   in Loop: Header=BB271_134 Depth=1
	s_or_b64 exec, exec, s[20:21]
	v_lshrrev_b16_e32 v6, 8, v6
	v_cmp_ne_u16_e64 s[4:5], 0, v6
	s_and_saveexec_b64 s[20:21], s[4:5]
	s_cbranch_execz .LBB271_221
; %bb.216:                              ;   in Loop: Header=BB271_134 Depth=1
	v_cmp_ne_u16_e64 s[4:5], s30, v6
	v_bfrev_b32_e32 v31, 1
	s_and_saveexec_b64 s[22:23], s[4:5]
	s_cbranch_execz .LBB271_220
; %bb.217:                              ;   in Loop: Header=BB271_134 Depth=1
	v_and_b32_e32 v32, 0x7f, v6
	v_cmp_ne_u32_e64 s[4:5], s31, v32
	v_mov_b32_e32 v31, 0x7fc02000
	s_and_saveexec_b64 s[28:29], s[4:5]
	s_cbranch_execz .LBB271_219
; %bb.218:                              ;   in Loop: Header=BB271_134 Depth=1
	v_and_b32_e32 v31, 7, v6
	v_ffbh_u32_e32 v34, v31
	v_min_u32_e32 v36, 32, v34
	v_subrev_u32_e32 v34, 28, v36
	v_lshlrev_b64 v[34:35], v34, v[6:7]
	v_lshrrev_b32_e32 v33, 3, v32
	v_sub_u32_e32 v35, 29, v36
	v_cmp_gt_u32_e64 s[4:5], 8, v32
	v_cndmask_b32_e64 v32, v33, v35, s[4:5]
	v_and_b32_e32 v34, 7, v34
	v_lshlrev_b32_e32 v6, 8, v6
	v_lshl_add_u32 v32, v32, 10, v3
	v_cndmask_b32_e64 v31, v31, v34, s[4:5]
	v_and_or_b32 v6, v6, s34, v32
	v_lshl_or_b32 v6, v31, 7, v6
	v_cvt_f32_f16_e32 v31, v6
.LBB271_219:                            ;   in Loop: Header=BB271_134 Depth=1
	s_or_b64 exec, exec, s[28:29]
.LBB271_220:                            ;   in Loop: Header=BB271_134 Depth=1
	s_or_b64 exec, exec, s[22:23]
.LBB271_221:                            ;   in Loop: Header=BB271_134 Depth=1
	s_or_b64 exec, exec, s[20:21]
	v_lshrrev_b32_e32 v6, 16, v21
	v_cmp_ne_u16_sdwa s[4:5], v6, v7 src0_sel:BYTE_0 src1_sel:DWORD
	v_mov_b32_e32 v32, 0
	v_mov_b32_e32 v33, 0
	s_and_saveexec_b64 s[20:21], s[4:5]
	s_cbranch_execz .LBB271_227
; %bb.222:                              ;   in Loop: Header=BB271_134 Depth=1
	v_cmp_ne_u16_sdwa s[4:5], v6, s30 src0_sel:BYTE_0 src1_sel:DWORD
	v_bfrev_b32_e32 v33, 1
	s_and_saveexec_b64 s[22:23], s[4:5]
	s_cbranch_execz .LBB271_226
; %bb.223:                              ;   in Loop: Header=BB271_134 Depth=1
	v_bfe_u32 v34, v21, 16, 7
	v_cmp_ne_u32_e64 s[4:5], s31, v34
	v_mov_b32_e32 v33, 0x7fc02000
	s_and_saveexec_b64 s[28:29], s[4:5]
	s_cbranch_execz .LBB271_225
; %bb.224:                              ;   in Loop: Header=BB271_134 Depth=1
	v_and_b32_e32 v33, 7, v6
	v_ffbh_u32_e32 v36, v33
	v_min_u32_e32 v38, 32, v36
	v_subrev_u32_e32 v36, 28, v38
	v_lshlrev_b64 v[36:37], v36, v[6:7]
	v_lshrrev_b32_e32 v35, 3, v34
	v_sub_u32_e32 v37, 29, v38
	v_cmp_gt_u32_e64 s[4:5], 8, v34
	v_cndmask_b32_e64 v34, v35, v37, s[4:5]
	v_and_b32_e32 v36, 7, v36
	v_lshlrev_b32_e32 v6, 8, v6
	v_lshl_add_u32 v34, v34, 10, v3
	v_cndmask_b32_e64 v33, v33, v36, s[4:5]
	v_and_or_b32 v6, v6, s34, v34
	v_lshl_or_b32 v6, v33, 7, v6
	v_cvt_f32_f16_e32 v33, v6
.LBB271_225:                            ;   in Loop: Header=BB271_134 Depth=1
	s_or_b64 exec, exec, s[28:29]
.LBB271_226:                            ;   in Loop: Header=BB271_134 Depth=1
	s_or_b64 exec, exec, s[22:23]
.LBB271_227:                            ;   in Loop: Header=BB271_134 Depth=1
	s_or_b64 exec, exec, s[20:21]
	v_cmp_lt_u64_e64 s[4:5], s[12:13], v[20:21]
	s_and_saveexec_b64 s[20:21], s[4:5]
	s_cbranch_execz .LBB271_233
; %bb.228:                              ;   in Loop: Header=BB271_134 Depth=1
	v_lshrrev_b32_e32 v6, 24, v21
	v_cmp_ne_u32_e64 s[4:5], s30, v6
	v_bfrev_b32_e32 v32, 1
	s_and_saveexec_b64 s[22:23], s[4:5]
	s_cbranch_execz .LBB271_232
; %bb.229:                              ;   in Loop: Header=BB271_134 Depth=1
	v_and_b32_e32 v20, 0x7f, v6
	v_cmp_ne_u32_e64 s[4:5], s31, v20
	v_mov_b32_e32 v32, 0x7fc02000
	s_and_saveexec_b64 s[28:29], s[4:5]
	s_cbranch_execz .LBB271_231
; %bb.230:                              ;   in Loop: Header=BB271_134 Depth=1
	v_and_b32_e32 v21, 7, v6
	v_ffbh_u32_e32 v34, v21
	v_min_u32_e32 v36, 32, v34
	v_subrev_u32_e32 v34, 28, v36
	v_lshlrev_b64 v[34:35], v34, v[6:7]
	v_lshrrev_b32_e32 v32, 3, v20
	v_sub_u32_e32 v35, 29, v36
	v_cmp_gt_u32_e64 s[4:5], 8, v20
	v_cndmask_b32_e64 v20, v32, v35, s[4:5]
	v_and_b32_e32 v34, 7, v34
	v_lshlrev_b32_e32 v6, 8, v6
	v_lshl_add_u32 v20, v20, 10, v3
	v_cndmask_b32_e64 v21, v21, v34, s[4:5]
	v_and_or_b32 v6, v6, s34, v20
	v_lshl_or_b32 v6, v21, 7, v6
	v_cvt_f32_f16_e32 v32, v6
.LBB271_231:                            ;   in Loop: Header=BB271_134 Depth=1
	s_or_b64 exec, exec, s[28:29]
.LBB271_232:                            ;   in Loop: Header=BB271_134 Depth=1
	s_or_b64 exec, exec, s[22:23]
.LBB271_233:                            ;   in Loop: Header=BB271_134 Depth=1
	s_or_b64 exec, exec, s[20:21]
	s_waitcnt vmcnt(0)
	v_pk_mul_f32 v[16:17], v[14:15], v[16:17] op_sel_hi:[0,1]
	v_cvt_f16_f32_e32 v17, v17
	v_cvt_f16_f32_e32 v16, v16
	v_pk_mul_f32 v[18:19], v[14:15], v[18:19] op_sel_hi:[0,1]
	v_cvt_f16_f32_e32 v6, v19
	v_cvt_f16_f32_e32 v18, v18
	v_pack_b32_f16 v16, v16, v17
	v_fma_mixlo_f16 v17, v14, v31, 0
	v_lshlrev_b32_e32 v17, 16, v17
	v_fma_mixlo_f16 v15, v14, v15, 0
	v_or_b32_sdwa v15, v17, v15 dst_sel:DWORD dst_unused:UNUSED_PAD src0_sel:DWORD src1_sel:WORD_0
	v_fma_mixlo_f16 v17, v14, v33, 0
	v_fma_mixlo_f16 v14, v14, v32, 0
	v_pack_b32_f16 v18, v18, v6
	v_lshlrev_b32_e32 v14, 16, v14
	v_perm_b32 v6, v16, v18, s37
	v_perm_b32 v16, v16, v18, s38
	v_or_b32_sdwa v14, v14, v17 dst_sel:DWORD dst_unused:UNUSED_PAD src0_sel:DWORD src1_sel:WORD_0
	s_and_saveexec_b64 s[4:5], s[2:3]
	s_cbranch_execz .LBB271_132
; %bb.234:                              ;   in Loop: Header=BB271_134 Depth=1
	v_add_u32_e32 v18, 1, v25
	v_lshrrev_b32_e32 v19, 16, v16
	v_cmp_gt_i32_e64 s[2:3], s36, v18
	v_cndmask_b32_e64 v18, 0, v19, s[2:3]
	v_cmp_gt_i32_e64 s[2:3], s33, v25
	v_cndmask_b32_e64 v16, 0, v16, s[2:3]
	v_perm_b32 v16, v18, v16, s39
	v_or_b32_e32 v18, 3, v25
	v_or_b32_e32 v19, 2, v25
	v_lshrrev_b32_e32 v20, 16, v6
	v_cmp_gt_i32_e64 s[2:3], s36, v18
	v_cndmask_b32_e64 v18, 0, v20, s[2:3]
	v_cmp_gt_i32_e64 s[2:3], s33, v19
	v_cndmask_b32_e64 v6, 0, v6, s[2:3]
	v_perm_b32 v6, v18, v6, s39
	v_or_b32_e32 v18, 5, v25
	v_or_b32_e32 v19, 4, v25
	v_lshrrev_b32_e32 v20, 16, v15
	v_cmp_gt_i32_e64 s[2:3], s36, v18
	v_cndmask_b32_e64 v18, 0, v20, s[2:3]
	v_cmp_gt_i32_e64 s[2:3], s33, v19
	v_cndmask_b32_e64 v15, 0, v15, s[2:3]
	v_perm_b32 v15, v18, v15, s39
	v_or_b32_e32 v18, 7, v25
	v_or_b32_e32 v19, 6, v25
	v_lshrrev_b32_e32 v14, 16, v14
	v_cmp_gt_i32_e64 s[2:3], s36, v18
	v_cndmask_b32_e64 v14, 0, v14, s[2:3]
	v_cmp_gt_i32_e64 s[2:3], s33, v19
	v_cndmask_b32_e64 v17, 0, v17, s[2:3]
	v_perm_b32 v14, v14, v17, s39
	s_branch .LBB271_132
.LBB271_235:
	s_or_b64 exec, exec, s[16:17]
.LBB271_236:
	s_or_b64 exec, exec, s[6:7]
	v_and_b32_e32 v2, 0x3c0, v0
	v_cmp_eq_u32_e32 vcc, 64, v2
	s_barrier
	s_and_saveexec_b64 s[2:3], vcc
	s_cbranch_execz .LBB271_239
; %bb.237:
	v_mov_b32_e32 v2, 0x100
	v_lshl_add_u32 v3, v9, 2, v2
	ds_write_b32 v3, v24
	s_and_b64 exec, exec, s[0:1]
	s_cbranch_execz .LBB271_239
; %bb.238:
	v_lshl_add_u32 v2, v0, 2, v2
	ds_write_b32 v2, v5
.LBB271_239:
	s_or_b64 exec, exec, s[2:3]
	v_cmp_gt_u32_e32 vcc, 64, v0
	v_or_b32_e32 v2, 64, v0
	s_waitcnt lgkmcnt(0)
	s_barrier
	s_and_saveexec_b64 s[2:3], vcc
	s_cbranch_execz .LBB271_243
; %bb.240:
	v_mov_b32_e32 v3, 0x100
	v_lshl_add_u32 v3, v0, 2, v3
	ds_read_b32 v0, v3
	s_movk_i32 s0, 0x78
	v_cmp_gt_u32_e64 s[0:1], s0, v2
	s_and_saveexec_b64 s[4:5], s[0:1]
	s_cbranch_execz .LBB271_242
; %bb.241:
	ds_read_b32 v3, v3 offset:256
	s_waitcnt lgkmcnt(0)
	v_add_f32_e32 v5, v5, v3
.LBB271_242:
	s_or_b64 exec, exec, s[4:5]
	s_waitcnt lgkmcnt(0)
	v_add_f32_e32 v24, v24, v0
.LBB271_243:
	s_or_b64 exec, exec, s[2:3]
	s_barrier
	s_and_saveexec_b64 s[0:1], vcc
	s_cbranch_execz .LBB271_246
; %bb.244:
	s_mul_i32 s0, s10, 0x78
	s_ashr_i32 s1, s0, 31
	s_lshl_b64 s[0:1], s[0:1], 1
	s_add_u32 s3, s26, s0
	s_mul_i32 s0, s25, s24
	s_addc_u32 s4, s27, s1
	s_ashr_i32 s1, s0, 31
	s_lshl_b64 s[0:1], s[0:1], 1
	s_add_u32 s3, s3, s0
	s_mul_i32 s0, s8, 0x78
	s_addc_u32 s4, s4, s1
	s_ashr_i32 s1, s0, 31
	s_lshl_b64 s[0:1], s[0:1], 1
	s_movk_i32 s2, 0x78
	s_add_u32 s0, s3, s0
	s_addc_u32 s1, s4, s1
	v_cmp_gt_u32_e32 vcc, s2, v2
	;;#ASMSTART
	v_cvt_f16_f32 v0, v24;

	;;#ASMEND
	global_store_short v1, v0, s[0:1]
	s_and_b64 exec, exec, vcc
	s_cbranch_execz .LBB271_246
; %bb.245:
	v_mov_b32_e32 v2, s1
	v_add_co_u32_e32 v0, vcc, s0, v1
	v_addc_co_u32_e32 v1, vcc, 0, v2, vcc
	;;#ASMSTART
	v_cvt_f16_f32 v2, v5;

	;;#ASMEND
	global_store_short v[0:1], v2, off offset:128
.LBB271_246:
	s_endpgm
	.section	.rodata,"a",@progbits
	.p2align	6, 0x0
	.amdhsa_kernel _ZN4vllm25paged_attention_v2_kernelIthLi120ELi8ELi128ELNS_18Fp8KVCacheDataTypeE1ELb0ELi512EEEvPfS2_PT_PKS3_PKT0_S9_ifPKiSB_iPKfiiiSD_SD_iiiii
		.amdhsa_group_segment_fixed_size 256
		.amdhsa_private_segment_fixed_size 0
		.amdhsa_kernarg_size 400
		.amdhsa_user_sgpr_count 6
		.amdhsa_user_sgpr_private_segment_buffer 1
		.amdhsa_user_sgpr_dispatch_ptr 0
		.amdhsa_user_sgpr_queue_ptr 0
		.amdhsa_user_sgpr_kernarg_segment_ptr 1
		.amdhsa_user_sgpr_dispatch_id 0
		.amdhsa_user_sgpr_flat_scratch_init 0
		.amdhsa_user_sgpr_kernarg_preload_length 0
		.amdhsa_user_sgpr_kernarg_preload_offset 0
		.amdhsa_user_sgpr_private_segment_size 0
		.amdhsa_uses_dynamic_stack 0
		.amdhsa_system_sgpr_private_segment_wavefront_offset 0
		.amdhsa_system_sgpr_workgroup_id_x 1
		.amdhsa_system_sgpr_workgroup_id_y 1
		.amdhsa_system_sgpr_workgroup_id_z 1
		.amdhsa_system_sgpr_workgroup_info 0
		.amdhsa_system_vgpr_workitem_id 0
		.amdhsa_next_free_vgpr 46
		.amdhsa_next_free_sgpr 54
		.amdhsa_accum_offset 48
		.amdhsa_reserve_vcc 1
		.amdhsa_reserve_flat_scratch 0
		.amdhsa_float_round_mode_32 0
		.amdhsa_float_round_mode_16_64 0
		.amdhsa_float_denorm_mode_32 3
		.amdhsa_float_denorm_mode_16_64 3
		.amdhsa_dx10_clamp 1
		.amdhsa_ieee_mode 1
		.amdhsa_fp16_overflow 0
		.amdhsa_tg_split 0
		.amdhsa_exception_fp_ieee_invalid_op 0
		.amdhsa_exception_fp_denorm_src 0
		.amdhsa_exception_fp_ieee_div_zero 0
		.amdhsa_exception_fp_ieee_overflow 0
		.amdhsa_exception_fp_ieee_underflow 0
		.amdhsa_exception_fp_ieee_inexact 0
		.amdhsa_exception_int_div_zero 0
	.end_amdhsa_kernel
	.section	.text._ZN4vllm25paged_attention_v2_kernelIthLi120ELi8ELi128ELNS_18Fp8KVCacheDataTypeE1ELb0ELi512EEEvPfS2_PT_PKS3_PKT0_S9_ifPKiSB_iPKfiiiSD_SD_iiiii,"axG",@progbits,_ZN4vllm25paged_attention_v2_kernelIthLi120ELi8ELi128ELNS_18Fp8KVCacheDataTypeE1ELb0ELi512EEEvPfS2_PT_PKS3_PKT0_S9_ifPKiSB_iPKfiiiSD_SD_iiiii,comdat
.Lfunc_end271:
	.size	_ZN4vllm25paged_attention_v2_kernelIthLi120ELi8ELi128ELNS_18Fp8KVCacheDataTypeE1ELb0ELi512EEEvPfS2_PT_PKS3_PKT0_S9_ifPKiSB_iPKfiiiSD_SD_iiiii, .Lfunc_end271-_ZN4vllm25paged_attention_v2_kernelIthLi120ELi8ELi128ELNS_18Fp8KVCacheDataTypeE1ELb0ELi512EEEvPfS2_PT_PKS3_PKT0_S9_ifPKiSB_iPKfiiiSD_SD_iiiii
                                        ; -- End function
	.section	.AMDGPU.csdata,"",@progbits
; Kernel info:
; codeLenInByte = 10936
; NumSgprs: 58
; NumVgprs: 46
; NumAgprs: 0
; TotalNumVgprs: 46
; ScratchSize: 0
; MemoryBound: 0
; FloatMode: 240
; IeeeMode: 1
; LDSByteSize: 256 bytes/workgroup (compile time only)
; SGPRBlocks: 7
; VGPRBlocks: 5
; NumSGPRsForWavesPerEU: 58
; NumVGPRsForWavesPerEU: 46
; AccumOffset: 48
; Occupancy: 8
; WaveLimiterHint : 1
; COMPUTE_PGM_RSRC2:SCRATCH_EN: 0
; COMPUTE_PGM_RSRC2:USER_SGPR: 6
; COMPUTE_PGM_RSRC2:TRAP_HANDLER: 0
; COMPUTE_PGM_RSRC2:TGID_X_EN: 1
; COMPUTE_PGM_RSRC2:TGID_Y_EN: 1
; COMPUTE_PGM_RSRC2:TGID_Z_EN: 1
; COMPUTE_PGM_RSRC2:TIDIG_COMP_CNT: 0
; COMPUTE_PGM_RSRC3_GFX90A:ACCUM_OFFSET: 11
; COMPUTE_PGM_RSRC3_GFX90A:TG_SPLIT: 0
	.section	.text._ZN4vllm25paged_attention_v2_kernelIthLi128ELi8ELi128ELNS_18Fp8KVCacheDataTypeE1ELb0ELi512EEEvPfS2_PT_PKS3_PKT0_S9_ifPKiSB_iPKfiiiSD_SD_iiiii,"axG",@progbits,_ZN4vllm25paged_attention_v2_kernelIthLi128ELi8ELi128ELNS_18Fp8KVCacheDataTypeE1ELb0ELi512EEEvPfS2_PT_PKS3_PKT0_S9_ifPKiSB_iPKfiiiSD_SD_iiiii,comdat
	.protected	_ZN4vllm25paged_attention_v2_kernelIthLi128ELi8ELi128ELNS_18Fp8KVCacheDataTypeE1ELb0ELi512EEEvPfS2_PT_PKS3_PKT0_S9_ifPKiSB_iPKfiiiSD_SD_iiiii ; -- Begin function _ZN4vllm25paged_attention_v2_kernelIthLi128ELi8ELi128ELNS_18Fp8KVCacheDataTypeE1ELb0ELi512EEEvPfS2_PT_PKS3_PKT0_S9_ifPKiSB_iPKfiiiSD_SD_iiiii
	.globl	_ZN4vllm25paged_attention_v2_kernelIthLi128ELi8ELi128ELNS_18Fp8KVCacheDataTypeE1ELb0ELi512EEEvPfS2_PT_PKS3_PKT0_S9_ifPKiSB_iPKfiiiSD_SD_iiiii
	.p2align	8
	.type	_ZN4vllm25paged_attention_v2_kernelIthLi128ELi8ELi128ELNS_18Fp8KVCacheDataTypeE1ELb0ELi512EEEvPfS2_PT_PKS3_PKT0_S9_ifPKiSB_iPKfiiiSD_SD_iiiii,@function
_ZN4vllm25paged_attention_v2_kernelIthLi128ELi8ELi128ELNS_18Fp8KVCacheDataTypeE1ELb0ELi512EEEvPfS2_PT_PKS3_PKT0_S9_ifPKiSB_iPKfiiiSD_SD_iiiii: ; @_ZN4vllm25paged_attention_v2_kernelIthLi128ELi8ELi128ELNS_18Fp8KVCacheDataTypeE1ELb0ELi512EEEvPfS2_PT_PKS3_PKT0_S9_ifPKiSB_iPKfiiiSD_SD_iiiii
; %bb.0:
	s_load_dwordx2 s[0:1], s[4:5], 0x40
	s_mov_b32 s28, s7
	s_ashr_i32 s29, s7, 31
	s_lshl_b64 s[2:3], s[28:29], 2
	s_waitcnt lgkmcnt(0)
	s_add_u32 s0, s0, s2
	s_addc_u32 s1, s1, s3
	s_load_dword s29, s[0:1], 0x0
	s_lshl_b32 s46, s8, 9
	s_waitcnt lgkmcnt(0)
	s_cmp_ge_i32 s46, s29
	s_cbranch_scc1 .LBB272_246
; %bb.1:
	s_load_dword s9, s[4:5], 0x90
	s_load_dwordx2 s[10:11], s[4:5], 0x30
	s_mov_b32 s47, 0
	s_waitcnt lgkmcnt(0)
	s_abs_i32 s2, s9
	s_abs_i32 s0, s10
	v_cvt_f32_u32_e32 v1, s0
	s_sub_i32 s3, 0, s0
	s_xor_b32 s1, s9, s10
	s_ashr_i32 s1, s1, 31
	v_rcp_iflag_f32_e32 v1, v1
	v_mul_f32_e32 v1, 0x4f7ffffe, v1
	v_cvt_u32_f32_e32 v1, v1
	v_readfirstlane_b32 s7, v1
	s_mul_i32 s3, s3, s7
	s_mul_hi_u32 s3, s7, s3
	s_add_i32 s7, s7, s3
	s_mul_hi_u32 s3, s2, s7
	s_mul_i32 s7, s3, s0
	s_sub_i32 s2, s2, s7
	s_add_i32 s10, s3, 1
	s_sub_i32 s7, s2, s0
	s_cmp_ge_u32 s2, s0
	s_cselect_b32 s3, s10, s3
	s_cselect_b32 s2, s7, s2
	s_add_i32 s7, s3, 1
	s_cmp_ge_u32 s2, s0
	s_cselect_b32 s0, s7, s3
	s_xor_b32 s0, s0, s1
	s_sub_i32 s10, s0, s1
	s_abs_i32 s2, s10
	v_cvt_f32_u32_e32 v1, s2
	s_load_dwordx2 s[0:1], s[4:5], 0x50
	s_sub_i32 s7, 0, s2
	s_abs_i32 s3, s6
	v_rcp_iflag_f32_e32 v1, v1
	v_mul_f32_e32 v1, 0x4f7ffffe, v1
	v_cvt_u32_f32_e32 v1, v1
	v_readfirstlane_b32 s12, v1
	s_mul_i32 s7, s7, s12
	s_mul_hi_u32 s7, s12, s7
	s_add_i32 s12, s12, s7
	s_waitcnt lgkmcnt(0)
	s_cmp_eq_u64 s[0:1], 0
	s_mul_hi_u32 s12, s3, s12
	s_cbranch_scc1 .LBB272_3
; %bb.2:
	s_ashr_i32 s7, s6, 31
	s_lshl_b64 s[14:15], s[6:7], 2
	s_add_u32 s0, s0, s14
	s_addc_u32 s1, s1, s15
	s_load_dword s47, s[0:1], 0x0
.LBB272_3:
	s_load_dwordx4 s[16:19], s[4:5], 0x58
	s_movk_i32 s0, 0x80
	s_ashr_i32 s7, s6, 31
	s_ashr_i32 s13, s10, 31
	v_and_b32_e32 v4, 7, v0
	s_lshl_b32 s24, s6, 7
	v_cmp_gt_u32_e32 vcc, s0, v0
	v_lshlrev_b32_e32 v1, 1, v0
	s_and_saveexec_b64 s[0:1], vcc
	s_cbranch_execz .LBB272_5
; %bb.4:
	s_load_dwordx2 s[14:15], s[4:5], 0x18
	s_waitcnt lgkmcnt(0)
	s_mul_i32 s20, s28, s16
	s_ashr_i32 s21, s20, 31
	s_lshl_b64 s[20:21], s[20:21], 1
	v_lshrrev_b32_e32 v3, 2, v0
	s_add_u32 s10, s14, s20
	s_addc_u32 s16, s15, s21
	s_ashr_i32 s25, s24, 31
	s_lshl_b64 s[14:15], s[24:25], 1
	s_add_u32 s14, s10, s14
	s_addc_u32 s15, s16, s15
	global_load_ushort v2, v1, s[14:15]
	v_and_b32_e32 v3, 0xfe, v3
	v_lshl_add_u32 v3, v4, 5, v3
	s_waitcnt vmcnt(0)
	ds_write_b16 v3, v2
.LBB272_5:
	s_or_b64 exec, exec, s[0:1]
	s_add_i32 s0, s29, 7
	s_ashr_i32 s1, s0, 31
	s_lshr_b32 s1, s1, 29
	s_add_i32 s0, s0, s1
	s_lshl_b32 s10, s8, 6
	s_mul_i32 s1, s12, s2
	s_waitcnt lgkmcnt(0)
	s_ashr_i32 s16, s0, 3
	s_add_i32 s0, s10, 64
	s_sub_i32 s1, s3, s1
	s_min_i32 s33, s0, s16
	s_xor_b32 s0, s7, s13
	s_add_i32 s3, s12, 1
	s_sub_i32 s7, s1, s2
	s_cmp_ge_u32 s1, s2
	s_cselect_b32 s3, s3, s12
	s_cselect_b32 s1, s7, s1
	s_add_i32 s7, s3, 1
	s_cmp_ge_u32 s1, s2
	s_load_dwordx2 s[30:31], s[4:5], 0x38
	s_load_dword s2, s[4:5], 0x48
	v_lshrrev_b32_e32 v13, 6, v0
	s_cselect_b32 s1, s7, s3
	s_xor_b32 s1, s1, s0
	v_or_b32_e32 v2, s10, v13
	s_waitcnt lgkmcnt(0)
	s_mul_i32 s34, s28, s2
	s_sub_i32 s7, s1, s0
	s_ashr_i32 s35, s34, 31
	v_cmp_gt_i32_e64 s[0:1], s33, v2
	v_cmp_le_i32_e32 vcc, s33, v2
	v_mbcnt_lo_u32_b32 v11, -1, 0
	s_barrier
	s_waitcnt lgkmcnt(0)
                                        ; implicit-def: $sgpr19
                                        ; implicit-def: $vgpr5
                                        ; implicit-def: $vgpr10
	s_and_saveexec_b64 s[2:3], vcc
	s_xor_b64 s[2:3], exec, s[2:3]
; %bb.6:
	v_mbcnt_hi_u32_b32 v5, -1, v11
	v_and_b32_e32 v3, 64, v5
	v_add_u32_e32 v10, 64, v3
	s_mov_b32 s19, 0xff7fffff
                                        ; implicit-def: $vgpr4
                                        ; implicit-def: $vgpr11
; %bb.7:
	s_or_saveexec_b64 s[38:39], s[2:3]
	s_load_dwordx4 s[20:23], s[4:5], 0x0
	s_load_dwordx2 s[26:27], s[4:5], 0x10
	s_load_dword s25, s[4:5], 0x98
	s_load_dwordx2 s[36:37], s[4:5], 0x28
	s_load_dwordx4 s[12:15], s[4:5], 0x68
	v_mov_b32_e32 v14, s19
	s_mul_i32 s7, s7, s18
	v_ashrrev_i32_e32 v3, 31, v2
	s_xor_b64 exec, exec, s[38:39]
	s_cbranch_execz .LBB272_109
; %bb.8:
	s_load_dwordx2 s[2:3], s[4:5], 0x20
	s_ashr_i32 s4, s7, 31
	v_bfe_u32 v5, v0, 3, 3
	v_lshlrev_b32_e32 v8, 3, v13
	v_lshlrev_b32_e32 v6, 4, v5
	s_waitcnt lgkmcnt(0)
	s_add_u32 s2, s2, s7
	s_addc_u32 s3, s3, s4
	s_sub_i32 s49, 1, s29
	s_lshl_b64 s[4:5], s[34:35], 2
	v_add3_u32 v17, s46, v8, v5
	v_lshlrev_b32_e32 v5, 2, v5
	s_add_u32 s4, s30, s4
	v_mov_b32_e32 v7, s3
	v_add_co_u32_e32 v6, vcc, s2, v6
	v_lshl_or_b32 v5, v13, 5, v5
	v_lshlrev_b64 v[8:9], 2, v[2:3]
	s_addc_u32 s5, s31, s5
	v_addc_co_u32_e32 v7, vcc, 0, v7, vcc
	v_add_u32_e32 v18, 0x110, v5
	v_mov_b32_e32 v5, s5
	v_add_co_u32_e64 v8, s[4:5], s4, v8
	s_mov_b32 s48, s17
	v_mov_b32_e32 v15, 0
	v_lshlrev_b32_e32 v16, 5, v4
	v_cmp_eq_u32_e32 vcc, 0, v4
	v_cmp_neq_f32_e64 s[2:3], s47, 0
	v_addc_co_u32_e64 v9, s[4:5], v5, v9, s[4:5]
	s_mov_b64 s[18:19], 0
	v_mov_b32_e32 v14, 0xff7fffff
	s_movk_i32 s50, 0x80
	s_movk_i32 s51, 0x7f
	v_mbcnt_hi_u32_b32 v5, -1, v11
	v_bfrev_b32_e32 v19, 60
	v_mov_b32_e32 v20, v2
	s_branch .LBB272_10
.LBB272_9:                              ;   in Loop: Header=BB272_10 Depth=1
	s_or_b64 exec, exec, s[40:41]
	v_add_u32_e32 v20, 2, v20
	v_cmp_le_i32_e64 s[4:5], s33, v20
	s_or_b64 s[18:19], s[4:5], s[18:19]
	v_add_co_u32_e64 v8, s[4:5], 8, v8
	v_add_u32_e32 v17, 16, v17
	v_add_u32_e32 v18, 64, v18
	v_addc_co_u32_e64 v9, s[4:5], 0, v9, s[4:5]
	s_andn2_b64 exec, exec, s[18:19]
	s_cbranch_execz .LBB272_108
.LBB272_10:                             ; =>This Inner Loop Header: Depth=1
	global_load_dword v10, v[8:9], off
	v_mov_b32_e32 v22, 0
	s_waitcnt vmcnt(0)
	v_mad_i64_i32 v[10:11], s[4:5], v10, s48, v[6:7]
	v_add_co_u32_e64 v10, s[4:5], v10, v4
	v_addc_co_u32_e64 v11, s[4:5], 0, v11, s[4:5]
	global_load_ubyte v23, v[10:11], off
	global_load_dword v21, v15, s[12:13]
	s_waitcnt vmcnt(1)
	v_cmp_ne_u16_e64 s[4:5], 0, v23
	s_and_saveexec_b64 s[40:41], s[4:5]
	s_cbranch_execz .LBB272_16
; %bb.11:                               ;   in Loop: Header=BB272_10 Depth=1
	v_cmp_ne_u16_e64 s[4:5], s50, v23
	v_bfrev_b32_e32 v22, 1
	s_and_saveexec_b64 s[42:43], s[4:5]
	s_cbranch_execz .LBB272_15
; %bb.12:                               ;   in Loop: Header=BB272_10 Depth=1
	s_waitcnt lgkmcnt(0)
	v_and_b32_e32 v12, 0xffff, v23
	v_and_b32_e32 v24, 0x7f, v12
	v_cmp_ne_u32_e64 s[4:5], s51, v24
	v_mov_b32_e32 v22, 0x7f800001
	s_and_saveexec_b64 s[44:45], s[4:5]
	s_cbranch_execz .LBB272_14
; %bb.13:                               ;   in Loop: Header=BB272_10 Depth=1
	v_and_b32_e32 v22, 7, v12
	v_ffbh_u32_e32 v26, v22
	v_min_u32_e32 v28, 32, v26
	v_subrev_u32_e32 v26, 28, v28
	v_lshlrev_b64 v[26:27], v26, v[12:13]
	v_lshrrev_b32_e32 v25, 3, v24
	v_sub_u32_e32 v12, 29, v28
	v_and_b32_e32 v26, 7, v26
	v_cmp_gt_u32_e64 s[4:5], 8, v24
	v_cndmask_b32_e64 v12, v25, v12, s[4:5]
	v_cndmask_b32_e64 v22, v22, v26, s[4:5]
	v_lshlrev_b32_e32 v23, 24, v23
	v_lshlrev_b32_e32 v22, 20, v22
	v_and_b32_e32 v23, 0x80000000, v23
	v_lshl_add_u32 v12, v12, 23, v19
	v_or3_b32 v22, v23, v12, v22
.LBB272_14:                             ;   in Loop: Header=BB272_10 Depth=1
	s_or_b64 exec, exec, s[44:45]
.LBB272_15:                             ;   in Loop: Header=BB272_10 Depth=1
	s_or_b64 exec, exec, s[42:43]
.LBB272_16:                             ;   in Loop: Header=BB272_10 Depth=1
	s_or_b64 exec, exec, s[40:41]
	global_load_ubyte v25, v[10:11], off offset:8
	v_mov_b32_e32 v23, 0
	v_mov_b32_e32 v24, 0
	s_waitcnt vmcnt(0)
	v_cmp_ne_u16_e64 s[4:5], 0, v25
	s_and_saveexec_b64 s[40:41], s[4:5]
	s_cbranch_execz .LBB272_22
; %bb.17:                               ;   in Loop: Header=BB272_10 Depth=1
	v_cmp_ne_u16_e64 s[4:5], s50, v25
	v_bfrev_b32_e32 v24, 1
	s_and_saveexec_b64 s[42:43], s[4:5]
	s_cbranch_execz .LBB272_21
; %bb.18:                               ;   in Loop: Header=BB272_10 Depth=1
	s_waitcnt lgkmcnt(0)
	v_and_b32_e32 v12, 0xffff, v25
	v_and_b32_e32 v26, 0x7f, v12
	v_cmp_ne_u32_e64 s[4:5], s51, v26
	v_mov_b32_e32 v24, 0x7f800001
	s_and_saveexec_b64 s[44:45], s[4:5]
	s_cbranch_execz .LBB272_20
; %bb.19:                               ;   in Loop: Header=BB272_10 Depth=1
	v_and_b32_e32 v24, 7, v12
	v_ffbh_u32_e32 v28, v24
	v_min_u32_e32 v30, 32, v28
	v_subrev_u32_e32 v28, 28, v30
	v_lshlrev_b64 v[28:29], v28, v[12:13]
	v_lshrrev_b32_e32 v27, 3, v26
	v_sub_u32_e32 v12, 29, v30
	v_and_b32_e32 v28, 7, v28
	v_cmp_gt_u32_e64 s[4:5], 8, v26
	v_cndmask_b32_e64 v12, v27, v12, s[4:5]
	v_cndmask_b32_e64 v24, v24, v28, s[4:5]
	v_lshlrev_b32_e32 v25, 24, v25
	v_lshlrev_b32_e32 v24, 20, v24
	v_and_b32_e32 v25, 0x80000000, v25
	v_lshl_add_u32 v12, v12, 23, v19
	v_or3_b32 v24, v25, v12, v24
.LBB272_20:                             ;   in Loop: Header=BB272_10 Depth=1
	s_or_b64 exec, exec, s[44:45]
.LBB272_21:                             ;   in Loop: Header=BB272_10 Depth=1
	s_or_b64 exec, exec, s[42:43]
.LBB272_22:                             ;   in Loop: Header=BB272_10 Depth=1
	s_or_b64 exec, exec, s[40:41]
	global_load_ubyte v25, v[10:11], off offset:128
	s_waitcnt vmcnt(0)
	v_cmp_ne_u16_e64 s[4:5], 0, v25
	s_and_saveexec_b64 s[40:41], s[4:5]
	s_cbranch_execz .LBB272_28
; %bb.23:                               ;   in Loop: Header=BB272_10 Depth=1
	v_cmp_ne_u16_e64 s[4:5], s50, v25
	v_bfrev_b32_e32 v23, 1
	s_and_saveexec_b64 s[42:43], s[4:5]
	s_cbranch_execz .LBB272_27
; %bb.24:                               ;   in Loop: Header=BB272_10 Depth=1
	s_waitcnt lgkmcnt(0)
	v_and_b32_e32 v12, 0xffff, v25
	v_and_b32_e32 v26, 0x7f, v12
	v_cmp_ne_u32_e64 s[4:5], s51, v26
	v_mov_b32_e32 v23, 0x7f800001
	s_and_saveexec_b64 s[44:45], s[4:5]
	s_cbranch_execz .LBB272_26
; %bb.25:                               ;   in Loop: Header=BB272_10 Depth=1
	v_and_b32_e32 v23, 7, v12
	v_ffbh_u32_e32 v28, v23
	v_min_u32_e32 v30, 32, v28
	v_subrev_u32_e32 v28, 28, v30
	v_lshlrev_b64 v[28:29], v28, v[12:13]
	v_lshrrev_b32_e32 v27, 3, v26
	v_sub_u32_e32 v12, 29, v30
	v_and_b32_e32 v28, 7, v28
	v_cmp_gt_u32_e64 s[4:5], 8, v26
	v_cndmask_b32_e64 v12, v27, v12, s[4:5]
	v_cndmask_b32_e64 v23, v23, v28, s[4:5]
	v_lshlrev_b32_e32 v25, 24, v25
	v_lshlrev_b32_e32 v23, 20, v23
	v_and_b32_e32 v25, 0x80000000, v25
	v_lshl_add_u32 v12, v12, 23, v19
	v_or3_b32 v23, v25, v12, v23
.LBB272_26:                             ;   in Loop: Header=BB272_10 Depth=1
	s_or_b64 exec, exec, s[44:45]
.LBB272_27:                             ;   in Loop: Header=BB272_10 Depth=1
	s_or_b64 exec, exec, s[42:43]
.LBB272_28:                             ;   in Loop: Header=BB272_10 Depth=1
	s_or_b64 exec, exec, s[40:41]
	global_load_ubyte v27, v[10:11], off offset:136
	v_mov_b32_e32 v25, 0
	v_mov_b32_e32 v26, 0
	s_waitcnt vmcnt(0)
	v_cmp_ne_u16_e64 s[4:5], 0, v27
	s_and_saveexec_b64 s[40:41], s[4:5]
	s_cbranch_execz .LBB272_34
; %bb.29:                               ;   in Loop: Header=BB272_10 Depth=1
	v_cmp_ne_u16_e64 s[4:5], s50, v27
	v_bfrev_b32_e32 v26, 1
	s_and_saveexec_b64 s[42:43], s[4:5]
	s_cbranch_execz .LBB272_33
; %bb.30:                               ;   in Loop: Header=BB272_10 Depth=1
	s_waitcnt lgkmcnt(0)
	v_and_b32_e32 v12, 0xffff, v27
	v_and_b32_e32 v28, 0x7f, v12
	v_cmp_ne_u32_e64 s[4:5], s51, v28
	v_mov_b32_e32 v26, 0x7f800001
	s_and_saveexec_b64 s[44:45], s[4:5]
	s_cbranch_execz .LBB272_32
; %bb.31:                               ;   in Loop: Header=BB272_10 Depth=1
	v_and_b32_e32 v26, 7, v12
	v_ffbh_u32_e32 v30, v26
	v_min_u32_e32 v32, 32, v30
	v_subrev_u32_e32 v30, 28, v32
	v_lshlrev_b64 v[30:31], v30, v[12:13]
	v_lshrrev_b32_e32 v29, 3, v28
	v_sub_u32_e32 v12, 29, v32
	v_and_b32_e32 v30, 7, v30
	v_cmp_gt_u32_e64 s[4:5], 8, v28
	v_cndmask_b32_e64 v12, v29, v12, s[4:5]
	v_cndmask_b32_e64 v26, v26, v30, s[4:5]
	v_lshlrev_b32_e32 v27, 24, v27
	v_lshlrev_b32_e32 v26, 20, v26
	v_and_b32_e32 v27, 0x80000000, v27
	v_lshl_add_u32 v12, v12, 23, v19
	v_or3_b32 v26, v27, v12, v26
.LBB272_32:                             ;   in Loop: Header=BB272_10 Depth=1
	s_or_b64 exec, exec, s[44:45]
.LBB272_33:                             ;   in Loop: Header=BB272_10 Depth=1
	s_or_b64 exec, exec, s[42:43]
.LBB272_34:                             ;   in Loop: Header=BB272_10 Depth=1
	s_or_b64 exec, exec, s[40:41]
	global_load_ubyte v27, v[10:11], off offset:256
	s_waitcnt vmcnt(0)
	v_cmp_ne_u16_e64 s[4:5], 0, v27
	s_and_saveexec_b64 s[40:41], s[4:5]
	s_cbranch_execz .LBB272_40
; %bb.35:                               ;   in Loop: Header=BB272_10 Depth=1
	v_cmp_ne_u16_e64 s[4:5], s50, v27
	v_bfrev_b32_e32 v25, 1
	s_and_saveexec_b64 s[42:43], s[4:5]
	s_cbranch_execz .LBB272_39
; %bb.36:                               ;   in Loop: Header=BB272_10 Depth=1
	s_waitcnt lgkmcnt(0)
	v_and_b32_e32 v12, 0xffff, v27
	v_and_b32_e32 v28, 0x7f, v12
	v_cmp_ne_u32_e64 s[4:5], s51, v28
	v_mov_b32_e32 v25, 0x7f800001
	s_and_saveexec_b64 s[44:45], s[4:5]
	s_cbranch_execz .LBB272_38
; %bb.37:                               ;   in Loop: Header=BB272_10 Depth=1
	v_and_b32_e32 v25, 7, v12
	v_ffbh_u32_e32 v30, v25
	v_min_u32_e32 v32, 32, v30
	v_subrev_u32_e32 v30, 28, v32
	v_lshlrev_b64 v[30:31], v30, v[12:13]
	v_lshrrev_b32_e32 v29, 3, v28
	v_sub_u32_e32 v12, 29, v32
	v_and_b32_e32 v30, 7, v30
	v_cmp_gt_u32_e64 s[4:5], 8, v28
	v_cndmask_b32_e64 v12, v29, v12, s[4:5]
	v_cndmask_b32_e64 v25, v25, v30, s[4:5]
	v_lshlrev_b32_e32 v27, 24, v27
	v_lshlrev_b32_e32 v25, 20, v25
	v_and_b32_e32 v27, 0x80000000, v27
	v_lshl_add_u32 v12, v12, 23, v19
	v_or3_b32 v25, v27, v12, v25
.LBB272_38:                             ;   in Loop: Header=BB272_10 Depth=1
	s_or_b64 exec, exec, s[44:45]
.LBB272_39:                             ;   in Loop: Header=BB272_10 Depth=1
	s_or_b64 exec, exec, s[42:43]
.LBB272_40:                             ;   in Loop: Header=BB272_10 Depth=1
	s_or_b64 exec, exec, s[40:41]
	global_load_ubyte v29, v[10:11], off offset:264
	v_mov_b32_e32 v27, 0
	v_mov_b32_e32 v28, 0
	s_waitcnt vmcnt(0)
	v_cmp_ne_u16_e64 s[4:5], 0, v29
	s_and_saveexec_b64 s[40:41], s[4:5]
	s_cbranch_execz .LBB272_46
; %bb.41:                               ;   in Loop: Header=BB272_10 Depth=1
	v_cmp_ne_u16_e64 s[4:5], s50, v29
	v_bfrev_b32_e32 v28, 1
	s_and_saveexec_b64 s[42:43], s[4:5]
	s_cbranch_execz .LBB272_45
; %bb.42:                               ;   in Loop: Header=BB272_10 Depth=1
	s_waitcnt lgkmcnt(0)
	v_and_b32_e32 v12, 0xffff, v29
	v_and_b32_e32 v30, 0x7f, v12
	v_cmp_ne_u32_e64 s[4:5], s51, v30
	v_mov_b32_e32 v28, 0x7f800001
	s_and_saveexec_b64 s[44:45], s[4:5]
	s_cbranch_execz .LBB272_44
; %bb.43:                               ;   in Loop: Header=BB272_10 Depth=1
	v_and_b32_e32 v28, 7, v12
	v_ffbh_u32_e32 v32, v28
	v_min_u32_e32 v34, 32, v32
	v_subrev_u32_e32 v32, 28, v34
	v_lshlrev_b64 v[32:33], v32, v[12:13]
	v_lshrrev_b32_e32 v31, 3, v30
	v_sub_u32_e32 v12, 29, v34
	v_and_b32_e32 v32, 7, v32
	v_cmp_gt_u32_e64 s[4:5], 8, v30
	v_cndmask_b32_e64 v12, v31, v12, s[4:5]
	v_cndmask_b32_e64 v28, v28, v32, s[4:5]
	v_lshlrev_b32_e32 v29, 24, v29
	v_lshlrev_b32_e32 v28, 20, v28
	v_and_b32_e32 v29, 0x80000000, v29
	v_lshl_add_u32 v12, v12, 23, v19
	v_or3_b32 v28, v29, v12, v28
.LBB272_44:                             ;   in Loop: Header=BB272_10 Depth=1
	s_or_b64 exec, exec, s[44:45]
.LBB272_45:                             ;   in Loop: Header=BB272_10 Depth=1
	s_or_b64 exec, exec, s[42:43]
.LBB272_46:                             ;   in Loop: Header=BB272_10 Depth=1
	s_or_b64 exec, exec, s[40:41]
	global_load_ubyte v29, v[10:11], off offset:384
	s_waitcnt vmcnt(0)
	v_cmp_ne_u16_e64 s[4:5], 0, v29
	s_and_saveexec_b64 s[40:41], s[4:5]
	s_cbranch_execz .LBB272_52
; %bb.47:                               ;   in Loop: Header=BB272_10 Depth=1
	v_cmp_ne_u16_e64 s[4:5], s50, v29
	v_bfrev_b32_e32 v27, 1
	s_and_saveexec_b64 s[42:43], s[4:5]
	s_cbranch_execz .LBB272_51
; %bb.48:                               ;   in Loop: Header=BB272_10 Depth=1
	s_waitcnt lgkmcnt(0)
	v_and_b32_e32 v12, 0xffff, v29
	v_and_b32_e32 v30, 0x7f, v12
	v_cmp_ne_u32_e64 s[4:5], s51, v30
	v_mov_b32_e32 v27, 0x7f800001
	s_and_saveexec_b64 s[44:45], s[4:5]
	s_cbranch_execz .LBB272_50
; %bb.49:                               ;   in Loop: Header=BB272_10 Depth=1
	v_and_b32_e32 v27, 7, v12
	v_ffbh_u32_e32 v32, v27
	v_min_u32_e32 v34, 32, v32
	v_subrev_u32_e32 v32, 28, v34
	v_lshlrev_b64 v[32:33], v32, v[12:13]
	v_lshrrev_b32_e32 v31, 3, v30
	v_sub_u32_e32 v12, 29, v34
	v_and_b32_e32 v32, 7, v32
	v_cmp_gt_u32_e64 s[4:5], 8, v30
	v_cndmask_b32_e64 v12, v31, v12, s[4:5]
	v_cndmask_b32_e64 v27, v27, v32, s[4:5]
	v_lshlrev_b32_e32 v29, 24, v29
	v_lshlrev_b32_e32 v27, 20, v27
	v_and_b32_e32 v29, 0x80000000, v29
	v_lshl_add_u32 v12, v12, 23, v19
	v_or3_b32 v27, v29, v12, v27
.LBB272_50:                             ;   in Loop: Header=BB272_10 Depth=1
	s_or_b64 exec, exec, s[44:45]
.LBB272_51:                             ;   in Loop: Header=BB272_10 Depth=1
	s_or_b64 exec, exec, s[42:43]
.LBB272_52:                             ;   in Loop: Header=BB272_10 Depth=1
	s_or_b64 exec, exec, s[40:41]
	global_load_ubyte v31, v[10:11], off offset:392
	v_mov_b32_e32 v29, 0
	v_mov_b32_e32 v30, 0
	s_waitcnt vmcnt(0)
	v_cmp_ne_u16_e64 s[4:5], 0, v31
	s_and_saveexec_b64 s[40:41], s[4:5]
	s_cbranch_execz .LBB272_58
; %bb.53:                               ;   in Loop: Header=BB272_10 Depth=1
	v_cmp_ne_u16_e64 s[4:5], s50, v31
	v_bfrev_b32_e32 v30, 1
	s_and_saveexec_b64 s[42:43], s[4:5]
	s_cbranch_execz .LBB272_57
; %bb.54:                               ;   in Loop: Header=BB272_10 Depth=1
	s_waitcnt lgkmcnt(0)
	v_and_b32_e32 v12, 0xffff, v31
	v_and_b32_e32 v32, 0x7f, v12
	v_cmp_ne_u32_e64 s[4:5], s51, v32
	v_mov_b32_e32 v30, 0x7f800001
	s_and_saveexec_b64 s[44:45], s[4:5]
	s_cbranch_execz .LBB272_56
; %bb.55:                               ;   in Loop: Header=BB272_10 Depth=1
	v_and_b32_e32 v30, 7, v12
	v_ffbh_u32_e32 v34, v30
	v_min_u32_e32 v36, 32, v34
	v_subrev_u32_e32 v34, 28, v36
	v_lshlrev_b64 v[34:35], v34, v[12:13]
	v_lshrrev_b32_e32 v33, 3, v32
	v_sub_u32_e32 v12, 29, v36
	v_and_b32_e32 v34, 7, v34
	v_cmp_gt_u32_e64 s[4:5], 8, v32
	v_cndmask_b32_e64 v12, v33, v12, s[4:5]
	v_cndmask_b32_e64 v30, v30, v34, s[4:5]
	v_lshlrev_b32_e32 v31, 24, v31
	v_lshlrev_b32_e32 v30, 20, v30
	v_and_b32_e32 v31, 0x80000000, v31
	v_lshl_add_u32 v12, v12, 23, v19
	v_or3_b32 v30, v31, v12, v30
.LBB272_56:                             ;   in Loop: Header=BB272_10 Depth=1
	s_or_b64 exec, exec, s[44:45]
.LBB272_57:                             ;   in Loop: Header=BB272_10 Depth=1
	s_or_b64 exec, exec, s[42:43]
.LBB272_58:                             ;   in Loop: Header=BB272_10 Depth=1
	s_or_b64 exec, exec, s[40:41]
	global_load_ubyte v31, v[10:11], off offset:512
	s_waitcnt vmcnt(0)
	v_cmp_ne_u16_e64 s[4:5], 0, v31
	s_and_saveexec_b64 s[40:41], s[4:5]
	s_cbranch_execz .LBB272_64
; %bb.59:                               ;   in Loop: Header=BB272_10 Depth=1
	v_cmp_ne_u16_e64 s[4:5], s50, v31
	v_bfrev_b32_e32 v29, 1
	s_and_saveexec_b64 s[42:43], s[4:5]
	s_cbranch_execz .LBB272_63
; %bb.60:                               ;   in Loop: Header=BB272_10 Depth=1
	s_waitcnt lgkmcnt(0)
	v_and_b32_e32 v12, 0xffff, v31
	v_and_b32_e32 v32, 0x7f, v12
	v_cmp_ne_u32_e64 s[4:5], s51, v32
	v_mov_b32_e32 v29, 0x7f800001
	s_and_saveexec_b64 s[44:45], s[4:5]
	s_cbranch_execz .LBB272_62
; %bb.61:                               ;   in Loop: Header=BB272_10 Depth=1
	v_and_b32_e32 v29, 7, v12
	v_ffbh_u32_e32 v34, v29
	v_min_u32_e32 v36, 32, v34
	v_subrev_u32_e32 v34, 28, v36
	v_lshlrev_b64 v[34:35], v34, v[12:13]
	v_lshrrev_b32_e32 v33, 3, v32
	v_sub_u32_e32 v12, 29, v36
	v_and_b32_e32 v34, 7, v34
	v_cmp_gt_u32_e64 s[4:5], 8, v32
	v_cndmask_b32_e64 v12, v33, v12, s[4:5]
	v_cndmask_b32_e64 v29, v29, v34, s[4:5]
	v_lshlrev_b32_e32 v31, 24, v31
	v_lshlrev_b32_e32 v29, 20, v29
	v_and_b32_e32 v31, 0x80000000, v31
	v_lshl_add_u32 v12, v12, 23, v19
	v_or3_b32 v29, v31, v12, v29
.LBB272_62:                             ;   in Loop: Header=BB272_10 Depth=1
	s_or_b64 exec, exec, s[44:45]
.LBB272_63:                             ;   in Loop: Header=BB272_10 Depth=1
	s_or_b64 exec, exec, s[42:43]
.LBB272_64:                             ;   in Loop: Header=BB272_10 Depth=1
	s_or_b64 exec, exec, s[40:41]
	global_load_ubyte v33, v[10:11], off offset:520
	v_mov_b32_e32 v31, 0
	v_mov_b32_e32 v32, 0
	s_waitcnt vmcnt(0)
	v_cmp_ne_u16_e64 s[4:5], 0, v33
	s_and_saveexec_b64 s[40:41], s[4:5]
	s_cbranch_execz .LBB272_70
; %bb.65:                               ;   in Loop: Header=BB272_10 Depth=1
	v_cmp_ne_u16_e64 s[4:5], s50, v33
	v_bfrev_b32_e32 v32, 1
	s_and_saveexec_b64 s[42:43], s[4:5]
	s_cbranch_execz .LBB272_69
; %bb.66:                               ;   in Loop: Header=BB272_10 Depth=1
	s_waitcnt lgkmcnt(0)
	v_and_b32_e32 v12, 0xffff, v33
	v_and_b32_e32 v34, 0x7f, v12
	v_cmp_ne_u32_e64 s[4:5], s51, v34
	v_mov_b32_e32 v32, 0x7f800001
	s_and_saveexec_b64 s[44:45], s[4:5]
	s_cbranch_execz .LBB272_68
; %bb.67:                               ;   in Loop: Header=BB272_10 Depth=1
	v_and_b32_e32 v32, 7, v12
	v_ffbh_u32_e32 v36, v32
	v_min_u32_e32 v38, 32, v36
	v_subrev_u32_e32 v36, 28, v38
	v_lshlrev_b64 v[36:37], v36, v[12:13]
	v_lshrrev_b32_e32 v35, 3, v34
	v_sub_u32_e32 v12, 29, v38
	v_and_b32_e32 v36, 7, v36
	v_cmp_gt_u32_e64 s[4:5], 8, v34
	v_cndmask_b32_e64 v12, v35, v12, s[4:5]
	v_cndmask_b32_e64 v32, v32, v36, s[4:5]
	v_lshlrev_b32_e32 v33, 24, v33
	v_lshlrev_b32_e32 v32, 20, v32
	v_and_b32_e32 v33, 0x80000000, v33
	v_lshl_add_u32 v12, v12, 23, v19
	v_or3_b32 v32, v33, v12, v32
.LBB272_68:                             ;   in Loop: Header=BB272_10 Depth=1
	s_or_b64 exec, exec, s[44:45]
.LBB272_69:                             ;   in Loop: Header=BB272_10 Depth=1
	s_or_b64 exec, exec, s[42:43]
.LBB272_70:                             ;   in Loop: Header=BB272_10 Depth=1
	s_or_b64 exec, exec, s[40:41]
	global_load_ubyte v33, v[10:11], off offset:640
	s_waitcnt vmcnt(0)
	v_cmp_ne_u16_e64 s[4:5], 0, v33
	s_and_saveexec_b64 s[40:41], s[4:5]
	s_cbranch_execz .LBB272_76
; %bb.71:                               ;   in Loop: Header=BB272_10 Depth=1
	v_cmp_ne_u16_e64 s[4:5], s50, v33
	v_bfrev_b32_e32 v31, 1
	s_and_saveexec_b64 s[42:43], s[4:5]
	s_cbranch_execz .LBB272_75
; %bb.72:                               ;   in Loop: Header=BB272_10 Depth=1
	s_waitcnt lgkmcnt(0)
	v_and_b32_e32 v12, 0xffff, v33
	v_and_b32_e32 v34, 0x7f, v12
	v_cmp_ne_u32_e64 s[4:5], s51, v34
	v_mov_b32_e32 v31, 0x7f800001
	s_and_saveexec_b64 s[44:45], s[4:5]
	s_cbranch_execz .LBB272_74
; %bb.73:                               ;   in Loop: Header=BB272_10 Depth=1
	v_and_b32_e32 v31, 7, v12
	v_ffbh_u32_e32 v36, v31
	v_min_u32_e32 v38, 32, v36
	v_subrev_u32_e32 v36, 28, v38
	v_lshlrev_b64 v[36:37], v36, v[12:13]
	v_lshrrev_b32_e32 v35, 3, v34
	v_sub_u32_e32 v12, 29, v38
	v_and_b32_e32 v36, 7, v36
	v_cmp_gt_u32_e64 s[4:5], 8, v34
	v_cndmask_b32_e64 v12, v35, v12, s[4:5]
	v_cndmask_b32_e64 v31, v31, v36, s[4:5]
	v_lshlrev_b32_e32 v33, 24, v33
	v_lshlrev_b32_e32 v31, 20, v31
	v_and_b32_e32 v33, 0x80000000, v33
	v_lshl_add_u32 v12, v12, 23, v19
	v_or3_b32 v31, v33, v12, v31
.LBB272_74:                             ;   in Loop: Header=BB272_10 Depth=1
	s_or_b64 exec, exec, s[44:45]
.LBB272_75:                             ;   in Loop: Header=BB272_10 Depth=1
	s_or_b64 exec, exec, s[42:43]
.LBB272_76:                             ;   in Loop: Header=BB272_10 Depth=1
	s_or_b64 exec, exec, s[40:41]
	global_load_ubyte v35, v[10:11], off offset:648
	v_mov_b32_e32 v33, 0
	v_mov_b32_e32 v34, 0
	s_waitcnt vmcnt(0)
	v_cmp_ne_u16_e64 s[4:5], 0, v35
	s_and_saveexec_b64 s[40:41], s[4:5]
	s_cbranch_execz .LBB272_82
; %bb.77:                               ;   in Loop: Header=BB272_10 Depth=1
	v_cmp_ne_u16_e64 s[4:5], s50, v35
	v_bfrev_b32_e32 v34, 1
	s_and_saveexec_b64 s[42:43], s[4:5]
	s_cbranch_execz .LBB272_81
; %bb.78:                               ;   in Loop: Header=BB272_10 Depth=1
	s_waitcnt lgkmcnt(0)
	v_and_b32_e32 v12, 0xffff, v35
	v_and_b32_e32 v36, 0x7f, v12
	v_cmp_ne_u32_e64 s[4:5], s51, v36
	v_mov_b32_e32 v34, 0x7f800001
	s_and_saveexec_b64 s[44:45], s[4:5]
	s_cbranch_execz .LBB272_80
; %bb.79:                               ;   in Loop: Header=BB272_10 Depth=1
	v_and_b32_e32 v34, 7, v12
	v_ffbh_u32_e32 v38, v34
	v_min_u32_e32 v40, 32, v38
	v_subrev_u32_e32 v38, 28, v40
	v_lshlrev_b64 v[38:39], v38, v[12:13]
	v_lshrrev_b32_e32 v37, 3, v36
	v_sub_u32_e32 v12, 29, v40
	v_and_b32_e32 v38, 7, v38
	v_cmp_gt_u32_e64 s[4:5], 8, v36
	v_cndmask_b32_e64 v12, v37, v12, s[4:5]
	v_cndmask_b32_e64 v34, v34, v38, s[4:5]
	v_lshlrev_b32_e32 v35, 24, v35
	v_lshlrev_b32_e32 v34, 20, v34
	v_and_b32_e32 v35, 0x80000000, v35
	v_lshl_add_u32 v12, v12, 23, v19
	v_or3_b32 v34, v35, v12, v34
.LBB272_80:                             ;   in Loop: Header=BB272_10 Depth=1
	s_or_b64 exec, exec, s[44:45]
.LBB272_81:                             ;   in Loop: Header=BB272_10 Depth=1
	s_or_b64 exec, exec, s[42:43]
.LBB272_82:                             ;   in Loop: Header=BB272_10 Depth=1
	s_or_b64 exec, exec, s[40:41]
	global_load_ubyte v35, v[10:11], off offset:768
	s_waitcnt vmcnt(0)
	v_cmp_ne_u16_e64 s[4:5], 0, v35
	s_and_saveexec_b64 s[40:41], s[4:5]
	s_cbranch_execz .LBB272_88
; %bb.83:                               ;   in Loop: Header=BB272_10 Depth=1
	v_cmp_ne_u16_e64 s[4:5], s50, v35
	v_bfrev_b32_e32 v33, 1
	s_and_saveexec_b64 s[42:43], s[4:5]
	s_cbranch_execz .LBB272_87
; %bb.84:                               ;   in Loop: Header=BB272_10 Depth=1
	s_waitcnt lgkmcnt(0)
	v_and_b32_e32 v12, 0xffff, v35
	v_and_b32_e32 v36, 0x7f, v12
	v_cmp_ne_u32_e64 s[4:5], s51, v36
	v_mov_b32_e32 v33, 0x7f800001
	s_and_saveexec_b64 s[44:45], s[4:5]
	s_cbranch_execz .LBB272_86
; %bb.85:                               ;   in Loop: Header=BB272_10 Depth=1
	v_and_b32_e32 v33, 7, v12
	v_ffbh_u32_e32 v38, v33
	v_min_u32_e32 v40, 32, v38
	v_subrev_u32_e32 v38, 28, v40
	v_lshlrev_b64 v[38:39], v38, v[12:13]
	v_lshrrev_b32_e32 v37, 3, v36
	v_sub_u32_e32 v12, 29, v40
	v_and_b32_e32 v38, 7, v38
	v_cmp_gt_u32_e64 s[4:5], 8, v36
	v_cndmask_b32_e64 v12, v37, v12, s[4:5]
	v_cndmask_b32_e64 v33, v33, v38, s[4:5]
	v_lshlrev_b32_e32 v35, 24, v35
	v_lshlrev_b32_e32 v33, 20, v33
	v_and_b32_e32 v35, 0x80000000, v35
	v_lshl_add_u32 v12, v12, 23, v19
	v_or3_b32 v33, v35, v12, v33
.LBB272_86:                             ;   in Loop: Header=BB272_10 Depth=1
	s_or_b64 exec, exec, s[44:45]
.LBB272_87:                             ;   in Loop: Header=BB272_10 Depth=1
	s_or_b64 exec, exec, s[42:43]
.LBB272_88:                             ;   in Loop: Header=BB272_10 Depth=1
	s_or_b64 exec, exec, s[40:41]
	global_load_ubyte v37, v[10:11], off offset:776
	v_mov_b32_e32 v35, 0
	v_mov_b32_e32 v36, 0
	s_waitcnt vmcnt(0)
	v_cmp_ne_u16_e64 s[4:5], 0, v37
	s_and_saveexec_b64 s[40:41], s[4:5]
	s_cbranch_execz .LBB272_94
; %bb.89:                               ;   in Loop: Header=BB272_10 Depth=1
	v_cmp_ne_u16_e64 s[4:5], s50, v37
	v_bfrev_b32_e32 v36, 1
	s_and_saveexec_b64 s[42:43], s[4:5]
	s_cbranch_execz .LBB272_93
; %bb.90:                               ;   in Loop: Header=BB272_10 Depth=1
	s_waitcnt lgkmcnt(0)
	v_and_b32_e32 v12, 0xffff, v37
	v_and_b32_e32 v38, 0x7f, v12
	v_cmp_ne_u32_e64 s[4:5], s51, v38
	v_mov_b32_e32 v36, 0x7f800001
	s_and_saveexec_b64 s[44:45], s[4:5]
	s_cbranch_execz .LBB272_92
; %bb.91:                               ;   in Loop: Header=BB272_10 Depth=1
	v_and_b32_e32 v36, 7, v12
	v_ffbh_u32_e32 v40, v36
	v_min_u32_e32 v42, 32, v40
	v_subrev_u32_e32 v40, 28, v42
	v_lshlrev_b64 v[40:41], v40, v[12:13]
	v_lshrrev_b32_e32 v39, 3, v38
	v_sub_u32_e32 v12, 29, v42
	v_and_b32_e32 v40, 7, v40
	v_cmp_gt_u32_e64 s[4:5], 8, v38
	v_cndmask_b32_e64 v12, v39, v12, s[4:5]
	v_cndmask_b32_e64 v36, v36, v40, s[4:5]
	v_lshlrev_b32_e32 v37, 24, v37
	v_lshlrev_b32_e32 v36, 20, v36
	v_and_b32_e32 v37, 0x80000000, v37
	v_lshl_add_u32 v12, v12, 23, v19
	v_or3_b32 v36, v37, v12, v36
.LBB272_92:                             ;   in Loop: Header=BB272_10 Depth=1
	s_or_b64 exec, exec, s[44:45]
.LBB272_93:                             ;   in Loop: Header=BB272_10 Depth=1
	s_or_b64 exec, exec, s[42:43]
.LBB272_94:                             ;   in Loop: Header=BB272_10 Depth=1
	s_or_b64 exec, exec, s[40:41]
	global_load_ubyte v37, v[10:11], off offset:896
	s_waitcnt vmcnt(0)
	v_cmp_ne_u16_e64 s[4:5], 0, v37
	s_and_saveexec_b64 s[40:41], s[4:5]
	s_cbranch_execz .LBB272_100
; %bb.95:                               ;   in Loop: Header=BB272_10 Depth=1
	v_cmp_ne_u16_e64 s[4:5], s50, v37
	v_bfrev_b32_e32 v35, 1
	s_and_saveexec_b64 s[42:43], s[4:5]
	s_cbranch_execz .LBB272_99
; %bb.96:                               ;   in Loop: Header=BB272_10 Depth=1
	s_waitcnt lgkmcnt(0)
	v_and_b32_e32 v12, 0xffff, v37
	v_and_b32_e32 v38, 0x7f, v12
	v_cmp_ne_u32_e64 s[4:5], s51, v38
	v_mov_b32_e32 v35, 0x7f800001
	s_and_saveexec_b64 s[44:45], s[4:5]
	s_cbranch_execz .LBB272_98
; %bb.97:                               ;   in Loop: Header=BB272_10 Depth=1
	v_and_b32_e32 v35, 7, v12
	v_ffbh_u32_e32 v40, v35
	v_min_u32_e32 v42, 32, v40
	v_subrev_u32_e32 v40, 28, v42
	v_lshlrev_b64 v[40:41], v40, v[12:13]
	v_lshrrev_b32_e32 v39, 3, v38
	v_sub_u32_e32 v12, 29, v42
	v_and_b32_e32 v40, 7, v40
	v_cmp_gt_u32_e64 s[4:5], 8, v38
	v_cndmask_b32_e64 v12, v39, v12, s[4:5]
	v_cndmask_b32_e64 v35, v35, v40, s[4:5]
	v_lshlrev_b32_e32 v37, 24, v37
	v_lshlrev_b32_e32 v35, 20, v35
	v_and_b32_e32 v37, 0x80000000, v37
	v_lshl_add_u32 v12, v12, 23, v19
	v_or3_b32 v35, v37, v12, v35
.LBB272_98:                             ;   in Loop: Header=BB272_10 Depth=1
	s_or_b64 exec, exec, s[44:45]
.LBB272_99:                             ;   in Loop: Header=BB272_10 Depth=1
	s_or_b64 exec, exec, s[42:43]
.LBB272_100:                            ;   in Loop: Header=BB272_10 Depth=1
	s_or_b64 exec, exec, s[40:41]
	s_waitcnt lgkmcnt(0)
	global_load_ubyte v12, v[10:11], off offset:904
	v_mov_b32_e32 v11, 0
	s_waitcnt vmcnt(0)
	v_cmp_ne_u16_e64 s[4:5], 0, v12
	s_and_saveexec_b64 s[40:41], s[4:5]
	s_cbranch_execz .LBB272_106
; %bb.101:                              ;   in Loop: Header=BB272_10 Depth=1
	v_cmp_ne_u16_e64 s[4:5], s50, v12
	v_bfrev_b32_e32 v11, 1
	s_and_saveexec_b64 s[42:43], s[4:5]
	s_cbranch_execz .LBB272_105
; %bb.102:                              ;   in Loop: Header=BB272_10 Depth=1
	v_and_b32_e32 v10, 0xffff, v12
	v_and_b32_e32 v37, 0x7f, v10
	v_cmp_ne_u32_e64 s[4:5], s51, v37
	v_mov_b32_e32 v11, 0x7f800001
	s_and_saveexec_b64 s[44:45], s[4:5]
	s_cbranch_execz .LBB272_104
; %bb.103:                              ;   in Loop: Header=BB272_10 Depth=1
	v_and_b32_e32 v38, 7, v10
	v_ffbh_u32_e32 v11, v38
	v_min_u32_e32 v40, 32, v11
	v_subrev_u32_e32 v11, 28, v40
	v_lshlrev_b64 v[10:11], v11, v[10:11]
	v_lshrrev_b32_e32 v39, 3, v37
	v_sub_u32_e32 v11, 29, v40
	v_and_b32_e32 v10, 7, v10
	v_cmp_gt_u32_e64 s[4:5], 8, v37
	v_cndmask_b32_e64 v11, v39, v11, s[4:5]
	v_cndmask_b32_e64 v10, v38, v10, s[4:5]
	v_lshlrev_b32_e32 v12, 24, v12
	v_lshlrev_b32_e32 v10, 20, v10
	v_and_b32_e32 v12, 0x80000000, v12
	v_lshl_add_u32 v11, v11, 23, v19
	v_or3_b32 v11, v12, v11, v10
.LBB272_104:                            ;   in Loop: Header=BB272_10 Depth=1
	s_or_b64 exec, exec, s[44:45]
.LBB272_105:                            ;   in Loop: Header=BB272_10 Depth=1
	s_or_b64 exec, exec, s[42:43]
.LBB272_106:                            ;   in Loop: Header=BB272_10 Depth=1
	s_or_b64 exec, exec, s[40:41]
	v_fma_mixlo_f16 v12, v21, v22, 0
	ds_read_u16 v10, v16
	v_and_b32_e32 v12, 0xffff, v12
	v_fma_mixlo_f16 v24, v21, v24, 0
	s_waitcnt lgkmcnt(0)
	;;#ASMSTART
	v_cvt_f32_f16 v10, v10;
	;;#ASMEND
	;;#ASMSTART
	v_cvt_f32_f16 v12, v12;
	;;#ASMEND
	ds_read_u16 v22, v16 offset:2
	v_and_b32_e32 v24, 0xffff, v24
	s_waitcnt lgkmcnt(0)
	;;#ASMSTART
	v_cvt_f32_f16 v22, v22;
	;;#ASMEND
	;;#ASMSTART
	v_cvt_f32_f16 v24, v24;
	;;#ASMEND
	v_fma_mixlo_f16 v23, v21, v23, 0
	v_fma_mixlo_f16 v26, v21, v26, 0
	;; [unrolled: 1-line block ×14, first 2 shown]
	v_mul_f32_e32 v21, v22, v24
	ds_read_u16 v37, v16 offset:4
	v_and_b32_e32 v23, 0xffff, v23
	v_fmac_f32_e32 v21, v10, v12
	s_waitcnt lgkmcnt(0)
	;;#ASMSTART
	v_cvt_f32_f16 v37, v37;
	;;#ASMEND
	;;#ASMSTART
	v_cvt_f32_f16 v23, v23;
	;;#ASMEND
	ds_read_u16 v38, v16 offset:6
	v_and_b32_e32 v26, 0xffff, v26
	v_fmac_f32_e32 v21, v37, v23
	s_waitcnt lgkmcnt(0)
	;;#ASMSTART
	v_cvt_f32_f16 v38, v38;
	;;#ASMEND
	;;#ASMSTART
	v_cvt_f32_f16 v26, v26;
	;;#ASMEND
	;; [unrolled: 10-line block ×10, first 2 shown]
	v_and_b32_e32 v12, 0xffff, v33
	v_fmac_f32_e32 v21, v46, v34
	ds_read_u16 v47, v16 offset:24
	s_waitcnt lgkmcnt(0)
	;;#ASMSTART
	v_cvt_f32_f16 v10, v47;
	;;#ASMEND
	;;#ASMSTART
	v_cvt_f32_f16 v12, v12;
	;;#ASMEND
	ds_read_u16 v22, v16 offset:26
	v_and_b32_e32 v23, 0xffff, v36
	v_fmac_f32_e32 v21, v10, v12
	s_waitcnt lgkmcnt(0)
	;;#ASMSTART
	v_cvt_f32_f16 v22, v22;
	;;#ASMEND
	;;#ASMSTART
	v_cvt_f32_f16 v23, v23;
	;;#ASMEND
	ds_read_u16 v24, v16 offset:28
	v_and_b32_e32 v25, 0xffff, v35
	v_fmac_f32_e32 v21, v22, v23
	s_waitcnt lgkmcnt(0)
	;;#ASMSTART
	v_cvt_f32_f16 v24, v24;
	;;#ASMEND
	;;#ASMSTART
	v_cvt_f32_f16 v25, v25;
	;;#ASMEND
	ds_read_u16 v26, v16 offset:30
	v_fmac_f32_e32 v21, v24, v25
	s_waitcnt lgkmcnt(0)
	;;#ASMSTART
	v_cvt_f32_f16 v10, v26;
	;;#ASMEND
	v_and_b32_e32 v11, 0xffff, v11
	;;#ASMSTART
	v_cvt_f32_f16 v11, v11;
	;;#ASMEND
	v_fmac_f32_e32 v21, v10, v11
	v_and_b32_e32 v10, 64, v5
	v_add_u32_e32 v10, 64, v10
	v_xor_b32_e32 v11, 4, v5
	v_cmp_lt_i32_e64 s[4:5], v11, v10
	v_cndmask_b32_e64 v11, v5, v11, s[4:5]
	v_lshlrev_b32_e32 v11, 2, v11
	ds_bpermute_b32 v11, v11, v21
	v_xor_b32_e32 v12, 2, v5
	v_cmp_lt_i32_e64 s[4:5], v12, v10
	v_cndmask_b32_e64 v12, v5, v12, s[4:5]
	v_lshlrev_b32_e32 v12, 2, v12
	s_waitcnt lgkmcnt(0)
	v_add_f32_e32 v11, v21, v11
	ds_bpermute_b32 v12, v12, v11
	s_waitcnt lgkmcnt(0)
	v_add_f32_e32 v11, v11, v12
	v_xor_b32_e32 v12, 1, v5
	v_cmp_lt_i32_e64 s[4:5], v12, v10
	v_cndmask_b32_e64 v12, v5, v12, s[4:5]
	v_lshlrev_b32_e32 v12, 2, v12
	ds_bpermute_b32 v12, v12, v11
	s_and_saveexec_b64 s[40:41], vcc
	s_cbranch_execz .LBB272_9
; %bb.107:                              ;   in Loop: Header=BB272_10 Depth=1
	v_add_u32_e32 v21, s49, v17
	v_cvt_f32_i32_e32 v21, v21
	s_waitcnt lgkmcnt(0)
	v_add_f32_e32 v11, v11, v12
	v_cmp_gt_i32_e64 s[4:5], s29, v17
	v_max_f32_e32 v12, v14, v14
	v_mul_f32_e32 v21, s47, v21
	v_cndmask_b32_e64 v21, 0, v21, s[2:3]
	v_fmac_f32_e32 v21, s11, v11
	v_cndmask_b32_e64 v11, 0, v21, s[4:5]
	ds_write_b32 v18, v11
	v_max_f32_e32 v11, v12, v21
	v_cndmask_b32_e64 v14, v14, v11, s[4:5]
	s_branch .LBB272_9
.LBB272_108:
	s_or_b64 exec, exec, s[18:19]
.LBB272_109:
	s_or_b64 exec, exec, s[38:39]
	v_xor_b32_e32 v4, 32, v5
	v_cmp_lt_i32_e32 vcc, v4, v10
	v_cndmask_b32_e32 v4, v5, v4, vcc
	v_lshlrev_b32_e32 v7, 2, v4
	ds_bpermute_b32 v4, v7, v14
	v_xor_b32_e32 v8, 16, v5
	v_max_f32_e32 v6, v14, v14
	v_cmp_lt_i32_e32 vcc, v8, v10
	v_and_b32_e32 v15, 63, v0
	s_waitcnt lgkmcnt(0)
	v_max_f32_e32 v4, v4, v4
	v_max_f32_e32 v4, v6, v4
	v_cndmask_b32_e32 v6, v5, v8, vcc
	v_lshlrev_b32_e32 v9, 2, v6
	ds_bpermute_b32 v6, v9, v4
	v_xor_b32_e32 v8, 8, v5
	v_cmp_lt_i32_e32 vcc, v8, v10
	s_waitcnt lgkmcnt(0)
	v_max_f32_e32 v6, v6, v6
	v_max_f32_e32 v6, v4, v6
	v_cndmask_b32_e32 v4, v5, v8, vcc
	v_lshlrev_b32_e32 v11, 2, v4
	ds_bpermute_b32 v8, v11, v6
	v_cmp_eq_u32_e32 vcc, 0, v15
	v_lshlrev_b32_e32 v4, 2, v13
	s_and_saveexec_b64 s[2:3], vcc
	s_cbranch_execz .LBB272_111
; %bb.110:
	s_waitcnt lgkmcnt(0)
	v_max_f32_e32 v8, v8, v8
	v_max_f32_e32 v6, v6, v6
	;; [unrolled: 1-line block ×3, first 2 shown]
	ds_write_b32 v4, v6 offset:256
.LBB272_111:
	s_or_b64 exec, exec, s[2:3]
	v_cmp_gt_u32_e64 s[2:3], 2, v15
	v_mov_b32_e32 v6, 0xff7fffff
	s_waitcnt lgkmcnt(0)
	v_lshlrev_b32_e32 v8, 2, v15
	s_barrier
	s_and_saveexec_b64 s[4:5], s[2:3]
	s_cbranch_execz .LBB272_113
; %bb.112:
	ds_read_b32 v6, v8 offset:256
.LBB272_113:
	s_or_b64 exec, exec, s[4:5]
	v_xor_b32_e32 v12, 1, v5
	v_cmp_lt_i32_e64 s[4:5], v12, v10
	v_cndmask_b32_e64 v12, v5, v12, s[4:5]
	v_lshlrev_b32_e32 v12, 2, v12
	s_waitcnt lgkmcnt(0)
	ds_bpermute_b32 v14, v12, v6
	v_max_f32_e32 v6, v6, v6
	s_sub_i32 s4, s33, s10
	s_lshl_b32 s4, s4, 3
	s_add_i32 s4, s4, s46
	s_waitcnt lgkmcnt(0)
	v_max_f32_e32 v14, v14, v14
	v_max_f32_e32 v6, v6, v14
	v_lshlrev_b32_e32 v14, 2, v5
	v_and_b32_e32 v14, 0xffffff00, v14
	ds_bpermute_b32 v6, v14, v6
	s_min_i32 s39, s4, s29
	s_sub_i32 s38, s39, s46
	v_cmp_gt_i32_e64 s[4:5], s38, v0
	v_mov_b32_e32 v16, 0
	s_and_saveexec_b64 s[12:13], s[4:5]
	s_cbranch_execz .LBB272_117
; %bb.114:
	v_mov_b32_e32 v16, 0x110
	v_lshl_add_u32 v17, v0, 2, v16
	s_mov_b64 s[18:19], 0
	v_mov_b32_e32 v16, 0
	v_mov_b32_e32 v18, v0
.LBB272_115:                            ; =>This Inner Loop Header: Depth=1
	ds_read_b32 v19, v17
	v_add_u32_e32 v18, 0x80, v18
	v_cmp_le_i32_e64 s[10:11], s38, v18
	s_or_b64 s[18:19], s[10:11], s[18:19]
	s_waitcnt lgkmcnt(0)
	v_sub_f32_e32 v19, v19, v6
	v_mul_f32_e32 v19, 0x3fb8aa3b, v19
	v_exp_f32_e32 v19, v19
	ds_write_b32 v17, v19
	v_add_f32_e32 v16, v16, v19
	v_add_u32_e32 v17, 0x200, v17
	s_andn2_b64 exec, exec, s[18:19]
	s_cbranch_execnz .LBB272_115
; %bb.116:
	s_or_b64 exec, exec, s[18:19]
.LBB272_117:
	s_or_b64 exec, exec, s[12:13]
	ds_bpermute_b32 v7, v7, v16
	s_waitcnt lgkmcnt(0)
	v_add_f32_e32 v7, v16, v7
	ds_bpermute_b32 v9, v9, v7
	s_waitcnt lgkmcnt(0)
	v_add_f32_e32 v7, v7, v9
	ds_bpermute_b32 v9, v11, v7
	v_xor_b32_e32 v11, 4, v5
	v_cmp_lt_i32_e64 s[10:11], v11, v10
	v_cndmask_b32_e64 v11, v5, v11, s[10:11]
	v_lshlrev_b32_e32 v11, 2, v11
	s_waitcnt lgkmcnt(0)
	v_add_f32_e32 v7, v7, v9
	ds_bpermute_b32 v9, v11, v7
	v_xor_b32_e32 v11, 2, v5
	v_cmp_lt_i32_e64 s[10:11], v11, v10
	v_cndmask_b32_e64 v5, v5, v11, s[10:11]
	v_lshlrev_b32_e32 v5, 2, v5
	s_waitcnt lgkmcnt(0)
	v_add_f32_e32 v7, v7, v9
	ds_bpermute_b32 v5, v5, v7
	s_waitcnt lgkmcnt(0)
	v_add_f32_e32 v5, v7, v5
	ds_bpermute_b32 v7, v12, v5
	s_waitcnt lgkmcnt(0)
	v_add_f32_e32 v5, v5, v7
	s_and_saveexec_b64 s[10:11], vcc
	s_cbranch_execz .LBB272_119
; %bb.118:
	ds_write_b32 v4, v5 offset:264
.LBB272_119:
	s_or_b64 exec, exec, s[10:11]
	s_waitcnt lgkmcnt(0)
	s_barrier
	s_and_saveexec_b64 s[10:11], s[2:3]
	s_cbranch_execz .LBB272_121
; %bb.120:
	ds_read_b32 v5, v8 offset:264
.LBB272_121:
	s_or_b64 exec, exec, s[10:11]
	s_waitcnt lgkmcnt(0)
	ds_bpermute_b32 v4, v12, v5
	s_waitcnt lgkmcnt(0)
	v_add_f32_e32 v4, v5, v4
	ds_bpermute_b32 v7, v14, v4
	s_and_saveexec_b64 s[2:3], s[4:5]
	s_cbranch_execz .LBB272_134
; %bb.122:
	s_waitcnt lgkmcnt(0)
	v_add_f32_e32 v4, 0x358637bd, v7
	v_div_scale_f32 v5, s[4:5], v4, v4, 1.0
	v_rcp_f32_e32 v8, v5
	v_div_scale_f32 v9, vcc, 1.0, v4, 1.0
	s_movk_i32 s4, 0x7f
	v_fma_f32 v10, -v5, v8, 1.0
	v_fmac_f32_e32 v8, v10, v8
	v_mul_f32_e32 v10, v9, v8
	v_fma_f32 v11, -v5, v10, v9
	v_fmac_f32_e32 v10, v11, v8
	v_fma_f32 v5, -v5, v10, v9
	v_div_fmas_f32 v5, v5, v8, v10
	v_div_fixup_f32 v4, v5, v4, 1.0
	v_xad_u32 v5, v0, -1, s39
	v_subrev_u32_e32 v8, s46, v5
	v_cmp_lt_u32_e32 vcc, s4, v8
	s_mov_b64 s[10:11], -1
	v_mov_b32_e32 v5, v0
	s_and_saveexec_b64 s[4:5], vcc
	s_cbranch_execz .LBB272_131
; %bb.123:
	v_lshrrev_b32_e32 v8, 7, v8
	v_add_u32_e32 v10, -1, v8
	v_lshrrev_b32_e32 v9, 1, v10
	v_mov_b32_e32 v5, v4
	v_add_u32_e32 v9, 1, v9
	v_cmp_lt_u32_e32 vcc, 13, v10
	v_mov_b32_e32 v12, 0
	s_and_saveexec_b64 s[10:11], vcc
	s_cbranch_execz .LBB272_127
; %bb.124:
	v_mov_b32_e32 v11, 0x110
	v_and_b32_e32 v10, -8, v9
	v_lshl_add_u32 v11, v0, 2, v11
	s_mov_b32 s18, 0
	s_mov_b64 s[12:13], 0
.LBB272_125:                            ; =>This Inner Loop Header: Depth=1
	ds_read2st64_b32 v[16:17], v11 offset1:2
	ds_read2st64_b32 v[18:19], v11 offset0:4 offset1:6
	ds_read2st64_b32 v[20:21], v11 offset0:8 offset1:10
	;; [unrolled: 1-line block ×3, first 2 shown]
	v_add_u32_e32 v10, -8, v10
	s_waitcnt lgkmcnt(3)
	v_pk_mul_f32 v[16:17], v[4:5], v[16:17]
	s_waitcnt lgkmcnt(2)
	v_pk_mul_f32 v[18:19], v[4:5], v[18:19]
	ds_write2st64_b32 v11, v16, v17 offset1:2
	ds_write2st64_b32 v11, v18, v19 offset0:4 offset1:6
	ds_read2st64_b32 v[18:19], v11 offset0:16 offset1:18
	s_waitcnt lgkmcnt(4)
	v_pk_mul_f32 v[16:17], v[4:5], v[20:21]
	ds_write2st64_b32 v11, v16, v17 offset0:8 offset1:10
	s_waitcnt lgkmcnt(4)
	v_pk_mul_f32 v[16:17], v[4:5], v[22:23]
	ds_write2st64_b32 v11, v16, v17 offset0:12 offset1:14
	ds_read2st64_b32 v[16:17], v11 offset0:20 offset1:22
	s_waitcnt lgkmcnt(3)
	v_pk_mul_f32 v[18:19], v[4:5], v[18:19]
	ds_read2st64_b32 v[20:21], v11 offset0:24 offset1:26
	ds_write2st64_b32 v11, v18, v19 offset0:16 offset1:18
	ds_read2st64_b32 v[18:19], v11 offset0:28 offset1:30
	s_waitcnt lgkmcnt(3)
	v_pk_mul_f32 v[16:17], v[4:5], v[16:17]
	ds_write2st64_b32 v11, v16, v17 offset0:20 offset1:22
	s_waitcnt lgkmcnt(3)
	v_pk_mul_f32 v[16:17], v[4:5], v[20:21]
	ds_write2st64_b32 v11, v16, v17 offset0:24 offset1:26
	s_waitcnt lgkmcnt(2)
	v_pk_mul_f32 v[16:17], v[4:5], v[18:19]
	s_add_i32 s18, s18, 16
	v_cmp_eq_u32_e32 vcc, 0, v10
	ds_write2st64_b32 v11, v16, v17 offset0:28 offset1:30
	v_add_u32_e32 v11, 0x2000, v11
	s_or_b64 s[12:13], vcc, s[12:13]
	v_mov_b32_e32 v12, s18
	s_andn2_b64 exec, exec, s[12:13]
	s_cbranch_execnz .LBB272_125
; %bb.126:
	s_or_b64 exec, exec, s[12:13]
.LBB272_127:
	s_or_b64 exec, exec, s[10:11]
	v_and_b32_e32 v9, 7, v9
	v_cmp_ne_u32_e32 vcc, 0, v9
	s_and_saveexec_b64 s[10:11], vcc
	s_cbranch_execz .LBB272_130
; %bb.128:
	v_lshlrev_b32_e32 v10, 9, v12
	v_lshlrev_b32_e32 v11, 2, v0
	s_movk_i32 s12, 0x110
	v_add3_u32 v10, v10, v11, s12
	s_mov_b64 s[12:13], 0
.LBB272_129:                            ; =>This Inner Loop Header: Depth=1
	ds_read2st64_b32 v[16:17], v10 offset1:2
	v_add_u32_e32 v9, -1, v9
	v_cmp_eq_u32_e32 vcc, 0, v9
	s_or_b64 s[12:13], vcc, s[12:13]
	s_waitcnt lgkmcnt(0)
	v_pk_mul_f32 v[16:17], v[4:5], v[16:17]
	ds_write2st64_b32 v10, v16, v17 offset1:2
	v_add_u32_e32 v10, 0x400, v10
	s_andn2_b64 exec, exec, s[12:13]
	s_cbranch_execnz .LBB272_129
.LBB272_130:
	s_or_b64 exec, exec, s[10:11]
	v_add_u32_e32 v8, 1, v8
	v_and_b32_e32 v9, 0x3fffffe, v8
	v_cmp_ne_u32_e32 vcc, v8, v9
	v_lshl_add_u32 v5, v9, 7, v0
	s_orn2_b64 s[10:11], vcc, exec
.LBB272_131:
	s_or_b64 exec, exec, s[4:5]
	s_and_b64 exec, exec, s[10:11]
	s_cbranch_execz .LBB272_134
; %bb.132:
	v_mov_b32_e32 v8, 0x110
	v_lshl_add_u32 v8, v5, 2, v8
	s_mov_b64 s[4:5], 0
.LBB272_133:                            ; =>This Inner Loop Header: Depth=1
	ds_read_b32 v9, v8
	v_add_u32_e32 v5, 0x80, v5
	v_cmp_le_i32_e32 vcc, s38, v5
	s_or_b64 s[4:5], vcc, s[4:5]
	s_waitcnt lgkmcnt(0)
	v_mul_f32_e32 v9, v4, v9
	ds_write_b32 v8, v9
	v_add_u32_e32 v8, 0x200, v8
	s_andn2_b64 exec, exec, s[4:5]
	s_cbranch_execnz .LBB272_133
.LBB272_134:
	s_or_b64 exec, exec, s[2:3]
	s_mul_i32 s2, s25, s28
	s_mov_b32 s4, 0
	v_cmp_eq_u32_e32 vcc, 0, v0
	s_mul_i32 s2, s2, s9
	s_waitcnt lgkmcnt(0)
	s_barrier
	s_and_saveexec_b64 s[10:11], vcc
	s_cbranch_execz .LBB272_136
; %bb.135:
	s_ashr_i32 s3, s2, 31
	s_lshl_b64 s[12:13], s[2:3], 2
	s_add_u32 s3, s22, s12
	s_mul_i32 s18, s25, s6
	s_addc_u32 s5, s23, s13
	s_ashr_i32 s19, s18, 31
	s_lshl_b64 s[18:19], s[18:19], 2
	s_add_u32 s3, s3, s18
	s_addc_u32 s5, s5, s19
	s_ashr_i32 s9, s8, 31
	s_lshl_b64 s[22:23], s[8:9], 2
	s_add_u32 s38, s3, s22
	s_addc_u32 s39, s5, s23
	s_add_u32 s3, s20, s12
	s_addc_u32 s5, s21, s13
	;; [unrolled: 2-line block ×3, first 2 shown]
	s_add_u32 s12, s3, s22
	v_mov_b32_e32 v4, 0
	s_addc_u32 s13, s5, s23
	global_store_dword v4, v6, s[38:39]
	global_store_dword v4, v7, s[12:13]
.LBB272_136:
	s_or_b64 exec, exec, s[10:11]
	s_mov_b32 s5, s4
	v_pk_mov_b32 v[4:5], s[4:5], s[4:5] op_sel:[0,1]
	s_and_saveexec_b64 s[4:5], s[0:1]
	s_cbranch_execz .LBB272_240
; %bb.137:
	s_ashr_i32 s0, s7, 31
	s_add_u32 s1, s36, s7
	s_addc_u32 s0, s37, s0
	v_lshlrev_b32_e32 v4, 3, v15
	s_add_i32 s9, s16, -1
	v_mov_b32_e32 v5, s0
	v_add_co_u32_e32 v8, vcc, s1, v4
	s_lshl_b64 s[0:1], s[34:35], 2
	v_mov_b32_e32 v4, 0x110
	s_add_u32 s0, s30, s0
	v_addc_co_u32_e32 v9, vcc, 0, v5, vcc
	v_lshl_add_u32 v23, v13, 5, v4
	v_lshlrev_b64 v[4:5], 2, v[2:3]
	s_addc_u32 s1, s31, s1
	s_mov_b32 s6, -1
	v_mov_b32_e32 v3, s1
	v_add_co_u32_e32 v10, vcc, s0, v4
	s_mov_b32 s3, s17
	s_mov_b32 s7, 0xffffff
	v_mov_b32_e32 v7, 0
	s_mov_b32 s20, s29
	v_lshl_add_u32 v22, v13, 3, s46
	v_addc_co_u32_e32 v11, vcc, v3, v5, vcc
	s_mov_b64 s[10:11], 0
	v_mov_b32_e32 v5, 0
	s_movk_i32 s21, 0x80
	s_movk_i32 s22, 0x7f
	s_mov_b32 s23, 0x8000
	s_movk_i32 s28, 0x380
	s_mov_b32 s30, 0x3020706
	s_mov_b32 s31, 0x1000504
	;; [unrolled: 1-line block ×3, first 2 shown]
	v_mov_b32_e32 v3, 0x2000
	v_mov_b32_e32 v4, 0
	s_branch .LBB272_139
.LBB272_138:                            ;   in Loop: Header=BB272_139 Depth=1
	s_or_b64 exec, exec, s[0:1]
	;;#ASMSTART
	v_pk_mul_f16 v12, v29, v12;

	;;#ASMEND
	;;#ASMSTART
	v_pk_mul_f16 v6, v30, v6;

	;;#ASMEND
	;; [unrolled: 4-line block ×4, first 2 shown]
	;;#ASMSTART
	v_pk_add_f16 v6, v12, v6;

	;;#ASMEND
	;;#ASMSTART
	v_pk_add_f16 v6, v6, v13;

	;;#ASMEND
	;;#ASMSTART
	v_pk_add_f16 v6, v6, v14;

	;;#ASMEND
	v_lshrrev_b32_e32 v12, 16, v6
	v_and_b32_e32 v6, 0xffff, v6
	v_add_u32_e32 v2, 2, v2
	;;#ASMSTART
	v_cvt_f32_f16 v6, v6;
	;;#ASMEND
	v_cmp_le_i32_e32 vcc, s33, v2
	v_add_f32_e32 v16, v33, v34
	;;#ASMSTART
	v_cvt_f32_f16 v12, v12;
	;;#ASMEND
	v_add_f32_e32 v6, v6, v12
	s_or_b64 s[10:11], vcc, s[10:11]
	v_add_co_u32_e32 v10, vcc, 8, v10
	v_add_f32_e32 v4, v4, v16
	v_add_f32_e32 v5, v5, v6
	v_add_u32_e32 v22, 16, v22
	v_add_u32_e32 v23, 64, v23
	v_addc_co_u32_e32 v11, vcc, 0, v11, vcc
	s_andn2_b64 exec, exec, s[10:11]
	s_cbranch_execz .LBB272_239
.LBB272_139:                            ; =>This Inner Loop Header: Depth=1
	global_load_dword v6, v[10:11], off
	ds_read2_b64 v[16:19], v23 offset1:1
	ds_read2_b64 v[24:27], v23 offset0:2 offset1:3
	s_waitcnt lgkmcnt(1)
	;;#ASMSTART
	v_cvt_f16_f32 v29, v16;

	;;#ASMEND
	;;#ASMSTART
	v_cvt_f16_f32 v30, v17;

	;;#ASMEND
	;; [unrolled: 4-line block ×4, first 2 shown]
	s_waitcnt lgkmcnt(0)
	;;#ASMSTART
	v_cvt_f16_f32 v33, v24;

	;;#ASMEND
	;;#ASMSTART
	v_cvt_f16_f32 v34, v25;

	;;#ASMEND
	;; [unrolled: 4-line block ×4, first 2 shown]
	v_mov_b32_e32 v16, 0
	s_waitcnt vmcnt(0)
	v_mad_i64_i32 v[12:13], s[0:1], v6, s3, v[8:9]
	global_load_dwordx2 v[18:19], v[12:13], off
	global_load_dword v14, v7, s[14:15]
	s_waitcnt vmcnt(1)
	v_cmp_ne_u16_sdwa s[12:13], v18, v7 src0_sel:BYTE_0 src1_sel:DWORD
	s_and_saveexec_b64 s[0:1], s[12:13]
	s_cbranch_execz .LBB272_145
; %bb.140:                              ;   in Loop: Header=BB272_139 Depth=1
	v_cmp_ne_u16_sdwa s[16:17], v18, s21 src0_sel:BYTE_0 src1_sel:DWORD
	v_bfrev_b32_e32 v16, 1
	s_and_saveexec_b64 s[12:13], s[16:17]
	s_cbranch_execz .LBB272_144
; %bb.141:                              ;   in Loop: Header=BB272_139 Depth=1
	v_and_b32_e32 v6, 0x7f, v18
	v_cmp_ne_u32_e32 vcc, s22, v6
	v_mov_b32_e32 v16, 0x7fc02000
	s_and_saveexec_b64 s[16:17], vcc
	s_cbranch_execz .LBB272_143
; %bb.142:                              ;   in Loop: Header=BB272_139 Depth=1
	v_and_b32_e32 v16, 7, v18
	v_ffbh_u32_e32 v16, v16
	v_min_u32_e32 v16, 32, v16
	v_subrev_u32_e32 v17, 28, v16
	v_cmp_gt_u32_e32 vcc, 8, v6
	v_lshrrev_b32_e32 v20, 3, v6
	v_sub_u32_e32 v21, 29, v16
	v_cndmask_b32_e32 v6, 0, v17, vcc
	v_lshlrev_b64 v[16:17], v6, v[18:19]
	v_cndmask_b32_e32 v6, v20, v21, vcc
	v_lshlrev_b32_e32 v17, 8, v18
	v_lshl_add_u32 v6, v6, 10, v3
	v_lshlrev_b32_e32 v16, 7, v16
	v_and_or_b32 v6, v17, s23, v6
	v_and_or_b32 v6, v16, s28, v6
	v_cvt_f32_f16_e32 v16, v6
.LBB272_143:                            ;   in Loop: Header=BB272_139 Depth=1
	s_or_b64 exec, exec, s[16:17]
.LBB272_144:                            ;   in Loop: Header=BB272_139 Depth=1
	s_or_b64 exec, exec, s[12:13]
.LBB272_145:                            ;   in Loop: Header=BB272_139 Depth=1
	s_or_b64 exec, exec, s[0:1]
	v_lshrrev_b16_e32 v6, 8, v18
	v_cmp_ne_u16_e32 vcc, 0, v6
	v_mov_b32_e32 v17, 0
	v_mov_b32_e32 v20, 0
	s_and_saveexec_b64 s[0:1], vcc
	s_cbranch_execz .LBB272_151
; %bb.146:                              ;   in Loop: Header=BB272_139 Depth=1
	v_cmp_ne_u16_e32 vcc, s21, v6
	v_bfrev_b32_e32 v20, 1
	s_and_saveexec_b64 s[12:13], vcc
	s_cbranch_execz .LBB272_150
; %bb.147:                              ;   in Loop: Header=BB272_139 Depth=1
	v_and_b32_e32 v21, 0x7f, v6
	v_cmp_ne_u32_e32 vcc, s22, v21
	v_mov_b32_e32 v20, 0x7fc02000
	s_and_saveexec_b64 s[16:17], vcc
	s_cbranch_execz .LBB272_149
; %bb.148:                              ;   in Loop: Header=BB272_139 Depth=1
	v_and_b32_e32 v20, 7, v6
	v_ffbh_u32_e32 v24, v20
	v_min_u32_e32 v27, 32, v24
	v_subrev_u32_e32 v24, 28, v27
	v_lshlrev_b64 v[24:25], v24, v[6:7]
	v_lshrrev_b32_e32 v26, 3, v21
	v_sub_u32_e32 v25, 29, v27
	v_cmp_gt_u32_e32 vcc, 8, v21
	v_cndmask_b32_e32 v21, v26, v25, vcc
	v_and_b32_e32 v24, 7, v24
	v_lshlrev_b32_e32 v6, 8, v6
	v_lshl_add_u32 v21, v21, 10, v3
	v_cndmask_b32_e32 v20, v20, v24, vcc
	v_and_or_b32 v6, v6, s23, v21
	v_lshl_or_b32 v6, v20, 7, v6
	v_cvt_f32_f16_e32 v20, v6
.LBB272_149:                            ;   in Loop: Header=BB272_139 Depth=1
	s_or_b64 exec, exec, s[16:17]
.LBB272_150:                            ;   in Loop: Header=BB272_139 Depth=1
	s_or_b64 exec, exec, s[12:13]
.LBB272_151:                            ;   in Loop: Header=BB272_139 Depth=1
	s_or_b64 exec, exec, s[0:1]
	v_lshrrev_b32_e32 v6, 16, v18
	v_cmp_ne_u16_sdwa s[12:13], v6, v7 src0_sel:BYTE_0 src1_sel:DWORD
	s_and_saveexec_b64 s[0:1], s[12:13]
	s_cbranch_execz .LBB272_157
; %bb.152:                              ;   in Loop: Header=BB272_139 Depth=1
	v_cmp_ne_u16_sdwa s[16:17], v6, s21 src0_sel:BYTE_0 src1_sel:DWORD
	v_bfrev_b32_e32 v17, 1
	s_and_saveexec_b64 s[12:13], s[16:17]
	s_cbranch_execz .LBB272_156
; %bb.153:                              ;   in Loop: Header=BB272_139 Depth=1
	v_bfe_u32 v21, v18, 16, 7
	v_cmp_ne_u32_e32 vcc, s22, v21
	v_mov_b32_e32 v17, 0x7fc02000
	s_and_saveexec_b64 s[16:17], vcc
	s_cbranch_execz .LBB272_155
; %bb.154:                              ;   in Loop: Header=BB272_139 Depth=1
	v_and_b32_e32 v17, 7, v6
	v_ffbh_u32_e32 v24, v17
	v_min_u32_e32 v27, 32, v24
	v_subrev_u32_e32 v24, 28, v27
	v_lshlrev_b64 v[24:25], v24, v[6:7]
	v_lshrrev_b32_e32 v26, 3, v21
	v_sub_u32_e32 v25, 29, v27
	v_cmp_gt_u32_e32 vcc, 8, v21
	v_cndmask_b32_e32 v21, v26, v25, vcc
	v_and_b32_e32 v24, 7, v24
	v_lshlrev_b32_e32 v6, 8, v6
	v_lshl_add_u32 v21, v21, 10, v3
	v_cndmask_b32_e32 v17, v17, v24, vcc
	v_and_or_b32 v6, v6, s23, v21
	v_lshl_or_b32 v6, v17, 7, v6
	v_cvt_f32_f16_e32 v17, v6
.LBB272_155:                            ;   in Loop: Header=BB272_139 Depth=1
	s_or_b64 exec, exec, s[16:17]
.LBB272_156:                            ;   in Loop: Header=BB272_139 Depth=1
	s_or_b64 exec, exec, s[12:13]
.LBB272_157:                            ;   in Loop: Header=BB272_139 Depth=1
	s_or_b64 exec, exec, s[0:1]
	v_cmp_lt_u32_e32 vcc, s7, v18
	v_mov_b32_e32 v24, 0
	v_mov_b32_e32 v21, 0
	s_and_saveexec_b64 s[0:1], vcc
	s_cbranch_execz .LBB272_163
; %bb.158:                              ;   in Loop: Header=BB272_139 Depth=1
	v_lshrrev_b32_e32 v6, 24, v18
	v_cmp_ne_u32_e32 vcc, s21, v6
	v_bfrev_b32_e32 v21, 1
	s_and_saveexec_b64 s[12:13], vcc
	s_cbranch_execz .LBB272_162
; %bb.159:                              ;   in Loop: Header=BB272_139 Depth=1
	v_and_b32_e32 v25, 0x7f, v6
	v_cmp_ne_u32_e32 vcc, s22, v25
	v_mov_b32_e32 v21, 0x7fc02000
	s_and_saveexec_b64 s[16:17], vcc
	s_cbranch_execz .LBB272_161
; %bb.160:                              ;   in Loop: Header=BB272_139 Depth=1
	v_and_b32_e32 v21, 7, v6
	v_ffbh_u32_e32 v26, v21
	v_min_u32_e32 v37, 32, v26
	v_subrev_u32_e32 v26, 28, v37
	v_lshlrev_b64 v[26:27], v26, v[6:7]
	v_lshrrev_b32_e32 v28, 3, v25
	v_sub_u32_e32 v27, 29, v37
	v_cmp_gt_u32_e32 vcc, 8, v25
	v_cndmask_b32_e32 v25, v28, v27, vcc
	v_and_b32_e32 v26, 7, v26
	v_lshlrev_b32_e32 v6, 8, v6
	v_lshl_add_u32 v25, v25, 10, v3
	v_cndmask_b32_e32 v21, v21, v26, vcc
	v_and_or_b32 v6, v6, s23, v25
	v_lshl_or_b32 v6, v21, 7, v6
	v_cvt_f32_f16_e32 v21, v6
.LBB272_161:                            ;   in Loop: Header=BB272_139 Depth=1
	s_or_b64 exec, exec, s[16:17]
.LBB272_162:                            ;   in Loop: Header=BB272_139 Depth=1
	s_or_b64 exec, exec, s[12:13]
.LBB272_163:                            ;   in Loop: Header=BB272_139 Depth=1
	s_or_b64 exec, exec, s[0:1]
	v_mov_b32_e32 v6, v19
	v_cmp_ne_u16_sdwa s[12:13], v19, v7 src0_sel:BYTE_0 src1_sel:DWORD
	s_and_saveexec_b64 s[0:1], s[12:13]
	s_cbranch_execz .LBB272_169
; %bb.164:                              ;   in Loop: Header=BB272_139 Depth=1
	v_cmp_ne_u16_sdwa s[16:17], v19, s21 src0_sel:BYTE_0 src1_sel:DWORD
	v_bfrev_b32_e32 v24, 1
	s_and_saveexec_b64 s[12:13], s[16:17]
	s_cbranch_execz .LBB272_168
; %bb.165:                              ;   in Loop: Header=BB272_139 Depth=1
	v_and_b32_e32 v25, 0x7f, v19
	v_cmp_ne_u32_e32 vcc, s22, v25
	v_mov_b32_e32 v24, 0x7fc02000
	s_and_saveexec_b64 s[16:17], vcc
	s_cbranch_execz .LBB272_167
; %bb.166:                              ;   in Loop: Header=BB272_139 Depth=1
	v_and_b32_e32 v24, 7, v19
	v_ffbh_u32_e32 v24, v24
	v_min_u32_e32 v24, 32, v24
	v_subrev_u32_e32 v27, 28, v24
	v_cmp_gt_u32_e32 vcc, 8, v25
	v_sub_u32_e32 v28, 29, v24
	v_cndmask_b32_e32 v24, 0, v27, vcc
	v_lshrrev_b32_e32 v26, 3, v25
	v_lshlrev_b64 v[24:25], v24, v[6:7]
	v_cndmask_b32_e32 v25, v26, v28, vcc
	v_lshlrev_b32_e32 v26, 8, v19
	v_lshl_add_u32 v25, v25, 10, v3
	v_lshlrev_b32_e32 v24, 7, v24
	v_and_or_b32 v25, v26, s23, v25
	v_and_or_b32 v24, v24, s28, v25
	v_cvt_f32_f16_e32 v24, v24
.LBB272_167:                            ;   in Loop: Header=BB272_139 Depth=1
	s_or_b64 exec, exec, s[16:17]
.LBB272_168:                            ;   in Loop: Header=BB272_139 Depth=1
	s_or_b64 exec, exec, s[12:13]
.LBB272_169:                            ;   in Loop: Header=BB272_139 Depth=1
	s_or_b64 exec, exec, s[0:1]
	v_lshrrev_b16_e32 v6, 8, v6
	v_cmp_ne_u16_e32 vcc, 0, v6
	v_mov_b32_e32 v25, 0
	v_mov_b32_e32 v26, 0
	s_and_saveexec_b64 s[0:1], vcc
	s_cbranch_execz .LBB272_175
; %bb.170:                              ;   in Loop: Header=BB272_139 Depth=1
	v_cmp_ne_u16_e32 vcc, s21, v6
	v_bfrev_b32_e32 v26, 1
	s_and_saveexec_b64 s[12:13], vcc
	s_cbranch_execz .LBB272_174
; %bb.171:                              ;   in Loop: Header=BB272_139 Depth=1
	v_and_b32_e32 v27, 0x7f, v6
	v_cmp_ne_u32_e32 vcc, s22, v27
	v_mov_b32_e32 v26, 0x7fc02000
	s_and_saveexec_b64 s[16:17], vcc
	s_cbranch_execz .LBB272_173
; %bb.172:                              ;   in Loop: Header=BB272_139 Depth=1
	v_and_b32_e32 v26, 7, v6
	v_ffbh_u32_e32 v37, v26
	v_min_u32_e32 v37, 32, v37
	v_lshrrev_b32_e32 v28, 3, v27
	v_subrev_u32_e32 v38, 28, v37
	v_sub_u32_e32 v37, 29, v37
	v_cmp_gt_u32_e32 vcc, 8, v27
	v_lshlrev_b64 v[38:39], v38, v[6:7]
	v_cndmask_b32_e32 v27, v28, v37, vcc
	v_and_b32_e32 v38, 7, v38
	v_lshlrev_b32_e32 v6, 8, v6
	v_lshl_add_u32 v27, v27, 10, v3
	v_cndmask_b32_e32 v26, v26, v38, vcc
	v_and_or_b32 v6, v6, s23, v27
	v_lshl_or_b32 v6, v26, 7, v6
	v_cvt_f32_f16_e32 v26, v6
.LBB272_173:                            ;   in Loop: Header=BB272_139 Depth=1
	s_or_b64 exec, exec, s[16:17]
.LBB272_174:                            ;   in Loop: Header=BB272_139 Depth=1
	s_or_b64 exec, exec, s[12:13]
.LBB272_175:                            ;   in Loop: Header=BB272_139 Depth=1
	s_or_b64 exec, exec, s[0:1]
	v_lshrrev_b32_e32 v6, 16, v19
	v_cmp_ne_u16_sdwa s[12:13], v6, v7 src0_sel:BYTE_0 src1_sel:DWORD
	s_and_saveexec_b64 s[0:1], s[12:13]
	s_cbranch_execz .LBB272_181
; %bb.176:                              ;   in Loop: Header=BB272_139 Depth=1
	v_cmp_ne_u16_sdwa s[16:17], v6, s21 src0_sel:BYTE_0 src1_sel:DWORD
	v_bfrev_b32_e32 v25, 1
	s_and_saveexec_b64 s[12:13], s[16:17]
	s_cbranch_execz .LBB272_180
; %bb.177:                              ;   in Loop: Header=BB272_139 Depth=1
	v_bfe_u32 v27, v19, 16, 7
	v_cmp_ne_u32_e32 vcc, s22, v27
	v_mov_b32_e32 v25, 0x7fc02000
	s_and_saveexec_b64 s[16:17], vcc
	s_cbranch_execz .LBB272_179
; %bb.178:                              ;   in Loop: Header=BB272_139 Depth=1
	v_and_b32_e32 v25, 7, v6
	v_ffbh_u32_e32 v37, v25
	v_min_u32_e32 v37, 32, v37
	v_lshrrev_b32_e32 v28, 3, v27
	v_subrev_u32_e32 v38, 28, v37
	v_sub_u32_e32 v37, 29, v37
	v_cmp_gt_u32_e32 vcc, 8, v27
	v_lshlrev_b64 v[38:39], v38, v[6:7]
	v_cndmask_b32_e32 v27, v28, v37, vcc
	v_and_b32_e32 v38, 7, v38
	v_lshlrev_b32_e32 v6, 8, v6
	v_lshl_add_u32 v27, v27, 10, v3
	v_cndmask_b32_e32 v25, v25, v38, vcc
	v_and_or_b32 v6, v6, s23, v27
	v_lshl_or_b32 v6, v25, 7, v6
	v_cvt_f32_f16_e32 v25, v6
.LBB272_179:                            ;   in Loop: Header=BB272_139 Depth=1
	s_or_b64 exec, exec, s[16:17]
.LBB272_180:                            ;   in Loop: Header=BB272_139 Depth=1
	s_or_b64 exec, exec, s[12:13]
.LBB272_181:                            ;   in Loop: Header=BB272_139 Depth=1
	s_or_b64 exec, exec, s[0:1]
	v_cmp_lt_u64_e32 vcc, s[6:7], v[18:19]
	v_mov_b32_e32 v18, 0
	s_and_saveexec_b64 s[0:1], vcc
	s_cbranch_execz .LBB272_187
; %bb.182:                              ;   in Loop: Header=BB272_139 Depth=1
	v_lshrrev_b32_e32 v6, 24, v19
	v_cmp_ne_u32_e32 vcc, s21, v6
	v_bfrev_b32_e32 v18, 1
	s_and_saveexec_b64 s[12:13], vcc
	s_cbranch_execz .LBB272_186
; %bb.183:                              ;   in Loop: Header=BB272_139 Depth=1
	v_and_b32_e32 v19, 0x7f, v6
	v_cmp_ne_u32_e32 vcc, s22, v19
	v_mov_b32_e32 v18, 0x7fc02000
	s_and_saveexec_b64 s[16:17], vcc
	s_cbranch_execz .LBB272_185
; %bb.184:                              ;   in Loop: Header=BB272_139 Depth=1
	v_and_b32_e32 v18, 7, v6
	v_ffbh_u32_e32 v28, v18
	v_min_u32_e32 v28, 32, v28
	v_lshrrev_b32_e32 v27, 3, v19
	v_subrev_u32_e32 v37, 28, v28
	v_sub_u32_e32 v28, 29, v28
	v_cmp_gt_u32_e32 vcc, 8, v19
	v_lshlrev_b64 v[38:39], v37, v[6:7]
	v_cndmask_b32_e32 v19, v27, v28, vcc
	v_and_b32_e32 v37, 7, v38
	v_lshlrev_b32_e32 v6, 8, v6
	v_lshl_add_u32 v19, v19, 10, v3
	v_cndmask_b32_e32 v18, v18, v37, vcc
	v_and_or_b32 v6, v6, s23, v19
	v_lshl_or_b32 v6, v18, 7, v6
	v_cvt_f32_f16_e32 v18, v6
.LBB272_185:                            ;   in Loop: Header=BB272_139 Depth=1
	s_or_b64 exec, exec, s[16:17]
.LBB272_186:                            ;   in Loop: Header=BB272_139 Depth=1
	s_or_b64 exec, exec, s[12:13]
.LBB272_187:                            ;   in Loop: Header=BB272_139 Depth=1
	s_or_b64 exec, exec, s[0:1]
	s_waitcnt vmcnt(0)
	v_pk_mul_f32 v[20:21], v[14:15], v[20:21] op_sel_hi:[0,1]
	v_pk_mul_f32 v[16:17], v[14:15], v[16:17] op_sel_hi:[0,1]
	v_cvt_f16_f32_e32 v6, v21
	v_cvt_f16_f32_e32 v19, v20
	;; [unrolled: 1-line block ×4, first 2 shown]
	v_cmp_eq_u32_e32 vcc, s9, v2
	v_pack_b32_f16 v19, v19, v6
	v_add_u32_e32 v28, 1, v22
	v_pack_b32_f16 v16, v16, v17
	v_fma_mixlo_f16 v17, v14, v26, 0
	v_perm_b32 v6, v16, v19, s30
	v_perm_b32 v16, v16, v19, s31
	v_lshlrev_b32_e32 v17, 16, v17
	v_fma_mixlo_f16 v19, v14, v24, 0
	v_or_b32_sdwa v17, v17, v19 dst_sel:DWORD dst_unused:UNUSED_PAD src0_sel:DWORD src1_sel:WORD_0
	v_fma_mixlo_f16 v19, v14, v25, 0
	v_fma_mixlo_f16 v14, v14, v18, 0
	v_lshlrev_b32_e32 v14, 16, v14
	v_or_b32_sdwa v14, v14, v19 dst_sel:DWORD dst_unused:UNUSED_PAD src0_sel:DWORD src1_sel:WORD_0
	v_or_b32_e32 v27, 3, v22
	v_or_b32_e32 v26, 2, v22
	;; [unrolled: 1-line block ×6, first 2 shown]
	s_and_saveexec_b64 s[12:13], vcc
	s_cbranch_execz .LBB272_189
; %bb.188:                              ;   in Loop: Header=BB272_139 Depth=1
	v_lshrrev_b32_e32 v18, 16, v16
	v_cmp_gt_i32_e64 s[0:1], s20, v28
	v_cndmask_b32_e64 v18, 0, v18, s[0:1]
	v_cmp_gt_i32_e64 s[0:1], s29, v22
	v_cndmask_b32_e64 v16, 0, v16, s[0:1]
	v_perm_b32 v16, v18, v16, s34
	v_lshrrev_b32_e32 v18, 16, v6
	v_cmp_gt_i32_e64 s[0:1], s20, v27
	v_cndmask_b32_e64 v18, 0, v18, s[0:1]
	v_cmp_gt_i32_e64 s[0:1], s29, v26
	v_cndmask_b32_e64 v6, 0, v6, s[0:1]
	v_perm_b32 v6, v18, v6, s34
	v_lshrrev_b32_e32 v18, 16, v17
	v_cmp_gt_i32_e64 s[0:1], s20, v25
	v_cndmask_b32_e64 v18, 0, v18, s[0:1]
	v_cmp_gt_i32_e64 s[0:1], s29, v24
	v_cndmask_b32_e64 v17, 0, v17, s[0:1]
	v_lshrrev_b32_e32 v14, 16, v14
	v_cmp_gt_i32_e64 s[0:1], s20, v21
	v_cndmask_b32_e64 v14, 0, v14, s[0:1]
	v_cmp_gt_i32_e64 s[0:1], s29, v20
	v_perm_b32 v17, v18, v17, s34
	v_cndmask_b32_e64 v18, 0, v19, s[0:1]
	v_perm_b32 v14, v14, v18, s34
.LBB272_189:                            ;   in Loop: Header=BB272_139 Depth=1
	s_or_b64 exec, exec, s[12:13]
	v_and_b32_e32 v18, 0xffff, v29
	v_lshl_or_b32 v29, v30, 16, v18
	v_and_b32_e32 v18, 0xffff, v31
	v_lshl_or_b32 v30, v32, 16, v18
	v_and_b32_e32 v18, 0xffff, v33
	v_lshl_or_b32 v31, v34, 16, v18
	v_and_b32_e32 v18, 0xffff, v35
	;;#ASMSTART
	v_pk_mul_f16 v16, v29, v16;

	;;#ASMEND
	;;#ASMSTART
	v_pk_mul_f16 v6, v30, v6;

	;;#ASMEND
	v_lshl_or_b32 v32, v36, 16, v18
	;;#ASMSTART
	v_pk_mul_f16 v17, v31, v17;

	;;#ASMEND
	;;#ASMSTART
	v_pk_mul_f16 v14, v32, v14;

	;;#ASMEND
	;;#ASMSTART
	v_pk_add_f16 v6, v16, v6;

	;;#ASMEND
	;;#ASMSTART
	v_pk_add_f16 v6, v6, v17;
	;; [unrolled: 4-line block ×3, first 2 shown]

	;;#ASMEND
	v_lshrrev_b32_e32 v14, 16, v6
	v_and_b32_e32 v6, 0xffff, v6
	;;#ASMSTART
	v_cvt_f32_f16 v33, v6;
	;;#ASMEND
	;;#ASMSTART
	v_cvt_f32_f16 v34, v14;
	;;#ASMEND
	global_load_dwordx2 v[18:19], v[12:13], off offset:512
	global_load_dword v14, v7, s[14:15]
	v_mov_b32_e32 v16, 0
	v_mov_b32_e32 v12, 0
	s_waitcnt vmcnt(1)
	v_cmp_ne_u16_sdwa s[0:1], v18, v7 src0_sel:BYTE_0 src1_sel:DWORD
	s_and_saveexec_b64 s[12:13], s[0:1]
	s_cbranch_execz .LBB272_195
; %bb.190:                              ;   in Loop: Header=BB272_139 Depth=1
	v_cmp_ne_u16_sdwa s[0:1], v18, s21 src0_sel:BYTE_0 src1_sel:DWORD
	v_bfrev_b32_e32 v12, 1
	s_and_saveexec_b64 s[16:17], s[0:1]
	s_cbranch_execz .LBB272_194
; %bb.191:                              ;   in Loop: Header=BB272_139 Depth=1
	v_and_b32_e32 v6, 0x7f, v18
	v_cmp_ne_u32_e64 s[0:1], s22, v6
	v_mov_b32_e32 v12, 0x7fc02000
	s_and_saveexec_b64 s[18:19], s[0:1]
	s_cbranch_execz .LBB272_193
; %bb.192:                              ;   in Loop: Header=BB272_139 Depth=1
	v_and_b32_e32 v12, 7, v18
	v_ffbh_u32_e32 v12, v12
	v_min_u32_e32 v12, 32, v12
	v_subrev_u32_e32 v13, 28, v12
	v_cmp_gt_u32_e64 s[0:1], 8, v6
	v_lshrrev_b32_e32 v17, 3, v6
	v_sub_u32_e32 v35, 29, v12
	v_cndmask_b32_e64 v6, 0, v13, s[0:1]
	v_lshlrev_b64 v[12:13], v6, v[18:19]
	v_cndmask_b32_e64 v6, v17, v35, s[0:1]
	v_lshlrev_b32_e32 v13, 8, v18
	v_lshl_add_u32 v6, v6, 10, v3
	v_lshlrev_b32_e32 v12, 7, v12
	v_and_or_b32 v6, v13, s23, v6
	v_and_or_b32 v6, v12, s28, v6
	v_cvt_f32_f16_e32 v12, v6
.LBB272_193:                            ;   in Loop: Header=BB272_139 Depth=1
	s_or_b64 exec, exec, s[18:19]
.LBB272_194:                            ;   in Loop: Header=BB272_139 Depth=1
	s_or_b64 exec, exec, s[16:17]
.LBB272_195:                            ;   in Loop: Header=BB272_139 Depth=1
	s_or_b64 exec, exec, s[12:13]
	v_lshrrev_b16_e32 v6, 8, v18
	v_cmp_ne_u16_e64 s[0:1], 0, v6
	s_and_saveexec_b64 s[12:13], s[0:1]
	s_cbranch_execz .LBB272_201
; %bb.196:                              ;   in Loop: Header=BB272_139 Depth=1
	v_cmp_ne_u16_e64 s[0:1], s21, v6
	v_bfrev_b32_e32 v16, 1
	s_and_saveexec_b64 s[16:17], s[0:1]
	s_cbranch_execz .LBB272_200
; %bb.197:                              ;   in Loop: Header=BB272_139 Depth=1
	v_and_b32_e32 v13, 0x7f, v6
	v_cmp_ne_u32_e64 s[0:1], s22, v13
	v_mov_b32_e32 v16, 0x7fc02000
	s_and_saveexec_b64 s[18:19], s[0:1]
	s_cbranch_execz .LBB272_199
; %bb.198:                              ;   in Loop: Header=BB272_139 Depth=1
	v_and_b32_e32 v35, 7, v6
	v_ffbh_u32_e32 v16, v35
	v_min_u32_e32 v37, 32, v16
	v_subrev_u32_e32 v16, 28, v37
	v_lshlrev_b64 v[16:17], v16, v[6:7]
	v_lshrrev_b32_e32 v36, 3, v13
	v_sub_u32_e32 v17, 29, v37
	v_cmp_gt_u32_e64 s[0:1], 8, v13
	v_cndmask_b32_e64 v13, v36, v17, s[0:1]
	v_and_b32_e32 v16, 7, v16
	v_lshlrev_b32_e32 v6, 8, v6
	v_lshl_add_u32 v13, v13, 10, v3
	v_cndmask_b32_e64 v16, v35, v16, s[0:1]
	v_and_or_b32 v6, v6, s23, v13
	v_lshl_or_b32 v6, v16, 7, v6
	v_cvt_f32_f16_e32 v16, v6
.LBB272_199:                            ;   in Loop: Header=BB272_139 Depth=1
	s_or_b64 exec, exec, s[18:19]
.LBB272_200:                            ;   in Loop: Header=BB272_139 Depth=1
	s_or_b64 exec, exec, s[16:17]
.LBB272_201:                            ;   in Loop: Header=BB272_139 Depth=1
	s_or_b64 exec, exec, s[12:13]
	v_lshrrev_b32_e32 v6, 16, v18
	v_cmp_ne_u16_sdwa s[0:1], v6, v7 src0_sel:BYTE_0 src1_sel:DWORD
	v_mov_b32_e32 v17, 0
	v_mov_b32_e32 v13, 0
	s_and_saveexec_b64 s[12:13], s[0:1]
	s_cbranch_execz .LBB272_207
; %bb.202:                              ;   in Loop: Header=BB272_139 Depth=1
	v_cmp_ne_u16_sdwa s[0:1], v6, s21 src0_sel:BYTE_0 src1_sel:DWORD
	v_bfrev_b32_e32 v13, 1
	s_and_saveexec_b64 s[16:17], s[0:1]
	s_cbranch_execz .LBB272_206
; %bb.203:                              ;   in Loop: Header=BB272_139 Depth=1
	v_bfe_u32 v35, v18, 16, 7
	v_cmp_ne_u32_e64 s[0:1], s22, v35
	v_mov_b32_e32 v13, 0x7fc02000
	s_and_saveexec_b64 s[18:19], s[0:1]
	s_cbranch_execz .LBB272_205
; %bb.204:                              ;   in Loop: Header=BB272_139 Depth=1
	v_and_b32_e32 v13, 7, v6
	v_ffbh_u32_e32 v36, v13
	v_min_u32_e32 v39, 32, v36
	v_subrev_u32_e32 v36, 28, v39
	v_lshlrev_b64 v[36:37], v36, v[6:7]
	v_lshrrev_b32_e32 v38, 3, v35
	v_sub_u32_e32 v37, 29, v39
	v_cmp_gt_u32_e64 s[0:1], 8, v35
	v_cndmask_b32_e64 v35, v38, v37, s[0:1]
	v_and_b32_e32 v36, 7, v36
	v_lshlrev_b32_e32 v6, 8, v6
	v_lshl_add_u32 v35, v35, 10, v3
	v_cndmask_b32_e64 v13, v13, v36, s[0:1]
	v_and_or_b32 v6, v6, s23, v35
	v_lshl_or_b32 v6, v13, 7, v6
	v_cvt_f32_f16_e32 v13, v6
.LBB272_205:                            ;   in Loop: Header=BB272_139 Depth=1
	s_or_b64 exec, exec, s[18:19]
.LBB272_206:                            ;   in Loop: Header=BB272_139 Depth=1
	s_or_b64 exec, exec, s[16:17]
.LBB272_207:                            ;   in Loop: Header=BB272_139 Depth=1
	s_or_b64 exec, exec, s[12:13]
	v_cmp_lt_u32_e64 s[0:1], s7, v18
	s_and_saveexec_b64 s[12:13], s[0:1]
	s_cbranch_execz .LBB272_213
; %bb.208:                              ;   in Loop: Header=BB272_139 Depth=1
	v_lshrrev_b32_e32 v6, 24, v18
	v_cmp_ne_u32_e64 s[0:1], s21, v6
	v_bfrev_b32_e32 v17, 1
	s_and_saveexec_b64 s[16:17], s[0:1]
	s_cbranch_execz .LBB272_212
; %bb.209:                              ;   in Loop: Header=BB272_139 Depth=1
	v_and_b32_e32 v35, 0x7f, v6
	v_cmp_ne_u32_e64 s[0:1], s22, v35
	v_mov_b32_e32 v17, 0x7fc02000
	s_and_saveexec_b64 s[18:19], s[0:1]
	s_cbranch_execz .LBB272_211
; %bb.210:                              ;   in Loop: Header=BB272_139 Depth=1
	v_and_b32_e32 v17, 7, v6
	v_ffbh_u32_e32 v36, v17
	v_min_u32_e32 v39, 32, v36
	v_subrev_u32_e32 v36, 28, v39
	v_lshlrev_b64 v[36:37], v36, v[6:7]
	v_lshrrev_b32_e32 v38, 3, v35
	v_sub_u32_e32 v37, 29, v39
	v_cmp_gt_u32_e64 s[0:1], 8, v35
	v_cndmask_b32_e64 v35, v38, v37, s[0:1]
	v_and_b32_e32 v36, 7, v36
	v_lshlrev_b32_e32 v6, 8, v6
	v_lshl_add_u32 v35, v35, 10, v3
	v_cndmask_b32_e64 v17, v17, v36, s[0:1]
	v_and_or_b32 v6, v6, s23, v35
	v_lshl_or_b32 v6, v17, 7, v6
	v_cvt_f32_f16_e32 v17, v6
.LBB272_211:                            ;   in Loop: Header=BB272_139 Depth=1
	s_or_b64 exec, exec, s[18:19]
.LBB272_212:                            ;   in Loop: Header=BB272_139 Depth=1
	s_or_b64 exec, exec, s[16:17]
.LBB272_213:                            ;   in Loop: Header=BB272_139 Depth=1
	s_or_b64 exec, exec, s[12:13]
	v_mov_b32_e32 v6, v19
	v_cmp_ne_u16_sdwa s[0:1], v19, v7 src0_sel:BYTE_0 src1_sel:DWORD
	v_mov_b32_e32 v36, 0
	v_mov_b32_e32 v35, 0
	s_and_saveexec_b64 s[12:13], s[0:1]
	s_cbranch_execz .LBB272_219
; %bb.214:                              ;   in Loop: Header=BB272_139 Depth=1
	v_cmp_ne_u16_sdwa s[0:1], v19, s21 src0_sel:BYTE_0 src1_sel:DWORD
	v_bfrev_b32_e32 v35, 1
	s_and_saveexec_b64 s[16:17], s[0:1]
	s_cbranch_execz .LBB272_218
; %bb.215:                              ;   in Loop: Header=BB272_139 Depth=1
	v_and_b32_e32 v37, 0x7f, v19
	v_cmp_ne_u32_e64 s[0:1], s22, v37
	v_mov_b32_e32 v35, 0x7fc02000
	s_and_saveexec_b64 s[18:19], s[0:1]
	s_cbranch_execz .LBB272_217
; %bb.216:                              ;   in Loop: Header=BB272_139 Depth=1
	v_and_b32_e32 v35, 7, v19
	v_ffbh_u32_e32 v35, v35
	v_min_u32_e32 v35, 32, v35
	v_subrev_u32_e32 v38, 28, v35
	v_cmp_gt_u32_e64 s[0:1], 8, v37
	v_lshrrev_b32_e32 v40, 3, v37
	v_sub_u32_e32 v35, 29, v35
	v_cndmask_b32_e64 v37, 0, v38, s[0:1]
	v_lshlrev_b64 v[38:39], v37, v[6:7]
	v_cndmask_b32_e64 v35, v40, v35, s[0:1]
	v_lshlrev_b32_e32 v37, 7, v38
	v_lshlrev_b32_e32 v38, 8, v19
	v_lshl_add_u32 v35, v35, 10, v3
	v_and_or_b32 v35, v38, s23, v35
	v_and_or_b32 v35, v37, s28, v35
	v_cvt_f32_f16_e32 v35, v35
.LBB272_217:                            ;   in Loop: Header=BB272_139 Depth=1
	s_or_b64 exec, exec, s[18:19]
.LBB272_218:                            ;   in Loop: Header=BB272_139 Depth=1
	s_or_b64 exec, exec, s[16:17]
.LBB272_219:                            ;   in Loop: Header=BB272_139 Depth=1
	s_or_b64 exec, exec, s[12:13]
	v_lshrrev_b16_e32 v6, 8, v6
	v_cmp_ne_u16_e64 s[0:1], 0, v6
	s_and_saveexec_b64 s[12:13], s[0:1]
	s_cbranch_execz .LBB272_225
; %bb.220:                              ;   in Loop: Header=BB272_139 Depth=1
	v_cmp_ne_u16_e64 s[0:1], s21, v6
	v_bfrev_b32_e32 v36, 1
	s_and_saveexec_b64 s[16:17], s[0:1]
	s_cbranch_execz .LBB272_224
; %bb.221:                              ;   in Loop: Header=BB272_139 Depth=1
	v_and_b32_e32 v37, 0x7f, v6
	v_cmp_ne_u32_e64 s[0:1], s22, v37
	v_mov_b32_e32 v36, 0x7fc02000
	s_and_saveexec_b64 s[18:19], s[0:1]
	s_cbranch_execz .LBB272_223
; %bb.222:                              ;   in Loop: Header=BB272_139 Depth=1
	v_and_b32_e32 v36, 7, v6
	v_ffbh_u32_e32 v38, v36
	v_min_u32_e32 v41, 32, v38
	v_subrev_u32_e32 v38, 28, v41
	v_lshlrev_b64 v[38:39], v38, v[6:7]
	v_lshrrev_b32_e32 v40, 3, v37
	v_sub_u32_e32 v39, 29, v41
	v_cmp_gt_u32_e64 s[0:1], 8, v37
	v_cndmask_b32_e64 v37, v40, v39, s[0:1]
	v_and_b32_e32 v38, 7, v38
	v_lshlrev_b32_e32 v6, 8, v6
	v_lshl_add_u32 v37, v37, 10, v3
	v_cndmask_b32_e64 v36, v36, v38, s[0:1]
	v_and_or_b32 v6, v6, s23, v37
	v_lshl_or_b32 v6, v36, 7, v6
	v_cvt_f32_f16_e32 v36, v6
.LBB272_223:                            ;   in Loop: Header=BB272_139 Depth=1
	s_or_b64 exec, exec, s[18:19]
.LBB272_224:                            ;   in Loop: Header=BB272_139 Depth=1
	s_or_b64 exec, exec, s[16:17]
.LBB272_225:                            ;   in Loop: Header=BB272_139 Depth=1
	s_or_b64 exec, exec, s[12:13]
	v_lshrrev_b32_e32 v6, 16, v19
	v_cmp_ne_u16_sdwa s[0:1], v6, v7 src0_sel:BYTE_0 src1_sel:DWORD
	v_mov_b32_e32 v37, 0
	v_mov_b32_e32 v38, 0
	s_and_saveexec_b64 s[12:13], s[0:1]
	s_cbranch_execz .LBB272_231
; %bb.226:                              ;   in Loop: Header=BB272_139 Depth=1
	v_cmp_ne_u16_sdwa s[0:1], v6, s21 src0_sel:BYTE_0 src1_sel:DWORD
	v_bfrev_b32_e32 v38, 1
	s_and_saveexec_b64 s[16:17], s[0:1]
	s_cbranch_execz .LBB272_230
; %bb.227:                              ;   in Loop: Header=BB272_139 Depth=1
	v_bfe_u32 v39, v19, 16, 7
	v_cmp_ne_u32_e64 s[0:1], s22, v39
	v_mov_b32_e32 v38, 0x7fc02000
	s_and_saveexec_b64 s[18:19], s[0:1]
	s_cbranch_execz .LBB272_229
; %bb.228:                              ;   in Loop: Header=BB272_139 Depth=1
	v_and_b32_e32 v38, 7, v6
	v_ffbh_u32_e32 v40, v38
	v_min_u32_e32 v43, 32, v40
	v_subrev_u32_e32 v40, 28, v43
	v_lshlrev_b64 v[40:41], v40, v[6:7]
	v_lshrrev_b32_e32 v42, 3, v39
	v_sub_u32_e32 v41, 29, v43
	v_cmp_gt_u32_e64 s[0:1], 8, v39
	v_cndmask_b32_e64 v39, v42, v41, s[0:1]
	v_and_b32_e32 v40, 7, v40
	v_lshlrev_b32_e32 v6, 8, v6
	v_lshl_add_u32 v39, v39, 10, v3
	v_cndmask_b32_e64 v38, v38, v40, s[0:1]
	v_and_or_b32 v6, v6, s23, v39
	v_lshl_or_b32 v6, v38, 7, v6
	v_cvt_f32_f16_e32 v38, v6
.LBB272_229:                            ;   in Loop: Header=BB272_139 Depth=1
	s_or_b64 exec, exec, s[18:19]
.LBB272_230:                            ;   in Loop: Header=BB272_139 Depth=1
	s_or_b64 exec, exec, s[16:17]
.LBB272_231:                            ;   in Loop: Header=BB272_139 Depth=1
	s_or_b64 exec, exec, s[12:13]
	v_cmp_lt_u64_e64 s[0:1], s[6:7], v[18:19]
	s_and_saveexec_b64 s[12:13], s[0:1]
	s_cbranch_execz .LBB272_237
; %bb.232:                              ;   in Loop: Header=BB272_139 Depth=1
	v_lshrrev_b32_e32 v6, 24, v19
	v_cmp_ne_u32_e64 s[0:1], s21, v6
	v_bfrev_b32_e32 v37, 1
	s_and_saveexec_b64 s[16:17], s[0:1]
	s_cbranch_execz .LBB272_236
; %bb.233:                              ;   in Loop: Header=BB272_139 Depth=1
	v_and_b32_e32 v18, 0x7f, v6
	v_cmp_ne_u32_e64 s[0:1], s22, v18
	v_mov_b32_e32 v37, 0x7fc02000
	s_and_saveexec_b64 s[18:19], s[0:1]
	s_cbranch_execz .LBB272_235
; %bb.234:                              ;   in Loop: Header=BB272_139 Depth=1
	v_and_b32_e32 v19, 7, v6
	v_ffbh_u32_e32 v39, v19
	v_min_u32_e32 v39, 32, v39
	v_lshrrev_b32_e32 v37, 3, v18
	v_subrev_u32_e32 v40, 28, v39
	v_sub_u32_e32 v39, 29, v39
	v_cmp_gt_u32_e64 s[0:1], 8, v18
	v_lshlrev_b64 v[40:41], v40, v[6:7]
	v_cndmask_b32_e64 v18, v37, v39, s[0:1]
	v_and_b32_e32 v40, 7, v40
	v_lshlrev_b32_e32 v6, 8, v6
	v_lshl_add_u32 v18, v18, 10, v3
	v_cndmask_b32_e64 v19, v19, v40, s[0:1]
	v_and_or_b32 v6, v6, s23, v18
	v_lshl_or_b32 v6, v19, 7, v6
	v_cvt_f32_f16_e32 v37, v6
.LBB272_235:                            ;   in Loop: Header=BB272_139 Depth=1
	s_or_b64 exec, exec, s[18:19]
.LBB272_236:                            ;   in Loop: Header=BB272_139 Depth=1
	s_or_b64 exec, exec, s[16:17]
.LBB272_237:                            ;   in Loop: Header=BB272_139 Depth=1
	s_or_b64 exec, exec, s[12:13]
	s_waitcnt vmcnt(0)
	v_pk_mul_f32 v[16:17], v[14:15], v[16:17] op_sel_hi:[0,1]
	v_pk_mul_f32 v[12:13], v[14:15], v[12:13] op_sel_hi:[0,1]
	v_cvt_f16_f32_e32 v6, v17
	v_cvt_f16_f32_e32 v16, v16
	;; [unrolled: 1-line block ×4, first 2 shown]
	v_pack_b32_f16 v16, v16, v6
	v_pack_b32_f16 v12, v12, v13
	v_fma_mixlo_f16 v13, v14, v36, 0
	v_perm_b32 v6, v12, v16, s30
	v_perm_b32 v12, v12, v16, s31
	v_lshlrev_b32_e32 v13, 16, v13
	v_fma_mixlo_f16 v16, v14, v35, 0
	v_or_b32_sdwa v13, v13, v16 dst_sel:DWORD dst_unused:UNUSED_PAD src0_sel:DWORD src1_sel:WORD_0
	v_fma_mixlo_f16 v16, v14, v38, 0
	v_fma_mixlo_f16 v14, v14, v37, 0
	v_lshlrev_b32_e32 v14, 16, v14
	v_or_b32_sdwa v14, v14, v16 dst_sel:DWORD dst_unused:UNUSED_PAD src0_sel:DWORD src1_sel:WORD_0
	s_and_saveexec_b64 s[0:1], vcc
	s_cbranch_execz .LBB272_138
; %bb.238:                              ;   in Loop: Header=BB272_139 Depth=1
	v_lshrrev_b32_e32 v17, 16, v12
	v_cmp_gt_i32_e32 vcc, s20, v28
	v_cndmask_b32_e32 v17, 0, v17, vcc
	v_cmp_gt_i32_e32 vcc, s29, v22
	v_cndmask_b32_e32 v12, 0, v12, vcc
	v_perm_b32 v12, v17, v12, s34
	v_lshrrev_b32_e32 v17, 16, v6
	v_cmp_gt_i32_e32 vcc, s20, v27
	v_cndmask_b32_e32 v17, 0, v17, vcc
	v_cmp_gt_i32_e32 vcc, s29, v26
	v_cndmask_b32_e32 v6, 0, v6, vcc
	v_perm_b32 v6, v17, v6, s34
	v_lshrrev_b32_e32 v17, 16, v13
	v_cmp_gt_i32_e32 vcc, s20, v25
	v_cndmask_b32_e32 v17, 0, v17, vcc
	v_cmp_gt_i32_e32 vcc, s29, v24
	v_cndmask_b32_e32 v13, 0, v13, vcc
	v_lshrrev_b32_e32 v14, 16, v14
	v_cmp_gt_i32_e32 vcc, s20, v21
	v_cndmask_b32_e32 v14, 0, v14, vcc
	v_cmp_gt_i32_e32 vcc, s29, v20
	v_cndmask_b32_e32 v16, 0, v16, vcc
	v_perm_b32 v13, v17, v13, s34
	v_perm_b32 v14, v14, v16, s34
	s_branch .LBB272_138
.LBB272_239:
	s_or_b64 exec, exec, s[10:11]
.LBB272_240:
	s_or_b64 exec, exec, s[4:5]
	v_and_b32_e32 v2, 0x3c0, v0
	v_cmp_eq_u32_e32 vcc, 64, v2
	s_barrier
	s_and_saveexec_b64 s[0:1], vcc
	s_cbranch_execz .LBB272_242
; %bb.241:
	v_mov_b32_e32 v2, 0x110
	v_lshl_add_u32 v3, v0, 2, v2
	v_lshl_add_u32 v2, v15, 2, v2
	ds_write_b32 v2, v4
	ds_write_b32 v3, v5
.LBB272_242:
	s_or_b64 exec, exec, s[0:1]
	v_cmp_gt_u32_e32 vcc, 64, v0
	s_waitcnt lgkmcnt(0)
	s_barrier
	s_and_saveexec_b64 s[0:1], vcc
	s_cbranch_execz .LBB272_244
; %bb.243:
	v_mov_b32_e32 v2, 0x110
	v_lshl_add_u32 v0, v0, 2, v2
	ds_read2st64_b32 v[2:3], v0 offset1:1
	s_waitcnt lgkmcnt(0)
	v_pk_add_f32 v[4:5], v[4:5], v[2:3]
.LBB272_244:
	s_or_b64 exec, exec, s[0:1]
	s_barrier
	s_and_saveexec_b64 s[0:1], vcc
	s_cbranch_execz .LBB272_246
; %bb.245:
	s_lshl_b32 s0, s2, 7
	s_ashr_i32 s1, s0, 31
	s_lshl_b64 s[0:1], s[0:1], 1
	s_add_u32 s2, s26, s0
	s_mul_i32 s0, s25, s24
	s_addc_u32 s3, s27, s1
	s_ashr_i32 s1, s0, 31
	s_lshl_b64 s[0:1], s[0:1], 1
	s_add_u32 s2, s2, s0
	s_addc_u32 s3, s3, s1
	s_lshl_b32 s0, s8, 7
	s_ashr_i32 s1, s0, 31
	s_lshl_b64 s[0:1], s[0:1], 1
	s_add_u32 s0, s2, s0
	s_addc_u32 s1, s3, s1
	;;#ASMSTART
	v_cvt_f16_f32 v0, v4;

	;;#ASMEND
	global_store_short v1, v0, s[0:1]
	;;#ASMSTART
	v_cvt_f16_f32 v0, v5;

	;;#ASMEND
	global_store_short v1, v0, s[0:1] offset:128
.LBB272_246:
	s_endpgm
	.section	.rodata,"a",@progbits
	.p2align	6, 0x0
	.amdhsa_kernel _ZN4vllm25paged_attention_v2_kernelIthLi128ELi8ELi128ELNS_18Fp8KVCacheDataTypeE1ELb0ELi512EEEvPfS2_PT_PKS3_PKT0_S9_ifPKiSB_iPKfiiiSD_SD_iiiii
		.amdhsa_group_segment_fixed_size 272
		.amdhsa_private_segment_fixed_size 0
		.amdhsa_kernarg_size 400
		.amdhsa_user_sgpr_count 6
		.amdhsa_user_sgpr_private_segment_buffer 1
		.amdhsa_user_sgpr_dispatch_ptr 0
		.amdhsa_user_sgpr_queue_ptr 0
		.amdhsa_user_sgpr_kernarg_segment_ptr 1
		.amdhsa_user_sgpr_dispatch_id 0
		.amdhsa_user_sgpr_flat_scratch_init 0
		.amdhsa_user_sgpr_kernarg_preload_length 0
		.amdhsa_user_sgpr_kernarg_preload_offset 0
		.amdhsa_user_sgpr_private_segment_size 0
		.amdhsa_uses_dynamic_stack 0
		.amdhsa_system_sgpr_private_segment_wavefront_offset 0
		.amdhsa_system_sgpr_workgroup_id_x 1
		.amdhsa_system_sgpr_workgroup_id_y 1
		.amdhsa_system_sgpr_workgroup_id_z 1
		.amdhsa_system_sgpr_workgroup_info 0
		.amdhsa_system_vgpr_workitem_id 0
		.amdhsa_next_free_vgpr 48
		.amdhsa_next_free_sgpr 52
		.amdhsa_accum_offset 48
		.amdhsa_reserve_vcc 1
		.amdhsa_reserve_flat_scratch 0
		.amdhsa_float_round_mode_32 0
		.amdhsa_float_round_mode_16_64 0
		.amdhsa_float_denorm_mode_32 3
		.amdhsa_float_denorm_mode_16_64 3
		.amdhsa_dx10_clamp 1
		.amdhsa_ieee_mode 1
		.amdhsa_fp16_overflow 0
		.amdhsa_tg_split 0
		.amdhsa_exception_fp_ieee_invalid_op 0
		.amdhsa_exception_fp_denorm_src 0
		.amdhsa_exception_fp_ieee_div_zero 0
		.amdhsa_exception_fp_ieee_overflow 0
		.amdhsa_exception_fp_ieee_underflow 0
		.amdhsa_exception_fp_ieee_inexact 0
		.amdhsa_exception_int_div_zero 0
	.end_amdhsa_kernel
	.section	.text._ZN4vllm25paged_attention_v2_kernelIthLi128ELi8ELi128ELNS_18Fp8KVCacheDataTypeE1ELb0ELi512EEEvPfS2_PT_PKS3_PKT0_S9_ifPKiSB_iPKfiiiSD_SD_iiiii,"axG",@progbits,_ZN4vllm25paged_attention_v2_kernelIthLi128ELi8ELi128ELNS_18Fp8KVCacheDataTypeE1ELb0ELi512EEEvPfS2_PT_PKS3_PKT0_S9_ifPKiSB_iPKfiiiSD_SD_iiiii,comdat
.Lfunc_end272:
	.size	_ZN4vllm25paged_attention_v2_kernelIthLi128ELi8ELi128ELNS_18Fp8KVCacheDataTypeE1ELb0ELi512EEEvPfS2_PT_PKS3_PKT0_S9_ifPKiSB_iPKfiiiSD_SD_iiiii, .Lfunc_end272-_ZN4vllm25paged_attention_v2_kernelIthLi128ELi8ELi128ELNS_18Fp8KVCacheDataTypeE1ELb0ELi512EEEvPfS2_PT_PKS3_PKT0_S9_ifPKiSB_iPKfiiiSD_SD_iiiii
                                        ; -- End function
	.section	.AMDGPU.csdata,"",@progbits
; Kernel info:
; codeLenInByte = 10768
; NumSgprs: 56
; NumVgprs: 48
; NumAgprs: 0
; TotalNumVgprs: 48
; ScratchSize: 0
; MemoryBound: 0
; FloatMode: 240
; IeeeMode: 1
; LDSByteSize: 272 bytes/workgroup (compile time only)
; SGPRBlocks: 6
; VGPRBlocks: 5
; NumSGPRsForWavesPerEU: 56
; NumVGPRsForWavesPerEU: 48
; AccumOffset: 48
; Occupancy: 8
; WaveLimiterHint : 1
; COMPUTE_PGM_RSRC2:SCRATCH_EN: 0
; COMPUTE_PGM_RSRC2:USER_SGPR: 6
; COMPUTE_PGM_RSRC2:TRAP_HANDLER: 0
; COMPUTE_PGM_RSRC2:TGID_X_EN: 1
; COMPUTE_PGM_RSRC2:TGID_Y_EN: 1
; COMPUTE_PGM_RSRC2:TGID_Z_EN: 1
; COMPUTE_PGM_RSRC2:TIDIG_COMP_CNT: 0
; COMPUTE_PGM_RSRC3_GFX90A:ACCUM_OFFSET: 11
; COMPUTE_PGM_RSRC3_GFX90A:TG_SPLIT: 0
	.section	.text._ZN4vllm25paged_attention_v2_kernelIthLi192ELi8ELi128ELNS_18Fp8KVCacheDataTypeE1ELb0ELi512EEEvPfS2_PT_PKS3_PKT0_S9_ifPKiSB_iPKfiiiSD_SD_iiiii,"axG",@progbits,_ZN4vllm25paged_attention_v2_kernelIthLi192ELi8ELi128ELNS_18Fp8KVCacheDataTypeE1ELb0ELi512EEEvPfS2_PT_PKS3_PKT0_S9_ifPKiSB_iPKfiiiSD_SD_iiiii,comdat
	.protected	_ZN4vllm25paged_attention_v2_kernelIthLi192ELi8ELi128ELNS_18Fp8KVCacheDataTypeE1ELb0ELi512EEEvPfS2_PT_PKS3_PKT0_S9_ifPKiSB_iPKfiiiSD_SD_iiiii ; -- Begin function _ZN4vllm25paged_attention_v2_kernelIthLi192ELi8ELi128ELNS_18Fp8KVCacheDataTypeE1ELb0ELi512EEEvPfS2_PT_PKS3_PKT0_S9_ifPKiSB_iPKfiiiSD_SD_iiiii
	.globl	_ZN4vllm25paged_attention_v2_kernelIthLi192ELi8ELi128ELNS_18Fp8KVCacheDataTypeE1ELb0ELi512EEEvPfS2_PT_PKS3_PKT0_S9_ifPKiSB_iPKfiiiSD_SD_iiiii
	.p2align	8
	.type	_ZN4vllm25paged_attention_v2_kernelIthLi192ELi8ELi128ELNS_18Fp8KVCacheDataTypeE1ELb0ELi512EEEvPfS2_PT_PKS3_PKT0_S9_ifPKiSB_iPKfiiiSD_SD_iiiii,@function
_ZN4vllm25paged_attention_v2_kernelIthLi192ELi8ELi128ELNS_18Fp8KVCacheDataTypeE1ELb0ELi512EEEvPfS2_PT_PKS3_PKT0_S9_ifPKiSB_iPKfiiiSD_SD_iiiii: ; @_ZN4vllm25paged_attention_v2_kernelIthLi192ELi8ELi128ELNS_18Fp8KVCacheDataTypeE1ELb0ELi512EEEvPfS2_PT_PKS3_PKT0_S9_ifPKiSB_iPKfiiiSD_SD_iiiii
; %bb.0:
	s_load_dwordx2 s[0:1], s[4:5], 0x40
	s_mov_b32 s34, s7
	s_ashr_i32 s35, s7, 31
	s_lshl_b64 s[2:3], s[34:35], 2
	s_waitcnt lgkmcnt(0)
	s_add_u32 s0, s0, s2
	s_addc_u32 s1, s1, s3
	s_load_dword s35, s[0:1], 0x0
	s_lshl_b32 s46, s8, 9
	s_waitcnt lgkmcnt(0)
	s_cmp_ge_i32 s46, s35
	s_cbranch_scc1 .LBB273_345
; %bb.1:
	s_load_dword s9, s[4:5], 0x90
	s_load_dwordx2 s[10:11], s[4:5], 0x30
	s_waitcnt lgkmcnt(0)
	s_abs_i32 s2, s9
	s_abs_i32 s0, s10
	v_cvt_f32_u32_e32 v1, s0
	s_sub_i32 s3, 0, s0
	s_xor_b32 s1, s9, s10
	s_ashr_i32 s1, s1, 31
	v_rcp_iflag_f32_e32 v1, v1
	v_mul_f32_e32 v1, 0x4f7ffffe, v1
	v_cvt_u32_f32_e32 v1, v1
	v_readfirstlane_b32 s7, v1
	s_mul_i32 s3, s3, s7
	s_mul_hi_u32 s3, s7, s3
	s_add_i32 s7, s7, s3
	s_mul_hi_u32 s3, s2, s7
	s_mul_i32 s7, s3, s0
	s_sub_i32 s2, s2, s7
	s_add_i32 s10, s3, 1
	s_sub_i32 s7, s2, s0
	s_cmp_ge_u32 s2, s0
	s_cselect_b32 s3, s10, s3
	s_cselect_b32 s2, s7, s2
	s_add_i32 s7, s3, 1
	s_cmp_ge_u32 s2, s0
	s_cselect_b32 s0, s7, s3
	s_xor_b32 s0, s0, s1
	s_sub_i32 s14, s0, s1
	s_abs_i32 s12, s14
	v_cvt_f32_u32_e32 v1, s12
	s_load_dwordx2 s[0:1], s[4:5], 0x50
	s_sub_i32 s2, 0, s12
	s_abs_i32 s13, s6
	v_rcp_iflag_f32_e32 v1, v1
	s_mov_b32 s10, 0
	v_mul_f32_e32 v1, 0x4f7ffffe, v1
	v_cvt_u32_f32_e32 v1, v1
	v_readfirstlane_b32 s3, v1
	s_mul_i32 s2, s2, s3
	s_mul_hi_u32 s2, s3, s2
	s_add_i32 s2, s3, s2
	s_waitcnt lgkmcnt(0)
	s_cmp_eq_u64 s[0:1], 0
	s_cbranch_scc1 .LBB273_3
; %bb.2:
	s_ashr_i32 s7, s6, 31
	s_lshl_b64 s[16:17], s[6:7], 2
	s_add_u32 s0, s0, s16
	s_addc_u32 s1, s1, s17
	s_load_dword s10, s[0:1], 0x0
.LBB273_3:
	s_load_dwordx4 s[24:27], s[4:5], 0x0
	s_load_dwordx2 s[28:29], s[4:5], 0x10
	s_load_dwordx4 s[16:19], s[4:5], 0x20
	s_load_dwordx2 s[36:37], s[4:5], 0x38
	s_load_dword s33, s[4:5], 0x98
	s_load_dwordx4 s[20:23], s[4:5], 0x58
	s_movk_i32 s0, 0xc0
	s_mul_i32 s30, s6, 0xc0
	s_mul_hi_u32 s7, s13, s2
	v_and_b32_e32 v4, 7, v0
	s_ashr_i32 s31, s30, 31
	v_cmp_gt_u32_e32 vcc, s0, v0
	s_and_saveexec_b64 s[0:1], vcc
	s_cbranch_execz .LBB273_6
; %bb.4:
	s_load_dwordx2 s[2:3], s[4:5], 0x18
	s_waitcnt lgkmcnt(0)
	s_mul_i32 s38, s34, s20
	s_ashr_i32 s39, s38, 31
	s_lshl_b64 s[38:39], s[38:39], 1
	s_lshl_b64 s[40:41], s[30:31], 1
	v_lshrrev_b32_e32 v2, 3, v0
	s_add_u32 s15, s38, s40
	v_lshlrev_b32_e32 v3, 1, v2
	s_addc_u32 s20, s39, s41
	v_mad_u32_u24 v5, v4, 48, v3
	v_lshlrev_b32_e32 v3, 1, v4
	s_add_u32 s2, s2, s15
	v_add_u32_e32 v1, -16, v2
	v_lshl_or_b32 v2, v2, 4, v3
	s_addc_u32 s3, s3, s20
	v_mov_b32_e32 v3, s3
	v_add_co_u32_e32 v2, vcc, s2, v2
	v_addc_co_u32_e32 v3, vcc, 0, v3, vcc
	s_mov_b64 s[2:3], 0
.LBB273_5:                              ; =>This Inner Loop Header: Depth=1
	global_load_ushort v6, v[2:3], off
	v_add_co_u32_e32 v2, vcc, 0x100, v2
	v_add_u32_e32 v1, 16, v1
	v_addc_co_u32_e32 v3, vcc, 0, v3, vcc
	v_cmp_lt_u32_e32 vcc, 7, v1
	s_or_b64 s[2:3], vcc, s[2:3]
	s_waitcnt vmcnt(0)
	ds_write_b16 v5, v6
	v_add_u32_e32 v5, 32, v5
	s_andn2_b64 exec, exec, s[2:3]
	s_cbranch_execnz .LBB273_5
.LBB273_6:
	s_or_b64 exec, exec, s[0:1]
	s_add_i32 s2, s35, 7
	s_ashr_i32 s3, s2, 31
	s_ashr_i32 s0, s6, 31
	;; [unrolled: 1-line block ×3, first 2 shown]
	s_lshr_b32 s3, s3, 29
	s_add_i32 s2, s2, s3
	s_lshl_b32 s47, s8, 6
	s_xor_b32 s0, s0, s1
	s_mul_i32 s1, s7, s12
	s_ashr_i32 s31, s2, 3
	s_add_i32 s2, s47, 64
	s_sub_i32 s1, s13, s1
	s_waitcnt lgkmcnt(0)
	s_min_i32 s20, s2, s31
	s_add_i32 s2, s7, 1
	s_sub_i32 s3, s1, s12
	s_cmp_ge_u32 s1, s12
	s_cselect_b32 s2, s2, s7
	s_cselect_b32 s1, s3, s1
	s_add_i32 s3, s2, 1
	s_cmp_ge_u32 s1, s12
	s_cselect_b32 s1, s3, s2
	s_load_dword s2, s[4:5], 0x48
	v_lshrrev_b32_e32 v1, 6, v0
	s_xor_b32 s1, s1, s0
	v_or_b32_e32 v2, s47, v1
	s_sub_i32 s7, s1, s0
	s_waitcnt lgkmcnt(0)
	s_mul_i32 s38, s34, s2
	s_ashr_i32 s39, s38, 31
	v_cmp_gt_i32_e64 s[0:1], s20, v2
	v_cmp_le_i32_e32 vcc, s20, v2
	v_mbcnt_lo_u32_b32 v11, -1, 0
	s_barrier
	s_waitcnt lgkmcnt(0)
                                        ; implicit-def: $sgpr23
                                        ; implicit-def: $vgpr5
                                        ; implicit-def: $vgpr10
	s_and_saveexec_b64 s[2:3], vcc
	s_xor_b64 s[2:3], exec, s[2:3]
; %bb.7:
	v_mbcnt_hi_u32_b32 v5, -1, v11
	v_and_b32_e32 v3, 64, v5
	v_add_u32_e32 v10, 64, v3
	s_mov_b32 s23, 0xff7fffff
                                        ; implicit-def: $vgpr4
                                        ; implicit-def: $vgpr11
; %bb.8:
	s_or_saveexec_b64 s[40:41], s[2:3]
	s_load_dwordx4 s[12:15], s[4:5], 0x68
	v_mov_b32_e32 v13, s23
	s_mul_i32 s7, s7, s22
	v_ashrrev_i32_e32 v3, 31, v2
	s_xor_b64 exec, exec, s[40:41]
	s_cbranch_execz .LBB273_158
; %bb.9:
	s_ashr_i32 s2, s7, 31
	s_add_u32 s3, s16, s7
	v_bfe_u32 v5, v0, 3, 3
	s_addc_u32 s2, s17, s2
	s_sub_i32 s49, 1, s35
	v_lshlrev_b32_e32 v8, 3, v1
	s_lshl_b64 s[4:5], s[38:39], 2
	v_lshlrev_b32_e32 v6, 4, v5
	v_add3_u32 v16, s46, v8, v5
	v_lshlrev_b32_e32 v5, 2, v5
	s_add_u32 s4, s36, s4
	v_mov_b32_e32 v7, s2
	v_add_co_u32_e32 v6, vcc, s3, v6
	v_lshl_or_b32 v5, v1, 5, v5
	v_lshlrev_b64 v[8:9], 2, v[2:3]
	s_addc_u32 s5, s37, s5
	v_addc_co_u32_e32 v7, vcc, 0, v7, vcc
	v_add_u32_e32 v17, 0x190, v5
	v_mov_b32_e32 v5, s5
	v_add_co_u32_e64 v8, s[4:5], s4, v8
	s_mov_b32 s48, s21
	v_mov_b32_e32 v14, 0
	v_mul_u32_u24_e32 v15, 48, v4
	v_cmp_eq_u32_e32 vcc, 0, v4
	v_cmp_neq_f32_e64 s[2:3], s10, 0
	v_addc_co_u32_e64 v9, s[4:5], v5, v9, s[4:5]
	s_mov_b64 s[16:17], 0
	v_mov_b32_e32 v13, 0xff7fffff
	s_movk_i32 s50, 0x80
	s_movk_i32 s51, 0x7f
	v_mbcnt_hi_u32_b32 v5, -1, v11
	v_bfrev_b32_e32 v18, 60
	v_mov_b32_e32 v19, v2
	s_branch .LBB273_11
.LBB273_10:                             ;   in Loop: Header=BB273_11 Depth=1
	s_or_b64 exec, exec, s[22:23]
	v_add_u32_e32 v19, 2, v19
	v_cmp_le_i32_e64 s[4:5], s20, v19
	s_or_b64 s[16:17], s[4:5], s[16:17]
	v_add_co_u32_e64 v8, s[4:5], 8, v8
	v_add_u32_e32 v16, 16, v16
	v_add_u32_e32 v17, 64, v17
	v_addc_co_u32_e64 v9, s[4:5], 0, v9, s[4:5]
	s_andn2_b64 exec, exec, s[16:17]
	s_cbranch_execz .LBB273_157
.LBB273_11:                             ; =>This Inner Loop Header: Depth=1
	global_load_dword v10, v[8:9], off
	v_mov_b32_e32 v21, 0
	s_waitcnt vmcnt(0)
	v_mad_i64_i32 v[10:11], s[4:5], v10, s48, v[6:7]
	v_add_co_u32_e64 v10, s[4:5], v10, v4
	v_addc_co_u32_e64 v11, s[4:5], 0, v11, s[4:5]
	global_load_ubyte v22, v[10:11], off
	s_waitcnt lgkmcnt(0)
	global_load_dword v20, v14, s[12:13]
	s_waitcnt vmcnt(1)
	v_cmp_ne_u16_e64 s[4:5], 0, v22
	s_and_saveexec_b64 s[22:23], s[4:5]
	s_cbranch_execz .LBB273_17
; %bb.12:                               ;   in Loop: Header=BB273_11 Depth=1
	v_cmp_ne_u16_e64 s[4:5], s50, v22
	v_bfrev_b32_e32 v21, 1
	s_and_saveexec_b64 s[42:43], s[4:5]
	s_cbranch_execz .LBB273_16
; %bb.13:                               ;   in Loop: Header=BB273_11 Depth=1
	v_and_b32_e32 v12, 0xffff, v22
	v_and_b32_e32 v23, 0x7f, v12
	v_cmp_ne_u32_e64 s[4:5], s51, v23
	v_mov_b32_e32 v21, 0x7f800001
	s_and_saveexec_b64 s[44:45], s[4:5]
	s_cbranch_execz .LBB273_15
; %bb.14:                               ;   in Loop: Header=BB273_11 Depth=1
	v_and_b32_e32 v21, 7, v12
	v_ffbh_u32_e32 v24, v21
	v_min_u32_e32 v27, 32, v24
	v_subrev_u32_e32 v24, 28, v27
	v_lshlrev_b64 v[24:25], v24, v[12:13]
	v_lshrrev_b32_e32 v26, 3, v23
	v_sub_u32_e32 v12, 29, v27
	v_and_b32_e32 v24, 7, v24
	v_cmp_gt_u32_e64 s[4:5], 8, v23
	v_cndmask_b32_e64 v12, v26, v12, s[4:5]
	v_cndmask_b32_e64 v21, v21, v24, s[4:5]
	v_lshlrev_b32_e32 v22, 24, v22
	v_lshlrev_b32_e32 v21, 20, v21
	v_and_b32_e32 v22, 0x80000000, v22
	v_lshl_add_u32 v12, v12, 23, v18
	v_or3_b32 v21, v22, v12, v21
.LBB273_15:                             ;   in Loop: Header=BB273_11 Depth=1
	s_or_b64 exec, exec, s[44:45]
.LBB273_16:                             ;   in Loop: Header=BB273_11 Depth=1
	s_or_b64 exec, exec, s[42:43]
.LBB273_17:                             ;   in Loop: Header=BB273_11 Depth=1
	s_or_b64 exec, exec, s[22:23]
	global_load_ubyte v24, v[10:11], off offset:8
	v_mov_b32_e32 v22, 0
	v_mov_b32_e32 v23, 0
	s_waitcnt vmcnt(0)
	v_cmp_ne_u16_e64 s[4:5], 0, v24
	s_and_saveexec_b64 s[22:23], s[4:5]
	s_cbranch_execz .LBB273_23
; %bb.18:                               ;   in Loop: Header=BB273_11 Depth=1
	v_cmp_ne_u16_e64 s[4:5], s50, v24
	v_bfrev_b32_e32 v23, 1
	s_and_saveexec_b64 s[42:43], s[4:5]
	s_cbranch_execz .LBB273_22
; %bb.19:                               ;   in Loop: Header=BB273_11 Depth=1
	v_and_b32_e32 v12, 0xffff, v24
	v_and_b32_e32 v25, 0x7f, v12
	v_cmp_ne_u32_e64 s[4:5], s51, v25
	v_mov_b32_e32 v23, 0x7f800001
	s_and_saveexec_b64 s[44:45], s[4:5]
	s_cbranch_execz .LBB273_21
; %bb.20:                               ;   in Loop: Header=BB273_11 Depth=1
	v_and_b32_e32 v23, 7, v12
	v_ffbh_u32_e32 v26, v23
	v_min_u32_e32 v29, 32, v26
	v_subrev_u32_e32 v26, 28, v29
	v_lshlrev_b64 v[26:27], v26, v[12:13]
	v_lshrrev_b32_e32 v28, 3, v25
	v_sub_u32_e32 v12, 29, v29
	v_and_b32_e32 v26, 7, v26
	v_cmp_gt_u32_e64 s[4:5], 8, v25
	v_cndmask_b32_e64 v12, v28, v12, s[4:5]
	v_cndmask_b32_e64 v23, v23, v26, s[4:5]
	v_lshlrev_b32_e32 v24, 24, v24
	v_lshlrev_b32_e32 v23, 20, v23
	v_and_b32_e32 v24, 0x80000000, v24
	v_lshl_add_u32 v12, v12, 23, v18
	v_or3_b32 v23, v24, v12, v23
.LBB273_21:                             ;   in Loop: Header=BB273_11 Depth=1
	s_or_b64 exec, exec, s[44:45]
.LBB273_22:                             ;   in Loop: Header=BB273_11 Depth=1
	s_or_b64 exec, exec, s[42:43]
.LBB273_23:                             ;   in Loop: Header=BB273_11 Depth=1
	s_or_b64 exec, exec, s[22:23]
	global_load_ubyte v24, v[10:11], off offset:128
	s_waitcnt vmcnt(0)
	v_cmp_ne_u16_e64 s[4:5], 0, v24
	s_and_saveexec_b64 s[22:23], s[4:5]
	s_cbranch_execz .LBB273_29
; %bb.24:                               ;   in Loop: Header=BB273_11 Depth=1
	v_cmp_ne_u16_e64 s[4:5], s50, v24
	v_bfrev_b32_e32 v22, 1
	s_and_saveexec_b64 s[42:43], s[4:5]
	s_cbranch_execz .LBB273_28
; %bb.25:                               ;   in Loop: Header=BB273_11 Depth=1
	v_and_b32_e32 v12, 0xffff, v24
	v_and_b32_e32 v25, 0x7f, v12
	v_cmp_ne_u32_e64 s[4:5], s51, v25
	v_mov_b32_e32 v22, 0x7f800001
	s_and_saveexec_b64 s[44:45], s[4:5]
	s_cbranch_execz .LBB273_27
; %bb.26:                               ;   in Loop: Header=BB273_11 Depth=1
	v_and_b32_e32 v22, 7, v12
	v_ffbh_u32_e32 v26, v22
	v_min_u32_e32 v29, 32, v26
	v_subrev_u32_e32 v26, 28, v29
	v_lshlrev_b64 v[26:27], v26, v[12:13]
	v_lshrrev_b32_e32 v28, 3, v25
	v_sub_u32_e32 v12, 29, v29
	v_and_b32_e32 v26, 7, v26
	v_cmp_gt_u32_e64 s[4:5], 8, v25
	v_cndmask_b32_e64 v12, v28, v12, s[4:5]
	v_cndmask_b32_e64 v22, v22, v26, s[4:5]
	v_lshlrev_b32_e32 v24, 24, v24
	v_lshlrev_b32_e32 v22, 20, v22
	v_and_b32_e32 v24, 0x80000000, v24
	v_lshl_add_u32 v12, v12, 23, v18
	v_or3_b32 v22, v24, v12, v22
.LBB273_27:                             ;   in Loop: Header=BB273_11 Depth=1
	s_or_b64 exec, exec, s[44:45]
.LBB273_28:                             ;   in Loop: Header=BB273_11 Depth=1
	s_or_b64 exec, exec, s[42:43]
.LBB273_29:                             ;   in Loop: Header=BB273_11 Depth=1
	s_or_b64 exec, exec, s[22:23]
	global_load_ubyte v26, v[10:11], off offset:136
	v_mov_b32_e32 v24, 0
	v_mov_b32_e32 v25, 0
	s_waitcnt vmcnt(0)
	v_cmp_ne_u16_e64 s[4:5], 0, v26
	s_and_saveexec_b64 s[22:23], s[4:5]
	s_cbranch_execz .LBB273_35
; %bb.30:                               ;   in Loop: Header=BB273_11 Depth=1
	v_cmp_ne_u16_e64 s[4:5], s50, v26
	v_bfrev_b32_e32 v25, 1
	s_and_saveexec_b64 s[42:43], s[4:5]
	s_cbranch_execz .LBB273_34
; %bb.31:                               ;   in Loop: Header=BB273_11 Depth=1
	v_and_b32_e32 v12, 0xffff, v26
	v_and_b32_e32 v27, 0x7f, v12
	v_cmp_ne_u32_e64 s[4:5], s51, v27
	v_mov_b32_e32 v25, 0x7f800001
	s_and_saveexec_b64 s[44:45], s[4:5]
	s_cbranch_execz .LBB273_33
; %bb.32:                               ;   in Loop: Header=BB273_11 Depth=1
	v_and_b32_e32 v25, 7, v12
	v_ffbh_u32_e32 v28, v25
	v_min_u32_e32 v31, 32, v28
	v_subrev_u32_e32 v28, 28, v31
	v_lshlrev_b64 v[28:29], v28, v[12:13]
	v_lshrrev_b32_e32 v30, 3, v27
	v_sub_u32_e32 v12, 29, v31
	v_and_b32_e32 v28, 7, v28
	v_cmp_gt_u32_e64 s[4:5], 8, v27
	v_cndmask_b32_e64 v12, v30, v12, s[4:5]
	v_cndmask_b32_e64 v25, v25, v28, s[4:5]
	v_lshlrev_b32_e32 v26, 24, v26
	v_lshlrev_b32_e32 v25, 20, v25
	v_and_b32_e32 v26, 0x80000000, v26
	v_lshl_add_u32 v12, v12, 23, v18
	v_or3_b32 v25, v26, v12, v25
.LBB273_33:                             ;   in Loop: Header=BB273_11 Depth=1
	s_or_b64 exec, exec, s[44:45]
.LBB273_34:                             ;   in Loop: Header=BB273_11 Depth=1
	s_or_b64 exec, exec, s[42:43]
.LBB273_35:                             ;   in Loop: Header=BB273_11 Depth=1
	s_or_b64 exec, exec, s[22:23]
	global_load_ubyte v26, v[10:11], off offset:256
	s_waitcnt vmcnt(0)
	v_cmp_ne_u16_e64 s[4:5], 0, v26
	s_and_saveexec_b64 s[22:23], s[4:5]
	s_cbranch_execz .LBB273_41
; %bb.36:                               ;   in Loop: Header=BB273_11 Depth=1
	v_cmp_ne_u16_e64 s[4:5], s50, v26
	v_bfrev_b32_e32 v24, 1
	s_and_saveexec_b64 s[42:43], s[4:5]
	s_cbranch_execz .LBB273_40
; %bb.37:                               ;   in Loop: Header=BB273_11 Depth=1
	v_and_b32_e32 v12, 0xffff, v26
	v_and_b32_e32 v27, 0x7f, v12
	v_cmp_ne_u32_e64 s[4:5], s51, v27
	v_mov_b32_e32 v24, 0x7f800001
	s_and_saveexec_b64 s[44:45], s[4:5]
	s_cbranch_execz .LBB273_39
; %bb.38:                               ;   in Loop: Header=BB273_11 Depth=1
	v_and_b32_e32 v24, 7, v12
	v_ffbh_u32_e32 v28, v24
	v_min_u32_e32 v31, 32, v28
	v_subrev_u32_e32 v28, 28, v31
	v_lshlrev_b64 v[28:29], v28, v[12:13]
	v_lshrrev_b32_e32 v30, 3, v27
	v_sub_u32_e32 v12, 29, v31
	v_and_b32_e32 v28, 7, v28
	v_cmp_gt_u32_e64 s[4:5], 8, v27
	v_cndmask_b32_e64 v12, v30, v12, s[4:5]
	v_cndmask_b32_e64 v24, v24, v28, s[4:5]
	v_lshlrev_b32_e32 v26, 24, v26
	v_lshlrev_b32_e32 v24, 20, v24
	v_and_b32_e32 v26, 0x80000000, v26
	v_lshl_add_u32 v12, v12, 23, v18
	v_or3_b32 v24, v26, v12, v24
.LBB273_39:                             ;   in Loop: Header=BB273_11 Depth=1
	s_or_b64 exec, exec, s[44:45]
.LBB273_40:                             ;   in Loop: Header=BB273_11 Depth=1
	s_or_b64 exec, exec, s[42:43]
.LBB273_41:                             ;   in Loop: Header=BB273_11 Depth=1
	s_or_b64 exec, exec, s[22:23]
	global_load_ubyte v28, v[10:11], off offset:264
	v_mov_b32_e32 v26, 0
	v_mov_b32_e32 v27, 0
	s_waitcnt vmcnt(0)
	v_cmp_ne_u16_e64 s[4:5], 0, v28
	s_and_saveexec_b64 s[22:23], s[4:5]
	s_cbranch_execz .LBB273_47
; %bb.42:                               ;   in Loop: Header=BB273_11 Depth=1
	v_cmp_ne_u16_e64 s[4:5], s50, v28
	v_bfrev_b32_e32 v27, 1
	s_and_saveexec_b64 s[42:43], s[4:5]
	s_cbranch_execz .LBB273_46
; %bb.43:                               ;   in Loop: Header=BB273_11 Depth=1
	v_and_b32_e32 v12, 0xffff, v28
	v_and_b32_e32 v29, 0x7f, v12
	v_cmp_ne_u32_e64 s[4:5], s51, v29
	v_mov_b32_e32 v27, 0x7f800001
	s_and_saveexec_b64 s[44:45], s[4:5]
	s_cbranch_execz .LBB273_45
; %bb.44:                               ;   in Loop: Header=BB273_11 Depth=1
	v_and_b32_e32 v27, 7, v12
	v_ffbh_u32_e32 v30, v27
	v_min_u32_e32 v33, 32, v30
	v_subrev_u32_e32 v30, 28, v33
	v_lshlrev_b64 v[30:31], v30, v[12:13]
	v_lshrrev_b32_e32 v32, 3, v29
	v_sub_u32_e32 v12, 29, v33
	v_and_b32_e32 v30, 7, v30
	v_cmp_gt_u32_e64 s[4:5], 8, v29
	v_cndmask_b32_e64 v12, v32, v12, s[4:5]
	v_cndmask_b32_e64 v27, v27, v30, s[4:5]
	v_lshlrev_b32_e32 v28, 24, v28
	v_lshlrev_b32_e32 v27, 20, v27
	v_and_b32_e32 v28, 0x80000000, v28
	v_lshl_add_u32 v12, v12, 23, v18
	v_or3_b32 v27, v28, v12, v27
.LBB273_45:                             ;   in Loop: Header=BB273_11 Depth=1
	s_or_b64 exec, exec, s[44:45]
.LBB273_46:                             ;   in Loop: Header=BB273_11 Depth=1
	s_or_b64 exec, exec, s[42:43]
.LBB273_47:                             ;   in Loop: Header=BB273_11 Depth=1
	s_or_b64 exec, exec, s[22:23]
	global_load_ubyte v28, v[10:11], off offset:384
	s_waitcnt vmcnt(0)
	v_cmp_ne_u16_e64 s[4:5], 0, v28
	s_and_saveexec_b64 s[22:23], s[4:5]
	s_cbranch_execz .LBB273_53
; %bb.48:                               ;   in Loop: Header=BB273_11 Depth=1
	v_cmp_ne_u16_e64 s[4:5], s50, v28
	v_bfrev_b32_e32 v26, 1
	s_and_saveexec_b64 s[42:43], s[4:5]
	s_cbranch_execz .LBB273_52
; %bb.49:                               ;   in Loop: Header=BB273_11 Depth=1
	v_and_b32_e32 v12, 0xffff, v28
	v_and_b32_e32 v29, 0x7f, v12
	v_cmp_ne_u32_e64 s[4:5], s51, v29
	v_mov_b32_e32 v26, 0x7f800001
	s_and_saveexec_b64 s[44:45], s[4:5]
	s_cbranch_execz .LBB273_51
; %bb.50:                               ;   in Loop: Header=BB273_11 Depth=1
	v_and_b32_e32 v26, 7, v12
	v_ffbh_u32_e32 v30, v26
	v_min_u32_e32 v33, 32, v30
	v_subrev_u32_e32 v30, 28, v33
	v_lshlrev_b64 v[30:31], v30, v[12:13]
	v_lshrrev_b32_e32 v32, 3, v29
	v_sub_u32_e32 v12, 29, v33
	v_and_b32_e32 v30, 7, v30
	v_cmp_gt_u32_e64 s[4:5], 8, v29
	v_cndmask_b32_e64 v12, v32, v12, s[4:5]
	v_cndmask_b32_e64 v26, v26, v30, s[4:5]
	v_lshlrev_b32_e32 v28, 24, v28
	v_lshlrev_b32_e32 v26, 20, v26
	v_and_b32_e32 v28, 0x80000000, v28
	v_lshl_add_u32 v12, v12, 23, v18
	v_or3_b32 v26, v28, v12, v26
.LBB273_51:                             ;   in Loop: Header=BB273_11 Depth=1
	s_or_b64 exec, exec, s[44:45]
.LBB273_52:                             ;   in Loop: Header=BB273_11 Depth=1
	s_or_b64 exec, exec, s[42:43]
.LBB273_53:                             ;   in Loop: Header=BB273_11 Depth=1
	s_or_b64 exec, exec, s[22:23]
	global_load_ubyte v30, v[10:11], off offset:392
	v_mov_b32_e32 v28, 0
	v_mov_b32_e32 v29, 0
	s_waitcnt vmcnt(0)
	v_cmp_ne_u16_e64 s[4:5], 0, v30
	s_and_saveexec_b64 s[22:23], s[4:5]
	s_cbranch_execz .LBB273_59
; %bb.54:                               ;   in Loop: Header=BB273_11 Depth=1
	v_cmp_ne_u16_e64 s[4:5], s50, v30
	v_bfrev_b32_e32 v29, 1
	s_and_saveexec_b64 s[42:43], s[4:5]
	s_cbranch_execz .LBB273_58
; %bb.55:                               ;   in Loop: Header=BB273_11 Depth=1
	v_and_b32_e32 v12, 0xffff, v30
	v_and_b32_e32 v31, 0x7f, v12
	v_cmp_ne_u32_e64 s[4:5], s51, v31
	v_mov_b32_e32 v29, 0x7f800001
	s_and_saveexec_b64 s[44:45], s[4:5]
	s_cbranch_execz .LBB273_57
; %bb.56:                               ;   in Loop: Header=BB273_11 Depth=1
	v_and_b32_e32 v29, 7, v12
	v_ffbh_u32_e32 v32, v29
	v_min_u32_e32 v35, 32, v32
	v_subrev_u32_e32 v32, 28, v35
	v_lshlrev_b64 v[32:33], v32, v[12:13]
	v_lshrrev_b32_e32 v34, 3, v31
	v_sub_u32_e32 v12, 29, v35
	v_and_b32_e32 v32, 7, v32
	v_cmp_gt_u32_e64 s[4:5], 8, v31
	v_cndmask_b32_e64 v12, v34, v12, s[4:5]
	v_cndmask_b32_e64 v29, v29, v32, s[4:5]
	v_lshlrev_b32_e32 v30, 24, v30
	v_lshlrev_b32_e32 v29, 20, v29
	v_and_b32_e32 v30, 0x80000000, v30
	v_lshl_add_u32 v12, v12, 23, v18
	v_or3_b32 v29, v30, v12, v29
.LBB273_57:                             ;   in Loop: Header=BB273_11 Depth=1
	s_or_b64 exec, exec, s[44:45]
.LBB273_58:                             ;   in Loop: Header=BB273_11 Depth=1
	s_or_b64 exec, exec, s[42:43]
.LBB273_59:                             ;   in Loop: Header=BB273_11 Depth=1
	s_or_b64 exec, exec, s[22:23]
	global_load_ubyte v30, v[10:11], off offset:512
	s_waitcnt vmcnt(0)
	v_cmp_ne_u16_e64 s[4:5], 0, v30
	s_and_saveexec_b64 s[22:23], s[4:5]
	s_cbranch_execz .LBB273_65
; %bb.60:                               ;   in Loop: Header=BB273_11 Depth=1
	v_cmp_ne_u16_e64 s[4:5], s50, v30
	v_bfrev_b32_e32 v28, 1
	s_and_saveexec_b64 s[42:43], s[4:5]
	s_cbranch_execz .LBB273_64
; %bb.61:                               ;   in Loop: Header=BB273_11 Depth=1
	v_and_b32_e32 v12, 0xffff, v30
	v_and_b32_e32 v31, 0x7f, v12
	v_cmp_ne_u32_e64 s[4:5], s51, v31
	v_mov_b32_e32 v28, 0x7f800001
	s_and_saveexec_b64 s[44:45], s[4:5]
	s_cbranch_execz .LBB273_63
; %bb.62:                               ;   in Loop: Header=BB273_11 Depth=1
	v_and_b32_e32 v28, 7, v12
	v_ffbh_u32_e32 v32, v28
	v_min_u32_e32 v35, 32, v32
	v_subrev_u32_e32 v32, 28, v35
	v_lshlrev_b64 v[32:33], v32, v[12:13]
	v_lshrrev_b32_e32 v34, 3, v31
	v_sub_u32_e32 v12, 29, v35
	v_and_b32_e32 v32, 7, v32
	v_cmp_gt_u32_e64 s[4:5], 8, v31
	v_cndmask_b32_e64 v12, v34, v12, s[4:5]
	v_cndmask_b32_e64 v28, v28, v32, s[4:5]
	v_lshlrev_b32_e32 v30, 24, v30
	v_lshlrev_b32_e32 v28, 20, v28
	v_and_b32_e32 v30, 0x80000000, v30
	v_lshl_add_u32 v12, v12, 23, v18
	v_or3_b32 v28, v30, v12, v28
.LBB273_63:                             ;   in Loop: Header=BB273_11 Depth=1
	s_or_b64 exec, exec, s[44:45]
.LBB273_64:                             ;   in Loop: Header=BB273_11 Depth=1
	s_or_b64 exec, exec, s[42:43]
.LBB273_65:                             ;   in Loop: Header=BB273_11 Depth=1
	s_or_b64 exec, exec, s[22:23]
	global_load_ubyte v32, v[10:11], off offset:520
	v_mov_b32_e32 v30, 0
	v_mov_b32_e32 v31, 0
	s_waitcnt vmcnt(0)
	v_cmp_ne_u16_e64 s[4:5], 0, v32
	s_and_saveexec_b64 s[22:23], s[4:5]
	s_cbranch_execz .LBB273_71
; %bb.66:                               ;   in Loop: Header=BB273_11 Depth=1
	v_cmp_ne_u16_e64 s[4:5], s50, v32
	v_bfrev_b32_e32 v31, 1
	s_and_saveexec_b64 s[42:43], s[4:5]
	s_cbranch_execz .LBB273_70
; %bb.67:                               ;   in Loop: Header=BB273_11 Depth=1
	v_and_b32_e32 v12, 0xffff, v32
	v_and_b32_e32 v33, 0x7f, v12
	v_cmp_ne_u32_e64 s[4:5], s51, v33
	v_mov_b32_e32 v31, 0x7f800001
	s_and_saveexec_b64 s[44:45], s[4:5]
	s_cbranch_execz .LBB273_69
; %bb.68:                               ;   in Loop: Header=BB273_11 Depth=1
	v_and_b32_e32 v31, 7, v12
	v_ffbh_u32_e32 v34, v31
	v_min_u32_e32 v37, 32, v34
	v_subrev_u32_e32 v34, 28, v37
	v_lshlrev_b64 v[34:35], v34, v[12:13]
	v_lshrrev_b32_e32 v36, 3, v33
	v_sub_u32_e32 v12, 29, v37
	v_and_b32_e32 v34, 7, v34
	v_cmp_gt_u32_e64 s[4:5], 8, v33
	v_cndmask_b32_e64 v12, v36, v12, s[4:5]
	v_cndmask_b32_e64 v31, v31, v34, s[4:5]
	v_lshlrev_b32_e32 v32, 24, v32
	v_lshlrev_b32_e32 v31, 20, v31
	v_and_b32_e32 v32, 0x80000000, v32
	v_lshl_add_u32 v12, v12, 23, v18
	v_or3_b32 v31, v32, v12, v31
.LBB273_69:                             ;   in Loop: Header=BB273_11 Depth=1
	s_or_b64 exec, exec, s[44:45]
.LBB273_70:                             ;   in Loop: Header=BB273_11 Depth=1
	s_or_b64 exec, exec, s[42:43]
.LBB273_71:                             ;   in Loop: Header=BB273_11 Depth=1
	s_or_b64 exec, exec, s[22:23]
	global_load_ubyte v32, v[10:11], off offset:640
	s_waitcnt vmcnt(0)
	v_cmp_ne_u16_e64 s[4:5], 0, v32
	s_and_saveexec_b64 s[22:23], s[4:5]
	s_cbranch_execz .LBB273_77
; %bb.72:                               ;   in Loop: Header=BB273_11 Depth=1
	v_cmp_ne_u16_e64 s[4:5], s50, v32
	v_bfrev_b32_e32 v30, 1
	s_and_saveexec_b64 s[42:43], s[4:5]
	s_cbranch_execz .LBB273_76
; %bb.73:                               ;   in Loop: Header=BB273_11 Depth=1
	v_and_b32_e32 v12, 0xffff, v32
	v_and_b32_e32 v33, 0x7f, v12
	v_cmp_ne_u32_e64 s[4:5], s51, v33
	v_mov_b32_e32 v30, 0x7f800001
	s_and_saveexec_b64 s[44:45], s[4:5]
	s_cbranch_execz .LBB273_75
; %bb.74:                               ;   in Loop: Header=BB273_11 Depth=1
	v_and_b32_e32 v30, 7, v12
	v_ffbh_u32_e32 v34, v30
	v_min_u32_e32 v37, 32, v34
	v_subrev_u32_e32 v34, 28, v37
	v_lshlrev_b64 v[34:35], v34, v[12:13]
	v_lshrrev_b32_e32 v36, 3, v33
	v_sub_u32_e32 v12, 29, v37
	v_and_b32_e32 v34, 7, v34
	v_cmp_gt_u32_e64 s[4:5], 8, v33
	v_cndmask_b32_e64 v12, v36, v12, s[4:5]
	v_cndmask_b32_e64 v30, v30, v34, s[4:5]
	v_lshlrev_b32_e32 v32, 24, v32
	v_lshlrev_b32_e32 v30, 20, v30
	v_and_b32_e32 v32, 0x80000000, v32
	v_lshl_add_u32 v12, v12, 23, v18
	v_or3_b32 v30, v32, v12, v30
.LBB273_75:                             ;   in Loop: Header=BB273_11 Depth=1
	s_or_b64 exec, exec, s[44:45]
.LBB273_76:                             ;   in Loop: Header=BB273_11 Depth=1
	s_or_b64 exec, exec, s[42:43]
.LBB273_77:                             ;   in Loop: Header=BB273_11 Depth=1
	s_or_b64 exec, exec, s[22:23]
	global_load_ubyte v34, v[10:11], off offset:648
	v_mov_b32_e32 v32, 0
	v_mov_b32_e32 v33, 0
	s_waitcnt vmcnt(0)
	v_cmp_ne_u16_e64 s[4:5], 0, v34
	s_and_saveexec_b64 s[22:23], s[4:5]
	s_cbranch_execz .LBB273_83
; %bb.78:                               ;   in Loop: Header=BB273_11 Depth=1
	v_cmp_ne_u16_e64 s[4:5], s50, v34
	v_bfrev_b32_e32 v33, 1
	s_and_saveexec_b64 s[42:43], s[4:5]
	s_cbranch_execz .LBB273_82
; %bb.79:                               ;   in Loop: Header=BB273_11 Depth=1
	v_and_b32_e32 v12, 0xffff, v34
	v_and_b32_e32 v35, 0x7f, v12
	v_cmp_ne_u32_e64 s[4:5], s51, v35
	v_mov_b32_e32 v33, 0x7f800001
	s_and_saveexec_b64 s[44:45], s[4:5]
	s_cbranch_execz .LBB273_81
; %bb.80:                               ;   in Loop: Header=BB273_11 Depth=1
	v_and_b32_e32 v33, 7, v12
	v_ffbh_u32_e32 v36, v33
	v_min_u32_e32 v39, 32, v36
	v_subrev_u32_e32 v36, 28, v39
	v_lshlrev_b64 v[36:37], v36, v[12:13]
	v_lshrrev_b32_e32 v38, 3, v35
	v_sub_u32_e32 v12, 29, v39
	v_and_b32_e32 v36, 7, v36
	v_cmp_gt_u32_e64 s[4:5], 8, v35
	v_cndmask_b32_e64 v12, v38, v12, s[4:5]
	v_cndmask_b32_e64 v33, v33, v36, s[4:5]
	v_lshlrev_b32_e32 v34, 24, v34
	v_lshlrev_b32_e32 v33, 20, v33
	v_and_b32_e32 v34, 0x80000000, v34
	v_lshl_add_u32 v12, v12, 23, v18
	v_or3_b32 v33, v34, v12, v33
.LBB273_81:                             ;   in Loop: Header=BB273_11 Depth=1
	s_or_b64 exec, exec, s[44:45]
.LBB273_82:                             ;   in Loop: Header=BB273_11 Depth=1
	s_or_b64 exec, exec, s[42:43]
.LBB273_83:                             ;   in Loop: Header=BB273_11 Depth=1
	s_or_b64 exec, exec, s[22:23]
	global_load_ubyte v34, v[10:11], off offset:768
	s_waitcnt vmcnt(0)
	v_cmp_ne_u16_e64 s[4:5], 0, v34
	s_and_saveexec_b64 s[22:23], s[4:5]
	s_cbranch_execz .LBB273_89
; %bb.84:                               ;   in Loop: Header=BB273_11 Depth=1
	v_cmp_ne_u16_e64 s[4:5], s50, v34
	v_bfrev_b32_e32 v32, 1
	s_and_saveexec_b64 s[42:43], s[4:5]
	s_cbranch_execz .LBB273_88
; %bb.85:                               ;   in Loop: Header=BB273_11 Depth=1
	v_and_b32_e32 v12, 0xffff, v34
	v_and_b32_e32 v35, 0x7f, v12
	v_cmp_ne_u32_e64 s[4:5], s51, v35
	v_mov_b32_e32 v32, 0x7f800001
	s_and_saveexec_b64 s[44:45], s[4:5]
	s_cbranch_execz .LBB273_87
; %bb.86:                               ;   in Loop: Header=BB273_11 Depth=1
	v_and_b32_e32 v32, 7, v12
	v_ffbh_u32_e32 v36, v32
	v_min_u32_e32 v39, 32, v36
	v_subrev_u32_e32 v36, 28, v39
	v_lshlrev_b64 v[36:37], v36, v[12:13]
	v_lshrrev_b32_e32 v38, 3, v35
	v_sub_u32_e32 v12, 29, v39
	v_and_b32_e32 v36, 7, v36
	v_cmp_gt_u32_e64 s[4:5], 8, v35
	v_cndmask_b32_e64 v12, v38, v12, s[4:5]
	v_cndmask_b32_e64 v32, v32, v36, s[4:5]
	v_lshlrev_b32_e32 v34, 24, v34
	v_lshlrev_b32_e32 v32, 20, v32
	v_and_b32_e32 v34, 0x80000000, v34
	v_lshl_add_u32 v12, v12, 23, v18
	v_or3_b32 v32, v34, v12, v32
.LBB273_87:                             ;   in Loop: Header=BB273_11 Depth=1
	s_or_b64 exec, exec, s[44:45]
.LBB273_88:                             ;   in Loop: Header=BB273_11 Depth=1
	s_or_b64 exec, exec, s[42:43]
.LBB273_89:                             ;   in Loop: Header=BB273_11 Depth=1
	s_or_b64 exec, exec, s[22:23]
	global_load_ubyte v36, v[10:11], off offset:776
	v_mov_b32_e32 v34, 0
	v_mov_b32_e32 v35, 0
	s_waitcnt vmcnt(0)
	v_cmp_ne_u16_e64 s[4:5], 0, v36
	s_and_saveexec_b64 s[22:23], s[4:5]
	s_cbranch_execz .LBB273_95
; %bb.90:                               ;   in Loop: Header=BB273_11 Depth=1
	v_cmp_ne_u16_e64 s[4:5], s50, v36
	v_bfrev_b32_e32 v35, 1
	s_and_saveexec_b64 s[42:43], s[4:5]
	s_cbranch_execz .LBB273_94
; %bb.91:                               ;   in Loop: Header=BB273_11 Depth=1
	v_and_b32_e32 v12, 0xffff, v36
	v_and_b32_e32 v37, 0x7f, v12
	v_cmp_ne_u32_e64 s[4:5], s51, v37
	v_mov_b32_e32 v35, 0x7f800001
	s_and_saveexec_b64 s[44:45], s[4:5]
	s_cbranch_execz .LBB273_93
; %bb.92:                               ;   in Loop: Header=BB273_11 Depth=1
	v_and_b32_e32 v35, 7, v12
	v_ffbh_u32_e32 v38, v35
	v_min_u32_e32 v41, 32, v38
	v_subrev_u32_e32 v38, 28, v41
	v_lshlrev_b64 v[38:39], v38, v[12:13]
	v_lshrrev_b32_e32 v40, 3, v37
	v_sub_u32_e32 v12, 29, v41
	v_and_b32_e32 v38, 7, v38
	v_cmp_gt_u32_e64 s[4:5], 8, v37
	v_cndmask_b32_e64 v12, v40, v12, s[4:5]
	v_cndmask_b32_e64 v35, v35, v38, s[4:5]
	v_lshlrev_b32_e32 v36, 24, v36
	v_lshlrev_b32_e32 v35, 20, v35
	v_and_b32_e32 v36, 0x80000000, v36
	v_lshl_add_u32 v12, v12, 23, v18
	v_or3_b32 v35, v36, v12, v35
.LBB273_93:                             ;   in Loop: Header=BB273_11 Depth=1
	s_or_b64 exec, exec, s[44:45]
.LBB273_94:                             ;   in Loop: Header=BB273_11 Depth=1
	s_or_b64 exec, exec, s[42:43]
.LBB273_95:                             ;   in Loop: Header=BB273_11 Depth=1
	s_or_b64 exec, exec, s[22:23]
	global_load_ubyte v36, v[10:11], off offset:896
	s_waitcnt vmcnt(0)
	v_cmp_ne_u16_e64 s[4:5], 0, v36
	s_and_saveexec_b64 s[22:23], s[4:5]
	s_cbranch_execz .LBB273_101
; %bb.96:                               ;   in Loop: Header=BB273_11 Depth=1
	v_cmp_ne_u16_e64 s[4:5], s50, v36
	v_bfrev_b32_e32 v34, 1
	s_and_saveexec_b64 s[42:43], s[4:5]
	s_cbranch_execz .LBB273_100
; %bb.97:                               ;   in Loop: Header=BB273_11 Depth=1
	v_and_b32_e32 v12, 0xffff, v36
	v_and_b32_e32 v37, 0x7f, v12
	v_cmp_ne_u32_e64 s[4:5], s51, v37
	v_mov_b32_e32 v34, 0x7f800001
	s_and_saveexec_b64 s[44:45], s[4:5]
	s_cbranch_execz .LBB273_99
; %bb.98:                               ;   in Loop: Header=BB273_11 Depth=1
	v_and_b32_e32 v34, 7, v12
	v_ffbh_u32_e32 v38, v34
	v_min_u32_e32 v41, 32, v38
	v_subrev_u32_e32 v38, 28, v41
	v_lshlrev_b64 v[38:39], v38, v[12:13]
	v_lshrrev_b32_e32 v40, 3, v37
	v_sub_u32_e32 v12, 29, v41
	v_and_b32_e32 v38, 7, v38
	v_cmp_gt_u32_e64 s[4:5], 8, v37
	v_cndmask_b32_e64 v12, v40, v12, s[4:5]
	v_cndmask_b32_e64 v34, v34, v38, s[4:5]
	v_lshlrev_b32_e32 v36, 24, v36
	v_lshlrev_b32_e32 v34, 20, v34
	v_and_b32_e32 v36, 0x80000000, v36
	v_lshl_add_u32 v12, v12, 23, v18
	v_or3_b32 v34, v36, v12, v34
.LBB273_99:                             ;   in Loop: Header=BB273_11 Depth=1
	s_or_b64 exec, exec, s[44:45]
.LBB273_100:                            ;   in Loop: Header=BB273_11 Depth=1
	s_or_b64 exec, exec, s[42:43]
.LBB273_101:                            ;   in Loop: Header=BB273_11 Depth=1
	s_or_b64 exec, exec, s[22:23]
	global_load_ubyte v38, v[10:11], off offset:904
	v_mov_b32_e32 v36, 0
	v_mov_b32_e32 v37, 0
	s_waitcnt vmcnt(0)
	v_cmp_ne_u16_e64 s[4:5], 0, v38
	s_and_saveexec_b64 s[22:23], s[4:5]
	s_cbranch_execz .LBB273_107
; %bb.102:                              ;   in Loop: Header=BB273_11 Depth=1
	v_cmp_ne_u16_e64 s[4:5], s50, v38
	v_bfrev_b32_e32 v37, 1
	s_and_saveexec_b64 s[42:43], s[4:5]
	s_cbranch_execz .LBB273_106
; %bb.103:                              ;   in Loop: Header=BB273_11 Depth=1
	v_and_b32_e32 v12, 0xffff, v38
	v_and_b32_e32 v39, 0x7f, v12
	v_cmp_ne_u32_e64 s[4:5], s51, v39
	v_mov_b32_e32 v37, 0x7f800001
	s_and_saveexec_b64 s[44:45], s[4:5]
	s_cbranch_execz .LBB273_105
; %bb.104:                              ;   in Loop: Header=BB273_11 Depth=1
	v_and_b32_e32 v37, 7, v12
	v_ffbh_u32_e32 v40, v37
	v_min_u32_e32 v43, 32, v40
	v_subrev_u32_e32 v40, 28, v43
	v_lshlrev_b64 v[40:41], v40, v[12:13]
	v_lshrrev_b32_e32 v42, 3, v39
	v_sub_u32_e32 v12, 29, v43
	v_and_b32_e32 v40, 7, v40
	v_cmp_gt_u32_e64 s[4:5], 8, v39
	v_cndmask_b32_e64 v12, v42, v12, s[4:5]
	v_cndmask_b32_e64 v37, v37, v40, s[4:5]
	v_lshlrev_b32_e32 v38, 24, v38
	v_lshlrev_b32_e32 v37, 20, v37
	v_and_b32_e32 v38, 0x80000000, v38
	v_lshl_add_u32 v12, v12, 23, v18
	v_or3_b32 v37, v38, v12, v37
.LBB273_105:                            ;   in Loop: Header=BB273_11 Depth=1
	s_or_b64 exec, exec, s[44:45]
.LBB273_106:                            ;   in Loop: Header=BB273_11 Depth=1
	s_or_b64 exec, exec, s[42:43]
.LBB273_107:                            ;   in Loop: Header=BB273_11 Depth=1
	s_or_b64 exec, exec, s[22:23]
	global_load_ubyte v38, v[10:11], off offset:1024
	s_waitcnt vmcnt(0)
	v_cmp_ne_u16_e64 s[4:5], 0, v38
	s_and_saveexec_b64 s[22:23], s[4:5]
	s_cbranch_execz .LBB273_113
; %bb.108:                              ;   in Loop: Header=BB273_11 Depth=1
	v_cmp_ne_u16_e64 s[4:5], s50, v38
	v_bfrev_b32_e32 v36, 1
	s_and_saveexec_b64 s[42:43], s[4:5]
	s_cbranch_execz .LBB273_112
; %bb.109:                              ;   in Loop: Header=BB273_11 Depth=1
	v_and_b32_e32 v12, 0xffff, v38
	v_and_b32_e32 v39, 0x7f, v12
	v_cmp_ne_u32_e64 s[4:5], s51, v39
	v_mov_b32_e32 v36, 0x7f800001
	s_and_saveexec_b64 s[44:45], s[4:5]
	s_cbranch_execz .LBB273_111
; %bb.110:                              ;   in Loop: Header=BB273_11 Depth=1
	v_and_b32_e32 v36, 7, v12
	v_ffbh_u32_e32 v40, v36
	v_min_u32_e32 v43, 32, v40
	v_subrev_u32_e32 v40, 28, v43
	v_lshlrev_b64 v[40:41], v40, v[12:13]
	v_lshrrev_b32_e32 v42, 3, v39
	v_sub_u32_e32 v12, 29, v43
	v_and_b32_e32 v40, 7, v40
	v_cmp_gt_u32_e64 s[4:5], 8, v39
	v_cndmask_b32_e64 v12, v42, v12, s[4:5]
	v_cndmask_b32_e64 v36, v36, v40, s[4:5]
	v_lshlrev_b32_e32 v38, 24, v38
	v_lshlrev_b32_e32 v36, 20, v36
	v_and_b32_e32 v38, 0x80000000, v38
	v_lshl_add_u32 v12, v12, 23, v18
	v_or3_b32 v36, v38, v12, v36
.LBB273_111:                            ;   in Loop: Header=BB273_11 Depth=1
	s_or_b64 exec, exec, s[44:45]
.LBB273_112:                            ;   in Loop: Header=BB273_11 Depth=1
	s_or_b64 exec, exec, s[42:43]
.LBB273_113:                            ;   in Loop: Header=BB273_11 Depth=1
	s_or_b64 exec, exec, s[22:23]
	global_load_ubyte v40, v[10:11], off offset:1032
	v_mov_b32_e32 v38, 0
	v_mov_b32_e32 v39, 0
	s_waitcnt vmcnt(0)
	v_cmp_ne_u16_e64 s[4:5], 0, v40
	s_and_saveexec_b64 s[22:23], s[4:5]
	s_cbranch_execz .LBB273_119
; %bb.114:                              ;   in Loop: Header=BB273_11 Depth=1
	v_cmp_ne_u16_e64 s[4:5], s50, v40
	v_bfrev_b32_e32 v39, 1
	s_and_saveexec_b64 s[42:43], s[4:5]
	s_cbranch_execz .LBB273_118
; %bb.115:                              ;   in Loop: Header=BB273_11 Depth=1
	v_and_b32_e32 v12, 0xffff, v40
	v_and_b32_e32 v41, 0x7f, v12
	v_cmp_ne_u32_e64 s[4:5], s51, v41
	v_mov_b32_e32 v39, 0x7f800001
	s_and_saveexec_b64 s[44:45], s[4:5]
	s_cbranch_execz .LBB273_117
; %bb.116:                              ;   in Loop: Header=BB273_11 Depth=1
	v_and_b32_e32 v39, 7, v12
	v_ffbh_u32_e32 v42, v39
	v_min_u32_e32 v45, 32, v42
	v_subrev_u32_e32 v42, 28, v45
	v_lshlrev_b64 v[42:43], v42, v[12:13]
	v_lshrrev_b32_e32 v44, 3, v41
	v_sub_u32_e32 v12, 29, v45
	v_and_b32_e32 v42, 7, v42
	v_cmp_gt_u32_e64 s[4:5], 8, v41
	v_cndmask_b32_e64 v12, v44, v12, s[4:5]
	v_cndmask_b32_e64 v39, v39, v42, s[4:5]
	v_lshlrev_b32_e32 v40, 24, v40
	v_lshlrev_b32_e32 v39, 20, v39
	v_and_b32_e32 v40, 0x80000000, v40
	v_lshl_add_u32 v12, v12, 23, v18
	v_or3_b32 v39, v40, v12, v39
.LBB273_117:                            ;   in Loop: Header=BB273_11 Depth=1
	s_or_b64 exec, exec, s[44:45]
.LBB273_118:                            ;   in Loop: Header=BB273_11 Depth=1
	s_or_b64 exec, exec, s[42:43]
.LBB273_119:                            ;   in Loop: Header=BB273_11 Depth=1
	s_or_b64 exec, exec, s[22:23]
	global_load_ubyte v40, v[10:11], off offset:1152
	s_waitcnt vmcnt(0)
	v_cmp_ne_u16_e64 s[4:5], 0, v40
	s_and_saveexec_b64 s[22:23], s[4:5]
	s_cbranch_execz .LBB273_125
; %bb.120:                              ;   in Loop: Header=BB273_11 Depth=1
	v_cmp_ne_u16_e64 s[4:5], s50, v40
	v_bfrev_b32_e32 v38, 1
	s_and_saveexec_b64 s[42:43], s[4:5]
	s_cbranch_execz .LBB273_124
; %bb.121:                              ;   in Loop: Header=BB273_11 Depth=1
	v_and_b32_e32 v12, 0xffff, v40
	v_and_b32_e32 v41, 0x7f, v12
	v_cmp_ne_u32_e64 s[4:5], s51, v41
	v_mov_b32_e32 v38, 0x7f800001
	s_and_saveexec_b64 s[44:45], s[4:5]
	s_cbranch_execz .LBB273_123
; %bb.122:                              ;   in Loop: Header=BB273_11 Depth=1
	v_and_b32_e32 v38, 7, v12
	v_ffbh_u32_e32 v42, v38
	v_min_u32_e32 v45, 32, v42
	v_subrev_u32_e32 v42, 28, v45
	v_lshlrev_b64 v[42:43], v42, v[12:13]
	v_lshrrev_b32_e32 v44, 3, v41
	v_sub_u32_e32 v12, 29, v45
	v_and_b32_e32 v42, 7, v42
	v_cmp_gt_u32_e64 s[4:5], 8, v41
	v_cndmask_b32_e64 v12, v44, v12, s[4:5]
	v_cndmask_b32_e64 v38, v38, v42, s[4:5]
	v_lshlrev_b32_e32 v40, 24, v40
	v_lshlrev_b32_e32 v38, 20, v38
	v_and_b32_e32 v40, 0x80000000, v40
	v_lshl_add_u32 v12, v12, 23, v18
	v_or3_b32 v38, v40, v12, v38
.LBB273_123:                            ;   in Loop: Header=BB273_11 Depth=1
	s_or_b64 exec, exec, s[44:45]
.LBB273_124:                            ;   in Loop: Header=BB273_11 Depth=1
	s_or_b64 exec, exec, s[42:43]
.LBB273_125:                            ;   in Loop: Header=BB273_11 Depth=1
	s_or_b64 exec, exec, s[22:23]
	global_load_ubyte v42, v[10:11], off offset:1160
	v_mov_b32_e32 v40, 0
	v_mov_b32_e32 v41, 0
	s_waitcnt vmcnt(0)
	v_cmp_ne_u16_e64 s[4:5], 0, v42
	s_and_saveexec_b64 s[22:23], s[4:5]
	s_cbranch_execz .LBB273_131
; %bb.126:                              ;   in Loop: Header=BB273_11 Depth=1
	v_cmp_ne_u16_e64 s[4:5], s50, v42
	v_bfrev_b32_e32 v41, 1
	s_and_saveexec_b64 s[42:43], s[4:5]
	s_cbranch_execz .LBB273_130
; %bb.127:                              ;   in Loop: Header=BB273_11 Depth=1
	v_and_b32_e32 v12, 0xffff, v42
	v_and_b32_e32 v43, 0x7f, v12
	v_cmp_ne_u32_e64 s[4:5], s51, v43
	v_mov_b32_e32 v41, 0x7f800001
	s_and_saveexec_b64 s[44:45], s[4:5]
	s_cbranch_execz .LBB273_129
; %bb.128:                              ;   in Loop: Header=BB273_11 Depth=1
	v_and_b32_e32 v41, 7, v12
	v_ffbh_u32_e32 v44, v41
	v_min_u32_e32 v47, 32, v44
	v_subrev_u32_e32 v44, 28, v47
	v_lshlrev_b64 v[44:45], v44, v[12:13]
	v_lshrrev_b32_e32 v46, 3, v43
	v_sub_u32_e32 v12, 29, v47
	v_and_b32_e32 v44, 7, v44
	v_cmp_gt_u32_e64 s[4:5], 8, v43
	v_cndmask_b32_e64 v12, v46, v12, s[4:5]
	v_cndmask_b32_e64 v41, v41, v44, s[4:5]
	v_lshlrev_b32_e32 v42, 24, v42
	v_lshlrev_b32_e32 v41, 20, v41
	v_and_b32_e32 v42, 0x80000000, v42
	v_lshl_add_u32 v12, v12, 23, v18
	v_or3_b32 v41, v42, v12, v41
.LBB273_129:                            ;   in Loop: Header=BB273_11 Depth=1
	s_or_b64 exec, exec, s[44:45]
.LBB273_130:                            ;   in Loop: Header=BB273_11 Depth=1
	s_or_b64 exec, exec, s[42:43]
.LBB273_131:                            ;   in Loop: Header=BB273_11 Depth=1
	s_or_b64 exec, exec, s[22:23]
	global_load_ubyte v42, v[10:11], off offset:1280
	s_waitcnt vmcnt(0)
	v_cmp_ne_u16_e64 s[4:5], 0, v42
	s_and_saveexec_b64 s[22:23], s[4:5]
	s_cbranch_execz .LBB273_137
; %bb.132:                              ;   in Loop: Header=BB273_11 Depth=1
	v_cmp_ne_u16_e64 s[4:5], s50, v42
	v_bfrev_b32_e32 v40, 1
	s_and_saveexec_b64 s[42:43], s[4:5]
	s_cbranch_execz .LBB273_136
; %bb.133:                              ;   in Loop: Header=BB273_11 Depth=1
	v_and_b32_e32 v12, 0xffff, v42
	v_and_b32_e32 v43, 0x7f, v12
	v_cmp_ne_u32_e64 s[4:5], s51, v43
	v_mov_b32_e32 v40, 0x7f800001
	s_and_saveexec_b64 s[44:45], s[4:5]
	s_cbranch_execz .LBB273_135
; %bb.134:                              ;   in Loop: Header=BB273_11 Depth=1
	v_and_b32_e32 v40, 7, v12
	v_ffbh_u32_e32 v44, v40
	v_min_u32_e32 v47, 32, v44
	v_subrev_u32_e32 v44, 28, v47
	v_lshlrev_b64 v[44:45], v44, v[12:13]
	v_lshrrev_b32_e32 v46, 3, v43
	v_sub_u32_e32 v12, 29, v47
	v_and_b32_e32 v44, 7, v44
	v_cmp_gt_u32_e64 s[4:5], 8, v43
	v_cndmask_b32_e64 v12, v46, v12, s[4:5]
	v_cndmask_b32_e64 v40, v40, v44, s[4:5]
	v_lshlrev_b32_e32 v42, 24, v42
	v_lshlrev_b32_e32 v40, 20, v40
	v_and_b32_e32 v42, 0x80000000, v42
	v_lshl_add_u32 v12, v12, 23, v18
	v_or3_b32 v40, v42, v12, v40
.LBB273_135:                            ;   in Loop: Header=BB273_11 Depth=1
	s_or_b64 exec, exec, s[44:45]
.LBB273_136:                            ;   in Loop: Header=BB273_11 Depth=1
	s_or_b64 exec, exec, s[42:43]
.LBB273_137:                            ;   in Loop: Header=BB273_11 Depth=1
	s_or_b64 exec, exec, s[22:23]
	global_load_ubyte v44, v[10:11], off offset:1288
	v_mov_b32_e32 v42, 0
	v_mov_b32_e32 v43, 0
	s_waitcnt vmcnt(0)
	v_cmp_ne_u16_e64 s[4:5], 0, v44
	s_and_saveexec_b64 s[22:23], s[4:5]
	s_cbranch_execz .LBB273_143
; %bb.138:                              ;   in Loop: Header=BB273_11 Depth=1
	v_cmp_ne_u16_e64 s[4:5], s50, v44
	v_bfrev_b32_e32 v43, 1
	s_and_saveexec_b64 s[42:43], s[4:5]
	s_cbranch_execz .LBB273_142
; %bb.139:                              ;   in Loop: Header=BB273_11 Depth=1
	v_and_b32_e32 v12, 0xffff, v44
	v_and_b32_e32 v45, 0x7f, v12
	v_cmp_ne_u32_e64 s[4:5], s51, v45
	v_mov_b32_e32 v43, 0x7f800001
	s_and_saveexec_b64 s[44:45], s[4:5]
	s_cbranch_execz .LBB273_141
; %bb.140:                              ;   in Loop: Header=BB273_11 Depth=1
	v_and_b32_e32 v43, 7, v12
	v_ffbh_u32_e32 v46, v43
	v_min_u32_e32 v49, 32, v46
	v_subrev_u32_e32 v46, 28, v49
	v_lshlrev_b64 v[46:47], v46, v[12:13]
	v_lshrrev_b32_e32 v48, 3, v45
	v_sub_u32_e32 v12, 29, v49
	v_and_b32_e32 v46, 7, v46
	v_cmp_gt_u32_e64 s[4:5], 8, v45
	v_cndmask_b32_e64 v12, v48, v12, s[4:5]
	v_cndmask_b32_e64 v43, v43, v46, s[4:5]
	v_lshlrev_b32_e32 v44, 24, v44
	v_lshlrev_b32_e32 v43, 20, v43
	v_and_b32_e32 v44, 0x80000000, v44
	v_lshl_add_u32 v12, v12, 23, v18
	v_or3_b32 v43, v44, v12, v43
.LBB273_141:                            ;   in Loop: Header=BB273_11 Depth=1
	s_or_b64 exec, exec, s[44:45]
.LBB273_142:                            ;   in Loop: Header=BB273_11 Depth=1
	s_or_b64 exec, exec, s[42:43]
.LBB273_143:                            ;   in Loop: Header=BB273_11 Depth=1
	s_or_b64 exec, exec, s[22:23]
	global_load_ubyte v44, v[10:11], off offset:1408
	s_waitcnt vmcnt(0)
	v_cmp_ne_u16_e64 s[4:5], 0, v44
	s_and_saveexec_b64 s[22:23], s[4:5]
	s_cbranch_execz .LBB273_149
; %bb.144:                              ;   in Loop: Header=BB273_11 Depth=1
	v_cmp_ne_u16_e64 s[4:5], s50, v44
	v_bfrev_b32_e32 v42, 1
	s_and_saveexec_b64 s[42:43], s[4:5]
	s_cbranch_execz .LBB273_148
; %bb.145:                              ;   in Loop: Header=BB273_11 Depth=1
	v_and_b32_e32 v12, 0xffff, v44
	v_and_b32_e32 v45, 0x7f, v12
	v_cmp_ne_u32_e64 s[4:5], s51, v45
	v_mov_b32_e32 v42, 0x7f800001
	s_and_saveexec_b64 s[44:45], s[4:5]
	s_cbranch_execz .LBB273_147
; %bb.146:                              ;   in Loop: Header=BB273_11 Depth=1
	v_and_b32_e32 v42, 7, v12
	v_ffbh_u32_e32 v46, v42
	v_min_u32_e32 v49, 32, v46
	v_subrev_u32_e32 v46, 28, v49
	v_lshlrev_b64 v[46:47], v46, v[12:13]
	v_lshrrev_b32_e32 v48, 3, v45
	v_sub_u32_e32 v12, 29, v49
	v_and_b32_e32 v46, 7, v46
	v_cmp_gt_u32_e64 s[4:5], 8, v45
	v_cndmask_b32_e64 v12, v48, v12, s[4:5]
	v_cndmask_b32_e64 v42, v42, v46, s[4:5]
	v_lshlrev_b32_e32 v44, 24, v44
	v_lshlrev_b32_e32 v42, 20, v42
	v_and_b32_e32 v44, 0x80000000, v44
	v_lshl_add_u32 v12, v12, 23, v18
	v_or3_b32 v42, v44, v12, v42
.LBB273_147:                            ;   in Loop: Header=BB273_11 Depth=1
	s_or_b64 exec, exec, s[44:45]
.LBB273_148:                            ;   in Loop: Header=BB273_11 Depth=1
	s_or_b64 exec, exec, s[42:43]
.LBB273_149:                            ;   in Loop: Header=BB273_11 Depth=1
	s_or_b64 exec, exec, s[22:23]
	global_load_ubyte v12, v[10:11], off offset:1416
	v_mov_b32_e32 v11, 0
	s_waitcnt vmcnt(0)
	v_cmp_ne_u16_e64 s[4:5], 0, v12
	s_and_saveexec_b64 s[22:23], s[4:5]
	s_cbranch_execz .LBB273_155
; %bb.150:                              ;   in Loop: Header=BB273_11 Depth=1
	v_cmp_ne_u16_e64 s[4:5], s50, v12
	v_bfrev_b32_e32 v11, 1
	s_and_saveexec_b64 s[42:43], s[4:5]
	s_cbranch_execz .LBB273_154
; %bb.151:                              ;   in Loop: Header=BB273_11 Depth=1
	v_and_b32_e32 v10, 0xffff, v12
	v_and_b32_e32 v44, 0x7f, v10
	v_cmp_ne_u32_e64 s[4:5], s51, v44
	v_mov_b32_e32 v11, 0x7f800001
	s_and_saveexec_b64 s[44:45], s[4:5]
	s_cbranch_execz .LBB273_153
; %bb.152:                              ;   in Loop: Header=BB273_11 Depth=1
	v_and_b32_e32 v45, 7, v10
	v_ffbh_u32_e32 v11, v45
	v_min_u32_e32 v47, 32, v11
	v_subrev_u32_e32 v11, 28, v47
	v_lshlrev_b64 v[10:11], v11, v[10:11]
	v_lshrrev_b32_e32 v46, 3, v44
	v_sub_u32_e32 v11, 29, v47
	v_and_b32_e32 v10, 7, v10
	v_cmp_gt_u32_e64 s[4:5], 8, v44
	v_cndmask_b32_e64 v11, v46, v11, s[4:5]
	v_cndmask_b32_e64 v10, v45, v10, s[4:5]
	v_lshlrev_b32_e32 v12, 24, v12
	v_lshlrev_b32_e32 v10, 20, v10
	v_and_b32_e32 v12, 0x80000000, v12
	v_lshl_add_u32 v11, v11, 23, v18
	v_or3_b32 v11, v12, v11, v10
.LBB273_153:                            ;   in Loop: Header=BB273_11 Depth=1
	s_or_b64 exec, exec, s[44:45]
.LBB273_154:                            ;   in Loop: Header=BB273_11 Depth=1
	s_or_b64 exec, exec, s[42:43]
.LBB273_155:                            ;   in Loop: Header=BB273_11 Depth=1
	s_or_b64 exec, exec, s[22:23]
	v_fma_mixlo_f16 v12, v20, v21, 0
	ds_read_u16 v10, v15
	v_and_b32_e32 v12, 0xffff, v12
	v_fma_mixlo_f16 v23, v20, v23, 0
	s_waitcnt lgkmcnt(0)
	;;#ASMSTART
	v_cvt_f32_f16 v10, v10;
	;;#ASMEND
	;;#ASMSTART
	v_cvt_f32_f16 v12, v12;
	;;#ASMEND
	ds_read_u16 v21, v15 offset:2
	v_and_b32_e32 v23, 0xffff, v23
	s_waitcnt lgkmcnt(0)
	;;#ASMSTART
	v_cvt_f32_f16 v21, v21;
	;;#ASMEND
	;;#ASMSTART
	v_cvt_f32_f16 v23, v23;
	;;#ASMEND
	v_fma_mixlo_f16 v22, v20, v22, 0
	v_fma_mixlo_f16 v25, v20, v25, 0
	;; [unrolled: 1-line block ×22, first 2 shown]
	v_mul_f32_e32 v20, v21, v23
	ds_read_u16 v44, v15 offset:4
	v_and_b32_e32 v22, 0xffff, v22
	v_fmac_f32_e32 v20, v10, v12
	s_waitcnt lgkmcnt(0)
	;;#ASMSTART
	v_cvt_f32_f16 v44, v44;
	;;#ASMEND
	;;#ASMSTART
	v_cvt_f32_f16 v22, v22;
	;;#ASMEND
	ds_read_u16 v45, v15 offset:6
	v_and_b32_e32 v25, 0xffff, v25
	v_fmac_f32_e32 v20, v44, v22
	s_waitcnt lgkmcnt(0)
	;;#ASMSTART
	v_cvt_f32_f16 v45, v45;
	;;#ASMEND
	;;#ASMSTART
	v_cvt_f32_f16 v25, v25;
	;;#ASMEND
	;; [unrolled: 10-line block ×16, first 2 shown]
	v_and_b32_e32 v12, 0xffff, v38
	v_fmac_f32_e32 v20, v59, v39
	ds_read_u16 v60, v15 offset:36
	s_waitcnt lgkmcnt(0)
	;;#ASMSTART
	v_cvt_f32_f16 v10, v60;
	;;#ASMEND
	;;#ASMSTART
	v_cvt_f32_f16 v12, v12;
	;;#ASMEND
	ds_read_u16 v21, v15 offset:38
	v_and_b32_e32 v22, 0xffff, v41
	v_fmac_f32_e32 v20, v10, v12
	s_waitcnt lgkmcnt(0)
	;;#ASMSTART
	v_cvt_f32_f16 v21, v21;
	;;#ASMEND
	;;#ASMSTART
	v_cvt_f32_f16 v22, v22;
	;;#ASMEND
	ds_read_u16 v23, v15 offset:40
	v_and_b32_e32 v24, 0xffff, v40
	v_fmac_f32_e32 v20, v21, v22
	s_waitcnt lgkmcnt(0)
	;;#ASMSTART
	v_cvt_f32_f16 v23, v23;
	;;#ASMEND
	;;#ASMSTART
	v_cvt_f32_f16 v24, v24;
	;;#ASMEND
	ds_read_u16 v25, v15 offset:42
	v_and_b32_e32 v26, 0xffff, v43
	v_fmac_f32_e32 v20, v23, v24
	s_waitcnt lgkmcnt(0)
	;;#ASMSTART
	v_cvt_f32_f16 v25, v25;
	;;#ASMEND
	;;#ASMSTART
	v_cvt_f32_f16 v26, v26;
	;;#ASMEND
	ds_read_u16 v27, v15 offset:44
	s_waitcnt lgkmcnt(0)
	;;#ASMSTART
	v_cvt_f32_f16 v10, v27;
	;;#ASMEND
	v_and_b32_e32 v12, 0xffff, v42
	v_fmac_f32_e32 v20, v25, v26
	;;#ASMSTART
	v_cvt_f32_f16 v12, v12;
	;;#ASMEND
	ds_read_u16 v27, v15 offset:46
	v_fmac_f32_e32 v20, v10, v12
	s_waitcnt lgkmcnt(0)
	;;#ASMSTART
	v_cvt_f32_f16 v10, v27;
	;;#ASMEND
	v_and_b32_e32 v11, 0xffff, v11
	;;#ASMSTART
	v_cvt_f32_f16 v11, v11;
	;;#ASMEND
	v_fmac_f32_e32 v20, v10, v11
	v_and_b32_e32 v10, 64, v5
	v_add_u32_e32 v10, 64, v10
	v_xor_b32_e32 v11, 4, v5
	v_cmp_lt_i32_e64 s[4:5], v11, v10
	v_cndmask_b32_e64 v11, v5, v11, s[4:5]
	v_lshlrev_b32_e32 v11, 2, v11
	ds_bpermute_b32 v11, v11, v20
	v_xor_b32_e32 v12, 2, v5
	v_cmp_lt_i32_e64 s[4:5], v12, v10
	v_cndmask_b32_e64 v12, v5, v12, s[4:5]
	v_lshlrev_b32_e32 v12, 2, v12
	s_waitcnt lgkmcnt(0)
	v_add_f32_e32 v11, v20, v11
	ds_bpermute_b32 v12, v12, v11
	s_waitcnt lgkmcnt(0)
	v_add_f32_e32 v11, v11, v12
	v_xor_b32_e32 v12, 1, v5
	v_cmp_lt_i32_e64 s[4:5], v12, v10
	v_cndmask_b32_e64 v12, v5, v12, s[4:5]
	v_lshlrev_b32_e32 v12, 2, v12
	ds_bpermute_b32 v12, v12, v11
	s_and_saveexec_b64 s[22:23], vcc
	s_cbranch_execz .LBB273_10
; %bb.156:                              ;   in Loop: Header=BB273_11 Depth=1
	v_add_u32_e32 v20, s49, v16
	v_cvt_f32_i32_e32 v20, v20
	s_waitcnt lgkmcnt(0)
	v_add_f32_e32 v11, v11, v12
	v_cmp_gt_i32_e64 s[4:5], s35, v16
	v_max_f32_e32 v12, v13, v13
	v_mul_f32_e32 v20, s10, v20
	v_cndmask_b32_e64 v20, 0, v20, s[2:3]
	v_fmac_f32_e32 v20, s11, v11
	v_cndmask_b32_e64 v11, 0, v20, s[4:5]
	ds_write_b32 v17, v11
	v_max_f32_e32 v11, v12, v20
	v_cndmask_b32_e64 v13, v13, v11, s[4:5]
	s_branch .LBB273_10
.LBB273_157:
	s_or_b64 exec, exec, s[16:17]
.LBB273_158:
	s_or_b64 exec, exec, s[40:41]
	v_xor_b32_e32 v4, 32, v5
	v_cmp_lt_i32_e32 vcc, v4, v10
	v_cndmask_b32_e32 v4, v5, v4, vcc
	v_lshlrev_b32_e32 v7, 2, v4
	ds_bpermute_b32 v4, v7, v13
	v_xor_b32_e32 v8, 16, v5
	v_max_f32_e32 v6, v13, v13
	v_cmp_lt_i32_e32 vcc, v8, v10
	v_and_b32_e32 v15, 63, v0
	s_waitcnt lgkmcnt(0)
	v_max_f32_e32 v4, v4, v4
	v_max_f32_e32 v4, v6, v4
	v_cndmask_b32_e32 v6, v5, v8, vcc
	v_lshlrev_b32_e32 v9, 2, v6
	ds_bpermute_b32 v6, v9, v4
	v_xor_b32_e32 v8, 8, v5
	v_cmp_lt_i32_e32 vcc, v8, v10
	s_waitcnt lgkmcnt(0)
	v_max_f32_e32 v6, v6, v6
	v_max_f32_e32 v6, v4, v6
	v_cndmask_b32_e32 v4, v5, v8, vcc
	v_lshlrev_b32_e32 v11, 2, v4
	ds_bpermute_b32 v8, v11, v6
	v_cmp_eq_u32_e32 vcc, 0, v15
	v_lshlrev_b32_e32 v4, 2, v1
	s_and_saveexec_b64 s[2:3], vcc
	s_cbranch_execz .LBB273_160
; %bb.159:
	s_waitcnt lgkmcnt(0)
	v_max_f32_e32 v8, v8, v8
	v_max_f32_e32 v6, v6, v6
	;; [unrolled: 1-line block ×3, first 2 shown]
	ds_write_b32 v4, v6 offset:384
.LBB273_160:
	s_or_b64 exec, exec, s[2:3]
	v_cmp_gt_u32_e64 s[2:3], 2, v15
	v_mov_b32_e32 v6, 0xff7fffff
	s_waitcnt lgkmcnt(0)
	v_lshlrev_b32_e32 v8, 2, v15
	s_barrier
	s_and_saveexec_b64 s[4:5], s[2:3]
	s_cbranch_execz .LBB273_162
; %bb.161:
	ds_read_b32 v6, v8 offset:384
.LBB273_162:
	s_or_b64 exec, exec, s[4:5]
	v_xor_b32_e32 v12, 1, v5
	v_cmp_lt_i32_e64 s[4:5], v12, v10
	v_cndmask_b32_e64 v12, v5, v12, s[4:5]
	v_lshlrev_b32_e32 v12, 2, v12
	s_waitcnt lgkmcnt(0)
	ds_bpermute_b32 v13, v12, v6
	v_max_f32_e32 v6, v6, v6
	s_sub_i32 s4, s20, s47
	s_lshl_b32 s4, s4, 3
	s_add_i32 s4, s4, s46
	s_waitcnt lgkmcnt(0)
	v_max_f32_e32 v13, v13, v13
	v_max_f32_e32 v6, v6, v13
	v_lshlrev_b32_e32 v13, 2, v5
	v_and_b32_e32 v13, 0xffffff00, v13
	ds_bpermute_b32 v6, v13, v6
	s_min_i32 s23, s4, s35
	s_sub_i32 s22, s23, s46
	v_cmp_gt_i32_e64 s[4:5], s22, v0
	v_mov_b32_e32 v14, 0
	s_and_saveexec_b64 s[12:13], s[4:5]
	s_cbranch_execz .LBB273_166
; %bb.163:
	v_mov_b32_e32 v14, 0x190
	v_lshl_add_u32 v16, v0, 2, v14
	s_mov_b64 s[16:17], 0
	v_mov_b32_e32 v14, 0
	v_mov_b32_e32 v17, v0
.LBB273_164:                            ; =>This Inner Loop Header: Depth=1
	ds_read_b32 v18, v16
	v_add_u32_e32 v17, 0x80, v17
	v_cmp_le_i32_e64 s[10:11], s22, v17
	s_or_b64 s[16:17], s[10:11], s[16:17]
	s_waitcnt lgkmcnt(0)
	v_sub_f32_e32 v18, v18, v6
	v_mul_f32_e32 v18, 0x3fb8aa3b, v18
	v_exp_f32_e32 v18, v18
	ds_write_b32 v16, v18
	v_add_f32_e32 v14, v14, v18
	v_add_u32_e32 v16, 0x200, v16
	s_andn2_b64 exec, exec, s[16:17]
	s_cbranch_execnz .LBB273_164
; %bb.165:
	s_or_b64 exec, exec, s[16:17]
.LBB273_166:
	s_or_b64 exec, exec, s[12:13]
	ds_bpermute_b32 v7, v7, v14
	s_waitcnt lgkmcnt(0)
	v_add_f32_e32 v7, v14, v7
	ds_bpermute_b32 v9, v9, v7
	s_waitcnt lgkmcnt(0)
	v_add_f32_e32 v7, v7, v9
	ds_bpermute_b32 v9, v11, v7
	v_xor_b32_e32 v11, 4, v5
	v_cmp_lt_i32_e64 s[10:11], v11, v10
	v_cndmask_b32_e64 v11, v5, v11, s[10:11]
	v_lshlrev_b32_e32 v11, 2, v11
	s_waitcnt lgkmcnt(0)
	v_add_f32_e32 v7, v7, v9
	ds_bpermute_b32 v9, v11, v7
	v_xor_b32_e32 v11, 2, v5
	v_cmp_lt_i32_e64 s[10:11], v11, v10
	v_cndmask_b32_e64 v5, v5, v11, s[10:11]
	v_lshlrev_b32_e32 v5, 2, v5
	s_waitcnt lgkmcnt(0)
	v_add_f32_e32 v7, v7, v9
	ds_bpermute_b32 v5, v5, v7
	s_waitcnt lgkmcnt(0)
	v_add_f32_e32 v5, v7, v5
	ds_bpermute_b32 v7, v12, v5
	s_waitcnt lgkmcnt(0)
	v_add_f32_e32 v5, v5, v7
	s_and_saveexec_b64 s[10:11], vcc
	s_cbranch_execz .LBB273_168
; %bb.167:
	ds_write_b32 v4, v5 offset:392
.LBB273_168:
	s_or_b64 exec, exec, s[10:11]
	s_waitcnt lgkmcnt(0)
	s_barrier
	s_and_saveexec_b64 s[10:11], s[2:3]
	s_cbranch_execz .LBB273_170
; %bb.169:
	ds_read_b32 v5, v8 offset:392
.LBB273_170:
	s_or_b64 exec, exec, s[10:11]
	s_waitcnt lgkmcnt(0)
	ds_bpermute_b32 v4, v12, v5
	s_waitcnt lgkmcnt(0)
	v_add_f32_e32 v4, v5, v4
	ds_bpermute_b32 v7, v13, v4
	s_and_saveexec_b64 s[2:3], s[4:5]
	s_cbranch_execz .LBB273_183
; %bb.171:
	s_waitcnt lgkmcnt(0)
	v_add_f32_e32 v4, 0x358637bd, v7
	v_div_scale_f32 v5, s[4:5], v4, v4, 1.0
	v_rcp_f32_e32 v8, v5
	v_div_scale_f32 v9, vcc, 1.0, v4, 1.0
	s_movk_i32 s4, 0x7f
	v_fma_f32 v10, -v5, v8, 1.0
	v_fmac_f32_e32 v8, v10, v8
	v_mul_f32_e32 v10, v9, v8
	v_fma_f32 v11, -v5, v10, v9
	v_fmac_f32_e32 v10, v11, v8
	v_fma_f32 v5, -v5, v10, v9
	v_div_fmas_f32 v5, v5, v8, v10
	v_div_fixup_f32 v4, v5, v4, 1.0
	v_xad_u32 v5, v0, -1, s23
	v_subrev_u32_e32 v8, s46, v5
	v_cmp_lt_u32_e32 vcc, s4, v8
	s_mov_b64 s[10:11], -1
	v_mov_b32_e32 v5, v0
	s_and_saveexec_b64 s[4:5], vcc
	s_cbranch_execz .LBB273_180
; %bb.172:
	v_lshrrev_b32_e32 v8, 7, v8
	v_add_u32_e32 v10, -1, v8
	v_lshrrev_b32_e32 v9, 1, v10
	v_mov_b32_e32 v5, v4
	v_add_u32_e32 v9, 1, v9
	v_cmp_lt_u32_e32 vcc, 13, v10
	v_mov_b32_e32 v12, 0
	s_and_saveexec_b64 s[10:11], vcc
	s_cbranch_execz .LBB273_176
; %bb.173:
	v_mov_b32_e32 v11, 0x190
	v_and_b32_e32 v10, -8, v9
	v_lshl_add_u32 v11, v0, 2, v11
	s_mov_b32 s16, 0
	s_mov_b64 s[12:13], 0
.LBB273_174:                            ; =>This Inner Loop Header: Depth=1
	ds_read2st64_b32 v[12:13], v11 offset1:2
	ds_read2st64_b32 v[16:17], v11 offset0:4 offset1:6
	ds_read2st64_b32 v[18:19], v11 offset0:8 offset1:10
	ds_read2st64_b32 v[20:21], v11 offset0:12 offset1:14
	v_add_u32_e32 v10, -8, v10
	s_waitcnt lgkmcnt(3)
	v_pk_mul_f32 v[12:13], v[4:5], v[12:13]
	s_waitcnt lgkmcnt(2)
	v_pk_mul_f32 v[16:17], v[4:5], v[16:17]
	ds_write2st64_b32 v11, v12, v13 offset1:2
	ds_write2st64_b32 v11, v16, v17 offset0:4 offset1:6
	ds_read2st64_b32 v[16:17], v11 offset0:16 offset1:18
	s_waitcnt lgkmcnt(4)
	v_pk_mul_f32 v[12:13], v[4:5], v[18:19]
	ds_write2st64_b32 v11, v12, v13 offset0:8 offset1:10
	s_waitcnt lgkmcnt(4)
	v_pk_mul_f32 v[12:13], v[4:5], v[20:21]
	ds_write2st64_b32 v11, v12, v13 offset0:12 offset1:14
	ds_read2st64_b32 v[12:13], v11 offset0:20 offset1:22
	s_waitcnt lgkmcnt(3)
	v_pk_mul_f32 v[16:17], v[4:5], v[16:17]
	ds_read2st64_b32 v[18:19], v11 offset0:24 offset1:26
	ds_write2st64_b32 v11, v16, v17 offset0:16 offset1:18
	ds_read2st64_b32 v[16:17], v11 offset0:28 offset1:30
	s_waitcnt lgkmcnt(3)
	v_pk_mul_f32 v[12:13], v[4:5], v[12:13]
	ds_write2st64_b32 v11, v12, v13 offset0:20 offset1:22
	s_waitcnt lgkmcnt(3)
	v_pk_mul_f32 v[12:13], v[4:5], v[18:19]
	ds_write2st64_b32 v11, v12, v13 offset0:24 offset1:26
	s_waitcnt lgkmcnt(2)
	v_pk_mul_f32 v[12:13], v[4:5], v[16:17]
	s_add_i32 s16, s16, 16
	v_cmp_eq_u32_e32 vcc, 0, v10
	ds_write2st64_b32 v11, v12, v13 offset0:28 offset1:30
	v_add_u32_e32 v11, 0x2000, v11
	s_or_b64 s[12:13], vcc, s[12:13]
	v_mov_b32_e32 v12, s16
	s_andn2_b64 exec, exec, s[12:13]
	s_cbranch_execnz .LBB273_174
; %bb.175:
	s_or_b64 exec, exec, s[12:13]
.LBB273_176:
	s_or_b64 exec, exec, s[10:11]
	v_and_b32_e32 v9, 7, v9
	v_cmp_ne_u32_e32 vcc, 0, v9
	s_and_saveexec_b64 s[10:11], vcc
	s_cbranch_execz .LBB273_179
; %bb.177:
	v_lshlrev_b32_e32 v10, 9, v12
	v_lshlrev_b32_e32 v11, 2, v0
	s_movk_i32 s12, 0x190
	v_add3_u32 v10, v10, v11, s12
	s_mov_b64 s[12:13], 0
.LBB273_178:                            ; =>This Inner Loop Header: Depth=1
	ds_read2st64_b32 v[12:13], v10 offset1:2
	v_add_u32_e32 v9, -1, v9
	v_cmp_eq_u32_e32 vcc, 0, v9
	s_or_b64 s[12:13], vcc, s[12:13]
	s_waitcnt lgkmcnt(0)
	v_pk_mul_f32 v[12:13], v[4:5], v[12:13]
	ds_write2st64_b32 v10, v12, v13 offset1:2
	v_add_u32_e32 v10, 0x400, v10
	s_andn2_b64 exec, exec, s[12:13]
	s_cbranch_execnz .LBB273_178
.LBB273_179:
	s_or_b64 exec, exec, s[10:11]
	v_add_u32_e32 v8, 1, v8
	v_and_b32_e32 v9, 0x3fffffe, v8
	v_cmp_ne_u32_e32 vcc, v8, v9
	v_lshl_add_u32 v5, v9, 7, v0
	s_orn2_b64 s[10:11], vcc, exec
.LBB273_180:
	s_or_b64 exec, exec, s[4:5]
	s_and_b64 exec, exec, s[10:11]
	s_cbranch_execz .LBB273_183
; %bb.181:
	v_mov_b32_e32 v8, 0x190
	v_lshl_add_u32 v8, v5, 2, v8
	s_mov_b64 s[4:5], 0
.LBB273_182:                            ; =>This Inner Loop Header: Depth=1
	ds_read_b32 v9, v8
	v_add_u32_e32 v5, 0x80, v5
	v_cmp_le_i32_e32 vcc, s22, v5
	s_or_b64 s[4:5], vcc, s[4:5]
	s_waitcnt lgkmcnt(0)
	v_mul_f32_e32 v9, v4, v9
	ds_write_b32 v8, v9
	v_add_u32_e32 v8, 0x200, v8
	s_andn2_b64 exec, exec, s[4:5]
	s_cbranch_execnz .LBB273_182
.LBB273_183:
	s_or_b64 exec, exec, s[2:3]
	s_mul_i32 s2, s33, s34
	v_cmp_eq_u32_e32 vcc, 0, v0
	s_mul_i32 s2, s2, s9
	s_waitcnt lgkmcnt(0)
	s_barrier
	s_and_saveexec_b64 s[4:5], vcc
	s_cbranch_execz .LBB273_185
; %bb.184:
	s_ashr_i32 s3, s2, 31
	s_lshl_b64 s[10:11], s[2:3], 2
	s_add_u32 s3, s26, s10
	s_mul_i32 s12, s33, s6
	s_addc_u32 s9, s27, s11
	s_ashr_i32 s13, s12, 31
	s_lshl_b64 s[12:13], s[12:13], 2
	s_add_u32 s3, s3, s12
	s_addc_u32 s6, s9, s13
	s_ashr_i32 s9, s8, 31
	s_lshl_b64 s[16:17], s[8:9], 2
	s_add_u32 s22, s3, s16
	s_addc_u32 s23, s6, s17
	s_add_u32 s3, s24, s10
	s_addc_u32 s6, s25, s11
	;; [unrolled: 2-line block ×3, first 2 shown]
	s_add_u32 s10, s3, s16
	v_mov_b32_e32 v4, 0
	s_addc_u32 s11, s6, s17
	global_store_dword v4, v6, s[22:23]
	global_store_dword v4, v7, s[10:11]
.LBB273_185:
	s_or_b64 exec, exec, s[4:5]
	v_mov_b32_e32 v22, 0
	v_mov_b32_e32 v5, 0
	;; [unrolled: 1-line block ×3, first 2 shown]
	s_and_saveexec_b64 s[4:5], s[0:1]
	s_cbranch_execz .LBB273_339
; %bb.186:
	s_ashr_i32 s0, s7, 31
	s_add_u32 s1, s18, s7
	s_addc_u32 s0, s19, s0
	v_lshlrev_b32_e32 v4, 3, v15
	s_add_i32 s31, s31, -1
	v_mov_b32_e32 v5, s0
	v_add_co_u32_e32 v8, vcc, s1, v4
	s_lshl_b64 s[0:1], s[38:39], 2
	v_mov_b32_e32 v4, 0x190
	s_add_u32 s0, s36, s0
	v_addc_co_u32_e32 v9, vcc, 0, v5, vcc
	v_lshl_add_u32 v23, v1, 3, s46
	v_lshl_add_u32 v1, v1, 5, v4
	v_lshlrev_b64 v[4:5], 2, v[2:3]
	s_addc_u32 s1, s37, s1
	s_mov_b32 s6, -1
	v_mov_b32_e32 v3, s1
	v_add_co_u32_e32 v10, vcc, s0, v4
	s_mov_b32 s3, s21
	s_mov_b32 s7, 0xffffff
	v_mov_b32_e32 v7, 0
	s_mov_b32 s9, s35
	v_addc_co_u32_e32 v11, vcc, v3, v5, vcc
	s_mov_b64 s[10:11], 0
	v_mov_b32_e32 v4, 0
	s_movk_i32 s21, 0x80
	s_movk_i32 s22, 0x7f
	s_mov_b32 s23, 0x8000
	s_movk_i32 s24, 0x380
	s_mov_b32 s25, 0x3020706
	s_mov_b32 s26, 0x1000504
	;; [unrolled: 1-line block ×3, first 2 shown]
	v_mov_b32_e32 v3, 0x2000
	v_mov_b32_e32 v5, 0
	;; [unrolled: 1-line block ×3, first 2 shown]
	s_branch .LBB273_188
.LBB273_187:                            ;   in Loop: Header=BB273_188 Depth=1
	s_or_b64 exec, exec, s[0:1]
	;;#ASMSTART
	v_pk_mul_f16 v12, v31, v12;

	;;#ASMEND
	;;#ASMSTART
	v_pk_mul_f16 v6, v32, v6;

	;;#ASMEND
	;; [unrolled: 4-line block ×4, first 2 shown]
	;;#ASMSTART
	v_pk_add_f16 v6, v12, v6;

	;;#ASMEND
	;;#ASMSTART
	v_pk_add_f16 v6, v6, v13;

	;;#ASMEND
	;; [unrolled: 4-line block ×3, first 2 shown]
	v_lshrrev_b32_e32 v12, 16, v6
	v_and_b32_e32 v6, 0xffff, v6
	v_add_u32_e32 v2, 2, v2
	v_add_f32_e32 v16, v35, v36
	;;#ASMSTART
	v_cvt_f32_f16 v6, v6;
	;;#ASMEND
	v_cmp_le_i32_e32 vcc, s20, v2
	v_add_f32_e32 v4, v4, v16
	v_add_f32_e32 v16, v20, v21
	;;#ASMSTART
	v_cvt_f32_f16 v12, v12;
	;;#ASMEND
	v_add_f32_e32 v6, v6, v12
	s_or_b64 s[10:11], vcc, s[10:11]
	v_add_co_u32_e32 v10, vcc, 8, v10
	v_add_f32_e32 v5, v5, v16
	v_add_f32_e32 v22, v22, v6
	v_add_u32_e32 v23, 16, v23
	v_add_u32_e32 v1, 64, v1
	v_addc_co_u32_e32 v11, vcc, 0, v11, vcc
	s_andn2_b64 exec, exec, s[10:11]
	s_cbranch_execz .LBB273_338
.LBB273_188:                            ; =>This Inner Loop Header: Depth=1
	global_load_dword v6, v[10:11], off
	ds_read2_b64 v[16:19], v1 offset1:1
	ds_read2_b64 v[24:27], v1 offset0:2 offset1:3
	s_waitcnt lgkmcnt(1)
	;;#ASMSTART
	v_cvt_f16_f32 v31, v16;

	;;#ASMEND
	;;#ASMSTART
	v_cvt_f16_f32 v32, v17;

	;;#ASMEND
	;; [unrolled: 4-line block ×4, first 2 shown]
	s_waitcnt lgkmcnt(0)
	;;#ASMSTART
	v_cvt_f16_f32 v35, v24;

	;;#ASMEND
	;;#ASMSTART
	v_cvt_f16_f32 v36, v25;

	;;#ASMEND
	;; [unrolled: 4-line block ×4, first 2 shown]
	v_mov_b32_e32 v16, 0
	s_waitcnt vmcnt(0)
	v_mad_i64_i32 v[12:13], s[0:1], v6, s3, v[8:9]
	global_load_dwordx2 v[18:19], v[12:13], off
	global_load_dword v14, v7, s[14:15]
	s_waitcnt vmcnt(1)
	v_cmp_ne_u16_sdwa s[12:13], v18, v7 src0_sel:BYTE_0 src1_sel:DWORD
	s_and_saveexec_b64 s[0:1], s[12:13]
	s_cbranch_execz .LBB273_194
; %bb.189:                              ;   in Loop: Header=BB273_188 Depth=1
	v_cmp_ne_u16_sdwa s[16:17], v18, s21 src0_sel:BYTE_0 src1_sel:DWORD
	v_bfrev_b32_e32 v16, 1
	s_and_saveexec_b64 s[12:13], s[16:17]
	s_cbranch_execz .LBB273_193
; %bb.190:                              ;   in Loop: Header=BB273_188 Depth=1
	v_and_b32_e32 v6, 0x7f, v18
	v_cmp_ne_u32_e32 vcc, s22, v6
	v_mov_b32_e32 v16, 0x7fc02000
	s_and_saveexec_b64 s[16:17], vcc
	s_cbranch_execz .LBB273_192
; %bb.191:                              ;   in Loop: Header=BB273_188 Depth=1
	v_and_b32_e32 v16, 7, v18
	v_ffbh_u32_e32 v16, v16
	v_min_u32_e32 v16, 32, v16
	v_subrev_u32_e32 v17, 28, v16
	v_cmp_gt_u32_e32 vcc, 8, v6
	v_lshrrev_b32_e32 v20, 3, v6
	v_sub_u32_e32 v21, 29, v16
	v_cndmask_b32_e32 v6, 0, v17, vcc
	v_lshlrev_b64 v[16:17], v6, v[18:19]
	v_cndmask_b32_e32 v6, v20, v21, vcc
	v_lshlrev_b32_e32 v17, 8, v18
	v_lshl_add_u32 v6, v6, 10, v3
	v_lshlrev_b32_e32 v16, 7, v16
	v_and_or_b32 v6, v17, s23, v6
	v_and_or_b32 v6, v16, s24, v6
	v_cvt_f32_f16_e32 v16, v6
.LBB273_192:                            ;   in Loop: Header=BB273_188 Depth=1
	s_or_b64 exec, exec, s[16:17]
.LBB273_193:                            ;   in Loop: Header=BB273_188 Depth=1
	s_or_b64 exec, exec, s[12:13]
.LBB273_194:                            ;   in Loop: Header=BB273_188 Depth=1
	s_or_b64 exec, exec, s[0:1]
	v_lshrrev_b16_e32 v6, 8, v18
	v_cmp_ne_u16_e32 vcc, 0, v6
	v_mov_b32_e32 v17, 0
	v_mov_b32_e32 v20, 0
	s_and_saveexec_b64 s[0:1], vcc
	s_cbranch_execz .LBB273_200
; %bb.195:                              ;   in Loop: Header=BB273_188 Depth=1
	v_cmp_ne_u16_e32 vcc, s21, v6
	v_bfrev_b32_e32 v20, 1
	s_and_saveexec_b64 s[12:13], vcc
	s_cbranch_execz .LBB273_199
; %bb.196:                              ;   in Loop: Header=BB273_188 Depth=1
	v_and_b32_e32 v21, 0x7f, v6
	v_cmp_ne_u32_e32 vcc, s22, v21
	v_mov_b32_e32 v20, 0x7fc02000
	s_and_saveexec_b64 s[16:17], vcc
	s_cbranch_execz .LBB273_198
; %bb.197:                              ;   in Loop: Header=BB273_188 Depth=1
	v_and_b32_e32 v20, 7, v6
	v_ffbh_u32_e32 v24, v20
	v_min_u32_e32 v27, 32, v24
	v_subrev_u32_e32 v24, 28, v27
	v_lshlrev_b64 v[24:25], v24, v[6:7]
	v_lshrrev_b32_e32 v26, 3, v21
	v_sub_u32_e32 v25, 29, v27
	v_cmp_gt_u32_e32 vcc, 8, v21
	v_cndmask_b32_e32 v21, v26, v25, vcc
	v_and_b32_e32 v24, 7, v24
	v_lshlrev_b32_e32 v6, 8, v6
	v_lshl_add_u32 v21, v21, 10, v3
	v_cndmask_b32_e32 v20, v20, v24, vcc
	v_and_or_b32 v6, v6, s23, v21
	v_lshl_or_b32 v6, v20, 7, v6
	v_cvt_f32_f16_e32 v20, v6
.LBB273_198:                            ;   in Loop: Header=BB273_188 Depth=1
	s_or_b64 exec, exec, s[16:17]
.LBB273_199:                            ;   in Loop: Header=BB273_188 Depth=1
	s_or_b64 exec, exec, s[12:13]
.LBB273_200:                            ;   in Loop: Header=BB273_188 Depth=1
	s_or_b64 exec, exec, s[0:1]
	v_lshrrev_b32_e32 v6, 16, v18
	v_cmp_ne_u16_sdwa s[12:13], v6, v7 src0_sel:BYTE_0 src1_sel:DWORD
	s_and_saveexec_b64 s[0:1], s[12:13]
	s_cbranch_execz .LBB273_206
; %bb.201:                              ;   in Loop: Header=BB273_188 Depth=1
	v_cmp_ne_u16_sdwa s[16:17], v6, s21 src0_sel:BYTE_0 src1_sel:DWORD
	v_bfrev_b32_e32 v17, 1
	s_and_saveexec_b64 s[12:13], s[16:17]
	s_cbranch_execz .LBB273_205
; %bb.202:                              ;   in Loop: Header=BB273_188 Depth=1
	v_bfe_u32 v21, v18, 16, 7
	v_cmp_ne_u32_e32 vcc, s22, v21
	v_mov_b32_e32 v17, 0x7fc02000
	s_and_saveexec_b64 s[16:17], vcc
	s_cbranch_execz .LBB273_204
; %bb.203:                              ;   in Loop: Header=BB273_188 Depth=1
	v_and_b32_e32 v17, 7, v6
	v_ffbh_u32_e32 v24, v17
	v_min_u32_e32 v27, 32, v24
	v_subrev_u32_e32 v24, 28, v27
	v_lshlrev_b64 v[24:25], v24, v[6:7]
	v_lshrrev_b32_e32 v26, 3, v21
	v_sub_u32_e32 v25, 29, v27
	v_cmp_gt_u32_e32 vcc, 8, v21
	v_cndmask_b32_e32 v21, v26, v25, vcc
	v_and_b32_e32 v24, 7, v24
	v_lshlrev_b32_e32 v6, 8, v6
	v_lshl_add_u32 v21, v21, 10, v3
	v_cndmask_b32_e32 v17, v17, v24, vcc
	v_and_or_b32 v6, v6, s23, v21
	v_lshl_or_b32 v6, v17, 7, v6
	v_cvt_f32_f16_e32 v17, v6
.LBB273_204:                            ;   in Loop: Header=BB273_188 Depth=1
	s_or_b64 exec, exec, s[16:17]
.LBB273_205:                            ;   in Loop: Header=BB273_188 Depth=1
	s_or_b64 exec, exec, s[12:13]
.LBB273_206:                            ;   in Loop: Header=BB273_188 Depth=1
	s_or_b64 exec, exec, s[0:1]
	v_cmp_lt_u32_e32 vcc, s7, v18
	v_mov_b32_e32 v24, 0
	v_mov_b32_e32 v21, 0
	s_and_saveexec_b64 s[0:1], vcc
	s_cbranch_execz .LBB273_212
; %bb.207:                              ;   in Loop: Header=BB273_188 Depth=1
	v_lshrrev_b32_e32 v6, 24, v18
	v_cmp_ne_u32_e32 vcc, s21, v6
	v_bfrev_b32_e32 v21, 1
	s_and_saveexec_b64 s[12:13], vcc
	s_cbranch_execz .LBB273_211
; %bb.208:                              ;   in Loop: Header=BB273_188 Depth=1
	v_and_b32_e32 v25, 0x7f, v6
	v_cmp_ne_u32_e32 vcc, s22, v25
	v_mov_b32_e32 v21, 0x7fc02000
	s_and_saveexec_b64 s[16:17], vcc
	s_cbranch_execz .LBB273_210
; %bb.209:                              ;   in Loop: Header=BB273_188 Depth=1
	v_and_b32_e32 v21, 7, v6
	v_ffbh_u32_e32 v26, v21
	v_min_u32_e32 v29, 32, v26
	v_subrev_u32_e32 v26, 28, v29
	v_lshlrev_b64 v[26:27], v26, v[6:7]
	v_lshrrev_b32_e32 v28, 3, v25
	v_sub_u32_e32 v27, 29, v29
	v_cmp_gt_u32_e32 vcc, 8, v25
	v_cndmask_b32_e32 v25, v28, v27, vcc
	v_and_b32_e32 v26, 7, v26
	v_lshlrev_b32_e32 v6, 8, v6
	v_lshl_add_u32 v25, v25, 10, v3
	v_cndmask_b32_e32 v21, v21, v26, vcc
	v_and_or_b32 v6, v6, s23, v25
	v_lshl_or_b32 v6, v21, 7, v6
	v_cvt_f32_f16_e32 v21, v6
.LBB273_210:                            ;   in Loop: Header=BB273_188 Depth=1
	s_or_b64 exec, exec, s[16:17]
.LBB273_211:                            ;   in Loop: Header=BB273_188 Depth=1
	s_or_b64 exec, exec, s[12:13]
.LBB273_212:                            ;   in Loop: Header=BB273_188 Depth=1
	s_or_b64 exec, exec, s[0:1]
	v_mov_b32_e32 v6, v19
	v_cmp_ne_u16_sdwa s[12:13], v19, v7 src0_sel:BYTE_0 src1_sel:DWORD
	s_and_saveexec_b64 s[0:1], s[12:13]
	s_cbranch_execz .LBB273_218
; %bb.213:                              ;   in Loop: Header=BB273_188 Depth=1
	v_cmp_ne_u16_sdwa s[16:17], v19, s21 src0_sel:BYTE_0 src1_sel:DWORD
	v_bfrev_b32_e32 v24, 1
	s_and_saveexec_b64 s[12:13], s[16:17]
	s_cbranch_execz .LBB273_217
; %bb.214:                              ;   in Loop: Header=BB273_188 Depth=1
	v_and_b32_e32 v25, 0x7f, v19
	v_cmp_ne_u32_e32 vcc, s22, v25
	v_mov_b32_e32 v24, 0x7fc02000
	s_and_saveexec_b64 s[16:17], vcc
	s_cbranch_execz .LBB273_216
; %bb.215:                              ;   in Loop: Header=BB273_188 Depth=1
	v_and_b32_e32 v24, 7, v19
	v_ffbh_u32_e32 v24, v24
	v_min_u32_e32 v24, 32, v24
	v_subrev_u32_e32 v27, 28, v24
	v_cmp_gt_u32_e32 vcc, 8, v25
	v_sub_u32_e32 v28, 29, v24
	v_cndmask_b32_e32 v24, 0, v27, vcc
	v_lshrrev_b32_e32 v26, 3, v25
	v_lshlrev_b64 v[24:25], v24, v[6:7]
	v_cndmask_b32_e32 v25, v26, v28, vcc
	v_lshlrev_b32_e32 v26, 8, v19
	v_lshl_add_u32 v25, v25, 10, v3
	v_lshlrev_b32_e32 v24, 7, v24
	v_and_or_b32 v25, v26, s23, v25
	v_and_or_b32 v24, v24, s24, v25
	v_cvt_f32_f16_e32 v24, v24
.LBB273_216:                            ;   in Loop: Header=BB273_188 Depth=1
	s_or_b64 exec, exec, s[16:17]
.LBB273_217:                            ;   in Loop: Header=BB273_188 Depth=1
	s_or_b64 exec, exec, s[12:13]
.LBB273_218:                            ;   in Loop: Header=BB273_188 Depth=1
	s_or_b64 exec, exec, s[0:1]
	v_lshrrev_b16_e32 v6, 8, v6
	v_cmp_ne_u16_e32 vcc, 0, v6
	v_mov_b32_e32 v25, 0
	v_mov_b32_e32 v26, 0
	s_and_saveexec_b64 s[0:1], vcc
	s_cbranch_execz .LBB273_224
; %bb.219:                              ;   in Loop: Header=BB273_188 Depth=1
	v_cmp_ne_u16_e32 vcc, s21, v6
	v_bfrev_b32_e32 v26, 1
	s_and_saveexec_b64 s[12:13], vcc
	s_cbranch_execz .LBB273_223
; %bb.220:                              ;   in Loop: Header=BB273_188 Depth=1
	v_and_b32_e32 v27, 0x7f, v6
	v_cmp_ne_u32_e32 vcc, s22, v27
	v_mov_b32_e32 v26, 0x7fc02000
	s_and_saveexec_b64 s[16:17], vcc
	s_cbranch_execz .LBB273_222
; %bb.221:                              ;   in Loop: Header=BB273_188 Depth=1
	v_and_b32_e32 v26, 7, v6
	v_ffbh_u32_e32 v28, v26
	v_min_u32_e32 v39, 32, v28
	v_subrev_u32_e32 v28, 28, v39
	v_lshlrev_b64 v[28:29], v28, v[6:7]
	v_lshrrev_b32_e32 v30, 3, v27
	v_sub_u32_e32 v29, 29, v39
	v_cmp_gt_u32_e32 vcc, 8, v27
	v_cndmask_b32_e32 v27, v30, v29, vcc
	v_and_b32_e32 v28, 7, v28
	v_lshlrev_b32_e32 v6, 8, v6
	v_lshl_add_u32 v27, v27, 10, v3
	v_cndmask_b32_e32 v26, v26, v28, vcc
	v_and_or_b32 v6, v6, s23, v27
	v_lshl_or_b32 v6, v26, 7, v6
	v_cvt_f32_f16_e32 v26, v6
.LBB273_222:                            ;   in Loop: Header=BB273_188 Depth=1
	s_or_b64 exec, exec, s[16:17]
.LBB273_223:                            ;   in Loop: Header=BB273_188 Depth=1
	s_or_b64 exec, exec, s[12:13]
.LBB273_224:                            ;   in Loop: Header=BB273_188 Depth=1
	s_or_b64 exec, exec, s[0:1]
	v_lshrrev_b32_e32 v6, 16, v19
	v_cmp_ne_u16_sdwa s[12:13], v6, v7 src0_sel:BYTE_0 src1_sel:DWORD
	s_and_saveexec_b64 s[0:1], s[12:13]
	s_cbranch_execz .LBB273_230
; %bb.225:                              ;   in Loop: Header=BB273_188 Depth=1
	v_cmp_ne_u16_sdwa s[16:17], v6, s21 src0_sel:BYTE_0 src1_sel:DWORD
	v_bfrev_b32_e32 v25, 1
	s_and_saveexec_b64 s[12:13], s[16:17]
	s_cbranch_execz .LBB273_229
; %bb.226:                              ;   in Loop: Header=BB273_188 Depth=1
	v_bfe_u32 v27, v19, 16, 7
	v_cmp_ne_u32_e32 vcc, s22, v27
	v_mov_b32_e32 v25, 0x7fc02000
	s_and_saveexec_b64 s[16:17], vcc
	s_cbranch_execz .LBB273_228
; %bb.227:                              ;   in Loop: Header=BB273_188 Depth=1
	v_and_b32_e32 v25, 7, v6
	v_ffbh_u32_e32 v28, v25
	v_min_u32_e32 v39, 32, v28
	v_subrev_u32_e32 v28, 28, v39
	v_lshlrev_b64 v[28:29], v28, v[6:7]
	v_lshrrev_b32_e32 v30, 3, v27
	v_sub_u32_e32 v29, 29, v39
	v_cmp_gt_u32_e32 vcc, 8, v27
	v_cndmask_b32_e32 v27, v30, v29, vcc
	v_and_b32_e32 v28, 7, v28
	v_lshlrev_b32_e32 v6, 8, v6
	v_lshl_add_u32 v27, v27, 10, v3
	v_cndmask_b32_e32 v25, v25, v28, vcc
	v_and_or_b32 v6, v6, s23, v27
	v_lshl_or_b32 v6, v25, 7, v6
	v_cvt_f32_f16_e32 v25, v6
.LBB273_228:                            ;   in Loop: Header=BB273_188 Depth=1
	s_or_b64 exec, exec, s[16:17]
.LBB273_229:                            ;   in Loop: Header=BB273_188 Depth=1
	s_or_b64 exec, exec, s[12:13]
.LBB273_230:                            ;   in Loop: Header=BB273_188 Depth=1
	s_or_b64 exec, exec, s[0:1]
	v_cmp_lt_u64_e32 vcc, s[6:7], v[18:19]
	v_mov_b32_e32 v18, 0
	s_and_saveexec_b64 s[0:1], vcc
	s_cbranch_execz .LBB273_236
; %bb.231:                              ;   in Loop: Header=BB273_188 Depth=1
	v_lshrrev_b32_e32 v6, 24, v19
	v_cmp_ne_u32_e32 vcc, s21, v6
	v_bfrev_b32_e32 v18, 1
	s_and_saveexec_b64 s[12:13], vcc
	s_cbranch_execz .LBB273_235
; %bb.232:                              ;   in Loop: Header=BB273_188 Depth=1
	v_and_b32_e32 v19, 0x7f, v6
	v_cmp_ne_u32_e32 vcc, s22, v19
	v_mov_b32_e32 v18, 0x7fc02000
	s_and_saveexec_b64 s[16:17], vcc
	s_cbranch_execz .LBB273_234
; %bb.233:                              ;   in Loop: Header=BB273_188 Depth=1
	v_and_b32_e32 v18, 7, v6
	v_ffbh_u32_e32 v28, v18
	v_min_u32_e32 v30, 32, v28
	v_subrev_u32_e32 v28, 28, v30
	v_lshlrev_b64 v[28:29], v28, v[6:7]
	v_lshrrev_b32_e32 v27, 3, v19
	v_sub_u32_e32 v29, 29, v30
	v_cmp_gt_u32_e32 vcc, 8, v19
	v_cndmask_b32_e32 v19, v27, v29, vcc
	v_and_b32_e32 v28, 7, v28
	v_lshlrev_b32_e32 v6, 8, v6
	v_lshl_add_u32 v19, v19, 10, v3
	v_cndmask_b32_e32 v18, v18, v28, vcc
	v_and_or_b32 v6, v6, s23, v19
	v_lshl_or_b32 v6, v18, 7, v6
	v_cvt_f32_f16_e32 v18, v6
.LBB273_234:                            ;   in Loop: Header=BB273_188 Depth=1
	s_or_b64 exec, exec, s[16:17]
.LBB273_235:                            ;   in Loop: Header=BB273_188 Depth=1
	s_or_b64 exec, exec, s[12:13]
.LBB273_236:                            ;   in Loop: Header=BB273_188 Depth=1
	s_or_b64 exec, exec, s[0:1]
	s_waitcnt vmcnt(0)
	v_pk_mul_f32 v[20:21], v[14:15], v[20:21] op_sel_hi:[0,1]
	v_pk_mul_f32 v[16:17], v[14:15], v[16:17] op_sel_hi:[0,1]
	v_cvt_f16_f32_e32 v6, v21
	v_cvt_f16_f32_e32 v19, v20
	;; [unrolled: 1-line block ×4, first 2 shown]
	v_cmp_eq_u32_e32 vcc, s31, v2
	v_pack_b32_f16 v19, v19, v6
	v_add_u32_e32 v30, 1, v23
	v_pack_b32_f16 v16, v16, v17
	v_fma_mixlo_f16 v17, v14, v26, 0
	v_perm_b32 v6, v16, v19, s25
	v_perm_b32 v16, v16, v19, s26
	v_lshlrev_b32_e32 v17, 16, v17
	v_fma_mixlo_f16 v19, v14, v24, 0
	v_or_b32_sdwa v17, v17, v19 dst_sel:DWORD dst_unused:UNUSED_PAD src0_sel:DWORD src1_sel:WORD_0
	v_fma_mixlo_f16 v19, v14, v25, 0
	v_fma_mixlo_f16 v14, v14, v18, 0
	v_lshlrev_b32_e32 v14, 16, v14
	v_or_b32_sdwa v14, v14, v19 dst_sel:DWORD dst_unused:UNUSED_PAD src0_sel:DWORD src1_sel:WORD_0
	v_or_b32_e32 v29, 3, v23
	v_or_b32_e32 v28, 2, v23
	;; [unrolled: 1-line block ×6, first 2 shown]
	s_and_saveexec_b64 s[12:13], vcc
	s_cbranch_execz .LBB273_238
; %bb.237:                              ;   in Loop: Header=BB273_188 Depth=1
	v_lshrrev_b32_e32 v18, 16, v16
	v_cmp_gt_i32_e64 s[0:1], s9, v30
	v_cndmask_b32_e64 v18, 0, v18, s[0:1]
	v_cmp_gt_i32_e64 s[0:1], s35, v23
	v_cndmask_b32_e64 v16, 0, v16, s[0:1]
	v_perm_b32 v16, v18, v16, s27
	v_lshrrev_b32_e32 v18, 16, v6
	v_cmp_gt_i32_e64 s[0:1], s9, v29
	v_cndmask_b32_e64 v18, 0, v18, s[0:1]
	v_cmp_gt_i32_e64 s[0:1], s35, v28
	v_cndmask_b32_e64 v6, 0, v6, s[0:1]
	v_perm_b32 v6, v18, v6, s27
	v_lshrrev_b32_e32 v18, 16, v17
	v_cmp_gt_i32_e64 s[0:1], s9, v27
	v_cndmask_b32_e64 v18, 0, v18, s[0:1]
	v_cmp_gt_i32_e64 s[0:1], s35, v26
	v_cndmask_b32_e64 v17, 0, v17, s[0:1]
	v_lshrrev_b32_e32 v14, 16, v14
	v_cmp_gt_i32_e64 s[0:1], s9, v25
	v_cndmask_b32_e64 v14, 0, v14, s[0:1]
	v_cmp_gt_i32_e64 s[0:1], s35, v24
	v_perm_b32 v17, v18, v17, s27
	v_cndmask_b32_e64 v18, 0, v19, s[0:1]
	v_perm_b32 v14, v14, v18, s27
.LBB273_238:                            ;   in Loop: Header=BB273_188 Depth=1
	s_or_b64 exec, exec, s[12:13]
	v_and_b32_e32 v18, 0xffff, v31
	v_lshl_or_b32 v31, v32, 16, v18
	v_and_b32_e32 v18, 0xffff, v33
	v_lshl_or_b32 v32, v34, 16, v18
	;; [unrolled: 2-line block ×3, first 2 shown]
	v_and_b32_e32 v18, 0xffff, v37
	;;#ASMSTART
	v_pk_mul_f16 v16, v31, v16;

	;;#ASMEND
	;;#ASMSTART
	v_pk_mul_f16 v6, v32, v6;

	;;#ASMEND
	v_lshl_or_b32 v34, v38, 16, v18
	;;#ASMSTART
	v_pk_mul_f16 v17, v33, v17;

	;;#ASMEND
	;;#ASMSTART
	v_pk_mul_f16 v14, v34, v14;

	;;#ASMEND
	;;#ASMSTART
	v_pk_add_f16 v6, v16, v6;

	;;#ASMEND
	;;#ASMSTART
	v_pk_add_f16 v6, v6, v17;
	;; [unrolled: 4-line block ×3, first 2 shown]

	;;#ASMEND
	v_lshrrev_b32_e32 v14, 16, v6
	v_and_b32_e32 v6, 0xffff, v6
	;;#ASMSTART
	v_cvt_f32_f16 v35, v6;
	;;#ASMEND
	;;#ASMSTART
	v_cvt_f32_f16 v36, v14;
	;;#ASMEND
	global_load_dwordx2 v[20:21], v[12:13], off offset:512
	global_load_dword v14, v7, s[14:15]
	v_mov_b32_e32 v18, 0
	v_mov_b32_e32 v16, 0
	s_waitcnt vmcnt(1)
	v_cmp_ne_u16_sdwa s[0:1], v20, v7 src0_sel:BYTE_0 src1_sel:DWORD
	s_and_saveexec_b64 s[12:13], s[0:1]
	s_cbranch_execz .LBB273_244
; %bb.239:                              ;   in Loop: Header=BB273_188 Depth=1
	v_cmp_ne_u16_sdwa s[0:1], v20, s21 src0_sel:BYTE_0 src1_sel:DWORD
	v_bfrev_b32_e32 v16, 1
	s_and_saveexec_b64 s[16:17], s[0:1]
	s_cbranch_execz .LBB273_243
; %bb.240:                              ;   in Loop: Header=BB273_188 Depth=1
	v_and_b32_e32 v6, 0x7f, v20
	v_cmp_ne_u32_e64 s[0:1], s22, v6
	v_mov_b32_e32 v16, 0x7fc02000
	s_and_saveexec_b64 s[18:19], s[0:1]
	s_cbranch_execz .LBB273_242
; %bb.241:                              ;   in Loop: Header=BB273_188 Depth=1
	v_and_b32_e32 v16, 7, v20
	v_ffbh_u32_e32 v16, v16
	v_min_u32_e32 v16, 32, v16
	v_subrev_u32_e32 v17, 28, v16
	v_cmp_gt_u32_e64 s[0:1], 8, v6
	v_lshrrev_b32_e32 v19, 3, v6
	v_sub_u32_e32 v37, 29, v16
	v_cndmask_b32_e64 v6, 0, v17, s[0:1]
	v_lshlrev_b64 v[16:17], v6, v[20:21]
	v_cndmask_b32_e64 v6, v19, v37, s[0:1]
	v_lshlrev_b32_e32 v17, 8, v20
	v_lshl_add_u32 v6, v6, 10, v3
	v_lshlrev_b32_e32 v16, 7, v16
	v_and_or_b32 v6, v17, s23, v6
	v_and_or_b32 v6, v16, s24, v6
	v_cvt_f32_f16_e32 v16, v6
.LBB273_242:                            ;   in Loop: Header=BB273_188 Depth=1
	s_or_b64 exec, exec, s[18:19]
.LBB273_243:                            ;   in Loop: Header=BB273_188 Depth=1
	s_or_b64 exec, exec, s[16:17]
.LBB273_244:                            ;   in Loop: Header=BB273_188 Depth=1
	s_or_b64 exec, exec, s[12:13]
	v_lshrrev_b16_e32 v6, 8, v20
	v_cmp_ne_u16_e64 s[0:1], 0, v6
	s_and_saveexec_b64 s[12:13], s[0:1]
	s_cbranch_execz .LBB273_250
; %bb.245:                              ;   in Loop: Header=BB273_188 Depth=1
	v_cmp_ne_u16_e64 s[0:1], s21, v6
	v_bfrev_b32_e32 v18, 1
	s_and_saveexec_b64 s[16:17], s[0:1]
	s_cbranch_execz .LBB273_249
; %bb.246:                              ;   in Loop: Header=BB273_188 Depth=1
	v_and_b32_e32 v17, 0x7f, v6
	v_cmp_ne_u32_e64 s[0:1], s22, v17
	v_mov_b32_e32 v18, 0x7fc02000
	s_and_saveexec_b64 s[18:19], s[0:1]
	s_cbranch_execz .LBB273_248
; %bb.247:                              ;   in Loop: Header=BB273_188 Depth=1
	v_and_b32_e32 v37, 7, v6
	v_ffbh_u32_e32 v18, v37
	v_min_u32_e32 v39, 32, v18
	v_subrev_u32_e32 v18, 28, v39
	v_lshlrev_b64 v[18:19], v18, v[6:7]
	v_lshrrev_b32_e32 v38, 3, v17
	v_sub_u32_e32 v19, 29, v39
	v_cmp_gt_u32_e64 s[0:1], 8, v17
	v_cndmask_b32_e64 v17, v38, v19, s[0:1]
	v_and_b32_e32 v18, 7, v18
	v_lshlrev_b32_e32 v6, 8, v6
	v_lshl_add_u32 v17, v17, 10, v3
	v_cndmask_b32_e64 v18, v37, v18, s[0:1]
	v_and_or_b32 v6, v6, s23, v17
	v_lshl_or_b32 v6, v18, 7, v6
	v_cvt_f32_f16_e32 v18, v6
.LBB273_248:                            ;   in Loop: Header=BB273_188 Depth=1
	s_or_b64 exec, exec, s[18:19]
.LBB273_249:                            ;   in Loop: Header=BB273_188 Depth=1
	s_or_b64 exec, exec, s[16:17]
.LBB273_250:                            ;   in Loop: Header=BB273_188 Depth=1
	s_or_b64 exec, exec, s[12:13]
	v_lshrrev_b32_e32 v6, 16, v20
	v_cmp_ne_u16_sdwa s[0:1], v6, v7 src0_sel:BYTE_0 src1_sel:DWORD
	v_mov_b32_e32 v19, 0
	v_mov_b32_e32 v17, 0
	s_and_saveexec_b64 s[12:13], s[0:1]
	s_cbranch_execz .LBB273_256
; %bb.251:                              ;   in Loop: Header=BB273_188 Depth=1
	v_cmp_ne_u16_sdwa s[0:1], v6, s21 src0_sel:BYTE_0 src1_sel:DWORD
	v_bfrev_b32_e32 v17, 1
	s_and_saveexec_b64 s[16:17], s[0:1]
	s_cbranch_execz .LBB273_255
; %bb.252:                              ;   in Loop: Header=BB273_188 Depth=1
	v_bfe_u32 v37, v20, 16, 7
	v_cmp_ne_u32_e64 s[0:1], s22, v37
	v_mov_b32_e32 v17, 0x7fc02000
	s_and_saveexec_b64 s[18:19], s[0:1]
	s_cbranch_execz .LBB273_254
; %bb.253:                              ;   in Loop: Header=BB273_188 Depth=1
	v_and_b32_e32 v17, 7, v6
	v_ffbh_u32_e32 v38, v17
	v_min_u32_e32 v41, 32, v38
	v_subrev_u32_e32 v38, 28, v41
	v_lshlrev_b64 v[38:39], v38, v[6:7]
	v_lshrrev_b32_e32 v40, 3, v37
	v_sub_u32_e32 v39, 29, v41
	v_cmp_gt_u32_e64 s[0:1], 8, v37
	v_cndmask_b32_e64 v37, v40, v39, s[0:1]
	v_and_b32_e32 v38, 7, v38
	v_lshlrev_b32_e32 v6, 8, v6
	v_lshl_add_u32 v37, v37, 10, v3
	v_cndmask_b32_e64 v17, v17, v38, s[0:1]
	v_and_or_b32 v6, v6, s23, v37
	v_lshl_or_b32 v6, v17, 7, v6
	v_cvt_f32_f16_e32 v17, v6
.LBB273_254:                            ;   in Loop: Header=BB273_188 Depth=1
	s_or_b64 exec, exec, s[18:19]
.LBB273_255:                            ;   in Loop: Header=BB273_188 Depth=1
	s_or_b64 exec, exec, s[16:17]
.LBB273_256:                            ;   in Loop: Header=BB273_188 Depth=1
	s_or_b64 exec, exec, s[12:13]
	v_cmp_lt_u32_e64 s[0:1], s7, v20
	s_and_saveexec_b64 s[12:13], s[0:1]
	s_cbranch_execz .LBB273_262
; %bb.257:                              ;   in Loop: Header=BB273_188 Depth=1
	v_lshrrev_b32_e32 v6, 24, v20
	v_cmp_ne_u32_e64 s[0:1], s21, v6
	v_bfrev_b32_e32 v19, 1
	s_and_saveexec_b64 s[16:17], s[0:1]
	s_cbranch_execz .LBB273_261
; %bb.258:                              ;   in Loop: Header=BB273_188 Depth=1
	v_and_b32_e32 v37, 0x7f, v6
	v_cmp_ne_u32_e64 s[0:1], s22, v37
	v_mov_b32_e32 v19, 0x7fc02000
	s_and_saveexec_b64 s[18:19], s[0:1]
	s_cbranch_execz .LBB273_260
; %bb.259:                              ;   in Loop: Header=BB273_188 Depth=1
	v_and_b32_e32 v19, 7, v6
	v_ffbh_u32_e32 v38, v19
	v_min_u32_e32 v41, 32, v38
	v_subrev_u32_e32 v38, 28, v41
	v_lshlrev_b64 v[38:39], v38, v[6:7]
	v_lshrrev_b32_e32 v40, 3, v37
	v_sub_u32_e32 v39, 29, v41
	v_cmp_gt_u32_e64 s[0:1], 8, v37
	v_cndmask_b32_e64 v37, v40, v39, s[0:1]
	v_and_b32_e32 v38, 7, v38
	v_lshlrev_b32_e32 v6, 8, v6
	v_lshl_add_u32 v37, v37, 10, v3
	v_cndmask_b32_e64 v19, v19, v38, s[0:1]
	v_and_or_b32 v6, v6, s23, v37
	v_lshl_or_b32 v6, v19, 7, v6
	v_cvt_f32_f16_e32 v19, v6
.LBB273_260:                            ;   in Loop: Header=BB273_188 Depth=1
	s_or_b64 exec, exec, s[18:19]
.LBB273_261:                            ;   in Loop: Header=BB273_188 Depth=1
	s_or_b64 exec, exec, s[16:17]
.LBB273_262:                            ;   in Loop: Header=BB273_188 Depth=1
	s_or_b64 exec, exec, s[12:13]
	v_mov_b32_e32 v6, v21
	v_cmp_ne_u16_sdwa s[0:1], v21, v7 src0_sel:BYTE_0 src1_sel:DWORD
	v_mov_b32_e32 v38, 0
	v_mov_b32_e32 v37, 0
	s_and_saveexec_b64 s[12:13], s[0:1]
	s_cbranch_execz .LBB273_268
; %bb.263:                              ;   in Loop: Header=BB273_188 Depth=1
	v_cmp_ne_u16_sdwa s[0:1], v21, s21 src0_sel:BYTE_0 src1_sel:DWORD
	v_bfrev_b32_e32 v37, 1
	s_and_saveexec_b64 s[16:17], s[0:1]
	s_cbranch_execz .LBB273_267
; %bb.264:                              ;   in Loop: Header=BB273_188 Depth=1
	v_and_b32_e32 v39, 0x7f, v21
	v_cmp_ne_u32_e64 s[0:1], s22, v39
	v_mov_b32_e32 v37, 0x7fc02000
	s_and_saveexec_b64 s[18:19], s[0:1]
	s_cbranch_execz .LBB273_266
; %bb.265:                              ;   in Loop: Header=BB273_188 Depth=1
	v_and_b32_e32 v37, 7, v21
	v_ffbh_u32_e32 v37, v37
	v_min_u32_e32 v37, 32, v37
	v_subrev_u32_e32 v40, 28, v37
	v_cmp_gt_u32_e64 s[0:1], 8, v39
	v_lshrrev_b32_e32 v42, 3, v39
	v_sub_u32_e32 v37, 29, v37
	v_cndmask_b32_e64 v39, 0, v40, s[0:1]
	v_lshlrev_b64 v[40:41], v39, v[6:7]
	v_cndmask_b32_e64 v37, v42, v37, s[0:1]
	v_lshlrev_b32_e32 v39, 7, v40
	v_lshlrev_b32_e32 v40, 8, v21
	v_lshl_add_u32 v37, v37, 10, v3
	v_and_or_b32 v37, v40, s23, v37
	v_and_or_b32 v37, v39, s24, v37
	v_cvt_f32_f16_e32 v37, v37
.LBB273_266:                            ;   in Loop: Header=BB273_188 Depth=1
	s_or_b64 exec, exec, s[18:19]
.LBB273_267:                            ;   in Loop: Header=BB273_188 Depth=1
	s_or_b64 exec, exec, s[16:17]
.LBB273_268:                            ;   in Loop: Header=BB273_188 Depth=1
	s_or_b64 exec, exec, s[12:13]
	v_lshrrev_b16_e32 v6, 8, v6
	v_cmp_ne_u16_e64 s[0:1], 0, v6
	s_and_saveexec_b64 s[12:13], s[0:1]
	s_cbranch_execz .LBB273_274
; %bb.269:                              ;   in Loop: Header=BB273_188 Depth=1
	v_cmp_ne_u16_e64 s[0:1], s21, v6
	v_bfrev_b32_e32 v38, 1
	s_and_saveexec_b64 s[16:17], s[0:1]
	s_cbranch_execz .LBB273_273
; %bb.270:                              ;   in Loop: Header=BB273_188 Depth=1
	v_and_b32_e32 v39, 0x7f, v6
	v_cmp_ne_u32_e64 s[0:1], s22, v39
	v_mov_b32_e32 v38, 0x7fc02000
	s_and_saveexec_b64 s[18:19], s[0:1]
	s_cbranch_execz .LBB273_272
; %bb.271:                              ;   in Loop: Header=BB273_188 Depth=1
	v_and_b32_e32 v38, 7, v6
	v_ffbh_u32_e32 v40, v38
	v_min_u32_e32 v43, 32, v40
	v_subrev_u32_e32 v40, 28, v43
	v_lshlrev_b64 v[40:41], v40, v[6:7]
	v_lshrrev_b32_e32 v42, 3, v39
	v_sub_u32_e32 v41, 29, v43
	v_cmp_gt_u32_e64 s[0:1], 8, v39
	v_cndmask_b32_e64 v39, v42, v41, s[0:1]
	v_and_b32_e32 v40, 7, v40
	v_lshlrev_b32_e32 v6, 8, v6
	v_lshl_add_u32 v39, v39, 10, v3
	v_cndmask_b32_e64 v38, v38, v40, s[0:1]
	v_and_or_b32 v6, v6, s23, v39
	v_lshl_or_b32 v6, v38, 7, v6
	v_cvt_f32_f16_e32 v38, v6
.LBB273_272:                            ;   in Loop: Header=BB273_188 Depth=1
	s_or_b64 exec, exec, s[18:19]
.LBB273_273:                            ;   in Loop: Header=BB273_188 Depth=1
	s_or_b64 exec, exec, s[16:17]
.LBB273_274:                            ;   in Loop: Header=BB273_188 Depth=1
	s_or_b64 exec, exec, s[12:13]
	v_lshrrev_b32_e32 v6, 16, v21
	v_cmp_ne_u16_sdwa s[0:1], v6, v7 src0_sel:BYTE_0 src1_sel:DWORD
	v_mov_b32_e32 v39, 0
	v_mov_b32_e32 v40, 0
	s_and_saveexec_b64 s[12:13], s[0:1]
	s_cbranch_execz .LBB273_280
; %bb.275:                              ;   in Loop: Header=BB273_188 Depth=1
	v_cmp_ne_u16_sdwa s[0:1], v6, s21 src0_sel:BYTE_0 src1_sel:DWORD
	v_bfrev_b32_e32 v40, 1
	s_and_saveexec_b64 s[16:17], s[0:1]
	s_cbranch_execz .LBB273_279
; %bb.276:                              ;   in Loop: Header=BB273_188 Depth=1
	v_bfe_u32 v41, v21, 16, 7
	v_cmp_ne_u32_e64 s[0:1], s22, v41
	v_mov_b32_e32 v40, 0x7fc02000
	s_and_saveexec_b64 s[18:19], s[0:1]
	s_cbranch_execz .LBB273_278
; %bb.277:                              ;   in Loop: Header=BB273_188 Depth=1
	v_and_b32_e32 v40, 7, v6
	v_ffbh_u32_e32 v42, v40
	v_min_u32_e32 v45, 32, v42
	v_subrev_u32_e32 v42, 28, v45
	v_lshlrev_b64 v[42:43], v42, v[6:7]
	v_lshrrev_b32_e32 v44, 3, v41
	v_sub_u32_e32 v43, 29, v45
	v_cmp_gt_u32_e64 s[0:1], 8, v41
	v_cndmask_b32_e64 v41, v44, v43, s[0:1]
	v_and_b32_e32 v42, 7, v42
	v_lshlrev_b32_e32 v6, 8, v6
	v_lshl_add_u32 v41, v41, 10, v3
	v_cndmask_b32_e64 v40, v40, v42, s[0:1]
	v_and_or_b32 v6, v6, s23, v41
	v_lshl_or_b32 v6, v40, 7, v6
	v_cvt_f32_f16_e32 v40, v6
.LBB273_278:                            ;   in Loop: Header=BB273_188 Depth=1
	s_or_b64 exec, exec, s[18:19]
.LBB273_279:                            ;   in Loop: Header=BB273_188 Depth=1
	s_or_b64 exec, exec, s[16:17]
.LBB273_280:                            ;   in Loop: Header=BB273_188 Depth=1
	s_or_b64 exec, exec, s[12:13]
	v_cmp_lt_u64_e64 s[0:1], s[6:7], v[20:21]
	s_and_saveexec_b64 s[12:13], s[0:1]
	s_cbranch_execz .LBB273_286
; %bb.281:                              ;   in Loop: Header=BB273_188 Depth=1
	v_lshrrev_b32_e32 v6, 24, v21
	v_cmp_ne_u32_e64 s[0:1], s21, v6
	v_bfrev_b32_e32 v39, 1
	s_and_saveexec_b64 s[16:17], s[0:1]
	s_cbranch_execz .LBB273_285
; %bb.282:                              ;   in Loop: Header=BB273_188 Depth=1
	v_and_b32_e32 v20, 0x7f, v6
	v_cmp_ne_u32_e64 s[0:1], s22, v20
	v_mov_b32_e32 v39, 0x7fc02000
	s_and_saveexec_b64 s[18:19], s[0:1]
	s_cbranch_execz .LBB273_284
; %bb.283:                              ;   in Loop: Header=BB273_188 Depth=1
	v_and_b32_e32 v21, 7, v6
	v_ffbh_u32_e32 v41, v21
	v_min_u32_e32 v41, 32, v41
	v_lshrrev_b32_e32 v39, 3, v20
	v_subrev_u32_e32 v42, 28, v41
	v_sub_u32_e32 v41, 29, v41
	v_cmp_gt_u32_e64 s[0:1], 8, v20
	v_lshlrev_b64 v[42:43], v42, v[6:7]
	v_cndmask_b32_e64 v20, v39, v41, s[0:1]
	v_and_b32_e32 v42, 7, v42
	v_lshlrev_b32_e32 v6, 8, v6
	v_lshl_add_u32 v20, v20, 10, v3
	v_cndmask_b32_e64 v21, v21, v42, s[0:1]
	v_and_or_b32 v6, v6, s23, v20
	v_lshl_or_b32 v6, v21, 7, v6
	v_cvt_f32_f16_e32 v39, v6
.LBB273_284:                            ;   in Loop: Header=BB273_188 Depth=1
	s_or_b64 exec, exec, s[18:19]
.LBB273_285:                            ;   in Loop: Header=BB273_188 Depth=1
	s_or_b64 exec, exec, s[16:17]
.LBB273_286:                            ;   in Loop: Header=BB273_188 Depth=1
	s_or_b64 exec, exec, s[12:13]
	s_waitcnt vmcnt(0)
	v_pk_mul_f32 v[18:19], v[14:15], v[18:19] op_sel_hi:[0,1]
	v_pk_mul_f32 v[16:17], v[14:15], v[16:17] op_sel_hi:[0,1]
	v_cvt_f16_f32_e32 v6, v19
	v_cvt_f16_f32_e32 v18, v18
	;; [unrolled: 1-line block ×4, first 2 shown]
	v_pack_b32_f16 v18, v18, v6
	v_pack_b32_f16 v16, v16, v17
	v_fma_mixlo_f16 v17, v14, v38, 0
	v_perm_b32 v6, v16, v18, s25
	v_perm_b32 v16, v16, v18, s26
	v_lshlrev_b32_e32 v17, 16, v17
	v_fma_mixlo_f16 v18, v14, v37, 0
	v_or_b32_sdwa v17, v17, v18 dst_sel:DWORD dst_unused:UNUSED_PAD src0_sel:DWORD src1_sel:WORD_0
	v_fma_mixlo_f16 v18, v14, v40, 0
	v_fma_mixlo_f16 v14, v14, v39, 0
	v_lshlrev_b32_e32 v14, 16, v14
	v_or_b32_sdwa v14, v14, v18 dst_sel:DWORD dst_unused:UNUSED_PAD src0_sel:DWORD src1_sel:WORD_0
	s_and_saveexec_b64 s[12:13], vcc
	s_cbranch_execz .LBB273_288
; %bb.287:                              ;   in Loop: Header=BB273_188 Depth=1
	v_lshrrev_b32_e32 v19, 16, v16
	v_cmp_gt_i32_e64 s[0:1], s9, v30
	v_cndmask_b32_e64 v19, 0, v19, s[0:1]
	v_cmp_gt_i32_e64 s[0:1], s35, v23
	v_cndmask_b32_e64 v16, 0, v16, s[0:1]
	v_perm_b32 v16, v19, v16, s27
	v_lshrrev_b32_e32 v19, 16, v6
	v_cmp_gt_i32_e64 s[0:1], s9, v29
	v_cndmask_b32_e64 v19, 0, v19, s[0:1]
	v_cmp_gt_i32_e64 s[0:1], s35, v28
	v_cndmask_b32_e64 v6, 0, v6, s[0:1]
	v_perm_b32 v6, v19, v6, s27
	v_lshrrev_b32_e32 v19, 16, v17
	v_cmp_gt_i32_e64 s[0:1], s9, v27
	v_cndmask_b32_e64 v19, 0, v19, s[0:1]
	v_cmp_gt_i32_e64 s[0:1], s35, v26
	v_cndmask_b32_e64 v17, 0, v17, s[0:1]
	v_lshrrev_b32_e32 v14, 16, v14
	v_cmp_gt_i32_e64 s[0:1], s9, v25
	v_cndmask_b32_e64 v14, 0, v14, s[0:1]
	v_cmp_gt_i32_e64 s[0:1], s35, v24
	v_cndmask_b32_e64 v18, 0, v18, s[0:1]
	v_perm_b32 v17, v19, v17, s27
	v_perm_b32 v14, v14, v18, s27
.LBB273_288:                            ;   in Loop: Header=BB273_188 Depth=1
	s_or_b64 exec, exec, s[12:13]
	;;#ASMSTART
	v_pk_mul_f16 v16, v31, v16;

	;;#ASMEND
	;;#ASMSTART
	v_pk_mul_f16 v6, v32, v6;

	;;#ASMEND
	;; [unrolled: 4-line block ×4, first 2 shown]
	;;#ASMSTART
	v_pk_add_f16 v6, v16, v6;

	;;#ASMEND
	;;#ASMSTART
	v_pk_add_f16 v6, v6, v17;

	;;#ASMEND
	;; [unrolled: 4-line block ×3, first 2 shown]
	v_lshrrev_b32_e32 v14, 16, v6
	v_and_b32_e32 v6, 0xffff, v6
	;;#ASMSTART
	v_cvt_f32_f16 v20, v6;
	;;#ASMEND
	;;#ASMSTART
	v_cvt_f32_f16 v21, v14;
	;;#ASMEND
	global_load_dwordx2 v[18:19], v[12:13], off offset:1024
	global_load_dword v14, v7, s[14:15]
	v_mov_b32_e32 v16, 0
	v_mov_b32_e32 v12, 0
	s_waitcnt vmcnt(1)
	v_cmp_ne_u16_sdwa s[0:1], v18, v7 src0_sel:BYTE_0 src1_sel:DWORD
	s_and_saveexec_b64 s[12:13], s[0:1]
	s_cbranch_execz .LBB273_294
; %bb.289:                              ;   in Loop: Header=BB273_188 Depth=1
	v_cmp_ne_u16_sdwa s[0:1], v18, s21 src0_sel:BYTE_0 src1_sel:DWORD
	v_bfrev_b32_e32 v12, 1
	s_and_saveexec_b64 s[16:17], s[0:1]
	s_cbranch_execz .LBB273_293
; %bb.290:                              ;   in Loop: Header=BB273_188 Depth=1
	v_and_b32_e32 v6, 0x7f, v18
	v_cmp_ne_u32_e64 s[0:1], s22, v6
	v_mov_b32_e32 v12, 0x7fc02000
	s_and_saveexec_b64 s[18:19], s[0:1]
	s_cbranch_execz .LBB273_292
; %bb.291:                              ;   in Loop: Header=BB273_188 Depth=1
	v_and_b32_e32 v12, 7, v18
	v_ffbh_u32_e32 v12, v12
	v_min_u32_e32 v12, 32, v12
	v_subrev_u32_e32 v13, 28, v12
	v_cmp_gt_u32_e64 s[0:1], 8, v6
	v_lshrrev_b32_e32 v17, 3, v6
	v_sub_u32_e32 v37, 29, v12
	v_cndmask_b32_e64 v6, 0, v13, s[0:1]
	v_lshlrev_b64 v[12:13], v6, v[18:19]
	v_cndmask_b32_e64 v6, v17, v37, s[0:1]
	v_lshlrev_b32_e32 v13, 8, v18
	v_lshl_add_u32 v6, v6, 10, v3
	v_lshlrev_b32_e32 v12, 7, v12
	v_and_or_b32 v6, v13, s23, v6
	v_and_or_b32 v6, v12, s24, v6
	v_cvt_f32_f16_e32 v12, v6
.LBB273_292:                            ;   in Loop: Header=BB273_188 Depth=1
	s_or_b64 exec, exec, s[18:19]
.LBB273_293:                            ;   in Loop: Header=BB273_188 Depth=1
	s_or_b64 exec, exec, s[16:17]
.LBB273_294:                            ;   in Loop: Header=BB273_188 Depth=1
	s_or_b64 exec, exec, s[12:13]
	v_lshrrev_b16_e32 v6, 8, v18
	v_cmp_ne_u16_e64 s[0:1], 0, v6
	s_and_saveexec_b64 s[12:13], s[0:1]
	s_cbranch_execz .LBB273_300
; %bb.295:                              ;   in Loop: Header=BB273_188 Depth=1
	v_cmp_ne_u16_e64 s[0:1], s21, v6
	v_bfrev_b32_e32 v16, 1
	s_and_saveexec_b64 s[16:17], s[0:1]
	s_cbranch_execz .LBB273_299
; %bb.296:                              ;   in Loop: Header=BB273_188 Depth=1
	v_and_b32_e32 v13, 0x7f, v6
	v_cmp_ne_u32_e64 s[0:1], s22, v13
	v_mov_b32_e32 v16, 0x7fc02000
	s_and_saveexec_b64 s[18:19], s[0:1]
	s_cbranch_execz .LBB273_298
; %bb.297:                              ;   in Loop: Header=BB273_188 Depth=1
	v_and_b32_e32 v37, 7, v6
	v_ffbh_u32_e32 v16, v37
	v_min_u32_e32 v39, 32, v16
	v_subrev_u32_e32 v16, 28, v39
	v_lshlrev_b64 v[16:17], v16, v[6:7]
	v_lshrrev_b32_e32 v38, 3, v13
	v_sub_u32_e32 v17, 29, v39
	v_cmp_gt_u32_e64 s[0:1], 8, v13
	v_cndmask_b32_e64 v13, v38, v17, s[0:1]
	v_and_b32_e32 v16, 7, v16
	v_lshlrev_b32_e32 v6, 8, v6
	v_lshl_add_u32 v13, v13, 10, v3
	v_cndmask_b32_e64 v16, v37, v16, s[0:1]
	v_and_or_b32 v6, v6, s23, v13
	v_lshl_or_b32 v6, v16, 7, v6
	v_cvt_f32_f16_e32 v16, v6
.LBB273_298:                            ;   in Loop: Header=BB273_188 Depth=1
	s_or_b64 exec, exec, s[18:19]
.LBB273_299:                            ;   in Loop: Header=BB273_188 Depth=1
	s_or_b64 exec, exec, s[16:17]
.LBB273_300:                            ;   in Loop: Header=BB273_188 Depth=1
	s_or_b64 exec, exec, s[12:13]
	v_lshrrev_b32_e32 v6, 16, v18
	v_cmp_ne_u16_sdwa s[0:1], v6, v7 src0_sel:BYTE_0 src1_sel:DWORD
	v_mov_b32_e32 v17, 0
	v_mov_b32_e32 v13, 0
	s_and_saveexec_b64 s[12:13], s[0:1]
	s_cbranch_execz .LBB273_306
; %bb.301:                              ;   in Loop: Header=BB273_188 Depth=1
	v_cmp_ne_u16_sdwa s[0:1], v6, s21 src0_sel:BYTE_0 src1_sel:DWORD
	v_bfrev_b32_e32 v13, 1
	s_and_saveexec_b64 s[16:17], s[0:1]
	s_cbranch_execz .LBB273_305
; %bb.302:                              ;   in Loop: Header=BB273_188 Depth=1
	v_bfe_u32 v37, v18, 16, 7
	v_cmp_ne_u32_e64 s[0:1], s22, v37
	v_mov_b32_e32 v13, 0x7fc02000
	s_and_saveexec_b64 s[18:19], s[0:1]
	s_cbranch_execz .LBB273_304
; %bb.303:                              ;   in Loop: Header=BB273_188 Depth=1
	v_and_b32_e32 v13, 7, v6
	v_ffbh_u32_e32 v38, v13
	v_min_u32_e32 v41, 32, v38
	v_subrev_u32_e32 v38, 28, v41
	v_lshlrev_b64 v[38:39], v38, v[6:7]
	v_lshrrev_b32_e32 v40, 3, v37
	v_sub_u32_e32 v39, 29, v41
	v_cmp_gt_u32_e64 s[0:1], 8, v37
	v_cndmask_b32_e64 v37, v40, v39, s[0:1]
	v_and_b32_e32 v38, 7, v38
	v_lshlrev_b32_e32 v6, 8, v6
	v_lshl_add_u32 v37, v37, 10, v3
	v_cndmask_b32_e64 v13, v13, v38, s[0:1]
	v_and_or_b32 v6, v6, s23, v37
	v_lshl_or_b32 v6, v13, 7, v6
	v_cvt_f32_f16_e32 v13, v6
.LBB273_304:                            ;   in Loop: Header=BB273_188 Depth=1
	s_or_b64 exec, exec, s[18:19]
.LBB273_305:                            ;   in Loop: Header=BB273_188 Depth=1
	s_or_b64 exec, exec, s[16:17]
.LBB273_306:                            ;   in Loop: Header=BB273_188 Depth=1
	s_or_b64 exec, exec, s[12:13]
	v_cmp_lt_u32_e64 s[0:1], s7, v18
	s_and_saveexec_b64 s[12:13], s[0:1]
	s_cbranch_execz .LBB273_312
; %bb.307:                              ;   in Loop: Header=BB273_188 Depth=1
	v_lshrrev_b32_e32 v6, 24, v18
	v_cmp_ne_u32_e64 s[0:1], s21, v6
	v_bfrev_b32_e32 v17, 1
	s_and_saveexec_b64 s[16:17], s[0:1]
	s_cbranch_execz .LBB273_311
; %bb.308:                              ;   in Loop: Header=BB273_188 Depth=1
	v_and_b32_e32 v37, 0x7f, v6
	v_cmp_ne_u32_e64 s[0:1], s22, v37
	v_mov_b32_e32 v17, 0x7fc02000
	s_and_saveexec_b64 s[18:19], s[0:1]
	s_cbranch_execz .LBB273_310
; %bb.309:                              ;   in Loop: Header=BB273_188 Depth=1
	v_and_b32_e32 v17, 7, v6
	v_ffbh_u32_e32 v38, v17
	v_min_u32_e32 v41, 32, v38
	v_subrev_u32_e32 v38, 28, v41
	v_lshlrev_b64 v[38:39], v38, v[6:7]
	v_lshrrev_b32_e32 v40, 3, v37
	v_sub_u32_e32 v39, 29, v41
	v_cmp_gt_u32_e64 s[0:1], 8, v37
	v_cndmask_b32_e64 v37, v40, v39, s[0:1]
	v_and_b32_e32 v38, 7, v38
	v_lshlrev_b32_e32 v6, 8, v6
	v_lshl_add_u32 v37, v37, 10, v3
	v_cndmask_b32_e64 v17, v17, v38, s[0:1]
	v_and_or_b32 v6, v6, s23, v37
	v_lshl_or_b32 v6, v17, 7, v6
	v_cvt_f32_f16_e32 v17, v6
.LBB273_310:                            ;   in Loop: Header=BB273_188 Depth=1
	s_or_b64 exec, exec, s[18:19]
.LBB273_311:                            ;   in Loop: Header=BB273_188 Depth=1
	s_or_b64 exec, exec, s[16:17]
.LBB273_312:                            ;   in Loop: Header=BB273_188 Depth=1
	s_or_b64 exec, exec, s[12:13]
	v_mov_b32_e32 v6, v19
	v_cmp_ne_u16_sdwa s[0:1], v19, v7 src0_sel:BYTE_0 src1_sel:DWORD
	v_mov_b32_e32 v38, 0
	v_mov_b32_e32 v37, 0
	s_and_saveexec_b64 s[12:13], s[0:1]
	s_cbranch_execz .LBB273_318
; %bb.313:                              ;   in Loop: Header=BB273_188 Depth=1
	v_cmp_ne_u16_sdwa s[0:1], v19, s21 src0_sel:BYTE_0 src1_sel:DWORD
	v_bfrev_b32_e32 v37, 1
	s_and_saveexec_b64 s[16:17], s[0:1]
	s_cbranch_execz .LBB273_317
; %bb.314:                              ;   in Loop: Header=BB273_188 Depth=1
	v_and_b32_e32 v39, 0x7f, v19
	v_cmp_ne_u32_e64 s[0:1], s22, v39
	v_mov_b32_e32 v37, 0x7fc02000
	s_and_saveexec_b64 s[18:19], s[0:1]
	s_cbranch_execz .LBB273_316
; %bb.315:                              ;   in Loop: Header=BB273_188 Depth=1
	v_and_b32_e32 v37, 7, v19
	v_ffbh_u32_e32 v37, v37
	v_min_u32_e32 v37, 32, v37
	v_subrev_u32_e32 v40, 28, v37
	v_cmp_gt_u32_e64 s[0:1], 8, v39
	v_lshrrev_b32_e32 v42, 3, v39
	v_sub_u32_e32 v37, 29, v37
	v_cndmask_b32_e64 v39, 0, v40, s[0:1]
	v_lshlrev_b64 v[40:41], v39, v[6:7]
	v_cndmask_b32_e64 v37, v42, v37, s[0:1]
	v_lshlrev_b32_e32 v39, 7, v40
	v_lshlrev_b32_e32 v40, 8, v19
	v_lshl_add_u32 v37, v37, 10, v3
	v_and_or_b32 v37, v40, s23, v37
	v_and_or_b32 v37, v39, s24, v37
	v_cvt_f32_f16_e32 v37, v37
.LBB273_316:                            ;   in Loop: Header=BB273_188 Depth=1
	s_or_b64 exec, exec, s[18:19]
.LBB273_317:                            ;   in Loop: Header=BB273_188 Depth=1
	s_or_b64 exec, exec, s[16:17]
.LBB273_318:                            ;   in Loop: Header=BB273_188 Depth=1
	s_or_b64 exec, exec, s[12:13]
	v_lshrrev_b16_e32 v6, 8, v6
	v_cmp_ne_u16_e64 s[0:1], 0, v6
	s_and_saveexec_b64 s[12:13], s[0:1]
	s_cbranch_execz .LBB273_324
; %bb.319:                              ;   in Loop: Header=BB273_188 Depth=1
	v_cmp_ne_u16_e64 s[0:1], s21, v6
	v_bfrev_b32_e32 v38, 1
	s_and_saveexec_b64 s[16:17], s[0:1]
	s_cbranch_execz .LBB273_323
; %bb.320:                              ;   in Loop: Header=BB273_188 Depth=1
	v_and_b32_e32 v39, 0x7f, v6
	v_cmp_ne_u32_e64 s[0:1], s22, v39
	v_mov_b32_e32 v38, 0x7fc02000
	s_and_saveexec_b64 s[18:19], s[0:1]
	s_cbranch_execz .LBB273_322
; %bb.321:                              ;   in Loop: Header=BB273_188 Depth=1
	v_and_b32_e32 v38, 7, v6
	v_ffbh_u32_e32 v40, v38
	v_min_u32_e32 v43, 32, v40
	v_subrev_u32_e32 v40, 28, v43
	v_lshlrev_b64 v[40:41], v40, v[6:7]
	v_lshrrev_b32_e32 v42, 3, v39
	v_sub_u32_e32 v41, 29, v43
	v_cmp_gt_u32_e64 s[0:1], 8, v39
	v_cndmask_b32_e64 v39, v42, v41, s[0:1]
	v_and_b32_e32 v40, 7, v40
	v_lshlrev_b32_e32 v6, 8, v6
	v_lshl_add_u32 v39, v39, 10, v3
	v_cndmask_b32_e64 v38, v38, v40, s[0:1]
	v_and_or_b32 v6, v6, s23, v39
	v_lshl_or_b32 v6, v38, 7, v6
	v_cvt_f32_f16_e32 v38, v6
.LBB273_322:                            ;   in Loop: Header=BB273_188 Depth=1
	s_or_b64 exec, exec, s[18:19]
.LBB273_323:                            ;   in Loop: Header=BB273_188 Depth=1
	s_or_b64 exec, exec, s[16:17]
.LBB273_324:                            ;   in Loop: Header=BB273_188 Depth=1
	s_or_b64 exec, exec, s[12:13]
	v_lshrrev_b32_e32 v6, 16, v19
	v_cmp_ne_u16_sdwa s[0:1], v6, v7 src0_sel:BYTE_0 src1_sel:DWORD
	v_mov_b32_e32 v39, 0
	v_mov_b32_e32 v40, 0
	s_and_saveexec_b64 s[12:13], s[0:1]
	s_cbranch_execz .LBB273_330
; %bb.325:                              ;   in Loop: Header=BB273_188 Depth=1
	v_cmp_ne_u16_sdwa s[0:1], v6, s21 src0_sel:BYTE_0 src1_sel:DWORD
	v_bfrev_b32_e32 v40, 1
	s_and_saveexec_b64 s[16:17], s[0:1]
	s_cbranch_execz .LBB273_329
; %bb.326:                              ;   in Loop: Header=BB273_188 Depth=1
	v_bfe_u32 v41, v19, 16, 7
	v_cmp_ne_u32_e64 s[0:1], s22, v41
	v_mov_b32_e32 v40, 0x7fc02000
	s_and_saveexec_b64 s[18:19], s[0:1]
	s_cbranch_execz .LBB273_328
; %bb.327:                              ;   in Loop: Header=BB273_188 Depth=1
	v_and_b32_e32 v40, 7, v6
	v_ffbh_u32_e32 v42, v40
	v_min_u32_e32 v45, 32, v42
	v_subrev_u32_e32 v42, 28, v45
	v_lshlrev_b64 v[42:43], v42, v[6:7]
	v_lshrrev_b32_e32 v44, 3, v41
	v_sub_u32_e32 v43, 29, v45
	v_cmp_gt_u32_e64 s[0:1], 8, v41
	v_cndmask_b32_e64 v41, v44, v43, s[0:1]
	v_and_b32_e32 v42, 7, v42
	v_lshlrev_b32_e32 v6, 8, v6
	v_lshl_add_u32 v41, v41, 10, v3
	v_cndmask_b32_e64 v40, v40, v42, s[0:1]
	v_and_or_b32 v6, v6, s23, v41
	v_lshl_or_b32 v6, v40, 7, v6
	v_cvt_f32_f16_e32 v40, v6
.LBB273_328:                            ;   in Loop: Header=BB273_188 Depth=1
	s_or_b64 exec, exec, s[18:19]
.LBB273_329:                            ;   in Loop: Header=BB273_188 Depth=1
	s_or_b64 exec, exec, s[16:17]
.LBB273_330:                            ;   in Loop: Header=BB273_188 Depth=1
	s_or_b64 exec, exec, s[12:13]
	v_cmp_lt_u64_e64 s[0:1], s[6:7], v[18:19]
	s_and_saveexec_b64 s[12:13], s[0:1]
	s_cbranch_execz .LBB273_336
; %bb.331:                              ;   in Loop: Header=BB273_188 Depth=1
	v_lshrrev_b32_e32 v6, 24, v19
	v_cmp_ne_u32_e64 s[0:1], s21, v6
	v_bfrev_b32_e32 v39, 1
	s_and_saveexec_b64 s[16:17], s[0:1]
	s_cbranch_execz .LBB273_335
; %bb.332:                              ;   in Loop: Header=BB273_188 Depth=1
	v_and_b32_e32 v18, 0x7f, v6
	v_cmp_ne_u32_e64 s[0:1], s22, v18
	v_mov_b32_e32 v39, 0x7fc02000
	s_and_saveexec_b64 s[18:19], s[0:1]
	s_cbranch_execz .LBB273_334
; %bb.333:                              ;   in Loop: Header=BB273_188 Depth=1
	v_and_b32_e32 v19, 7, v6
	v_ffbh_u32_e32 v41, v19
	v_min_u32_e32 v41, 32, v41
	v_lshrrev_b32_e32 v39, 3, v18
	v_subrev_u32_e32 v42, 28, v41
	v_sub_u32_e32 v41, 29, v41
	v_cmp_gt_u32_e64 s[0:1], 8, v18
	v_lshlrev_b64 v[42:43], v42, v[6:7]
	v_cndmask_b32_e64 v18, v39, v41, s[0:1]
	v_and_b32_e32 v42, 7, v42
	v_lshlrev_b32_e32 v6, 8, v6
	v_lshl_add_u32 v18, v18, 10, v3
	v_cndmask_b32_e64 v19, v19, v42, s[0:1]
	v_and_or_b32 v6, v6, s23, v18
	v_lshl_or_b32 v6, v19, 7, v6
	v_cvt_f32_f16_e32 v39, v6
.LBB273_334:                            ;   in Loop: Header=BB273_188 Depth=1
	s_or_b64 exec, exec, s[18:19]
.LBB273_335:                            ;   in Loop: Header=BB273_188 Depth=1
	s_or_b64 exec, exec, s[16:17]
.LBB273_336:                            ;   in Loop: Header=BB273_188 Depth=1
	s_or_b64 exec, exec, s[12:13]
	s_waitcnt vmcnt(0)
	v_pk_mul_f32 v[16:17], v[14:15], v[16:17] op_sel_hi:[0,1]
	v_pk_mul_f32 v[12:13], v[14:15], v[12:13] op_sel_hi:[0,1]
	v_cvt_f16_f32_e32 v6, v17
	v_cvt_f16_f32_e32 v16, v16
	;; [unrolled: 1-line block ×4, first 2 shown]
	v_pack_b32_f16 v16, v16, v6
	v_pack_b32_f16 v12, v12, v13
	v_fma_mixlo_f16 v13, v14, v38, 0
	v_perm_b32 v6, v12, v16, s25
	v_perm_b32 v12, v12, v16, s26
	v_lshlrev_b32_e32 v13, 16, v13
	v_fma_mixlo_f16 v16, v14, v37, 0
	v_or_b32_sdwa v13, v13, v16 dst_sel:DWORD dst_unused:UNUSED_PAD src0_sel:DWORD src1_sel:WORD_0
	v_fma_mixlo_f16 v16, v14, v40, 0
	v_fma_mixlo_f16 v14, v14, v39, 0
	v_lshlrev_b32_e32 v14, 16, v14
	v_or_b32_sdwa v14, v14, v16 dst_sel:DWORD dst_unused:UNUSED_PAD src0_sel:DWORD src1_sel:WORD_0
	s_and_saveexec_b64 s[0:1], vcc
	s_cbranch_execz .LBB273_187
; %bb.337:                              ;   in Loop: Header=BB273_188 Depth=1
	v_lshrrev_b32_e32 v17, 16, v12
	v_cmp_gt_i32_e32 vcc, s9, v30
	v_cndmask_b32_e32 v17, 0, v17, vcc
	v_cmp_gt_i32_e32 vcc, s35, v23
	v_cndmask_b32_e32 v12, 0, v12, vcc
	v_perm_b32 v12, v17, v12, s27
	v_lshrrev_b32_e32 v17, 16, v6
	v_cmp_gt_i32_e32 vcc, s9, v29
	v_cndmask_b32_e32 v17, 0, v17, vcc
	v_cmp_gt_i32_e32 vcc, s35, v28
	v_cndmask_b32_e32 v6, 0, v6, vcc
	v_perm_b32 v6, v17, v6, s27
	v_lshrrev_b32_e32 v17, 16, v13
	v_cmp_gt_i32_e32 vcc, s9, v27
	v_cndmask_b32_e32 v17, 0, v17, vcc
	v_cmp_gt_i32_e32 vcc, s35, v26
	v_cndmask_b32_e32 v13, 0, v13, vcc
	v_lshrrev_b32_e32 v14, 16, v14
	v_cmp_gt_i32_e32 vcc, s9, v25
	v_cndmask_b32_e32 v14, 0, v14, vcc
	v_cmp_gt_i32_e32 vcc, s35, v24
	v_cndmask_b32_e32 v16, 0, v16, vcc
	v_perm_b32 v13, v17, v13, s27
	v_perm_b32 v14, v14, v16, s27
	s_branch .LBB273_187
.LBB273_338:
	s_or_b64 exec, exec, s[10:11]
.LBB273_339:
	s_or_b64 exec, exec, s[4:5]
	v_and_b32_e32 v1, 0x3c0, v0
	v_cmp_eq_u32_e32 vcc, 64, v1
	s_barrier
	s_and_saveexec_b64 s[0:1], vcc
	s_cbranch_execz .LBB273_341
; %bb.340:
	v_mov_b32_e32 v1, 0x190
	v_lshl_add_u32 v2, v15, 2, v1
	v_lshl_add_u32 v1, v0, 2, v1
	ds_write_b32 v2, v4
	ds_write_b32 v1, v5
	ds_write_b32 v2, v22 offset:512
.LBB273_341:
	s_or_b64 exec, exec, s[0:1]
	v_cmp_gt_u32_e32 vcc, 64, v0
	s_waitcnt lgkmcnt(0)
	s_barrier
	s_and_saveexec_b64 s[0:1], vcc
	s_cbranch_execz .LBB273_343
; %bb.342:
	v_mov_b32_e32 v1, 0x190
	v_lshl_add_u32 v1, v0, 2, v1
	ds_read2st64_b32 v[2:3], v1 offset1:1
	ds_read_b32 v1, v1 offset:512
	s_waitcnt lgkmcnt(1)
	v_pk_add_f32 v[4:5], v[4:5], v[2:3]
	s_waitcnt lgkmcnt(0)
	v_add_f32_e32 v22, v22, v1
.LBB273_343:
	s_or_b64 exec, exec, s[0:1]
	s_barrier
	s_and_saveexec_b64 s[0:1], vcc
	s_cbranch_execz .LBB273_345
; %bb.344:
	s_mul_i32 s0, s2, 0xc0
	s_ashr_i32 s1, s0, 31
	s_lshl_b64 s[0:1], s[0:1], 1
	s_add_u32 s2, s28, s0
	s_mul_i32 s0, s33, s30
	s_addc_u32 s3, s29, s1
	s_ashr_i32 s1, s0, 31
	s_lshl_b64 s[0:1], s[0:1], 1
	s_add_u32 s2, s2, s0
	s_mul_i32 s0, s8, 0xc0
	s_addc_u32 s3, s3, s1
	s_ashr_i32 s1, s0, 31
	s_lshl_b64 s[0:1], s[0:1], 1
	s_add_u32 s0, s2, s0
	s_addc_u32 s1, s3, s1
	v_lshlrev_b32_e32 v0, 1, v0
	;;#ASMSTART
	v_cvt_f16_f32 v1, v4;

	;;#ASMEND
	global_store_short v0, v1, s[0:1]
	;;#ASMSTART
	v_cvt_f16_f32 v1, v5;

	;;#ASMEND
	global_store_short v0, v1, s[0:1] offset:128
	;;#ASMSTART
	v_cvt_f16_f32 v1, v22;

	;;#ASMEND
	global_store_short v0, v1, s[0:1] offset:256
.LBB273_345:
	s_endpgm
	.section	.rodata,"a",@progbits
	.p2align	6, 0x0
	.amdhsa_kernel _ZN4vllm25paged_attention_v2_kernelIthLi192ELi8ELi128ELNS_18Fp8KVCacheDataTypeE1ELb0ELi512EEEvPfS2_PT_PKS3_PKT0_S9_ifPKiSB_iPKfiiiSD_SD_iiiii
		.amdhsa_group_segment_fixed_size 400
		.amdhsa_private_segment_fixed_size 0
		.amdhsa_kernarg_size 400
		.amdhsa_user_sgpr_count 6
		.amdhsa_user_sgpr_private_segment_buffer 1
		.amdhsa_user_sgpr_dispatch_ptr 0
		.amdhsa_user_sgpr_queue_ptr 0
		.amdhsa_user_sgpr_kernarg_segment_ptr 1
		.amdhsa_user_sgpr_dispatch_id 0
		.amdhsa_user_sgpr_flat_scratch_init 0
		.amdhsa_user_sgpr_kernarg_preload_length 0
		.amdhsa_user_sgpr_kernarg_preload_offset 0
		.amdhsa_user_sgpr_private_segment_size 0
		.amdhsa_uses_dynamic_stack 0
		.amdhsa_system_sgpr_private_segment_wavefront_offset 0
		.amdhsa_system_sgpr_workgroup_id_x 1
		.amdhsa_system_sgpr_workgroup_id_y 1
		.amdhsa_system_sgpr_workgroup_id_z 1
		.amdhsa_system_sgpr_workgroup_info 0
		.amdhsa_system_vgpr_workitem_id 0
		.amdhsa_next_free_vgpr 61
		.amdhsa_next_free_sgpr 52
		.amdhsa_accum_offset 64
		.amdhsa_reserve_vcc 1
		.amdhsa_reserve_flat_scratch 0
		.amdhsa_float_round_mode_32 0
		.amdhsa_float_round_mode_16_64 0
		.amdhsa_float_denorm_mode_32 3
		.amdhsa_float_denorm_mode_16_64 3
		.amdhsa_dx10_clamp 1
		.amdhsa_ieee_mode 1
		.amdhsa_fp16_overflow 0
		.amdhsa_tg_split 0
		.amdhsa_exception_fp_ieee_invalid_op 0
		.amdhsa_exception_fp_denorm_src 0
		.amdhsa_exception_fp_ieee_div_zero 0
		.amdhsa_exception_fp_ieee_overflow 0
		.amdhsa_exception_fp_ieee_underflow 0
		.amdhsa_exception_fp_ieee_inexact 0
		.amdhsa_exception_int_div_zero 0
	.end_amdhsa_kernel
	.section	.text._ZN4vllm25paged_attention_v2_kernelIthLi192ELi8ELi128ELNS_18Fp8KVCacheDataTypeE1ELb0ELi512EEEvPfS2_PT_PKS3_PKT0_S9_ifPKiSB_iPKfiiiSD_SD_iiiii,"axG",@progbits,_ZN4vllm25paged_attention_v2_kernelIthLi192ELi8ELi128ELNS_18Fp8KVCacheDataTypeE1ELb0ELi512EEEvPfS2_PT_PKS3_PKT0_S9_ifPKiSB_iPKfiiiSD_SD_iiiii,comdat
.Lfunc_end273:
	.size	_ZN4vllm25paged_attention_v2_kernelIthLi192ELi8ELi128ELNS_18Fp8KVCacheDataTypeE1ELb0ELi512EEEvPfS2_PT_PKS3_PKT0_S9_ifPKiSB_iPKfiiiSD_SD_iiiii, .Lfunc_end273-_ZN4vllm25paged_attention_v2_kernelIthLi192ELi8ELi128ELNS_18Fp8KVCacheDataTypeE1ELb0ELi512EEEvPfS2_PT_PKS3_PKT0_S9_ifPKiSB_iPKfiiiSD_SD_iiiii
                                        ; -- End function
	.section	.AMDGPU.csdata,"",@progbits
; Kernel info:
; codeLenInByte = 14624
; NumSgprs: 56
; NumVgprs: 61
; NumAgprs: 0
; TotalNumVgprs: 61
; ScratchSize: 0
; MemoryBound: 0
; FloatMode: 240
; IeeeMode: 1
; LDSByteSize: 400 bytes/workgroup (compile time only)
; SGPRBlocks: 6
; VGPRBlocks: 7
; NumSGPRsForWavesPerEU: 56
; NumVGPRsForWavesPerEU: 61
; AccumOffset: 64
; Occupancy: 8
; WaveLimiterHint : 1
; COMPUTE_PGM_RSRC2:SCRATCH_EN: 0
; COMPUTE_PGM_RSRC2:USER_SGPR: 6
; COMPUTE_PGM_RSRC2:TRAP_HANDLER: 0
; COMPUTE_PGM_RSRC2:TGID_X_EN: 1
; COMPUTE_PGM_RSRC2:TGID_Y_EN: 1
; COMPUTE_PGM_RSRC2:TGID_Z_EN: 1
; COMPUTE_PGM_RSRC2:TIDIG_COMP_CNT: 0
; COMPUTE_PGM_RSRC3_GFX90A:ACCUM_OFFSET: 15
; COMPUTE_PGM_RSRC3_GFX90A:TG_SPLIT: 0
	.section	.text._ZN4vllm25paged_attention_v2_kernelIthLi256ELi8ELi128ELNS_18Fp8KVCacheDataTypeE1ELb0ELi512EEEvPfS2_PT_PKS3_PKT0_S9_ifPKiSB_iPKfiiiSD_SD_iiiii,"axG",@progbits,_ZN4vllm25paged_attention_v2_kernelIthLi256ELi8ELi128ELNS_18Fp8KVCacheDataTypeE1ELb0ELi512EEEvPfS2_PT_PKS3_PKT0_S9_ifPKiSB_iPKfiiiSD_SD_iiiii,comdat
	.protected	_ZN4vllm25paged_attention_v2_kernelIthLi256ELi8ELi128ELNS_18Fp8KVCacheDataTypeE1ELb0ELi512EEEvPfS2_PT_PKS3_PKT0_S9_ifPKiSB_iPKfiiiSD_SD_iiiii ; -- Begin function _ZN4vllm25paged_attention_v2_kernelIthLi256ELi8ELi128ELNS_18Fp8KVCacheDataTypeE1ELb0ELi512EEEvPfS2_PT_PKS3_PKT0_S9_ifPKiSB_iPKfiiiSD_SD_iiiii
	.globl	_ZN4vllm25paged_attention_v2_kernelIthLi256ELi8ELi128ELNS_18Fp8KVCacheDataTypeE1ELb0ELi512EEEvPfS2_PT_PKS3_PKT0_S9_ifPKiSB_iPKfiiiSD_SD_iiiii
	.p2align	8
	.type	_ZN4vllm25paged_attention_v2_kernelIthLi256ELi8ELi128ELNS_18Fp8KVCacheDataTypeE1ELb0ELi512EEEvPfS2_PT_PKS3_PKT0_S9_ifPKiSB_iPKfiiiSD_SD_iiiii,@function
_ZN4vllm25paged_attention_v2_kernelIthLi256ELi8ELi128ELNS_18Fp8KVCacheDataTypeE1ELb0ELi512EEEvPfS2_PT_PKS3_PKT0_S9_ifPKiSB_iPKfiiiSD_SD_iiiii: ; @_ZN4vllm25paged_attention_v2_kernelIthLi256ELi8ELi128ELNS_18Fp8KVCacheDataTypeE1ELb0ELi512EEEvPfS2_PT_PKS3_PKT0_S9_ifPKiSB_iPKfiiiSD_SD_iiiii
; %bb.0:
	s_load_dwordx2 s[0:1], s[4:5], 0x40
	s_mov_b32 s34, s7
	s_ashr_i32 s35, s7, 31
	s_lshl_b64 s[2:3], s[34:35], 2
	s_waitcnt lgkmcnt(0)
	s_add_u32 s0, s0, s2
	s_addc_u32 s1, s1, s3
	s_load_dword s35, s[0:1], 0x0
	s_lshl_b32 s46, s8, 9
	s_waitcnt lgkmcnt(0)
	s_cmp_ge_i32 s46, s35
	s_cbranch_scc1 .LBB274_443
; %bb.1:
	s_load_dword s9, s[4:5], 0x90
	s_load_dwordx2 s[10:11], s[4:5], 0x30
	s_waitcnt lgkmcnt(0)
	s_abs_i32 s2, s9
	s_abs_i32 s0, s10
	v_cvt_f32_u32_e32 v1, s0
	s_sub_i32 s3, 0, s0
	s_xor_b32 s1, s9, s10
	s_ashr_i32 s1, s1, 31
	v_rcp_iflag_f32_e32 v1, v1
	v_mul_f32_e32 v1, 0x4f7ffffe, v1
	v_cvt_u32_f32_e32 v1, v1
	v_readfirstlane_b32 s7, v1
	s_mul_i32 s3, s3, s7
	s_mul_hi_u32 s3, s7, s3
	s_add_i32 s7, s7, s3
	s_mul_hi_u32 s3, s2, s7
	s_mul_i32 s7, s3, s0
	s_sub_i32 s2, s2, s7
	s_add_i32 s10, s3, 1
	s_sub_i32 s7, s2, s0
	s_cmp_ge_u32 s2, s0
	s_cselect_b32 s3, s10, s3
	s_cselect_b32 s2, s7, s2
	s_add_i32 s7, s3, 1
	s_cmp_ge_u32 s2, s0
	s_cselect_b32 s0, s7, s3
	s_xor_b32 s0, s0, s1
	s_sub_i32 s10, s0, s1
	s_abs_i32 s14, s10
	v_cvt_f32_u32_e32 v1, s14
	s_load_dwordx2 s[0:1], s[4:5], 0x50
	s_sub_i32 s2, 0, s14
	s_abs_i32 s15, s6
	v_rcp_iflag_f32_e32 v1, v1
	s_mov_b32 s7, 0
	v_mul_f32_e32 v1, 0x4f7ffffe, v1
	v_cvt_u32_f32_e32 v1, v1
	v_readfirstlane_b32 s3, v1
	s_mul_i32 s2, s2, s3
	s_mul_hi_u32 s2, s3, s2
	s_add_i32 s2, s3, s2
	s_waitcnt lgkmcnt(0)
	s_cmp_eq_u64 s[0:1], 0
	s_cbranch_scc1 .LBB274_3
; %bb.2:
	s_ashr_i32 s7, s6, 31
	s_lshl_b64 s[12:13], s[6:7], 2
	s_add_u32 s0, s0, s12
	s_addc_u32 s1, s1, s13
	s_load_dword s7, s[0:1], 0x0
.LBB274_3:
	s_load_dwordx4 s[24:27], s[4:5], 0x0
	s_load_dwordx2 s[28:29], s[4:5], 0x10
	s_load_dwordx4 s[16:19], s[4:5], 0x20
	s_load_dwordx2 s[36:37], s[4:5], 0x38
	s_load_dword s33, s[4:5], 0x98
	s_load_dwordx4 s[20:23], s[4:5], 0x58
	s_lshl_b32 s30, s6, 8
	s_movk_i32 s0, 0x100
	s_mul_hi_u32 s38, s15, s2
	v_and_b32_e32 v2, 7, v0
	s_ashr_i32 s31, s30, 31
	v_cmp_gt_u32_e32 vcc, s0, v0
	s_and_saveexec_b64 s[2:3], vcc
	s_cbranch_execz .LBB274_6
; %bb.4:
	s_load_dwordx2 s[0:1], s[4:5], 0x18
	s_waitcnt lgkmcnt(0)
	s_mul_i32 s12, s34, s20
	s_ashr_i32 s13, s12, 31
	s_lshl_b64 s[12:13], s[12:13], 1
	s_lshl_b64 s[40:41], s[30:31], 1
	s_add_u32 s12, s12, s40
	s_addc_u32 s13, s13, s41
	v_lshrrev_b32_e32 v4, 3, v0
	v_lshlrev_b32_e32 v5, 1, v2
	s_add_u32 s0, s0, s12
	v_add_u32_e32 v1, -16, v4
	v_lshlrev_b32_e32 v3, 1, v4
	v_lshl_or_b32 v4, v4, 4, v5
	s_addc_u32 s1, s1, s13
	v_mov_b32_e32 v5, s1
	v_add_co_u32_e32 v4, vcc, s0, v4
	v_lshl_add_u32 v3, v2, 6, v3
	v_addc_co_u32_e32 v5, vcc, 0, v5, vcc
	s_mov_b64 s[12:13], 0
.LBB274_5:                              ; =>This Inner Loop Header: Depth=1
	global_load_ushort v6, v[4:5], off
	v_add_co_u32_e64 v1, s[0:1], 16, v1
	s_xor_b64 s[0:1], s[0:1], -1
	v_add_co_u32_e32 v4, vcc, 0x100, v4
	s_and_b64 s[0:1], exec, s[0:1]
	v_addc_co_u32_e32 v5, vcc, 0, v5, vcc
	s_or_b64 s[12:13], s[0:1], s[12:13]
	s_waitcnt vmcnt(0)
	ds_write_b16 v3, v6
	v_add_u32_e32 v3, 32, v3
	s_andn2_b64 exec, exec, s[12:13]
	s_cbranch_execnz .LBB274_5
.LBB274_6:
	s_or_b64 exec, exec, s[2:3]
	s_add_i32 s2, s35, 7
	s_ashr_i32 s3, s2, 31
	s_ashr_i32 s0, s6, 31
	;; [unrolled: 1-line block ×3, first 2 shown]
	s_lshr_b32 s3, s3, 29
	s_add_i32 s2, s2, s3
	s_lshl_b32 s10, s8, 6
	s_xor_b32 s0, s0, s1
	s_mul_i32 s1, s38, s14
	s_ashr_i32 s31, s2, 3
	s_add_i32 s2, s10, 64
	s_sub_i32 s1, s15, s1
	s_waitcnt lgkmcnt(0)
	s_min_i32 s20, s2, s31
	s_add_i32 s2, s38, 1
	s_sub_i32 s3, s1, s14
	s_cmp_ge_u32 s1, s14
	s_cselect_b32 s2, s2, s38
	s_cselect_b32 s1, s3, s1
	s_add_i32 s3, s2, 1
	s_cmp_ge_u32 s1, s14
	s_cselect_b32 s1, s3, s2
	s_load_dword s2, s[4:5], 0x48
	v_lshrrev_b32_e32 v1, 6, v0
	s_xor_b32 s1, s1, s0
	v_or_b32_e32 v6, s10, v1
	s_sub_i32 s47, s1, s0
	s_waitcnt lgkmcnt(0)
	s_mul_i32 s38, s34, s2
	s_ashr_i32 s39, s38, 31
	v_cmp_gt_i32_e64 s[0:1], s20, v6
	v_cmp_le_i32_e32 vcc, s20, v6
	v_mbcnt_lo_u32_b32 v11, -1, 0
	s_barrier
	s_waitcnt lgkmcnt(0)
                                        ; implicit-def: $sgpr23
                                        ; implicit-def: $vgpr3
                                        ; implicit-def: $vgpr10
	s_and_saveexec_b64 s[2:3], vcc
	s_xor_b64 s[2:3], exec, s[2:3]
; %bb.7:
	v_mbcnt_hi_u32_b32 v3, -1, v11
	v_and_b32_e32 v2, 64, v3
	v_add_u32_e32 v10, 64, v2
	s_mov_b32 s23, 0xff7fffff
                                        ; implicit-def: $vgpr2
                                        ; implicit-def: $vgpr11
; %bb.8:
	s_or_saveexec_b64 s[40:41], s[2:3]
	s_load_dwordx4 s[12:15], s[4:5], 0x68
	v_mov_b32_e32 v13, s23
	s_mul_i32 s47, s47, s22
	v_ashrrev_i32_e32 v7, 31, v6
	s_xor_b64 exec, exec, s[40:41]
	s_cbranch_execz .LBB274_206
; %bb.9:
	s_ashr_i32 s2, s47, 31
	s_add_u32 s3, s16, s47
	v_bfe_u32 v3, v0, 3, 3
	s_addc_u32 s2, s17, s2
	s_sub_i32 s49, 1, s35
	v_lshlrev_b32_e32 v8, 3, v1
	s_lshl_b64 s[4:5], s[38:39], 2
	v_lshlrev_b32_e32 v4, 4, v3
	v_add3_u32 v16, s46, v8, v3
	v_lshlrev_b32_e32 v3, 2, v3
	s_add_u32 s4, s36, s4
	v_mov_b32_e32 v5, s2
	v_add_co_u32_e32 v4, vcc, s3, v4
	v_lshl_or_b32 v3, v1, 5, v3
	v_lshlrev_b64 v[8:9], 2, v[6:7]
	s_addc_u32 s5, s37, s5
	v_addc_co_u32_e32 v5, vcc, 0, v5, vcc
	v_add_u32_e32 v17, 0x210, v3
	v_mov_b32_e32 v3, s5
	v_add_co_u32_e64 v8, s[4:5], s4, v8
	s_mov_b32 s48, s21
	v_mov_b32_e32 v14, 0
	v_lshlrev_b32_e32 v15, 6, v2
	v_cmp_eq_u32_e32 vcc, 0, v2
	v_cmp_neq_f32_e64 s[2:3], s7, 0
	v_addc_co_u32_e64 v9, s[4:5], v3, v9, s[4:5]
	s_mov_b64 s[16:17], 0
	v_mov_b32_e32 v13, 0xff7fffff
	s_movk_i32 s50, 0x80
	s_movk_i32 s51, 0x7f
	v_mbcnt_hi_u32_b32 v3, -1, v11
	v_bfrev_b32_e32 v18, 60
	v_mov_b32_e32 v19, v6
	s_branch .LBB274_11
.LBB274_10:                             ;   in Loop: Header=BB274_11 Depth=1
	s_or_b64 exec, exec, s[22:23]
	v_add_u32_e32 v19, 2, v19
	v_cmp_le_i32_e64 s[4:5], s20, v19
	s_or_b64 s[16:17], s[4:5], s[16:17]
	v_add_co_u32_e64 v8, s[4:5], 8, v8
	v_add_u32_e32 v16, 16, v16
	v_add_u32_e32 v17, 64, v17
	v_addc_co_u32_e64 v9, s[4:5], 0, v9, s[4:5]
	s_andn2_b64 exec, exec, s[16:17]
	s_cbranch_execz .LBB274_205
.LBB274_11:                             ; =>This Inner Loop Header: Depth=1
	global_load_dword v10, v[8:9], off
	v_mov_b32_e32 v21, 0
	s_waitcnt vmcnt(0)
	v_mad_i64_i32 v[10:11], s[4:5], v10, s48, v[4:5]
	v_add_co_u32_e64 v10, s[4:5], v10, v2
	v_addc_co_u32_e64 v11, s[4:5], 0, v11, s[4:5]
	global_load_ubyte v22, v[10:11], off
	s_waitcnt lgkmcnt(0)
	global_load_dword v20, v14, s[12:13]
	s_waitcnt vmcnt(1)
	v_cmp_ne_u16_e64 s[4:5], 0, v22
	s_and_saveexec_b64 s[22:23], s[4:5]
	s_cbranch_execz .LBB274_17
; %bb.12:                               ;   in Loop: Header=BB274_11 Depth=1
	v_cmp_ne_u16_e64 s[4:5], s50, v22
	v_bfrev_b32_e32 v21, 1
	s_and_saveexec_b64 s[42:43], s[4:5]
	s_cbranch_execz .LBB274_16
; %bb.13:                               ;   in Loop: Header=BB274_11 Depth=1
	v_and_b32_e32 v12, 0xffff, v22
	v_and_b32_e32 v23, 0x7f, v12
	v_cmp_ne_u32_e64 s[4:5], s51, v23
	v_mov_b32_e32 v21, 0x7f800001
	s_and_saveexec_b64 s[44:45], s[4:5]
	s_cbranch_execz .LBB274_15
; %bb.14:                               ;   in Loop: Header=BB274_11 Depth=1
	v_and_b32_e32 v21, 7, v12
	v_ffbh_u32_e32 v24, v21
	v_min_u32_e32 v27, 32, v24
	v_subrev_u32_e32 v24, 28, v27
	v_lshlrev_b64 v[24:25], v24, v[12:13]
	v_lshrrev_b32_e32 v26, 3, v23
	v_sub_u32_e32 v12, 29, v27
	v_and_b32_e32 v24, 7, v24
	v_cmp_gt_u32_e64 s[4:5], 8, v23
	v_cndmask_b32_e64 v12, v26, v12, s[4:5]
	v_cndmask_b32_e64 v21, v21, v24, s[4:5]
	v_lshlrev_b32_e32 v22, 24, v22
	v_lshlrev_b32_e32 v21, 20, v21
	v_and_b32_e32 v22, 0x80000000, v22
	v_lshl_add_u32 v12, v12, 23, v18
	v_or3_b32 v21, v22, v12, v21
.LBB274_15:                             ;   in Loop: Header=BB274_11 Depth=1
	s_or_b64 exec, exec, s[44:45]
.LBB274_16:                             ;   in Loop: Header=BB274_11 Depth=1
	s_or_b64 exec, exec, s[42:43]
.LBB274_17:                             ;   in Loop: Header=BB274_11 Depth=1
	s_or_b64 exec, exec, s[22:23]
	global_load_ubyte v24, v[10:11], off offset:8
	v_mov_b32_e32 v22, 0
	v_mov_b32_e32 v23, 0
	s_waitcnt vmcnt(0)
	v_cmp_ne_u16_e64 s[4:5], 0, v24
	s_and_saveexec_b64 s[22:23], s[4:5]
	s_cbranch_execz .LBB274_23
; %bb.18:                               ;   in Loop: Header=BB274_11 Depth=1
	v_cmp_ne_u16_e64 s[4:5], s50, v24
	v_bfrev_b32_e32 v23, 1
	s_and_saveexec_b64 s[42:43], s[4:5]
	s_cbranch_execz .LBB274_22
; %bb.19:                               ;   in Loop: Header=BB274_11 Depth=1
	v_and_b32_e32 v12, 0xffff, v24
	v_and_b32_e32 v25, 0x7f, v12
	v_cmp_ne_u32_e64 s[4:5], s51, v25
	v_mov_b32_e32 v23, 0x7f800001
	s_and_saveexec_b64 s[44:45], s[4:5]
	s_cbranch_execz .LBB274_21
; %bb.20:                               ;   in Loop: Header=BB274_11 Depth=1
	v_and_b32_e32 v23, 7, v12
	v_ffbh_u32_e32 v26, v23
	v_min_u32_e32 v29, 32, v26
	v_subrev_u32_e32 v26, 28, v29
	v_lshlrev_b64 v[26:27], v26, v[12:13]
	v_lshrrev_b32_e32 v28, 3, v25
	v_sub_u32_e32 v12, 29, v29
	v_and_b32_e32 v26, 7, v26
	v_cmp_gt_u32_e64 s[4:5], 8, v25
	v_cndmask_b32_e64 v12, v28, v12, s[4:5]
	v_cndmask_b32_e64 v23, v23, v26, s[4:5]
	v_lshlrev_b32_e32 v24, 24, v24
	v_lshlrev_b32_e32 v23, 20, v23
	v_and_b32_e32 v24, 0x80000000, v24
	v_lshl_add_u32 v12, v12, 23, v18
	v_or3_b32 v23, v24, v12, v23
.LBB274_21:                             ;   in Loop: Header=BB274_11 Depth=1
	s_or_b64 exec, exec, s[44:45]
.LBB274_22:                             ;   in Loop: Header=BB274_11 Depth=1
	s_or_b64 exec, exec, s[42:43]
.LBB274_23:                             ;   in Loop: Header=BB274_11 Depth=1
	s_or_b64 exec, exec, s[22:23]
	global_load_ubyte v24, v[10:11], off offset:128
	s_waitcnt vmcnt(0)
	v_cmp_ne_u16_e64 s[4:5], 0, v24
	s_and_saveexec_b64 s[22:23], s[4:5]
	s_cbranch_execz .LBB274_29
; %bb.24:                               ;   in Loop: Header=BB274_11 Depth=1
	v_cmp_ne_u16_e64 s[4:5], s50, v24
	v_bfrev_b32_e32 v22, 1
	s_and_saveexec_b64 s[42:43], s[4:5]
	s_cbranch_execz .LBB274_28
; %bb.25:                               ;   in Loop: Header=BB274_11 Depth=1
	v_and_b32_e32 v12, 0xffff, v24
	v_and_b32_e32 v25, 0x7f, v12
	v_cmp_ne_u32_e64 s[4:5], s51, v25
	v_mov_b32_e32 v22, 0x7f800001
	s_and_saveexec_b64 s[44:45], s[4:5]
	s_cbranch_execz .LBB274_27
; %bb.26:                               ;   in Loop: Header=BB274_11 Depth=1
	v_and_b32_e32 v22, 7, v12
	v_ffbh_u32_e32 v26, v22
	v_min_u32_e32 v29, 32, v26
	v_subrev_u32_e32 v26, 28, v29
	v_lshlrev_b64 v[26:27], v26, v[12:13]
	v_lshrrev_b32_e32 v28, 3, v25
	v_sub_u32_e32 v12, 29, v29
	v_and_b32_e32 v26, 7, v26
	v_cmp_gt_u32_e64 s[4:5], 8, v25
	v_cndmask_b32_e64 v12, v28, v12, s[4:5]
	v_cndmask_b32_e64 v22, v22, v26, s[4:5]
	v_lshlrev_b32_e32 v24, 24, v24
	v_lshlrev_b32_e32 v22, 20, v22
	v_and_b32_e32 v24, 0x80000000, v24
	v_lshl_add_u32 v12, v12, 23, v18
	v_or3_b32 v22, v24, v12, v22
.LBB274_27:                             ;   in Loop: Header=BB274_11 Depth=1
	s_or_b64 exec, exec, s[44:45]
.LBB274_28:                             ;   in Loop: Header=BB274_11 Depth=1
	s_or_b64 exec, exec, s[42:43]
.LBB274_29:                             ;   in Loop: Header=BB274_11 Depth=1
	s_or_b64 exec, exec, s[22:23]
	global_load_ubyte v26, v[10:11], off offset:136
	v_mov_b32_e32 v24, 0
	v_mov_b32_e32 v25, 0
	s_waitcnt vmcnt(0)
	v_cmp_ne_u16_e64 s[4:5], 0, v26
	s_and_saveexec_b64 s[22:23], s[4:5]
	s_cbranch_execz .LBB274_35
; %bb.30:                               ;   in Loop: Header=BB274_11 Depth=1
	v_cmp_ne_u16_e64 s[4:5], s50, v26
	v_bfrev_b32_e32 v25, 1
	s_and_saveexec_b64 s[42:43], s[4:5]
	s_cbranch_execz .LBB274_34
; %bb.31:                               ;   in Loop: Header=BB274_11 Depth=1
	v_and_b32_e32 v12, 0xffff, v26
	v_and_b32_e32 v27, 0x7f, v12
	v_cmp_ne_u32_e64 s[4:5], s51, v27
	v_mov_b32_e32 v25, 0x7f800001
	s_and_saveexec_b64 s[44:45], s[4:5]
	s_cbranch_execz .LBB274_33
; %bb.32:                               ;   in Loop: Header=BB274_11 Depth=1
	v_and_b32_e32 v25, 7, v12
	v_ffbh_u32_e32 v28, v25
	v_min_u32_e32 v31, 32, v28
	v_subrev_u32_e32 v28, 28, v31
	v_lshlrev_b64 v[28:29], v28, v[12:13]
	v_lshrrev_b32_e32 v30, 3, v27
	v_sub_u32_e32 v12, 29, v31
	v_and_b32_e32 v28, 7, v28
	v_cmp_gt_u32_e64 s[4:5], 8, v27
	v_cndmask_b32_e64 v12, v30, v12, s[4:5]
	v_cndmask_b32_e64 v25, v25, v28, s[4:5]
	v_lshlrev_b32_e32 v26, 24, v26
	v_lshlrev_b32_e32 v25, 20, v25
	v_and_b32_e32 v26, 0x80000000, v26
	v_lshl_add_u32 v12, v12, 23, v18
	v_or3_b32 v25, v26, v12, v25
.LBB274_33:                             ;   in Loop: Header=BB274_11 Depth=1
	s_or_b64 exec, exec, s[44:45]
.LBB274_34:                             ;   in Loop: Header=BB274_11 Depth=1
	s_or_b64 exec, exec, s[42:43]
.LBB274_35:                             ;   in Loop: Header=BB274_11 Depth=1
	s_or_b64 exec, exec, s[22:23]
	global_load_ubyte v26, v[10:11], off offset:256
	s_waitcnt vmcnt(0)
	v_cmp_ne_u16_e64 s[4:5], 0, v26
	s_and_saveexec_b64 s[22:23], s[4:5]
	s_cbranch_execz .LBB274_41
; %bb.36:                               ;   in Loop: Header=BB274_11 Depth=1
	v_cmp_ne_u16_e64 s[4:5], s50, v26
	v_bfrev_b32_e32 v24, 1
	s_and_saveexec_b64 s[42:43], s[4:5]
	s_cbranch_execz .LBB274_40
; %bb.37:                               ;   in Loop: Header=BB274_11 Depth=1
	v_and_b32_e32 v12, 0xffff, v26
	v_and_b32_e32 v27, 0x7f, v12
	v_cmp_ne_u32_e64 s[4:5], s51, v27
	v_mov_b32_e32 v24, 0x7f800001
	s_and_saveexec_b64 s[44:45], s[4:5]
	s_cbranch_execz .LBB274_39
; %bb.38:                               ;   in Loop: Header=BB274_11 Depth=1
	v_and_b32_e32 v24, 7, v12
	v_ffbh_u32_e32 v28, v24
	v_min_u32_e32 v31, 32, v28
	v_subrev_u32_e32 v28, 28, v31
	v_lshlrev_b64 v[28:29], v28, v[12:13]
	v_lshrrev_b32_e32 v30, 3, v27
	v_sub_u32_e32 v12, 29, v31
	v_and_b32_e32 v28, 7, v28
	v_cmp_gt_u32_e64 s[4:5], 8, v27
	v_cndmask_b32_e64 v12, v30, v12, s[4:5]
	v_cndmask_b32_e64 v24, v24, v28, s[4:5]
	v_lshlrev_b32_e32 v26, 24, v26
	v_lshlrev_b32_e32 v24, 20, v24
	v_and_b32_e32 v26, 0x80000000, v26
	v_lshl_add_u32 v12, v12, 23, v18
	v_or3_b32 v24, v26, v12, v24
.LBB274_39:                             ;   in Loop: Header=BB274_11 Depth=1
	s_or_b64 exec, exec, s[44:45]
.LBB274_40:                             ;   in Loop: Header=BB274_11 Depth=1
	s_or_b64 exec, exec, s[42:43]
.LBB274_41:                             ;   in Loop: Header=BB274_11 Depth=1
	s_or_b64 exec, exec, s[22:23]
	global_load_ubyte v28, v[10:11], off offset:264
	v_mov_b32_e32 v26, 0
	v_mov_b32_e32 v27, 0
	s_waitcnt vmcnt(0)
	v_cmp_ne_u16_e64 s[4:5], 0, v28
	s_and_saveexec_b64 s[22:23], s[4:5]
	s_cbranch_execz .LBB274_47
; %bb.42:                               ;   in Loop: Header=BB274_11 Depth=1
	v_cmp_ne_u16_e64 s[4:5], s50, v28
	v_bfrev_b32_e32 v27, 1
	s_and_saveexec_b64 s[42:43], s[4:5]
	s_cbranch_execz .LBB274_46
; %bb.43:                               ;   in Loop: Header=BB274_11 Depth=1
	v_and_b32_e32 v12, 0xffff, v28
	v_and_b32_e32 v29, 0x7f, v12
	v_cmp_ne_u32_e64 s[4:5], s51, v29
	v_mov_b32_e32 v27, 0x7f800001
	s_and_saveexec_b64 s[44:45], s[4:5]
	s_cbranch_execz .LBB274_45
; %bb.44:                               ;   in Loop: Header=BB274_11 Depth=1
	v_and_b32_e32 v27, 7, v12
	v_ffbh_u32_e32 v30, v27
	v_min_u32_e32 v33, 32, v30
	v_subrev_u32_e32 v30, 28, v33
	v_lshlrev_b64 v[30:31], v30, v[12:13]
	v_lshrrev_b32_e32 v32, 3, v29
	v_sub_u32_e32 v12, 29, v33
	v_and_b32_e32 v30, 7, v30
	v_cmp_gt_u32_e64 s[4:5], 8, v29
	v_cndmask_b32_e64 v12, v32, v12, s[4:5]
	v_cndmask_b32_e64 v27, v27, v30, s[4:5]
	v_lshlrev_b32_e32 v28, 24, v28
	v_lshlrev_b32_e32 v27, 20, v27
	v_and_b32_e32 v28, 0x80000000, v28
	v_lshl_add_u32 v12, v12, 23, v18
	v_or3_b32 v27, v28, v12, v27
.LBB274_45:                             ;   in Loop: Header=BB274_11 Depth=1
	s_or_b64 exec, exec, s[44:45]
.LBB274_46:                             ;   in Loop: Header=BB274_11 Depth=1
	s_or_b64 exec, exec, s[42:43]
.LBB274_47:                             ;   in Loop: Header=BB274_11 Depth=1
	s_or_b64 exec, exec, s[22:23]
	global_load_ubyte v28, v[10:11], off offset:384
	s_waitcnt vmcnt(0)
	v_cmp_ne_u16_e64 s[4:5], 0, v28
	s_and_saveexec_b64 s[22:23], s[4:5]
	s_cbranch_execz .LBB274_53
; %bb.48:                               ;   in Loop: Header=BB274_11 Depth=1
	v_cmp_ne_u16_e64 s[4:5], s50, v28
	v_bfrev_b32_e32 v26, 1
	s_and_saveexec_b64 s[42:43], s[4:5]
	s_cbranch_execz .LBB274_52
; %bb.49:                               ;   in Loop: Header=BB274_11 Depth=1
	v_and_b32_e32 v12, 0xffff, v28
	v_and_b32_e32 v29, 0x7f, v12
	v_cmp_ne_u32_e64 s[4:5], s51, v29
	v_mov_b32_e32 v26, 0x7f800001
	s_and_saveexec_b64 s[44:45], s[4:5]
	s_cbranch_execz .LBB274_51
; %bb.50:                               ;   in Loop: Header=BB274_11 Depth=1
	v_and_b32_e32 v26, 7, v12
	v_ffbh_u32_e32 v30, v26
	v_min_u32_e32 v33, 32, v30
	v_subrev_u32_e32 v30, 28, v33
	v_lshlrev_b64 v[30:31], v30, v[12:13]
	v_lshrrev_b32_e32 v32, 3, v29
	v_sub_u32_e32 v12, 29, v33
	v_and_b32_e32 v30, 7, v30
	v_cmp_gt_u32_e64 s[4:5], 8, v29
	v_cndmask_b32_e64 v12, v32, v12, s[4:5]
	v_cndmask_b32_e64 v26, v26, v30, s[4:5]
	v_lshlrev_b32_e32 v28, 24, v28
	v_lshlrev_b32_e32 v26, 20, v26
	v_and_b32_e32 v28, 0x80000000, v28
	v_lshl_add_u32 v12, v12, 23, v18
	v_or3_b32 v26, v28, v12, v26
.LBB274_51:                             ;   in Loop: Header=BB274_11 Depth=1
	s_or_b64 exec, exec, s[44:45]
.LBB274_52:                             ;   in Loop: Header=BB274_11 Depth=1
	s_or_b64 exec, exec, s[42:43]
.LBB274_53:                             ;   in Loop: Header=BB274_11 Depth=1
	s_or_b64 exec, exec, s[22:23]
	global_load_ubyte v30, v[10:11], off offset:392
	v_mov_b32_e32 v28, 0
	v_mov_b32_e32 v29, 0
	s_waitcnt vmcnt(0)
	v_cmp_ne_u16_e64 s[4:5], 0, v30
	s_and_saveexec_b64 s[22:23], s[4:5]
	s_cbranch_execz .LBB274_59
; %bb.54:                               ;   in Loop: Header=BB274_11 Depth=1
	v_cmp_ne_u16_e64 s[4:5], s50, v30
	v_bfrev_b32_e32 v29, 1
	s_and_saveexec_b64 s[42:43], s[4:5]
	s_cbranch_execz .LBB274_58
; %bb.55:                               ;   in Loop: Header=BB274_11 Depth=1
	v_and_b32_e32 v12, 0xffff, v30
	v_and_b32_e32 v31, 0x7f, v12
	v_cmp_ne_u32_e64 s[4:5], s51, v31
	v_mov_b32_e32 v29, 0x7f800001
	s_and_saveexec_b64 s[44:45], s[4:5]
	s_cbranch_execz .LBB274_57
; %bb.56:                               ;   in Loop: Header=BB274_11 Depth=1
	v_and_b32_e32 v29, 7, v12
	v_ffbh_u32_e32 v32, v29
	v_min_u32_e32 v35, 32, v32
	v_subrev_u32_e32 v32, 28, v35
	v_lshlrev_b64 v[32:33], v32, v[12:13]
	v_lshrrev_b32_e32 v34, 3, v31
	v_sub_u32_e32 v12, 29, v35
	v_and_b32_e32 v32, 7, v32
	v_cmp_gt_u32_e64 s[4:5], 8, v31
	v_cndmask_b32_e64 v12, v34, v12, s[4:5]
	v_cndmask_b32_e64 v29, v29, v32, s[4:5]
	v_lshlrev_b32_e32 v30, 24, v30
	v_lshlrev_b32_e32 v29, 20, v29
	v_and_b32_e32 v30, 0x80000000, v30
	v_lshl_add_u32 v12, v12, 23, v18
	v_or3_b32 v29, v30, v12, v29
.LBB274_57:                             ;   in Loop: Header=BB274_11 Depth=1
	s_or_b64 exec, exec, s[44:45]
.LBB274_58:                             ;   in Loop: Header=BB274_11 Depth=1
	s_or_b64 exec, exec, s[42:43]
.LBB274_59:                             ;   in Loop: Header=BB274_11 Depth=1
	s_or_b64 exec, exec, s[22:23]
	global_load_ubyte v30, v[10:11], off offset:512
	s_waitcnt vmcnt(0)
	v_cmp_ne_u16_e64 s[4:5], 0, v30
	s_and_saveexec_b64 s[22:23], s[4:5]
	s_cbranch_execz .LBB274_65
; %bb.60:                               ;   in Loop: Header=BB274_11 Depth=1
	v_cmp_ne_u16_e64 s[4:5], s50, v30
	v_bfrev_b32_e32 v28, 1
	s_and_saveexec_b64 s[42:43], s[4:5]
	s_cbranch_execz .LBB274_64
; %bb.61:                               ;   in Loop: Header=BB274_11 Depth=1
	v_and_b32_e32 v12, 0xffff, v30
	v_and_b32_e32 v31, 0x7f, v12
	v_cmp_ne_u32_e64 s[4:5], s51, v31
	v_mov_b32_e32 v28, 0x7f800001
	s_and_saveexec_b64 s[44:45], s[4:5]
	s_cbranch_execz .LBB274_63
; %bb.62:                               ;   in Loop: Header=BB274_11 Depth=1
	v_and_b32_e32 v28, 7, v12
	v_ffbh_u32_e32 v32, v28
	v_min_u32_e32 v35, 32, v32
	v_subrev_u32_e32 v32, 28, v35
	v_lshlrev_b64 v[32:33], v32, v[12:13]
	v_lshrrev_b32_e32 v34, 3, v31
	v_sub_u32_e32 v12, 29, v35
	v_and_b32_e32 v32, 7, v32
	v_cmp_gt_u32_e64 s[4:5], 8, v31
	v_cndmask_b32_e64 v12, v34, v12, s[4:5]
	v_cndmask_b32_e64 v28, v28, v32, s[4:5]
	v_lshlrev_b32_e32 v30, 24, v30
	v_lshlrev_b32_e32 v28, 20, v28
	v_and_b32_e32 v30, 0x80000000, v30
	v_lshl_add_u32 v12, v12, 23, v18
	v_or3_b32 v28, v30, v12, v28
.LBB274_63:                             ;   in Loop: Header=BB274_11 Depth=1
	s_or_b64 exec, exec, s[44:45]
.LBB274_64:                             ;   in Loop: Header=BB274_11 Depth=1
	s_or_b64 exec, exec, s[42:43]
.LBB274_65:                             ;   in Loop: Header=BB274_11 Depth=1
	s_or_b64 exec, exec, s[22:23]
	global_load_ubyte v32, v[10:11], off offset:520
	v_mov_b32_e32 v30, 0
	v_mov_b32_e32 v31, 0
	s_waitcnt vmcnt(0)
	v_cmp_ne_u16_e64 s[4:5], 0, v32
	s_and_saveexec_b64 s[22:23], s[4:5]
	s_cbranch_execz .LBB274_71
; %bb.66:                               ;   in Loop: Header=BB274_11 Depth=1
	v_cmp_ne_u16_e64 s[4:5], s50, v32
	v_bfrev_b32_e32 v31, 1
	s_and_saveexec_b64 s[42:43], s[4:5]
	s_cbranch_execz .LBB274_70
; %bb.67:                               ;   in Loop: Header=BB274_11 Depth=1
	v_and_b32_e32 v12, 0xffff, v32
	v_and_b32_e32 v33, 0x7f, v12
	v_cmp_ne_u32_e64 s[4:5], s51, v33
	v_mov_b32_e32 v31, 0x7f800001
	s_and_saveexec_b64 s[44:45], s[4:5]
	s_cbranch_execz .LBB274_69
; %bb.68:                               ;   in Loop: Header=BB274_11 Depth=1
	v_and_b32_e32 v31, 7, v12
	v_ffbh_u32_e32 v34, v31
	v_min_u32_e32 v37, 32, v34
	v_subrev_u32_e32 v34, 28, v37
	v_lshlrev_b64 v[34:35], v34, v[12:13]
	v_lshrrev_b32_e32 v36, 3, v33
	v_sub_u32_e32 v12, 29, v37
	v_and_b32_e32 v34, 7, v34
	v_cmp_gt_u32_e64 s[4:5], 8, v33
	v_cndmask_b32_e64 v12, v36, v12, s[4:5]
	v_cndmask_b32_e64 v31, v31, v34, s[4:5]
	v_lshlrev_b32_e32 v32, 24, v32
	v_lshlrev_b32_e32 v31, 20, v31
	v_and_b32_e32 v32, 0x80000000, v32
	v_lshl_add_u32 v12, v12, 23, v18
	v_or3_b32 v31, v32, v12, v31
.LBB274_69:                             ;   in Loop: Header=BB274_11 Depth=1
	s_or_b64 exec, exec, s[44:45]
.LBB274_70:                             ;   in Loop: Header=BB274_11 Depth=1
	s_or_b64 exec, exec, s[42:43]
.LBB274_71:                             ;   in Loop: Header=BB274_11 Depth=1
	s_or_b64 exec, exec, s[22:23]
	global_load_ubyte v32, v[10:11], off offset:640
	s_waitcnt vmcnt(0)
	v_cmp_ne_u16_e64 s[4:5], 0, v32
	s_and_saveexec_b64 s[22:23], s[4:5]
	s_cbranch_execz .LBB274_77
; %bb.72:                               ;   in Loop: Header=BB274_11 Depth=1
	v_cmp_ne_u16_e64 s[4:5], s50, v32
	v_bfrev_b32_e32 v30, 1
	s_and_saveexec_b64 s[42:43], s[4:5]
	s_cbranch_execz .LBB274_76
; %bb.73:                               ;   in Loop: Header=BB274_11 Depth=1
	v_and_b32_e32 v12, 0xffff, v32
	v_and_b32_e32 v33, 0x7f, v12
	v_cmp_ne_u32_e64 s[4:5], s51, v33
	v_mov_b32_e32 v30, 0x7f800001
	s_and_saveexec_b64 s[44:45], s[4:5]
	s_cbranch_execz .LBB274_75
; %bb.74:                               ;   in Loop: Header=BB274_11 Depth=1
	v_and_b32_e32 v30, 7, v12
	v_ffbh_u32_e32 v34, v30
	v_min_u32_e32 v37, 32, v34
	v_subrev_u32_e32 v34, 28, v37
	v_lshlrev_b64 v[34:35], v34, v[12:13]
	v_lshrrev_b32_e32 v36, 3, v33
	v_sub_u32_e32 v12, 29, v37
	v_and_b32_e32 v34, 7, v34
	v_cmp_gt_u32_e64 s[4:5], 8, v33
	v_cndmask_b32_e64 v12, v36, v12, s[4:5]
	v_cndmask_b32_e64 v30, v30, v34, s[4:5]
	v_lshlrev_b32_e32 v32, 24, v32
	v_lshlrev_b32_e32 v30, 20, v30
	v_and_b32_e32 v32, 0x80000000, v32
	v_lshl_add_u32 v12, v12, 23, v18
	v_or3_b32 v30, v32, v12, v30
.LBB274_75:                             ;   in Loop: Header=BB274_11 Depth=1
	s_or_b64 exec, exec, s[44:45]
.LBB274_76:                             ;   in Loop: Header=BB274_11 Depth=1
	s_or_b64 exec, exec, s[42:43]
.LBB274_77:                             ;   in Loop: Header=BB274_11 Depth=1
	s_or_b64 exec, exec, s[22:23]
	global_load_ubyte v34, v[10:11], off offset:648
	v_mov_b32_e32 v32, 0
	v_mov_b32_e32 v33, 0
	s_waitcnt vmcnt(0)
	v_cmp_ne_u16_e64 s[4:5], 0, v34
	s_and_saveexec_b64 s[22:23], s[4:5]
	s_cbranch_execz .LBB274_83
; %bb.78:                               ;   in Loop: Header=BB274_11 Depth=1
	v_cmp_ne_u16_e64 s[4:5], s50, v34
	v_bfrev_b32_e32 v33, 1
	s_and_saveexec_b64 s[42:43], s[4:5]
	s_cbranch_execz .LBB274_82
; %bb.79:                               ;   in Loop: Header=BB274_11 Depth=1
	v_and_b32_e32 v12, 0xffff, v34
	v_and_b32_e32 v35, 0x7f, v12
	v_cmp_ne_u32_e64 s[4:5], s51, v35
	v_mov_b32_e32 v33, 0x7f800001
	s_and_saveexec_b64 s[44:45], s[4:5]
	s_cbranch_execz .LBB274_81
; %bb.80:                               ;   in Loop: Header=BB274_11 Depth=1
	v_and_b32_e32 v33, 7, v12
	v_ffbh_u32_e32 v36, v33
	v_min_u32_e32 v39, 32, v36
	v_subrev_u32_e32 v36, 28, v39
	v_lshlrev_b64 v[36:37], v36, v[12:13]
	v_lshrrev_b32_e32 v38, 3, v35
	v_sub_u32_e32 v12, 29, v39
	v_and_b32_e32 v36, 7, v36
	v_cmp_gt_u32_e64 s[4:5], 8, v35
	v_cndmask_b32_e64 v12, v38, v12, s[4:5]
	v_cndmask_b32_e64 v33, v33, v36, s[4:5]
	v_lshlrev_b32_e32 v34, 24, v34
	v_lshlrev_b32_e32 v33, 20, v33
	v_and_b32_e32 v34, 0x80000000, v34
	v_lshl_add_u32 v12, v12, 23, v18
	v_or3_b32 v33, v34, v12, v33
.LBB274_81:                             ;   in Loop: Header=BB274_11 Depth=1
	s_or_b64 exec, exec, s[44:45]
.LBB274_82:                             ;   in Loop: Header=BB274_11 Depth=1
	s_or_b64 exec, exec, s[42:43]
.LBB274_83:                             ;   in Loop: Header=BB274_11 Depth=1
	s_or_b64 exec, exec, s[22:23]
	global_load_ubyte v34, v[10:11], off offset:768
	s_waitcnt vmcnt(0)
	v_cmp_ne_u16_e64 s[4:5], 0, v34
	s_and_saveexec_b64 s[22:23], s[4:5]
	s_cbranch_execz .LBB274_89
; %bb.84:                               ;   in Loop: Header=BB274_11 Depth=1
	v_cmp_ne_u16_e64 s[4:5], s50, v34
	v_bfrev_b32_e32 v32, 1
	s_and_saveexec_b64 s[42:43], s[4:5]
	s_cbranch_execz .LBB274_88
; %bb.85:                               ;   in Loop: Header=BB274_11 Depth=1
	v_and_b32_e32 v12, 0xffff, v34
	v_and_b32_e32 v35, 0x7f, v12
	v_cmp_ne_u32_e64 s[4:5], s51, v35
	v_mov_b32_e32 v32, 0x7f800001
	s_and_saveexec_b64 s[44:45], s[4:5]
	s_cbranch_execz .LBB274_87
; %bb.86:                               ;   in Loop: Header=BB274_11 Depth=1
	v_and_b32_e32 v32, 7, v12
	v_ffbh_u32_e32 v36, v32
	v_min_u32_e32 v39, 32, v36
	v_subrev_u32_e32 v36, 28, v39
	v_lshlrev_b64 v[36:37], v36, v[12:13]
	v_lshrrev_b32_e32 v38, 3, v35
	v_sub_u32_e32 v12, 29, v39
	v_and_b32_e32 v36, 7, v36
	v_cmp_gt_u32_e64 s[4:5], 8, v35
	v_cndmask_b32_e64 v12, v38, v12, s[4:5]
	v_cndmask_b32_e64 v32, v32, v36, s[4:5]
	v_lshlrev_b32_e32 v34, 24, v34
	v_lshlrev_b32_e32 v32, 20, v32
	v_and_b32_e32 v34, 0x80000000, v34
	v_lshl_add_u32 v12, v12, 23, v18
	v_or3_b32 v32, v34, v12, v32
.LBB274_87:                             ;   in Loop: Header=BB274_11 Depth=1
	s_or_b64 exec, exec, s[44:45]
.LBB274_88:                             ;   in Loop: Header=BB274_11 Depth=1
	s_or_b64 exec, exec, s[42:43]
.LBB274_89:                             ;   in Loop: Header=BB274_11 Depth=1
	s_or_b64 exec, exec, s[22:23]
	global_load_ubyte v36, v[10:11], off offset:776
	v_mov_b32_e32 v34, 0
	v_mov_b32_e32 v35, 0
	s_waitcnt vmcnt(0)
	v_cmp_ne_u16_e64 s[4:5], 0, v36
	s_and_saveexec_b64 s[22:23], s[4:5]
	s_cbranch_execz .LBB274_95
; %bb.90:                               ;   in Loop: Header=BB274_11 Depth=1
	v_cmp_ne_u16_e64 s[4:5], s50, v36
	v_bfrev_b32_e32 v35, 1
	s_and_saveexec_b64 s[42:43], s[4:5]
	s_cbranch_execz .LBB274_94
; %bb.91:                               ;   in Loop: Header=BB274_11 Depth=1
	v_and_b32_e32 v12, 0xffff, v36
	v_and_b32_e32 v37, 0x7f, v12
	v_cmp_ne_u32_e64 s[4:5], s51, v37
	v_mov_b32_e32 v35, 0x7f800001
	s_and_saveexec_b64 s[44:45], s[4:5]
	s_cbranch_execz .LBB274_93
; %bb.92:                               ;   in Loop: Header=BB274_11 Depth=1
	v_and_b32_e32 v35, 7, v12
	v_ffbh_u32_e32 v38, v35
	v_min_u32_e32 v41, 32, v38
	v_subrev_u32_e32 v38, 28, v41
	v_lshlrev_b64 v[38:39], v38, v[12:13]
	v_lshrrev_b32_e32 v40, 3, v37
	v_sub_u32_e32 v12, 29, v41
	v_and_b32_e32 v38, 7, v38
	v_cmp_gt_u32_e64 s[4:5], 8, v37
	v_cndmask_b32_e64 v12, v40, v12, s[4:5]
	v_cndmask_b32_e64 v35, v35, v38, s[4:5]
	v_lshlrev_b32_e32 v36, 24, v36
	v_lshlrev_b32_e32 v35, 20, v35
	v_and_b32_e32 v36, 0x80000000, v36
	v_lshl_add_u32 v12, v12, 23, v18
	v_or3_b32 v35, v36, v12, v35
.LBB274_93:                             ;   in Loop: Header=BB274_11 Depth=1
	s_or_b64 exec, exec, s[44:45]
.LBB274_94:                             ;   in Loop: Header=BB274_11 Depth=1
	s_or_b64 exec, exec, s[42:43]
.LBB274_95:                             ;   in Loop: Header=BB274_11 Depth=1
	s_or_b64 exec, exec, s[22:23]
	global_load_ubyte v36, v[10:11], off offset:896
	s_waitcnt vmcnt(0)
	v_cmp_ne_u16_e64 s[4:5], 0, v36
	s_and_saveexec_b64 s[22:23], s[4:5]
	s_cbranch_execz .LBB274_101
; %bb.96:                               ;   in Loop: Header=BB274_11 Depth=1
	v_cmp_ne_u16_e64 s[4:5], s50, v36
	v_bfrev_b32_e32 v34, 1
	s_and_saveexec_b64 s[42:43], s[4:5]
	s_cbranch_execz .LBB274_100
; %bb.97:                               ;   in Loop: Header=BB274_11 Depth=1
	v_and_b32_e32 v12, 0xffff, v36
	v_and_b32_e32 v37, 0x7f, v12
	v_cmp_ne_u32_e64 s[4:5], s51, v37
	v_mov_b32_e32 v34, 0x7f800001
	s_and_saveexec_b64 s[44:45], s[4:5]
	s_cbranch_execz .LBB274_99
; %bb.98:                               ;   in Loop: Header=BB274_11 Depth=1
	v_and_b32_e32 v34, 7, v12
	v_ffbh_u32_e32 v38, v34
	v_min_u32_e32 v41, 32, v38
	v_subrev_u32_e32 v38, 28, v41
	v_lshlrev_b64 v[38:39], v38, v[12:13]
	v_lshrrev_b32_e32 v40, 3, v37
	v_sub_u32_e32 v12, 29, v41
	v_and_b32_e32 v38, 7, v38
	v_cmp_gt_u32_e64 s[4:5], 8, v37
	v_cndmask_b32_e64 v12, v40, v12, s[4:5]
	v_cndmask_b32_e64 v34, v34, v38, s[4:5]
	v_lshlrev_b32_e32 v36, 24, v36
	v_lshlrev_b32_e32 v34, 20, v34
	v_and_b32_e32 v36, 0x80000000, v36
	v_lshl_add_u32 v12, v12, 23, v18
	v_or3_b32 v34, v36, v12, v34
.LBB274_99:                             ;   in Loop: Header=BB274_11 Depth=1
	s_or_b64 exec, exec, s[44:45]
.LBB274_100:                            ;   in Loop: Header=BB274_11 Depth=1
	s_or_b64 exec, exec, s[42:43]
.LBB274_101:                            ;   in Loop: Header=BB274_11 Depth=1
	s_or_b64 exec, exec, s[22:23]
	global_load_ubyte v38, v[10:11], off offset:904
	v_mov_b32_e32 v36, 0
	v_mov_b32_e32 v37, 0
	s_waitcnt vmcnt(0)
	v_cmp_ne_u16_e64 s[4:5], 0, v38
	s_and_saveexec_b64 s[22:23], s[4:5]
	s_cbranch_execz .LBB274_107
; %bb.102:                              ;   in Loop: Header=BB274_11 Depth=1
	v_cmp_ne_u16_e64 s[4:5], s50, v38
	v_bfrev_b32_e32 v37, 1
	s_and_saveexec_b64 s[42:43], s[4:5]
	s_cbranch_execz .LBB274_106
; %bb.103:                              ;   in Loop: Header=BB274_11 Depth=1
	v_and_b32_e32 v12, 0xffff, v38
	v_and_b32_e32 v39, 0x7f, v12
	v_cmp_ne_u32_e64 s[4:5], s51, v39
	v_mov_b32_e32 v37, 0x7f800001
	s_and_saveexec_b64 s[44:45], s[4:5]
	s_cbranch_execz .LBB274_105
; %bb.104:                              ;   in Loop: Header=BB274_11 Depth=1
	v_and_b32_e32 v37, 7, v12
	v_ffbh_u32_e32 v40, v37
	v_min_u32_e32 v43, 32, v40
	v_subrev_u32_e32 v40, 28, v43
	v_lshlrev_b64 v[40:41], v40, v[12:13]
	v_lshrrev_b32_e32 v42, 3, v39
	v_sub_u32_e32 v12, 29, v43
	v_and_b32_e32 v40, 7, v40
	v_cmp_gt_u32_e64 s[4:5], 8, v39
	v_cndmask_b32_e64 v12, v42, v12, s[4:5]
	v_cndmask_b32_e64 v37, v37, v40, s[4:5]
	v_lshlrev_b32_e32 v38, 24, v38
	v_lshlrev_b32_e32 v37, 20, v37
	v_and_b32_e32 v38, 0x80000000, v38
	v_lshl_add_u32 v12, v12, 23, v18
	v_or3_b32 v37, v38, v12, v37
.LBB274_105:                            ;   in Loop: Header=BB274_11 Depth=1
	s_or_b64 exec, exec, s[44:45]
.LBB274_106:                            ;   in Loop: Header=BB274_11 Depth=1
	s_or_b64 exec, exec, s[42:43]
.LBB274_107:                            ;   in Loop: Header=BB274_11 Depth=1
	s_or_b64 exec, exec, s[22:23]
	global_load_ubyte v38, v[10:11], off offset:1024
	s_waitcnt vmcnt(0)
	v_cmp_ne_u16_e64 s[4:5], 0, v38
	s_and_saveexec_b64 s[22:23], s[4:5]
	s_cbranch_execz .LBB274_113
; %bb.108:                              ;   in Loop: Header=BB274_11 Depth=1
	v_cmp_ne_u16_e64 s[4:5], s50, v38
	v_bfrev_b32_e32 v36, 1
	s_and_saveexec_b64 s[42:43], s[4:5]
	s_cbranch_execz .LBB274_112
; %bb.109:                              ;   in Loop: Header=BB274_11 Depth=1
	v_and_b32_e32 v12, 0xffff, v38
	v_and_b32_e32 v39, 0x7f, v12
	v_cmp_ne_u32_e64 s[4:5], s51, v39
	v_mov_b32_e32 v36, 0x7f800001
	s_and_saveexec_b64 s[44:45], s[4:5]
	s_cbranch_execz .LBB274_111
; %bb.110:                              ;   in Loop: Header=BB274_11 Depth=1
	v_and_b32_e32 v36, 7, v12
	v_ffbh_u32_e32 v40, v36
	v_min_u32_e32 v43, 32, v40
	v_subrev_u32_e32 v40, 28, v43
	v_lshlrev_b64 v[40:41], v40, v[12:13]
	v_lshrrev_b32_e32 v42, 3, v39
	v_sub_u32_e32 v12, 29, v43
	v_and_b32_e32 v40, 7, v40
	v_cmp_gt_u32_e64 s[4:5], 8, v39
	v_cndmask_b32_e64 v12, v42, v12, s[4:5]
	v_cndmask_b32_e64 v36, v36, v40, s[4:5]
	v_lshlrev_b32_e32 v38, 24, v38
	v_lshlrev_b32_e32 v36, 20, v36
	v_and_b32_e32 v38, 0x80000000, v38
	v_lshl_add_u32 v12, v12, 23, v18
	v_or3_b32 v36, v38, v12, v36
.LBB274_111:                            ;   in Loop: Header=BB274_11 Depth=1
	s_or_b64 exec, exec, s[44:45]
.LBB274_112:                            ;   in Loop: Header=BB274_11 Depth=1
	s_or_b64 exec, exec, s[42:43]
.LBB274_113:                            ;   in Loop: Header=BB274_11 Depth=1
	s_or_b64 exec, exec, s[22:23]
	global_load_ubyte v40, v[10:11], off offset:1032
	v_mov_b32_e32 v38, 0
	v_mov_b32_e32 v39, 0
	s_waitcnt vmcnt(0)
	v_cmp_ne_u16_e64 s[4:5], 0, v40
	s_and_saveexec_b64 s[22:23], s[4:5]
	s_cbranch_execz .LBB274_119
; %bb.114:                              ;   in Loop: Header=BB274_11 Depth=1
	v_cmp_ne_u16_e64 s[4:5], s50, v40
	v_bfrev_b32_e32 v39, 1
	s_and_saveexec_b64 s[42:43], s[4:5]
	s_cbranch_execz .LBB274_118
; %bb.115:                              ;   in Loop: Header=BB274_11 Depth=1
	v_and_b32_e32 v12, 0xffff, v40
	v_and_b32_e32 v41, 0x7f, v12
	v_cmp_ne_u32_e64 s[4:5], s51, v41
	v_mov_b32_e32 v39, 0x7f800001
	s_and_saveexec_b64 s[44:45], s[4:5]
	s_cbranch_execz .LBB274_117
; %bb.116:                              ;   in Loop: Header=BB274_11 Depth=1
	v_and_b32_e32 v39, 7, v12
	v_ffbh_u32_e32 v42, v39
	v_min_u32_e32 v45, 32, v42
	v_subrev_u32_e32 v42, 28, v45
	v_lshlrev_b64 v[42:43], v42, v[12:13]
	v_lshrrev_b32_e32 v44, 3, v41
	v_sub_u32_e32 v12, 29, v45
	v_and_b32_e32 v42, 7, v42
	v_cmp_gt_u32_e64 s[4:5], 8, v41
	v_cndmask_b32_e64 v12, v44, v12, s[4:5]
	v_cndmask_b32_e64 v39, v39, v42, s[4:5]
	v_lshlrev_b32_e32 v40, 24, v40
	v_lshlrev_b32_e32 v39, 20, v39
	v_and_b32_e32 v40, 0x80000000, v40
	v_lshl_add_u32 v12, v12, 23, v18
	v_or3_b32 v39, v40, v12, v39
.LBB274_117:                            ;   in Loop: Header=BB274_11 Depth=1
	s_or_b64 exec, exec, s[44:45]
.LBB274_118:                            ;   in Loop: Header=BB274_11 Depth=1
	s_or_b64 exec, exec, s[42:43]
.LBB274_119:                            ;   in Loop: Header=BB274_11 Depth=1
	s_or_b64 exec, exec, s[22:23]
	global_load_ubyte v40, v[10:11], off offset:1152
	s_waitcnt vmcnt(0)
	v_cmp_ne_u16_e64 s[4:5], 0, v40
	s_and_saveexec_b64 s[22:23], s[4:5]
	s_cbranch_execz .LBB274_125
; %bb.120:                              ;   in Loop: Header=BB274_11 Depth=1
	v_cmp_ne_u16_e64 s[4:5], s50, v40
	v_bfrev_b32_e32 v38, 1
	s_and_saveexec_b64 s[42:43], s[4:5]
	s_cbranch_execz .LBB274_124
; %bb.121:                              ;   in Loop: Header=BB274_11 Depth=1
	v_and_b32_e32 v12, 0xffff, v40
	v_and_b32_e32 v41, 0x7f, v12
	v_cmp_ne_u32_e64 s[4:5], s51, v41
	v_mov_b32_e32 v38, 0x7f800001
	s_and_saveexec_b64 s[44:45], s[4:5]
	s_cbranch_execz .LBB274_123
; %bb.122:                              ;   in Loop: Header=BB274_11 Depth=1
	v_and_b32_e32 v38, 7, v12
	v_ffbh_u32_e32 v42, v38
	v_min_u32_e32 v45, 32, v42
	v_subrev_u32_e32 v42, 28, v45
	v_lshlrev_b64 v[42:43], v42, v[12:13]
	v_lshrrev_b32_e32 v44, 3, v41
	v_sub_u32_e32 v12, 29, v45
	v_and_b32_e32 v42, 7, v42
	v_cmp_gt_u32_e64 s[4:5], 8, v41
	v_cndmask_b32_e64 v12, v44, v12, s[4:5]
	v_cndmask_b32_e64 v38, v38, v42, s[4:5]
	v_lshlrev_b32_e32 v40, 24, v40
	v_lshlrev_b32_e32 v38, 20, v38
	v_and_b32_e32 v40, 0x80000000, v40
	v_lshl_add_u32 v12, v12, 23, v18
	v_or3_b32 v38, v40, v12, v38
.LBB274_123:                            ;   in Loop: Header=BB274_11 Depth=1
	s_or_b64 exec, exec, s[44:45]
.LBB274_124:                            ;   in Loop: Header=BB274_11 Depth=1
	s_or_b64 exec, exec, s[42:43]
.LBB274_125:                            ;   in Loop: Header=BB274_11 Depth=1
	s_or_b64 exec, exec, s[22:23]
	global_load_ubyte v42, v[10:11], off offset:1160
	v_mov_b32_e32 v40, 0
	v_mov_b32_e32 v41, 0
	s_waitcnt vmcnt(0)
	v_cmp_ne_u16_e64 s[4:5], 0, v42
	s_and_saveexec_b64 s[22:23], s[4:5]
	s_cbranch_execz .LBB274_131
; %bb.126:                              ;   in Loop: Header=BB274_11 Depth=1
	v_cmp_ne_u16_e64 s[4:5], s50, v42
	v_bfrev_b32_e32 v41, 1
	s_and_saveexec_b64 s[42:43], s[4:5]
	s_cbranch_execz .LBB274_130
; %bb.127:                              ;   in Loop: Header=BB274_11 Depth=1
	v_and_b32_e32 v12, 0xffff, v42
	v_and_b32_e32 v43, 0x7f, v12
	v_cmp_ne_u32_e64 s[4:5], s51, v43
	v_mov_b32_e32 v41, 0x7f800001
	s_and_saveexec_b64 s[44:45], s[4:5]
	s_cbranch_execz .LBB274_129
; %bb.128:                              ;   in Loop: Header=BB274_11 Depth=1
	v_and_b32_e32 v41, 7, v12
	v_ffbh_u32_e32 v44, v41
	v_min_u32_e32 v47, 32, v44
	v_subrev_u32_e32 v44, 28, v47
	v_lshlrev_b64 v[44:45], v44, v[12:13]
	v_lshrrev_b32_e32 v46, 3, v43
	v_sub_u32_e32 v12, 29, v47
	v_and_b32_e32 v44, 7, v44
	v_cmp_gt_u32_e64 s[4:5], 8, v43
	v_cndmask_b32_e64 v12, v46, v12, s[4:5]
	v_cndmask_b32_e64 v41, v41, v44, s[4:5]
	v_lshlrev_b32_e32 v42, 24, v42
	v_lshlrev_b32_e32 v41, 20, v41
	v_and_b32_e32 v42, 0x80000000, v42
	v_lshl_add_u32 v12, v12, 23, v18
	v_or3_b32 v41, v42, v12, v41
.LBB274_129:                            ;   in Loop: Header=BB274_11 Depth=1
	s_or_b64 exec, exec, s[44:45]
.LBB274_130:                            ;   in Loop: Header=BB274_11 Depth=1
	s_or_b64 exec, exec, s[42:43]
.LBB274_131:                            ;   in Loop: Header=BB274_11 Depth=1
	s_or_b64 exec, exec, s[22:23]
	global_load_ubyte v42, v[10:11], off offset:1280
	s_waitcnt vmcnt(0)
	v_cmp_ne_u16_e64 s[4:5], 0, v42
	s_and_saveexec_b64 s[22:23], s[4:5]
	s_cbranch_execz .LBB274_137
; %bb.132:                              ;   in Loop: Header=BB274_11 Depth=1
	v_cmp_ne_u16_e64 s[4:5], s50, v42
	v_bfrev_b32_e32 v40, 1
	s_and_saveexec_b64 s[42:43], s[4:5]
	s_cbranch_execz .LBB274_136
; %bb.133:                              ;   in Loop: Header=BB274_11 Depth=1
	v_and_b32_e32 v12, 0xffff, v42
	v_and_b32_e32 v43, 0x7f, v12
	v_cmp_ne_u32_e64 s[4:5], s51, v43
	v_mov_b32_e32 v40, 0x7f800001
	s_and_saveexec_b64 s[44:45], s[4:5]
	s_cbranch_execz .LBB274_135
; %bb.134:                              ;   in Loop: Header=BB274_11 Depth=1
	v_and_b32_e32 v40, 7, v12
	v_ffbh_u32_e32 v44, v40
	v_min_u32_e32 v47, 32, v44
	v_subrev_u32_e32 v44, 28, v47
	v_lshlrev_b64 v[44:45], v44, v[12:13]
	v_lshrrev_b32_e32 v46, 3, v43
	v_sub_u32_e32 v12, 29, v47
	v_and_b32_e32 v44, 7, v44
	v_cmp_gt_u32_e64 s[4:5], 8, v43
	v_cndmask_b32_e64 v12, v46, v12, s[4:5]
	v_cndmask_b32_e64 v40, v40, v44, s[4:5]
	v_lshlrev_b32_e32 v42, 24, v42
	v_lshlrev_b32_e32 v40, 20, v40
	v_and_b32_e32 v42, 0x80000000, v42
	v_lshl_add_u32 v12, v12, 23, v18
	v_or3_b32 v40, v42, v12, v40
.LBB274_135:                            ;   in Loop: Header=BB274_11 Depth=1
	s_or_b64 exec, exec, s[44:45]
.LBB274_136:                            ;   in Loop: Header=BB274_11 Depth=1
	s_or_b64 exec, exec, s[42:43]
.LBB274_137:                            ;   in Loop: Header=BB274_11 Depth=1
	s_or_b64 exec, exec, s[22:23]
	global_load_ubyte v44, v[10:11], off offset:1288
	v_mov_b32_e32 v42, 0
	v_mov_b32_e32 v43, 0
	s_waitcnt vmcnt(0)
	v_cmp_ne_u16_e64 s[4:5], 0, v44
	s_and_saveexec_b64 s[22:23], s[4:5]
	s_cbranch_execz .LBB274_143
; %bb.138:                              ;   in Loop: Header=BB274_11 Depth=1
	v_cmp_ne_u16_e64 s[4:5], s50, v44
	v_bfrev_b32_e32 v43, 1
	s_and_saveexec_b64 s[42:43], s[4:5]
	s_cbranch_execz .LBB274_142
; %bb.139:                              ;   in Loop: Header=BB274_11 Depth=1
	v_and_b32_e32 v12, 0xffff, v44
	v_and_b32_e32 v45, 0x7f, v12
	v_cmp_ne_u32_e64 s[4:5], s51, v45
	v_mov_b32_e32 v43, 0x7f800001
	s_and_saveexec_b64 s[44:45], s[4:5]
	s_cbranch_execz .LBB274_141
; %bb.140:                              ;   in Loop: Header=BB274_11 Depth=1
	v_and_b32_e32 v43, 7, v12
	v_ffbh_u32_e32 v46, v43
	v_min_u32_e32 v49, 32, v46
	v_subrev_u32_e32 v46, 28, v49
	v_lshlrev_b64 v[46:47], v46, v[12:13]
	v_lshrrev_b32_e32 v48, 3, v45
	v_sub_u32_e32 v12, 29, v49
	v_and_b32_e32 v46, 7, v46
	v_cmp_gt_u32_e64 s[4:5], 8, v45
	v_cndmask_b32_e64 v12, v48, v12, s[4:5]
	v_cndmask_b32_e64 v43, v43, v46, s[4:5]
	v_lshlrev_b32_e32 v44, 24, v44
	v_lshlrev_b32_e32 v43, 20, v43
	v_and_b32_e32 v44, 0x80000000, v44
	v_lshl_add_u32 v12, v12, 23, v18
	v_or3_b32 v43, v44, v12, v43
.LBB274_141:                            ;   in Loop: Header=BB274_11 Depth=1
	s_or_b64 exec, exec, s[44:45]
.LBB274_142:                            ;   in Loop: Header=BB274_11 Depth=1
	s_or_b64 exec, exec, s[42:43]
.LBB274_143:                            ;   in Loop: Header=BB274_11 Depth=1
	s_or_b64 exec, exec, s[22:23]
	global_load_ubyte v44, v[10:11], off offset:1408
	s_waitcnt vmcnt(0)
	v_cmp_ne_u16_e64 s[4:5], 0, v44
	s_and_saveexec_b64 s[22:23], s[4:5]
	s_cbranch_execz .LBB274_149
; %bb.144:                              ;   in Loop: Header=BB274_11 Depth=1
	v_cmp_ne_u16_e64 s[4:5], s50, v44
	v_bfrev_b32_e32 v42, 1
	s_and_saveexec_b64 s[42:43], s[4:5]
	s_cbranch_execz .LBB274_148
; %bb.145:                              ;   in Loop: Header=BB274_11 Depth=1
	v_and_b32_e32 v12, 0xffff, v44
	v_and_b32_e32 v45, 0x7f, v12
	v_cmp_ne_u32_e64 s[4:5], s51, v45
	v_mov_b32_e32 v42, 0x7f800001
	s_and_saveexec_b64 s[44:45], s[4:5]
	s_cbranch_execz .LBB274_147
; %bb.146:                              ;   in Loop: Header=BB274_11 Depth=1
	v_and_b32_e32 v42, 7, v12
	v_ffbh_u32_e32 v46, v42
	v_min_u32_e32 v49, 32, v46
	v_subrev_u32_e32 v46, 28, v49
	v_lshlrev_b64 v[46:47], v46, v[12:13]
	v_lshrrev_b32_e32 v48, 3, v45
	v_sub_u32_e32 v12, 29, v49
	v_and_b32_e32 v46, 7, v46
	v_cmp_gt_u32_e64 s[4:5], 8, v45
	v_cndmask_b32_e64 v12, v48, v12, s[4:5]
	v_cndmask_b32_e64 v42, v42, v46, s[4:5]
	v_lshlrev_b32_e32 v44, 24, v44
	v_lshlrev_b32_e32 v42, 20, v42
	v_and_b32_e32 v44, 0x80000000, v44
	v_lshl_add_u32 v12, v12, 23, v18
	v_or3_b32 v42, v44, v12, v42
.LBB274_147:                            ;   in Loop: Header=BB274_11 Depth=1
	s_or_b64 exec, exec, s[44:45]
.LBB274_148:                            ;   in Loop: Header=BB274_11 Depth=1
	s_or_b64 exec, exec, s[42:43]
.LBB274_149:                            ;   in Loop: Header=BB274_11 Depth=1
	s_or_b64 exec, exec, s[22:23]
	global_load_ubyte v46, v[10:11], off offset:1416
	v_mov_b32_e32 v44, 0
	v_mov_b32_e32 v45, 0
	s_waitcnt vmcnt(0)
	v_cmp_ne_u16_e64 s[4:5], 0, v46
	s_and_saveexec_b64 s[22:23], s[4:5]
	s_cbranch_execz .LBB274_155
; %bb.150:                              ;   in Loop: Header=BB274_11 Depth=1
	v_cmp_ne_u16_e64 s[4:5], s50, v46
	v_bfrev_b32_e32 v45, 1
	s_and_saveexec_b64 s[42:43], s[4:5]
	s_cbranch_execz .LBB274_154
; %bb.151:                              ;   in Loop: Header=BB274_11 Depth=1
	v_and_b32_e32 v12, 0xffff, v46
	v_and_b32_e32 v47, 0x7f, v12
	v_cmp_ne_u32_e64 s[4:5], s51, v47
	v_mov_b32_e32 v45, 0x7f800001
	s_and_saveexec_b64 s[44:45], s[4:5]
	s_cbranch_execz .LBB274_153
; %bb.152:                              ;   in Loop: Header=BB274_11 Depth=1
	v_and_b32_e32 v45, 7, v12
	v_ffbh_u32_e32 v48, v45
	v_min_u32_e32 v51, 32, v48
	v_subrev_u32_e32 v48, 28, v51
	v_lshlrev_b64 v[48:49], v48, v[12:13]
	v_lshrrev_b32_e32 v50, 3, v47
	v_sub_u32_e32 v12, 29, v51
	v_and_b32_e32 v48, 7, v48
	v_cmp_gt_u32_e64 s[4:5], 8, v47
	v_cndmask_b32_e64 v12, v50, v12, s[4:5]
	v_cndmask_b32_e64 v45, v45, v48, s[4:5]
	v_lshlrev_b32_e32 v46, 24, v46
	v_lshlrev_b32_e32 v45, 20, v45
	v_and_b32_e32 v46, 0x80000000, v46
	v_lshl_add_u32 v12, v12, 23, v18
	v_or3_b32 v45, v46, v12, v45
.LBB274_153:                            ;   in Loop: Header=BB274_11 Depth=1
	s_or_b64 exec, exec, s[44:45]
.LBB274_154:                            ;   in Loop: Header=BB274_11 Depth=1
	s_or_b64 exec, exec, s[42:43]
.LBB274_155:                            ;   in Loop: Header=BB274_11 Depth=1
	s_or_b64 exec, exec, s[22:23]
	global_load_ubyte v46, v[10:11], off offset:1536
	s_waitcnt vmcnt(0)
	v_cmp_ne_u16_e64 s[4:5], 0, v46
	s_and_saveexec_b64 s[22:23], s[4:5]
	s_cbranch_execz .LBB274_161
; %bb.156:                              ;   in Loop: Header=BB274_11 Depth=1
	v_cmp_ne_u16_e64 s[4:5], s50, v46
	v_bfrev_b32_e32 v44, 1
	s_and_saveexec_b64 s[42:43], s[4:5]
	s_cbranch_execz .LBB274_160
; %bb.157:                              ;   in Loop: Header=BB274_11 Depth=1
	v_and_b32_e32 v12, 0xffff, v46
	v_and_b32_e32 v47, 0x7f, v12
	v_cmp_ne_u32_e64 s[4:5], s51, v47
	v_mov_b32_e32 v44, 0x7f800001
	s_and_saveexec_b64 s[44:45], s[4:5]
	s_cbranch_execz .LBB274_159
; %bb.158:                              ;   in Loop: Header=BB274_11 Depth=1
	v_and_b32_e32 v44, 7, v12
	v_ffbh_u32_e32 v48, v44
	v_min_u32_e32 v51, 32, v48
	v_subrev_u32_e32 v48, 28, v51
	v_lshlrev_b64 v[48:49], v48, v[12:13]
	v_lshrrev_b32_e32 v50, 3, v47
	v_sub_u32_e32 v12, 29, v51
	v_and_b32_e32 v48, 7, v48
	v_cmp_gt_u32_e64 s[4:5], 8, v47
	v_cndmask_b32_e64 v12, v50, v12, s[4:5]
	v_cndmask_b32_e64 v44, v44, v48, s[4:5]
	v_lshlrev_b32_e32 v46, 24, v46
	v_lshlrev_b32_e32 v44, 20, v44
	v_and_b32_e32 v46, 0x80000000, v46
	v_lshl_add_u32 v12, v12, 23, v18
	v_or3_b32 v44, v46, v12, v44
.LBB274_159:                            ;   in Loop: Header=BB274_11 Depth=1
	s_or_b64 exec, exec, s[44:45]
.LBB274_160:                            ;   in Loop: Header=BB274_11 Depth=1
	s_or_b64 exec, exec, s[42:43]
.LBB274_161:                            ;   in Loop: Header=BB274_11 Depth=1
	s_or_b64 exec, exec, s[22:23]
	global_load_ubyte v48, v[10:11], off offset:1544
	v_mov_b32_e32 v46, 0
	v_mov_b32_e32 v47, 0
	s_waitcnt vmcnt(0)
	v_cmp_ne_u16_e64 s[4:5], 0, v48
	s_and_saveexec_b64 s[22:23], s[4:5]
	s_cbranch_execz .LBB274_167
; %bb.162:                              ;   in Loop: Header=BB274_11 Depth=1
	v_cmp_ne_u16_e64 s[4:5], s50, v48
	v_bfrev_b32_e32 v47, 1
	s_and_saveexec_b64 s[42:43], s[4:5]
	s_cbranch_execz .LBB274_166
; %bb.163:                              ;   in Loop: Header=BB274_11 Depth=1
	v_and_b32_e32 v12, 0xffff, v48
	v_and_b32_e32 v49, 0x7f, v12
	v_cmp_ne_u32_e64 s[4:5], s51, v49
	v_mov_b32_e32 v47, 0x7f800001
	s_and_saveexec_b64 s[44:45], s[4:5]
	s_cbranch_execz .LBB274_165
; %bb.164:                              ;   in Loop: Header=BB274_11 Depth=1
	v_and_b32_e32 v47, 7, v12
	v_ffbh_u32_e32 v50, v47
	v_min_u32_e32 v53, 32, v50
	v_subrev_u32_e32 v50, 28, v53
	v_lshlrev_b64 v[50:51], v50, v[12:13]
	v_lshrrev_b32_e32 v52, 3, v49
	v_sub_u32_e32 v12, 29, v53
	v_and_b32_e32 v50, 7, v50
	v_cmp_gt_u32_e64 s[4:5], 8, v49
	v_cndmask_b32_e64 v12, v52, v12, s[4:5]
	v_cndmask_b32_e64 v47, v47, v50, s[4:5]
	v_lshlrev_b32_e32 v48, 24, v48
	v_lshlrev_b32_e32 v47, 20, v47
	v_and_b32_e32 v48, 0x80000000, v48
	v_lshl_add_u32 v12, v12, 23, v18
	v_or3_b32 v47, v48, v12, v47
.LBB274_165:                            ;   in Loop: Header=BB274_11 Depth=1
	s_or_b64 exec, exec, s[44:45]
.LBB274_166:                            ;   in Loop: Header=BB274_11 Depth=1
	s_or_b64 exec, exec, s[42:43]
.LBB274_167:                            ;   in Loop: Header=BB274_11 Depth=1
	s_or_b64 exec, exec, s[22:23]
	global_load_ubyte v48, v[10:11], off offset:1664
	s_waitcnt vmcnt(0)
	v_cmp_ne_u16_e64 s[4:5], 0, v48
	s_and_saveexec_b64 s[22:23], s[4:5]
	s_cbranch_execz .LBB274_173
; %bb.168:                              ;   in Loop: Header=BB274_11 Depth=1
	v_cmp_ne_u16_e64 s[4:5], s50, v48
	v_bfrev_b32_e32 v46, 1
	s_and_saveexec_b64 s[42:43], s[4:5]
	s_cbranch_execz .LBB274_172
; %bb.169:                              ;   in Loop: Header=BB274_11 Depth=1
	v_and_b32_e32 v12, 0xffff, v48
	v_and_b32_e32 v49, 0x7f, v12
	v_cmp_ne_u32_e64 s[4:5], s51, v49
	v_mov_b32_e32 v46, 0x7f800001
	s_and_saveexec_b64 s[44:45], s[4:5]
	s_cbranch_execz .LBB274_171
; %bb.170:                              ;   in Loop: Header=BB274_11 Depth=1
	v_and_b32_e32 v46, 7, v12
	v_ffbh_u32_e32 v50, v46
	v_min_u32_e32 v53, 32, v50
	v_subrev_u32_e32 v50, 28, v53
	v_lshlrev_b64 v[50:51], v50, v[12:13]
	v_lshrrev_b32_e32 v52, 3, v49
	v_sub_u32_e32 v12, 29, v53
	v_and_b32_e32 v50, 7, v50
	v_cmp_gt_u32_e64 s[4:5], 8, v49
	v_cndmask_b32_e64 v12, v52, v12, s[4:5]
	v_cndmask_b32_e64 v46, v46, v50, s[4:5]
	v_lshlrev_b32_e32 v48, 24, v48
	v_lshlrev_b32_e32 v46, 20, v46
	v_and_b32_e32 v48, 0x80000000, v48
	v_lshl_add_u32 v12, v12, 23, v18
	v_or3_b32 v46, v48, v12, v46
.LBB274_171:                            ;   in Loop: Header=BB274_11 Depth=1
	s_or_b64 exec, exec, s[44:45]
.LBB274_172:                            ;   in Loop: Header=BB274_11 Depth=1
	s_or_b64 exec, exec, s[42:43]
.LBB274_173:                            ;   in Loop: Header=BB274_11 Depth=1
	s_or_b64 exec, exec, s[22:23]
	global_load_ubyte v50, v[10:11], off offset:1672
	v_mov_b32_e32 v48, 0
	v_mov_b32_e32 v49, 0
	s_waitcnt vmcnt(0)
	v_cmp_ne_u16_e64 s[4:5], 0, v50
	s_and_saveexec_b64 s[22:23], s[4:5]
	s_cbranch_execz .LBB274_179
; %bb.174:                              ;   in Loop: Header=BB274_11 Depth=1
	v_cmp_ne_u16_e64 s[4:5], s50, v50
	v_bfrev_b32_e32 v49, 1
	s_and_saveexec_b64 s[42:43], s[4:5]
	s_cbranch_execz .LBB274_178
; %bb.175:                              ;   in Loop: Header=BB274_11 Depth=1
	v_and_b32_e32 v12, 0xffff, v50
	v_and_b32_e32 v51, 0x7f, v12
	v_cmp_ne_u32_e64 s[4:5], s51, v51
	v_mov_b32_e32 v49, 0x7f800001
	s_and_saveexec_b64 s[44:45], s[4:5]
	s_cbranch_execz .LBB274_177
; %bb.176:                              ;   in Loop: Header=BB274_11 Depth=1
	v_and_b32_e32 v49, 7, v12
	v_ffbh_u32_e32 v52, v49
	v_min_u32_e32 v55, 32, v52
	v_subrev_u32_e32 v52, 28, v55
	v_lshlrev_b64 v[52:53], v52, v[12:13]
	v_lshrrev_b32_e32 v54, 3, v51
	v_sub_u32_e32 v12, 29, v55
	v_and_b32_e32 v52, 7, v52
	v_cmp_gt_u32_e64 s[4:5], 8, v51
	v_cndmask_b32_e64 v12, v54, v12, s[4:5]
	v_cndmask_b32_e64 v49, v49, v52, s[4:5]
	v_lshlrev_b32_e32 v50, 24, v50
	v_lshlrev_b32_e32 v49, 20, v49
	v_and_b32_e32 v50, 0x80000000, v50
	v_lshl_add_u32 v12, v12, 23, v18
	v_or3_b32 v49, v50, v12, v49
.LBB274_177:                            ;   in Loop: Header=BB274_11 Depth=1
	s_or_b64 exec, exec, s[44:45]
.LBB274_178:                            ;   in Loop: Header=BB274_11 Depth=1
	s_or_b64 exec, exec, s[42:43]
.LBB274_179:                            ;   in Loop: Header=BB274_11 Depth=1
	s_or_b64 exec, exec, s[22:23]
	global_load_ubyte v50, v[10:11], off offset:1792
	s_waitcnt vmcnt(0)
	v_cmp_ne_u16_e64 s[4:5], 0, v50
	s_and_saveexec_b64 s[22:23], s[4:5]
	s_cbranch_execz .LBB274_185
; %bb.180:                              ;   in Loop: Header=BB274_11 Depth=1
	v_cmp_ne_u16_e64 s[4:5], s50, v50
	v_bfrev_b32_e32 v48, 1
	s_and_saveexec_b64 s[42:43], s[4:5]
	s_cbranch_execz .LBB274_184
; %bb.181:                              ;   in Loop: Header=BB274_11 Depth=1
	v_and_b32_e32 v12, 0xffff, v50
	v_and_b32_e32 v51, 0x7f, v12
	v_cmp_ne_u32_e64 s[4:5], s51, v51
	v_mov_b32_e32 v48, 0x7f800001
	s_and_saveexec_b64 s[44:45], s[4:5]
	s_cbranch_execz .LBB274_183
; %bb.182:                              ;   in Loop: Header=BB274_11 Depth=1
	v_and_b32_e32 v48, 7, v12
	v_ffbh_u32_e32 v52, v48
	v_min_u32_e32 v55, 32, v52
	v_subrev_u32_e32 v52, 28, v55
	v_lshlrev_b64 v[52:53], v52, v[12:13]
	v_lshrrev_b32_e32 v54, 3, v51
	v_sub_u32_e32 v12, 29, v55
	v_and_b32_e32 v52, 7, v52
	v_cmp_gt_u32_e64 s[4:5], 8, v51
	v_cndmask_b32_e64 v12, v54, v12, s[4:5]
	v_cndmask_b32_e64 v48, v48, v52, s[4:5]
	v_lshlrev_b32_e32 v50, 24, v50
	v_lshlrev_b32_e32 v48, 20, v48
	v_and_b32_e32 v50, 0x80000000, v50
	v_lshl_add_u32 v12, v12, 23, v18
	v_or3_b32 v48, v50, v12, v48
.LBB274_183:                            ;   in Loop: Header=BB274_11 Depth=1
	s_or_b64 exec, exec, s[44:45]
.LBB274_184:                            ;   in Loop: Header=BB274_11 Depth=1
	s_or_b64 exec, exec, s[42:43]
.LBB274_185:                            ;   in Loop: Header=BB274_11 Depth=1
	s_or_b64 exec, exec, s[22:23]
	global_load_ubyte v52, v[10:11], off offset:1800
	v_mov_b32_e32 v51, 0
	v_mov_b32_e32 v50, 0
	s_waitcnt vmcnt(0)
	v_cmp_ne_u16_e64 s[4:5], 0, v52
	s_and_saveexec_b64 s[22:23], s[4:5]
	s_cbranch_execz .LBB274_191
; %bb.186:                              ;   in Loop: Header=BB274_11 Depth=1
	v_cmp_ne_u16_e64 s[4:5], s50, v52
	v_bfrev_b32_e32 v50, 1
	s_and_saveexec_b64 s[42:43], s[4:5]
	s_cbranch_execz .LBB274_190
; %bb.187:                              ;   in Loop: Header=BB274_11 Depth=1
	v_and_b32_e32 v12, 0xffff, v52
	v_and_b32_e32 v53, 0x7f, v12
	v_cmp_ne_u32_e64 s[4:5], s51, v53
	v_mov_b32_e32 v50, 0x7f800001
	s_and_saveexec_b64 s[44:45], s[4:5]
	s_cbranch_execz .LBB274_189
; %bb.188:                              ;   in Loop: Header=BB274_11 Depth=1
	v_and_b32_e32 v50, 7, v12
	v_ffbh_u32_e32 v54, v50
	v_min_u32_e32 v57, 32, v54
	v_subrev_u32_e32 v54, 28, v57
	v_lshlrev_b64 v[54:55], v54, v[12:13]
	v_lshrrev_b32_e32 v56, 3, v53
	v_sub_u32_e32 v12, 29, v57
	v_and_b32_e32 v54, 7, v54
	v_cmp_gt_u32_e64 s[4:5], 8, v53
	v_cndmask_b32_e64 v12, v56, v12, s[4:5]
	v_cndmask_b32_e64 v50, v50, v54, s[4:5]
	v_lshlrev_b32_e32 v52, 24, v52
	v_lshlrev_b32_e32 v50, 20, v50
	v_and_b32_e32 v52, 0x80000000, v52
	v_lshl_add_u32 v12, v12, 23, v18
	v_or3_b32 v50, v52, v12, v50
.LBB274_189:                            ;   in Loop: Header=BB274_11 Depth=1
	s_or_b64 exec, exec, s[44:45]
.LBB274_190:                            ;   in Loop: Header=BB274_11 Depth=1
	s_or_b64 exec, exec, s[42:43]
.LBB274_191:                            ;   in Loop: Header=BB274_11 Depth=1
	s_or_b64 exec, exec, s[22:23]
	global_load_ubyte v52, v[10:11], off offset:1920
	s_waitcnt vmcnt(0)
	v_cmp_ne_u16_e64 s[4:5], 0, v52
	s_and_saveexec_b64 s[22:23], s[4:5]
	s_cbranch_execz .LBB274_197
; %bb.192:                              ;   in Loop: Header=BB274_11 Depth=1
	v_cmp_ne_u16_e64 s[4:5], s50, v52
	v_bfrev_b32_e32 v51, 1
	s_and_saveexec_b64 s[42:43], s[4:5]
	s_cbranch_execz .LBB274_196
; %bb.193:                              ;   in Loop: Header=BB274_11 Depth=1
	v_and_b32_e32 v12, 0xffff, v52
	v_and_b32_e32 v53, 0x7f, v12
	v_cmp_ne_u32_e64 s[4:5], s51, v53
	v_mov_b32_e32 v51, 0x7f800001
	s_and_saveexec_b64 s[44:45], s[4:5]
	s_cbranch_execz .LBB274_195
; %bb.194:                              ;   in Loop: Header=BB274_11 Depth=1
	v_and_b32_e32 v51, 7, v12
	v_ffbh_u32_e32 v54, v51
	v_min_u32_e32 v57, 32, v54
	v_subrev_u32_e32 v54, 28, v57
	v_lshlrev_b64 v[54:55], v54, v[12:13]
	v_lshrrev_b32_e32 v56, 3, v53
	v_sub_u32_e32 v12, 29, v57
	v_and_b32_e32 v54, 7, v54
	v_cmp_gt_u32_e64 s[4:5], 8, v53
	v_cndmask_b32_e64 v12, v56, v12, s[4:5]
	v_cndmask_b32_e64 v51, v51, v54, s[4:5]
	v_lshlrev_b32_e32 v52, 24, v52
	v_lshlrev_b32_e32 v51, 20, v51
	v_and_b32_e32 v52, 0x80000000, v52
	v_lshl_add_u32 v12, v12, 23, v18
	v_or3_b32 v51, v52, v12, v51
.LBB274_195:                            ;   in Loop: Header=BB274_11 Depth=1
	s_or_b64 exec, exec, s[44:45]
.LBB274_196:                            ;   in Loop: Header=BB274_11 Depth=1
	s_or_b64 exec, exec, s[42:43]
.LBB274_197:                            ;   in Loop: Header=BB274_11 Depth=1
	s_or_b64 exec, exec, s[22:23]
	global_load_ubyte v12, v[10:11], off offset:1928
	v_mov_b32_e32 v11, 0
	s_waitcnt vmcnt(0)
	v_cmp_ne_u16_e64 s[4:5], 0, v12
	s_and_saveexec_b64 s[22:23], s[4:5]
	s_cbranch_execz .LBB274_203
; %bb.198:                              ;   in Loop: Header=BB274_11 Depth=1
	v_cmp_ne_u16_e64 s[4:5], s50, v12
	v_bfrev_b32_e32 v11, 1
	s_and_saveexec_b64 s[42:43], s[4:5]
	s_cbranch_execz .LBB274_202
; %bb.199:                              ;   in Loop: Header=BB274_11 Depth=1
	v_and_b32_e32 v10, 0xffff, v12
	v_and_b32_e32 v52, 0x7f, v10
	v_cmp_ne_u32_e64 s[4:5], s51, v52
	v_mov_b32_e32 v11, 0x7f800001
	s_and_saveexec_b64 s[44:45], s[4:5]
	s_cbranch_execz .LBB274_201
; %bb.200:                              ;   in Loop: Header=BB274_11 Depth=1
	v_and_b32_e32 v53, 7, v10
	v_ffbh_u32_e32 v11, v53
	v_min_u32_e32 v55, 32, v11
	v_subrev_u32_e32 v11, 28, v55
	v_lshlrev_b64 v[10:11], v11, v[10:11]
	v_lshrrev_b32_e32 v54, 3, v52
	v_sub_u32_e32 v11, 29, v55
	v_and_b32_e32 v10, 7, v10
	v_cmp_gt_u32_e64 s[4:5], 8, v52
	v_cndmask_b32_e64 v11, v54, v11, s[4:5]
	v_cndmask_b32_e64 v10, v53, v10, s[4:5]
	v_lshlrev_b32_e32 v12, 24, v12
	v_lshlrev_b32_e32 v10, 20, v10
	v_and_b32_e32 v12, 0x80000000, v12
	v_lshl_add_u32 v11, v11, 23, v18
	v_or3_b32 v11, v12, v11, v10
.LBB274_201:                            ;   in Loop: Header=BB274_11 Depth=1
	s_or_b64 exec, exec, s[44:45]
.LBB274_202:                            ;   in Loop: Header=BB274_11 Depth=1
	s_or_b64 exec, exec, s[42:43]
.LBB274_203:                            ;   in Loop: Header=BB274_11 Depth=1
	s_or_b64 exec, exec, s[22:23]
	v_fma_mixlo_f16 v12, v20, v21, 0
	ds_read_u16 v10, v15
	v_and_b32_e32 v12, 0xffff, v12
	v_fma_mixlo_f16 v23, v20, v23, 0
	s_waitcnt lgkmcnt(0)
	;;#ASMSTART
	v_cvt_f32_f16 v10, v10;
	;;#ASMEND
	;;#ASMSTART
	v_cvt_f32_f16 v12, v12;
	;;#ASMEND
	ds_read_u16 v21, v15 offset:2
	v_and_b32_e32 v23, 0xffff, v23
	s_waitcnt lgkmcnt(0)
	;;#ASMSTART
	v_cvt_f32_f16 v21, v21;
	;;#ASMEND
	;;#ASMSTART
	v_cvt_f32_f16 v23, v23;
	;;#ASMEND
	v_fma_mixlo_f16 v22, v20, v22, 0
	v_fma_mixlo_f16 v25, v20, v25, 0
	;; [unrolled: 1-line block ×30, first 2 shown]
	v_mul_f32_e32 v20, v21, v23
	ds_read_u16 v52, v15 offset:4
	v_and_b32_e32 v22, 0xffff, v22
	v_fmac_f32_e32 v20, v10, v12
	s_waitcnt lgkmcnt(0)
	;;#ASMSTART
	v_cvt_f32_f16 v52, v52;
	;;#ASMEND
	;;#ASMSTART
	v_cvt_f32_f16 v22, v22;
	;;#ASMEND
	ds_read_u16 v53, v15 offset:6
	v_and_b32_e32 v25, 0xffff, v25
	v_fmac_f32_e32 v20, v52, v22
	s_waitcnt lgkmcnt(0)
	;;#ASMSTART
	v_cvt_f32_f16 v53, v53;
	;;#ASMEND
	;;#ASMSTART
	v_cvt_f32_f16 v25, v25;
	;;#ASMEND
	;; [unrolled: 10-line block ×22, first 2 shown]
	v_and_b32_e32 v12, 0xffff, v44
	v_fmac_f32_e32 v20, v73, v45
	ds_read_u16 v74, v15 offset:48
	s_waitcnt lgkmcnt(0)
	;;#ASMSTART
	v_cvt_f32_f16 v10, v74;
	;;#ASMEND
	;;#ASMSTART
	v_cvt_f32_f16 v12, v12;
	;;#ASMEND
	ds_read_u16 v21, v15 offset:50
	v_and_b32_e32 v22, 0xffff, v47
	v_fmac_f32_e32 v20, v10, v12
	s_waitcnt lgkmcnt(0)
	;;#ASMSTART
	v_cvt_f32_f16 v21, v21;
	;;#ASMEND
	;;#ASMSTART
	v_cvt_f32_f16 v22, v22;
	;;#ASMEND
	ds_read_u16 v23, v15 offset:52
	v_and_b32_e32 v24, 0xffff, v46
	v_fmac_f32_e32 v20, v21, v22
	;; [unrolled: 10-line block ×5, first 2 shown]
	s_waitcnt lgkmcnt(0)
	;;#ASMSTART
	v_cvt_f32_f16 v29, v29;
	;;#ASMEND
	;;#ASMSTART
	v_cvt_f32_f16 v30, v30;
	;;#ASMEND
	ds_read_u16 v31, v15 offset:60
	s_waitcnt lgkmcnt(0)
	;;#ASMSTART
	v_cvt_f32_f16 v10, v31;
	;;#ASMEND
	v_and_b32_e32 v12, 0xffff, v51
	v_fmac_f32_e32 v20, v29, v30
	;;#ASMSTART
	v_cvt_f32_f16 v12, v12;
	;;#ASMEND
	ds_read_u16 v21, v15 offset:62
	v_fmac_f32_e32 v20, v10, v12
	s_waitcnt lgkmcnt(0)
	;;#ASMSTART
	v_cvt_f32_f16 v10, v21;
	;;#ASMEND
	v_and_b32_e32 v11, 0xffff, v11
	;;#ASMSTART
	v_cvt_f32_f16 v11, v11;
	;;#ASMEND
	v_fmac_f32_e32 v20, v10, v11
	v_and_b32_e32 v10, 64, v3
	v_add_u32_e32 v10, 64, v10
	v_xor_b32_e32 v11, 4, v3
	v_cmp_lt_i32_e64 s[4:5], v11, v10
	v_cndmask_b32_e64 v11, v3, v11, s[4:5]
	v_lshlrev_b32_e32 v11, 2, v11
	ds_bpermute_b32 v11, v11, v20
	v_xor_b32_e32 v12, 2, v3
	v_cmp_lt_i32_e64 s[4:5], v12, v10
	v_cndmask_b32_e64 v12, v3, v12, s[4:5]
	v_lshlrev_b32_e32 v12, 2, v12
	s_waitcnt lgkmcnt(0)
	v_add_f32_e32 v11, v20, v11
	ds_bpermute_b32 v12, v12, v11
	s_waitcnt lgkmcnt(0)
	v_add_f32_e32 v11, v11, v12
	v_xor_b32_e32 v12, 1, v3
	v_cmp_lt_i32_e64 s[4:5], v12, v10
	v_cndmask_b32_e64 v12, v3, v12, s[4:5]
	v_lshlrev_b32_e32 v12, 2, v12
	ds_bpermute_b32 v12, v12, v11
	s_and_saveexec_b64 s[22:23], vcc
	s_cbranch_execz .LBB274_10
; %bb.204:                              ;   in Loop: Header=BB274_11 Depth=1
	v_add_u32_e32 v20, s49, v16
	v_cvt_f32_i32_e32 v20, v20
	s_waitcnt lgkmcnt(0)
	v_add_f32_e32 v11, v11, v12
	v_cmp_gt_i32_e64 s[4:5], s35, v16
	v_max_f32_e32 v12, v13, v13
	v_mul_f32_e32 v20, s7, v20
	v_cndmask_b32_e64 v20, 0, v20, s[2:3]
	v_fmac_f32_e32 v20, s11, v11
	v_cndmask_b32_e64 v11, 0, v20, s[4:5]
	ds_write_b32 v17, v11
	v_max_f32_e32 v11, v12, v20
	v_cndmask_b32_e64 v13, v13, v11, s[4:5]
	s_branch .LBB274_10
.LBB274_205:
	s_or_b64 exec, exec, s[16:17]
.LBB274_206:
	s_or_b64 exec, exec, s[40:41]
	v_xor_b32_e32 v2, 32, v3
	v_cmp_lt_i32_e32 vcc, v2, v10
	v_cndmask_b32_e32 v2, v3, v2, vcc
	v_lshlrev_b32_e32 v5, 2, v2
	ds_bpermute_b32 v2, v5, v13
	v_xor_b32_e32 v8, 16, v3
	v_max_f32_e32 v4, v13, v13
	v_cmp_lt_i32_e32 vcc, v8, v10
	v_and_b32_e32 v17, 63, v0
	s_waitcnt lgkmcnt(0)
	v_max_f32_e32 v2, v2, v2
	v_max_f32_e32 v2, v4, v2
	v_cndmask_b32_e32 v4, v3, v8, vcc
	v_lshlrev_b32_e32 v9, 2, v4
	ds_bpermute_b32 v4, v9, v2
	v_xor_b32_e32 v8, 8, v3
	v_cmp_lt_i32_e32 vcc, v8, v10
	s_waitcnt lgkmcnt(0)
	v_max_f32_e32 v4, v4, v4
	v_max_f32_e32 v4, v2, v4
	v_cndmask_b32_e32 v2, v3, v8, vcc
	v_lshlrev_b32_e32 v11, 2, v2
	ds_bpermute_b32 v8, v11, v4
	v_cmp_eq_u32_e32 vcc, 0, v17
	v_lshlrev_b32_e32 v2, 2, v1
	s_and_saveexec_b64 s[2:3], vcc
	s_cbranch_execz .LBB274_208
; %bb.207:
	s_waitcnt lgkmcnt(0)
	v_max_f32_e32 v8, v8, v8
	v_max_f32_e32 v4, v4, v4
	;; [unrolled: 1-line block ×3, first 2 shown]
	ds_write_b32 v2, v4 offset:512
.LBB274_208:
	s_or_b64 exec, exec, s[2:3]
	v_cmp_gt_u32_e64 s[2:3], 2, v17
	v_mov_b32_e32 v4, 0xff7fffff
	s_waitcnt lgkmcnt(0)
	v_lshlrev_b32_e32 v8, 2, v17
	s_barrier
	s_and_saveexec_b64 s[4:5], s[2:3]
	s_cbranch_execz .LBB274_210
; %bb.209:
	ds_read_b32 v4, v8 offset:512
.LBB274_210:
	s_or_b64 exec, exec, s[4:5]
	v_xor_b32_e32 v12, 1, v3
	v_cmp_lt_i32_e64 s[4:5], v12, v10
	v_cndmask_b32_e64 v12, v3, v12, s[4:5]
	v_lshlrev_b32_e32 v12, 2, v12
	s_waitcnt lgkmcnt(0)
	ds_bpermute_b32 v13, v12, v4
	v_max_f32_e32 v4, v4, v4
	s_sub_i32 s4, s20, s10
	s_lshl_b32 s4, s4, 3
	s_add_i32 s4, s4, s46
	s_waitcnt lgkmcnt(0)
	v_max_f32_e32 v13, v13, v13
	v_max_f32_e32 v4, v4, v13
	v_lshlrev_b32_e32 v13, 2, v3
	v_and_b32_e32 v13, 0xffffff00, v13
	ds_bpermute_b32 v4, v13, v4
	s_min_i32 s22, s4, s35
	s_sub_i32 s7, s22, s46
	v_cmp_gt_i32_e64 s[4:5], s7, v0
	v_mov_b32_e32 v14, 0
	s_and_saveexec_b64 s[12:13], s[4:5]
	s_cbranch_execz .LBB274_214
; %bb.211:
	v_mov_b32_e32 v14, 0x210
	v_lshl_add_u32 v15, v0, 2, v14
	s_mov_b64 s[16:17], 0
	v_mov_b32_e32 v14, 0
	v_mov_b32_e32 v16, v0
.LBB274_212:                            ; =>This Inner Loop Header: Depth=1
	ds_read_b32 v18, v15
	v_add_u32_e32 v16, 0x80, v16
	v_cmp_le_i32_e64 s[10:11], s7, v16
	s_or_b64 s[16:17], s[10:11], s[16:17]
	s_waitcnt lgkmcnt(0)
	v_sub_f32_e32 v18, v18, v4
	v_mul_f32_e32 v18, 0x3fb8aa3b, v18
	v_exp_f32_e32 v18, v18
	ds_write_b32 v15, v18
	v_add_f32_e32 v14, v14, v18
	v_add_u32_e32 v15, 0x200, v15
	s_andn2_b64 exec, exec, s[16:17]
	s_cbranch_execnz .LBB274_212
; %bb.213:
	s_or_b64 exec, exec, s[16:17]
.LBB274_214:
	s_or_b64 exec, exec, s[12:13]
	ds_bpermute_b32 v5, v5, v14
	s_waitcnt lgkmcnt(0)
	v_add_f32_e32 v5, v14, v5
	ds_bpermute_b32 v9, v9, v5
	s_waitcnt lgkmcnt(0)
	v_add_f32_e32 v5, v5, v9
	ds_bpermute_b32 v9, v11, v5
	v_xor_b32_e32 v11, 4, v3
	v_cmp_lt_i32_e64 s[10:11], v11, v10
	v_cndmask_b32_e64 v11, v3, v11, s[10:11]
	v_lshlrev_b32_e32 v11, 2, v11
	s_waitcnt lgkmcnt(0)
	v_add_f32_e32 v5, v5, v9
	ds_bpermute_b32 v9, v11, v5
	v_xor_b32_e32 v11, 2, v3
	v_cmp_lt_i32_e64 s[10:11], v11, v10
	v_cndmask_b32_e64 v3, v3, v11, s[10:11]
	v_lshlrev_b32_e32 v3, 2, v3
	s_waitcnt lgkmcnt(0)
	v_add_f32_e32 v5, v5, v9
	ds_bpermute_b32 v3, v3, v5
	s_waitcnt lgkmcnt(0)
	v_add_f32_e32 v3, v5, v3
	ds_bpermute_b32 v5, v12, v3
	s_waitcnt lgkmcnt(0)
	v_add_f32_e32 v3, v3, v5
	s_and_saveexec_b64 s[10:11], vcc
	s_cbranch_execz .LBB274_216
; %bb.215:
	ds_write_b32 v2, v3 offset:520
.LBB274_216:
	s_or_b64 exec, exec, s[10:11]
	s_waitcnt lgkmcnt(0)
	s_barrier
	s_and_saveexec_b64 s[10:11], s[2:3]
	s_cbranch_execz .LBB274_218
; %bb.217:
	ds_read_b32 v3, v8 offset:520
.LBB274_218:
	s_or_b64 exec, exec, s[10:11]
	s_waitcnt lgkmcnt(0)
	ds_bpermute_b32 v2, v12, v3
	s_waitcnt lgkmcnt(0)
	v_add_f32_e32 v2, v3, v2
	ds_bpermute_b32 v5, v13, v2
	s_and_saveexec_b64 s[2:3], s[4:5]
	s_cbranch_execz .LBB274_231
; %bb.219:
	s_waitcnt lgkmcnt(0)
	v_add_f32_e32 v2, 0x358637bd, v5
	v_div_scale_f32 v3, s[4:5], v2, v2, 1.0
	v_rcp_f32_e32 v8, v3
	v_div_scale_f32 v9, vcc, 1.0, v2, 1.0
	s_movk_i32 s4, 0x7f
	v_fma_f32 v10, -v3, v8, 1.0
	v_fmac_f32_e32 v8, v10, v8
	v_mul_f32_e32 v10, v9, v8
	v_fma_f32 v11, -v3, v10, v9
	v_fmac_f32_e32 v10, v11, v8
	v_fma_f32 v3, -v3, v10, v9
	v_div_fmas_f32 v3, v3, v8, v10
	v_div_fixup_f32 v2, v3, v2, 1.0
	v_xad_u32 v3, v0, -1, s22
	v_subrev_u32_e32 v8, s46, v3
	v_cmp_lt_u32_e32 vcc, s4, v8
	s_mov_b64 s[10:11], -1
	v_mov_b32_e32 v3, v0
	s_and_saveexec_b64 s[4:5], vcc
	s_cbranch_execz .LBB274_228
; %bb.220:
	v_lshrrev_b32_e32 v8, 7, v8
	v_add_u32_e32 v10, -1, v8
	v_lshrrev_b32_e32 v9, 1, v10
	v_mov_b32_e32 v3, v2
	v_add_u32_e32 v9, 1, v9
	v_cmp_lt_u32_e32 vcc, 13, v10
	v_mov_b32_e32 v12, 0
	s_and_saveexec_b64 s[10:11], vcc
	s_cbranch_execz .LBB274_224
; %bb.221:
	v_mov_b32_e32 v11, 0x210
	v_and_b32_e32 v10, -8, v9
	v_lshl_add_u32 v11, v0, 2, v11
	s_mov_b32 s16, 0
	s_mov_b64 s[12:13], 0
.LBB274_222:                            ; =>This Inner Loop Header: Depth=1
	ds_read2st64_b32 v[12:13], v11 offset1:2
	ds_read2st64_b32 v[14:15], v11 offset0:4 offset1:6
	ds_read2st64_b32 v[18:19], v11 offset0:8 offset1:10
	;; [unrolled: 1-line block ×3, first 2 shown]
	v_add_u32_e32 v10, -8, v10
	s_waitcnt lgkmcnt(3)
	v_pk_mul_f32 v[12:13], v[2:3], v[12:13]
	s_waitcnt lgkmcnt(2)
	v_pk_mul_f32 v[14:15], v[2:3], v[14:15]
	ds_write2st64_b32 v11, v12, v13 offset1:2
	ds_write2st64_b32 v11, v14, v15 offset0:4 offset1:6
	ds_read2st64_b32 v[14:15], v11 offset0:16 offset1:18
	s_waitcnt lgkmcnt(4)
	v_pk_mul_f32 v[12:13], v[2:3], v[18:19]
	ds_write2st64_b32 v11, v12, v13 offset0:8 offset1:10
	s_waitcnt lgkmcnt(4)
	v_pk_mul_f32 v[12:13], v[2:3], v[20:21]
	ds_write2st64_b32 v11, v12, v13 offset0:12 offset1:14
	ds_read2st64_b32 v[12:13], v11 offset0:20 offset1:22
	s_waitcnt lgkmcnt(3)
	v_pk_mul_f32 v[14:15], v[2:3], v[14:15]
	ds_read2st64_b32 v[18:19], v11 offset0:24 offset1:26
	ds_write2st64_b32 v11, v14, v15 offset0:16 offset1:18
	ds_read2st64_b32 v[14:15], v11 offset0:28 offset1:30
	s_waitcnt lgkmcnt(3)
	v_pk_mul_f32 v[12:13], v[2:3], v[12:13]
	ds_write2st64_b32 v11, v12, v13 offset0:20 offset1:22
	s_waitcnt lgkmcnt(3)
	v_pk_mul_f32 v[12:13], v[2:3], v[18:19]
	ds_write2st64_b32 v11, v12, v13 offset0:24 offset1:26
	s_waitcnt lgkmcnt(2)
	v_pk_mul_f32 v[12:13], v[2:3], v[14:15]
	s_add_i32 s16, s16, 16
	v_cmp_eq_u32_e32 vcc, 0, v10
	ds_write2st64_b32 v11, v12, v13 offset0:28 offset1:30
	v_add_u32_e32 v11, 0x2000, v11
	s_or_b64 s[12:13], vcc, s[12:13]
	v_mov_b32_e32 v12, s16
	s_andn2_b64 exec, exec, s[12:13]
	s_cbranch_execnz .LBB274_222
; %bb.223:
	s_or_b64 exec, exec, s[12:13]
.LBB274_224:
	s_or_b64 exec, exec, s[10:11]
	v_and_b32_e32 v9, 7, v9
	v_cmp_ne_u32_e32 vcc, 0, v9
	s_and_saveexec_b64 s[10:11], vcc
	s_cbranch_execz .LBB274_227
; %bb.225:
	v_lshlrev_b32_e32 v10, 9, v12
	v_lshlrev_b32_e32 v11, 2, v0
	s_movk_i32 s12, 0x210
	v_add3_u32 v10, v10, v11, s12
	s_mov_b64 s[12:13], 0
.LBB274_226:                            ; =>This Inner Loop Header: Depth=1
	ds_read2st64_b32 v[12:13], v10 offset1:2
	v_add_u32_e32 v9, -1, v9
	v_cmp_eq_u32_e32 vcc, 0, v9
	s_or_b64 s[12:13], vcc, s[12:13]
	s_waitcnt lgkmcnt(0)
	v_pk_mul_f32 v[12:13], v[2:3], v[12:13]
	ds_write2st64_b32 v10, v12, v13 offset1:2
	v_add_u32_e32 v10, 0x400, v10
	s_andn2_b64 exec, exec, s[12:13]
	s_cbranch_execnz .LBB274_226
.LBB274_227:
	s_or_b64 exec, exec, s[10:11]
	v_add_u32_e32 v8, 1, v8
	v_and_b32_e32 v9, 0x3fffffe, v8
	v_cmp_ne_u32_e32 vcc, v8, v9
	v_lshl_add_u32 v3, v9, 7, v0
	s_orn2_b64 s[10:11], vcc, exec
.LBB274_228:
	s_or_b64 exec, exec, s[4:5]
	s_and_b64 exec, exec, s[10:11]
	s_cbranch_execz .LBB274_231
; %bb.229:
	v_mov_b32_e32 v8, 0x210
	v_lshl_add_u32 v8, v3, 2, v8
	s_mov_b64 s[4:5], 0
.LBB274_230:                            ; =>This Inner Loop Header: Depth=1
	ds_read_b32 v9, v8
	v_add_u32_e32 v3, 0x80, v3
	v_cmp_le_i32_e32 vcc, s7, v3
	s_or_b64 s[4:5], vcc, s[4:5]
	s_waitcnt lgkmcnt(0)
	v_mul_f32_e32 v9, v2, v9
	ds_write_b32 v8, v9
	v_add_u32_e32 v8, 0x200, v8
	s_andn2_b64 exec, exec, s[4:5]
	s_cbranch_execnz .LBB274_230
.LBB274_231:
	s_or_b64 exec, exec, s[2:3]
	s_mul_i32 s2, s33, s34
	s_mov_b32 s4, 0
	v_cmp_eq_u32_e32 vcc, 0, v0
	s_mul_i32 s2, s2, s9
	s_waitcnt lgkmcnt(0)
	s_barrier
	s_and_saveexec_b64 s[10:11], vcc
	s_cbranch_execz .LBB274_233
; %bb.232:
	s_ashr_i32 s3, s2, 31
	s_lshl_b64 s[12:13], s[2:3], 2
	s_add_u32 s3, s26, s12
	s_mul_i32 s6, s33, s6
	s_addc_u32 s5, s27, s13
	s_ashr_i32 s7, s6, 31
	s_lshl_b64 s[6:7], s[6:7], 2
	s_add_u32 s3, s3, s6
	s_addc_u32 s5, s5, s7
	s_ashr_i32 s9, s8, 31
	s_lshl_b64 s[16:17], s[8:9], 2
	s_add_u32 s22, s3, s16
	s_addc_u32 s23, s5, s17
	s_add_u32 s3, s24, s12
	s_addc_u32 s5, s25, s13
	;; [unrolled: 2-line block ×3, first 2 shown]
	s_add_u32 s6, s3, s16
	v_mov_b32_e32 v2, 0
	s_addc_u32 s7, s5, s17
	global_store_dword v2, v4, s[22:23]
	global_store_dword v2, v5, s[6:7]
.LBB274_233:
	s_or_b64 exec, exec, s[10:11]
	s_mov_b32 s5, s4
	s_mov_b32 s6, s4
	;; [unrolled: 1-line block ×3, first 2 shown]
	v_pk_mov_b32 v[2:3], s[4:5], s[4:5] op_sel:[0,1]
	v_pk_mov_b32 v[4:5], s[6:7], s[6:7] op_sel:[0,1]
	s_and_saveexec_b64 s[4:5], s[0:1]
	s_cbranch_execz .LBB274_437
; %bb.234:
	s_ashr_i32 s0, s47, 31
	s_add_u32 s1, s18, s47
	s_addc_u32 s0, s19, s0
	v_lshlrev_b32_e32 v2, 3, v17
	s_add_i32 s31, s31, -1
	v_mov_b32_e32 v3, s0
	v_add_co_u32_e32 v10, vcc, s1, v2
	s_lshl_b64 s[0:1], s[38:39], 2
	v_mov_b32_e32 v2, 0x210
	s_add_u32 s0, s36, s0
	v_addc_co_u32_e32 v11, vcc, 0, v3, vcc
	v_lshl_add_u32 v24, v1, 3, s46
	v_lshl_add_u32 v1, v1, 5, v2
	v_lshlrev_b64 v[2:3], 2, v[6:7]
	s_addc_u32 s1, s37, s1
	s_mov_b32 s6, -1
	v_mov_b32_e32 v4, s1
	v_add_co_u32_e32 v12, vcc, s0, v2
	s_mov_b32 s3, s21
	s_mov_b32 s7, 0xffffff
	v_mov_b32_e32 v9, 0
	s_mov_b32 s9, s35
	v_addc_co_u32_e32 v13, vcc, v4, v3, vcc
	s_mov_b64 s[10:11], 0
	v_mov_b32_e32 v2, 0
	s_movk_i32 s21, 0x80
	s_movk_i32 s22, 0x7f
	s_mov_b32 s23, 0x8000
	s_movk_i32 s24, 0x380
	s_mov_b32 s25, 0x3020706
	s_mov_b32 s26, 0x1000504
	;; [unrolled: 1-line block ×3, first 2 shown]
	v_mov_b32_e32 v7, 0x2000
	v_mov_b32_e32 v3, 0
	;; [unrolled: 1-line block ×4, first 2 shown]
	s_branch .LBB274_236
.LBB274_235:                            ;   in Loop: Header=BB274_236 Depth=1
	s_or_b64 exec, exec, s[0:1]
	;;#ASMSTART
	v_pk_mul_f16 v14, v32, v14;

	;;#ASMEND
	;;#ASMSTART
	v_pk_mul_f16 v8, v33, v8;

	;;#ASMEND
	;; [unrolled: 4-line block ×4, first 2 shown]
	;;#ASMSTART
	v_pk_add_f16 v8, v14, v8;

	;;#ASMEND
	;;#ASMSTART
	v_pk_add_f16 v8, v8, v15;

	;;#ASMEND
	;; [unrolled: 4-line block ×3, first 2 shown]
	v_add_f32_e32 v18, v36, v37
	v_lshrrev_b32_e32 v14, 16, v8
	v_and_b32_e32 v8, 0xffff, v8
	v_add_u32_e32 v6, 2, v6
	v_add_f32_e32 v2, v2, v18
	v_add_f32_e32 v18, v38, v39
	;;#ASMSTART
	v_cvt_f32_f16 v8, v8;
	;;#ASMEND
	v_cmp_le_i32_e32 vcc, s20, v6
	v_add_f32_e32 v3, v3, v18
	v_add_f32_e32 v18, v22, v23
	;;#ASMSTART
	v_cvt_f32_f16 v14, v14;
	;;#ASMEND
	v_add_f32_e32 v8, v8, v14
	s_or_b64 s[10:11], vcc, s[10:11]
	v_add_co_u32_e32 v12, vcc, 8, v12
	v_add_f32_e32 v4, v4, v18
	v_add_f32_e32 v5, v5, v8
	v_add_u32_e32 v24, 16, v24
	v_add_u32_e32 v1, 64, v1
	v_addc_co_u32_e32 v13, vcc, 0, v13, vcc
	s_andn2_b64 exec, exec, s[10:11]
	s_cbranch_execz .LBB274_436
.LBB274_236:                            ; =>This Inner Loop Header: Depth=1
	global_load_dword v8, v[12:13], off
	ds_read2_b64 v[18:21], v1 offset1:1
	ds_read2_b64 v[26:29], v1 offset0:2 offset1:3
	s_waitcnt lgkmcnt(1)
	;;#ASMSTART
	v_cvt_f16_f32 v32, v18;

	;;#ASMEND
	;;#ASMSTART
	v_cvt_f16_f32 v33, v19;

	;;#ASMEND
	;; [unrolled: 4-line block ×4, first 2 shown]
	s_waitcnt lgkmcnt(0)
	;;#ASMSTART
	v_cvt_f16_f32 v36, v26;

	;;#ASMEND
	;;#ASMSTART
	v_cvt_f16_f32 v37, v27;

	;;#ASMEND
	;; [unrolled: 4-line block ×4, first 2 shown]
	v_mov_b32_e32 v18, 0
	s_waitcnt vmcnt(0)
	v_mad_i64_i32 v[14:15], s[0:1], v8, s3, v[10:11]
	global_load_dwordx2 v[20:21], v[14:15], off
	global_load_dword v16, v9, s[14:15]
	s_waitcnt vmcnt(1)
	v_cmp_ne_u16_sdwa s[12:13], v20, v9 src0_sel:BYTE_0 src1_sel:DWORD
	s_and_saveexec_b64 s[0:1], s[12:13]
	s_cbranch_execz .LBB274_242
; %bb.237:                              ;   in Loop: Header=BB274_236 Depth=1
	v_cmp_ne_u16_sdwa s[16:17], v20, s21 src0_sel:BYTE_0 src1_sel:DWORD
	v_bfrev_b32_e32 v18, 1
	s_and_saveexec_b64 s[12:13], s[16:17]
	s_cbranch_execz .LBB274_241
; %bb.238:                              ;   in Loop: Header=BB274_236 Depth=1
	v_and_b32_e32 v8, 0x7f, v20
	v_cmp_ne_u32_e32 vcc, s22, v8
	v_mov_b32_e32 v18, 0x7fc02000
	s_and_saveexec_b64 s[16:17], vcc
	s_cbranch_execz .LBB274_240
; %bb.239:                              ;   in Loop: Header=BB274_236 Depth=1
	v_and_b32_e32 v18, 7, v20
	v_ffbh_u32_e32 v18, v18
	v_min_u32_e32 v18, 32, v18
	v_subrev_u32_e32 v19, 28, v18
	v_cmp_gt_u32_e32 vcc, 8, v8
	v_lshrrev_b32_e32 v22, 3, v8
	v_sub_u32_e32 v23, 29, v18
	v_cndmask_b32_e32 v8, 0, v19, vcc
	v_lshlrev_b64 v[18:19], v8, v[20:21]
	v_cndmask_b32_e32 v8, v22, v23, vcc
	v_lshlrev_b32_e32 v19, 8, v20
	v_lshl_add_u32 v8, v8, 10, v7
	v_lshlrev_b32_e32 v18, 7, v18
	v_and_or_b32 v8, v19, s23, v8
	v_and_or_b32 v8, v18, s24, v8
	v_cvt_f32_f16_e32 v18, v8
.LBB274_240:                            ;   in Loop: Header=BB274_236 Depth=1
	s_or_b64 exec, exec, s[16:17]
.LBB274_241:                            ;   in Loop: Header=BB274_236 Depth=1
	s_or_b64 exec, exec, s[12:13]
.LBB274_242:                            ;   in Loop: Header=BB274_236 Depth=1
	s_or_b64 exec, exec, s[0:1]
	v_lshrrev_b16_e32 v8, 8, v20
	v_cmp_ne_u16_e32 vcc, 0, v8
	v_mov_b32_e32 v19, 0
	v_mov_b32_e32 v22, 0
	s_and_saveexec_b64 s[0:1], vcc
	s_cbranch_execz .LBB274_248
; %bb.243:                              ;   in Loop: Header=BB274_236 Depth=1
	v_cmp_ne_u16_e32 vcc, s21, v8
	v_bfrev_b32_e32 v22, 1
	s_and_saveexec_b64 s[12:13], vcc
	s_cbranch_execz .LBB274_247
; %bb.244:                              ;   in Loop: Header=BB274_236 Depth=1
	v_and_b32_e32 v23, 0x7f, v8
	v_cmp_ne_u32_e32 vcc, s22, v23
	v_mov_b32_e32 v22, 0x7fc02000
	s_and_saveexec_b64 s[16:17], vcc
	s_cbranch_execz .LBB274_246
; %bb.245:                              ;   in Loop: Header=BB274_236 Depth=1
	v_and_b32_e32 v22, 7, v8
	v_ffbh_u32_e32 v26, v22
	v_min_u32_e32 v28, 32, v26
	v_subrev_u32_e32 v26, 28, v28
	v_lshlrev_b64 v[26:27], v26, v[8:9]
	v_lshrrev_b32_e32 v25, 3, v23
	v_sub_u32_e32 v27, 29, v28
	v_cmp_gt_u32_e32 vcc, 8, v23
	v_cndmask_b32_e32 v23, v25, v27, vcc
	v_and_b32_e32 v26, 7, v26
	v_lshlrev_b32_e32 v8, 8, v8
	v_lshl_add_u32 v23, v23, 10, v7
	v_cndmask_b32_e32 v22, v22, v26, vcc
	v_and_or_b32 v8, v8, s23, v23
	v_lshl_or_b32 v8, v22, 7, v8
	v_cvt_f32_f16_e32 v22, v8
.LBB274_246:                            ;   in Loop: Header=BB274_236 Depth=1
	s_or_b64 exec, exec, s[16:17]
.LBB274_247:                            ;   in Loop: Header=BB274_236 Depth=1
	s_or_b64 exec, exec, s[12:13]
.LBB274_248:                            ;   in Loop: Header=BB274_236 Depth=1
	s_or_b64 exec, exec, s[0:1]
	v_lshrrev_b32_e32 v8, 16, v20
	v_cmp_ne_u16_sdwa s[12:13], v8, v9 src0_sel:BYTE_0 src1_sel:DWORD
	s_and_saveexec_b64 s[0:1], s[12:13]
	s_cbranch_execz .LBB274_254
; %bb.249:                              ;   in Loop: Header=BB274_236 Depth=1
	v_cmp_ne_u16_sdwa s[16:17], v8, s21 src0_sel:BYTE_0 src1_sel:DWORD
	v_bfrev_b32_e32 v19, 1
	s_and_saveexec_b64 s[12:13], s[16:17]
	s_cbranch_execz .LBB274_253
; %bb.250:                              ;   in Loop: Header=BB274_236 Depth=1
	v_bfe_u32 v23, v20, 16, 7
	v_cmp_ne_u32_e32 vcc, s22, v23
	v_mov_b32_e32 v19, 0x7fc02000
	s_and_saveexec_b64 s[16:17], vcc
	s_cbranch_execz .LBB274_252
; %bb.251:                              ;   in Loop: Header=BB274_236 Depth=1
	v_and_b32_e32 v19, 7, v8
	v_ffbh_u32_e32 v26, v19
	v_min_u32_e32 v28, 32, v26
	v_subrev_u32_e32 v26, 28, v28
	v_lshlrev_b64 v[26:27], v26, v[8:9]
	v_lshrrev_b32_e32 v25, 3, v23
	v_sub_u32_e32 v27, 29, v28
	v_cmp_gt_u32_e32 vcc, 8, v23
	v_cndmask_b32_e32 v23, v25, v27, vcc
	v_and_b32_e32 v26, 7, v26
	v_lshlrev_b32_e32 v8, 8, v8
	v_lshl_add_u32 v23, v23, 10, v7
	v_cndmask_b32_e32 v19, v19, v26, vcc
	v_and_or_b32 v8, v8, s23, v23
	v_lshl_or_b32 v8, v19, 7, v8
	v_cvt_f32_f16_e32 v19, v8
.LBB274_252:                            ;   in Loop: Header=BB274_236 Depth=1
	s_or_b64 exec, exec, s[16:17]
.LBB274_253:                            ;   in Loop: Header=BB274_236 Depth=1
	s_or_b64 exec, exec, s[12:13]
.LBB274_254:                            ;   in Loop: Header=BB274_236 Depth=1
	s_or_b64 exec, exec, s[0:1]
	v_cmp_lt_u32_e32 vcc, s7, v20
	v_mov_b32_e32 v25, 0
	v_mov_b32_e32 v23, 0
	s_and_saveexec_b64 s[0:1], vcc
	s_cbranch_execz .LBB274_260
; %bb.255:                              ;   in Loop: Header=BB274_236 Depth=1
	v_lshrrev_b32_e32 v8, 24, v20
	v_cmp_ne_u32_e32 vcc, s21, v8
	v_bfrev_b32_e32 v23, 1
	s_and_saveexec_b64 s[12:13], vcc
	s_cbranch_execz .LBB274_259
; %bb.256:                              ;   in Loop: Header=BB274_236 Depth=1
	v_and_b32_e32 v26, 0x7f, v8
	v_cmp_ne_u32_e32 vcc, s22, v26
	v_mov_b32_e32 v23, 0x7fc02000
	s_and_saveexec_b64 s[16:17], vcc
	s_cbranch_execz .LBB274_258
; %bb.257:                              ;   in Loop: Header=BB274_236 Depth=1
	v_and_b32_e32 v23, 7, v8
	v_ffbh_u32_e32 v28, v23
	v_min_u32_e32 v30, 32, v28
	v_subrev_u32_e32 v28, 28, v30
	v_lshlrev_b64 v[28:29], v28, v[8:9]
	v_lshrrev_b32_e32 v27, 3, v26
	v_sub_u32_e32 v29, 29, v30
	v_cmp_gt_u32_e32 vcc, 8, v26
	v_cndmask_b32_e32 v26, v27, v29, vcc
	v_and_b32_e32 v28, 7, v28
	v_lshlrev_b32_e32 v8, 8, v8
	v_lshl_add_u32 v26, v26, 10, v7
	v_cndmask_b32_e32 v23, v23, v28, vcc
	v_and_or_b32 v8, v8, s23, v26
	v_lshl_or_b32 v8, v23, 7, v8
	v_cvt_f32_f16_e32 v23, v8
.LBB274_258:                            ;   in Loop: Header=BB274_236 Depth=1
	s_or_b64 exec, exec, s[16:17]
.LBB274_259:                            ;   in Loop: Header=BB274_236 Depth=1
	s_or_b64 exec, exec, s[12:13]
.LBB274_260:                            ;   in Loop: Header=BB274_236 Depth=1
	s_or_b64 exec, exec, s[0:1]
	v_mov_b32_e32 v8, v21
	v_cmp_ne_u16_sdwa s[12:13], v21, v9 src0_sel:BYTE_0 src1_sel:DWORD
	s_and_saveexec_b64 s[0:1], s[12:13]
	s_cbranch_execz .LBB274_266
; %bb.261:                              ;   in Loop: Header=BB274_236 Depth=1
	v_cmp_ne_u16_sdwa s[16:17], v21, s21 src0_sel:BYTE_0 src1_sel:DWORD
	v_bfrev_b32_e32 v25, 1
	s_and_saveexec_b64 s[12:13], s[16:17]
	s_cbranch_execz .LBB274_265
; %bb.262:                              ;   in Loop: Header=BB274_236 Depth=1
	v_and_b32_e32 v26, 0x7f, v21
	v_cmp_ne_u32_e32 vcc, s22, v26
	v_mov_b32_e32 v25, 0x7fc02000
	s_and_saveexec_b64 s[16:17], vcc
	s_cbranch_execz .LBB274_264
; %bb.263:                              ;   in Loop: Header=BB274_236 Depth=1
	v_and_b32_e32 v25, 7, v21
	v_ffbh_u32_e32 v25, v25
	v_min_u32_e32 v25, 32, v25
	v_subrev_u32_e32 v27, 28, v25
	v_cmp_gt_u32_e32 vcc, 8, v26
	v_lshrrev_b32_e32 v28, 3, v26
	v_sub_u32_e32 v25, 29, v25
	v_cndmask_b32_e32 v26, 0, v27, vcc
	v_lshlrev_b64 v[26:27], v26, v[8:9]
	v_cndmask_b32_e32 v25, v28, v25, vcc
	v_lshlrev_b32_e32 v27, 8, v21
	v_lshl_add_u32 v25, v25, 10, v7
	v_lshlrev_b32_e32 v26, 7, v26
	v_and_or_b32 v25, v27, s23, v25
	v_and_or_b32 v25, v26, s24, v25
	v_cvt_f32_f16_e32 v25, v25
.LBB274_264:                            ;   in Loop: Header=BB274_236 Depth=1
	s_or_b64 exec, exec, s[16:17]
.LBB274_265:                            ;   in Loop: Header=BB274_236 Depth=1
	s_or_b64 exec, exec, s[12:13]
.LBB274_266:                            ;   in Loop: Header=BB274_236 Depth=1
	s_or_b64 exec, exec, s[0:1]
	v_lshrrev_b16_e32 v8, 8, v8
	v_cmp_ne_u16_e32 vcc, 0, v8
	v_mov_b32_e32 v26, 0
	v_mov_b32_e32 v27, 0
	s_and_saveexec_b64 s[0:1], vcc
	s_cbranch_execz .LBB274_272
; %bb.267:                              ;   in Loop: Header=BB274_236 Depth=1
	v_cmp_ne_u16_e32 vcc, s21, v8
	v_bfrev_b32_e32 v27, 1
	s_and_saveexec_b64 s[12:13], vcc
	s_cbranch_execz .LBB274_271
; %bb.268:                              ;   in Loop: Header=BB274_236 Depth=1
	v_and_b32_e32 v28, 0x7f, v8
	v_cmp_ne_u32_e32 vcc, s22, v28
	v_mov_b32_e32 v27, 0x7fc02000
	s_and_saveexec_b64 s[16:17], vcc
	s_cbranch_execz .LBB274_270
; %bb.269:                              ;   in Loop: Header=BB274_236 Depth=1
	v_and_b32_e32 v27, 7, v8
	v_ffbh_u32_e32 v30, v27
	v_min_u32_e32 v40, 32, v30
	v_subrev_u32_e32 v30, 28, v40
	v_lshlrev_b64 v[30:31], v30, v[8:9]
	v_lshrrev_b32_e32 v29, 3, v28
	v_sub_u32_e32 v31, 29, v40
	v_cmp_gt_u32_e32 vcc, 8, v28
	v_cndmask_b32_e32 v28, v29, v31, vcc
	v_and_b32_e32 v30, 7, v30
	v_lshlrev_b32_e32 v8, 8, v8
	v_lshl_add_u32 v28, v28, 10, v7
	v_cndmask_b32_e32 v27, v27, v30, vcc
	v_and_or_b32 v8, v8, s23, v28
	v_lshl_or_b32 v8, v27, 7, v8
	v_cvt_f32_f16_e32 v27, v8
.LBB274_270:                            ;   in Loop: Header=BB274_236 Depth=1
	s_or_b64 exec, exec, s[16:17]
.LBB274_271:                            ;   in Loop: Header=BB274_236 Depth=1
	s_or_b64 exec, exec, s[12:13]
.LBB274_272:                            ;   in Loop: Header=BB274_236 Depth=1
	s_or_b64 exec, exec, s[0:1]
	v_lshrrev_b32_e32 v8, 16, v21
	v_cmp_ne_u16_sdwa s[12:13], v8, v9 src0_sel:BYTE_0 src1_sel:DWORD
	s_and_saveexec_b64 s[0:1], s[12:13]
	s_cbranch_execz .LBB274_278
; %bb.273:                              ;   in Loop: Header=BB274_236 Depth=1
	v_cmp_ne_u16_sdwa s[16:17], v8, s21 src0_sel:BYTE_0 src1_sel:DWORD
	v_bfrev_b32_e32 v26, 1
	s_and_saveexec_b64 s[12:13], s[16:17]
	s_cbranch_execz .LBB274_277
; %bb.274:                              ;   in Loop: Header=BB274_236 Depth=1
	v_bfe_u32 v28, v21, 16, 7
	v_cmp_ne_u32_e32 vcc, s22, v28
	v_mov_b32_e32 v26, 0x7fc02000
	s_and_saveexec_b64 s[16:17], vcc
	s_cbranch_execz .LBB274_276
; %bb.275:                              ;   in Loop: Header=BB274_236 Depth=1
	v_and_b32_e32 v26, 7, v8
	v_ffbh_u32_e32 v30, v26
	v_min_u32_e32 v40, 32, v30
	v_subrev_u32_e32 v30, 28, v40
	v_lshlrev_b64 v[30:31], v30, v[8:9]
	v_lshrrev_b32_e32 v29, 3, v28
	v_sub_u32_e32 v31, 29, v40
	v_cmp_gt_u32_e32 vcc, 8, v28
	v_cndmask_b32_e32 v28, v29, v31, vcc
	v_and_b32_e32 v30, 7, v30
	v_lshlrev_b32_e32 v8, 8, v8
	v_lshl_add_u32 v28, v28, 10, v7
	v_cndmask_b32_e32 v26, v26, v30, vcc
	v_and_or_b32 v8, v8, s23, v28
	v_lshl_or_b32 v8, v26, 7, v8
	v_cvt_f32_f16_e32 v26, v8
.LBB274_276:                            ;   in Loop: Header=BB274_236 Depth=1
	s_or_b64 exec, exec, s[16:17]
.LBB274_277:                            ;   in Loop: Header=BB274_236 Depth=1
	s_or_b64 exec, exec, s[12:13]
.LBB274_278:                            ;   in Loop: Header=BB274_236 Depth=1
	s_or_b64 exec, exec, s[0:1]
	v_cmp_lt_u64_e32 vcc, s[6:7], v[20:21]
	v_mov_b32_e32 v20, 0
	s_and_saveexec_b64 s[0:1], vcc
	s_cbranch_execz .LBB274_284
; %bb.279:                              ;   in Loop: Header=BB274_236 Depth=1
	v_lshrrev_b32_e32 v8, 24, v21
	v_cmp_ne_u32_e32 vcc, s21, v8
	v_bfrev_b32_e32 v20, 1
	s_and_saveexec_b64 s[12:13], vcc
	s_cbranch_execz .LBB274_283
; %bb.280:                              ;   in Loop: Header=BB274_236 Depth=1
	v_and_b32_e32 v21, 0x7f, v8
	v_cmp_ne_u32_e32 vcc, s22, v21
	v_mov_b32_e32 v20, 0x7fc02000
	s_and_saveexec_b64 s[16:17], vcc
	s_cbranch_execz .LBB274_282
; %bb.281:                              ;   in Loop: Header=BB274_236 Depth=1
	v_and_b32_e32 v20, 7, v8
	v_ffbh_u32_e32 v28, v20
	v_min_u32_e32 v31, 32, v28
	v_subrev_u32_e32 v28, 28, v31
	v_lshlrev_b64 v[28:29], v28, v[8:9]
	v_lshrrev_b32_e32 v30, 3, v21
	v_sub_u32_e32 v29, 29, v31
	v_cmp_gt_u32_e32 vcc, 8, v21
	v_cndmask_b32_e32 v21, v30, v29, vcc
	v_and_b32_e32 v28, 7, v28
	v_lshlrev_b32_e32 v8, 8, v8
	v_lshl_add_u32 v21, v21, 10, v7
	v_cndmask_b32_e32 v20, v20, v28, vcc
	v_and_or_b32 v8, v8, s23, v21
	v_lshl_or_b32 v8, v20, 7, v8
	v_cvt_f32_f16_e32 v20, v8
.LBB274_282:                            ;   in Loop: Header=BB274_236 Depth=1
	s_or_b64 exec, exec, s[16:17]
.LBB274_283:                            ;   in Loop: Header=BB274_236 Depth=1
	s_or_b64 exec, exec, s[12:13]
.LBB274_284:                            ;   in Loop: Header=BB274_236 Depth=1
	s_or_b64 exec, exec, s[0:1]
	s_waitcnt vmcnt(0)
	v_pk_mul_f32 v[22:23], v[16:17], v[22:23] op_sel_hi:[0,1]
	v_pk_mul_f32 v[18:19], v[16:17], v[18:19] op_sel_hi:[0,1]
	v_cvt_f16_f32_e32 v8, v23
	v_cvt_f16_f32_e32 v21, v22
	;; [unrolled: 1-line block ×4, first 2 shown]
	v_cmp_eq_u32_e32 vcc, s31, v6
	v_pack_b32_f16 v21, v21, v8
	v_add_u32_e32 v31, 1, v24
	v_pack_b32_f16 v18, v18, v19
	v_fma_mixlo_f16 v19, v16, v27, 0
	v_perm_b32 v8, v18, v21, s25
	v_perm_b32 v18, v18, v21, s26
	v_lshlrev_b32_e32 v19, 16, v19
	v_fma_mixlo_f16 v21, v16, v25, 0
	v_or_b32_sdwa v19, v19, v21 dst_sel:DWORD dst_unused:UNUSED_PAD src0_sel:DWORD src1_sel:WORD_0
	v_fma_mixlo_f16 v21, v16, v26, 0
	v_fma_mixlo_f16 v16, v16, v20, 0
	v_lshlrev_b32_e32 v16, 16, v16
	v_or_b32_sdwa v16, v16, v21 dst_sel:DWORD dst_unused:UNUSED_PAD src0_sel:DWORD src1_sel:WORD_0
	v_or_b32_e32 v30, 3, v24
	v_or_b32_e32 v29, 2, v24
	;; [unrolled: 1-line block ×6, first 2 shown]
	s_and_saveexec_b64 s[12:13], vcc
	s_cbranch_execz .LBB274_286
; %bb.285:                              ;   in Loop: Header=BB274_236 Depth=1
	v_lshrrev_b32_e32 v20, 16, v18
	v_cmp_gt_i32_e64 s[0:1], s9, v31
	v_cndmask_b32_e64 v20, 0, v20, s[0:1]
	v_cmp_gt_i32_e64 s[0:1], s35, v24
	v_cndmask_b32_e64 v18, 0, v18, s[0:1]
	v_perm_b32 v18, v20, v18, s27
	v_lshrrev_b32_e32 v20, 16, v8
	v_cmp_gt_i32_e64 s[0:1], s9, v30
	v_cndmask_b32_e64 v20, 0, v20, s[0:1]
	v_cmp_gt_i32_e64 s[0:1], s35, v29
	v_cndmask_b32_e64 v8, 0, v8, s[0:1]
	v_perm_b32 v8, v20, v8, s27
	v_lshrrev_b32_e32 v20, 16, v19
	v_cmp_gt_i32_e64 s[0:1], s9, v28
	v_cndmask_b32_e64 v20, 0, v20, s[0:1]
	v_cmp_gt_i32_e64 s[0:1], s35, v27
	v_cndmask_b32_e64 v19, 0, v19, s[0:1]
	v_lshrrev_b32_e32 v16, 16, v16
	v_cmp_gt_i32_e64 s[0:1], s9, v26
	v_cndmask_b32_e64 v16, 0, v16, s[0:1]
	v_cmp_gt_i32_e64 s[0:1], s35, v25
	v_perm_b32 v19, v20, v19, s27
	v_cndmask_b32_e64 v20, 0, v21, s[0:1]
	v_perm_b32 v16, v16, v20, s27
.LBB274_286:                            ;   in Loop: Header=BB274_236 Depth=1
	s_or_b64 exec, exec, s[12:13]
	v_and_b32_e32 v20, 0xffff, v32
	v_lshl_or_b32 v32, v33, 16, v20
	v_and_b32_e32 v20, 0xffff, v34
	v_lshl_or_b32 v33, v35, 16, v20
	;; [unrolled: 2-line block ×3, first 2 shown]
	v_and_b32_e32 v20, 0xffff, v38
	;;#ASMSTART
	v_pk_mul_f16 v18, v32, v18;

	;;#ASMEND
	;;#ASMSTART
	v_pk_mul_f16 v8, v33, v8;

	;;#ASMEND
	v_lshl_or_b32 v35, v39, 16, v20
	;;#ASMSTART
	v_pk_mul_f16 v19, v34, v19;

	;;#ASMEND
	;;#ASMSTART
	v_pk_mul_f16 v16, v35, v16;

	;;#ASMEND
	;;#ASMSTART
	v_pk_add_f16 v8, v18, v8;

	;;#ASMEND
	;;#ASMSTART
	v_pk_add_f16 v8, v8, v19;
	;; [unrolled: 4-line block ×3, first 2 shown]

	;;#ASMEND
	v_lshrrev_b32_e32 v16, 16, v8
	v_and_b32_e32 v8, 0xffff, v8
	;;#ASMSTART
	v_cvt_f32_f16 v36, v8;
	;;#ASMEND
	;;#ASMSTART
	v_cvt_f32_f16 v37, v16;
	;;#ASMEND
	global_load_dwordx2 v[22:23], v[14:15], off offset:512
	global_load_dword v16, v9, s[14:15]
	v_mov_b32_e32 v20, 0
	v_mov_b32_e32 v18, 0
	s_waitcnt vmcnt(1)
	v_cmp_ne_u16_sdwa s[0:1], v22, v9 src0_sel:BYTE_0 src1_sel:DWORD
	s_and_saveexec_b64 s[12:13], s[0:1]
	s_cbranch_execz .LBB274_292
; %bb.287:                              ;   in Loop: Header=BB274_236 Depth=1
	v_cmp_ne_u16_sdwa s[0:1], v22, s21 src0_sel:BYTE_0 src1_sel:DWORD
	v_bfrev_b32_e32 v18, 1
	s_and_saveexec_b64 s[16:17], s[0:1]
	s_cbranch_execz .LBB274_291
; %bb.288:                              ;   in Loop: Header=BB274_236 Depth=1
	v_and_b32_e32 v8, 0x7f, v22
	v_cmp_ne_u32_e64 s[0:1], s22, v8
	v_mov_b32_e32 v18, 0x7fc02000
	s_and_saveexec_b64 s[18:19], s[0:1]
	s_cbranch_execz .LBB274_290
; %bb.289:                              ;   in Loop: Header=BB274_236 Depth=1
	v_and_b32_e32 v18, 7, v22
	v_ffbh_u32_e32 v18, v18
	v_min_u32_e32 v18, 32, v18
	v_subrev_u32_e32 v19, 28, v18
	v_cmp_gt_u32_e64 s[0:1], 8, v8
	v_lshrrev_b32_e32 v21, 3, v8
	v_sub_u32_e32 v38, 29, v18
	v_cndmask_b32_e64 v8, 0, v19, s[0:1]
	v_lshlrev_b64 v[18:19], v8, v[22:23]
	v_cndmask_b32_e64 v8, v21, v38, s[0:1]
	v_lshlrev_b32_e32 v19, 8, v22
	v_lshl_add_u32 v8, v8, 10, v7
	v_lshlrev_b32_e32 v18, 7, v18
	v_and_or_b32 v8, v19, s23, v8
	v_and_or_b32 v8, v18, s24, v8
	v_cvt_f32_f16_e32 v18, v8
.LBB274_290:                            ;   in Loop: Header=BB274_236 Depth=1
	s_or_b64 exec, exec, s[18:19]
.LBB274_291:                            ;   in Loop: Header=BB274_236 Depth=1
	s_or_b64 exec, exec, s[16:17]
.LBB274_292:                            ;   in Loop: Header=BB274_236 Depth=1
	s_or_b64 exec, exec, s[12:13]
	v_lshrrev_b16_e32 v8, 8, v22
	v_cmp_ne_u16_e64 s[0:1], 0, v8
	s_and_saveexec_b64 s[12:13], s[0:1]
	s_cbranch_execz .LBB274_298
; %bb.293:                              ;   in Loop: Header=BB274_236 Depth=1
	v_cmp_ne_u16_e64 s[0:1], s21, v8
	v_bfrev_b32_e32 v20, 1
	s_and_saveexec_b64 s[16:17], s[0:1]
	s_cbranch_execz .LBB274_297
; %bb.294:                              ;   in Loop: Header=BB274_236 Depth=1
	v_and_b32_e32 v19, 0x7f, v8
	v_cmp_ne_u32_e64 s[0:1], s22, v19
	v_mov_b32_e32 v20, 0x7fc02000
	s_and_saveexec_b64 s[18:19], s[0:1]
	s_cbranch_execz .LBB274_296
; %bb.295:                              ;   in Loop: Header=BB274_236 Depth=1
	v_and_b32_e32 v38, 7, v8
	v_ffbh_u32_e32 v20, v38
	v_min_u32_e32 v40, 32, v20
	v_subrev_u32_e32 v20, 28, v40
	v_lshlrev_b64 v[20:21], v20, v[8:9]
	v_lshrrev_b32_e32 v39, 3, v19
	v_sub_u32_e32 v21, 29, v40
	v_cmp_gt_u32_e64 s[0:1], 8, v19
	v_cndmask_b32_e64 v19, v39, v21, s[0:1]
	v_and_b32_e32 v20, 7, v20
	v_lshlrev_b32_e32 v8, 8, v8
	v_lshl_add_u32 v19, v19, 10, v7
	v_cndmask_b32_e64 v20, v38, v20, s[0:1]
	v_and_or_b32 v8, v8, s23, v19
	v_lshl_or_b32 v8, v20, 7, v8
	v_cvt_f32_f16_e32 v20, v8
.LBB274_296:                            ;   in Loop: Header=BB274_236 Depth=1
	s_or_b64 exec, exec, s[18:19]
.LBB274_297:                            ;   in Loop: Header=BB274_236 Depth=1
	s_or_b64 exec, exec, s[16:17]
.LBB274_298:                            ;   in Loop: Header=BB274_236 Depth=1
	s_or_b64 exec, exec, s[12:13]
	v_lshrrev_b32_e32 v8, 16, v22
	v_cmp_ne_u16_sdwa s[0:1], v8, v9 src0_sel:BYTE_0 src1_sel:DWORD
	v_mov_b32_e32 v21, 0
	v_mov_b32_e32 v19, 0
	s_and_saveexec_b64 s[12:13], s[0:1]
	s_cbranch_execz .LBB274_304
; %bb.299:                              ;   in Loop: Header=BB274_236 Depth=1
	v_cmp_ne_u16_sdwa s[0:1], v8, s21 src0_sel:BYTE_0 src1_sel:DWORD
	v_bfrev_b32_e32 v19, 1
	s_and_saveexec_b64 s[16:17], s[0:1]
	s_cbranch_execz .LBB274_303
; %bb.300:                              ;   in Loop: Header=BB274_236 Depth=1
	v_bfe_u32 v38, v22, 16, 7
	v_cmp_ne_u32_e64 s[0:1], s22, v38
	v_mov_b32_e32 v19, 0x7fc02000
	s_and_saveexec_b64 s[18:19], s[0:1]
	s_cbranch_execz .LBB274_302
; %bb.301:                              ;   in Loop: Header=BB274_236 Depth=1
	v_and_b32_e32 v19, 7, v8
	v_ffbh_u32_e32 v40, v19
	v_min_u32_e32 v42, 32, v40
	v_subrev_u32_e32 v40, 28, v42
	v_lshlrev_b64 v[40:41], v40, v[8:9]
	v_lshrrev_b32_e32 v39, 3, v38
	v_sub_u32_e32 v41, 29, v42
	v_cmp_gt_u32_e64 s[0:1], 8, v38
	v_cndmask_b32_e64 v38, v39, v41, s[0:1]
	v_and_b32_e32 v40, 7, v40
	v_lshlrev_b32_e32 v8, 8, v8
	v_lshl_add_u32 v38, v38, 10, v7
	v_cndmask_b32_e64 v19, v19, v40, s[0:1]
	v_and_or_b32 v8, v8, s23, v38
	v_lshl_or_b32 v8, v19, 7, v8
	v_cvt_f32_f16_e32 v19, v8
.LBB274_302:                            ;   in Loop: Header=BB274_236 Depth=1
	s_or_b64 exec, exec, s[18:19]
.LBB274_303:                            ;   in Loop: Header=BB274_236 Depth=1
	s_or_b64 exec, exec, s[16:17]
.LBB274_304:                            ;   in Loop: Header=BB274_236 Depth=1
	s_or_b64 exec, exec, s[12:13]
	v_cmp_lt_u32_e64 s[0:1], s7, v22
	s_and_saveexec_b64 s[12:13], s[0:1]
	s_cbranch_execz .LBB274_310
; %bb.305:                              ;   in Loop: Header=BB274_236 Depth=1
	v_lshrrev_b32_e32 v8, 24, v22
	v_cmp_ne_u32_e64 s[0:1], s21, v8
	v_bfrev_b32_e32 v21, 1
	s_and_saveexec_b64 s[16:17], s[0:1]
	s_cbranch_execz .LBB274_309
; %bb.306:                              ;   in Loop: Header=BB274_236 Depth=1
	v_and_b32_e32 v38, 0x7f, v8
	v_cmp_ne_u32_e64 s[0:1], s22, v38
	v_mov_b32_e32 v21, 0x7fc02000
	s_and_saveexec_b64 s[18:19], s[0:1]
	s_cbranch_execz .LBB274_308
; %bb.307:                              ;   in Loop: Header=BB274_236 Depth=1
	v_and_b32_e32 v21, 7, v8
	v_ffbh_u32_e32 v40, v21
	v_min_u32_e32 v42, 32, v40
	v_subrev_u32_e32 v40, 28, v42
	v_lshlrev_b64 v[40:41], v40, v[8:9]
	v_lshrrev_b32_e32 v39, 3, v38
	v_sub_u32_e32 v41, 29, v42
	v_cmp_gt_u32_e64 s[0:1], 8, v38
	v_cndmask_b32_e64 v38, v39, v41, s[0:1]
	v_and_b32_e32 v40, 7, v40
	v_lshlrev_b32_e32 v8, 8, v8
	v_lshl_add_u32 v38, v38, 10, v7
	v_cndmask_b32_e64 v21, v21, v40, s[0:1]
	v_and_or_b32 v8, v8, s23, v38
	v_lshl_or_b32 v8, v21, 7, v8
	v_cvt_f32_f16_e32 v21, v8
.LBB274_308:                            ;   in Loop: Header=BB274_236 Depth=1
	s_or_b64 exec, exec, s[18:19]
.LBB274_309:                            ;   in Loop: Header=BB274_236 Depth=1
	s_or_b64 exec, exec, s[16:17]
.LBB274_310:                            ;   in Loop: Header=BB274_236 Depth=1
	s_or_b64 exec, exec, s[12:13]
	v_mov_b32_e32 v8, v23
	v_cmp_ne_u16_sdwa s[0:1], v23, v9 src0_sel:BYTE_0 src1_sel:DWORD
	v_mov_b32_e32 v39, 0
	v_mov_b32_e32 v38, 0
	s_and_saveexec_b64 s[12:13], s[0:1]
	s_cbranch_execz .LBB274_316
; %bb.311:                              ;   in Loop: Header=BB274_236 Depth=1
	v_cmp_ne_u16_sdwa s[0:1], v23, s21 src0_sel:BYTE_0 src1_sel:DWORD
	v_bfrev_b32_e32 v38, 1
	s_and_saveexec_b64 s[16:17], s[0:1]
	s_cbranch_execz .LBB274_315
; %bb.312:                              ;   in Loop: Header=BB274_236 Depth=1
	v_and_b32_e32 v40, 0x7f, v23
	v_cmp_ne_u32_e64 s[0:1], s22, v40
	v_mov_b32_e32 v38, 0x7fc02000
	s_and_saveexec_b64 s[18:19], s[0:1]
	s_cbranch_execz .LBB274_314
; %bb.313:                              ;   in Loop: Header=BB274_236 Depth=1
	v_and_b32_e32 v38, 7, v23
	v_ffbh_u32_e32 v38, v38
	v_min_u32_e32 v38, 32, v38
	v_subrev_u32_e32 v41, 28, v38
	v_cmp_gt_u32_e64 s[0:1], 8, v40
	v_lshrrev_b32_e32 v42, 3, v40
	v_sub_u32_e32 v38, 29, v38
	v_cndmask_b32_e64 v40, 0, v41, s[0:1]
	v_lshlrev_b64 v[40:41], v40, v[8:9]
	v_cndmask_b32_e64 v38, v42, v38, s[0:1]
	v_lshlrev_b32_e32 v41, 8, v23
	v_lshl_add_u32 v38, v38, 10, v7
	v_lshlrev_b32_e32 v40, 7, v40
	v_and_or_b32 v38, v41, s23, v38
	v_and_or_b32 v38, v40, s24, v38
	v_cvt_f32_f16_e32 v38, v38
.LBB274_314:                            ;   in Loop: Header=BB274_236 Depth=1
	s_or_b64 exec, exec, s[18:19]
.LBB274_315:                            ;   in Loop: Header=BB274_236 Depth=1
	s_or_b64 exec, exec, s[16:17]
.LBB274_316:                            ;   in Loop: Header=BB274_236 Depth=1
	s_or_b64 exec, exec, s[12:13]
	v_lshrrev_b16_e32 v8, 8, v8
	v_cmp_ne_u16_e64 s[0:1], 0, v8
	s_and_saveexec_b64 s[12:13], s[0:1]
	s_cbranch_execz .LBB274_322
; %bb.317:                              ;   in Loop: Header=BB274_236 Depth=1
	v_cmp_ne_u16_e64 s[0:1], s21, v8
	v_bfrev_b32_e32 v39, 1
	s_and_saveexec_b64 s[16:17], s[0:1]
	s_cbranch_execz .LBB274_321
; %bb.318:                              ;   in Loop: Header=BB274_236 Depth=1
	v_and_b32_e32 v40, 0x7f, v8
	v_cmp_ne_u32_e64 s[0:1], s22, v40
	v_mov_b32_e32 v39, 0x7fc02000
	s_and_saveexec_b64 s[18:19], s[0:1]
	s_cbranch_execz .LBB274_320
; %bb.319:                              ;   in Loop: Header=BB274_236 Depth=1
	v_and_b32_e32 v39, 7, v8
	v_ffbh_u32_e32 v42, v39
	v_min_u32_e32 v44, 32, v42
	v_subrev_u32_e32 v42, 28, v44
	v_lshlrev_b64 v[42:43], v42, v[8:9]
	v_lshrrev_b32_e32 v41, 3, v40
	v_sub_u32_e32 v43, 29, v44
	v_cmp_gt_u32_e64 s[0:1], 8, v40
	v_cndmask_b32_e64 v40, v41, v43, s[0:1]
	v_and_b32_e32 v42, 7, v42
	v_lshlrev_b32_e32 v8, 8, v8
	v_lshl_add_u32 v40, v40, 10, v7
	v_cndmask_b32_e64 v39, v39, v42, s[0:1]
	v_and_or_b32 v8, v8, s23, v40
	v_lshl_or_b32 v8, v39, 7, v8
	v_cvt_f32_f16_e32 v39, v8
.LBB274_320:                            ;   in Loop: Header=BB274_236 Depth=1
	s_or_b64 exec, exec, s[18:19]
.LBB274_321:                            ;   in Loop: Header=BB274_236 Depth=1
	s_or_b64 exec, exec, s[16:17]
.LBB274_322:                            ;   in Loop: Header=BB274_236 Depth=1
	s_or_b64 exec, exec, s[12:13]
	v_lshrrev_b32_e32 v8, 16, v23
	v_cmp_ne_u16_sdwa s[0:1], v8, v9 src0_sel:BYTE_0 src1_sel:DWORD
	v_mov_b32_e32 v40, 0
	v_mov_b32_e32 v41, 0
	s_and_saveexec_b64 s[12:13], s[0:1]
	s_cbranch_execz .LBB274_328
; %bb.323:                              ;   in Loop: Header=BB274_236 Depth=1
	v_cmp_ne_u16_sdwa s[0:1], v8, s21 src0_sel:BYTE_0 src1_sel:DWORD
	v_bfrev_b32_e32 v41, 1
	s_and_saveexec_b64 s[16:17], s[0:1]
	s_cbranch_execz .LBB274_327
; %bb.324:                              ;   in Loop: Header=BB274_236 Depth=1
	v_bfe_u32 v42, v23, 16, 7
	v_cmp_ne_u32_e64 s[0:1], s22, v42
	v_mov_b32_e32 v41, 0x7fc02000
	s_and_saveexec_b64 s[18:19], s[0:1]
	s_cbranch_execz .LBB274_326
; %bb.325:                              ;   in Loop: Header=BB274_236 Depth=1
	v_and_b32_e32 v41, 7, v8
	v_ffbh_u32_e32 v44, v41
	v_min_u32_e32 v46, 32, v44
	v_subrev_u32_e32 v44, 28, v46
	v_lshlrev_b64 v[44:45], v44, v[8:9]
	v_lshrrev_b32_e32 v43, 3, v42
	v_sub_u32_e32 v45, 29, v46
	v_cmp_gt_u32_e64 s[0:1], 8, v42
	v_cndmask_b32_e64 v42, v43, v45, s[0:1]
	v_and_b32_e32 v44, 7, v44
	v_lshlrev_b32_e32 v8, 8, v8
	v_lshl_add_u32 v42, v42, 10, v7
	v_cndmask_b32_e64 v41, v41, v44, s[0:1]
	v_and_or_b32 v8, v8, s23, v42
	v_lshl_or_b32 v8, v41, 7, v8
	v_cvt_f32_f16_e32 v41, v8
.LBB274_326:                            ;   in Loop: Header=BB274_236 Depth=1
	s_or_b64 exec, exec, s[18:19]
.LBB274_327:                            ;   in Loop: Header=BB274_236 Depth=1
	s_or_b64 exec, exec, s[16:17]
.LBB274_328:                            ;   in Loop: Header=BB274_236 Depth=1
	s_or_b64 exec, exec, s[12:13]
	v_cmp_lt_u64_e64 s[0:1], s[6:7], v[22:23]
	s_and_saveexec_b64 s[12:13], s[0:1]
	s_cbranch_execz .LBB274_334
; %bb.329:                              ;   in Loop: Header=BB274_236 Depth=1
	v_lshrrev_b32_e32 v8, 24, v23
	v_cmp_ne_u32_e64 s[0:1], s21, v8
	v_bfrev_b32_e32 v40, 1
	s_and_saveexec_b64 s[16:17], s[0:1]
	s_cbranch_execz .LBB274_333
; %bb.330:                              ;   in Loop: Header=BB274_236 Depth=1
	v_and_b32_e32 v22, 0x7f, v8
	v_cmp_ne_u32_e64 s[0:1], s22, v22
	v_mov_b32_e32 v40, 0x7fc02000
	s_and_saveexec_b64 s[18:19], s[0:1]
	s_cbranch_execz .LBB274_332
; %bb.331:                              ;   in Loop: Header=BB274_236 Depth=1
	v_and_b32_e32 v23, 7, v8
	v_ffbh_u32_e32 v42, v23
	v_min_u32_e32 v44, 32, v42
	v_subrev_u32_e32 v42, 28, v44
	v_lshlrev_b64 v[42:43], v42, v[8:9]
	v_lshrrev_b32_e32 v40, 3, v22
	v_sub_u32_e32 v43, 29, v44
	v_cmp_gt_u32_e64 s[0:1], 8, v22
	v_cndmask_b32_e64 v22, v40, v43, s[0:1]
	v_and_b32_e32 v42, 7, v42
	v_lshlrev_b32_e32 v8, 8, v8
	v_lshl_add_u32 v22, v22, 10, v7
	v_cndmask_b32_e64 v23, v23, v42, s[0:1]
	v_and_or_b32 v8, v8, s23, v22
	v_lshl_or_b32 v8, v23, 7, v8
	v_cvt_f32_f16_e32 v40, v8
.LBB274_332:                            ;   in Loop: Header=BB274_236 Depth=1
	s_or_b64 exec, exec, s[18:19]
.LBB274_333:                            ;   in Loop: Header=BB274_236 Depth=1
	s_or_b64 exec, exec, s[16:17]
.LBB274_334:                            ;   in Loop: Header=BB274_236 Depth=1
	s_or_b64 exec, exec, s[12:13]
	s_waitcnt vmcnt(0)
	v_pk_mul_f32 v[20:21], v[16:17], v[20:21] op_sel_hi:[0,1]
	v_pk_mul_f32 v[18:19], v[16:17], v[18:19] op_sel_hi:[0,1]
	v_cvt_f16_f32_e32 v8, v21
	v_cvt_f16_f32_e32 v20, v20
	;; [unrolled: 1-line block ×4, first 2 shown]
	v_pack_b32_f16 v20, v20, v8
	v_pack_b32_f16 v18, v18, v19
	v_fma_mixlo_f16 v19, v16, v39, 0
	v_perm_b32 v8, v18, v20, s25
	v_perm_b32 v18, v18, v20, s26
	v_lshlrev_b32_e32 v19, 16, v19
	v_fma_mixlo_f16 v20, v16, v38, 0
	v_or_b32_sdwa v19, v19, v20 dst_sel:DWORD dst_unused:UNUSED_PAD src0_sel:DWORD src1_sel:WORD_0
	v_fma_mixlo_f16 v20, v16, v41, 0
	v_fma_mixlo_f16 v16, v16, v40, 0
	v_lshlrev_b32_e32 v16, 16, v16
	v_or_b32_sdwa v16, v16, v20 dst_sel:DWORD dst_unused:UNUSED_PAD src0_sel:DWORD src1_sel:WORD_0
	s_and_saveexec_b64 s[12:13], vcc
	s_cbranch_execz .LBB274_336
; %bb.335:                              ;   in Loop: Header=BB274_236 Depth=1
	v_lshrrev_b32_e32 v21, 16, v18
	v_cmp_gt_i32_e64 s[0:1], s9, v31
	v_cndmask_b32_e64 v21, 0, v21, s[0:1]
	v_cmp_gt_i32_e64 s[0:1], s35, v24
	v_cndmask_b32_e64 v18, 0, v18, s[0:1]
	v_perm_b32 v18, v21, v18, s27
	v_lshrrev_b32_e32 v21, 16, v8
	v_cmp_gt_i32_e64 s[0:1], s9, v30
	v_cndmask_b32_e64 v21, 0, v21, s[0:1]
	v_cmp_gt_i32_e64 s[0:1], s35, v29
	v_cndmask_b32_e64 v8, 0, v8, s[0:1]
	v_perm_b32 v8, v21, v8, s27
	v_lshrrev_b32_e32 v21, 16, v19
	v_cmp_gt_i32_e64 s[0:1], s9, v28
	v_cndmask_b32_e64 v21, 0, v21, s[0:1]
	v_cmp_gt_i32_e64 s[0:1], s35, v27
	v_cndmask_b32_e64 v19, 0, v19, s[0:1]
	v_lshrrev_b32_e32 v16, 16, v16
	v_cmp_gt_i32_e64 s[0:1], s9, v26
	v_cndmask_b32_e64 v16, 0, v16, s[0:1]
	v_cmp_gt_i32_e64 s[0:1], s35, v25
	v_cndmask_b32_e64 v20, 0, v20, s[0:1]
	v_perm_b32 v19, v21, v19, s27
	v_perm_b32 v16, v16, v20, s27
.LBB274_336:                            ;   in Loop: Header=BB274_236 Depth=1
	s_or_b64 exec, exec, s[12:13]
	;;#ASMSTART
	v_pk_mul_f16 v18, v32, v18;

	;;#ASMEND
	;;#ASMSTART
	v_pk_mul_f16 v8, v33, v8;

	;;#ASMEND
	;; [unrolled: 4-line block ×4, first 2 shown]
	;;#ASMSTART
	v_pk_add_f16 v8, v18, v8;

	;;#ASMEND
	;;#ASMSTART
	v_pk_add_f16 v8, v8, v19;

	;;#ASMEND
	;; [unrolled: 4-line block ×3, first 2 shown]
	v_lshrrev_b32_e32 v16, 16, v8
	v_and_b32_e32 v8, 0xffff, v8
	;;#ASMSTART
	v_cvt_f32_f16 v38, v8;
	;;#ASMEND
	;;#ASMSTART
	v_cvt_f32_f16 v39, v16;
	;;#ASMEND
	global_load_dwordx2 v[22:23], v[14:15], off offset:1024
	global_load_dword v16, v9, s[14:15]
	v_mov_b32_e32 v20, 0
	v_mov_b32_e32 v18, 0
	s_waitcnt vmcnt(1)
	v_cmp_ne_u16_sdwa s[0:1], v22, v9 src0_sel:BYTE_0 src1_sel:DWORD
	s_and_saveexec_b64 s[12:13], s[0:1]
	s_cbranch_execz .LBB274_342
; %bb.337:                              ;   in Loop: Header=BB274_236 Depth=1
	v_cmp_ne_u16_sdwa s[0:1], v22, s21 src0_sel:BYTE_0 src1_sel:DWORD
	v_bfrev_b32_e32 v18, 1
	s_and_saveexec_b64 s[16:17], s[0:1]
	s_cbranch_execz .LBB274_341
; %bb.338:                              ;   in Loop: Header=BB274_236 Depth=1
	v_and_b32_e32 v8, 0x7f, v22
	v_cmp_ne_u32_e64 s[0:1], s22, v8
	v_mov_b32_e32 v18, 0x7fc02000
	s_and_saveexec_b64 s[18:19], s[0:1]
	s_cbranch_execz .LBB274_340
; %bb.339:                              ;   in Loop: Header=BB274_236 Depth=1
	v_and_b32_e32 v18, 7, v22
	v_ffbh_u32_e32 v18, v18
	v_min_u32_e32 v18, 32, v18
	v_subrev_u32_e32 v19, 28, v18
	v_cmp_gt_u32_e64 s[0:1], 8, v8
	v_lshrrev_b32_e32 v21, 3, v8
	v_sub_u32_e32 v40, 29, v18
	v_cndmask_b32_e64 v8, 0, v19, s[0:1]
	v_lshlrev_b64 v[18:19], v8, v[22:23]
	v_cndmask_b32_e64 v8, v21, v40, s[0:1]
	v_lshlrev_b32_e32 v19, 8, v22
	v_lshl_add_u32 v8, v8, 10, v7
	v_lshlrev_b32_e32 v18, 7, v18
	v_and_or_b32 v8, v19, s23, v8
	v_and_or_b32 v8, v18, s24, v8
	v_cvt_f32_f16_e32 v18, v8
.LBB274_340:                            ;   in Loop: Header=BB274_236 Depth=1
	s_or_b64 exec, exec, s[18:19]
.LBB274_341:                            ;   in Loop: Header=BB274_236 Depth=1
	s_or_b64 exec, exec, s[16:17]
.LBB274_342:                            ;   in Loop: Header=BB274_236 Depth=1
	s_or_b64 exec, exec, s[12:13]
	v_lshrrev_b16_e32 v8, 8, v22
	v_cmp_ne_u16_e64 s[0:1], 0, v8
	s_and_saveexec_b64 s[12:13], s[0:1]
	s_cbranch_execz .LBB274_348
; %bb.343:                              ;   in Loop: Header=BB274_236 Depth=1
	v_cmp_ne_u16_e64 s[0:1], s21, v8
	v_bfrev_b32_e32 v20, 1
	s_and_saveexec_b64 s[16:17], s[0:1]
	s_cbranch_execz .LBB274_347
; %bb.344:                              ;   in Loop: Header=BB274_236 Depth=1
	v_and_b32_e32 v19, 0x7f, v8
	v_cmp_ne_u32_e64 s[0:1], s22, v19
	v_mov_b32_e32 v20, 0x7fc02000
	s_and_saveexec_b64 s[18:19], s[0:1]
	s_cbranch_execz .LBB274_346
; %bb.345:                              ;   in Loop: Header=BB274_236 Depth=1
	v_and_b32_e32 v40, 7, v8
	v_ffbh_u32_e32 v20, v40
	v_min_u32_e32 v42, 32, v20
	v_subrev_u32_e32 v20, 28, v42
	v_lshlrev_b64 v[20:21], v20, v[8:9]
	v_lshrrev_b32_e32 v41, 3, v19
	v_sub_u32_e32 v21, 29, v42
	v_cmp_gt_u32_e64 s[0:1], 8, v19
	v_cndmask_b32_e64 v19, v41, v21, s[0:1]
	v_and_b32_e32 v20, 7, v20
	v_lshlrev_b32_e32 v8, 8, v8
	v_lshl_add_u32 v19, v19, 10, v7
	v_cndmask_b32_e64 v20, v40, v20, s[0:1]
	v_and_or_b32 v8, v8, s23, v19
	v_lshl_or_b32 v8, v20, 7, v8
	v_cvt_f32_f16_e32 v20, v8
.LBB274_346:                            ;   in Loop: Header=BB274_236 Depth=1
	s_or_b64 exec, exec, s[18:19]
.LBB274_347:                            ;   in Loop: Header=BB274_236 Depth=1
	s_or_b64 exec, exec, s[16:17]
.LBB274_348:                            ;   in Loop: Header=BB274_236 Depth=1
	s_or_b64 exec, exec, s[12:13]
	v_lshrrev_b32_e32 v8, 16, v22
	v_cmp_ne_u16_sdwa s[0:1], v8, v9 src0_sel:BYTE_0 src1_sel:DWORD
	v_mov_b32_e32 v21, 0
	v_mov_b32_e32 v19, 0
	s_and_saveexec_b64 s[12:13], s[0:1]
	s_cbranch_execz .LBB274_354
; %bb.349:                              ;   in Loop: Header=BB274_236 Depth=1
	v_cmp_ne_u16_sdwa s[0:1], v8, s21 src0_sel:BYTE_0 src1_sel:DWORD
	v_bfrev_b32_e32 v19, 1
	s_and_saveexec_b64 s[16:17], s[0:1]
	s_cbranch_execz .LBB274_353
; %bb.350:                              ;   in Loop: Header=BB274_236 Depth=1
	v_bfe_u32 v40, v22, 16, 7
	v_cmp_ne_u32_e64 s[0:1], s22, v40
	v_mov_b32_e32 v19, 0x7fc02000
	s_and_saveexec_b64 s[18:19], s[0:1]
	s_cbranch_execz .LBB274_352
; %bb.351:                              ;   in Loop: Header=BB274_236 Depth=1
	v_and_b32_e32 v19, 7, v8
	v_ffbh_u32_e32 v42, v19
	v_min_u32_e32 v44, 32, v42
	v_subrev_u32_e32 v42, 28, v44
	v_lshlrev_b64 v[42:43], v42, v[8:9]
	v_lshrrev_b32_e32 v41, 3, v40
	v_sub_u32_e32 v43, 29, v44
	v_cmp_gt_u32_e64 s[0:1], 8, v40
	v_cndmask_b32_e64 v40, v41, v43, s[0:1]
	v_and_b32_e32 v42, 7, v42
	v_lshlrev_b32_e32 v8, 8, v8
	v_lshl_add_u32 v40, v40, 10, v7
	v_cndmask_b32_e64 v19, v19, v42, s[0:1]
	v_and_or_b32 v8, v8, s23, v40
	v_lshl_or_b32 v8, v19, 7, v8
	v_cvt_f32_f16_e32 v19, v8
.LBB274_352:                            ;   in Loop: Header=BB274_236 Depth=1
	s_or_b64 exec, exec, s[18:19]
.LBB274_353:                            ;   in Loop: Header=BB274_236 Depth=1
	s_or_b64 exec, exec, s[16:17]
.LBB274_354:                            ;   in Loop: Header=BB274_236 Depth=1
	s_or_b64 exec, exec, s[12:13]
	v_cmp_lt_u32_e64 s[0:1], s7, v22
	s_and_saveexec_b64 s[12:13], s[0:1]
	s_cbranch_execz .LBB274_360
; %bb.355:                              ;   in Loop: Header=BB274_236 Depth=1
	v_lshrrev_b32_e32 v8, 24, v22
	v_cmp_ne_u32_e64 s[0:1], s21, v8
	v_bfrev_b32_e32 v21, 1
	s_and_saveexec_b64 s[16:17], s[0:1]
	s_cbranch_execz .LBB274_359
; %bb.356:                              ;   in Loop: Header=BB274_236 Depth=1
	v_and_b32_e32 v40, 0x7f, v8
	v_cmp_ne_u32_e64 s[0:1], s22, v40
	v_mov_b32_e32 v21, 0x7fc02000
	s_and_saveexec_b64 s[18:19], s[0:1]
	s_cbranch_execz .LBB274_358
; %bb.357:                              ;   in Loop: Header=BB274_236 Depth=1
	v_and_b32_e32 v21, 7, v8
	v_ffbh_u32_e32 v42, v21
	v_min_u32_e32 v44, 32, v42
	v_subrev_u32_e32 v42, 28, v44
	v_lshlrev_b64 v[42:43], v42, v[8:9]
	v_lshrrev_b32_e32 v41, 3, v40
	v_sub_u32_e32 v43, 29, v44
	v_cmp_gt_u32_e64 s[0:1], 8, v40
	v_cndmask_b32_e64 v40, v41, v43, s[0:1]
	v_and_b32_e32 v42, 7, v42
	v_lshlrev_b32_e32 v8, 8, v8
	v_lshl_add_u32 v40, v40, 10, v7
	v_cndmask_b32_e64 v21, v21, v42, s[0:1]
	v_and_or_b32 v8, v8, s23, v40
	v_lshl_or_b32 v8, v21, 7, v8
	v_cvt_f32_f16_e32 v21, v8
.LBB274_358:                            ;   in Loop: Header=BB274_236 Depth=1
	s_or_b64 exec, exec, s[18:19]
.LBB274_359:                            ;   in Loop: Header=BB274_236 Depth=1
	s_or_b64 exec, exec, s[16:17]
.LBB274_360:                            ;   in Loop: Header=BB274_236 Depth=1
	s_or_b64 exec, exec, s[12:13]
	v_mov_b32_e32 v8, v23
	v_cmp_ne_u16_sdwa s[0:1], v23, v9 src0_sel:BYTE_0 src1_sel:DWORD
	v_mov_b32_e32 v41, 0
	v_mov_b32_e32 v40, 0
	s_and_saveexec_b64 s[12:13], s[0:1]
	s_cbranch_execz .LBB274_366
; %bb.361:                              ;   in Loop: Header=BB274_236 Depth=1
	v_cmp_ne_u16_sdwa s[0:1], v23, s21 src0_sel:BYTE_0 src1_sel:DWORD
	v_bfrev_b32_e32 v40, 1
	s_and_saveexec_b64 s[16:17], s[0:1]
	s_cbranch_execz .LBB274_365
; %bb.362:                              ;   in Loop: Header=BB274_236 Depth=1
	v_and_b32_e32 v42, 0x7f, v23
	v_cmp_ne_u32_e64 s[0:1], s22, v42
	v_mov_b32_e32 v40, 0x7fc02000
	s_and_saveexec_b64 s[18:19], s[0:1]
	s_cbranch_execz .LBB274_364
; %bb.363:                              ;   in Loop: Header=BB274_236 Depth=1
	v_and_b32_e32 v40, 7, v23
	v_ffbh_u32_e32 v40, v40
	v_min_u32_e32 v40, 32, v40
	v_subrev_u32_e32 v43, 28, v40
	v_cmp_gt_u32_e64 s[0:1], 8, v42
	v_lshrrev_b32_e32 v44, 3, v42
	v_sub_u32_e32 v40, 29, v40
	v_cndmask_b32_e64 v42, 0, v43, s[0:1]
	v_lshlrev_b64 v[42:43], v42, v[8:9]
	v_cndmask_b32_e64 v40, v44, v40, s[0:1]
	v_lshlrev_b32_e32 v43, 8, v23
	v_lshl_add_u32 v40, v40, 10, v7
	v_lshlrev_b32_e32 v42, 7, v42
	v_and_or_b32 v40, v43, s23, v40
	v_and_or_b32 v40, v42, s24, v40
	v_cvt_f32_f16_e32 v40, v40
.LBB274_364:                            ;   in Loop: Header=BB274_236 Depth=1
	s_or_b64 exec, exec, s[18:19]
.LBB274_365:                            ;   in Loop: Header=BB274_236 Depth=1
	s_or_b64 exec, exec, s[16:17]
.LBB274_366:                            ;   in Loop: Header=BB274_236 Depth=1
	s_or_b64 exec, exec, s[12:13]
	v_lshrrev_b16_e32 v8, 8, v8
	v_cmp_ne_u16_e64 s[0:1], 0, v8
	s_and_saveexec_b64 s[12:13], s[0:1]
	s_cbranch_execz .LBB274_372
; %bb.367:                              ;   in Loop: Header=BB274_236 Depth=1
	v_cmp_ne_u16_e64 s[0:1], s21, v8
	v_bfrev_b32_e32 v41, 1
	s_and_saveexec_b64 s[16:17], s[0:1]
	s_cbranch_execz .LBB274_371
; %bb.368:                              ;   in Loop: Header=BB274_236 Depth=1
	v_and_b32_e32 v42, 0x7f, v8
	v_cmp_ne_u32_e64 s[0:1], s22, v42
	v_mov_b32_e32 v41, 0x7fc02000
	s_and_saveexec_b64 s[18:19], s[0:1]
	s_cbranch_execz .LBB274_370
; %bb.369:                              ;   in Loop: Header=BB274_236 Depth=1
	v_and_b32_e32 v41, 7, v8
	v_ffbh_u32_e32 v44, v41
	v_min_u32_e32 v46, 32, v44
	v_subrev_u32_e32 v44, 28, v46
	v_lshlrev_b64 v[44:45], v44, v[8:9]
	v_lshrrev_b32_e32 v43, 3, v42
	v_sub_u32_e32 v45, 29, v46
	v_cmp_gt_u32_e64 s[0:1], 8, v42
	v_cndmask_b32_e64 v42, v43, v45, s[0:1]
	v_and_b32_e32 v44, 7, v44
	v_lshlrev_b32_e32 v8, 8, v8
	v_lshl_add_u32 v42, v42, 10, v7
	v_cndmask_b32_e64 v41, v41, v44, s[0:1]
	v_and_or_b32 v8, v8, s23, v42
	v_lshl_or_b32 v8, v41, 7, v8
	v_cvt_f32_f16_e32 v41, v8
.LBB274_370:                            ;   in Loop: Header=BB274_236 Depth=1
	s_or_b64 exec, exec, s[18:19]
.LBB274_371:                            ;   in Loop: Header=BB274_236 Depth=1
	s_or_b64 exec, exec, s[16:17]
.LBB274_372:                            ;   in Loop: Header=BB274_236 Depth=1
	s_or_b64 exec, exec, s[12:13]
	v_lshrrev_b32_e32 v8, 16, v23
	v_cmp_ne_u16_sdwa s[0:1], v8, v9 src0_sel:BYTE_0 src1_sel:DWORD
	v_mov_b32_e32 v42, 0
	v_mov_b32_e32 v43, 0
	s_and_saveexec_b64 s[12:13], s[0:1]
	s_cbranch_execz .LBB274_378
; %bb.373:                              ;   in Loop: Header=BB274_236 Depth=1
	v_cmp_ne_u16_sdwa s[0:1], v8, s21 src0_sel:BYTE_0 src1_sel:DWORD
	v_bfrev_b32_e32 v43, 1
	s_and_saveexec_b64 s[16:17], s[0:1]
	s_cbranch_execz .LBB274_377
; %bb.374:                              ;   in Loop: Header=BB274_236 Depth=1
	v_bfe_u32 v44, v23, 16, 7
	v_cmp_ne_u32_e64 s[0:1], s22, v44
	v_mov_b32_e32 v43, 0x7fc02000
	s_and_saveexec_b64 s[18:19], s[0:1]
	s_cbranch_execz .LBB274_376
; %bb.375:                              ;   in Loop: Header=BB274_236 Depth=1
	v_and_b32_e32 v43, 7, v8
	v_ffbh_u32_e32 v46, v43
	v_min_u32_e32 v48, 32, v46
	v_subrev_u32_e32 v46, 28, v48
	v_lshlrev_b64 v[46:47], v46, v[8:9]
	v_lshrrev_b32_e32 v45, 3, v44
	v_sub_u32_e32 v47, 29, v48
	v_cmp_gt_u32_e64 s[0:1], 8, v44
	v_cndmask_b32_e64 v44, v45, v47, s[0:1]
	v_and_b32_e32 v46, 7, v46
	v_lshlrev_b32_e32 v8, 8, v8
	v_lshl_add_u32 v44, v44, 10, v7
	v_cndmask_b32_e64 v43, v43, v46, s[0:1]
	v_and_or_b32 v8, v8, s23, v44
	v_lshl_or_b32 v8, v43, 7, v8
	v_cvt_f32_f16_e32 v43, v8
.LBB274_376:                            ;   in Loop: Header=BB274_236 Depth=1
	s_or_b64 exec, exec, s[18:19]
.LBB274_377:                            ;   in Loop: Header=BB274_236 Depth=1
	s_or_b64 exec, exec, s[16:17]
.LBB274_378:                            ;   in Loop: Header=BB274_236 Depth=1
	s_or_b64 exec, exec, s[12:13]
	v_cmp_lt_u64_e64 s[0:1], s[6:7], v[22:23]
	s_and_saveexec_b64 s[12:13], s[0:1]
	s_cbranch_execz .LBB274_384
; %bb.379:                              ;   in Loop: Header=BB274_236 Depth=1
	v_lshrrev_b32_e32 v8, 24, v23
	v_cmp_ne_u32_e64 s[0:1], s21, v8
	v_bfrev_b32_e32 v42, 1
	s_and_saveexec_b64 s[16:17], s[0:1]
	s_cbranch_execz .LBB274_383
; %bb.380:                              ;   in Loop: Header=BB274_236 Depth=1
	v_and_b32_e32 v22, 0x7f, v8
	v_cmp_ne_u32_e64 s[0:1], s22, v22
	v_mov_b32_e32 v42, 0x7fc02000
	s_and_saveexec_b64 s[18:19], s[0:1]
	s_cbranch_execz .LBB274_382
; %bb.381:                              ;   in Loop: Header=BB274_236 Depth=1
	v_and_b32_e32 v23, 7, v8
	v_ffbh_u32_e32 v44, v23
	v_min_u32_e32 v46, 32, v44
	v_subrev_u32_e32 v44, 28, v46
	v_lshlrev_b64 v[44:45], v44, v[8:9]
	v_lshrrev_b32_e32 v42, 3, v22
	v_sub_u32_e32 v45, 29, v46
	v_cmp_gt_u32_e64 s[0:1], 8, v22
	v_cndmask_b32_e64 v22, v42, v45, s[0:1]
	v_and_b32_e32 v44, 7, v44
	v_lshlrev_b32_e32 v8, 8, v8
	v_lshl_add_u32 v22, v22, 10, v7
	v_cndmask_b32_e64 v23, v23, v44, s[0:1]
	v_and_or_b32 v8, v8, s23, v22
	v_lshl_or_b32 v8, v23, 7, v8
	v_cvt_f32_f16_e32 v42, v8
.LBB274_382:                            ;   in Loop: Header=BB274_236 Depth=1
	s_or_b64 exec, exec, s[18:19]
.LBB274_383:                            ;   in Loop: Header=BB274_236 Depth=1
	s_or_b64 exec, exec, s[16:17]
.LBB274_384:                            ;   in Loop: Header=BB274_236 Depth=1
	s_or_b64 exec, exec, s[12:13]
	s_waitcnt vmcnt(0)
	v_pk_mul_f32 v[20:21], v[16:17], v[20:21] op_sel_hi:[0,1]
	v_pk_mul_f32 v[18:19], v[16:17], v[18:19] op_sel_hi:[0,1]
	v_cvt_f16_f32_e32 v8, v21
	v_cvt_f16_f32_e32 v20, v20
	;; [unrolled: 1-line block ×4, first 2 shown]
	v_pack_b32_f16 v20, v20, v8
	v_pack_b32_f16 v18, v18, v19
	v_fma_mixlo_f16 v19, v16, v41, 0
	v_perm_b32 v8, v18, v20, s25
	v_perm_b32 v18, v18, v20, s26
	v_lshlrev_b32_e32 v19, 16, v19
	v_fma_mixlo_f16 v20, v16, v40, 0
	v_or_b32_sdwa v19, v19, v20 dst_sel:DWORD dst_unused:UNUSED_PAD src0_sel:DWORD src1_sel:WORD_0
	v_fma_mixlo_f16 v20, v16, v43, 0
	v_fma_mixlo_f16 v16, v16, v42, 0
	v_lshlrev_b32_e32 v16, 16, v16
	v_or_b32_sdwa v16, v16, v20 dst_sel:DWORD dst_unused:UNUSED_PAD src0_sel:DWORD src1_sel:WORD_0
	s_and_saveexec_b64 s[12:13], vcc
	s_cbranch_execz .LBB274_386
; %bb.385:                              ;   in Loop: Header=BB274_236 Depth=1
	v_lshrrev_b32_e32 v21, 16, v18
	v_cmp_gt_i32_e64 s[0:1], s9, v31
	v_cndmask_b32_e64 v21, 0, v21, s[0:1]
	v_cmp_gt_i32_e64 s[0:1], s35, v24
	v_cndmask_b32_e64 v18, 0, v18, s[0:1]
	v_perm_b32 v18, v21, v18, s27
	v_lshrrev_b32_e32 v21, 16, v8
	v_cmp_gt_i32_e64 s[0:1], s9, v30
	v_cndmask_b32_e64 v21, 0, v21, s[0:1]
	v_cmp_gt_i32_e64 s[0:1], s35, v29
	v_cndmask_b32_e64 v8, 0, v8, s[0:1]
	v_perm_b32 v8, v21, v8, s27
	v_lshrrev_b32_e32 v21, 16, v19
	v_cmp_gt_i32_e64 s[0:1], s9, v28
	v_cndmask_b32_e64 v21, 0, v21, s[0:1]
	v_cmp_gt_i32_e64 s[0:1], s35, v27
	v_cndmask_b32_e64 v19, 0, v19, s[0:1]
	v_lshrrev_b32_e32 v16, 16, v16
	v_cmp_gt_i32_e64 s[0:1], s9, v26
	v_cndmask_b32_e64 v16, 0, v16, s[0:1]
	v_cmp_gt_i32_e64 s[0:1], s35, v25
	v_cndmask_b32_e64 v20, 0, v20, s[0:1]
	v_perm_b32 v19, v21, v19, s27
	v_perm_b32 v16, v16, v20, s27
.LBB274_386:                            ;   in Loop: Header=BB274_236 Depth=1
	s_or_b64 exec, exec, s[12:13]
	;;#ASMSTART
	v_pk_mul_f16 v18, v32, v18;

	;;#ASMEND
	;;#ASMSTART
	v_pk_mul_f16 v8, v33, v8;

	;;#ASMEND
	;; [unrolled: 4-line block ×4, first 2 shown]
	;;#ASMSTART
	v_pk_add_f16 v8, v18, v8;

	;;#ASMEND
	;;#ASMSTART
	v_pk_add_f16 v8, v8, v19;

	;;#ASMEND
	;; [unrolled: 4-line block ×3, first 2 shown]
	v_lshrrev_b32_e32 v16, 16, v8
	v_and_b32_e32 v8, 0xffff, v8
	;;#ASMSTART
	v_cvt_f32_f16 v22, v8;
	;;#ASMEND
	;;#ASMSTART
	v_cvt_f32_f16 v23, v16;
	;;#ASMEND
	global_load_dwordx2 v[20:21], v[14:15], off offset:1536
	global_load_dword v16, v9, s[14:15]
	v_mov_b32_e32 v18, 0
	v_mov_b32_e32 v14, 0
	s_waitcnt vmcnt(1)
	v_cmp_ne_u16_sdwa s[0:1], v20, v9 src0_sel:BYTE_0 src1_sel:DWORD
	s_and_saveexec_b64 s[12:13], s[0:1]
	s_cbranch_execz .LBB274_392
; %bb.387:                              ;   in Loop: Header=BB274_236 Depth=1
	v_cmp_ne_u16_sdwa s[0:1], v20, s21 src0_sel:BYTE_0 src1_sel:DWORD
	v_bfrev_b32_e32 v14, 1
	s_and_saveexec_b64 s[16:17], s[0:1]
	s_cbranch_execz .LBB274_391
; %bb.388:                              ;   in Loop: Header=BB274_236 Depth=1
	v_and_b32_e32 v8, 0x7f, v20
	v_cmp_ne_u32_e64 s[0:1], s22, v8
	v_mov_b32_e32 v14, 0x7fc02000
	s_and_saveexec_b64 s[18:19], s[0:1]
	s_cbranch_execz .LBB274_390
; %bb.389:                              ;   in Loop: Header=BB274_236 Depth=1
	v_and_b32_e32 v14, 7, v20
	v_ffbh_u32_e32 v14, v14
	v_min_u32_e32 v14, 32, v14
	v_subrev_u32_e32 v15, 28, v14
	v_cmp_gt_u32_e64 s[0:1], 8, v8
	v_lshrrev_b32_e32 v19, 3, v8
	v_sub_u32_e32 v40, 29, v14
	v_cndmask_b32_e64 v8, 0, v15, s[0:1]
	v_lshlrev_b64 v[14:15], v8, v[20:21]
	v_cndmask_b32_e64 v8, v19, v40, s[0:1]
	v_lshlrev_b32_e32 v15, 8, v20
	v_lshl_add_u32 v8, v8, 10, v7
	v_lshlrev_b32_e32 v14, 7, v14
	v_and_or_b32 v8, v15, s23, v8
	v_and_or_b32 v8, v14, s24, v8
	v_cvt_f32_f16_e32 v14, v8
.LBB274_390:                            ;   in Loop: Header=BB274_236 Depth=1
	s_or_b64 exec, exec, s[18:19]
.LBB274_391:                            ;   in Loop: Header=BB274_236 Depth=1
	s_or_b64 exec, exec, s[16:17]
.LBB274_392:                            ;   in Loop: Header=BB274_236 Depth=1
	s_or_b64 exec, exec, s[12:13]
	v_lshrrev_b16_e32 v8, 8, v20
	v_cmp_ne_u16_e64 s[0:1], 0, v8
	s_and_saveexec_b64 s[12:13], s[0:1]
	s_cbranch_execz .LBB274_398
; %bb.393:                              ;   in Loop: Header=BB274_236 Depth=1
	v_cmp_ne_u16_e64 s[0:1], s21, v8
	v_bfrev_b32_e32 v18, 1
	s_and_saveexec_b64 s[16:17], s[0:1]
	s_cbranch_execz .LBB274_397
; %bb.394:                              ;   in Loop: Header=BB274_236 Depth=1
	v_and_b32_e32 v15, 0x7f, v8
	v_cmp_ne_u32_e64 s[0:1], s22, v15
	v_mov_b32_e32 v18, 0x7fc02000
	s_and_saveexec_b64 s[18:19], s[0:1]
	s_cbranch_execz .LBB274_396
; %bb.395:                              ;   in Loop: Header=BB274_236 Depth=1
	v_and_b32_e32 v40, 7, v8
	v_ffbh_u32_e32 v18, v40
	v_min_u32_e32 v42, 32, v18
	v_subrev_u32_e32 v18, 28, v42
	v_lshlrev_b64 v[18:19], v18, v[8:9]
	v_lshrrev_b32_e32 v41, 3, v15
	v_sub_u32_e32 v19, 29, v42
	v_cmp_gt_u32_e64 s[0:1], 8, v15
	v_cndmask_b32_e64 v15, v41, v19, s[0:1]
	v_and_b32_e32 v18, 7, v18
	v_lshlrev_b32_e32 v8, 8, v8
	v_lshl_add_u32 v15, v15, 10, v7
	v_cndmask_b32_e64 v18, v40, v18, s[0:1]
	v_and_or_b32 v8, v8, s23, v15
	v_lshl_or_b32 v8, v18, 7, v8
	v_cvt_f32_f16_e32 v18, v8
.LBB274_396:                            ;   in Loop: Header=BB274_236 Depth=1
	s_or_b64 exec, exec, s[18:19]
.LBB274_397:                            ;   in Loop: Header=BB274_236 Depth=1
	s_or_b64 exec, exec, s[16:17]
.LBB274_398:                            ;   in Loop: Header=BB274_236 Depth=1
	s_or_b64 exec, exec, s[12:13]
	v_lshrrev_b32_e32 v8, 16, v20
	v_cmp_ne_u16_sdwa s[0:1], v8, v9 src0_sel:BYTE_0 src1_sel:DWORD
	v_mov_b32_e32 v19, 0
	v_mov_b32_e32 v15, 0
	s_and_saveexec_b64 s[12:13], s[0:1]
	s_cbranch_execz .LBB274_404
; %bb.399:                              ;   in Loop: Header=BB274_236 Depth=1
	v_cmp_ne_u16_sdwa s[0:1], v8, s21 src0_sel:BYTE_0 src1_sel:DWORD
	v_bfrev_b32_e32 v15, 1
	s_and_saveexec_b64 s[16:17], s[0:1]
	s_cbranch_execz .LBB274_403
; %bb.400:                              ;   in Loop: Header=BB274_236 Depth=1
	v_bfe_u32 v40, v20, 16, 7
	v_cmp_ne_u32_e64 s[0:1], s22, v40
	v_mov_b32_e32 v15, 0x7fc02000
	s_and_saveexec_b64 s[18:19], s[0:1]
	s_cbranch_execz .LBB274_402
; %bb.401:                              ;   in Loop: Header=BB274_236 Depth=1
	v_and_b32_e32 v15, 7, v8
	v_ffbh_u32_e32 v42, v15
	v_min_u32_e32 v44, 32, v42
	v_subrev_u32_e32 v42, 28, v44
	v_lshlrev_b64 v[42:43], v42, v[8:9]
	v_lshrrev_b32_e32 v41, 3, v40
	v_sub_u32_e32 v43, 29, v44
	v_cmp_gt_u32_e64 s[0:1], 8, v40
	v_cndmask_b32_e64 v40, v41, v43, s[0:1]
	v_and_b32_e32 v42, 7, v42
	v_lshlrev_b32_e32 v8, 8, v8
	v_lshl_add_u32 v40, v40, 10, v7
	v_cndmask_b32_e64 v15, v15, v42, s[0:1]
	v_and_or_b32 v8, v8, s23, v40
	v_lshl_or_b32 v8, v15, 7, v8
	v_cvt_f32_f16_e32 v15, v8
.LBB274_402:                            ;   in Loop: Header=BB274_236 Depth=1
	s_or_b64 exec, exec, s[18:19]
.LBB274_403:                            ;   in Loop: Header=BB274_236 Depth=1
	s_or_b64 exec, exec, s[16:17]
.LBB274_404:                            ;   in Loop: Header=BB274_236 Depth=1
	s_or_b64 exec, exec, s[12:13]
	v_cmp_lt_u32_e64 s[0:1], s7, v20
	s_and_saveexec_b64 s[12:13], s[0:1]
	s_cbranch_execz .LBB274_410
; %bb.405:                              ;   in Loop: Header=BB274_236 Depth=1
	v_lshrrev_b32_e32 v8, 24, v20
	v_cmp_ne_u32_e64 s[0:1], s21, v8
	v_bfrev_b32_e32 v19, 1
	s_and_saveexec_b64 s[16:17], s[0:1]
	s_cbranch_execz .LBB274_409
; %bb.406:                              ;   in Loop: Header=BB274_236 Depth=1
	v_and_b32_e32 v40, 0x7f, v8
	v_cmp_ne_u32_e64 s[0:1], s22, v40
	v_mov_b32_e32 v19, 0x7fc02000
	s_and_saveexec_b64 s[18:19], s[0:1]
	s_cbranch_execz .LBB274_408
; %bb.407:                              ;   in Loop: Header=BB274_236 Depth=1
	v_and_b32_e32 v19, 7, v8
	v_ffbh_u32_e32 v42, v19
	v_min_u32_e32 v44, 32, v42
	v_subrev_u32_e32 v42, 28, v44
	v_lshlrev_b64 v[42:43], v42, v[8:9]
	v_lshrrev_b32_e32 v41, 3, v40
	v_sub_u32_e32 v43, 29, v44
	v_cmp_gt_u32_e64 s[0:1], 8, v40
	v_cndmask_b32_e64 v40, v41, v43, s[0:1]
	v_and_b32_e32 v42, 7, v42
	v_lshlrev_b32_e32 v8, 8, v8
	v_lshl_add_u32 v40, v40, 10, v7
	v_cndmask_b32_e64 v19, v19, v42, s[0:1]
	v_and_or_b32 v8, v8, s23, v40
	v_lshl_or_b32 v8, v19, 7, v8
	v_cvt_f32_f16_e32 v19, v8
.LBB274_408:                            ;   in Loop: Header=BB274_236 Depth=1
	s_or_b64 exec, exec, s[18:19]
.LBB274_409:                            ;   in Loop: Header=BB274_236 Depth=1
	s_or_b64 exec, exec, s[16:17]
.LBB274_410:                            ;   in Loop: Header=BB274_236 Depth=1
	s_or_b64 exec, exec, s[12:13]
	v_mov_b32_e32 v8, v21
	v_cmp_ne_u16_sdwa s[0:1], v21, v9 src0_sel:BYTE_0 src1_sel:DWORD
	v_mov_b32_e32 v41, 0
	v_mov_b32_e32 v40, 0
	s_and_saveexec_b64 s[12:13], s[0:1]
	s_cbranch_execz .LBB274_416
; %bb.411:                              ;   in Loop: Header=BB274_236 Depth=1
	v_cmp_ne_u16_sdwa s[0:1], v21, s21 src0_sel:BYTE_0 src1_sel:DWORD
	v_bfrev_b32_e32 v40, 1
	s_and_saveexec_b64 s[16:17], s[0:1]
	s_cbranch_execz .LBB274_415
; %bb.412:                              ;   in Loop: Header=BB274_236 Depth=1
	v_and_b32_e32 v42, 0x7f, v21
	v_cmp_ne_u32_e64 s[0:1], s22, v42
	v_mov_b32_e32 v40, 0x7fc02000
	s_and_saveexec_b64 s[18:19], s[0:1]
	s_cbranch_execz .LBB274_414
; %bb.413:                              ;   in Loop: Header=BB274_236 Depth=1
	v_and_b32_e32 v40, 7, v21
	v_ffbh_u32_e32 v40, v40
	v_min_u32_e32 v40, 32, v40
	v_subrev_u32_e32 v43, 28, v40
	v_cmp_gt_u32_e64 s[0:1], 8, v42
	v_lshrrev_b32_e32 v44, 3, v42
	v_sub_u32_e32 v40, 29, v40
	v_cndmask_b32_e64 v42, 0, v43, s[0:1]
	v_lshlrev_b64 v[42:43], v42, v[8:9]
	v_cndmask_b32_e64 v40, v44, v40, s[0:1]
	v_lshlrev_b32_e32 v43, 8, v21
	v_lshl_add_u32 v40, v40, 10, v7
	v_lshlrev_b32_e32 v42, 7, v42
	v_and_or_b32 v40, v43, s23, v40
	v_and_or_b32 v40, v42, s24, v40
	v_cvt_f32_f16_e32 v40, v40
.LBB274_414:                            ;   in Loop: Header=BB274_236 Depth=1
	s_or_b64 exec, exec, s[18:19]
.LBB274_415:                            ;   in Loop: Header=BB274_236 Depth=1
	s_or_b64 exec, exec, s[16:17]
.LBB274_416:                            ;   in Loop: Header=BB274_236 Depth=1
	s_or_b64 exec, exec, s[12:13]
	v_lshrrev_b16_e32 v8, 8, v8
	v_cmp_ne_u16_e64 s[0:1], 0, v8
	s_and_saveexec_b64 s[12:13], s[0:1]
	s_cbranch_execz .LBB274_422
; %bb.417:                              ;   in Loop: Header=BB274_236 Depth=1
	v_cmp_ne_u16_e64 s[0:1], s21, v8
	v_bfrev_b32_e32 v41, 1
	s_and_saveexec_b64 s[16:17], s[0:1]
	s_cbranch_execz .LBB274_421
; %bb.418:                              ;   in Loop: Header=BB274_236 Depth=1
	v_and_b32_e32 v42, 0x7f, v8
	v_cmp_ne_u32_e64 s[0:1], s22, v42
	v_mov_b32_e32 v41, 0x7fc02000
	s_and_saveexec_b64 s[18:19], s[0:1]
	s_cbranch_execz .LBB274_420
; %bb.419:                              ;   in Loop: Header=BB274_236 Depth=1
	v_and_b32_e32 v41, 7, v8
	v_ffbh_u32_e32 v44, v41
	v_min_u32_e32 v46, 32, v44
	v_subrev_u32_e32 v44, 28, v46
	v_lshlrev_b64 v[44:45], v44, v[8:9]
	v_lshrrev_b32_e32 v43, 3, v42
	v_sub_u32_e32 v45, 29, v46
	v_cmp_gt_u32_e64 s[0:1], 8, v42
	v_cndmask_b32_e64 v42, v43, v45, s[0:1]
	v_and_b32_e32 v44, 7, v44
	v_lshlrev_b32_e32 v8, 8, v8
	v_lshl_add_u32 v42, v42, 10, v7
	v_cndmask_b32_e64 v41, v41, v44, s[0:1]
	v_and_or_b32 v8, v8, s23, v42
	v_lshl_or_b32 v8, v41, 7, v8
	v_cvt_f32_f16_e32 v41, v8
.LBB274_420:                            ;   in Loop: Header=BB274_236 Depth=1
	s_or_b64 exec, exec, s[18:19]
.LBB274_421:                            ;   in Loop: Header=BB274_236 Depth=1
	s_or_b64 exec, exec, s[16:17]
.LBB274_422:                            ;   in Loop: Header=BB274_236 Depth=1
	s_or_b64 exec, exec, s[12:13]
	v_lshrrev_b32_e32 v8, 16, v21
	v_cmp_ne_u16_sdwa s[0:1], v8, v9 src0_sel:BYTE_0 src1_sel:DWORD
	v_mov_b32_e32 v42, 0
	v_mov_b32_e32 v43, 0
	s_and_saveexec_b64 s[12:13], s[0:1]
	s_cbranch_execz .LBB274_428
; %bb.423:                              ;   in Loop: Header=BB274_236 Depth=1
	v_cmp_ne_u16_sdwa s[0:1], v8, s21 src0_sel:BYTE_0 src1_sel:DWORD
	v_bfrev_b32_e32 v43, 1
	s_and_saveexec_b64 s[16:17], s[0:1]
	s_cbranch_execz .LBB274_427
; %bb.424:                              ;   in Loop: Header=BB274_236 Depth=1
	v_bfe_u32 v44, v21, 16, 7
	v_cmp_ne_u32_e64 s[0:1], s22, v44
	v_mov_b32_e32 v43, 0x7fc02000
	s_and_saveexec_b64 s[18:19], s[0:1]
	s_cbranch_execz .LBB274_426
; %bb.425:                              ;   in Loop: Header=BB274_236 Depth=1
	v_and_b32_e32 v43, 7, v8
	v_ffbh_u32_e32 v46, v43
	v_min_u32_e32 v48, 32, v46
	v_subrev_u32_e32 v46, 28, v48
	v_lshlrev_b64 v[46:47], v46, v[8:9]
	v_lshrrev_b32_e32 v45, 3, v44
	v_sub_u32_e32 v47, 29, v48
	v_cmp_gt_u32_e64 s[0:1], 8, v44
	v_cndmask_b32_e64 v44, v45, v47, s[0:1]
	v_and_b32_e32 v46, 7, v46
	v_lshlrev_b32_e32 v8, 8, v8
	v_lshl_add_u32 v44, v44, 10, v7
	v_cndmask_b32_e64 v43, v43, v46, s[0:1]
	v_and_or_b32 v8, v8, s23, v44
	v_lshl_or_b32 v8, v43, 7, v8
	v_cvt_f32_f16_e32 v43, v8
.LBB274_426:                            ;   in Loop: Header=BB274_236 Depth=1
	s_or_b64 exec, exec, s[18:19]
.LBB274_427:                            ;   in Loop: Header=BB274_236 Depth=1
	s_or_b64 exec, exec, s[16:17]
.LBB274_428:                            ;   in Loop: Header=BB274_236 Depth=1
	s_or_b64 exec, exec, s[12:13]
	v_cmp_lt_u64_e64 s[0:1], s[6:7], v[20:21]
	s_and_saveexec_b64 s[12:13], s[0:1]
	s_cbranch_execz .LBB274_434
; %bb.429:                              ;   in Loop: Header=BB274_236 Depth=1
	v_lshrrev_b32_e32 v8, 24, v21
	v_cmp_ne_u32_e64 s[0:1], s21, v8
	v_bfrev_b32_e32 v42, 1
	s_and_saveexec_b64 s[16:17], s[0:1]
	s_cbranch_execz .LBB274_433
; %bb.430:                              ;   in Loop: Header=BB274_236 Depth=1
	v_and_b32_e32 v20, 0x7f, v8
	v_cmp_ne_u32_e64 s[0:1], s22, v20
	v_mov_b32_e32 v42, 0x7fc02000
	s_and_saveexec_b64 s[18:19], s[0:1]
	s_cbranch_execz .LBB274_432
; %bb.431:                              ;   in Loop: Header=BB274_236 Depth=1
	v_and_b32_e32 v21, 7, v8
	v_ffbh_u32_e32 v44, v21
	v_min_u32_e32 v46, 32, v44
	v_subrev_u32_e32 v44, 28, v46
	v_lshlrev_b64 v[44:45], v44, v[8:9]
	v_lshrrev_b32_e32 v42, 3, v20
	v_sub_u32_e32 v45, 29, v46
	v_cmp_gt_u32_e64 s[0:1], 8, v20
	v_cndmask_b32_e64 v20, v42, v45, s[0:1]
	v_and_b32_e32 v44, 7, v44
	v_lshlrev_b32_e32 v8, 8, v8
	v_lshl_add_u32 v20, v20, 10, v7
	v_cndmask_b32_e64 v21, v21, v44, s[0:1]
	v_and_or_b32 v8, v8, s23, v20
	v_lshl_or_b32 v8, v21, 7, v8
	v_cvt_f32_f16_e32 v42, v8
.LBB274_432:                            ;   in Loop: Header=BB274_236 Depth=1
	s_or_b64 exec, exec, s[18:19]
.LBB274_433:                            ;   in Loop: Header=BB274_236 Depth=1
	s_or_b64 exec, exec, s[16:17]
.LBB274_434:                            ;   in Loop: Header=BB274_236 Depth=1
	s_or_b64 exec, exec, s[12:13]
	s_waitcnt vmcnt(0)
	v_pk_mul_f32 v[18:19], v[16:17], v[18:19] op_sel_hi:[0,1]
	v_pk_mul_f32 v[14:15], v[16:17], v[14:15] op_sel_hi:[0,1]
	v_cvt_f16_f32_e32 v8, v19
	v_cvt_f16_f32_e32 v18, v18
	;; [unrolled: 1-line block ×4, first 2 shown]
	v_pack_b32_f16 v18, v18, v8
	v_pack_b32_f16 v14, v14, v15
	v_fma_mixlo_f16 v15, v16, v41, 0
	v_perm_b32 v8, v14, v18, s25
	v_perm_b32 v14, v14, v18, s26
	v_lshlrev_b32_e32 v15, 16, v15
	v_fma_mixlo_f16 v18, v16, v40, 0
	v_or_b32_sdwa v15, v15, v18 dst_sel:DWORD dst_unused:UNUSED_PAD src0_sel:DWORD src1_sel:WORD_0
	v_fma_mixlo_f16 v18, v16, v43, 0
	v_fma_mixlo_f16 v16, v16, v42, 0
	v_lshlrev_b32_e32 v16, 16, v16
	v_or_b32_sdwa v16, v16, v18 dst_sel:DWORD dst_unused:UNUSED_PAD src0_sel:DWORD src1_sel:WORD_0
	s_and_saveexec_b64 s[0:1], vcc
	s_cbranch_execz .LBB274_235
; %bb.435:                              ;   in Loop: Header=BB274_236 Depth=1
	v_lshrrev_b32_e32 v19, 16, v14
	v_cmp_gt_i32_e32 vcc, s9, v31
	v_cndmask_b32_e32 v19, 0, v19, vcc
	v_cmp_gt_i32_e32 vcc, s35, v24
	v_cndmask_b32_e32 v14, 0, v14, vcc
	v_perm_b32 v14, v19, v14, s27
	v_lshrrev_b32_e32 v19, 16, v8
	v_cmp_gt_i32_e32 vcc, s9, v30
	v_cndmask_b32_e32 v19, 0, v19, vcc
	v_cmp_gt_i32_e32 vcc, s35, v29
	v_cndmask_b32_e32 v8, 0, v8, vcc
	v_perm_b32 v8, v19, v8, s27
	v_lshrrev_b32_e32 v19, 16, v15
	v_cmp_gt_i32_e32 vcc, s9, v28
	v_cndmask_b32_e32 v19, 0, v19, vcc
	v_cmp_gt_i32_e32 vcc, s35, v27
	v_cndmask_b32_e32 v15, 0, v15, vcc
	v_lshrrev_b32_e32 v16, 16, v16
	v_cmp_gt_i32_e32 vcc, s9, v26
	v_cndmask_b32_e32 v16, 0, v16, vcc
	v_cmp_gt_i32_e32 vcc, s35, v25
	v_cndmask_b32_e32 v18, 0, v18, vcc
	v_perm_b32 v15, v19, v15, s27
	v_perm_b32 v16, v16, v18, s27
	s_branch .LBB274_235
.LBB274_436:
	s_or_b64 exec, exec, s[10:11]
.LBB274_437:
	s_or_b64 exec, exec, s[4:5]
	v_and_b32_e32 v1, 0x3c0, v0
	v_cmp_eq_u32_e32 vcc, 64, v1
	s_barrier
	s_and_saveexec_b64 s[0:1], vcc
	s_cbranch_execz .LBB274_439
; %bb.438:
	v_lshlrev_b32_e32 v1, 2, v0
	v_mov_b32_e32 v7, 0x210
	v_or_b32_e32 v6, 0x300, v1
	v_lshl_add_u32 v7, v17, 2, v7
	v_add_u32_e32 v6, 0x210, v6
	v_add_u32_e32 v1, 0x210, v1
	ds_write_b32 v7, v2
	ds_write_b32 v1, v3
	ds_write_b32 v7, v4 offset:512
	ds_write_b32 v6, v5
.LBB274_439:
	s_or_b64 exec, exec, s[0:1]
	v_cmp_gt_u32_e32 vcc, 64, v0
	s_waitcnt lgkmcnt(0)
	s_barrier
	s_and_saveexec_b64 s[0:1], vcc
	s_cbranch_execz .LBB274_441
; %bb.440:
	v_mov_b32_e32 v1, 0x210
	v_lshl_add_u32 v1, v0, 2, v1
	ds_read2st64_b32 v[6:7], v1 offset0:2 offset1:3
	ds_read2st64_b32 v[8:9], v1 offset1:1
	s_waitcnt lgkmcnt(1)
	v_pk_add_f32 v[4:5], v[4:5], v[6:7]
	s_waitcnt lgkmcnt(0)
	v_pk_add_f32 v[2:3], v[2:3], v[8:9]
.LBB274_441:
	s_or_b64 exec, exec, s[0:1]
	s_barrier
	s_and_saveexec_b64 s[0:1], vcc
	s_cbranch_execz .LBB274_443
; %bb.442:
	s_lshl_b32 s0, s2, 8
	s_ashr_i32 s1, s0, 31
	s_lshl_b64 s[0:1], s[0:1], 1
	s_add_u32 s2, s28, s0
	s_mul_i32 s0, s33, s30
	s_addc_u32 s3, s29, s1
	s_ashr_i32 s1, s0, 31
	s_lshl_b64 s[0:1], s[0:1], 1
	s_add_u32 s2, s2, s0
	s_addc_u32 s3, s3, s1
	s_lshl_b32 s0, s8, 8
	s_ashr_i32 s1, s0, 31
	s_lshl_b64 s[0:1], s[0:1], 1
	s_add_u32 s0, s2, s0
	s_addc_u32 s1, s3, s1
	v_lshlrev_b32_e32 v0, 1, v0
	;;#ASMSTART
	v_cvt_f16_f32 v1, v2;

	;;#ASMEND
	global_store_short v0, v1, s[0:1]
	;;#ASMSTART
	v_cvt_f16_f32 v1, v3;

	;;#ASMEND
	global_store_short v0, v1, s[0:1] offset:128
	;;#ASMSTART
	v_cvt_f16_f32 v1, v4;

	;;#ASMEND
	global_store_short v0, v1, s[0:1] offset:256
	;; [unrolled: 5-line block ×3, first 2 shown]
.LBB274_443:
	s_endpgm
	.section	.rodata,"a",@progbits
	.p2align	6, 0x0
	.amdhsa_kernel _ZN4vllm25paged_attention_v2_kernelIthLi256ELi8ELi128ELNS_18Fp8KVCacheDataTypeE1ELb0ELi512EEEvPfS2_PT_PKS3_PKT0_S9_ifPKiSB_iPKfiiiSD_SD_iiiii
		.amdhsa_group_segment_fixed_size 528
		.amdhsa_private_segment_fixed_size 0
		.amdhsa_kernarg_size 400
		.amdhsa_user_sgpr_count 6
		.amdhsa_user_sgpr_private_segment_buffer 1
		.amdhsa_user_sgpr_dispatch_ptr 0
		.amdhsa_user_sgpr_queue_ptr 0
		.amdhsa_user_sgpr_kernarg_segment_ptr 1
		.amdhsa_user_sgpr_dispatch_id 0
		.amdhsa_user_sgpr_flat_scratch_init 0
		.amdhsa_user_sgpr_kernarg_preload_length 0
		.amdhsa_user_sgpr_kernarg_preload_offset 0
		.amdhsa_user_sgpr_private_segment_size 0
		.amdhsa_uses_dynamic_stack 0
		.amdhsa_system_sgpr_private_segment_wavefront_offset 0
		.amdhsa_system_sgpr_workgroup_id_x 1
		.amdhsa_system_sgpr_workgroup_id_y 1
		.amdhsa_system_sgpr_workgroup_id_z 1
		.amdhsa_system_sgpr_workgroup_info 0
		.amdhsa_system_vgpr_workitem_id 0
		.amdhsa_next_free_vgpr 75
		.amdhsa_next_free_sgpr 52
		.amdhsa_accum_offset 76
		.amdhsa_reserve_vcc 1
		.amdhsa_reserve_flat_scratch 0
		.amdhsa_float_round_mode_32 0
		.amdhsa_float_round_mode_16_64 0
		.amdhsa_float_denorm_mode_32 3
		.amdhsa_float_denorm_mode_16_64 3
		.amdhsa_dx10_clamp 1
		.amdhsa_ieee_mode 1
		.amdhsa_fp16_overflow 0
		.amdhsa_tg_split 0
		.amdhsa_exception_fp_ieee_invalid_op 0
		.amdhsa_exception_fp_denorm_src 0
		.amdhsa_exception_fp_ieee_div_zero 0
		.amdhsa_exception_fp_ieee_overflow 0
		.amdhsa_exception_fp_ieee_underflow 0
		.amdhsa_exception_fp_ieee_inexact 0
		.amdhsa_exception_int_div_zero 0
	.end_amdhsa_kernel
	.section	.text._ZN4vllm25paged_attention_v2_kernelIthLi256ELi8ELi128ELNS_18Fp8KVCacheDataTypeE1ELb0ELi512EEEvPfS2_PT_PKS3_PKT0_S9_ifPKiSB_iPKfiiiSD_SD_iiiii,"axG",@progbits,_ZN4vllm25paged_attention_v2_kernelIthLi256ELi8ELi128ELNS_18Fp8KVCacheDataTypeE1ELb0ELi512EEEvPfS2_PT_PKS3_PKT0_S9_ifPKiSB_iPKfiiiSD_SD_iiiii,comdat
.Lfunc_end274:
	.size	_ZN4vllm25paged_attention_v2_kernelIthLi256ELi8ELi128ELNS_18Fp8KVCacheDataTypeE1ELb0ELi512EEEvPfS2_PT_PKS3_PKT0_S9_ifPKiSB_iPKfiiiSD_SD_iiiii, .Lfunc_end274-_ZN4vllm25paged_attention_v2_kernelIthLi256ELi8ELi128ELNS_18Fp8KVCacheDataTypeE1ELb0ELi512EEEvPfS2_PT_PKS3_PKT0_S9_ifPKiSB_iPKfiiiSD_SD_iiiii
                                        ; -- End function
	.section	.AMDGPU.csdata,"",@progbits
; Kernel info:
; codeLenInByte = 18504
; NumSgprs: 56
; NumVgprs: 75
; NumAgprs: 0
; TotalNumVgprs: 75
; ScratchSize: 0
; MemoryBound: 0
; FloatMode: 240
; IeeeMode: 1
; LDSByteSize: 528 bytes/workgroup (compile time only)
; SGPRBlocks: 6
; VGPRBlocks: 9
; NumSGPRsForWavesPerEU: 56
; NumVGPRsForWavesPerEU: 75
; AccumOffset: 76
; Occupancy: 6
; WaveLimiterHint : 1
; COMPUTE_PGM_RSRC2:SCRATCH_EN: 0
; COMPUTE_PGM_RSRC2:USER_SGPR: 6
; COMPUTE_PGM_RSRC2:TRAP_HANDLER: 0
; COMPUTE_PGM_RSRC2:TGID_X_EN: 1
; COMPUTE_PGM_RSRC2:TGID_Y_EN: 1
; COMPUTE_PGM_RSRC2:TGID_Z_EN: 1
; COMPUTE_PGM_RSRC2:TIDIG_COMP_CNT: 0
; COMPUTE_PGM_RSRC3_GFX90A:ACCUM_OFFSET: 18
; COMPUTE_PGM_RSRC3_GFX90A:TG_SPLIT: 0
	.section	.text._ZN4vllm25paged_attention_v2_kernelIthLi32ELi16ELi128ELNS_18Fp8KVCacheDataTypeE1ELb1ELi512EEEvPfS2_PT_PKS3_PKT0_S9_ifPKiSB_iPKfiiiSD_SD_iiiii,"axG",@progbits,_ZN4vllm25paged_attention_v2_kernelIthLi32ELi16ELi128ELNS_18Fp8KVCacheDataTypeE1ELb1ELi512EEEvPfS2_PT_PKS3_PKT0_S9_ifPKiSB_iPKfiiiSD_SD_iiiii,comdat
	.protected	_ZN4vllm25paged_attention_v2_kernelIthLi32ELi16ELi128ELNS_18Fp8KVCacheDataTypeE1ELb1ELi512EEEvPfS2_PT_PKS3_PKT0_S9_ifPKiSB_iPKfiiiSD_SD_iiiii ; -- Begin function _ZN4vllm25paged_attention_v2_kernelIthLi32ELi16ELi128ELNS_18Fp8KVCacheDataTypeE1ELb1ELi512EEEvPfS2_PT_PKS3_PKT0_S9_ifPKiSB_iPKfiiiSD_SD_iiiii
	.globl	_ZN4vllm25paged_attention_v2_kernelIthLi32ELi16ELi128ELNS_18Fp8KVCacheDataTypeE1ELb1ELi512EEEvPfS2_PT_PKS3_PKT0_S9_ifPKiSB_iPKfiiiSD_SD_iiiii
	.p2align	8
	.type	_ZN4vllm25paged_attention_v2_kernelIthLi32ELi16ELi128ELNS_18Fp8KVCacheDataTypeE1ELb1ELi512EEEvPfS2_PT_PKS3_PKT0_S9_ifPKiSB_iPKfiiiSD_SD_iiiii,@function
_ZN4vllm25paged_attention_v2_kernelIthLi32ELi16ELi128ELNS_18Fp8KVCacheDataTypeE1ELb1ELi512EEEvPfS2_PT_PKS3_PKT0_S9_ifPKiSB_iPKfiiiSD_SD_iiiii: ; @_ZN4vllm25paged_attention_v2_kernelIthLi32ELi16ELi128ELNS_18Fp8KVCacheDataTypeE1ELb1ELi512EEEvPfS2_PT_PKS3_PKT0_S9_ifPKiSB_iPKfiiiSD_SD_iiiii
; %bb.0:
	s_load_dwordx2 s[0:1], s[4:5], 0x40
	s_mov_b32 s34, s7
	s_ashr_i32 s35, s7, 31
	s_lshl_b64 s[2:3], s[34:35], 2
	s_waitcnt lgkmcnt(0)
	s_add_u32 s0, s0, s2
	s_addc_u32 s1, s1, s3
	s_load_dword s33, s[0:1], 0x0
	s_lshl_b32 s55, s8, 9
	s_waitcnt lgkmcnt(0)
	s_cmp_ge_i32 s55, s33
	s_cbranch_scc1 .LBB275_157
; %bb.1:
	s_load_dword s9, s[4:5], 0x90
	s_load_dwordx2 s[42:43], s[4:5], 0x30
	s_mov_b32 s56, 0
	s_waitcnt lgkmcnt(0)
	s_abs_i32 s2, s9
	s_abs_i32 s0, s42
	v_cvt_f32_u32_e32 v1, s0
	s_sub_i32 s3, 0, s0
	s_xor_b32 s1, s9, s42
	s_ashr_i32 s1, s1, 31
	v_rcp_iflag_f32_e32 v1, v1
	v_mul_f32_e32 v1, 0x4f7ffffe, v1
	v_cvt_u32_f32_e32 v1, v1
	v_readfirstlane_b32 s7, v1
	s_mul_i32 s3, s3, s7
	s_mul_hi_u32 s3, s7, s3
	s_add_i32 s7, s7, s3
	s_mul_hi_u32 s3, s2, s7
	s_mul_i32 s7, s3, s0
	s_sub_i32 s2, s2, s7
	s_add_i32 s10, s3, 1
	s_sub_i32 s7, s2, s0
	s_cmp_ge_u32 s2, s0
	s_cselect_b32 s3, s10, s3
	s_cselect_b32 s2, s7, s2
	s_add_i32 s7, s3, 1
	s_cmp_ge_u32 s2, s0
	s_cselect_b32 s0, s7, s3
	s_xor_b32 s0, s0, s1
	s_sub_i32 s11, s0, s1
	s_abs_i32 s2, s11
	v_cvt_f32_u32_e32 v1, s2
	s_load_dwordx2 s[0:1], s[4:5], 0x50
	s_sub_i32 s7, 0, s2
	s_abs_i32 s3, s6
	v_rcp_iflag_f32_e32 v1, v1
	v_mul_f32_e32 v1, 0x4f7ffffe, v1
	v_cvt_u32_f32_e32 v1, v1
	v_readfirstlane_b32 s10, v1
	s_mul_i32 s7, s7, s10
	s_mul_hi_u32 s7, s10, s7
	s_add_i32 s10, s10, s7
	s_waitcnt lgkmcnt(0)
	s_cmp_eq_u64 s[0:1], 0
	s_mul_hi_u32 s10, s3, s10
	s_cbranch_scc1 .LBB275_3
; %bb.2:
	s_ashr_i32 s7, s6, 31
	s_lshl_b64 s[12:13], s[6:7], 2
	s_add_u32 s0, s0, s12
	s_addc_u32 s1, s1, s13
	s_load_dword s56, s[0:1], 0x0
.LBB275_3:
	s_load_dwordx4 s[16:19], s[4:5], 0x58
	s_ashr_i32 s7, s6, 31
	s_ashr_i32 s11, s11, 31
	v_and_b32_e32 v8, 3, v0
	s_lshl_b32 s28, s6, 5
	v_cmp_gt_u32_e32 vcc, 16, v0
	s_and_saveexec_b64 s[0:1], vcc
	s_cbranch_execz .LBB275_5
; %bb.4:
	s_load_dwordx2 s[12:13], s[4:5], 0x18
	s_waitcnt lgkmcnt(0)
	s_mul_i32 s14, s34, s16
	s_ashr_i32 s15, s14, 31
	s_lshl_b64 s[14:15], s[14:15], 1
	v_lshlrev_b32_e32 v1, 2, v0
	s_add_u32 s14, s12, s14
	s_addc_u32 s15, s13, s15
	s_ashr_i32 s29, s28, 31
	s_lshl_b64 s[12:13], s[28:29], 1
	s_add_u32 s12, s14, s12
	s_addc_u32 s13, s15, s13
	global_load_dword v1, v1, s[12:13]
	v_and_b32_e32 v2, 0x3fc, v0
	v_lshl_add_u32 v2, v8, 4, v2
	s_waitcnt vmcnt(0)
	ds_write_b32 v2, v1
.LBB275_5:
	s_or_b64 exec, exec, s[0:1]
	s_mul_i32 s1, s10, s2
	s_sub_i32 s1, s3, s1
	s_xor_b32 s0, s7, s11
	s_add_i32 s3, s10, 1
	s_sub_i32 s7, s1, s2
	s_load_dwordx4 s[20:23], s[4:5], 0x78
	s_cmp_ge_u32 s1, s2
	s_cselect_b32 s3, s3, s10
	s_cselect_b32 s1, s7, s1
	s_add_i32 s7, s3, 1
	s_cmp_ge_u32 s1, s2
	s_cselect_b32 s1, s7, s3
	s_load_dword s7, s[4:5], 0x88
	s_waitcnt lgkmcnt(0)
	s_abs_i32 s29, s23
	v_cvt_f32_u32_e32 v1, s29
	s_xor_b32 s1, s1, s0
	s_sub_i32 s54, s1, s0
	s_sub_i32 s0, 0, s29
	v_rcp_iflag_f32_e32 v1, v1
	s_add_i32 s10, s33, -1
	s_abs_i32 s2, s10
	v_mul_f32_e32 v1, 0x4f7ffffe, v1
	v_cvt_u32_f32_e32 v1, v1
	s_barrier
	v_readfirstlane_b32 s35, v1
	s_mul_i32 s0, s0, s35
	s_mul_hi_u32 s0, s35, s0
	s_add_i32 s35, s35, s0
	s_cmp_lt_i32 s7, 0
	s_mul_hi_u32 s3, s2, s35
	s_cbranch_scc0 .LBB275_7
; %bb.6:
	s_mul_i32 s0, s20, s42
	s_add_i32 s0, s54, s0
	s_mul_i32 s0, s0, s7
	s_sub_i32 s42, 1, s0
	s_mov_b64 s[0:1], 0
	s_branch .LBB275_8
.LBB275_7:
	s_mov_b64 s[0:1], -1
                                        ; implicit-def: $sgpr42
.LBB275_8:
	s_load_dwordx2 s[36:37], s[4:5], 0x38
	s_ashr_i32 s10, s10, 31
	s_andn2_b64 vcc, exec, s[0:1]
	s_ashr_i32 s23, s23, 31
	s_cbranch_vccnz .LBB275_10
; %bb.9:
	s_mul_i32 s0, s9, s20
	s_add_i32 s0, s0, s6
	s_mul_i32 s0, s0, s7
	s_add_i32 s42, s0, 1
.LBB275_10:
	s_load_dwordx2 s[40:41], s[4:5], 0x28
	s_load_dword s0, s[4:5], 0x48
	s_load_dwordx4 s[24:27], s[4:5], 0x0
	s_load_dwordx2 s[30:31], s[4:5], 0x10
	s_load_dword s20, s[4:5], 0x98
	s_load_dwordx4 s[12:15], s[4:5], 0x68
	s_mul_i32 s1, s3, s29
	s_waitcnt lgkmcnt(0)
	s_mul_i32 s38, s34, s0
	s_sub_i32 s1, s2, s1
	s_ashr_i32 s39, s38, 31
	s_xor_b32 s0, s10, s23
	s_add_i32 s2, s3, 1
	s_sub_i32 s7, s1, s29
	s_cmp_ge_u32 s1, s29
	s_cselect_b32 s2, s2, s3
	s_cselect_b32 s1, s7, s1
	s_add_i32 s3, s2, 1
	s_cmp_ge_u32 s1, s29
	s_cselect_b32 s1, s3, s2
	s_xor_b32 s1, s1, s0
	s_sub_i32 s7, s1, s0
	s_add_i32 s0, s33, 15
	s_ashr_i32 s1, s0, 31
	s_lshr_b32 s1, s1, 28
	s_add_i32 s0, s0, s1
	s_lshl_b32 s16, s8, 5
	s_ashr_i32 s53, s0, 4
	s_add_i32 s0, s16, 32
	v_lshrrev_b32_e32 v13, 6, v0
	s_min_i32 s52, s0, s53
	v_or_b32_e32 v2, s16, v13
	v_cmp_gt_i32_e64 s[0:1], s52, v2
	v_mov_b32_e32 v17, 0xff7fffff
	s_mul_i32 s54, s54, s18
	v_ashrrev_i32_e32 v3, 31, v2
	v_lshl_add_u32 v1, v13, 4, s55
	v_mbcnt_lo_u32_b32 v7, -1, 0
	s_and_saveexec_b64 s[18:19], s[0:1]
	s_cbranch_execz .LBB275_68
; %bb.11:
	s_load_dwordx2 s[2:3], s[4:5], 0x20
	s_sub_i32 s57, s7, s21
	s_ashr_i32 s4, s54, 31
	v_bfe_u32 v14, v0, 2, 4
	v_lshlrev_b32_e32 v5, 4, v14
	s_waitcnt lgkmcnt(0)
	s_add_u32 s2, s2, s54
	s_addc_u32 s3, s3, s4
	s_abs_i32 s59, s22
	v_cvt_f32_u32_e32 v4, s59
	v_mov_b32_e32 v6, s3
	s_sub_i32 s4, 0, s59
	v_cmp_eq_u32_e32 vcc, 0, v8
	v_rcp_iflag_f32_e32 v9, v4
	v_add_co_u32_e64 v4, s[2:3], s2, v5
	v_addc_co_u32_e64 v5, s[2:3], 0, v6, s[2:3]
	v_mul_f32_e32 v9, 0x4f7ffffe, v9
	v_cvt_u32_f32_e32 v9, v9
	v_lshlrev_b32_e32 v6, 1, v8
	v_lshlrev_b32_e32 v16, 4, v8
	s_mov_b32 s58, s17
	v_mul_lo_u32 v8, s4, v9
	s_lshl_b64 s[4:5], s[38:39], 2
	v_mul_hi_u32 v8, v9, v8
	s_add_u32 s4, s36, s4
	v_add_u32_e32 v18, v9, v8
	v_lshlrev_b64 v[8:9], 2, v[2:3]
	s_addc_u32 s5, s37, s5
	v_mov_b32_e32 v10, s5
	v_add_co_u32_e64 v8, s[4:5], s4, v8
	v_addc_co_u32_e64 v9, s[4:5], v10, v9, s[4:5]
	v_lshlrev_b32_e32 v10, 2, v14
	v_lshl_or_b32 v10, v13, 6, v10
	v_add_u32_e32 v20, 0x50, v10
	v_subrev_u32_e32 v10, s33, v14
	v_mov_b32_e32 v15, 0
	v_cmp_neq_f32_e64 s[2:3], s56, 0
	v_lshl_add_u32 v19, v13, 4, s55
	v_add_u32_e32 v21, 1, v10
	s_mov_b64 s[44:45], 0
	v_mov_b32_e32 v22, 0xff7fffff
	s_movk_i32 s60, 0x80
	s_movk_i32 s61, 0x7f
	s_mov_b32 s62, 0x8000
	v_mov_b32_e32 v23, 0x2000
	v_mbcnt_hi_u32_b32 v24, -1, v7
	v_mov_b32_e32 v17, 0xff7fffff
	v_mov_b32_e32 v25, v2
	s_branch .LBB275_14
.LBB275_12:                             ;   in Loop: Header=BB275_14 Depth=1
	s_or_b64 exec, exec, s[46:47]
.LBB275_13:                             ;   in Loop: Header=BB275_14 Depth=1
	s_or_b64 exec, exec, s[10:11]
	v_add_co_u32_e64 v8, s[4:5], 8, v8
	v_add_u32_e32 v25, 2, v25
	v_addc_co_u32_e64 v9, s[4:5], 0, v9, s[4:5]
	v_cmp_le_i32_e64 s[4:5], s52, v25
	v_add_u32_e32 v19, 32, v19
	s_or_b64 s[44:45], s[4:5], s[44:45]
	v_add_u32_e32 v20, 0x80, v20
	s_andn2_b64 exec, exec, s[44:45]
	s_cbranch_execz .LBB275_67
.LBB275_14:                             ; =>This Inner Loop Header: Depth=1
	s_waitcnt lgkmcnt(0)
	v_sub_u32_e32 v11, 0, v19
	v_max_i32_e32 v11, v19, v11
	v_mul_hi_u32 v12, v11, s35
	v_mul_lo_u32 v26, v12, s29
	v_sub_u32_e32 v11, v11, v26
	v_add_u32_e32 v26, 1, v12
	v_cmp_le_u32_e64 s[4:5], s29, v11
	v_cndmask_b32_e64 v12, v12, v26, s[4:5]
	v_subrev_u32_e32 v26, s29, v11
	v_cndmask_b32_e64 v11, v11, v26, s[4:5]
	v_ashrrev_i32_e32 v10, 31, v19
	v_add_u32_e32 v26, 1, v12
	v_cmp_le_u32_e64 s[4:5], s29, v11
	v_xor_b32_e32 v10, s23, v10
	v_cndmask_b32_e64 v11, v12, v26, s[4:5]
	v_xor_b32_e32 v11, v11, v10
	v_sub_u32_e32 v10, v11, v10
	v_add_u32_e32 v11, s42, v10
	v_sub_u32_e32 v26, 0, v11
	v_ashrrev_i32_e32 v12, 31, v11
	v_max_i32_e32 v11, v11, v26
	v_mul_hi_u32 v26, v11, v18
	v_mul_lo_u32 v26, v26, s59
	v_sub_u32_e32 v11, v11, v26
	v_subrev_u32_e32 v26, s59, v11
	v_cmp_le_u32_e64 s[4:5], s59, v11
	v_cndmask_b32_e64 v11, v11, v26, s[4:5]
	v_subrev_u32_e32 v26, s59, v11
	v_cmp_le_u32_e64 s[4:5], s59, v11
	v_cndmask_b32_e64 v11, v11, v26, s[4:5]
	v_xor_b32_e32 v11, v11, v12
	v_sub_u32_e32 v11, v11, v12
	v_cmp_ne_u32_e64 s[4:5], 0, v11
	v_cmp_ge_i32_e64 s[10:11], s57, v10
	s_and_b64 s[4:5], s[4:5], s[10:11]
	s_and_b64 s[46:47], vcc, s[4:5]
	s_and_saveexec_b64 s[10:11], s[46:47]
	s_cbranch_execz .LBB275_16
; %bb.15:                               ;   in Loop: Header=BB275_14 Depth=1
	ds_write_b32 v20, v22
.LBB275_16:                             ;   in Loop: Header=BB275_14 Depth=1
	s_or_b64 exec, exec, s[10:11]
	s_xor_b64 s[4:5], s[4:5], -1
	s_and_saveexec_b64 s[10:11], s[4:5]
	s_cbranch_execz .LBB275_13
; %bb.17:                               ;   in Loop: Header=BB275_14 Depth=1
	global_load_dword v10, v[8:9], off
	v_mov_b32_e32 v27, 0
	s_waitcnt vmcnt(0)
	v_mad_i64_i32 v[10:11], s[4:5], v10, s58, v[4:5]
	v_add_co_u32_e64 v10, s[4:5], v10, v6
	v_addc_co_u32_e64 v11, s[4:5], 0, v11, s[4:5]
	global_load_ushort v28, v[10:11], off
	global_load_dword v26, v15, s[12:13]
	s_waitcnt vmcnt(1)
	v_and_b32_e32 v12, 0xffff, v28
	v_cmp_ne_u16_sdwa s[4:5], v28, v15 src0_sel:BYTE_0 src1_sel:DWORD
	v_mov_b32_e32 v28, 0
	s_and_saveexec_b64 s[46:47], s[4:5]
	s_cbranch_execz .LBB275_23
; %bb.18:                               ;   in Loop: Header=BB275_14 Depth=1
	v_cmp_ne_u16_sdwa s[4:5], v12, s60 src0_sel:BYTE_0 src1_sel:DWORD
	v_bfrev_b32_e32 v28, 1
	s_and_saveexec_b64 s[48:49], s[4:5]
	s_cbranch_execz .LBB275_22
; %bb.19:                               ;   in Loop: Header=BB275_14 Depth=1
	v_and_b32_e32 v29, 0x7f, v12
	v_cmp_ne_u32_e64 s[4:5], s61, v29
	v_mov_b32_e32 v28, 0x7fc02000
	s_and_saveexec_b64 s[50:51], s[4:5]
	s_cbranch_execz .LBB275_21
; %bb.20:                               ;   in Loop: Header=BB275_14 Depth=1
	v_and_b32_e32 v28, 7, v12
	v_ffbh_u32_e32 v30, v28
	v_min_u32_e32 v33, 32, v30
	v_subrev_u32_e32 v30, 28, v33
	v_lshlrev_b64 v[30:31], v30, v[12:13]
	v_lshrrev_b32_e32 v32, 3, v29
	v_sub_u32_e32 v31, 29, v33
	v_cmp_gt_u32_e64 s[4:5], 8, v29
	v_and_b32_e32 v30, 7, v30
	v_cndmask_b32_e64 v29, v32, v31, s[4:5]
	v_cndmask_b32_e64 v28, v28, v30, s[4:5]
	v_lshlrev_b32_e32 v30, 8, v12
	v_lshl_add_u32 v29, v29, 10, v23
	v_and_or_b32 v29, v30, s62, v29
	v_lshl_or_b32 v28, v28, 7, v29
	v_cvt_f32_f16_e32 v28, v28
.LBB275_21:                             ;   in Loop: Header=BB275_14 Depth=1
	s_or_b64 exec, exec, s[50:51]
.LBB275_22:                             ;   in Loop: Header=BB275_14 Depth=1
	s_or_b64 exec, exec, s[48:49]
.LBB275_23:                             ;   in Loop: Header=BB275_14 Depth=1
	s_or_b64 exec, exec, s[46:47]
	v_lshrrev_b16_e32 v12, 8, v12
	v_cmp_ne_u16_e64 s[4:5], 0, v12
	s_and_saveexec_b64 s[46:47], s[4:5]
	s_cbranch_execz .LBB275_29
; %bb.24:                               ;   in Loop: Header=BB275_14 Depth=1
	v_cmp_ne_u16_e64 s[4:5], s60, v12
	v_bfrev_b32_e32 v27, 1
	s_and_saveexec_b64 s[48:49], s[4:5]
	s_cbranch_execz .LBB275_28
; %bb.25:                               ;   in Loop: Header=BB275_14 Depth=1
	v_and_b32_e32 v29, 0x7f, v12
	v_cmp_ne_u32_e64 s[4:5], s61, v29
	v_mov_b32_e32 v27, 0x7fc02000
	s_and_saveexec_b64 s[50:51], s[4:5]
	s_cbranch_execz .LBB275_27
; %bb.26:                               ;   in Loop: Header=BB275_14 Depth=1
	v_and_b32_e32 v27, 7, v12
	v_ffbh_u32_e32 v30, v27
	v_min_u32_e32 v33, 32, v30
	v_subrev_u32_e32 v30, 28, v33
	v_lshlrev_b64 v[30:31], v30, v[12:13]
	v_lshrrev_b32_e32 v32, 3, v29
	v_sub_u32_e32 v31, 29, v33
	v_cmp_gt_u32_e64 s[4:5], 8, v29
	v_cndmask_b32_e64 v29, v32, v31, s[4:5]
	v_and_b32_e32 v30, 7, v30
	v_lshlrev_b32_e32 v12, 8, v12
	v_lshl_add_u32 v29, v29, 10, v23
	v_cndmask_b32_e64 v27, v27, v30, s[4:5]
	v_and_or_b32 v12, v12, s62, v29
	v_lshl_or_b32 v12, v27, 7, v12
	v_cvt_f32_f16_e32 v27, v12
.LBB275_27:                             ;   in Loop: Header=BB275_14 Depth=1
	s_or_b64 exec, exec, s[50:51]
.LBB275_28:                             ;   in Loop: Header=BB275_14 Depth=1
	s_or_b64 exec, exec, s[48:49]
.LBB275_29:                             ;   in Loop: Header=BB275_14 Depth=1
	s_or_b64 exec, exec, s[46:47]
	global_load_ushort v30, v[10:11], off offset:8
	v_mov_b32_e32 v29, 0
	s_waitcnt vmcnt(0)
	v_and_b32_e32 v12, 0xffff, v30
	v_cmp_ne_u16_sdwa s[4:5], v30, v15 src0_sel:BYTE_0 src1_sel:DWORD
	v_mov_b32_e32 v30, 0
	s_and_saveexec_b64 s[46:47], s[4:5]
	s_cbranch_execz .LBB275_35
; %bb.30:                               ;   in Loop: Header=BB275_14 Depth=1
	v_cmp_ne_u16_sdwa s[4:5], v12, s60 src0_sel:BYTE_0 src1_sel:DWORD
	v_bfrev_b32_e32 v30, 1
	s_and_saveexec_b64 s[48:49], s[4:5]
	s_cbranch_execz .LBB275_34
; %bb.31:                               ;   in Loop: Header=BB275_14 Depth=1
	v_and_b32_e32 v31, 0x7f, v12
	v_cmp_ne_u32_e64 s[4:5], s61, v31
	v_mov_b32_e32 v30, 0x7fc02000
	s_and_saveexec_b64 s[50:51], s[4:5]
	s_cbranch_execz .LBB275_33
; %bb.32:                               ;   in Loop: Header=BB275_14 Depth=1
	v_and_b32_e32 v30, 7, v12
	v_ffbh_u32_e32 v32, v30
	v_min_u32_e32 v35, 32, v32
	v_subrev_u32_e32 v32, 28, v35
	v_lshlrev_b64 v[32:33], v32, v[12:13]
	v_lshrrev_b32_e32 v34, 3, v31
	v_sub_u32_e32 v33, 29, v35
	v_cmp_gt_u32_e64 s[4:5], 8, v31
	v_and_b32_e32 v32, 7, v32
	v_cndmask_b32_e64 v31, v34, v33, s[4:5]
	v_cndmask_b32_e64 v30, v30, v32, s[4:5]
	v_lshlrev_b32_e32 v32, 8, v12
	v_lshl_add_u32 v31, v31, 10, v23
	v_and_or_b32 v31, v32, s62, v31
	v_lshl_or_b32 v30, v30, 7, v31
	v_cvt_f32_f16_e32 v30, v30
.LBB275_33:                             ;   in Loop: Header=BB275_14 Depth=1
	s_or_b64 exec, exec, s[50:51]
.LBB275_34:                             ;   in Loop: Header=BB275_14 Depth=1
	s_or_b64 exec, exec, s[48:49]
.LBB275_35:                             ;   in Loop: Header=BB275_14 Depth=1
	s_or_b64 exec, exec, s[46:47]
	v_lshrrev_b16_e32 v12, 8, v12
	v_cmp_ne_u16_e64 s[4:5], 0, v12
	s_and_saveexec_b64 s[46:47], s[4:5]
	s_cbranch_execz .LBB275_41
; %bb.36:                               ;   in Loop: Header=BB275_14 Depth=1
	v_cmp_ne_u16_e64 s[4:5], s60, v12
	v_bfrev_b32_e32 v29, 1
	s_and_saveexec_b64 s[48:49], s[4:5]
	s_cbranch_execz .LBB275_40
; %bb.37:                               ;   in Loop: Header=BB275_14 Depth=1
	v_and_b32_e32 v31, 0x7f, v12
	v_cmp_ne_u32_e64 s[4:5], s61, v31
	v_mov_b32_e32 v29, 0x7fc02000
	s_and_saveexec_b64 s[50:51], s[4:5]
	s_cbranch_execz .LBB275_39
; %bb.38:                               ;   in Loop: Header=BB275_14 Depth=1
	v_and_b32_e32 v29, 7, v12
	v_ffbh_u32_e32 v32, v29
	v_min_u32_e32 v35, 32, v32
	v_subrev_u32_e32 v32, 28, v35
	v_lshlrev_b64 v[32:33], v32, v[12:13]
	v_lshrrev_b32_e32 v34, 3, v31
	v_sub_u32_e32 v33, 29, v35
	v_cmp_gt_u32_e64 s[4:5], 8, v31
	v_cndmask_b32_e64 v31, v34, v33, s[4:5]
	v_and_b32_e32 v32, 7, v32
	v_lshlrev_b32_e32 v12, 8, v12
	v_lshl_add_u32 v31, v31, 10, v23
	v_cndmask_b32_e64 v29, v29, v32, s[4:5]
	v_and_or_b32 v12, v12, s62, v31
	v_lshl_or_b32 v12, v29, 7, v12
	v_cvt_f32_f16_e32 v29, v12
.LBB275_39:                             ;   in Loop: Header=BB275_14 Depth=1
	s_or_b64 exec, exec, s[50:51]
.LBB275_40:                             ;   in Loop: Header=BB275_14 Depth=1
	s_or_b64 exec, exec, s[48:49]
.LBB275_41:                             ;   in Loop: Header=BB275_14 Depth=1
	s_or_b64 exec, exec, s[46:47]
	global_load_ushort v32, v[10:11], off offset:256
	v_mov_b32_e32 v31, 0
	s_waitcnt vmcnt(0)
	v_and_b32_e32 v12, 0xffff, v32
	v_cmp_ne_u16_sdwa s[4:5], v32, v15 src0_sel:BYTE_0 src1_sel:DWORD
	v_mov_b32_e32 v32, 0
	s_and_saveexec_b64 s[46:47], s[4:5]
	s_cbranch_execz .LBB275_47
; %bb.42:                               ;   in Loop: Header=BB275_14 Depth=1
	v_cmp_ne_u16_sdwa s[4:5], v12, s60 src0_sel:BYTE_0 src1_sel:DWORD
	v_bfrev_b32_e32 v32, 1
	s_and_saveexec_b64 s[48:49], s[4:5]
	s_cbranch_execz .LBB275_46
; %bb.43:                               ;   in Loop: Header=BB275_14 Depth=1
	v_and_b32_e32 v33, 0x7f, v12
	v_cmp_ne_u32_e64 s[4:5], s61, v33
	v_mov_b32_e32 v32, 0x7fc02000
	s_and_saveexec_b64 s[50:51], s[4:5]
	s_cbranch_execz .LBB275_45
; %bb.44:                               ;   in Loop: Header=BB275_14 Depth=1
	v_and_b32_e32 v32, 7, v12
	v_ffbh_u32_e32 v34, v32
	v_min_u32_e32 v37, 32, v34
	v_subrev_u32_e32 v34, 28, v37
	v_lshlrev_b64 v[34:35], v34, v[12:13]
	v_lshrrev_b32_e32 v36, 3, v33
	v_sub_u32_e32 v35, 29, v37
	v_cmp_gt_u32_e64 s[4:5], 8, v33
	v_and_b32_e32 v34, 7, v34
	v_cndmask_b32_e64 v33, v36, v35, s[4:5]
	v_cndmask_b32_e64 v32, v32, v34, s[4:5]
	v_lshlrev_b32_e32 v34, 8, v12
	v_lshl_add_u32 v33, v33, 10, v23
	v_and_or_b32 v33, v34, s62, v33
	v_lshl_or_b32 v32, v32, 7, v33
	v_cvt_f32_f16_e32 v32, v32
.LBB275_45:                             ;   in Loop: Header=BB275_14 Depth=1
	s_or_b64 exec, exec, s[50:51]
.LBB275_46:                             ;   in Loop: Header=BB275_14 Depth=1
	s_or_b64 exec, exec, s[48:49]
.LBB275_47:                             ;   in Loop: Header=BB275_14 Depth=1
	s_or_b64 exec, exec, s[46:47]
	v_lshrrev_b16_e32 v12, 8, v12
	v_cmp_ne_u16_e64 s[4:5], 0, v12
	s_and_saveexec_b64 s[46:47], s[4:5]
	s_cbranch_execz .LBB275_53
; %bb.48:                               ;   in Loop: Header=BB275_14 Depth=1
	v_cmp_ne_u16_e64 s[4:5], s60, v12
	v_bfrev_b32_e32 v31, 1
	s_and_saveexec_b64 s[48:49], s[4:5]
	s_cbranch_execz .LBB275_52
; %bb.49:                               ;   in Loop: Header=BB275_14 Depth=1
	v_and_b32_e32 v33, 0x7f, v12
	v_cmp_ne_u32_e64 s[4:5], s61, v33
	v_mov_b32_e32 v31, 0x7fc02000
	s_and_saveexec_b64 s[50:51], s[4:5]
	s_cbranch_execz .LBB275_51
; %bb.50:                               ;   in Loop: Header=BB275_14 Depth=1
	v_and_b32_e32 v31, 7, v12
	v_ffbh_u32_e32 v34, v31
	v_min_u32_e32 v37, 32, v34
	v_subrev_u32_e32 v34, 28, v37
	v_lshlrev_b64 v[34:35], v34, v[12:13]
	v_lshrrev_b32_e32 v36, 3, v33
	v_sub_u32_e32 v35, 29, v37
	v_cmp_gt_u32_e64 s[4:5], 8, v33
	v_cndmask_b32_e64 v33, v36, v35, s[4:5]
	v_and_b32_e32 v34, 7, v34
	v_lshlrev_b32_e32 v12, 8, v12
	v_lshl_add_u32 v33, v33, 10, v23
	v_cndmask_b32_e64 v31, v31, v34, s[4:5]
	v_and_or_b32 v12, v12, s62, v33
	v_lshl_or_b32 v12, v31, 7, v12
	v_cvt_f32_f16_e32 v31, v12
.LBB275_51:                             ;   in Loop: Header=BB275_14 Depth=1
	s_or_b64 exec, exec, s[50:51]
.LBB275_52:                             ;   in Loop: Header=BB275_14 Depth=1
	s_or_b64 exec, exec, s[48:49]
.LBB275_53:                             ;   in Loop: Header=BB275_14 Depth=1
	s_or_b64 exec, exec, s[46:47]
	global_load_ushort v12, v[10:11], off offset:264
	v_mov_b32_e32 v11, 0
	s_waitcnt vmcnt(0)
	v_and_b32_e32 v10, 0xffff, v12
	v_cmp_ne_u16_sdwa s[4:5], v12, v15 src0_sel:BYTE_0 src1_sel:DWORD
	v_mov_b32_e32 v12, 0
	s_and_saveexec_b64 s[46:47], s[4:5]
	s_cbranch_execz .LBB275_59
; %bb.54:                               ;   in Loop: Header=BB275_14 Depth=1
	v_cmp_ne_u16_sdwa s[4:5], v10, s60 src0_sel:BYTE_0 src1_sel:DWORD
	v_bfrev_b32_e32 v12, 1
	s_and_saveexec_b64 s[48:49], s[4:5]
	s_cbranch_execz .LBB275_58
; %bb.55:                               ;   in Loop: Header=BB275_14 Depth=1
	v_and_b32_e32 v33, 0x7f, v10
	v_cmp_ne_u32_e64 s[4:5], s61, v33
	v_mov_b32_e32 v12, 0x7fc02000
	s_and_saveexec_b64 s[50:51], s[4:5]
	s_cbranch_execz .LBB275_57
; %bb.56:                               ;   in Loop: Header=BB275_14 Depth=1
	v_and_b32_e32 v12, 7, v10
	v_ffbh_u32_e32 v34, v12
	v_min_u32_e32 v37, 32, v34
	v_subrev_u32_e32 v34, 28, v37
	v_lshlrev_b64 v[34:35], v34, v[10:11]
	v_lshrrev_b32_e32 v36, 3, v33
	v_sub_u32_e32 v35, 29, v37
	v_cmp_gt_u32_e64 s[4:5], 8, v33
	v_and_b32_e32 v34, 7, v34
	v_cndmask_b32_e64 v33, v36, v35, s[4:5]
	v_cndmask_b32_e64 v12, v12, v34, s[4:5]
	v_lshlrev_b32_e32 v34, 8, v10
	v_lshl_add_u32 v33, v33, 10, v23
	v_and_or_b32 v33, v34, s62, v33
	v_lshl_or_b32 v12, v12, 7, v33
	v_cvt_f32_f16_e32 v12, v12
.LBB275_57:                             ;   in Loop: Header=BB275_14 Depth=1
	s_or_b64 exec, exec, s[50:51]
.LBB275_58:                             ;   in Loop: Header=BB275_14 Depth=1
	s_or_b64 exec, exec, s[48:49]
.LBB275_59:                             ;   in Loop: Header=BB275_14 Depth=1
	s_or_b64 exec, exec, s[46:47]
	v_lshrrev_b16_e32 v10, 8, v10
	v_cmp_ne_u16_e64 s[4:5], 0, v10
	s_and_saveexec_b64 s[46:47], s[4:5]
	s_cbranch_execz .LBB275_65
; %bb.60:                               ;   in Loop: Header=BB275_14 Depth=1
	v_cmp_ne_u16_e64 s[4:5], s60, v10
	v_bfrev_b32_e32 v11, 1
	s_and_saveexec_b64 s[48:49], s[4:5]
	s_cbranch_execz .LBB275_64
; %bb.61:                               ;   in Loop: Header=BB275_14 Depth=1
	v_and_b32_e32 v33, 0x7f, v10
	v_cmp_ne_u32_e64 s[4:5], s61, v33
	v_mov_b32_e32 v11, 0x7fc02000
	s_and_saveexec_b64 s[50:51], s[4:5]
	s_cbranch_execz .LBB275_63
; %bb.62:                               ;   in Loop: Header=BB275_14 Depth=1
	v_and_b32_e32 v11, 7, v10
	v_ffbh_u32_e32 v34, v11
	v_min_u32_e32 v37, 32, v34
	v_subrev_u32_e32 v34, 28, v37
	v_lshlrev_b64 v[34:35], v34, v[10:11]
	v_lshrrev_b32_e32 v36, 3, v33
	v_sub_u32_e32 v35, 29, v37
	v_cmp_gt_u32_e64 s[4:5], 8, v33
	v_cndmask_b32_e64 v33, v36, v35, s[4:5]
	v_and_b32_e32 v34, 7, v34
	v_lshlrev_b32_e32 v10, 8, v10
	v_lshl_add_u32 v33, v33, 10, v23
	v_cndmask_b32_e64 v11, v11, v34, s[4:5]
	v_and_or_b32 v10, v10, s62, v33
	v_lshl_or_b32 v10, v11, 7, v10
	v_cvt_f32_f16_e32 v11, v10
.LBB275_63:                             ;   in Loop: Header=BB275_14 Depth=1
	s_or_b64 exec, exec, s[50:51]
.LBB275_64:                             ;   in Loop: Header=BB275_14 Depth=1
	s_or_b64 exec, exec, s[48:49]
.LBB275_65:                             ;   in Loop: Header=BB275_14 Depth=1
	s_or_b64 exec, exec, s[46:47]
	ds_read_b32 v10, v16
	v_fma_mixlo_f16 v28, v26, v28, 0
	v_fma_mixlo_f16 v27, v26, v27, 0
	v_and_b32_e32 v28, 0xffff, v28
	v_and_b32_e32 v27, 0xffff, v27
	s_waitcnt lgkmcnt(0)
	v_lshrrev_b32_e32 v33, 16, v10
	v_and_b32_e32 v10, 0xffff, v10
	;;#ASMSTART
	v_cvt_f32_f16 v10, v10;
	;;#ASMEND
	;;#ASMSTART
	v_cvt_f32_f16 v33, v33;
	;;#ASMEND
	;; [unrolled: 3-line block ×4, first 2 shown]
	ds_read_b32 v34, v16 offset:4
	v_fma_mixlo_f16 v30, v26, v30, 0
	v_fma_mixlo_f16 v29, v26, v29, 0
	v_and_b32_e32 v30, 0xffff, v30
	v_and_b32_e32 v29, 0xffff, v29
	s_waitcnt lgkmcnt(0)
	v_lshrrev_b32_e32 v35, 16, v34
	v_and_b32_e32 v34, 0xffff, v34
	;;#ASMSTART
	v_cvt_f32_f16 v34, v34;
	;;#ASMEND
	;;#ASMSTART
	v_cvt_f32_f16 v35, v35;
	;;#ASMEND
	;; [unrolled: 3-line block ×4, first 2 shown]
	ds_read_b32 v36, v16 offset:8
	v_fma_mixlo_f16 v32, v26, v32, 0
	v_fma_mixlo_f16 v31, v26, v31, 0
	;; [unrolled: 1-line block ×4, first 2 shown]
	v_mul_f32_e32 v26, v34, v30
	v_fmac_f32_e32 v26, v10, v28
	s_waitcnt lgkmcnt(0)
	v_lshrrev_b32_e32 v10, 16, v36
	v_and_b32_e32 v28, 0xffff, v36
	v_and_b32_e32 v30, 0xffff, v32
	;; [unrolled: 1-line block ×3, first 2 shown]
	;;#ASMSTART
	v_cvt_f32_f16 v28, v28;
	;;#ASMEND
	;;#ASMSTART
	v_cvt_f32_f16 v10, v10;
	;;#ASMEND
	;; [unrolled: 3-line block ×4, first 2 shown]
	ds_read_b32 v32, v16 offset:12
	v_mul_f32_e32 v29, v35, v29
	v_fmac_f32_e32 v29, v33, v27
	v_fmac_f32_e32 v29, v10, v31
	v_and_b32_e32 v12, 0xffff, v12
	s_waitcnt lgkmcnt(0)
	v_lshrrev_b32_e32 v10, 16, v32
	v_and_b32_e32 v27, 0xffff, v32
	v_and_b32_e32 v11, 0xffff, v11
	;;#ASMSTART
	v_cvt_f32_f16 v27, v27;
	;;#ASMEND
	;;#ASMSTART
	v_cvt_f32_f16 v10, v10;
	;;#ASMEND
	;; [unrolled: 3-line block ×4, first 2 shown]
	v_fmac_f32_e32 v26, v28, v30
	v_fmac_f32_e32 v29, v10, v11
	v_and_b32_e32 v11, 64, v24
	v_fmac_f32_e32 v26, v27, v12
	v_add_u32_e32 v11, 64, v11
	v_xor_b32_e32 v12, 2, v24
	v_cmp_lt_i32_e64 s[4:5], v12, v11
	v_cndmask_b32_e64 v12, v24, v12, s[4:5]
	v_add_f32_e32 v10, v26, v29
	v_lshlrev_b32_e32 v12, 2, v12
	ds_bpermute_b32 v12, v12, v10
	s_waitcnt lgkmcnt(0)
	v_add_f32_e32 v10, v10, v12
	v_xor_b32_e32 v12, 1, v24
	v_cmp_lt_i32_e64 s[4:5], v12, v11
	v_cndmask_b32_e64 v11, v24, v12, s[4:5]
	v_lshlrev_b32_e32 v11, 2, v11
	ds_bpermute_b32 v11, v11, v10
	s_and_saveexec_b64 s[46:47], vcc
	s_cbranch_execz .LBB275_12
; %bb.66:                               ;   in Loop: Header=BB275_14 Depth=1
	v_add_u32_e32 v12, v21, v19
	v_cvt_f32_i32_e32 v12, v12
	s_waitcnt lgkmcnt(0)
	v_add_f32_e32 v10, v10, v11
	v_add_u32_e32 v26, v14, v19
	v_cmp_gt_i32_e64 s[4:5], s33, v26
	v_mul_f32_e32 v11, s56, v12
	v_cndmask_b32_e64 v11, 0, v11, s[2:3]
	v_fmac_f32_e32 v11, s43, v10
	v_cndmask_b32_e64 v10, 0, v11, s[4:5]
	ds_write_b32 v20, v10
	v_max_f32_e32 v10, v17, v17
	v_max_f32_e32 v10, v10, v11
	v_cndmask_b32_e64 v17, v17, v10, s[4:5]
	s_branch .LBB275_12
.LBB275_67:
	s_or_b64 exec, exec, s[44:45]
.LBB275_68:
	s_or_b64 exec, exec, s[18:19]
	v_mbcnt_hi_u32_b32 v4, -1, v7
	v_and_b32_e32 v5, 64, v4
	v_add_u32_e32 v5, 64, v5
	v_xor_b32_e32 v6, 32, v4
	v_cmp_lt_i32_e32 vcc, v6, v5
	v_cndmask_b32_e32 v6, v4, v6, vcc
	v_lshlrev_b32_e32 v7, 2, v6
	ds_bpermute_b32 v6, v7, v17
	v_xor_b32_e32 v9, 16, v4
	v_max_f32_e32 v8, v17, v17
	v_cmp_lt_i32_e32 vcc, v9, v5
	v_xor_b32_e32 v10, 8, v4
	s_waitcnt lgkmcnt(0)
	v_max_f32_e32 v6, v6, v6
	v_max_f32_e32 v6, v8, v6
	v_cndmask_b32_e32 v8, v4, v9, vcc
	v_lshlrev_b32_e32 v8, 2, v8
	ds_bpermute_b32 v9, v8, v6
	v_cmp_lt_i32_e32 vcc, v10, v5
	v_and_b32_e32 v11, 63, v0
	s_waitcnt lgkmcnt(0)
	v_max_f32_e32 v9, v9, v9
	v_max_f32_e32 v6, v6, v9
	v_cndmask_b32_e32 v9, v4, v10, vcc
	v_lshlrev_b32_e32 v12, 2, v9
	ds_bpermute_b32 v9, v12, v6
	v_xor_b32_e32 v10, 4, v4
	v_cmp_lt_i32_e32 vcc, v10, v5
	s_waitcnt lgkmcnt(0)
	v_max_f32_e32 v9, v9, v9
	v_max_f32_e32 v6, v6, v9
	v_cndmask_b32_e32 v9, v4, v10, vcc
	v_lshlrev_b32_e32 v14, 2, v9
	ds_bpermute_b32 v10, v14, v6
	v_cmp_eq_u32_e32 vcc, 0, v11
	v_lshlrev_b32_e32 v9, 2, v13
	s_and_saveexec_b64 s[2:3], vcc
	s_cbranch_execz .LBB275_70
; %bb.69:
	s_waitcnt lgkmcnt(0)
	v_max_f32_e32 v10, v10, v10
	v_max_f32_e32 v6, v6, v6
	;; [unrolled: 1-line block ×3, first 2 shown]
	ds_write_b32 v9, v6 offset:64
.LBB275_70:
	s_or_b64 exec, exec, s[2:3]
	v_cmp_gt_u32_e64 s[2:3], 2, v11
	v_mov_b32_e32 v6, 0xff7fffff
	s_waitcnt lgkmcnt(0)
	v_lshlrev_b32_e32 v10, 2, v11
	s_barrier
	s_and_saveexec_b64 s[4:5], s[2:3]
	s_cbranch_execz .LBB275_72
; %bb.71:
	ds_read_b32 v6, v10 offset:64
.LBB275_72:
	s_or_b64 exec, exec, s[4:5]
	v_xor_b32_e32 v15, 1, v4
	v_cmp_lt_i32_e64 s[4:5], v15, v5
	v_cndmask_b32_e64 v15, v4, v15, s[4:5]
	v_lshlrev_b32_e32 v18, 2, v15
	s_waitcnt lgkmcnt(0)
	ds_bpermute_b32 v15, v18, v6
	v_max_f32_e32 v6, v6, v6
	s_sub_i32 s4, s52, s16
	s_lshl_b32 s4, s4, 4
	s_add_i32 s4, s4, s55
	s_waitcnt lgkmcnt(0)
	v_max_f32_e32 v15, v15, v15
	v_max_f32_e32 v6, v6, v15
	v_lshlrev_b32_e32 v15, 2, v4
	v_and_b32_e32 v15, 0x100, v15
	ds_bpermute_b32 v6, v15, v6
	s_min_i32 s44, s4, s33
	s_sub_i32 s43, s44, s55
	v_cmp_gt_i32_e64 s[4:5], s43, v0
	v_mov_b32_e32 v16, 0
	s_and_saveexec_b64 s[12:13], s[4:5]
	s_cbranch_execz .LBB275_76
; %bb.73:
	v_mov_b32_e32 v16, 0x50
	v_lshl_add_u32 v17, v0, 2, v16
	s_mov_b64 s[18:19], 0
	v_mov_b32_e32 v16, 0
	v_mov_b32_e32 v19, v0
.LBB275_74:                             ; =>This Inner Loop Header: Depth=1
	ds_read_b32 v20, v17
	v_add_u32_e32 v19, 0x80, v19
	v_cmp_le_i32_e64 s[10:11], s43, v19
	s_or_b64 s[18:19], s[10:11], s[18:19]
	s_waitcnt lgkmcnt(0)
	v_sub_f32_e32 v20, v20, v6
	v_mul_f32_e32 v20, 0x3fb8aa3b, v20
	v_exp_f32_e32 v20, v20
	ds_write_b32 v17, v20
	v_add_f32_e32 v16, v16, v20
	v_add_u32_e32 v17, 0x200, v17
	s_andn2_b64 exec, exec, s[18:19]
	s_cbranch_execnz .LBB275_74
; %bb.75:
	s_or_b64 exec, exec, s[18:19]
.LBB275_76:
	s_or_b64 exec, exec, s[12:13]
	ds_bpermute_b32 v7, v7, v16
	s_waitcnt lgkmcnt(0)
	v_add_f32_e32 v7, v16, v7
	ds_bpermute_b32 v8, v8, v7
	s_waitcnt lgkmcnt(0)
	v_add_f32_e32 v7, v7, v8
	ds_bpermute_b32 v8, v12, v7
	v_xor_b32_e32 v12, 2, v4
	v_cmp_lt_i32_e64 s[10:11], v12, v5
	v_cndmask_b32_e64 v4, v4, v12, s[10:11]
	v_lshlrev_b32_e32 v4, 2, v4
	s_waitcnt lgkmcnt(0)
	v_add_f32_e32 v7, v7, v8
	ds_bpermute_b32 v8, v14, v7
	s_waitcnt lgkmcnt(0)
	v_add_f32_e32 v5, v7, v8
	ds_bpermute_b32 v4, v4, v5
	;; [unrolled: 3-line block ×3, first 2 shown]
	s_waitcnt lgkmcnt(0)
	v_add_f32_e32 v4, v4, v5
	s_and_saveexec_b64 s[10:11], vcc
	s_cbranch_execz .LBB275_78
; %bb.77:
	ds_write_b32 v9, v4 offset:72
.LBB275_78:
	s_or_b64 exec, exec, s[10:11]
	s_waitcnt lgkmcnt(0)
	s_barrier
	s_and_saveexec_b64 s[10:11], s[2:3]
	s_cbranch_execz .LBB275_80
; %bb.79:
	ds_read_b32 v4, v10 offset:72
.LBB275_80:
	s_or_b64 exec, exec, s[10:11]
	s_waitcnt lgkmcnt(0)
	ds_bpermute_b32 v5, v18, v4
	s_waitcnt lgkmcnt(0)
	v_add_f32_e32 v4, v4, v5
	ds_bpermute_b32 v7, v15, v4
	s_and_saveexec_b64 s[2:3], s[4:5]
	s_cbranch_execz .LBB275_93
; %bb.81:
	s_waitcnt lgkmcnt(0)
	v_add_f32_e32 v4, 0x358637bd, v7
	v_div_scale_f32 v5, s[4:5], v4, v4, 1.0
	v_rcp_f32_e32 v8, v5
	v_div_scale_f32 v9, vcc, 1.0, v4, 1.0
	s_movk_i32 s4, 0x7f
	v_fma_f32 v10, -v5, v8, 1.0
	v_fmac_f32_e32 v8, v10, v8
	v_mul_f32_e32 v10, v9, v8
	v_fma_f32 v12, -v5, v10, v9
	v_fmac_f32_e32 v10, v12, v8
	v_fma_f32 v5, -v5, v10, v9
	v_div_fmas_f32 v5, v5, v8, v10
	v_div_fixup_f32 v4, v5, v4, 1.0
	v_xad_u32 v5, v0, -1, s44
	v_subrev_u32_e32 v8, s55, v5
	v_cmp_lt_u32_e32 vcc, s4, v8
	s_mov_b64 s[10:11], -1
	v_mov_b32_e32 v5, v0
	s_and_saveexec_b64 s[4:5], vcc
	s_cbranch_execz .LBB275_90
; %bb.82:
	v_lshrrev_b32_e32 v8, 7, v8
	v_add_u32_e32 v10, -1, v8
	v_lshrrev_b32_e32 v9, 1, v10
	v_mov_b32_e32 v5, v4
	v_add_u32_e32 v9, 1, v9
	v_cmp_lt_u32_e32 vcc, 13, v10
	v_mov_b32_e32 v14, 0
	s_and_saveexec_b64 s[10:11], vcc
	s_cbranch_execz .LBB275_86
; %bb.83:
	v_mov_b32_e32 v12, 0x50
	v_and_b32_e32 v10, -8, v9
	v_lshl_add_u32 v12, v0, 2, v12
	s_mov_b32 s18, 0
	s_mov_b64 s[12:13], 0
.LBB275_84:                             ; =>This Inner Loop Header: Depth=1
	ds_read2st64_b32 v[14:15], v12 offset1:2
	ds_read2st64_b32 v[16:17], v12 offset0:4 offset1:6
	ds_read2st64_b32 v[20:21], v12 offset0:8 offset1:10
	;; [unrolled: 1-line block ×3, first 2 shown]
	v_add_u32_e32 v10, -8, v10
	s_waitcnt lgkmcnt(3)
	v_pk_mul_f32 v[14:15], v[4:5], v[14:15]
	s_waitcnt lgkmcnt(2)
	v_pk_mul_f32 v[16:17], v[4:5], v[16:17]
	ds_write2st64_b32 v12, v14, v15 offset1:2
	ds_write2st64_b32 v12, v16, v17 offset0:4 offset1:6
	ds_read2st64_b32 v[16:17], v12 offset0:16 offset1:18
	s_waitcnt lgkmcnt(4)
	v_pk_mul_f32 v[14:15], v[4:5], v[20:21]
	ds_write2st64_b32 v12, v14, v15 offset0:8 offset1:10
	s_waitcnt lgkmcnt(4)
	v_pk_mul_f32 v[14:15], v[4:5], v[22:23]
	ds_write2st64_b32 v12, v14, v15 offset0:12 offset1:14
	ds_read2st64_b32 v[14:15], v12 offset0:20 offset1:22
	s_waitcnt lgkmcnt(3)
	v_pk_mul_f32 v[16:17], v[4:5], v[16:17]
	ds_read2st64_b32 v[20:21], v12 offset0:24 offset1:26
	ds_write2st64_b32 v12, v16, v17 offset0:16 offset1:18
	ds_read2st64_b32 v[16:17], v12 offset0:28 offset1:30
	s_waitcnt lgkmcnt(3)
	v_pk_mul_f32 v[14:15], v[4:5], v[14:15]
	ds_write2st64_b32 v12, v14, v15 offset0:20 offset1:22
	s_waitcnt lgkmcnt(3)
	v_pk_mul_f32 v[14:15], v[4:5], v[20:21]
	ds_write2st64_b32 v12, v14, v15 offset0:24 offset1:26
	s_waitcnt lgkmcnt(2)
	v_pk_mul_f32 v[14:15], v[4:5], v[16:17]
	s_add_i32 s18, s18, 16
	v_cmp_eq_u32_e32 vcc, 0, v10
	ds_write2st64_b32 v12, v14, v15 offset0:28 offset1:30
	v_add_u32_e32 v12, 0x2000, v12
	s_or_b64 s[12:13], vcc, s[12:13]
	v_mov_b32_e32 v14, s18
	s_andn2_b64 exec, exec, s[12:13]
	s_cbranch_execnz .LBB275_84
; %bb.85:
	s_or_b64 exec, exec, s[12:13]
.LBB275_86:
	s_or_b64 exec, exec, s[10:11]
	v_and_b32_e32 v9, 7, v9
	v_cmp_ne_u32_e32 vcc, 0, v9
	s_and_saveexec_b64 s[10:11], vcc
	s_cbranch_execz .LBB275_89
; %bb.87:
	v_lshlrev_b32_e32 v10, 9, v14
	v_lshlrev_b32_e32 v12, 2, v0
	s_movk_i32 s12, 0x50
	v_add3_u32 v10, v10, v12, s12
	s_mov_b64 s[12:13], 0
.LBB275_88:                             ; =>This Inner Loop Header: Depth=1
	ds_read2st64_b32 v[14:15], v10 offset1:2
	v_add_u32_e32 v9, -1, v9
	v_cmp_eq_u32_e32 vcc, 0, v9
	s_or_b64 s[12:13], vcc, s[12:13]
	s_waitcnt lgkmcnt(0)
	v_pk_mul_f32 v[14:15], v[4:5], v[14:15]
	ds_write2st64_b32 v10, v14, v15 offset1:2
	v_add_u32_e32 v10, 0x400, v10
	s_andn2_b64 exec, exec, s[12:13]
	s_cbranch_execnz .LBB275_88
.LBB275_89:
	s_or_b64 exec, exec, s[10:11]
	v_add_u32_e32 v8, 1, v8
	v_and_b32_e32 v9, 0x3fffffe, v8
	v_cmp_ne_u32_e32 vcc, v8, v9
	v_lshl_add_u32 v5, v9, 7, v0
	s_orn2_b64 s[10:11], vcc, exec
.LBB275_90:
	s_or_b64 exec, exec, s[4:5]
	s_and_b64 exec, exec, s[10:11]
	s_cbranch_execz .LBB275_93
; %bb.91:
	v_mov_b32_e32 v8, 0x50
	v_lshl_add_u32 v8, v5, 2, v8
	s_mov_b64 s[4:5], 0
.LBB275_92:                             ; =>This Inner Loop Header: Depth=1
	ds_read_b32 v9, v8
	v_add_u32_e32 v5, 0x80, v5
	v_cmp_le_i32_e32 vcc, s43, v5
	s_or_b64 s[4:5], vcc, s[4:5]
	s_waitcnt lgkmcnt(0)
	v_mul_f32_e32 v9, v4, v9
	ds_write_b32 v8, v9
	v_add_u32_e32 v8, 0x200, v8
	s_andn2_b64 exec, exec, s[4:5]
	s_cbranch_execnz .LBB275_92
.LBB275_93:
	s_or_b64 exec, exec, s[2:3]
	s_mul_i32 s2, s20, s34
	v_cmp_eq_u32_e32 vcc, 0, v0
	s_mul_i32 s2, s2, s9
	s_waitcnt lgkmcnt(0)
	s_barrier
	s_and_saveexec_b64 s[4:5], vcc
	s_cbranch_execz .LBB275_95
; %bb.94:
	s_ashr_i32 s3, s2, 31
	s_lshl_b64 s[10:11], s[2:3], 2
	s_add_u32 s3, s26, s10
	s_mul_i32 s12, s20, s6
	s_addc_u32 s9, s27, s11
	s_ashr_i32 s13, s12, 31
	s_lshl_b64 s[12:13], s[12:13], 2
	s_add_u32 s3, s3, s12
	s_addc_u32 s6, s9, s13
	s_ashr_i32 s9, s8, 31
	s_lshl_b64 s[8:9], s[8:9], 2
	s_add_u32 s18, s3, s8
	s_addc_u32 s19, s6, s9
	s_add_u32 s3, s24, s10
	s_addc_u32 s6, s25, s11
	;; [unrolled: 2-line block ×3, first 2 shown]
	s_add_u32 s8, s3, s8
	v_mov_b32_e32 v4, 0
	s_addc_u32 s9, s6, s9
	global_store_dword v4, v6, s[18:19]
	global_store_dword v4, v7, s[8:9]
.LBB275_95:
	s_or_b64 exec, exec, s[4:5]
	v_mov_b32_e32 v21, 0
	s_and_saveexec_b64 s[4:5], s[0:1]
	s_cbranch_execz .LBB275_151
; %bb.96:
	s_sub_i32 s3, s7, s21
	s_ashr_i32 s0, s54, 31
	s_add_u32 s1, s40, s54
	s_addc_u32 s0, s41, s0
	s_abs_i32 s21, s22
	v_cvt_f32_u32_e32 v5, s21
	v_lshlrev_b32_e32 v4, 3, v0
	v_and_b32_e32 v19, 8, v4
	v_and_b32_e32 v4, 0x1f8, v4
	v_rcp_iflag_f32_e32 v7, v5
	v_mov_b32_e32 v6, s0
	v_add_co_u32_e32 v4, vcc, s1, v4
	v_addc_co_u32_e32 v5, vcc, 0, v6, vcc
	v_mul_f32_e32 v6, 0x4f7ffffe, v7
	v_cvt_u32_f32_e32 v6, v6
	s_sub_i32 s0, 0, s21
	s_add_i32 s53, s53, -1
	s_mov_b32 s6, -1
	v_mul_lo_u32 v7, s0, v6
	s_lshl_b64 s[0:1], s[38:39], 2
	v_mul_hi_u32 v7, v6, v7
	s_add_u32 s0, s36, s0
	v_add_u32_e32 v20, v6, v7
	v_lshlrev_b64 v[6:7], 2, v[2:3]
	s_addc_u32 s1, s37, s1
	v_mov_b32_e32 v3, s1
	v_add_co_u32_e32 v6, vcc, s0, v6
	v_addc_co_u32_e32 v7, vcc, v3, v7, vcc
	v_and_b32_e32 v3, 1, v0
	v_lshlrev_b32_e32 v3, 5, v3
	v_lshl_or_b32 v3, v13, 6, v3
	s_mov_b32 s7, 0xffffff
	s_mov_b32 s22, s33
	v_add_u32_e32 v3, 0x50, v3
	s_mov_b64 s[8:9], 0
	v_mov_b32_e32 v9, 0
	s_movk_i32 s24, 0x80
	s_movk_i32 s25, 0x7f
	s_mov_b32 s26, 0x8000
	s_movk_i32 s27, 0x380
	s_mov_b32 s34, 0x3020706
	s_mov_b32 s36, 0x1000504
	;; [unrolled: 1-line block ×3, first 2 shown]
	v_mov_b32_e32 v22, 0x2000
	v_mov_b32_e32 v21, 0
	s_branch .LBB275_99
.LBB275_97:                             ;   in Loop: Header=BB275_99 Depth=1
	s_or_b64 exec, exec, s[10:11]
	v_and_b32_e32 v14, 0xffff, v23
	v_and_b32_e32 v15, 0xffff, v25
	v_lshl_or_b32 v14, v24, 16, v14
	v_lshl_or_b32 v15, v26, 16, v15
	v_and_b32_e32 v16, 0xffff, v27
	v_and_b32_e32 v17, 0xffff, v29
	;;#ASMSTART
	v_pk_mul_f16 v12, v14, v12;

	;;#ASMEND
	;;#ASMSTART
	v_pk_mul_f16 v8, v15, v8;

	;;#ASMEND
	v_lshl_or_b32 v16, v28, 16, v16
	v_lshl_or_b32 v17, v30, 16, v17
	;;#ASMSTART
	v_pk_mul_f16 v13, v16, v13;

	;;#ASMEND
	;;#ASMSTART
	v_pk_mul_f16 v10, v17, v10;

	;;#ASMEND
	;;#ASMSTART
	v_pk_add_f16 v8, v12, v8;

	;;#ASMEND
	;;#ASMSTART
	v_pk_add_f16 v8, v8, v13;
	;; [unrolled: 4-line block ×3, first 2 shown]

	;;#ASMEND
	v_lshrrev_b32_e32 v10, 16, v8
	v_and_b32_e32 v8, 0xffff, v8
	;;#ASMSTART
	v_cvt_f32_f16 v8, v8;
	;;#ASMEND
	;;#ASMSTART
	v_cvt_f32_f16 v10, v10;
	;;#ASMEND
	v_add_f32_e32 v8, v8, v10
	v_add_f32_e32 v21, v21, v8
.LBB275_98:                             ;   in Loop: Header=BB275_99 Depth=1
	s_or_b64 exec, exec, s[0:1]
	v_add_co_u32_e32 v6, vcc, 8, v6
	v_add_u32_e32 v2, 2, v2
	v_addc_co_u32_e32 v7, vcc, 0, v7, vcc
	v_cmp_le_i32_e32 vcc, s52, v2
	v_add_u32_e32 v1, 32, v1
	s_or_b64 s[8:9], vcc, s[8:9]
	v_add_u32_e32 v3, 0x80, v3
	s_andn2_b64 exec, exec, s[8:9]
	s_cbranch_execz .LBB275_150
.LBB275_99:                             ; =>This Inner Loop Header: Depth=1
	v_sub_u32_e32 v10, 0, v1
	v_max_i32_e32 v10, v1, v10
	v_mul_hi_u32 v12, v10, s35
	v_mul_lo_u32 v13, v12, s29
	v_sub_u32_e32 v10, v10, v13
	v_add_u32_e32 v13, 1, v12
	v_cmp_le_u32_e32 vcc, s29, v10
	v_cndmask_b32_e32 v12, v12, v13, vcc
	v_subrev_u32_e32 v13, s29, v10
	v_cndmask_b32_e32 v10, v10, v13, vcc
	v_ashrrev_i32_e32 v8, 31, v1
	v_add_u32_e32 v13, 1, v12
	v_cmp_le_u32_e32 vcc, s29, v10
	v_xor_b32_e32 v8, s23, v8
	v_cndmask_b32_e32 v10, v12, v13, vcc
	v_xor_b32_e32 v10, v10, v8
	v_sub_u32_e32 v8, v10, v8
	v_add_u32_e32 v10, s42, v8
	v_sub_u32_e32 v13, 0, v10
	v_ashrrev_i32_e32 v12, 31, v10
	v_max_i32_e32 v10, v10, v13
	v_mul_hi_u32 v13, v10, v20
	v_mul_lo_u32 v13, v13, s21
	v_sub_u32_e32 v10, v10, v13
	v_subrev_u32_e32 v13, s21, v10
	v_cmp_le_u32_e32 vcc, s21, v10
	v_cndmask_b32_e32 v10, v10, v13, vcc
	v_subrev_u32_e32 v13, s21, v10
	v_cmp_le_u32_e32 vcc, s21, v10
	v_cndmask_b32_e32 v10, v10, v13, vcc
	v_xor_b32_e32 v10, v10, v12
	v_sub_u32_e32 v10, v10, v12
	v_cmp_eq_u32_e32 vcc, 0, v10
	v_cmp_lt_i32_e64 s[0:1], s3, v8
	s_or_b64 s[10:11], vcc, s[0:1]
	s_and_saveexec_b64 s[0:1], s[10:11]
	s_cbranch_execz .LBB275_98
; %bb.100:                              ;   in Loop: Header=BB275_99 Depth=1
	global_load_dword v8, v[6:7], off
	ds_read2_b64 v[12:15], v3 offset1:1
	ds_read2_b64 v[28:31], v3 offset0:2 offset1:3
	s_waitcnt lgkmcnt(1)
	;;#ASMSTART
	v_cvt_f16_f32 v23, v12;

	;;#ASMEND
	;;#ASMSTART
	v_cvt_f16_f32 v24, v13;

	;;#ASMEND
	;; [unrolled: 4-line block ×4, first 2 shown]
	s_waitcnt lgkmcnt(0)
	;;#ASMSTART
	v_cvt_f16_f32 v27, v28;

	;;#ASMEND
	;;#ASMSTART
	v_cvt_f16_f32 v28, v29;

	;;#ASMEND
	;; [unrolled: 4-line block ×4, first 2 shown]
	v_mov_b32_e32 v14, 0
	s_waitcnt vmcnt(0)
	v_mad_i64_i32 v[12:13], s[10:11], v8, s17, v[4:5]
	global_load_dwordx2 v[16:17], v[12:13], off
	global_load_dword v10, v9, s[14:15]
	v_mov_b32_e32 v12, 0
	s_waitcnt vmcnt(1)
	v_cmp_ne_u16_sdwa s[12:13], v16, v9 src0_sel:BYTE_0 src1_sel:DWORD
	s_and_saveexec_b64 s[10:11], s[12:13]
	s_cbranch_execz .LBB275_106
; %bb.101:                              ;   in Loop: Header=BB275_99 Depth=1
	v_cmp_ne_u16_sdwa s[18:19], v16, s24 src0_sel:BYTE_0 src1_sel:DWORD
	v_bfrev_b32_e32 v12, 1
	s_and_saveexec_b64 s[12:13], s[18:19]
	s_cbranch_execz .LBB275_105
; %bb.102:                              ;   in Loop: Header=BB275_99 Depth=1
	v_and_b32_e32 v8, 0x7f, v16
	v_cmp_ne_u32_e32 vcc, s25, v8
	v_mov_b32_e32 v12, 0x7fc02000
	s_and_saveexec_b64 s[18:19], vcc
	s_cbranch_execz .LBB275_104
; %bb.103:                              ;   in Loop: Header=BB275_99 Depth=1
	v_and_b32_e32 v12, 7, v16
	v_ffbh_u32_e32 v12, v12
	v_min_u32_e32 v12, 32, v12
	v_subrev_u32_e32 v13, 28, v12
	v_cmp_gt_u32_e32 vcc, 8, v8
	v_lshrrev_b32_e32 v15, 3, v8
	v_sub_u32_e32 v31, 29, v12
	v_cndmask_b32_e32 v8, 0, v13, vcc
	v_lshlrev_b64 v[12:13], v8, v[16:17]
	v_cndmask_b32_e32 v8, v15, v31, vcc
	v_lshlrev_b32_e32 v13, 8, v16
	v_lshl_add_u32 v8, v8, 10, v22
	v_lshlrev_b32_e32 v12, 7, v12
	v_and_or_b32 v8, v13, s26, v8
	v_and_or_b32 v8, v12, s27, v8
	v_cvt_f32_f16_e32 v12, v8
.LBB275_104:                            ;   in Loop: Header=BB275_99 Depth=1
	s_or_b64 exec, exec, s[18:19]
.LBB275_105:                            ;   in Loop: Header=BB275_99 Depth=1
	s_or_b64 exec, exec, s[12:13]
.LBB275_106:                            ;   in Loop: Header=BB275_99 Depth=1
	s_or_b64 exec, exec, s[10:11]
	v_lshrrev_b16_e32 v8, 8, v16
	v_cmp_ne_u16_e32 vcc, 0, v8
	s_and_saveexec_b64 s[10:11], vcc
	s_cbranch_execz .LBB275_112
; %bb.107:                              ;   in Loop: Header=BB275_99 Depth=1
	v_cmp_ne_u16_e32 vcc, s24, v8
	v_bfrev_b32_e32 v14, 1
	s_and_saveexec_b64 s[12:13], vcc
	s_cbranch_execz .LBB275_111
; %bb.108:                              ;   in Loop: Header=BB275_99 Depth=1
	v_and_b32_e32 v13, 0x7f, v8
	v_cmp_ne_u32_e32 vcc, s25, v13
	v_mov_b32_e32 v14, 0x7fc02000
	s_and_saveexec_b64 s[18:19], vcc
	s_cbranch_execz .LBB275_110
; %bb.109:                              ;   in Loop: Header=BB275_99 Depth=1
	v_and_b32_e32 v31, 7, v8
	v_ffbh_u32_e32 v14, v31
	v_min_u32_e32 v33, 32, v14
	v_subrev_u32_e32 v14, 28, v33
	v_lshlrev_b64 v[14:15], v14, v[8:9]
	v_lshrrev_b32_e32 v32, 3, v13
	v_sub_u32_e32 v15, 29, v33
	v_cmp_gt_u32_e32 vcc, 8, v13
	v_cndmask_b32_e32 v13, v32, v15, vcc
	v_and_b32_e32 v14, 7, v14
	v_lshlrev_b32_e32 v8, 8, v8
	v_lshl_add_u32 v13, v13, 10, v22
	v_cndmask_b32_e32 v14, v31, v14, vcc
	v_and_or_b32 v8, v8, s26, v13
	v_lshl_or_b32 v8, v14, 7, v8
	v_cvt_f32_f16_e32 v14, v8
.LBB275_110:                            ;   in Loop: Header=BB275_99 Depth=1
	s_or_b64 exec, exec, s[18:19]
.LBB275_111:                            ;   in Loop: Header=BB275_99 Depth=1
	s_or_b64 exec, exec, s[12:13]
.LBB275_112:                            ;   in Loop: Header=BB275_99 Depth=1
	s_or_b64 exec, exec, s[10:11]
	v_lshrrev_b32_e32 v8, 16, v16
	v_cmp_ne_u16_sdwa s[12:13], v8, v9 src0_sel:BYTE_0 src1_sel:DWORD
	v_mov_b32_e32 v15, 0
	v_mov_b32_e32 v13, 0
	s_and_saveexec_b64 s[10:11], s[12:13]
	s_cbranch_execz .LBB275_118
; %bb.113:                              ;   in Loop: Header=BB275_99 Depth=1
	v_cmp_ne_u16_sdwa s[18:19], v8, s24 src0_sel:BYTE_0 src1_sel:DWORD
	v_bfrev_b32_e32 v13, 1
	s_and_saveexec_b64 s[12:13], s[18:19]
	s_cbranch_execz .LBB275_117
; %bb.114:                              ;   in Loop: Header=BB275_99 Depth=1
	v_bfe_u32 v31, v16, 16, 7
	v_cmp_ne_u32_e32 vcc, s25, v31
	v_mov_b32_e32 v13, 0x7fc02000
	s_and_saveexec_b64 s[18:19], vcc
	s_cbranch_execz .LBB275_116
; %bb.115:                              ;   in Loop: Header=BB275_99 Depth=1
	v_and_b32_e32 v13, 7, v8
	v_ffbh_u32_e32 v32, v13
	v_min_u32_e32 v35, 32, v32
	v_subrev_u32_e32 v32, 28, v35
	v_lshlrev_b64 v[32:33], v32, v[8:9]
	v_lshrrev_b32_e32 v34, 3, v31
	v_sub_u32_e32 v33, 29, v35
	v_cmp_gt_u32_e32 vcc, 8, v31
	v_cndmask_b32_e32 v31, v34, v33, vcc
	v_and_b32_e32 v32, 7, v32
	v_lshlrev_b32_e32 v8, 8, v8
	v_lshl_add_u32 v31, v31, 10, v22
	v_cndmask_b32_e32 v13, v13, v32, vcc
	v_and_or_b32 v8, v8, s26, v31
	v_lshl_or_b32 v8, v13, 7, v8
	v_cvt_f32_f16_e32 v13, v8
.LBB275_116:                            ;   in Loop: Header=BB275_99 Depth=1
	s_or_b64 exec, exec, s[18:19]
.LBB275_117:                            ;   in Loop: Header=BB275_99 Depth=1
	s_or_b64 exec, exec, s[12:13]
.LBB275_118:                            ;   in Loop: Header=BB275_99 Depth=1
	s_or_b64 exec, exec, s[10:11]
	v_cmp_lt_u32_e32 vcc, s7, v16
	s_and_saveexec_b64 s[10:11], vcc
	s_cbranch_execz .LBB275_124
; %bb.119:                              ;   in Loop: Header=BB275_99 Depth=1
	v_lshrrev_b32_e32 v8, 24, v16
	v_cmp_ne_u32_e32 vcc, s24, v8
	v_bfrev_b32_e32 v15, 1
	s_and_saveexec_b64 s[12:13], vcc
	s_cbranch_execz .LBB275_123
; %bb.120:                              ;   in Loop: Header=BB275_99 Depth=1
	v_and_b32_e32 v31, 0x7f, v8
	v_cmp_ne_u32_e32 vcc, s25, v31
	v_mov_b32_e32 v15, 0x7fc02000
	s_and_saveexec_b64 s[18:19], vcc
	s_cbranch_execz .LBB275_122
; %bb.121:                              ;   in Loop: Header=BB275_99 Depth=1
	v_and_b32_e32 v15, 7, v8
	v_ffbh_u32_e32 v32, v15
	v_min_u32_e32 v35, 32, v32
	v_subrev_u32_e32 v32, 28, v35
	v_lshlrev_b64 v[32:33], v32, v[8:9]
	v_lshrrev_b32_e32 v34, 3, v31
	v_sub_u32_e32 v33, 29, v35
	v_cmp_gt_u32_e32 vcc, 8, v31
	v_cndmask_b32_e32 v31, v34, v33, vcc
	v_and_b32_e32 v32, 7, v32
	v_lshlrev_b32_e32 v8, 8, v8
	v_lshl_add_u32 v31, v31, 10, v22
	v_cndmask_b32_e32 v15, v15, v32, vcc
	v_and_or_b32 v8, v8, s26, v31
	v_lshl_or_b32 v8, v15, 7, v8
	v_cvt_f32_f16_e32 v15, v8
.LBB275_122:                            ;   in Loop: Header=BB275_99 Depth=1
	s_or_b64 exec, exec, s[18:19]
.LBB275_123:                            ;   in Loop: Header=BB275_99 Depth=1
	s_or_b64 exec, exec, s[12:13]
.LBB275_124:                            ;   in Loop: Header=BB275_99 Depth=1
	s_or_b64 exec, exec, s[10:11]
	v_mov_b32_e32 v8, v17
	v_cmp_ne_u16_sdwa s[12:13], v17, v9 src0_sel:BYTE_0 src1_sel:DWORD
	v_mov_b32_e32 v32, 0
	v_mov_b32_e32 v31, 0
	s_and_saveexec_b64 s[10:11], s[12:13]
	s_cbranch_execz .LBB275_130
; %bb.125:                              ;   in Loop: Header=BB275_99 Depth=1
	v_cmp_ne_u16_sdwa s[18:19], v17, s24 src0_sel:BYTE_0 src1_sel:DWORD
	v_bfrev_b32_e32 v31, 1
	s_and_saveexec_b64 s[12:13], s[18:19]
	s_cbranch_execz .LBB275_129
; %bb.126:                              ;   in Loop: Header=BB275_99 Depth=1
	v_and_b32_e32 v33, 0x7f, v17
	v_cmp_ne_u32_e32 vcc, s25, v33
	v_mov_b32_e32 v31, 0x7fc02000
	s_and_saveexec_b64 s[18:19], vcc
	s_cbranch_execz .LBB275_128
; %bb.127:                              ;   in Loop: Header=BB275_99 Depth=1
	v_and_b32_e32 v31, 7, v17
	v_ffbh_u32_e32 v31, v31
	v_min_u32_e32 v31, 32, v31
	v_subrev_u32_e32 v34, 28, v31
	v_cmp_gt_u32_e32 vcc, 8, v33
	v_lshrrev_b32_e32 v36, 3, v33
	v_sub_u32_e32 v31, 29, v31
	v_cndmask_b32_e32 v33, 0, v34, vcc
	v_lshlrev_b64 v[34:35], v33, v[8:9]
	v_cndmask_b32_e32 v31, v36, v31, vcc
	v_lshlrev_b32_e32 v33, 7, v34
	v_lshlrev_b32_e32 v34, 8, v17
	v_lshl_add_u32 v31, v31, 10, v22
	v_and_or_b32 v31, v34, s26, v31
	v_and_or_b32 v31, v33, s27, v31
	v_cvt_f32_f16_e32 v31, v31
.LBB275_128:                            ;   in Loop: Header=BB275_99 Depth=1
	s_or_b64 exec, exec, s[18:19]
.LBB275_129:                            ;   in Loop: Header=BB275_99 Depth=1
	s_or_b64 exec, exec, s[12:13]
.LBB275_130:                            ;   in Loop: Header=BB275_99 Depth=1
	s_or_b64 exec, exec, s[10:11]
	v_lshrrev_b16_e32 v8, 8, v8
	v_cmp_ne_u16_e32 vcc, 0, v8
	s_and_saveexec_b64 s[10:11], vcc
	s_cbranch_execz .LBB275_136
; %bb.131:                              ;   in Loop: Header=BB275_99 Depth=1
	v_cmp_ne_u16_e32 vcc, s24, v8
	v_bfrev_b32_e32 v32, 1
	s_and_saveexec_b64 s[12:13], vcc
	s_cbranch_execz .LBB275_135
; %bb.132:                              ;   in Loop: Header=BB275_99 Depth=1
	v_and_b32_e32 v33, 0x7f, v8
	v_cmp_ne_u32_e32 vcc, s25, v33
	v_mov_b32_e32 v32, 0x7fc02000
	s_and_saveexec_b64 s[18:19], vcc
	s_cbranch_execz .LBB275_134
; %bb.133:                              ;   in Loop: Header=BB275_99 Depth=1
	v_and_b32_e32 v32, 7, v8
	v_ffbh_u32_e32 v34, v32
	v_min_u32_e32 v37, 32, v34
	v_subrev_u32_e32 v34, 28, v37
	v_lshlrev_b64 v[34:35], v34, v[8:9]
	v_lshrrev_b32_e32 v36, 3, v33
	v_sub_u32_e32 v35, 29, v37
	v_cmp_gt_u32_e32 vcc, 8, v33
	v_cndmask_b32_e32 v33, v36, v35, vcc
	v_and_b32_e32 v34, 7, v34
	v_lshlrev_b32_e32 v8, 8, v8
	v_lshl_add_u32 v33, v33, 10, v22
	v_cndmask_b32_e32 v32, v32, v34, vcc
	v_and_or_b32 v8, v8, s26, v33
	v_lshl_or_b32 v8, v32, 7, v8
	v_cvt_f32_f16_e32 v32, v8
.LBB275_134:                            ;   in Loop: Header=BB275_99 Depth=1
	s_or_b64 exec, exec, s[18:19]
.LBB275_135:                            ;   in Loop: Header=BB275_99 Depth=1
	s_or_b64 exec, exec, s[12:13]
.LBB275_136:                            ;   in Loop: Header=BB275_99 Depth=1
	s_or_b64 exec, exec, s[10:11]
	v_lshrrev_b32_e32 v8, 16, v17
	v_cmp_ne_u16_sdwa s[12:13], v8, v9 src0_sel:BYTE_0 src1_sel:DWORD
	v_mov_b32_e32 v33, 0
	v_mov_b32_e32 v34, 0
	s_and_saveexec_b64 s[10:11], s[12:13]
	s_cbranch_execz .LBB275_142
; %bb.137:                              ;   in Loop: Header=BB275_99 Depth=1
	v_cmp_ne_u16_sdwa s[18:19], v8, s24 src0_sel:BYTE_0 src1_sel:DWORD
	v_bfrev_b32_e32 v34, 1
	s_and_saveexec_b64 s[12:13], s[18:19]
	s_cbranch_execz .LBB275_141
; %bb.138:                              ;   in Loop: Header=BB275_99 Depth=1
	v_bfe_u32 v35, v17, 16, 7
	v_cmp_ne_u32_e32 vcc, s25, v35
	v_mov_b32_e32 v34, 0x7fc02000
	s_and_saveexec_b64 s[18:19], vcc
	s_cbranch_execz .LBB275_140
; %bb.139:                              ;   in Loop: Header=BB275_99 Depth=1
	v_and_b32_e32 v34, 7, v8
	v_ffbh_u32_e32 v36, v34
	v_min_u32_e32 v39, 32, v36
	v_subrev_u32_e32 v36, 28, v39
	v_lshlrev_b64 v[36:37], v36, v[8:9]
	v_lshrrev_b32_e32 v38, 3, v35
	v_sub_u32_e32 v37, 29, v39
	v_cmp_gt_u32_e32 vcc, 8, v35
	v_cndmask_b32_e32 v35, v38, v37, vcc
	v_and_b32_e32 v36, 7, v36
	v_lshlrev_b32_e32 v8, 8, v8
	v_lshl_add_u32 v35, v35, 10, v22
	v_cndmask_b32_e32 v34, v34, v36, vcc
	v_and_or_b32 v8, v8, s26, v35
	v_lshl_or_b32 v8, v34, 7, v8
	v_cvt_f32_f16_e32 v34, v8
.LBB275_140:                            ;   in Loop: Header=BB275_99 Depth=1
	s_or_b64 exec, exec, s[18:19]
.LBB275_141:                            ;   in Loop: Header=BB275_99 Depth=1
	s_or_b64 exec, exec, s[12:13]
.LBB275_142:                            ;   in Loop: Header=BB275_99 Depth=1
	s_or_b64 exec, exec, s[10:11]
	v_cmp_lt_u64_e32 vcc, s[6:7], v[16:17]
	s_and_saveexec_b64 s[10:11], vcc
	s_cbranch_execz .LBB275_148
; %bb.143:                              ;   in Loop: Header=BB275_99 Depth=1
	v_lshrrev_b32_e32 v8, 24, v17
	v_cmp_ne_u32_e32 vcc, s24, v8
	v_bfrev_b32_e32 v33, 1
	s_and_saveexec_b64 s[12:13], vcc
	s_cbranch_execz .LBB275_147
; %bb.144:                              ;   in Loop: Header=BB275_99 Depth=1
	v_and_b32_e32 v16, 0x7f, v8
	v_cmp_ne_u32_e32 vcc, s25, v16
	v_mov_b32_e32 v33, 0x7fc02000
	s_and_saveexec_b64 s[18:19], vcc
	s_cbranch_execz .LBB275_146
; %bb.145:                              ;   in Loop: Header=BB275_99 Depth=1
	v_and_b32_e32 v17, 7, v8
	v_ffbh_u32_e32 v35, v17
	v_min_u32_e32 v35, 32, v35
	v_lshrrev_b32_e32 v33, 3, v16
	v_subrev_u32_e32 v36, 28, v35
	v_sub_u32_e32 v35, 29, v35
	v_cmp_gt_u32_e32 vcc, 8, v16
	v_lshlrev_b64 v[36:37], v36, v[8:9]
	v_cndmask_b32_e32 v16, v33, v35, vcc
	v_and_b32_e32 v36, 7, v36
	v_lshlrev_b32_e32 v8, 8, v8
	v_lshl_add_u32 v16, v16, 10, v22
	v_cndmask_b32_e32 v17, v17, v36, vcc
	v_and_or_b32 v8, v8, s26, v16
	v_lshl_or_b32 v8, v17, 7, v8
	v_cvt_f32_f16_e32 v33, v8
.LBB275_146:                            ;   in Loop: Header=BB275_99 Depth=1
	s_or_b64 exec, exec, s[18:19]
.LBB275_147:                            ;   in Loop: Header=BB275_99 Depth=1
	s_or_b64 exec, exec, s[12:13]
.LBB275_148:                            ;   in Loop: Header=BB275_99 Depth=1
	s_or_b64 exec, exec, s[10:11]
	s_waitcnt vmcnt(0)
	v_pk_mul_f32 v[14:15], v[10:11], v[14:15] op_sel_hi:[0,1]
	v_pk_mul_f32 v[12:13], v[10:11], v[12:13] op_sel_hi:[0,1]
	v_cvt_f16_f32_e32 v8, v15
	v_cvt_f16_f32_e32 v14, v14
	;; [unrolled: 1-line block ×4, first 2 shown]
	v_cmp_eq_u32_e32 vcc, s53, v2
	v_pack_b32_f16 v14, v14, v8
	v_pack_b32_f16 v12, v12, v13
	v_fma_mixlo_f16 v13, v10, v32, 0
	v_perm_b32 v8, v12, v14, s34
	v_perm_b32 v12, v12, v14, s36
	v_lshlrev_b32_e32 v13, 16, v13
	v_fma_mixlo_f16 v14, v10, v31, 0
	v_or_b32_sdwa v13, v13, v14 dst_sel:DWORD dst_unused:UNUSED_PAD src0_sel:DWORD src1_sel:WORD_0
	v_fma_mixlo_f16 v14, v10, v34, 0
	v_fma_mixlo_f16 v10, v10, v33, 0
	v_lshlrev_b32_e32 v10, 16, v10
	v_or_b32_sdwa v10, v10, v14 dst_sel:DWORD dst_unused:UNUSED_PAD src0_sel:DWORD src1_sel:WORD_0
	s_and_saveexec_b64 s[10:11], vcc
	s_cbranch_execz .LBB275_97
; %bb.149:                              ;   in Loop: Header=BB275_99 Depth=1
	v_add_u32_e32 v15, v19, v1
	v_add_u32_e32 v16, 1, v15
	v_lshrrev_b32_e32 v17, 16, v12
	v_cmp_gt_i32_e32 vcc, s22, v16
	v_cndmask_b32_e32 v16, 0, v17, vcc
	v_cmp_gt_i32_e32 vcc, s33, v15
	v_cndmask_b32_e32 v12, 0, v12, vcc
	v_perm_b32 v12, v16, v12, s37
	v_or_b32_e32 v16, 3, v15
	v_or_b32_e32 v17, 2, v15
	v_lshrrev_b32_e32 v31, 16, v8
	v_cmp_gt_i32_e32 vcc, s22, v16
	v_cndmask_b32_e32 v16, 0, v31, vcc
	v_cmp_gt_i32_e32 vcc, s33, v17
	v_cndmask_b32_e32 v8, 0, v8, vcc
	v_perm_b32 v8, v16, v8, s37
	v_or_b32_e32 v16, 5, v15
	v_or_b32_e32 v17, 4, v15
	;; [unrolled: 8-line block ×3, first 2 shown]
	v_lshrrev_b32_e32 v10, 16, v10
	v_cmp_gt_i32_e32 vcc, s22, v16
	v_cndmask_b32_e32 v10, 0, v10, vcc
	v_cmp_gt_i32_e32 vcc, s33, v15
	v_cndmask_b32_e32 v14, 0, v14, vcc
	v_perm_b32 v10, v10, v14, s37
	s_branch .LBB275_97
.LBB275_150:
	s_or_b64 exec, exec, s[8:9]
.LBB275_151:
	s_or_b64 exec, exec, s[4:5]
	ds_bpermute_b32 v1, v18, v21
	v_and_b32_e32 v2, 0x3c1, v0
	v_cmp_eq_u32_e32 vcc, 64, v2
	s_waitcnt lgkmcnt(0)
	s_barrier
	v_add_f32_e32 v1, v21, v1
	s_and_saveexec_b64 s[0:1], vcc
	s_cbranch_execz .LBB275_153
; %bb.152:
	v_mov_b32_e32 v3, 0x50
	v_lshl_add_u32 v3, v11, 1, v3
	ds_write_b32 v3, v1
.LBB275_153:
	s_or_b64 exec, exec, s[0:1]
	v_cmp_eq_u32_e32 vcc, 0, v2
	s_waitcnt lgkmcnt(0)
	s_barrier
	s_and_saveexec_b64 s[0:1], vcc
	s_cbranch_execz .LBB275_155
; %bb.154:
	v_mov_b32_e32 v2, 0x50
	v_lshl_add_u32 v2, v0, 1, v2
	ds_read_b32 v2, v2
	s_waitcnt lgkmcnt(0)
	v_add_f32_e32 v1, v1, v2
.LBB275_155:
	s_or_b64 exec, exec, s[0:1]
	s_barrier
	s_and_saveexec_b64 s[0:1], vcc
	s_cbranch_execz .LBB275_157
; %bb.156:
	s_lshl_b32 s0, s2, 5
	s_ashr_i32 s1, s0, 31
	s_lshl_b64 s[0:1], s[0:1], 1
	s_add_u32 s2, s30, s0
	s_mul_i32 s0, s20, s28
	s_addc_u32 s3, s31, s1
	s_ashr_i32 s1, s0, 31
	s_lshl_b64 s[0:1], s[0:1], 1
	s_add_u32 s2, s2, s0
	s_addc_u32 s3, s3, s1
	s_ashr_i32 s17, s16, 31
	s_lshl_b64 s[0:1], s[16:17], 1
	s_add_u32 s0, s2, s0
	s_addc_u32 s1, s3, s1
	;;#ASMSTART
	v_cvt_f16_f32 v1, v1;

	;;#ASMEND
	global_store_short v0, v1, s[0:1]
.LBB275_157:
	s_endpgm
	.section	.rodata,"a",@progbits
	.p2align	6, 0x0
	.amdhsa_kernel _ZN4vllm25paged_attention_v2_kernelIthLi32ELi16ELi128ELNS_18Fp8KVCacheDataTypeE1ELb1ELi512EEEvPfS2_PT_PKS3_PKT0_S9_ifPKiSB_iPKfiiiSD_SD_iiiii
		.amdhsa_group_segment_fixed_size 80
		.amdhsa_private_segment_fixed_size 0
		.amdhsa_kernarg_size 400
		.amdhsa_user_sgpr_count 6
		.amdhsa_user_sgpr_private_segment_buffer 1
		.amdhsa_user_sgpr_dispatch_ptr 0
		.amdhsa_user_sgpr_queue_ptr 0
		.amdhsa_user_sgpr_kernarg_segment_ptr 1
		.amdhsa_user_sgpr_dispatch_id 0
		.amdhsa_user_sgpr_flat_scratch_init 0
		.amdhsa_user_sgpr_kernarg_preload_length 0
		.amdhsa_user_sgpr_kernarg_preload_offset 0
		.amdhsa_user_sgpr_private_segment_size 0
		.amdhsa_uses_dynamic_stack 0
		.amdhsa_system_sgpr_private_segment_wavefront_offset 0
		.amdhsa_system_sgpr_workgroup_id_x 1
		.amdhsa_system_sgpr_workgroup_id_y 1
		.amdhsa_system_sgpr_workgroup_id_z 1
		.amdhsa_system_sgpr_workgroup_info 0
		.amdhsa_system_vgpr_workitem_id 0
		.amdhsa_next_free_vgpr 40
		.amdhsa_next_free_sgpr 63
		.amdhsa_accum_offset 40
		.amdhsa_reserve_vcc 1
		.amdhsa_reserve_flat_scratch 0
		.amdhsa_float_round_mode_32 0
		.amdhsa_float_round_mode_16_64 0
		.amdhsa_float_denorm_mode_32 3
		.amdhsa_float_denorm_mode_16_64 3
		.amdhsa_dx10_clamp 1
		.amdhsa_ieee_mode 1
		.amdhsa_fp16_overflow 0
		.amdhsa_tg_split 0
		.amdhsa_exception_fp_ieee_invalid_op 0
		.amdhsa_exception_fp_denorm_src 0
		.amdhsa_exception_fp_ieee_div_zero 0
		.amdhsa_exception_fp_ieee_overflow 0
		.amdhsa_exception_fp_ieee_underflow 0
		.amdhsa_exception_fp_ieee_inexact 0
		.amdhsa_exception_int_div_zero 0
	.end_amdhsa_kernel
	.section	.text._ZN4vllm25paged_attention_v2_kernelIthLi32ELi16ELi128ELNS_18Fp8KVCacheDataTypeE1ELb1ELi512EEEvPfS2_PT_PKS3_PKT0_S9_ifPKiSB_iPKfiiiSD_SD_iiiii,"axG",@progbits,_ZN4vllm25paged_attention_v2_kernelIthLi32ELi16ELi128ELNS_18Fp8KVCacheDataTypeE1ELb1ELi512EEEvPfS2_PT_PKS3_PKT0_S9_ifPKiSB_iPKfiiiSD_SD_iiiii,comdat
.Lfunc_end275:
	.size	_ZN4vllm25paged_attention_v2_kernelIthLi32ELi16ELi128ELNS_18Fp8KVCacheDataTypeE1ELb1ELi512EEEvPfS2_PT_PKS3_PKT0_S9_ifPKiSB_iPKfiiiSD_SD_iiiii, .Lfunc_end275-_ZN4vllm25paged_attention_v2_kernelIthLi32ELi16ELi128ELNS_18Fp8KVCacheDataTypeE1ELb1ELi512EEEvPfS2_PT_PKS3_PKT0_S9_ifPKiSB_iPKfiiiSD_SD_iiiii
                                        ; -- End function
	.section	.AMDGPU.csdata,"",@progbits
; Kernel info:
; codeLenInByte = 7508
; NumSgprs: 67
; NumVgprs: 40
; NumAgprs: 0
; TotalNumVgprs: 40
; ScratchSize: 0
; MemoryBound: 0
; FloatMode: 240
; IeeeMode: 1
; LDSByteSize: 80 bytes/workgroup (compile time only)
; SGPRBlocks: 8
; VGPRBlocks: 4
; NumSGPRsForWavesPerEU: 67
; NumVGPRsForWavesPerEU: 40
; AccumOffset: 40
; Occupancy: 8
; WaveLimiterHint : 1
; COMPUTE_PGM_RSRC2:SCRATCH_EN: 0
; COMPUTE_PGM_RSRC2:USER_SGPR: 6
; COMPUTE_PGM_RSRC2:TRAP_HANDLER: 0
; COMPUTE_PGM_RSRC2:TGID_X_EN: 1
; COMPUTE_PGM_RSRC2:TGID_Y_EN: 1
; COMPUTE_PGM_RSRC2:TGID_Z_EN: 1
; COMPUTE_PGM_RSRC2:TIDIG_COMP_CNT: 0
; COMPUTE_PGM_RSRC3_GFX90A:ACCUM_OFFSET: 9
; COMPUTE_PGM_RSRC3_GFX90A:TG_SPLIT: 0
	.section	.text._ZN4vllm25paged_attention_v2_kernelIthLi64ELi16ELi128ELNS_18Fp8KVCacheDataTypeE1ELb1ELi512EEEvPfS2_PT_PKS3_PKT0_S9_ifPKiSB_iPKfiiiSD_SD_iiiii,"axG",@progbits,_ZN4vllm25paged_attention_v2_kernelIthLi64ELi16ELi128ELNS_18Fp8KVCacheDataTypeE1ELb1ELi512EEEvPfS2_PT_PKS3_PKT0_S9_ifPKiSB_iPKfiiiSD_SD_iiiii,comdat
	.protected	_ZN4vllm25paged_attention_v2_kernelIthLi64ELi16ELi128ELNS_18Fp8KVCacheDataTypeE1ELb1ELi512EEEvPfS2_PT_PKS3_PKT0_S9_ifPKiSB_iPKfiiiSD_SD_iiiii ; -- Begin function _ZN4vllm25paged_attention_v2_kernelIthLi64ELi16ELi128ELNS_18Fp8KVCacheDataTypeE1ELb1ELi512EEEvPfS2_PT_PKS3_PKT0_S9_ifPKiSB_iPKfiiiSD_SD_iiiii
	.globl	_ZN4vllm25paged_attention_v2_kernelIthLi64ELi16ELi128ELNS_18Fp8KVCacheDataTypeE1ELb1ELi512EEEvPfS2_PT_PKS3_PKT0_S9_ifPKiSB_iPKfiiiSD_SD_iiiii
	.p2align	8
	.type	_ZN4vllm25paged_attention_v2_kernelIthLi64ELi16ELi128ELNS_18Fp8KVCacheDataTypeE1ELb1ELi512EEEvPfS2_PT_PKS3_PKT0_S9_ifPKiSB_iPKfiiiSD_SD_iiiii,@function
_ZN4vllm25paged_attention_v2_kernelIthLi64ELi16ELi128ELNS_18Fp8KVCacheDataTypeE1ELb1ELi512EEEvPfS2_PT_PKS3_PKT0_S9_ifPKiSB_iPKfiiiSD_SD_iiiii: ; @_ZN4vllm25paged_attention_v2_kernelIthLi64ELi16ELi128ELNS_18Fp8KVCacheDataTypeE1ELb1ELi512EEEvPfS2_PT_PKS3_PKT0_S9_ifPKiSB_iPKfiiiSD_SD_iiiii
; %bb.0:
	s_load_dwordx2 s[0:1], s[4:5], 0x40
	s_mov_b32 s34, s7
	s_ashr_i32 s35, s7, 31
	s_lshl_b64 s[2:3], s[34:35], 2
	s_waitcnt lgkmcnt(0)
	s_add_u32 s0, s0, s2
	s_addc_u32 s1, s1, s3
	s_load_dword s33, s[0:1], 0x0
	s_lshl_b32 s54, s8, 9
	s_waitcnt lgkmcnt(0)
	s_cmp_ge_i32 s54, s33
	s_cbranch_scc1 .LBB276_259
; %bb.1:
	s_load_dword s9, s[4:5], 0x90
	s_load_dwordx2 s[42:43], s[4:5], 0x30
	s_mov_b32 s55, 0
	s_waitcnt lgkmcnt(0)
	s_abs_i32 s2, s9
	s_abs_i32 s0, s42
	v_cvt_f32_u32_e32 v1, s0
	s_sub_i32 s3, 0, s0
	s_xor_b32 s1, s9, s42
	s_ashr_i32 s1, s1, 31
	v_rcp_iflag_f32_e32 v1, v1
	v_mul_f32_e32 v1, 0x4f7ffffe, v1
	v_cvt_u32_f32_e32 v1, v1
	v_readfirstlane_b32 s7, v1
	s_mul_i32 s3, s3, s7
	s_mul_hi_u32 s3, s7, s3
	s_add_i32 s7, s7, s3
	s_mul_hi_u32 s3, s2, s7
	s_mul_i32 s7, s3, s0
	s_sub_i32 s2, s2, s7
	s_add_i32 s10, s3, 1
	s_sub_i32 s7, s2, s0
	s_cmp_ge_u32 s2, s0
	s_cselect_b32 s3, s10, s3
	s_cselect_b32 s2, s7, s2
	s_add_i32 s7, s3, 1
	s_cmp_ge_u32 s2, s0
	s_cselect_b32 s0, s7, s3
	s_xor_b32 s0, s0, s1
	s_sub_i32 s11, s0, s1
	s_abs_i32 s2, s11
	v_cvt_f32_u32_e32 v1, s2
	s_load_dwordx2 s[0:1], s[4:5], 0x50
	s_sub_i32 s7, 0, s2
	s_abs_i32 s3, s6
	v_rcp_iflag_f32_e32 v1, v1
	v_mul_f32_e32 v1, 0x4f7ffffe, v1
	v_cvt_u32_f32_e32 v1, v1
	v_readfirstlane_b32 s10, v1
	s_mul_i32 s7, s7, s10
	s_mul_hi_u32 s7, s10, s7
	s_add_i32 s10, s10, s7
	s_waitcnt lgkmcnt(0)
	s_cmp_eq_u64 s[0:1], 0
	s_mul_hi_u32 s10, s3, s10
	s_cbranch_scc1 .LBB276_3
; %bb.2:
	s_ashr_i32 s7, s6, 31
	s_lshl_b64 s[12:13], s[6:7], 2
	s_add_u32 s0, s0, s12
	s_addc_u32 s1, s1, s13
	s_load_dword s55, s[0:1], 0x0
.LBB276_3:
	s_load_dwordx4 s[16:19], s[4:5], 0x58
	s_ashr_i32 s7, s6, 31
	s_ashr_i32 s11, s11, 31
	v_and_b32_e32 v8, 3, v0
	s_lshl_b32 s28, s6, 6
	v_cmp_gt_u32_e32 vcc, 32, v0
	s_and_saveexec_b64 s[0:1], vcc
	s_cbranch_execz .LBB276_5
; %bb.4:
	s_load_dwordx2 s[12:13], s[4:5], 0x18
	s_waitcnt lgkmcnt(0)
	s_mul_i32 s14, s34, s16
	s_ashr_i32 s15, s14, 31
	s_lshl_b64 s[14:15], s[14:15], 1
	v_lshlrev_b32_e32 v1, 2, v0
	s_add_u32 s14, s12, s14
	s_addc_u32 s15, s13, s15
	s_ashr_i32 s29, s28, 31
	s_lshl_b64 s[12:13], s[28:29], 1
	s_add_u32 s12, s14, s12
	s_addc_u32 s13, s15, s13
	global_load_dword v1, v1, s[12:13]
	v_and_b32_e32 v2, 0x3fc, v0
	v_lshl_add_u32 v2, v8, 5, v2
	s_waitcnt vmcnt(0)
	ds_write_b32 v2, v1
.LBB276_5:
	s_or_b64 exec, exec, s[0:1]
	s_mul_i32 s1, s10, s2
	s_sub_i32 s1, s3, s1
	s_xor_b32 s0, s7, s11
	s_add_i32 s3, s10, 1
	s_sub_i32 s7, s1, s2
	s_load_dwordx4 s[20:23], s[4:5], 0x78
	s_cmp_ge_u32 s1, s2
	s_cselect_b32 s3, s3, s10
	s_load_dword s10, s[4:5], 0x88
	s_cselect_b32 s1, s7, s1
	s_add_i32 s7, s3, 1
	s_cmp_ge_u32 s1, s2
	s_cselect_b32 s1, s7, s3
	s_waitcnt lgkmcnt(0)
	s_abs_i32 s29, s23
	v_cvt_f32_u32_e32 v1, s29
	s_xor_b32 s1, s1, s0
	s_sub_i32 s2, s1, s0
	s_sub_i32 s0, 0, s29
	v_rcp_iflag_f32_e32 v1, v1
	s_add_i32 s11, s33, -1
	s_abs_i32 s3, s11
	v_mul_f32_e32 v1, 0x4f7ffffe, v1
	v_cvt_u32_f32_e32 v1, v1
	s_barrier
	v_readfirstlane_b32 s35, v1
	s_mul_i32 s0, s0, s35
	s_mul_hi_u32 s0, s35, s0
	s_add_i32 s35, s35, s0
	s_cmp_lt_i32 s10, 0
	s_mul_hi_u32 s7, s3, s35
	s_cbranch_scc0 .LBB276_7
; %bb.6:
	s_mul_i32 s0, s20, s42
	s_add_i32 s0, s2, s0
	s_mul_i32 s0, s0, s10
	s_sub_i32 s42, 1, s0
	s_mov_b64 s[0:1], 0
	s_branch .LBB276_8
.LBB276_7:
	s_mov_b64 s[0:1], -1
                                        ; implicit-def: $sgpr42
.LBB276_8:
	s_load_dwordx2 s[36:37], s[4:5], 0x38
	s_ashr_i32 s11, s11, 31
	s_andn2_b64 vcc, exec, s[0:1]
	s_ashr_i32 s52, s23, 31
	s_cbranch_vccnz .LBB276_10
; %bb.9:
	s_mul_i32 s0, s9, s20
	s_add_i32 s0, s0, s6
	s_mul_i32 s0, s0, s10
	s_add_i32 s42, s0, 1
.LBB276_10:
	s_load_dwordx2 s[40:41], s[4:5], 0x28
	s_load_dword s0, s[4:5], 0x48
	s_load_dwordx4 s[24:27], s[4:5], 0x0
	s_load_dwordx2 s[30:31], s[4:5], 0x10
	s_load_dword s23, s[4:5], 0x98
	s_load_dwordx4 s[12:15], s[4:5], 0x68
	s_mul_i32 s1, s7, s29
	s_waitcnt lgkmcnt(0)
	s_mul_i32 s38, s34, s0
	s_sub_i32 s1, s3, s1
	s_ashr_i32 s39, s38, 31
	s_xor_b32 s0, s11, s52
	s_add_i32 s3, s7, 1
	s_sub_i32 s10, s1, s29
	s_cmp_ge_u32 s1, s29
	s_cselect_b32 s3, s3, s7
	s_cselect_b32 s1, s10, s1
	s_add_i32 s7, s3, 1
	s_cmp_ge_u32 s1, s29
	s_cselect_b32 s1, s7, s3
	s_xor_b32 s1, s1, s0
	s_sub_i32 s7, s1, s0
	s_add_i32 s0, s33, 15
	s_ashr_i32 s1, s0, 31
	s_lshr_b32 s1, s1, 28
	s_add_i32 s0, s0, s1
	s_lshl_b32 s56, s8, 5
	s_ashr_i32 s16, s0, 4
	s_add_i32 s0, s56, 32
	v_lshrrev_b32_e32 v13, 6, v0
	s_min_i32 s53, s0, s16
	v_or_b32_e32 v2, s56, v13
	v_cmp_gt_i32_e64 s[0:1], s53, v2
	v_mov_b32_e32 v17, 0xff7fffff
	s_mul_i32 s20, s2, s18
	v_ashrrev_i32_e32 v3, 31, v2
	v_lshl_add_u32 v1, v13, 4, s54
	v_mbcnt_lo_u32_b32 v7, -1, 0
	s_and_saveexec_b64 s[18:19], s[0:1]
	s_cbranch_execz .LBB276_116
; %bb.11:
	s_load_dwordx2 s[2:3], s[4:5], 0x20
	s_sub_i32 s57, s7, s21
	s_ashr_i32 s4, s20, 31
	v_bfe_u32 v14, v0, 2, 4
	v_lshlrev_b32_e32 v5, 4, v14
	s_waitcnt lgkmcnt(0)
	s_add_u32 s2, s2, s20
	s_addc_u32 s3, s3, s4
	s_abs_i32 s59, s22
	v_cvt_f32_u32_e32 v4, s59
	v_mov_b32_e32 v6, s3
	s_sub_i32 s4, 0, s59
	v_cmp_eq_u32_e32 vcc, 0, v8
	v_rcp_iflag_f32_e32 v9, v4
	v_add_co_u32_e64 v4, s[2:3], s2, v5
	v_addc_co_u32_e64 v5, s[2:3], 0, v6, s[2:3]
	v_mul_f32_e32 v9, 0x4f7ffffe, v9
	v_cvt_u32_f32_e32 v9, v9
	v_lshlrev_b32_e32 v6, 1, v8
	v_lshlrev_b32_e32 v16, 5, v8
	s_mov_b32 s58, s17
	v_mul_lo_u32 v8, s4, v9
	s_lshl_b64 s[4:5], s[38:39], 2
	v_mul_hi_u32 v8, v9, v8
	s_add_u32 s4, s36, s4
	v_add_u32_e32 v18, v9, v8
	v_lshlrev_b64 v[8:9], 2, v[2:3]
	s_addc_u32 s5, s37, s5
	v_mov_b32_e32 v10, s5
	v_add_co_u32_e64 v8, s[4:5], s4, v8
	v_addc_co_u32_e64 v9, s[4:5], v10, v9, s[4:5]
	v_lshlrev_b32_e32 v10, 2, v14
	v_lshl_or_b32 v10, v13, 6, v10
	v_add_u32_e32 v20, 0x90, v10
	v_subrev_u32_e32 v10, s33, v14
	v_mov_b32_e32 v15, 0
	v_cmp_neq_f32_e64 s[2:3], s55, 0
	v_lshl_add_u32 v19, v13, 4, s54
	v_add_u32_e32 v21, 1, v10
	s_mov_b64 s[44:45], 0
	v_mov_b32_e32 v22, 0xff7fffff
	s_movk_i32 s60, 0x80
	s_movk_i32 s61, 0x7f
	s_mov_b32 s62, 0x8000
	v_mov_b32_e32 v23, 0x2000
	v_mbcnt_hi_u32_b32 v24, -1, v7
	v_mov_b32_e32 v17, 0xff7fffff
	v_mov_b32_e32 v25, v2
	s_branch .LBB276_14
.LBB276_12:                             ;   in Loop: Header=BB276_14 Depth=1
	s_or_b64 exec, exec, s[46:47]
.LBB276_13:                             ;   in Loop: Header=BB276_14 Depth=1
	s_or_b64 exec, exec, s[10:11]
	v_add_co_u32_e64 v8, s[4:5], 8, v8
	v_add_u32_e32 v25, 2, v25
	v_addc_co_u32_e64 v9, s[4:5], 0, v9, s[4:5]
	v_cmp_le_i32_e64 s[4:5], s53, v25
	v_add_u32_e32 v19, 32, v19
	s_or_b64 s[44:45], s[4:5], s[44:45]
	v_add_u32_e32 v20, 0x80, v20
	s_andn2_b64 exec, exec, s[44:45]
	s_cbranch_execz .LBB276_115
.LBB276_14:                             ; =>This Inner Loop Header: Depth=1
	s_waitcnt lgkmcnt(0)
	v_sub_u32_e32 v11, 0, v19
	v_max_i32_e32 v11, v19, v11
	v_mul_hi_u32 v12, v11, s35
	v_mul_lo_u32 v26, v12, s29
	v_sub_u32_e32 v11, v11, v26
	v_add_u32_e32 v26, 1, v12
	v_cmp_le_u32_e64 s[4:5], s29, v11
	v_cndmask_b32_e64 v12, v12, v26, s[4:5]
	v_subrev_u32_e32 v26, s29, v11
	v_cndmask_b32_e64 v11, v11, v26, s[4:5]
	v_ashrrev_i32_e32 v10, 31, v19
	v_add_u32_e32 v26, 1, v12
	v_cmp_le_u32_e64 s[4:5], s29, v11
	v_xor_b32_e32 v10, s52, v10
	v_cndmask_b32_e64 v11, v12, v26, s[4:5]
	v_xor_b32_e32 v11, v11, v10
	v_sub_u32_e32 v10, v11, v10
	v_add_u32_e32 v11, s42, v10
	v_sub_u32_e32 v26, 0, v11
	v_ashrrev_i32_e32 v12, 31, v11
	v_max_i32_e32 v11, v11, v26
	v_mul_hi_u32 v26, v11, v18
	v_mul_lo_u32 v26, v26, s59
	v_sub_u32_e32 v11, v11, v26
	v_subrev_u32_e32 v26, s59, v11
	v_cmp_le_u32_e64 s[4:5], s59, v11
	v_cndmask_b32_e64 v11, v11, v26, s[4:5]
	v_subrev_u32_e32 v26, s59, v11
	v_cmp_le_u32_e64 s[4:5], s59, v11
	v_cndmask_b32_e64 v11, v11, v26, s[4:5]
	v_xor_b32_e32 v11, v11, v12
	v_sub_u32_e32 v11, v11, v12
	v_cmp_ne_u32_e64 s[4:5], 0, v11
	v_cmp_ge_i32_e64 s[10:11], s57, v10
	s_and_b64 s[4:5], s[4:5], s[10:11]
	s_and_b64 s[46:47], vcc, s[4:5]
	s_and_saveexec_b64 s[10:11], s[46:47]
	s_cbranch_execz .LBB276_16
; %bb.15:                               ;   in Loop: Header=BB276_14 Depth=1
	ds_write_b32 v20, v22
.LBB276_16:                             ;   in Loop: Header=BB276_14 Depth=1
	s_or_b64 exec, exec, s[10:11]
	s_xor_b64 s[4:5], s[4:5], -1
	s_and_saveexec_b64 s[10:11], s[4:5]
	s_cbranch_execz .LBB276_13
; %bb.17:                               ;   in Loop: Header=BB276_14 Depth=1
	global_load_dword v10, v[8:9], off
	v_mov_b32_e32 v27, 0
	s_waitcnt vmcnt(0)
	v_mad_i64_i32 v[10:11], s[4:5], v10, s58, v[4:5]
	v_add_co_u32_e64 v10, s[4:5], v10, v6
	v_addc_co_u32_e64 v11, s[4:5], 0, v11, s[4:5]
	global_load_ushort v28, v[10:11], off
	global_load_dword v26, v15, s[12:13]
	s_waitcnt vmcnt(1)
	v_and_b32_e32 v12, 0xffff, v28
	v_cmp_ne_u16_sdwa s[4:5], v28, v15 src0_sel:BYTE_0 src1_sel:DWORD
	v_mov_b32_e32 v28, 0
	s_and_saveexec_b64 s[46:47], s[4:5]
	s_cbranch_execz .LBB276_23
; %bb.18:                               ;   in Loop: Header=BB276_14 Depth=1
	v_cmp_ne_u16_sdwa s[4:5], v12, s60 src0_sel:BYTE_0 src1_sel:DWORD
	v_bfrev_b32_e32 v28, 1
	s_and_saveexec_b64 s[48:49], s[4:5]
	s_cbranch_execz .LBB276_22
; %bb.19:                               ;   in Loop: Header=BB276_14 Depth=1
	v_and_b32_e32 v29, 0x7f, v12
	v_cmp_ne_u32_e64 s[4:5], s61, v29
	v_mov_b32_e32 v28, 0x7fc02000
	s_and_saveexec_b64 s[50:51], s[4:5]
	s_cbranch_execz .LBB276_21
; %bb.20:                               ;   in Loop: Header=BB276_14 Depth=1
	v_and_b32_e32 v28, 7, v12
	v_ffbh_u32_e32 v30, v28
	v_min_u32_e32 v33, 32, v30
	v_subrev_u32_e32 v30, 28, v33
	v_lshlrev_b64 v[30:31], v30, v[12:13]
	v_lshrrev_b32_e32 v32, 3, v29
	v_sub_u32_e32 v31, 29, v33
	v_cmp_gt_u32_e64 s[4:5], 8, v29
	v_and_b32_e32 v30, 7, v30
	v_cndmask_b32_e64 v29, v32, v31, s[4:5]
	v_cndmask_b32_e64 v28, v28, v30, s[4:5]
	v_lshlrev_b32_e32 v30, 8, v12
	v_lshl_add_u32 v29, v29, 10, v23
	v_and_or_b32 v29, v30, s62, v29
	v_lshl_or_b32 v28, v28, 7, v29
	v_cvt_f32_f16_e32 v28, v28
.LBB276_21:                             ;   in Loop: Header=BB276_14 Depth=1
	s_or_b64 exec, exec, s[50:51]
.LBB276_22:                             ;   in Loop: Header=BB276_14 Depth=1
	s_or_b64 exec, exec, s[48:49]
.LBB276_23:                             ;   in Loop: Header=BB276_14 Depth=1
	s_or_b64 exec, exec, s[46:47]
	v_lshrrev_b16_e32 v12, 8, v12
	v_cmp_ne_u16_e64 s[4:5], 0, v12
	s_and_saveexec_b64 s[46:47], s[4:5]
	s_cbranch_execz .LBB276_29
; %bb.24:                               ;   in Loop: Header=BB276_14 Depth=1
	v_cmp_ne_u16_e64 s[4:5], s60, v12
	v_bfrev_b32_e32 v27, 1
	s_and_saveexec_b64 s[48:49], s[4:5]
	s_cbranch_execz .LBB276_28
; %bb.25:                               ;   in Loop: Header=BB276_14 Depth=1
	v_and_b32_e32 v29, 0x7f, v12
	v_cmp_ne_u32_e64 s[4:5], s61, v29
	v_mov_b32_e32 v27, 0x7fc02000
	s_and_saveexec_b64 s[50:51], s[4:5]
	s_cbranch_execz .LBB276_27
; %bb.26:                               ;   in Loop: Header=BB276_14 Depth=1
	v_and_b32_e32 v27, 7, v12
	v_ffbh_u32_e32 v30, v27
	v_min_u32_e32 v33, 32, v30
	v_subrev_u32_e32 v30, 28, v33
	v_lshlrev_b64 v[30:31], v30, v[12:13]
	v_lshrrev_b32_e32 v32, 3, v29
	v_sub_u32_e32 v31, 29, v33
	v_cmp_gt_u32_e64 s[4:5], 8, v29
	v_cndmask_b32_e64 v29, v32, v31, s[4:5]
	v_and_b32_e32 v30, 7, v30
	v_lshlrev_b32_e32 v12, 8, v12
	v_lshl_add_u32 v29, v29, 10, v23
	v_cndmask_b32_e64 v27, v27, v30, s[4:5]
	v_and_or_b32 v12, v12, s62, v29
	v_lshl_or_b32 v12, v27, 7, v12
	v_cvt_f32_f16_e32 v27, v12
.LBB276_27:                             ;   in Loop: Header=BB276_14 Depth=1
	s_or_b64 exec, exec, s[50:51]
.LBB276_28:                             ;   in Loop: Header=BB276_14 Depth=1
	s_or_b64 exec, exec, s[48:49]
.LBB276_29:                             ;   in Loop: Header=BB276_14 Depth=1
	s_or_b64 exec, exec, s[46:47]
	global_load_ushort v30, v[10:11], off offset:8
	v_mov_b32_e32 v29, 0
	s_waitcnt vmcnt(0)
	v_and_b32_e32 v12, 0xffff, v30
	v_cmp_ne_u16_sdwa s[4:5], v30, v15 src0_sel:BYTE_0 src1_sel:DWORD
	v_mov_b32_e32 v30, 0
	s_and_saveexec_b64 s[46:47], s[4:5]
	s_cbranch_execz .LBB276_35
; %bb.30:                               ;   in Loop: Header=BB276_14 Depth=1
	v_cmp_ne_u16_sdwa s[4:5], v12, s60 src0_sel:BYTE_0 src1_sel:DWORD
	v_bfrev_b32_e32 v30, 1
	s_and_saveexec_b64 s[48:49], s[4:5]
	s_cbranch_execz .LBB276_34
; %bb.31:                               ;   in Loop: Header=BB276_14 Depth=1
	v_and_b32_e32 v31, 0x7f, v12
	v_cmp_ne_u32_e64 s[4:5], s61, v31
	v_mov_b32_e32 v30, 0x7fc02000
	s_and_saveexec_b64 s[50:51], s[4:5]
	s_cbranch_execz .LBB276_33
; %bb.32:                               ;   in Loop: Header=BB276_14 Depth=1
	v_and_b32_e32 v30, 7, v12
	v_ffbh_u32_e32 v32, v30
	v_min_u32_e32 v35, 32, v32
	v_subrev_u32_e32 v32, 28, v35
	v_lshlrev_b64 v[32:33], v32, v[12:13]
	v_lshrrev_b32_e32 v34, 3, v31
	v_sub_u32_e32 v33, 29, v35
	v_cmp_gt_u32_e64 s[4:5], 8, v31
	v_and_b32_e32 v32, 7, v32
	v_cndmask_b32_e64 v31, v34, v33, s[4:5]
	v_cndmask_b32_e64 v30, v30, v32, s[4:5]
	v_lshlrev_b32_e32 v32, 8, v12
	v_lshl_add_u32 v31, v31, 10, v23
	v_and_or_b32 v31, v32, s62, v31
	v_lshl_or_b32 v30, v30, 7, v31
	v_cvt_f32_f16_e32 v30, v30
.LBB276_33:                             ;   in Loop: Header=BB276_14 Depth=1
	s_or_b64 exec, exec, s[50:51]
.LBB276_34:                             ;   in Loop: Header=BB276_14 Depth=1
	s_or_b64 exec, exec, s[48:49]
.LBB276_35:                             ;   in Loop: Header=BB276_14 Depth=1
	s_or_b64 exec, exec, s[46:47]
	v_lshrrev_b16_e32 v12, 8, v12
	v_cmp_ne_u16_e64 s[4:5], 0, v12
	s_and_saveexec_b64 s[46:47], s[4:5]
	s_cbranch_execz .LBB276_41
; %bb.36:                               ;   in Loop: Header=BB276_14 Depth=1
	v_cmp_ne_u16_e64 s[4:5], s60, v12
	v_bfrev_b32_e32 v29, 1
	s_and_saveexec_b64 s[48:49], s[4:5]
	s_cbranch_execz .LBB276_40
; %bb.37:                               ;   in Loop: Header=BB276_14 Depth=1
	v_and_b32_e32 v31, 0x7f, v12
	v_cmp_ne_u32_e64 s[4:5], s61, v31
	v_mov_b32_e32 v29, 0x7fc02000
	s_and_saveexec_b64 s[50:51], s[4:5]
	s_cbranch_execz .LBB276_39
; %bb.38:                               ;   in Loop: Header=BB276_14 Depth=1
	v_and_b32_e32 v29, 7, v12
	v_ffbh_u32_e32 v32, v29
	v_min_u32_e32 v35, 32, v32
	v_subrev_u32_e32 v32, 28, v35
	v_lshlrev_b64 v[32:33], v32, v[12:13]
	v_lshrrev_b32_e32 v34, 3, v31
	v_sub_u32_e32 v33, 29, v35
	v_cmp_gt_u32_e64 s[4:5], 8, v31
	v_cndmask_b32_e64 v31, v34, v33, s[4:5]
	v_and_b32_e32 v32, 7, v32
	v_lshlrev_b32_e32 v12, 8, v12
	v_lshl_add_u32 v31, v31, 10, v23
	v_cndmask_b32_e64 v29, v29, v32, s[4:5]
	v_and_or_b32 v12, v12, s62, v31
	v_lshl_or_b32 v12, v29, 7, v12
	v_cvt_f32_f16_e32 v29, v12
.LBB276_39:                             ;   in Loop: Header=BB276_14 Depth=1
	s_or_b64 exec, exec, s[50:51]
.LBB276_40:                             ;   in Loop: Header=BB276_14 Depth=1
	s_or_b64 exec, exec, s[48:49]
.LBB276_41:                             ;   in Loop: Header=BB276_14 Depth=1
	s_or_b64 exec, exec, s[46:47]
	global_load_ushort v32, v[10:11], off offset:256
	v_mov_b32_e32 v31, 0
	s_waitcnt vmcnt(0)
	v_and_b32_e32 v12, 0xffff, v32
	v_cmp_ne_u16_sdwa s[4:5], v32, v15 src0_sel:BYTE_0 src1_sel:DWORD
	v_mov_b32_e32 v32, 0
	s_and_saveexec_b64 s[46:47], s[4:5]
	s_cbranch_execz .LBB276_47
; %bb.42:                               ;   in Loop: Header=BB276_14 Depth=1
	v_cmp_ne_u16_sdwa s[4:5], v12, s60 src0_sel:BYTE_0 src1_sel:DWORD
	v_bfrev_b32_e32 v32, 1
	s_and_saveexec_b64 s[48:49], s[4:5]
	s_cbranch_execz .LBB276_46
; %bb.43:                               ;   in Loop: Header=BB276_14 Depth=1
	v_and_b32_e32 v33, 0x7f, v12
	v_cmp_ne_u32_e64 s[4:5], s61, v33
	v_mov_b32_e32 v32, 0x7fc02000
	s_and_saveexec_b64 s[50:51], s[4:5]
	s_cbranch_execz .LBB276_45
; %bb.44:                               ;   in Loop: Header=BB276_14 Depth=1
	v_and_b32_e32 v32, 7, v12
	v_ffbh_u32_e32 v34, v32
	v_min_u32_e32 v37, 32, v34
	v_subrev_u32_e32 v34, 28, v37
	v_lshlrev_b64 v[34:35], v34, v[12:13]
	v_lshrrev_b32_e32 v36, 3, v33
	v_sub_u32_e32 v35, 29, v37
	v_cmp_gt_u32_e64 s[4:5], 8, v33
	v_and_b32_e32 v34, 7, v34
	v_cndmask_b32_e64 v33, v36, v35, s[4:5]
	v_cndmask_b32_e64 v32, v32, v34, s[4:5]
	v_lshlrev_b32_e32 v34, 8, v12
	v_lshl_add_u32 v33, v33, 10, v23
	v_and_or_b32 v33, v34, s62, v33
	v_lshl_or_b32 v32, v32, 7, v33
	v_cvt_f32_f16_e32 v32, v32
.LBB276_45:                             ;   in Loop: Header=BB276_14 Depth=1
	s_or_b64 exec, exec, s[50:51]
.LBB276_46:                             ;   in Loop: Header=BB276_14 Depth=1
	s_or_b64 exec, exec, s[48:49]
.LBB276_47:                             ;   in Loop: Header=BB276_14 Depth=1
	s_or_b64 exec, exec, s[46:47]
	v_lshrrev_b16_e32 v12, 8, v12
	v_cmp_ne_u16_e64 s[4:5], 0, v12
	s_and_saveexec_b64 s[46:47], s[4:5]
	s_cbranch_execz .LBB276_53
; %bb.48:                               ;   in Loop: Header=BB276_14 Depth=1
	v_cmp_ne_u16_e64 s[4:5], s60, v12
	v_bfrev_b32_e32 v31, 1
	s_and_saveexec_b64 s[48:49], s[4:5]
	s_cbranch_execz .LBB276_52
; %bb.49:                               ;   in Loop: Header=BB276_14 Depth=1
	v_and_b32_e32 v33, 0x7f, v12
	v_cmp_ne_u32_e64 s[4:5], s61, v33
	v_mov_b32_e32 v31, 0x7fc02000
	s_and_saveexec_b64 s[50:51], s[4:5]
	s_cbranch_execz .LBB276_51
; %bb.50:                               ;   in Loop: Header=BB276_14 Depth=1
	v_and_b32_e32 v31, 7, v12
	v_ffbh_u32_e32 v34, v31
	v_min_u32_e32 v37, 32, v34
	v_subrev_u32_e32 v34, 28, v37
	v_lshlrev_b64 v[34:35], v34, v[12:13]
	v_lshrrev_b32_e32 v36, 3, v33
	v_sub_u32_e32 v35, 29, v37
	v_cmp_gt_u32_e64 s[4:5], 8, v33
	v_cndmask_b32_e64 v33, v36, v35, s[4:5]
	v_and_b32_e32 v34, 7, v34
	v_lshlrev_b32_e32 v12, 8, v12
	v_lshl_add_u32 v33, v33, 10, v23
	v_cndmask_b32_e64 v31, v31, v34, s[4:5]
	v_and_or_b32 v12, v12, s62, v33
	v_lshl_or_b32 v12, v31, 7, v12
	v_cvt_f32_f16_e32 v31, v12
.LBB276_51:                             ;   in Loop: Header=BB276_14 Depth=1
	s_or_b64 exec, exec, s[50:51]
.LBB276_52:                             ;   in Loop: Header=BB276_14 Depth=1
	s_or_b64 exec, exec, s[48:49]
.LBB276_53:                             ;   in Loop: Header=BB276_14 Depth=1
	s_or_b64 exec, exec, s[46:47]
	global_load_ushort v34, v[10:11], off offset:264
	v_mov_b32_e32 v33, 0
	s_waitcnt vmcnt(0)
	v_and_b32_e32 v12, 0xffff, v34
	v_cmp_ne_u16_sdwa s[4:5], v34, v15 src0_sel:BYTE_0 src1_sel:DWORD
	v_mov_b32_e32 v34, 0
	s_and_saveexec_b64 s[46:47], s[4:5]
	s_cbranch_execz .LBB276_59
; %bb.54:                               ;   in Loop: Header=BB276_14 Depth=1
	v_cmp_ne_u16_sdwa s[4:5], v12, s60 src0_sel:BYTE_0 src1_sel:DWORD
	v_bfrev_b32_e32 v34, 1
	s_and_saveexec_b64 s[48:49], s[4:5]
	s_cbranch_execz .LBB276_58
; %bb.55:                               ;   in Loop: Header=BB276_14 Depth=1
	v_and_b32_e32 v35, 0x7f, v12
	v_cmp_ne_u32_e64 s[4:5], s61, v35
	v_mov_b32_e32 v34, 0x7fc02000
	s_and_saveexec_b64 s[50:51], s[4:5]
	s_cbranch_execz .LBB276_57
; %bb.56:                               ;   in Loop: Header=BB276_14 Depth=1
	v_and_b32_e32 v34, 7, v12
	v_ffbh_u32_e32 v36, v34
	v_min_u32_e32 v39, 32, v36
	v_subrev_u32_e32 v36, 28, v39
	v_lshlrev_b64 v[36:37], v36, v[12:13]
	v_lshrrev_b32_e32 v38, 3, v35
	v_sub_u32_e32 v37, 29, v39
	v_cmp_gt_u32_e64 s[4:5], 8, v35
	v_and_b32_e32 v36, 7, v36
	v_cndmask_b32_e64 v35, v38, v37, s[4:5]
	v_cndmask_b32_e64 v34, v34, v36, s[4:5]
	v_lshlrev_b32_e32 v36, 8, v12
	v_lshl_add_u32 v35, v35, 10, v23
	v_and_or_b32 v35, v36, s62, v35
	v_lshl_or_b32 v34, v34, 7, v35
	v_cvt_f32_f16_e32 v34, v34
.LBB276_57:                             ;   in Loop: Header=BB276_14 Depth=1
	s_or_b64 exec, exec, s[50:51]
.LBB276_58:                             ;   in Loop: Header=BB276_14 Depth=1
	s_or_b64 exec, exec, s[48:49]
.LBB276_59:                             ;   in Loop: Header=BB276_14 Depth=1
	s_or_b64 exec, exec, s[46:47]
	v_lshrrev_b16_e32 v12, 8, v12
	v_cmp_ne_u16_e64 s[4:5], 0, v12
	s_and_saveexec_b64 s[46:47], s[4:5]
	s_cbranch_execz .LBB276_65
; %bb.60:                               ;   in Loop: Header=BB276_14 Depth=1
	v_cmp_ne_u16_e64 s[4:5], s60, v12
	v_bfrev_b32_e32 v33, 1
	s_and_saveexec_b64 s[48:49], s[4:5]
	s_cbranch_execz .LBB276_64
; %bb.61:                               ;   in Loop: Header=BB276_14 Depth=1
	v_and_b32_e32 v35, 0x7f, v12
	v_cmp_ne_u32_e64 s[4:5], s61, v35
	v_mov_b32_e32 v33, 0x7fc02000
	s_and_saveexec_b64 s[50:51], s[4:5]
	s_cbranch_execz .LBB276_63
; %bb.62:                               ;   in Loop: Header=BB276_14 Depth=1
	v_and_b32_e32 v33, 7, v12
	v_ffbh_u32_e32 v36, v33
	v_min_u32_e32 v39, 32, v36
	v_subrev_u32_e32 v36, 28, v39
	v_lshlrev_b64 v[36:37], v36, v[12:13]
	v_lshrrev_b32_e32 v38, 3, v35
	v_sub_u32_e32 v37, 29, v39
	v_cmp_gt_u32_e64 s[4:5], 8, v35
	v_cndmask_b32_e64 v35, v38, v37, s[4:5]
	v_and_b32_e32 v36, 7, v36
	v_lshlrev_b32_e32 v12, 8, v12
	v_lshl_add_u32 v35, v35, 10, v23
	v_cndmask_b32_e64 v33, v33, v36, s[4:5]
	v_and_or_b32 v12, v12, s62, v35
	v_lshl_or_b32 v12, v33, 7, v12
	v_cvt_f32_f16_e32 v33, v12
.LBB276_63:                             ;   in Loop: Header=BB276_14 Depth=1
	s_or_b64 exec, exec, s[50:51]
.LBB276_64:                             ;   in Loop: Header=BB276_14 Depth=1
	s_or_b64 exec, exec, s[48:49]
.LBB276_65:                             ;   in Loop: Header=BB276_14 Depth=1
	s_or_b64 exec, exec, s[46:47]
	global_load_ushort v36, v[10:11], off offset:512
	v_mov_b32_e32 v35, 0
	s_waitcnt vmcnt(0)
	v_and_b32_e32 v12, 0xffff, v36
	v_cmp_ne_u16_sdwa s[4:5], v36, v15 src0_sel:BYTE_0 src1_sel:DWORD
	v_mov_b32_e32 v36, 0
	s_and_saveexec_b64 s[46:47], s[4:5]
	s_cbranch_execz .LBB276_71
; %bb.66:                               ;   in Loop: Header=BB276_14 Depth=1
	v_cmp_ne_u16_sdwa s[4:5], v12, s60 src0_sel:BYTE_0 src1_sel:DWORD
	v_bfrev_b32_e32 v36, 1
	s_and_saveexec_b64 s[48:49], s[4:5]
	s_cbranch_execz .LBB276_70
; %bb.67:                               ;   in Loop: Header=BB276_14 Depth=1
	v_and_b32_e32 v37, 0x7f, v12
	v_cmp_ne_u32_e64 s[4:5], s61, v37
	v_mov_b32_e32 v36, 0x7fc02000
	s_and_saveexec_b64 s[50:51], s[4:5]
	s_cbranch_execz .LBB276_69
; %bb.68:                               ;   in Loop: Header=BB276_14 Depth=1
	v_and_b32_e32 v36, 7, v12
	v_ffbh_u32_e32 v38, v36
	v_min_u32_e32 v41, 32, v38
	v_subrev_u32_e32 v38, 28, v41
	v_lshlrev_b64 v[38:39], v38, v[12:13]
	v_lshrrev_b32_e32 v40, 3, v37
	v_sub_u32_e32 v39, 29, v41
	v_cmp_gt_u32_e64 s[4:5], 8, v37
	v_and_b32_e32 v38, 7, v38
	v_cndmask_b32_e64 v37, v40, v39, s[4:5]
	v_cndmask_b32_e64 v36, v36, v38, s[4:5]
	v_lshlrev_b32_e32 v38, 8, v12
	v_lshl_add_u32 v37, v37, 10, v23
	v_and_or_b32 v37, v38, s62, v37
	v_lshl_or_b32 v36, v36, 7, v37
	v_cvt_f32_f16_e32 v36, v36
.LBB276_69:                             ;   in Loop: Header=BB276_14 Depth=1
	s_or_b64 exec, exec, s[50:51]
.LBB276_70:                             ;   in Loop: Header=BB276_14 Depth=1
	s_or_b64 exec, exec, s[48:49]
.LBB276_71:                             ;   in Loop: Header=BB276_14 Depth=1
	s_or_b64 exec, exec, s[46:47]
	v_lshrrev_b16_e32 v12, 8, v12
	v_cmp_ne_u16_e64 s[4:5], 0, v12
	s_and_saveexec_b64 s[46:47], s[4:5]
	s_cbranch_execz .LBB276_77
; %bb.72:                               ;   in Loop: Header=BB276_14 Depth=1
	v_cmp_ne_u16_e64 s[4:5], s60, v12
	v_bfrev_b32_e32 v35, 1
	s_and_saveexec_b64 s[48:49], s[4:5]
	s_cbranch_execz .LBB276_76
; %bb.73:                               ;   in Loop: Header=BB276_14 Depth=1
	v_and_b32_e32 v37, 0x7f, v12
	v_cmp_ne_u32_e64 s[4:5], s61, v37
	v_mov_b32_e32 v35, 0x7fc02000
	s_and_saveexec_b64 s[50:51], s[4:5]
	s_cbranch_execz .LBB276_75
; %bb.74:                               ;   in Loop: Header=BB276_14 Depth=1
	v_and_b32_e32 v35, 7, v12
	v_ffbh_u32_e32 v38, v35
	v_min_u32_e32 v41, 32, v38
	v_subrev_u32_e32 v38, 28, v41
	v_lshlrev_b64 v[38:39], v38, v[12:13]
	v_lshrrev_b32_e32 v40, 3, v37
	v_sub_u32_e32 v39, 29, v41
	v_cmp_gt_u32_e64 s[4:5], 8, v37
	v_cndmask_b32_e64 v37, v40, v39, s[4:5]
	v_and_b32_e32 v38, 7, v38
	v_lshlrev_b32_e32 v12, 8, v12
	v_lshl_add_u32 v37, v37, 10, v23
	v_cndmask_b32_e64 v35, v35, v38, s[4:5]
	v_and_or_b32 v12, v12, s62, v37
	v_lshl_or_b32 v12, v35, 7, v12
	v_cvt_f32_f16_e32 v35, v12
.LBB276_75:                             ;   in Loop: Header=BB276_14 Depth=1
	s_or_b64 exec, exec, s[50:51]
.LBB276_76:                             ;   in Loop: Header=BB276_14 Depth=1
	s_or_b64 exec, exec, s[48:49]
.LBB276_77:                             ;   in Loop: Header=BB276_14 Depth=1
	s_or_b64 exec, exec, s[46:47]
	global_load_ushort v38, v[10:11], off offset:520
	v_mov_b32_e32 v37, 0
	s_waitcnt vmcnt(0)
	v_and_b32_e32 v12, 0xffff, v38
	v_cmp_ne_u16_sdwa s[4:5], v38, v15 src0_sel:BYTE_0 src1_sel:DWORD
	v_mov_b32_e32 v38, 0
	s_and_saveexec_b64 s[46:47], s[4:5]
	s_cbranch_execz .LBB276_83
; %bb.78:                               ;   in Loop: Header=BB276_14 Depth=1
	v_cmp_ne_u16_sdwa s[4:5], v12, s60 src0_sel:BYTE_0 src1_sel:DWORD
	v_bfrev_b32_e32 v38, 1
	s_and_saveexec_b64 s[48:49], s[4:5]
	s_cbranch_execz .LBB276_82
; %bb.79:                               ;   in Loop: Header=BB276_14 Depth=1
	v_and_b32_e32 v39, 0x7f, v12
	v_cmp_ne_u32_e64 s[4:5], s61, v39
	v_mov_b32_e32 v38, 0x7fc02000
	s_and_saveexec_b64 s[50:51], s[4:5]
	s_cbranch_execz .LBB276_81
; %bb.80:                               ;   in Loop: Header=BB276_14 Depth=1
	v_and_b32_e32 v38, 7, v12
	v_ffbh_u32_e32 v40, v38
	v_min_u32_e32 v43, 32, v40
	v_subrev_u32_e32 v40, 28, v43
	v_lshlrev_b64 v[40:41], v40, v[12:13]
	v_lshrrev_b32_e32 v42, 3, v39
	v_sub_u32_e32 v41, 29, v43
	v_cmp_gt_u32_e64 s[4:5], 8, v39
	v_and_b32_e32 v40, 7, v40
	v_cndmask_b32_e64 v39, v42, v41, s[4:5]
	v_cndmask_b32_e64 v38, v38, v40, s[4:5]
	v_lshlrev_b32_e32 v40, 8, v12
	v_lshl_add_u32 v39, v39, 10, v23
	v_and_or_b32 v39, v40, s62, v39
	v_lshl_or_b32 v38, v38, 7, v39
	v_cvt_f32_f16_e32 v38, v38
.LBB276_81:                             ;   in Loop: Header=BB276_14 Depth=1
	s_or_b64 exec, exec, s[50:51]
.LBB276_82:                             ;   in Loop: Header=BB276_14 Depth=1
	s_or_b64 exec, exec, s[48:49]
.LBB276_83:                             ;   in Loop: Header=BB276_14 Depth=1
	s_or_b64 exec, exec, s[46:47]
	v_lshrrev_b16_e32 v12, 8, v12
	v_cmp_ne_u16_e64 s[4:5], 0, v12
	s_and_saveexec_b64 s[46:47], s[4:5]
	s_cbranch_execz .LBB276_89
; %bb.84:                               ;   in Loop: Header=BB276_14 Depth=1
	v_cmp_ne_u16_e64 s[4:5], s60, v12
	v_bfrev_b32_e32 v37, 1
	s_and_saveexec_b64 s[48:49], s[4:5]
	s_cbranch_execz .LBB276_88
; %bb.85:                               ;   in Loop: Header=BB276_14 Depth=1
	v_and_b32_e32 v39, 0x7f, v12
	v_cmp_ne_u32_e64 s[4:5], s61, v39
	v_mov_b32_e32 v37, 0x7fc02000
	s_and_saveexec_b64 s[50:51], s[4:5]
	s_cbranch_execz .LBB276_87
; %bb.86:                               ;   in Loop: Header=BB276_14 Depth=1
	v_and_b32_e32 v37, 7, v12
	v_ffbh_u32_e32 v40, v37
	v_min_u32_e32 v43, 32, v40
	v_subrev_u32_e32 v40, 28, v43
	v_lshlrev_b64 v[40:41], v40, v[12:13]
	v_lshrrev_b32_e32 v42, 3, v39
	v_sub_u32_e32 v41, 29, v43
	v_cmp_gt_u32_e64 s[4:5], 8, v39
	v_cndmask_b32_e64 v39, v42, v41, s[4:5]
	v_and_b32_e32 v40, 7, v40
	v_lshlrev_b32_e32 v12, 8, v12
	v_lshl_add_u32 v39, v39, 10, v23
	v_cndmask_b32_e64 v37, v37, v40, s[4:5]
	v_and_or_b32 v12, v12, s62, v39
	v_lshl_or_b32 v12, v37, 7, v12
	v_cvt_f32_f16_e32 v37, v12
.LBB276_87:                             ;   in Loop: Header=BB276_14 Depth=1
	s_or_b64 exec, exec, s[50:51]
.LBB276_88:                             ;   in Loop: Header=BB276_14 Depth=1
	s_or_b64 exec, exec, s[48:49]
.LBB276_89:                             ;   in Loop: Header=BB276_14 Depth=1
	s_or_b64 exec, exec, s[46:47]
	global_load_ushort v40, v[10:11], off offset:768
	v_mov_b32_e32 v39, 0
	s_waitcnt vmcnt(0)
	v_and_b32_e32 v12, 0xffff, v40
	v_cmp_ne_u16_sdwa s[4:5], v40, v15 src0_sel:BYTE_0 src1_sel:DWORD
	v_mov_b32_e32 v40, 0
	s_and_saveexec_b64 s[46:47], s[4:5]
	s_cbranch_execz .LBB276_95
; %bb.90:                               ;   in Loop: Header=BB276_14 Depth=1
	v_cmp_ne_u16_sdwa s[4:5], v12, s60 src0_sel:BYTE_0 src1_sel:DWORD
	v_bfrev_b32_e32 v40, 1
	s_and_saveexec_b64 s[48:49], s[4:5]
	s_cbranch_execz .LBB276_94
; %bb.91:                               ;   in Loop: Header=BB276_14 Depth=1
	v_and_b32_e32 v41, 0x7f, v12
	v_cmp_ne_u32_e64 s[4:5], s61, v41
	v_mov_b32_e32 v40, 0x7fc02000
	s_and_saveexec_b64 s[50:51], s[4:5]
	s_cbranch_execz .LBB276_93
; %bb.92:                               ;   in Loop: Header=BB276_14 Depth=1
	v_and_b32_e32 v40, 7, v12
	v_ffbh_u32_e32 v42, v40
	v_min_u32_e32 v45, 32, v42
	v_subrev_u32_e32 v42, 28, v45
	v_lshlrev_b64 v[42:43], v42, v[12:13]
	v_lshrrev_b32_e32 v44, 3, v41
	v_sub_u32_e32 v43, 29, v45
	v_cmp_gt_u32_e64 s[4:5], 8, v41
	v_and_b32_e32 v42, 7, v42
	v_cndmask_b32_e64 v41, v44, v43, s[4:5]
	v_cndmask_b32_e64 v40, v40, v42, s[4:5]
	v_lshlrev_b32_e32 v42, 8, v12
	v_lshl_add_u32 v41, v41, 10, v23
	v_and_or_b32 v41, v42, s62, v41
	v_lshl_or_b32 v40, v40, 7, v41
	v_cvt_f32_f16_e32 v40, v40
.LBB276_93:                             ;   in Loop: Header=BB276_14 Depth=1
	s_or_b64 exec, exec, s[50:51]
.LBB276_94:                             ;   in Loop: Header=BB276_14 Depth=1
	s_or_b64 exec, exec, s[48:49]
.LBB276_95:                             ;   in Loop: Header=BB276_14 Depth=1
	s_or_b64 exec, exec, s[46:47]
	v_lshrrev_b16_e32 v12, 8, v12
	v_cmp_ne_u16_e64 s[4:5], 0, v12
	s_and_saveexec_b64 s[46:47], s[4:5]
	s_cbranch_execz .LBB276_101
; %bb.96:                               ;   in Loop: Header=BB276_14 Depth=1
	v_cmp_ne_u16_e64 s[4:5], s60, v12
	v_bfrev_b32_e32 v39, 1
	s_and_saveexec_b64 s[48:49], s[4:5]
	s_cbranch_execz .LBB276_100
; %bb.97:                               ;   in Loop: Header=BB276_14 Depth=1
	v_and_b32_e32 v41, 0x7f, v12
	v_cmp_ne_u32_e64 s[4:5], s61, v41
	v_mov_b32_e32 v39, 0x7fc02000
	s_and_saveexec_b64 s[50:51], s[4:5]
	s_cbranch_execz .LBB276_99
; %bb.98:                               ;   in Loop: Header=BB276_14 Depth=1
	v_and_b32_e32 v39, 7, v12
	v_ffbh_u32_e32 v42, v39
	v_min_u32_e32 v45, 32, v42
	v_subrev_u32_e32 v42, 28, v45
	v_lshlrev_b64 v[42:43], v42, v[12:13]
	v_lshrrev_b32_e32 v44, 3, v41
	v_sub_u32_e32 v43, 29, v45
	v_cmp_gt_u32_e64 s[4:5], 8, v41
	v_cndmask_b32_e64 v41, v44, v43, s[4:5]
	v_and_b32_e32 v42, 7, v42
	v_lshlrev_b32_e32 v12, 8, v12
	v_lshl_add_u32 v41, v41, 10, v23
	v_cndmask_b32_e64 v39, v39, v42, s[4:5]
	v_and_or_b32 v12, v12, s62, v41
	v_lshl_or_b32 v12, v39, 7, v12
	v_cvt_f32_f16_e32 v39, v12
.LBB276_99:                             ;   in Loop: Header=BB276_14 Depth=1
	s_or_b64 exec, exec, s[50:51]
.LBB276_100:                            ;   in Loop: Header=BB276_14 Depth=1
	s_or_b64 exec, exec, s[48:49]
.LBB276_101:                            ;   in Loop: Header=BB276_14 Depth=1
	s_or_b64 exec, exec, s[46:47]
	global_load_ushort v12, v[10:11], off offset:776
	v_mov_b32_e32 v11, 0
	s_waitcnt vmcnt(0)
	v_and_b32_e32 v10, 0xffff, v12
	v_cmp_ne_u16_sdwa s[4:5], v12, v15 src0_sel:BYTE_0 src1_sel:DWORD
	v_mov_b32_e32 v12, 0
	s_and_saveexec_b64 s[46:47], s[4:5]
	s_cbranch_execz .LBB276_107
; %bb.102:                              ;   in Loop: Header=BB276_14 Depth=1
	v_cmp_ne_u16_sdwa s[4:5], v10, s60 src0_sel:BYTE_0 src1_sel:DWORD
	v_bfrev_b32_e32 v12, 1
	s_and_saveexec_b64 s[48:49], s[4:5]
	s_cbranch_execz .LBB276_106
; %bb.103:                              ;   in Loop: Header=BB276_14 Depth=1
	v_and_b32_e32 v41, 0x7f, v10
	v_cmp_ne_u32_e64 s[4:5], s61, v41
	v_mov_b32_e32 v12, 0x7fc02000
	s_and_saveexec_b64 s[50:51], s[4:5]
	s_cbranch_execz .LBB276_105
; %bb.104:                              ;   in Loop: Header=BB276_14 Depth=1
	v_and_b32_e32 v12, 7, v10
	v_ffbh_u32_e32 v42, v12
	v_min_u32_e32 v45, 32, v42
	v_subrev_u32_e32 v42, 28, v45
	v_lshlrev_b64 v[42:43], v42, v[10:11]
	v_lshrrev_b32_e32 v44, 3, v41
	v_sub_u32_e32 v43, 29, v45
	v_cmp_gt_u32_e64 s[4:5], 8, v41
	v_and_b32_e32 v42, 7, v42
	v_cndmask_b32_e64 v41, v44, v43, s[4:5]
	v_cndmask_b32_e64 v12, v12, v42, s[4:5]
	v_lshlrev_b32_e32 v42, 8, v10
	v_lshl_add_u32 v41, v41, 10, v23
	v_and_or_b32 v41, v42, s62, v41
	v_lshl_or_b32 v12, v12, 7, v41
	v_cvt_f32_f16_e32 v12, v12
.LBB276_105:                            ;   in Loop: Header=BB276_14 Depth=1
	s_or_b64 exec, exec, s[50:51]
.LBB276_106:                            ;   in Loop: Header=BB276_14 Depth=1
	s_or_b64 exec, exec, s[48:49]
.LBB276_107:                            ;   in Loop: Header=BB276_14 Depth=1
	s_or_b64 exec, exec, s[46:47]
	v_lshrrev_b16_e32 v10, 8, v10
	v_cmp_ne_u16_e64 s[4:5], 0, v10
	s_and_saveexec_b64 s[46:47], s[4:5]
	s_cbranch_execz .LBB276_113
; %bb.108:                              ;   in Loop: Header=BB276_14 Depth=1
	v_cmp_ne_u16_e64 s[4:5], s60, v10
	v_bfrev_b32_e32 v11, 1
	s_and_saveexec_b64 s[48:49], s[4:5]
	s_cbranch_execz .LBB276_112
; %bb.109:                              ;   in Loop: Header=BB276_14 Depth=1
	v_and_b32_e32 v41, 0x7f, v10
	v_cmp_ne_u32_e64 s[4:5], s61, v41
	v_mov_b32_e32 v11, 0x7fc02000
	s_and_saveexec_b64 s[50:51], s[4:5]
	s_cbranch_execz .LBB276_111
; %bb.110:                              ;   in Loop: Header=BB276_14 Depth=1
	v_and_b32_e32 v11, 7, v10
	v_ffbh_u32_e32 v42, v11
	v_min_u32_e32 v45, 32, v42
	v_subrev_u32_e32 v42, 28, v45
	v_lshlrev_b64 v[42:43], v42, v[10:11]
	v_lshrrev_b32_e32 v44, 3, v41
	v_sub_u32_e32 v43, 29, v45
	v_cmp_gt_u32_e64 s[4:5], 8, v41
	v_cndmask_b32_e64 v41, v44, v43, s[4:5]
	v_and_b32_e32 v42, 7, v42
	v_lshlrev_b32_e32 v10, 8, v10
	v_lshl_add_u32 v41, v41, 10, v23
	v_cndmask_b32_e64 v11, v11, v42, s[4:5]
	v_and_or_b32 v10, v10, s62, v41
	v_lshl_or_b32 v10, v11, 7, v10
	v_cvt_f32_f16_e32 v11, v10
.LBB276_111:                            ;   in Loop: Header=BB276_14 Depth=1
	s_or_b64 exec, exec, s[50:51]
.LBB276_112:                            ;   in Loop: Header=BB276_14 Depth=1
	s_or_b64 exec, exec, s[48:49]
.LBB276_113:                            ;   in Loop: Header=BB276_14 Depth=1
	s_or_b64 exec, exec, s[46:47]
	ds_read_b32 v10, v16
	v_fma_mixlo_f16 v28, v26, v28, 0
	v_fma_mixlo_f16 v27, v26, v27, 0
	v_and_b32_e32 v28, 0xffff, v28
	v_and_b32_e32 v27, 0xffff, v27
	s_waitcnt lgkmcnt(0)
	v_lshrrev_b32_e32 v41, 16, v10
	v_and_b32_e32 v10, 0xffff, v10
	;;#ASMSTART
	v_cvt_f32_f16 v10, v10;
	;;#ASMEND
	;;#ASMSTART
	v_cvt_f32_f16 v41, v41;
	;;#ASMEND
	;;#ASMSTART
	v_cvt_f32_f16 v28, v28;
	;;#ASMEND
	;;#ASMSTART
	v_cvt_f32_f16 v27, v27;
	;;#ASMEND
	ds_read_b32 v42, v16 offset:4
	v_fma_mixlo_f16 v30, v26, v30, 0
	v_fma_mixlo_f16 v29, v26, v29, 0
	v_and_b32_e32 v30, 0xffff, v30
	v_and_b32_e32 v29, 0xffff, v29
	s_waitcnt lgkmcnt(0)
	v_lshrrev_b32_e32 v43, 16, v42
	v_and_b32_e32 v42, 0xffff, v42
	;;#ASMSTART
	v_cvt_f32_f16 v42, v42;
	;;#ASMEND
	;;#ASMSTART
	v_cvt_f32_f16 v43, v43;
	;;#ASMEND
	;;#ASMSTART
	v_cvt_f32_f16 v30, v30;
	;;#ASMEND
	;;#ASMSTART
	v_cvt_f32_f16 v29, v29;
	;;#ASMEND
	ds_read_b32 v44, v16 offset:8
	;; [unrolled: 20-line block ×4, first 2 shown]
	v_fma_mixlo_f16 v40, v26, v40, 0
	v_fma_mixlo_f16 v39, v26, v39, 0
	;; [unrolled: 1-line block ×8, first 2 shown]
	v_mul_f32_e32 v26, v42, v30
	v_fmac_f32_e32 v26, v10, v28
	s_waitcnt lgkmcnt(0)
	v_lshrrev_b32_e32 v10, 16, v48
	v_and_b32_e32 v28, 0xffff, v48
	v_and_b32_e32 v30, 0xffff, v36
	;; [unrolled: 1-line block ×3, first 2 shown]
	;;#ASMSTART
	v_cvt_f32_f16 v28, v28;
	;;#ASMEND
	;;#ASMSTART
	v_cvt_f32_f16 v10, v10;
	;;#ASMEND
	;;#ASMSTART
	v_cvt_f32_f16 v30, v30;
	;;#ASMEND
	;;#ASMSTART
	v_cvt_f32_f16 v35, v35;
	;;#ASMEND
	ds_read_b32 v36, v16 offset:20
	v_mul_f32_e32 v29, v43, v29
	v_fmac_f32_e32 v29, v41, v27
	v_fmac_f32_e32 v26, v44, v32
	;; [unrolled: 1-line block ×3, first 2 shown]
	s_waitcnt lgkmcnt(0)
	v_lshrrev_b32_e32 v27, 16, v36
	v_and_b32_e32 v31, 0xffff, v36
	v_and_b32_e32 v32, 0xffff, v38
	;; [unrolled: 1-line block ×3, first 2 shown]
	;;#ASMSTART
	v_cvt_f32_f16 v31, v31;
	;;#ASMEND
	;;#ASMSTART
	v_cvt_f32_f16 v27, v27;
	;;#ASMEND
	;; [unrolled: 3-line block ×4, first 2 shown]
	ds_read_b32 v37, v16 offset:24
	v_fmac_f32_e32 v26, v46, v34
	v_fmac_f32_e32 v29, v47, v33
	;; [unrolled: 1-line block ×4, first 2 shown]
	s_waitcnt lgkmcnt(0)
	v_lshrrev_b32_e32 v10, 16, v37
	v_and_b32_e32 v28, 0xffff, v37
	v_and_b32_e32 v30, 0xffff, v40
	;; [unrolled: 1-line block ×3, first 2 shown]
	;;#ASMSTART
	v_cvt_f32_f16 v28, v28;
	;;#ASMEND
	;;#ASMSTART
	v_cvt_f32_f16 v10, v10;
	;;#ASMEND
	;; [unrolled: 3-line block ×4, first 2 shown]
	ds_read_b32 v34, v16 offset:28
	v_fmac_f32_e32 v29, v27, v36
	v_fmac_f32_e32 v29, v10, v33
	v_and_b32_e32 v12, 0xffff, v12
	v_and_b32_e32 v11, 0xffff, v11
	s_waitcnt lgkmcnt(0)
	v_lshrrev_b32_e32 v10, 16, v34
	v_and_b32_e32 v27, 0xffff, v34
	v_fmac_f32_e32 v26, v31, v32
	;;#ASMSTART
	v_cvt_f32_f16 v27, v27;
	;;#ASMEND
	;;#ASMSTART
	v_cvt_f32_f16 v10, v10;
	;;#ASMEND
	;;#ASMSTART
	v_cvt_f32_f16 v12, v12;
	;;#ASMEND
	;;#ASMSTART
	v_cvt_f32_f16 v11, v11;
	;;#ASMEND
	v_fmac_f32_e32 v26, v28, v30
	v_fmac_f32_e32 v29, v10, v11
	v_and_b32_e32 v11, 64, v24
	v_fmac_f32_e32 v26, v27, v12
	v_add_u32_e32 v11, 64, v11
	v_xor_b32_e32 v12, 2, v24
	v_cmp_lt_i32_e64 s[4:5], v12, v11
	v_cndmask_b32_e64 v12, v24, v12, s[4:5]
	v_add_f32_e32 v10, v26, v29
	v_lshlrev_b32_e32 v12, 2, v12
	ds_bpermute_b32 v12, v12, v10
	s_waitcnt lgkmcnt(0)
	v_add_f32_e32 v10, v10, v12
	v_xor_b32_e32 v12, 1, v24
	v_cmp_lt_i32_e64 s[4:5], v12, v11
	v_cndmask_b32_e64 v11, v24, v12, s[4:5]
	v_lshlrev_b32_e32 v11, 2, v11
	ds_bpermute_b32 v11, v11, v10
	s_and_saveexec_b64 s[46:47], vcc
	s_cbranch_execz .LBB276_12
; %bb.114:                              ;   in Loop: Header=BB276_14 Depth=1
	v_add_u32_e32 v12, v21, v19
	v_cvt_f32_i32_e32 v12, v12
	s_waitcnt lgkmcnt(0)
	v_add_f32_e32 v10, v10, v11
	v_add_u32_e32 v26, v14, v19
	v_cmp_gt_i32_e64 s[4:5], s33, v26
	v_mul_f32_e32 v11, s55, v12
	v_cndmask_b32_e64 v11, 0, v11, s[2:3]
	v_fmac_f32_e32 v11, s43, v10
	v_cndmask_b32_e64 v10, 0, v11, s[4:5]
	ds_write_b32 v20, v10
	v_max_f32_e32 v10, v17, v17
	v_max_f32_e32 v10, v10, v11
	v_cndmask_b32_e64 v17, v17, v10, s[4:5]
	s_branch .LBB276_12
.LBB276_115:
	s_or_b64 exec, exec, s[44:45]
.LBB276_116:
	s_or_b64 exec, exec, s[18:19]
	v_mbcnt_hi_u32_b32 v4, -1, v7
	v_and_b32_e32 v5, 64, v4
	v_add_u32_e32 v5, 64, v5
	v_xor_b32_e32 v6, 32, v4
	v_cmp_lt_i32_e32 vcc, v6, v5
	v_cndmask_b32_e32 v6, v4, v6, vcc
	v_lshlrev_b32_e32 v7, 2, v6
	ds_bpermute_b32 v6, v7, v17
	v_xor_b32_e32 v9, 16, v4
	v_max_f32_e32 v8, v17, v17
	v_cmp_lt_i32_e32 vcc, v9, v5
	v_xor_b32_e32 v10, 8, v4
	s_waitcnt lgkmcnt(0)
	v_max_f32_e32 v6, v6, v6
	v_max_f32_e32 v6, v8, v6
	v_cndmask_b32_e32 v8, v4, v9, vcc
	v_lshlrev_b32_e32 v8, 2, v8
	ds_bpermute_b32 v9, v8, v6
	v_cmp_lt_i32_e32 vcc, v10, v5
	v_and_b32_e32 v15, 63, v0
	s_waitcnt lgkmcnt(0)
	v_max_f32_e32 v9, v9, v9
	v_max_f32_e32 v6, v6, v9
	v_cndmask_b32_e32 v9, v4, v10, vcc
	v_lshlrev_b32_e32 v11, 2, v9
	ds_bpermute_b32 v9, v11, v6
	v_xor_b32_e32 v10, 4, v4
	v_cmp_lt_i32_e32 vcc, v10, v5
	s_waitcnt lgkmcnt(0)
	v_max_f32_e32 v9, v9, v9
	v_max_f32_e32 v6, v6, v9
	v_cndmask_b32_e32 v9, v4, v10, vcc
	v_lshlrev_b32_e32 v12, 2, v9
	ds_bpermute_b32 v10, v12, v6
	v_cmp_eq_u32_e32 vcc, 0, v15
	v_lshlrev_b32_e32 v9, 2, v13
	s_and_saveexec_b64 s[2:3], vcc
	s_cbranch_execz .LBB276_118
; %bb.117:
	s_waitcnt lgkmcnt(0)
	v_max_f32_e32 v10, v10, v10
	v_max_f32_e32 v6, v6, v6
	;; [unrolled: 1-line block ×3, first 2 shown]
	ds_write_b32 v9, v6 offset:128
.LBB276_118:
	s_or_b64 exec, exec, s[2:3]
	v_cmp_gt_u32_e64 s[2:3], 2, v15
	v_mov_b32_e32 v6, 0xff7fffff
	s_waitcnt lgkmcnt(0)
	v_lshlrev_b32_e32 v10, 2, v15
	s_barrier
	s_and_saveexec_b64 s[4:5], s[2:3]
	s_cbranch_execz .LBB276_120
; %bb.119:
	ds_read_b32 v6, v10 offset:128
.LBB276_120:
	s_or_b64 exec, exec, s[4:5]
	v_xor_b32_e32 v14, 1, v4
	v_cmp_lt_i32_e64 s[4:5], v14, v5
	v_cndmask_b32_e64 v14, v4, v14, s[4:5]
	v_lshlrev_b32_e32 v22, 2, v14
	s_waitcnt lgkmcnt(0)
	ds_bpermute_b32 v14, v22, v6
	v_max_f32_e32 v6, v6, v6
	s_sub_i32 s4, s53, s56
	s_lshl_b32 s4, s4, 4
	s_add_i32 s4, s4, s54
	s_waitcnt lgkmcnt(0)
	v_max_f32_e32 v14, v14, v14
	v_max_f32_e32 v6, v6, v14
	v_lshlrev_b32_e32 v14, 2, v4
	v_and_b32_e32 v14, 0x100, v14
	ds_bpermute_b32 v6, v14, v6
	s_min_i32 s44, s4, s33
	s_sub_i32 s43, s44, s54
	v_cmp_gt_i32_e64 s[4:5], s43, v0
	v_mov_b32_e32 v16, 0
	s_and_saveexec_b64 s[12:13], s[4:5]
	s_cbranch_execz .LBB276_124
; %bb.121:
	v_mov_b32_e32 v16, 0x90
	v_lshl_add_u32 v17, v0, 2, v16
	s_mov_b64 s[18:19], 0
	v_mov_b32_e32 v16, 0
	v_mov_b32_e32 v18, v0
.LBB276_122:                            ; =>This Inner Loop Header: Depth=1
	ds_read_b32 v19, v17
	v_add_u32_e32 v18, 0x80, v18
	v_cmp_le_i32_e64 s[10:11], s43, v18
	s_or_b64 s[18:19], s[10:11], s[18:19]
	s_waitcnt lgkmcnt(0)
	v_sub_f32_e32 v19, v19, v6
	v_mul_f32_e32 v19, 0x3fb8aa3b, v19
	v_exp_f32_e32 v19, v19
	ds_write_b32 v17, v19
	v_add_f32_e32 v16, v16, v19
	v_add_u32_e32 v17, 0x200, v17
	s_andn2_b64 exec, exec, s[18:19]
	s_cbranch_execnz .LBB276_122
; %bb.123:
	s_or_b64 exec, exec, s[18:19]
.LBB276_124:
	s_or_b64 exec, exec, s[12:13]
	ds_bpermute_b32 v7, v7, v16
	s_waitcnt lgkmcnt(0)
	v_add_f32_e32 v7, v16, v7
	ds_bpermute_b32 v8, v8, v7
	s_waitcnt lgkmcnt(0)
	v_add_f32_e32 v7, v7, v8
	ds_bpermute_b32 v8, v11, v7
	v_xor_b32_e32 v11, 2, v4
	v_cmp_lt_i32_e64 s[10:11], v11, v5
	v_cndmask_b32_e64 v4, v4, v11, s[10:11]
	v_lshlrev_b32_e32 v4, 2, v4
	s_waitcnt lgkmcnt(0)
	v_add_f32_e32 v7, v7, v8
	ds_bpermute_b32 v8, v12, v7
	s_waitcnt lgkmcnt(0)
	v_add_f32_e32 v5, v7, v8
	ds_bpermute_b32 v4, v4, v5
	;; [unrolled: 3-line block ×3, first 2 shown]
	s_waitcnt lgkmcnt(0)
	v_add_f32_e32 v4, v4, v5
	s_and_saveexec_b64 s[10:11], vcc
	s_cbranch_execz .LBB276_126
; %bb.125:
	ds_write_b32 v9, v4 offset:136
.LBB276_126:
	s_or_b64 exec, exec, s[10:11]
	s_waitcnt lgkmcnt(0)
	s_barrier
	s_and_saveexec_b64 s[10:11], s[2:3]
	s_cbranch_execz .LBB276_128
; %bb.127:
	ds_read_b32 v4, v10 offset:136
.LBB276_128:
	s_or_b64 exec, exec, s[10:11]
	s_waitcnt lgkmcnt(0)
	ds_bpermute_b32 v5, v22, v4
	s_waitcnt lgkmcnt(0)
	v_add_f32_e32 v4, v4, v5
	ds_bpermute_b32 v7, v14, v4
	s_and_saveexec_b64 s[2:3], s[4:5]
	s_cbranch_execz .LBB276_141
; %bb.129:
	s_waitcnt lgkmcnt(0)
	v_add_f32_e32 v4, 0x358637bd, v7
	v_div_scale_f32 v5, s[4:5], v4, v4, 1.0
	v_rcp_f32_e32 v8, v5
	v_div_scale_f32 v9, vcc, 1.0, v4, 1.0
	s_movk_i32 s4, 0x7f
	v_fma_f32 v10, -v5, v8, 1.0
	v_fmac_f32_e32 v8, v10, v8
	v_mul_f32_e32 v10, v9, v8
	v_fma_f32 v11, -v5, v10, v9
	v_fmac_f32_e32 v10, v11, v8
	v_fma_f32 v5, -v5, v10, v9
	v_div_fmas_f32 v5, v5, v8, v10
	v_div_fixup_f32 v4, v5, v4, 1.0
	v_xad_u32 v5, v0, -1, s44
	v_subrev_u32_e32 v8, s54, v5
	v_cmp_lt_u32_e32 vcc, s4, v8
	s_mov_b64 s[10:11], -1
	v_mov_b32_e32 v5, v0
	s_and_saveexec_b64 s[4:5], vcc
	s_cbranch_execz .LBB276_138
; %bb.130:
	v_lshrrev_b32_e32 v8, 7, v8
	v_add_u32_e32 v10, -1, v8
	v_lshrrev_b32_e32 v9, 1, v10
	v_mov_b32_e32 v5, v4
	v_add_u32_e32 v9, 1, v9
	v_cmp_lt_u32_e32 vcc, 13, v10
	v_mov_b32_e32 v12, 0
	s_and_saveexec_b64 s[10:11], vcc
	s_cbranch_execz .LBB276_134
; %bb.131:
	v_mov_b32_e32 v11, 0x90
	v_and_b32_e32 v10, -8, v9
	v_lshl_add_u32 v11, v0, 2, v11
	s_mov_b32 s18, 0
	s_mov_b64 s[12:13], 0
.LBB276_132:                            ; =>This Inner Loop Header: Depth=1
	ds_read2st64_b32 v[16:17], v11 offset1:2
	ds_read2st64_b32 v[18:19], v11 offset0:4 offset1:6
	ds_read2st64_b32 v[20:21], v11 offset0:8 offset1:10
	;; [unrolled: 1-line block ×3, first 2 shown]
	v_add_u32_e32 v10, -8, v10
	s_waitcnt lgkmcnt(3)
	v_pk_mul_f32 v[16:17], v[4:5], v[16:17]
	s_waitcnt lgkmcnt(2)
	v_pk_mul_f32 v[18:19], v[4:5], v[18:19]
	ds_write2st64_b32 v11, v16, v17 offset1:2
	ds_write2st64_b32 v11, v18, v19 offset0:4 offset1:6
	ds_read2st64_b32 v[18:19], v11 offset0:16 offset1:18
	s_waitcnt lgkmcnt(4)
	v_pk_mul_f32 v[16:17], v[4:5], v[20:21]
	ds_write2st64_b32 v11, v16, v17 offset0:8 offset1:10
	s_waitcnt lgkmcnt(4)
	v_pk_mul_f32 v[16:17], v[4:5], v[24:25]
	ds_write2st64_b32 v11, v16, v17 offset0:12 offset1:14
	ds_read2st64_b32 v[16:17], v11 offset0:20 offset1:22
	s_waitcnt lgkmcnt(3)
	v_pk_mul_f32 v[18:19], v[4:5], v[18:19]
	ds_read2st64_b32 v[20:21], v11 offset0:24 offset1:26
	ds_write2st64_b32 v11, v18, v19 offset0:16 offset1:18
	ds_read2st64_b32 v[18:19], v11 offset0:28 offset1:30
	s_waitcnt lgkmcnt(3)
	v_pk_mul_f32 v[16:17], v[4:5], v[16:17]
	ds_write2st64_b32 v11, v16, v17 offset0:20 offset1:22
	s_waitcnt lgkmcnt(3)
	v_pk_mul_f32 v[16:17], v[4:5], v[20:21]
	ds_write2st64_b32 v11, v16, v17 offset0:24 offset1:26
	s_waitcnt lgkmcnt(2)
	v_pk_mul_f32 v[16:17], v[4:5], v[18:19]
	s_add_i32 s18, s18, 16
	v_cmp_eq_u32_e32 vcc, 0, v10
	ds_write2st64_b32 v11, v16, v17 offset0:28 offset1:30
	v_add_u32_e32 v11, 0x2000, v11
	s_or_b64 s[12:13], vcc, s[12:13]
	v_mov_b32_e32 v12, s18
	s_andn2_b64 exec, exec, s[12:13]
	s_cbranch_execnz .LBB276_132
; %bb.133:
	s_or_b64 exec, exec, s[12:13]
.LBB276_134:
	s_or_b64 exec, exec, s[10:11]
	v_and_b32_e32 v9, 7, v9
	v_cmp_ne_u32_e32 vcc, 0, v9
	s_and_saveexec_b64 s[10:11], vcc
	s_cbranch_execz .LBB276_137
; %bb.135:
	v_lshlrev_b32_e32 v10, 9, v12
	v_lshlrev_b32_e32 v11, 2, v0
	s_movk_i32 s12, 0x90
	v_add3_u32 v10, v10, v11, s12
	s_mov_b64 s[12:13], 0
.LBB276_136:                            ; =>This Inner Loop Header: Depth=1
	ds_read2st64_b32 v[16:17], v10 offset1:2
	v_add_u32_e32 v9, -1, v9
	v_cmp_eq_u32_e32 vcc, 0, v9
	s_or_b64 s[12:13], vcc, s[12:13]
	s_waitcnt lgkmcnt(0)
	v_pk_mul_f32 v[16:17], v[4:5], v[16:17]
	ds_write2st64_b32 v10, v16, v17 offset1:2
	v_add_u32_e32 v10, 0x400, v10
	s_andn2_b64 exec, exec, s[12:13]
	s_cbranch_execnz .LBB276_136
.LBB276_137:
	s_or_b64 exec, exec, s[10:11]
	v_add_u32_e32 v8, 1, v8
	v_and_b32_e32 v9, 0x3fffffe, v8
	v_cmp_ne_u32_e32 vcc, v8, v9
	v_lshl_add_u32 v5, v9, 7, v0
	s_orn2_b64 s[10:11], vcc, exec
.LBB276_138:
	s_or_b64 exec, exec, s[4:5]
	s_and_b64 exec, exec, s[10:11]
	s_cbranch_execz .LBB276_141
; %bb.139:
	v_mov_b32_e32 v8, 0x90
	v_lshl_add_u32 v8, v5, 2, v8
	s_mov_b64 s[4:5], 0
.LBB276_140:                            ; =>This Inner Loop Header: Depth=1
	ds_read_b32 v9, v8
	v_add_u32_e32 v5, 0x80, v5
	v_cmp_le_i32_e32 vcc, s43, v5
	s_or_b64 s[4:5], vcc, s[4:5]
	s_waitcnt lgkmcnt(0)
	v_mul_f32_e32 v9, v4, v9
	ds_write_b32 v8, v9
	v_add_u32_e32 v8, 0x200, v8
	s_andn2_b64 exec, exec, s[4:5]
	s_cbranch_execnz .LBB276_140
.LBB276_141:
	s_or_b64 exec, exec, s[2:3]
	s_mul_i32 s2, s23, s34
	v_cmp_eq_u32_e32 vcc, 0, v0
	s_mul_i32 s2, s2, s9
	s_waitcnt lgkmcnt(0)
	s_barrier
	s_and_saveexec_b64 s[4:5], vcc
	s_cbranch_execz .LBB276_143
; %bb.142:
	s_ashr_i32 s3, s2, 31
	s_lshl_b64 s[10:11], s[2:3], 2
	s_add_u32 s3, s26, s10
	s_mul_i32 s12, s23, s6
	s_addc_u32 s9, s27, s11
	s_ashr_i32 s13, s12, 31
	s_lshl_b64 s[12:13], s[12:13], 2
	s_add_u32 s3, s3, s12
	s_addc_u32 s6, s9, s13
	s_ashr_i32 s9, s8, 31
	s_lshl_b64 s[18:19], s[8:9], 2
	s_add_u32 s26, s3, s18
	s_addc_u32 s27, s6, s19
	s_add_u32 s3, s24, s10
	s_addc_u32 s6, s25, s11
	;; [unrolled: 2-line block ×3, first 2 shown]
	s_add_u32 s10, s3, s18
	v_mov_b32_e32 v4, 0
	s_addc_u32 s11, s6, s19
	global_store_dword v4, v6, s[26:27]
	global_store_dword v4, v7, s[10:11]
.LBB276_143:
	s_or_b64 exec, exec, s[4:5]
	v_mov_b32_e32 v7, 0
	v_and_b32_e32 v23, 1, v0
	v_mov_b32_e32 v6, 0
	s_and_saveexec_b64 s[4:5], s[0:1]
	s_cbranch_execz .LBB276_249
; %bb.144:
	s_sub_i32 s3, s7, s21
	s_ashr_i32 s0, s20, 31
	s_add_u32 s1, s40, s20
	s_addc_u32 s0, s41, s0
	s_abs_i32 s9, s22
	v_cvt_f32_u32_e32 v4, s9
	s_sub_i32 s10, 0, s9
	v_lshlrev_b32_e32 v5, 3, v0
	v_and_b32_e32 v24, 8, v5
	v_rcp_iflag_f32_e32 v4, v4
	v_and_b32_e32 v5, 0x1f8, v5
	s_add_i32 s24, s16, -1
	s_mov_b32 s6, -1
	v_mul_f32_e32 v4, 0x4f7ffffe, v4
	v_cvt_u32_f32_e32 v4, v4
	s_mov_b32 s22, s17
	s_mov_b32 s7, 0xffffff
	;; [unrolled: 1-line block ×3, first 2 shown]
	v_mul_lo_u32 v6, s10, v4
	v_mul_hi_u32 v6, v4, v6
	v_add_u32_e32 v25, v4, v6
	v_mov_b32_e32 v6, s0
	v_add_co_u32_e32 v4, vcc, s1, v5
	s_lshl_b64 s[0:1], s[38:39], 2
	s_add_u32 s0, s36, s0
	v_addc_co_u32_e32 v5, vcc, 0, v6, vcc
	v_lshlrev_b64 v[6:7], 2, v[2:3]
	s_addc_u32 s1, s37, s1
	v_mov_b32_e32 v3, s1
	v_add_co_u32_e32 v8, vcc, s0, v6
	v_addc_co_u32_e32 v9, vcc, v3, v7, vcc
	v_lshlrev_b32_e32 v3, 5, v23
	v_lshl_or_b32 v3, v13, 6, v3
	v_add_u32_e32 v3, 0x90, v3
	s_mov_b64 s[10:11], 0
	v_mov_b32_e32 v26, 0
	v_mov_b32_e32 v11, 0
	s_movk_i32 s26, 0x80
	s_movk_i32 s27, 0x7f
	s_mov_b32 s34, 0x8000
	s_movk_i32 s36, 0x380
	s_mov_b32 s37, 0x3020706
	s_mov_b32 s38, 0x1000504
	s_mov_b32 s39, 0x5040100
	v_mov_b32_e32 v27, 0x2000
	v_mov_b32_e32 v6, 0
	v_mov_b32_e32 v7, 0
	s_branch .LBB276_147
.LBB276_145:                            ;   in Loop: Header=BB276_147 Depth=1
	s_or_b64 exec, exec, s[0:1]
	;;#ASMSTART
	v_pk_mul_f16 v13, v37, v13;

	;;#ASMEND
	;;#ASMSTART
	v_pk_mul_f16 v10, v36, v10;

	;;#ASMEND
	;; [unrolled: 4-line block ×4, first 2 shown]
	;;#ASMSTART
	v_pk_add_f16 v10, v13, v10;

	;;#ASMEND
	;;#ASMSTART
	v_pk_add_f16 v10, v10, v12;

	;;#ASMEND
	;; [unrolled: 4-line block ×3, first 2 shown]
	v_lshrrev_b32_e32 v12, 16, v10
	v_and_b32_e32 v10, 0xffff, v10
	;;#ASMSTART
	v_cvt_f32_f16 v10, v10;
	;;#ASMEND
	v_add_f32_e32 v16, v38, v39
	;;#ASMSTART
	v_cvt_f32_f16 v12, v12;
	;;#ASMEND
	v_add_f32_e32 v10, v10, v12
	v_add_f32_e32 v6, v6, v16
	;; [unrolled: 1-line block ×3, first 2 shown]
.LBB276_146:                            ;   in Loop: Header=BB276_147 Depth=1
	s_or_b64 exec, exec, s[12:13]
	v_add_co_u32_e32 v8, vcc, 8, v8
	v_add_u32_e32 v2, 2, v2
	v_addc_co_u32_e32 v9, vcc, 0, v9, vcc
	v_cmp_le_i32_e32 vcc, s53, v2
	v_add_u32_e32 v1, 32, v1
	s_or_b64 s[10:11], vcc, s[10:11]
	v_add_u32_e32 v3, 0x80, v3
	s_andn2_b64 exec, exec, s[10:11]
	s_cbranch_execz .LBB276_248
.LBB276_147:                            ; =>This Inner Loop Header: Depth=1
	v_sub_u32_e32 v12, 0, v1
	v_max_i32_e32 v12, v1, v12
	v_mul_hi_u32 v13, v12, s35
	v_mul_lo_u32 v14, v13, s29
	v_sub_u32_e32 v12, v12, v14
	v_add_u32_e32 v14, 1, v13
	v_cmp_le_u32_e32 vcc, s29, v12
	v_cndmask_b32_e32 v13, v13, v14, vcc
	v_subrev_u32_e32 v14, s29, v12
	v_cndmask_b32_e32 v12, v12, v14, vcc
	v_ashrrev_i32_e32 v10, 31, v1
	v_add_u32_e32 v14, 1, v13
	v_cmp_le_u32_e32 vcc, s29, v12
	v_xor_b32_e32 v10, s52, v10
	v_cndmask_b32_e32 v12, v13, v14, vcc
	v_xor_b32_e32 v12, v12, v10
	v_sub_u32_e32 v10, v12, v10
	v_add_u32_e32 v12, s42, v10
	v_sub_u32_e32 v14, 0, v12
	v_ashrrev_i32_e32 v13, 31, v12
	v_max_i32_e32 v12, v12, v14
	v_mul_hi_u32 v14, v12, v25
	v_mul_lo_u32 v14, v14, s9
	v_sub_u32_e32 v12, v12, v14
	v_subrev_u32_e32 v14, s9, v12
	v_cmp_le_u32_e32 vcc, s9, v12
	v_cndmask_b32_e32 v12, v12, v14, vcc
	v_subrev_u32_e32 v14, s9, v12
	v_cmp_le_u32_e32 vcc, s9, v12
	v_cndmask_b32_e32 v12, v12, v14, vcc
	v_xor_b32_e32 v12, v12, v13
	v_sub_u32_e32 v12, v12, v13
	v_cmp_eq_u32_e32 vcc, 0, v12
	v_cmp_lt_i32_e64 s[0:1], s3, v10
	s_or_b64 s[0:1], vcc, s[0:1]
	s_and_saveexec_b64 s[12:13], s[0:1]
	s_cbranch_execz .LBB276_146
; %bb.148:                              ;   in Loop: Header=BB276_147 Depth=1
	global_load_dword v10, v[8:9], off
	ds_read2_b64 v[16:19], v3 offset1:1
	ds_read2_b64 v[28:31], v3 offset0:2 offset1:3
	s_waitcnt lgkmcnt(1)
	;;#ASMSTART
	v_cvt_f16_f32 v34, v16;

	;;#ASMEND
	;;#ASMSTART
	v_cvt_f16_f32 v35, v17;

	;;#ASMEND
	;; [unrolled: 4-line block ×4, first 2 shown]
	s_waitcnt lgkmcnt(0)
	;;#ASMSTART
	v_cvt_f16_f32 v39, v28;

	;;#ASMEND
	;;#ASMSTART
	v_cvt_f16_f32 v40, v29;

	;;#ASMEND
	;; [unrolled: 4-line block ×4, first 2 shown]
	v_mov_b32_e32 v18, 0
	v_mov_b32_e32 v16, 0
	s_waitcnt vmcnt(0)
	v_mad_i64_i32 v[12:13], s[0:1], v10, s22, v[4:5]
	global_load_dwordx2 v[20:21], v[12:13], off
	global_load_dword v14, v11, s[14:15]
	s_waitcnt vmcnt(1)
	v_cmp_ne_u16_sdwa s[16:17], v20, v26 src0_sel:BYTE_0 src1_sel:DWORD
	s_and_saveexec_b64 s[0:1], s[16:17]
	s_cbranch_execz .LBB276_154
; %bb.149:                              ;   in Loop: Header=BB276_147 Depth=1
	v_cmp_ne_u16_sdwa s[18:19], v20, s26 src0_sel:BYTE_0 src1_sel:DWORD
	v_bfrev_b32_e32 v16, 1
	s_and_saveexec_b64 s[16:17], s[18:19]
	s_cbranch_execz .LBB276_153
; %bb.150:                              ;   in Loop: Header=BB276_147 Depth=1
	v_and_b32_e32 v10, 0x7f, v20
	v_cmp_ne_u32_e32 vcc, s27, v10
	v_mov_b32_e32 v16, 0x7fc02000
	s_and_saveexec_b64 s[18:19], vcc
	s_cbranch_execz .LBB276_152
; %bb.151:                              ;   in Loop: Header=BB276_147 Depth=1
	v_and_b32_e32 v16, 7, v20
	v_ffbh_u32_e32 v16, v16
	v_min_u32_e32 v16, 32, v16
	v_subrev_u32_e32 v17, 28, v16
	v_cmp_gt_u32_e32 vcc, 8, v10
	v_lshrrev_b32_e32 v19, 3, v10
	v_sub_u32_e32 v28, 29, v16
	v_cndmask_b32_e32 v10, 0, v17, vcc
	v_lshlrev_b64 v[16:17], v10, v[20:21]
	v_cndmask_b32_e32 v10, v19, v28, vcc
	v_lshlrev_b32_e32 v17, 8, v20
	v_lshl_add_u32 v10, v10, 10, v27
	v_lshlrev_b32_e32 v16, 7, v16
	v_and_or_b32 v10, v17, s34, v10
	v_and_or_b32 v10, v16, s36, v10
	v_cvt_f32_f16_e32 v16, v10
.LBB276_152:                            ;   in Loop: Header=BB276_147 Depth=1
	s_or_b64 exec, exec, s[18:19]
.LBB276_153:                            ;   in Loop: Header=BB276_147 Depth=1
	s_or_b64 exec, exec, s[16:17]
.LBB276_154:                            ;   in Loop: Header=BB276_147 Depth=1
	s_or_b64 exec, exec, s[0:1]
	v_lshrrev_b16_e32 v10, 8, v20
	v_cmp_ne_u16_e32 vcc, 0, v10
	s_and_saveexec_b64 s[0:1], vcc
	s_cbranch_execz .LBB276_160
; %bb.155:                              ;   in Loop: Header=BB276_147 Depth=1
	v_cmp_ne_u16_e32 vcc, s26, v10
	v_bfrev_b32_e32 v18, 1
	s_and_saveexec_b64 s[16:17], vcc
	s_cbranch_execz .LBB276_159
; %bb.156:                              ;   in Loop: Header=BB276_147 Depth=1
	v_and_b32_e32 v17, 0x7f, v10
	v_cmp_ne_u32_e32 vcc, s27, v17
	v_mov_b32_e32 v18, 0x7fc02000
	s_and_saveexec_b64 s[18:19], vcc
	s_cbranch_execz .LBB276_158
; %bb.157:                              ;   in Loop: Header=BB276_147 Depth=1
	v_and_b32_e32 v28, 7, v10
	v_ffbh_u32_e32 v18, v28
	v_min_u32_e32 v30, 32, v18
	v_subrev_u32_e32 v18, 28, v30
	v_lshlrev_b64 v[18:19], v18, v[10:11]
	v_lshrrev_b32_e32 v29, 3, v17
	v_sub_u32_e32 v19, 29, v30
	v_cmp_gt_u32_e32 vcc, 8, v17
	v_cndmask_b32_e32 v17, v29, v19, vcc
	v_and_b32_e32 v18, 7, v18
	v_lshlrev_b32_e32 v10, 8, v10
	v_lshl_add_u32 v17, v17, 10, v27
	v_cndmask_b32_e32 v18, v28, v18, vcc
	v_and_or_b32 v10, v10, s34, v17
	v_lshl_or_b32 v10, v18, 7, v10
	v_cvt_f32_f16_e32 v18, v10
.LBB276_158:                            ;   in Loop: Header=BB276_147 Depth=1
	s_or_b64 exec, exec, s[18:19]
.LBB276_159:                            ;   in Loop: Header=BB276_147 Depth=1
	s_or_b64 exec, exec, s[16:17]
.LBB276_160:                            ;   in Loop: Header=BB276_147 Depth=1
	s_or_b64 exec, exec, s[0:1]
	v_lshrrev_b32_e32 v10, 16, v20
	v_cmp_ne_u16_sdwa s[16:17], v10, v26 src0_sel:BYTE_0 src1_sel:DWORD
	v_mov_b32_e32 v19, 0
	v_mov_b32_e32 v17, 0
	s_and_saveexec_b64 s[0:1], s[16:17]
	s_cbranch_execz .LBB276_166
; %bb.161:                              ;   in Loop: Header=BB276_147 Depth=1
	v_cmp_ne_u16_sdwa s[18:19], v10, s26 src0_sel:BYTE_0 src1_sel:DWORD
	v_bfrev_b32_e32 v17, 1
	s_and_saveexec_b64 s[16:17], s[18:19]
	s_cbranch_execz .LBB276_165
; %bb.162:                              ;   in Loop: Header=BB276_147 Depth=1
	v_bfe_u32 v28, v20, 16, 7
	v_cmp_ne_u32_e32 vcc, s27, v28
	v_mov_b32_e32 v17, 0x7fc02000
	s_and_saveexec_b64 s[18:19], vcc
	s_cbranch_execz .LBB276_164
; %bb.163:                              ;   in Loop: Header=BB276_147 Depth=1
	v_and_b32_e32 v17, 7, v10
	v_ffbh_u32_e32 v30, v17
	v_min_u32_e32 v32, 32, v30
	v_subrev_u32_e32 v30, 28, v32
	v_lshlrev_b64 v[30:31], v30, v[10:11]
	v_lshrrev_b32_e32 v29, 3, v28
	v_sub_u32_e32 v31, 29, v32
	v_cmp_gt_u32_e32 vcc, 8, v28
	v_cndmask_b32_e32 v28, v29, v31, vcc
	v_and_b32_e32 v30, 7, v30
	v_lshlrev_b32_e32 v10, 8, v10
	v_lshl_add_u32 v28, v28, 10, v27
	v_cndmask_b32_e32 v17, v17, v30, vcc
	v_and_or_b32 v10, v10, s34, v28
	v_lshl_or_b32 v10, v17, 7, v10
	v_cvt_f32_f16_e32 v17, v10
.LBB276_164:                            ;   in Loop: Header=BB276_147 Depth=1
	s_or_b64 exec, exec, s[18:19]
.LBB276_165:                            ;   in Loop: Header=BB276_147 Depth=1
	s_or_b64 exec, exec, s[16:17]
.LBB276_166:                            ;   in Loop: Header=BB276_147 Depth=1
	s_or_b64 exec, exec, s[0:1]
	v_cmp_lt_u32_e32 vcc, s7, v20
	s_and_saveexec_b64 s[0:1], vcc
	s_cbranch_execz .LBB276_172
; %bb.167:                              ;   in Loop: Header=BB276_147 Depth=1
	v_lshrrev_b32_e32 v10, 24, v20
	v_cmp_ne_u32_e32 vcc, s26, v10
	v_bfrev_b32_e32 v19, 1
	s_and_saveexec_b64 s[16:17], vcc
	s_cbranch_execz .LBB276_171
; %bb.168:                              ;   in Loop: Header=BB276_147 Depth=1
	v_and_b32_e32 v28, 0x7f, v10
	v_cmp_ne_u32_e32 vcc, s27, v28
	v_mov_b32_e32 v19, 0x7fc02000
	s_and_saveexec_b64 s[18:19], vcc
	s_cbranch_execz .LBB276_170
; %bb.169:                              ;   in Loop: Header=BB276_147 Depth=1
	v_and_b32_e32 v19, 7, v10
	v_ffbh_u32_e32 v30, v19
	v_min_u32_e32 v32, 32, v30
	v_subrev_u32_e32 v30, 28, v32
	v_lshlrev_b64 v[30:31], v30, v[10:11]
	v_lshrrev_b32_e32 v29, 3, v28
	v_sub_u32_e32 v31, 29, v32
	v_cmp_gt_u32_e32 vcc, 8, v28
	v_cndmask_b32_e32 v28, v29, v31, vcc
	v_and_b32_e32 v30, 7, v30
	v_lshlrev_b32_e32 v10, 8, v10
	v_lshl_add_u32 v28, v28, 10, v27
	v_cndmask_b32_e32 v19, v19, v30, vcc
	v_and_or_b32 v10, v10, s34, v28
	v_lshl_or_b32 v10, v19, 7, v10
	v_cvt_f32_f16_e32 v19, v10
.LBB276_170:                            ;   in Loop: Header=BB276_147 Depth=1
	s_or_b64 exec, exec, s[18:19]
.LBB276_171:                            ;   in Loop: Header=BB276_147 Depth=1
	s_or_b64 exec, exec, s[16:17]
.LBB276_172:                            ;   in Loop: Header=BB276_147 Depth=1
	s_or_b64 exec, exec, s[0:1]
	v_mov_b32_e32 v10, v21
	v_cmp_ne_u16_sdwa s[16:17], v21, v26 src0_sel:BYTE_0 src1_sel:DWORD
	v_mov_b32_e32 v30, 0
	v_mov_b32_e32 v29, 0
	s_and_saveexec_b64 s[0:1], s[16:17]
	s_cbranch_execz .LBB276_178
; %bb.173:                              ;   in Loop: Header=BB276_147 Depth=1
	v_cmp_ne_u16_sdwa s[18:19], v21, s26 src0_sel:BYTE_0 src1_sel:DWORD
	v_bfrev_b32_e32 v29, 1
	s_and_saveexec_b64 s[16:17], s[18:19]
	s_cbranch_execz .LBB276_177
; %bb.174:                              ;   in Loop: Header=BB276_147 Depth=1
	v_and_b32_e32 v28, 0x7f, v21
	v_cmp_ne_u32_e32 vcc, s27, v28
	v_mov_b32_e32 v29, 0x7fc02000
	s_and_saveexec_b64 s[18:19], vcc
	s_cbranch_execz .LBB276_176
; %bb.175:                              ;   in Loop: Header=BB276_147 Depth=1
	v_and_b32_e32 v29, 7, v21
	v_ffbh_u32_e32 v29, v29
	v_min_u32_e32 v29, 32, v29
	v_subrev_u32_e32 v32, 28, v29
	v_cmp_gt_u32_e32 vcc, 8, v28
	v_lshrrev_b32_e32 v31, 3, v28
	v_cndmask_b32_e32 v28, 0, v32, vcc
	v_sub_u32_e32 v33, 29, v29
	v_lshlrev_b64 v[28:29], v28, v[10:11]
	v_cndmask_b32_e32 v29, v31, v33, vcc
	v_lshlrev_b32_e32 v31, 8, v21
	v_lshl_add_u32 v29, v29, 10, v27
	v_lshlrev_b32_e32 v28, 7, v28
	v_and_or_b32 v29, v31, s34, v29
	v_and_or_b32 v28, v28, s36, v29
	v_cvt_f32_f16_e32 v29, v28
.LBB276_176:                            ;   in Loop: Header=BB276_147 Depth=1
	s_or_b64 exec, exec, s[18:19]
.LBB276_177:                            ;   in Loop: Header=BB276_147 Depth=1
	s_or_b64 exec, exec, s[16:17]
.LBB276_178:                            ;   in Loop: Header=BB276_147 Depth=1
	s_or_b64 exec, exec, s[0:1]
	v_lshrrev_b16_e32 v10, 8, v10
	v_cmp_ne_u16_e32 vcc, 0, v10
	s_and_saveexec_b64 s[0:1], vcc
	s_cbranch_execz .LBB276_184
; %bb.179:                              ;   in Loop: Header=BB276_147 Depth=1
	v_cmp_ne_u16_e32 vcc, s26, v10
	v_bfrev_b32_e32 v30, 1
	s_and_saveexec_b64 s[16:17], vcc
	s_cbranch_execz .LBB276_183
; %bb.180:                              ;   in Loop: Header=BB276_147 Depth=1
	v_and_b32_e32 v28, 0x7f, v10
	v_cmp_ne_u32_e32 vcc, s27, v28
	v_mov_b32_e32 v30, 0x7fc02000
	s_and_saveexec_b64 s[18:19], vcc
	s_cbranch_execz .LBB276_182
; %bb.181:                              ;   in Loop: Header=BB276_147 Depth=1
	v_and_b32_e32 v32, 7, v10
	v_ffbh_u32_e32 v30, v32
	v_min_u32_e32 v37, 32, v30
	v_subrev_u32_e32 v30, 28, v37
	v_lshlrev_b64 v[30:31], v30, v[10:11]
	v_lshrrev_b32_e32 v33, 3, v28
	v_sub_u32_e32 v31, 29, v37
	v_cmp_gt_u32_e32 vcc, 8, v28
	v_cndmask_b32_e32 v28, v33, v31, vcc
	v_and_b32_e32 v30, 7, v30
	v_lshlrev_b32_e32 v10, 8, v10
	v_lshl_add_u32 v28, v28, 10, v27
	v_cndmask_b32_e32 v30, v32, v30, vcc
	v_and_or_b32 v10, v10, s34, v28
	v_lshl_or_b32 v10, v30, 7, v10
	v_cvt_f32_f16_e32 v30, v10
.LBB276_182:                            ;   in Loop: Header=BB276_147 Depth=1
	s_or_b64 exec, exec, s[18:19]
.LBB276_183:                            ;   in Loop: Header=BB276_147 Depth=1
	s_or_b64 exec, exec, s[16:17]
.LBB276_184:                            ;   in Loop: Header=BB276_147 Depth=1
	s_or_b64 exec, exec, s[0:1]
	v_lshrrev_b32_e32 v10, 16, v21
	v_cmp_ne_u16_sdwa s[16:17], v10, v26 src0_sel:BYTE_0 src1_sel:DWORD
	v_mov_b32_e32 v31, 0
	v_mov_b32_e32 v32, 0
	s_and_saveexec_b64 s[0:1], s[16:17]
	s_cbranch_execz .LBB276_190
; %bb.185:                              ;   in Loop: Header=BB276_147 Depth=1
	v_cmp_ne_u16_sdwa s[18:19], v10, s26 src0_sel:BYTE_0 src1_sel:DWORD
	v_bfrev_b32_e32 v32, 1
	s_and_saveexec_b64 s[16:17], s[18:19]
	s_cbranch_execz .LBB276_189
; %bb.186:                              ;   in Loop: Header=BB276_147 Depth=1
	v_bfe_u32 v28, v21, 16, 7
	v_cmp_ne_u32_e32 vcc, s27, v28
	v_mov_b32_e32 v32, 0x7fc02000
	s_and_saveexec_b64 s[18:19], vcc
	s_cbranch_execz .LBB276_188
; %bb.187:                              ;   in Loop: Header=BB276_147 Depth=1
	v_and_b32_e32 v37, 7, v10
	v_ffbh_u32_e32 v32, v37
	v_min_u32_e32 v44, 32, v32
	v_subrev_u32_e32 v32, 28, v44
	v_lshlrev_b64 v[32:33], v32, v[10:11]
	v_lshrrev_b32_e32 v43, 3, v28
	v_sub_u32_e32 v33, 29, v44
	v_cmp_gt_u32_e32 vcc, 8, v28
	v_cndmask_b32_e32 v28, v43, v33, vcc
	v_and_b32_e32 v32, 7, v32
	v_lshlrev_b32_e32 v10, 8, v10
	v_lshl_add_u32 v28, v28, 10, v27
	v_cndmask_b32_e32 v32, v37, v32, vcc
	v_and_or_b32 v10, v10, s34, v28
	v_lshl_or_b32 v10, v32, 7, v10
	v_cvt_f32_f16_e32 v32, v10
.LBB276_188:                            ;   in Loop: Header=BB276_147 Depth=1
	s_or_b64 exec, exec, s[18:19]
.LBB276_189:                            ;   in Loop: Header=BB276_147 Depth=1
	s_or_b64 exec, exec, s[16:17]
.LBB276_190:                            ;   in Loop: Header=BB276_147 Depth=1
	s_or_b64 exec, exec, s[0:1]
	v_cmp_lt_u64_e32 vcc, s[6:7], v[20:21]
	s_and_saveexec_b64 s[0:1], vcc
	s_cbranch_execz .LBB276_196
; %bb.191:                              ;   in Loop: Header=BB276_147 Depth=1
	v_lshrrev_b32_e32 v10, 24, v21
	v_cmp_ne_u32_e32 vcc, s26, v10
	v_bfrev_b32_e32 v31, 1
	s_and_saveexec_b64 s[16:17], vcc
	s_cbranch_execz .LBB276_195
; %bb.192:                              ;   in Loop: Header=BB276_147 Depth=1
	v_and_b32_e32 v20, 0x7f, v10
	v_cmp_ne_u32_e32 vcc, s27, v20
	v_mov_b32_e32 v31, 0x7fc02000
	s_and_saveexec_b64 s[18:19], vcc
	s_cbranch_execz .LBB276_194
; %bb.193:                              ;   in Loop: Header=BB276_147 Depth=1
	v_and_b32_e32 v21, 7, v10
	v_ffbh_u32_e32 v31, v21
	v_min_u32_e32 v31, 32, v31
	v_lshrrev_b32_e32 v28, 3, v20
	v_subrev_u32_e32 v33, 28, v31
	v_sub_u32_e32 v31, 29, v31
	v_cmp_gt_u32_e32 vcc, 8, v20
	v_lshlrev_b64 v[44:45], v33, v[10:11]
	v_cndmask_b32_e32 v20, v28, v31, vcc
	v_and_b32_e32 v33, 7, v44
	v_lshlrev_b32_e32 v10, 8, v10
	v_lshl_add_u32 v20, v20, 10, v27
	v_cndmask_b32_e32 v21, v21, v33, vcc
	v_and_or_b32 v10, v10, s34, v20
	v_lshl_or_b32 v10, v21, 7, v10
	v_cvt_f32_f16_e32 v31, v10
.LBB276_194:                            ;   in Loop: Header=BB276_147 Depth=1
	s_or_b64 exec, exec, s[18:19]
.LBB276_195:                            ;   in Loop: Header=BB276_147 Depth=1
	s_or_b64 exec, exec, s[16:17]
.LBB276_196:                            ;   in Loop: Header=BB276_147 Depth=1
	s_or_b64 exec, exec, s[0:1]
	s_waitcnt vmcnt(0)
	v_pk_mul_f32 v[18:19], v[14:15], v[18:19] op_sel_hi:[0,1]
	v_pk_mul_f32 v[16:17], v[14:15], v[16:17] op_sel_hi:[0,1]
	v_cvt_f16_f32_e32 v10, v19
	v_cvt_f16_f32_e32 v18, v18
	;; [unrolled: 1-line block ×4, first 2 shown]
	v_add_u32_e32 v28, v24, v1
	v_pack_b32_f16 v18, v18, v10
	v_cmp_eq_u32_e32 vcc, s24, v2
	v_pack_b32_f16 v16, v16, v17
	v_fma_mixlo_f16 v17, v14, v30, 0
	v_perm_b32 v10, v16, v18, s37
	v_perm_b32 v16, v16, v18, s38
	v_lshlrev_b32_e32 v17, 16, v17
	v_fma_mixlo_f16 v18, v14, v29, 0
	v_or_b32_sdwa v17, v17, v18 dst_sel:DWORD dst_unused:UNUSED_PAD src0_sel:DWORD src1_sel:WORD_0
	v_fma_mixlo_f16 v18, v14, v32, 0
	v_fma_mixlo_f16 v14, v14, v31, 0
	v_lshlrev_b32_e32 v14, 16, v14
	v_or_b32_sdwa v14, v14, v18 dst_sel:DWORD dst_unused:UNUSED_PAD src0_sel:DWORD src1_sel:WORD_0
	v_add_u32_e32 v33, 1, v28
	v_or_b32_e32 v32, 3, v28
	v_or_b32_e32 v31, 2, v28
	;; [unrolled: 1-line block ×6, first 2 shown]
	s_and_saveexec_b64 s[16:17], vcc
	s_cbranch_execz .LBB276_198
; %bb.197:                              ;   in Loop: Header=BB276_147 Depth=1
	v_lshrrev_b32_e32 v19, 16, v16
	v_cmp_gt_i32_e64 s[0:1], s25, v33
	v_cndmask_b32_e64 v19, 0, v19, s[0:1]
	v_cmp_gt_i32_e64 s[0:1], s33, v28
	v_cndmask_b32_e64 v16, 0, v16, s[0:1]
	v_perm_b32 v16, v19, v16, s39
	v_lshrrev_b32_e32 v19, 16, v10
	v_cmp_gt_i32_e64 s[0:1], s25, v32
	v_cndmask_b32_e64 v19, 0, v19, s[0:1]
	v_cmp_gt_i32_e64 s[0:1], s33, v31
	v_cndmask_b32_e64 v10, 0, v10, s[0:1]
	v_perm_b32 v10, v19, v10, s39
	v_lshrrev_b32_e32 v19, 16, v17
	v_cmp_gt_i32_e64 s[0:1], s25, v30
	v_cndmask_b32_e64 v19, 0, v19, s[0:1]
	v_cmp_gt_i32_e64 s[0:1], s33, v29
	v_cndmask_b32_e64 v17, 0, v17, s[0:1]
	v_lshrrev_b32_e32 v14, 16, v14
	v_cmp_gt_i32_e64 s[0:1], s25, v21
	v_cndmask_b32_e64 v14, 0, v14, s[0:1]
	v_cmp_gt_i32_e64 s[0:1], s33, v20
	v_cndmask_b32_e64 v18, 0, v18, s[0:1]
	v_perm_b32 v17, v19, v17, s39
	v_perm_b32 v14, v14, v18, s39
.LBB276_198:                            ;   in Loop: Header=BB276_147 Depth=1
	s_or_b64 exec, exec, s[16:17]
	v_and_b32_e32 v18, 0xffff, v34
	v_lshl_or_b32 v37, v35, 16, v18
	v_and_b32_e32 v18, 0xffff, v36
	v_lshl_or_b32 v36, v38, 16, v18
	;; [unrolled: 2-line block ×3, first 2 shown]
	v_and_b32_e32 v18, 0xffff, v41
	;;#ASMSTART
	v_pk_mul_f16 v16, v37, v16;

	;;#ASMEND
	;;#ASMSTART
	v_pk_mul_f16 v10, v36, v10;

	;;#ASMEND
	v_lshl_or_b32 v34, v42, 16, v18
	;;#ASMSTART
	v_pk_mul_f16 v17, v35, v17;

	;;#ASMEND
	;;#ASMSTART
	v_pk_mul_f16 v14, v34, v14;

	;;#ASMEND
	;;#ASMSTART
	v_pk_add_f16 v10, v16, v10;

	;;#ASMEND
	;;#ASMSTART
	v_pk_add_f16 v10, v10, v17;
	;; [unrolled: 4-line block ×3, first 2 shown]

	;;#ASMEND
	v_lshrrev_b32_e32 v14, 16, v10
	v_and_b32_e32 v10, 0xffff, v10
	;;#ASMSTART
	v_cvt_f32_f16 v38, v10;
	;;#ASMEND
	;;#ASMSTART
	v_cvt_f32_f16 v39, v14;
	;;#ASMEND
	global_load_dwordx2 v[18:19], v[12:13], off offset:512
	global_load_dword v14, v11, s[14:15]
	v_mov_b32_e32 v16, 0
	v_mov_b32_e32 v12, 0
	s_waitcnt vmcnt(1)
	v_cmp_ne_u16_sdwa s[0:1], v18, v26 src0_sel:BYTE_0 src1_sel:DWORD
	s_and_saveexec_b64 s[16:17], s[0:1]
	s_cbranch_execz .LBB276_204
; %bb.199:                              ;   in Loop: Header=BB276_147 Depth=1
	v_cmp_ne_u16_sdwa s[0:1], v18, s26 src0_sel:BYTE_0 src1_sel:DWORD
	v_bfrev_b32_e32 v12, 1
	s_and_saveexec_b64 s[18:19], s[0:1]
	s_cbranch_execz .LBB276_203
; %bb.200:                              ;   in Loop: Header=BB276_147 Depth=1
	v_and_b32_e32 v10, 0x7f, v18
	v_cmp_ne_u32_e64 s[0:1], s27, v10
	v_mov_b32_e32 v12, 0x7fc02000
	s_and_saveexec_b64 s[20:21], s[0:1]
	s_cbranch_execz .LBB276_202
; %bb.201:                              ;   in Loop: Header=BB276_147 Depth=1
	v_and_b32_e32 v12, 7, v18
	v_ffbh_u32_e32 v12, v12
	v_min_u32_e32 v12, 32, v12
	v_subrev_u32_e32 v13, 28, v12
	v_cmp_gt_u32_e64 s[0:1], 8, v10
	v_lshrrev_b32_e32 v17, 3, v10
	v_sub_u32_e32 v40, 29, v12
	v_cndmask_b32_e64 v10, 0, v13, s[0:1]
	v_lshlrev_b64 v[12:13], v10, v[18:19]
	v_cndmask_b32_e64 v10, v17, v40, s[0:1]
	v_lshlrev_b32_e32 v13, 8, v18
	v_lshl_add_u32 v10, v10, 10, v27
	v_lshlrev_b32_e32 v12, 7, v12
	v_and_or_b32 v10, v13, s34, v10
	v_and_or_b32 v10, v12, s36, v10
	v_cvt_f32_f16_e32 v12, v10
.LBB276_202:                            ;   in Loop: Header=BB276_147 Depth=1
	s_or_b64 exec, exec, s[20:21]
.LBB276_203:                            ;   in Loop: Header=BB276_147 Depth=1
	s_or_b64 exec, exec, s[18:19]
.LBB276_204:                            ;   in Loop: Header=BB276_147 Depth=1
	s_or_b64 exec, exec, s[16:17]
	v_lshrrev_b16_e32 v10, 8, v18
	v_cmp_ne_u16_e64 s[0:1], 0, v10
	s_and_saveexec_b64 s[16:17], s[0:1]
	s_cbranch_execz .LBB276_210
; %bb.205:                              ;   in Loop: Header=BB276_147 Depth=1
	v_cmp_ne_u16_e64 s[0:1], s26, v10
	v_bfrev_b32_e32 v16, 1
	s_and_saveexec_b64 s[18:19], s[0:1]
	s_cbranch_execz .LBB276_209
; %bb.206:                              ;   in Loop: Header=BB276_147 Depth=1
	v_and_b32_e32 v13, 0x7f, v10
	v_cmp_ne_u32_e64 s[0:1], s27, v13
	v_mov_b32_e32 v16, 0x7fc02000
	s_and_saveexec_b64 s[20:21], s[0:1]
	s_cbranch_execz .LBB276_208
; %bb.207:                              ;   in Loop: Header=BB276_147 Depth=1
	v_and_b32_e32 v40, 7, v10
	v_ffbh_u32_e32 v16, v40
	v_min_u32_e32 v42, 32, v16
	v_subrev_u32_e32 v16, 28, v42
	v_lshlrev_b64 v[16:17], v16, v[10:11]
	v_lshrrev_b32_e32 v41, 3, v13
	v_sub_u32_e32 v17, 29, v42
	v_cmp_gt_u32_e64 s[0:1], 8, v13
	v_cndmask_b32_e64 v13, v41, v17, s[0:1]
	v_and_b32_e32 v16, 7, v16
	v_lshlrev_b32_e32 v10, 8, v10
	v_lshl_add_u32 v13, v13, 10, v27
	v_cndmask_b32_e64 v16, v40, v16, s[0:1]
	v_and_or_b32 v10, v10, s34, v13
	v_lshl_or_b32 v10, v16, 7, v10
	v_cvt_f32_f16_e32 v16, v10
.LBB276_208:                            ;   in Loop: Header=BB276_147 Depth=1
	s_or_b64 exec, exec, s[20:21]
.LBB276_209:                            ;   in Loop: Header=BB276_147 Depth=1
	s_or_b64 exec, exec, s[18:19]
.LBB276_210:                            ;   in Loop: Header=BB276_147 Depth=1
	s_or_b64 exec, exec, s[16:17]
	v_lshrrev_b32_e32 v10, 16, v18
	v_cmp_ne_u16_sdwa s[0:1], v10, v26 src0_sel:BYTE_0 src1_sel:DWORD
	v_mov_b32_e32 v17, 0
	v_mov_b32_e32 v13, 0
	s_and_saveexec_b64 s[16:17], s[0:1]
	s_cbranch_execz .LBB276_216
; %bb.211:                              ;   in Loop: Header=BB276_147 Depth=1
	v_cmp_ne_u16_sdwa s[0:1], v10, s26 src0_sel:BYTE_0 src1_sel:DWORD
	v_bfrev_b32_e32 v13, 1
	s_and_saveexec_b64 s[18:19], s[0:1]
	s_cbranch_execz .LBB276_215
; %bb.212:                              ;   in Loop: Header=BB276_147 Depth=1
	v_bfe_u32 v40, v18, 16, 7
	v_cmp_ne_u32_e64 s[0:1], s27, v40
	v_mov_b32_e32 v13, 0x7fc02000
	s_and_saveexec_b64 s[20:21], s[0:1]
	s_cbranch_execz .LBB276_214
; %bb.213:                              ;   in Loop: Header=BB276_147 Depth=1
	v_and_b32_e32 v13, 7, v10
	v_ffbh_u32_e32 v42, v13
	v_min_u32_e32 v44, 32, v42
	v_subrev_u32_e32 v42, 28, v44
	v_lshlrev_b64 v[42:43], v42, v[10:11]
	v_lshrrev_b32_e32 v41, 3, v40
	v_sub_u32_e32 v43, 29, v44
	v_cmp_gt_u32_e64 s[0:1], 8, v40
	v_cndmask_b32_e64 v40, v41, v43, s[0:1]
	v_and_b32_e32 v42, 7, v42
	v_lshlrev_b32_e32 v10, 8, v10
	v_lshl_add_u32 v40, v40, 10, v27
	v_cndmask_b32_e64 v13, v13, v42, s[0:1]
	v_and_or_b32 v10, v10, s34, v40
	v_lshl_or_b32 v10, v13, 7, v10
	v_cvt_f32_f16_e32 v13, v10
.LBB276_214:                            ;   in Loop: Header=BB276_147 Depth=1
	s_or_b64 exec, exec, s[20:21]
.LBB276_215:                            ;   in Loop: Header=BB276_147 Depth=1
	s_or_b64 exec, exec, s[18:19]
.LBB276_216:                            ;   in Loop: Header=BB276_147 Depth=1
	s_or_b64 exec, exec, s[16:17]
	v_cmp_lt_u32_e64 s[0:1], s7, v18
	s_and_saveexec_b64 s[16:17], s[0:1]
	s_cbranch_execz .LBB276_222
; %bb.217:                              ;   in Loop: Header=BB276_147 Depth=1
	v_lshrrev_b32_e32 v10, 24, v18
	v_cmp_ne_u32_e64 s[0:1], s26, v10
	v_bfrev_b32_e32 v17, 1
	s_and_saveexec_b64 s[18:19], s[0:1]
	s_cbranch_execz .LBB276_221
; %bb.218:                              ;   in Loop: Header=BB276_147 Depth=1
	v_and_b32_e32 v40, 0x7f, v10
	v_cmp_ne_u32_e64 s[0:1], s27, v40
	v_mov_b32_e32 v17, 0x7fc02000
	s_and_saveexec_b64 s[20:21], s[0:1]
	s_cbranch_execz .LBB276_220
; %bb.219:                              ;   in Loop: Header=BB276_147 Depth=1
	v_and_b32_e32 v17, 7, v10
	v_ffbh_u32_e32 v42, v17
	v_min_u32_e32 v44, 32, v42
	v_subrev_u32_e32 v42, 28, v44
	v_lshlrev_b64 v[42:43], v42, v[10:11]
	v_lshrrev_b32_e32 v41, 3, v40
	v_sub_u32_e32 v43, 29, v44
	v_cmp_gt_u32_e64 s[0:1], 8, v40
	v_cndmask_b32_e64 v40, v41, v43, s[0:1]
	v_and_b32_e32 v42, 7, v42
	v_lshlrev_b32_e32 v10, 8, v10
	v_lshl_add_u32 v40, v40, 10, v27
	v_cndmask_b32_e64 v17, v17, v42, s[0:1]
	v_and_or_b32 v10, v10, s34, v40
	v_lshl_or_b32 v10, v17, 7, v10
	v_cvt_f32_f16_e32 v17, v10
.LBB276_220:                            ;   in Loop: Header=BB276_147 Depth=1
	s_or_b64 exec, exec, s[20:21]
.LBB276_221:                            ;   in Loop: Header=BB276_147 Depth=1
	s_or_b64 exec, exec, s[18:19]
.LBB276_222:                            ;   in Loop: Header=BB276_147 Depth=1
	s_or_b64 exec, exec, s[16:17]
	v_mov_b32_e32 v10, v19
	v_cmp_ne_u16_sdwa s[0:1], v19, v26 src0_sel:BYTE_0 src1_sel:DWORD
	v_mov_b32_e32 v41, 0
	v_mov_b32_e32 v40, 0
	s_and_saveexec_b64 s[16:17], s[0:1]
	s_cbranch_execz .LBB276_228
; %bb.223:                              ;   in Loop: Header=BB276_147 Depth=1
	v_cmp_ne_u16_sdwa s[0:1], v19, s26 src0_sel:BYTE_0 src1_sel:DWORD
	v_bfrev_b32_e32 v40, 1
	s_and_saveexec_b64 s[18:19], s[0:1]
	s_cbranch_execz .LBB276_227
; %bb.224:                              ;   in Loop: Header=BB276_147 Depth=1
	v_and_b32_e32 v42, 0x7f, v19
	v_cmp_ne_u32_e64 s[0:1], s27, v42
	v_mov_b32_e32 v40, 0x7fc02000
	s_and_saveexec_b64 s[20:21], s[0:1]
	s_cbranch_execz .LBB276_226
; %bb.225:                              ;   in Loop: Header=BB276_147 Depth=1
	v_and_b32_e32 v40, 7, v19
	v_ffbh_u32_e32 v40, v40
	v_min_u32_e32 v40, 32, v40
	v_subrev_u32_e32 v43, 28, v40
	v_cmp_gt_u32_e64 s[0:1], 8, v42
	v_lshrrev_b32_e32 v44, 3, v42
	v_sub_u32_e32 v40, 29, v40
	v_cndmask_b32_e64 v42, 0, v43, s[0:1]
	v_lshlrev_b64 v[42:43], v42, v[10:11]
	v_cndmask_b32_e64 v40, v44, v40, s[0:1]
	v_lshlrev_b32_e32 v43, 8, v19
	v_lshl_add_u32 v40, v40, 10, v27
	v_lshlrev_b32_e32 v42, 7, v42
	v_and_or_b32 v40, v43, s34, v40
	v_and_or_b32 v40, v42, s36, v40
	v_cvt_f32_f16_e32 v40, v40
.LBB276_226:                            ;   in Loop: Header=BB276_147 Depth=1
	s_or_b64 exec, exec, s[20:21]
.LBB276_227:                            ;   in Loop: Header=BB276_147 Depth=1
	s_or_b64 exec, exec, s[18:19]
.LBB276_228:                            ;   in Loop: Header=BB276_147 Depth=1
	s_or_b64 exec, exec, s[16:17]
	v_lshrrev_b16_e32 v10, 8, v10
	v_cmp_ne_u16_e64 s[0:1], 0, v10
	s_and_saveexec_b64 s[16:17], s[0:1]
	s_cbranch_execz .LBB276_234
; %bb.229:                              ;   in Loop: Header=BB276_147 Depth=1
	v_cmp_ne_u16_e64 s[0:1], s26, v10
	v_bfrev_b32_e32 v41, 1
	s_and_saveexec_b64 s[18:19], s[0:1]
	s_cbranch_execz .LBB276_233
; %bb.230:                              ;   in Loop: Header=BB276_147 Depth=1
	v_and_b32_e32 v42, 0x7f, v10
	v_cmp_ne_u32_e64 s[0:1], s27, v42
	v_mov_b32_e32 v41, 0x7fc02000
	s_and_saveexec_b64 s[20:21], s[0:1]
	s_cbranch_execz .LBB276_232
; %bb.231:                              ;   in Loop: Header=BB276_147 Depth=1
	v_and_b32_e32 v41, 7, v10
	v_ffbh_u32_e32 v44, v41
	v_min_u32_e32 v46, 32, v44
	v_subrev_u32_e32 v44, 28, v46
	v_lshlrev_b64 v[44:45], v44, v[10:11]
	v_lshrrev_b32_e32 v43, 3, v42
	v_sub_u32_e32 v45, 29, v46
	v_cmp_gt_u32_e64 s[0:1], 8, v42
	v_cndmask_b32_e64 v42, v43, v45, s[0:1]
	v_and_b32_e32 v44, 7, v44
	v_lshlrev_b32_e32 v10, 8, v10
	v_lshl_add_u32 v42, v42, 10, v27
	v_cndmask_b32_e64 v41, v41, v44, s[0:1]
	v_and_or_b32 v10, v10, s34, v42
	v_lshl_or_b32 v10, v41, 7, v10
	v_cvt_f32_f16_e32 v41, v10
.LBB276_232:                            ;   in Loop: Header=BB276_147 Depth=1
	s_or_b64 exec, exec, s[20:21]
.LBB276_233:                            ;   in Loop: Header=BB276_147 Depth=1
	s_or_b64 exec, exec, s[18:19]
.LBB276_234:                            ;   in Loop: Header=BB276_147 Depth=1
	s_or_b64 exec, exec, s[16:17]
	v_lshrrev_b32_e32 v10, 16, v19
	v_cmp_ne_u16_sdwa s[0:1], v10, v26 src0_sel:BYTE_0 src1_sel:DWORD
	v_mov_b32_e32 v42, 0
	v_mov_b32_e32 v43, 0
	s_and_saveexec_b64 s[16:17], s[0:1]
	s_cbranch_execz .LBB276_240
; %bb.235:                              ;   in Loop: Header=BB276_147 Depth=1
	v_cmp_ne_u16_sdwa s[0:1], v10, s26 src0_sel:BYTE_0 src1_sel:DWORD
	v_bfrev_b32_e32 v43, 1
	s_and_saveexec_b64 s[18:19], s[0:1]
	s_cbranch_execz .LBB276_239
; %bb.236:                              ;   in Loop: Header=BB276_147 Depth=1
	v_bfe_u32 v44, v19, 16, 7
	v_cmp_ne_u32_e64 s[0:1], s27, v44
	v_mov_b32_e32 v43, 0x7fc02000
	s_and_saveexec_b64 s[20:21], s[0:1]
	s_cbranch_execz .LBB276_238
; %bb.237:                              ;   in Loop: Header=BB276_147 Depth=1
	v_and_b32_e32 v43, 7, v10
	v_ffbh_u32_e32 v46, v43
	v_min_u32_e32 v48, 32, v46
	v_subrev_u32_e32 v46, 28, v48
	v_lshlrev_b64 v[46:47], v46, v[10:11]
	v_lshrrev_b32_e32 v45, 3, v44
	v_sub_u32_e32 v47, 29, v48
	v_cmp_gt_u32_e64 s[0:1], 8, v44
	v_cndmask_b32_e64 v44, v45, v47, s[0:1]
	v_and_b32_e32 v46, 7, v46
	v_lshlrev_b32_e32 v10, 8, v10
	v_lshl_add_u32 v44, v44, 10, v27
	v_cndmask_b32_e64 v43, v43, v46, s[0:1]
	v_and_or_b32 v10, v10, s34, v44
	v_lshl_or_b32 v10, v43, 7, v10
	v_cvt_f32_f16_e32 v43, v10
.LBB276_238:                            ;   in Loop: Header=BB276_147 Depth=1
	s_or_b64 exec, exec, s[20:21]
.LBB276_239:                            ;   in Loop: Header=BB276_147 Depth=1
	s_or_b64 exec, exec, s[18:19]
.LBB276_240:                            ;   in Loop: Header=BB276_147 Depth=1
	s_or_b64 exec, exec, s[16:17]
	v_cmp_lt_u64_e64 s[0:1], s[6:7], v[18:19]
	s_and_saveexec_b64 s[16:17], s[0:1]
	s_cbranch_execz .LBB276_246
; %bb.241:                              ;   in Loop: Header=BB276_147 Depth=1
	v_lshrrev_b32_e32 v10, 24, v19
	v_cmp_ne_u32_e64 s[0:1], s26, v10
	v_bfrev_b32_e32 v42, 1
	s_and_saveexec_b64 s[18:19], s[0:1]
	s_cbranch_execz .LBB276_245
; %bb.242:                              ;   in Loop: Header=BB276_147 Depth=1
	v_and_b32_e32 v18, 0x7f, v10
	v_cmp_ne_u32_e64 s[0:1], s27, v18
	v_mov_b32_e32 v42, 0x7fc02000
	s_and_saveexec_b64 s[20:21], s[0:1]
	s_cbranch_execz .LBB276_244
; %bb.243:                              ;   in Loop: Header=BB276_147 Depth=1
	v_and_b32_e32 v19, 7, v10
	v_ffbh_u32_e32 v44, v19
	v_min_u32_e32 v46, 32, v44
	v_subrev_u32_e32 v44, 28, v46
	v_lshlrev_b64 v[44:45], v44, v[10:11]
	v_lshrrev_b32_e32 v42, 3, v18
	v_sub_u32_e32 v45, 29, v46
	v_cmp_gt_u32_e64 s[0:1], 8, v18
	v_cndmask_b32_e64 v18, v42, v45, s[0:1]
	v_and_b32_e32 v44, 7, v44
	v_lshlrev_b32_e32 v10, 8, v10
	v_lshl_add_u32 v18, v18, 10, v27
	v_cndmask_b32_e64 v19, v19, v44, s[0:1]
	v_and_or_b32 v10, v10, s34, v18
	v_lshl_or_b32 v10, v19, 7, v10
	v_cvt_f32_f16_e32 v42, v10
.LBB276_244:                            ;   in Loop: Header=BB276_147 Depth=1
	s_or_b64 exec, exec, s[20:21]
.LBB276_245:                            ;   in Loop: Header=BB276_147 Depth=1
	s_or_b64 exec, exec, s[18:19]
.LBB276_246:                            ;   in Loop: Header=BB276_147 Depth=1
	s_or_b64 exec, exec, s[16:17]
	s_waitcnt vmcnt(0)
	v_pk_mul_f32 v[16:17], v[14:15], v[16:17] op_sel_hi:[0,1]
	v_pk_mul_f32 v[12:13], v[14:15], v[12:13] op_sel_hi:[0,1]
	v_cvt_f16_f32_e32 v10, v17
	v_cvt_f16_f32_e32 v16, v16
	;; [unrolled: 1-line block ×4, first 2 shown]
	v_pack_b32_f16 v16, v16, v10
	v_pack_b32_f16 v12, v12, v13
	v_perm_b32 v10, v12, v16, s37
	v_perm_b32 v13, v12, v16, s38
	v_fma_mixlo_f16 v12, v14, v41, 0
	v_lshlrev_b32_e32 v12, 16, v12
	v_fma_mixlo_f16 v16, v14, v40, 0
	v_or_b32_sdwa v12, v12, v16 dst_sel:DWORD dst_unused:UNUSED_PAD src0_sel:DWORD src1_sel:WORD_0
	v_fma_mixlo_f16 v16, v14, v43, 0
	v_fma_mixlo_f16 v14, v14, v42, 0
	v_lshlrev_b32_e32 v14, 16, v14
	v_or_b32_sdwa v14, v14, v16 dst_sel:DWORD dst_unused:UNUSED_PAD src0_sel:DWORD src1_sel:WORD_0
	s_and_saveexec_b64 s[0:1], vcc
	s_cbranch_execz .LBB276_145
; %bb.247:                              ;   in Loop: Header=BB276_147 Depth=1
	v_lshrrev_b32_e32 v17, 16, v13
	v_cmp_gt_i32_e32 vcc, s25, v33
	v_cndmask_b32_e32 v17, 0, v17, vcc
	v_cmp_gt_i32_e32 vcc, s33, v28
	v_cndmask_b32_e32 v13, 0, v13, vcc
	v_perm_b32 v13, v17, v13, s39
	v_lshrrev_b32_e32 v17, 16, v10
	v_cmp_gt_i32_e32 vcc, s25, v32
	v_cndmask_b32_e32 v17, 0, v17, vcc
	v_cmp_gt_i32_e32 vcc, s33, v31
	v_cndmask_b32_e32 v10, 0, v10, vcc
	v_perm_b32 v10, v17, v10, s39
	v_lshrrev_b32_e32 v17, 16, v12
	v_cmp_gt_i32_e32 vcc, s25, v30
	v_cndmask_b32_e32 v17, 0, v17, vcc
	v_cmp_gt_i32_e32 vcc, s33, v29
	v_cndmask_b32_e32 v12, 0, v12, vcc
	v_lshrrev_b32_e32 v14, 16, v14
	v_cmp_gt_i32_e32 vcc, s25, v21
	v_cndmask_b32_e32 v14, 0, v14, vcc
	v_cmp_gt_i32_e32 vcc, s33, v20
	v_cndmask_b32_e32 v16, 0, v16, vcc
	v_perm_b32 v12, v17, v12, s39
	v_perm_b32 v14, v14, v16, s39
	s_branch .LBB276_145
.LBB276_248:
	s_or_b64 exec, exec, s[10:11]
.LBB276_249:
	s_or_b64 exec, exec, s[4:5]
	ds_bpermute_b32 v2, v22, v6
	ds_bpermute_b32 v3, v22, v7
	v_and_b32_e32 v1, 0x3c1, v0
	v_cmp_eq_u32_e32 vcc, 64, v1
	s_waitcnt lgkmcnt(0)
	s_barrier
	v_pk_add_f32 v[2:3], v[6:7], v[2:3]
	s_and_saveexec_b64 s[0:1], vcc
	s_cbranch_execz .LBB276_251
; %bb.250:
	v_mov_b32_e32 v4, 0x90
	v_lshl_add_u32 v4, v15, 1, v4
	ds_write2_b32 v4, v2, v3 offset1:32
.LBB276_251:
	s_or_b64 exec, exec, s[0:1]
	v_cmp_gt_u32_e32 vcc, 64, v0
	s_waitcnt lgkmcnt(0)
	s_barrier
	s_and_saveexec_b64 s[0:1], vcc
	s_cbranch_execz .LBB276_257
; %bb.252:
	v_cmp_eq_u32_e32 vcc, 0, v23
	v_lshrrev_b32_e32 v4, 1, v0
	s_and_saveexec_b64 s[4:5], vcc
	s_cbranch_execz .LBB276_254
; %bb.253:
	v_mov_b32_e32 v5, 0x90
	v_lshl_add_u32 v5, v4, 2, v5
	ds_read_b32 v5, v5
	s_waitcnt lgkmcnt(0)
	v_add_f32_e32 v2, v2, v5
.LBB276_254:
	s_or_b64 exec, exec, s[4:5]
	s_and_saveexec_b64 s[4:5], vcc
	s_cbranch_execz .LBB276_256
; %bb.255:
	v_mov_b32_e32 v5, 0x90
	v_lshl_add_u32 v4, v4, 2, v5
	ds_read_b32 v4, v4 offset:128
	s_waitcnt lgkmcnt(0)
	v_add_f32_e32 v3, v3, v4
.LBB276_256:
	s_or_b64 exec, exec, s[4:5]
.LBB276_257:
	s_or_b64 exec, exec, s[0:1]
	v_cmp_eq_u32_e32 vcc, 0, v1
	s_barrier
	s_and_saveexec_b64 s[0:1], vcc
	s_cbranch_execz .LBB276_259
; %bb.258:
	s_lshl_b32 s0, s2, 6
	s_ashr_i32 s1, s0, 31
	s_lshl_b64 s[0:1], s[0:1], 1
	s_add_u32 s2, s30, s0
	s_mul_i32 s0, s23, s28
	s_addc_u32 s3, s31, s1
	s_ashr_i32 s1, s0, 31
	s_lshl_b64 s[0:1], s[0:1], 1
	s_add_u32 s2, s2, s0
	s_addc_u32 s3, s3, s1
	s_lshl_b32 s0, s8, 6
	s_ashr_i32 s1, s0, 31
	s_lshl_b64 s[0:1], s[0:1], 1
	s_add_u32 s0, s2, s0
	s_addc_u32 s1, s3, s1
	;;#ASMSTART
	v_cvt_f16_f32 v1, v2;

	;;#ASMEND
	global_store_short v0, v1, s[0:1]
	;;#ASMSTART
	v_cvt_f16_f32 v1, v3;

	;;#ASMEND
	global_store_short v0, v1, s[0:1] offset:64
.LBB276_259:
	s_endpgm
	.section	.rodata,"a",@progbits
	.p2align	6, 0x0
	.amdhsa_kernel _ZN4vllm25paged_attention_v2_kernelIthLi64ELi16ELi128ELNS_18Fp8KVCacheDataTypeE1ELb1ELi512EEEvPfS2_PT_PKS3_PKT0_S9_ifPKiSB_iPKfiiiSD_SD_iiiii
		.amdhsa_group_segment_fixed_size 144
		.amdhsa_private_segment_fixed_size 0
		.amdhsa_kernarg_size 400
		.amdhsa_user_sgpr_count 6
		.amdhsa_user_sgpr_private_segment_buffer 1
		.amdhsa_user_sgpr_dispatch_ptr 0
		.amdhsa_user_sgpr_queue_ptr 0
		.amdhsa_user_sgpr_kernarg_segment_ptr 1
		.amdhsa_user_sgpr_dispatch_id 0
		.amdhsa_user_sgpr_flat_scratch_init 0
		.amdhsa_user_sgpr_kernarg_preload_length 0
		.amdhsa_user_sgpr_kernarg_preload_offset 0
		.amdhsa_user_sgpr_private_segment_size 0
		.amdhsa_uses_dynamic_stack 0
		.amdhsa_system_sgpr_private_segment_wavefront_offset 0
		.amdhsa_system_sgpr_workgroup_id_x 1
		.amdhsa_system_sgpr_workgroup_id_y 1
		.amdhsa_system_sgpr_workgroup_id_z 1
		.amdhsa_system_sgpr_workgroup_info 0
		.amdhsa_system_vgpr_workitem_id 0
		.amdhsa_next_free_vgpr 49
		.amdhsa_next_free_sgpr 63
		.amdhsa_accum_offset 52
		.amdhsa_reserve_vcc 1
		.amdhsa_reserve_flat_scratch 0
		.amdhsa_float_round_mode_32 0
		.amdhsa_float_round_mode_16_64 0
		.amdhsa_float_denorm_mode_32 3
		.amdhsa_float_denorm_mode_16_64 3
		.amdhsa_dx10_clamp 1
		.amdhsa_ieee_mode 1
		.amdhsa_fp16_overflow 0
		.amdhsa_tg_split 0
		.amdhsa_exception_fp_ieee_invalid_op 0
		.amdhsa_exception_fp_denorm_src 0
		.amdhsa_exception_fp_ieee_div_zero 0
		.amdhsa_exception_fp_ieee_overflow 0
		.amdhsa_exception_fp_ieee_underflow 0
		.amdhsa_exception_fp_ieee_inexact 0
		.amdhsa_exception_int_div_zero 0
	.end_amdhsa_kernel
	.section	.text._ZN4vllm25paged_attention_v2_kernelIthLi64ELi16ELi128ELNS_18Fp8KVCacheDataTypeE1ELb1ELi512EEEvPfS2_PT_PKS3_PKT0_S9_ifPKiSB_iPKfiiiSD_SD_iiiii,"axG",@progbits,_ZN4vllm25paged_attention_v2_kernelIthLi64ELi16ELi128ELNS_18Fp8KVCacheDataTypeE1ELb1ELi512EEEvPfS2_PT_PKS3_PKT0_S9_ifPKiSB_iPKfiiiSD_SD_iiiii,comdat
.Lfunc_end276:
	.size	_ZN4vllm25paged_attention_v2_kernelIthLi64ELi16ELi128ELNS_18Fp8KVCacheDataTypeE1ELb1ELi512EEEvPfS2_PT_PKS3_PKT0_S9_ifPKiSB_iPKfiiiSD_SD_iiiii, .Lfunc_end276-_ZN4vllm25paged_attention_v2_kernelIthLi64ELi16ELi128ELNS_18Fp8KVCacheDataTypeE1ELb1ELi512EEEvPfS2_PT_PKS3_PKT0_S9_ifPKiSB_iPKfiiiSD_SD_iiiii
                                        ; -- End function
	.section	.AMDGPU.csdata,"",@progbits
; Kernel info:
; codeLenInByte = 11372
; NumSgprs: 67
; NumVgprs: 49
; NumAgprs: 0
; TotalNumVgprs: 49
; ScratchSize: 0
; MemoryBound: 0
; FloatMode: 240
; IeeeMode: 1
; LDSByteSize: 144 bytes/workgroup (compile time only)
; SGPRBlocks: 8
; VGPRBlocks: 6
; NumSGPRsForWavesPerEU: 67
; NumVGPRsForWavesPerEU: 49
; AccumOffset: 52
; Occupancy: 8
; WaveLimiterHint : 1
; COMPUTE_PGM_RSRC2:SCRATCH_EN: 0
; COMPUTE_PGM_RSRC2:USER_SGPR: 6
; COMPUTE_PGM_RSRC2:TRAP_HANDLER: 0
; COMPUTE_PGM_RSRC2:TGID_X_EN: 1
; COMPUTE_PGM_RSRC2:TGID_Y_EN: 1
; COMPUTE_PGM_RSRC2:TGID_Z_EN: 1
; COMPUTE_PGM_RSRC2:TIDIG_COMP_CNT: 0
; COMPUTE_PGM_RSRC3_GFX90A:ACCUM_OFFSET: 12
; COMPUTE_PGM_RSRC3_GFX90A:TG_SPLIT: 0
	.section	.text._ZN4vllm25paged_attention_v2_kernelIthLi80ELi16ELi128ELNS_18Fp8KVCacheDataTypeE1ELb1ELi512EEEvPfS2_PT_PKS3_PKT0_S9_ifPKiSB_iPKfiiiSD_SD_iiiii,"axG",@progbits,_ZN4vllm25paged_attention_v2_kernelIthLi80ELi16ELi128ELNS_18Fp8KVCacheDataTypeE1ELb1ELi512EEEvPfS2_PT_PKS3_PKT0_S9_ifPKiSB_iPKfiiiSD_SD_iiiii,comdat
	.protected	_ZN4vllm25paged_attention_v2_kernelIthLi80ELi16ELi128ELNS_18Fp8KVCacheDataTypeE1ELb1ELi512EEEvPfS2_PT_PKS3_PKT0_S9_ifPKiSB_iPKfiiiSD_SD_iiiii ; -- Begin function _ZN4vllm25paged_attention_v2_kernelIthLi80ELi16ELi128ELNS_18Fp8KVCacheDataTypeE1ELb1ELi512EEEvPfS2_PT_PKS3_PKT0_S9_ifPKiSB_iPKfiiiSD_SD_iiiii
	.globl	_ZN4vllm25paged_attention_v2_kernelIthLi80ELi16ELi128ELNS_18Fp8KVCacheDataTypeE1ELb1ELi512EEEvPfS2_PT_PKS3_PKT0_S9_ifPKiSB_iPKfiiiSD_SD_iiiii
	.p2align	8
	.type	_ZN4vllm25paged_attention_v2_kernelIthLi80ELi16ELi128ELNS_18Fp8KVCacheDataTypeE1ELb1ELi512EEEvPfS2_PT_PKS3_PKT0_S9_ifPKiSB_iPKfiiiSD_SD_iiiii,@function
_ZN4vllm25paged_attention_v2_kernelIthLi80ELi16ELi128ELNS_18Fp8KVCacheDataTypeE1ELb1ELi512EEEvPfS2_PT_PKS3_PKT0_S9_ifPKiSB_iPKfiiiSD_SD_iiiii: ; @_ZN4vllm25paged_attention_v2_kernelIthLi80ELi16ELi128ELNS_18Fp8KVCacheDataTypeE1ELb1ELi512EEEvPfS2_PT_PKS3_PKT0_S9_ifPKiSB_iPKfiiiSD_SD_iiiii
; %bb.0:
	s_load_dwordx2 s[0:1], s[4:5], 0x40
	s_mov_b32 s34, s7
	s_ashr_i32 s35, s7, 31
	s_lshl_b64 s[2:3], s[34:35], 2
	s_waitcnt lgkmcnt(0)
	s_add_u32 s0, s0, s2
	s_addc_u32 s1, s1, s3
	s_load_dword s33, s[0:1], 0x0
	s_lshl_b32 s55, s8, 9
	s_waitcnt lgkmcnt(0)
	s_cmp_ge_i32 s55, s33
	s_cbranch_scc1 .LBB277_343
; %bb.1:
	s_load_dword s9, s[4:5], 0x90
	s_load_dwordx2 s[42:43], s[4:5], 0x30
	s_mov_b32 s56, 0
	s_waitcnt lgkmcnt(0)
	s_abs_i32 s2, s9
	s_abs_i32 s0, s42
	v_cvt_f32_u32_e32 v1, s0
	s_sub_i32 s3, 0, s0
	s_xor_b32 s1, s9, s42
	s_ashr_i32 s1, s1, 31
	v_rcp_iflag_f32_e32 v1, v1
	v_mul_f32_e32 v1, 0x4f7ffffe, v1
	v_cvt_u32_f32_e32 v1, v1
	v_readfirstlane_b32 s7, v1
	s_mul_i32 s3, s3, s7
	s_mul_hi_u32 s3, s7, s3
	s_add_i32 s7, s7, s3
	s_mul_hi_u32 s3, s2, s7
	s_mul_i32 s7, s3, s0
	s_sub_i32 s2, s2, s7
	s_add_i32 s10, s3, 1
	s_sub_i32 s7, s2, s0
	s_cmp_ge_u32 s2, s0
	s_cselect_b32 s3, s10, s3
	s_cselect_b32 s2, s7, s2
	s_add_i32 s7, s3, 1
	s_cmp_ge_u32 s2, s0
	s_cselect_b32 s0, s7, s3
	s_xor_b32 s0, s0, s1
	s_sub_i32 s11, s0, s1
	s_abs_i32 s2, s11
	v_cvt_f32_u32_e32 v1, s2
	s_load_dwordx2 s[0:1], s[4:5], 0x50
	s_sub_i32 s7, 0, s2
	s_abs_i32 s3, s6
	v_rcp_iflag_f32_e32 v1, v1
	v_mul_f32_e32 v1, 0x4f7ffffe, v1
	v_cvt_u32_f32_e32 v1, v1
	v_readfirstlane_b32 s10, v1
	s_mul_i32 s7, s7, s10
	s_mul_hi_u32 s7, s10, s7
	s_add_i32 s10, s10, s7
	s_waitcnt lgkmcnt(0)
	s_cmp_eq_u64 s[0:1], 0
	s_mul_hi_u32 s10, s3, s10
	s_cbranch_scc1 .LBB277_3
; %bb.2:
	s_ashr_i32 s7, s6, 31
	s_lshl_b64 s[12:13], s[6:7], 2
	s_add_u32 s0, s0, s12
	s_addc_u32 s1, s1, s13
	s_load_dword s56, s[0:1], 0x0
.LBB277_3:
	s_load_dwordx4 s[16:19], s[4:5], 0x58
	s_ashr_i32 s7, s6, 31
	s_ashr_i32 s11, s11, 31
	v_and_b32_e32 v8, 3, v0
	s_mul_i32 s28, s6, 0x50
	v_cmp_gt_u32_e32 vcc, 40, v0
	s_and_saveexec_b64 s[0:1], vcc
	s_cbranch_execz .LBB277_5
; %bb.4:
	s_load_dwordx2 s[12:13], s[4:5], 0x18
	s_waitcnt lgkmcnt(0)
	s_mul_i32 s14, s34, s16
	s_ashr_i32 s15, s14, 31
	s_lshl_b64 s[14:15], s[14:15], 1
	v_lshlrev_b32_e32 v1, 2, v0
	s_add_u32 s14, s12, s14
	s_addc_u32 s15, s13, s15
	s_ashr_i32 s29, s28, 31
	s_lshl_b64 s[12:13], s[28:29], 1
	s_add_u32 s12, s14, s12
	s_addc_u32 s13, s15, s13
	global_load_dword v1, v1, s[12:13]
	v_and_b32_e32 v2, 0x3fc, v0
	v_mad_u32_u24 v2, v8, 40, v2
	s_waitcnt vmcnt(0)
	ds_write_b32 v2, v1
.LBB277_5:
	s_or_b64 exec, exec, s[0:1]
	s_mul_i32 s1, s10, s2
	s_sub_i32 s1, s3, s1
	s_xor_b32 s0, s7, s11
	s_add_i32 s3, s10, 1
	s_sub_i32 s7, s1, s2
	s_load_dwordx4 s[20:23], s[4:5], 0x78
	s_cmp_ge_u32 s1, s2
	s_cselect_b32 s3, s3, s10
	s_load_dword s10, s[4:5], 0x88
	s_cselect_b32 s1, s7, s1
	s_add_i32 s7, s3, 1
	s_cmp_ge_u32 s1, s2
	s_cselect_b32 s1, s7, s3
	s_waitcnt lgkmcnt(0)
	s_abs_i32 s35, s23
	v_cvt_f32_u32_e32 v1, s35
	s_xor_b32 s1, s1, s0
	s_sub_i32 s2, s1, s0
	s_sub_i32 s0, 0, s35
	v_rcp_iflag_f32_e32 v1, v1
	s_add_i32 s11, s33, -1
	s_abs_i32 s3, s11
	v_mul_f32_e32 v1, 0x4f7ffffe, v1
	v_cvt_u32_f32_e32 v1, v1
	s_barrier
	v_readfirstlane_b32 s52, v1
	s_mul_i32 s0, s0, s52
	s_mul_hi_u32 s0, s52, s0
	s_add_i32 s52, s52, s0
	s_cmp_lt_i32 s10, 0
	s_mul_hi_u32 s7, s3, s52
	s_cbranch_scc0 .LBB277_7
; %bb.6:
	s_mul_i32 s0, s20, s42
	s_add_i32 s0, s2, s0
	s_mul_i32 s0, s0, s10
	s_sub_i32 s42, 1, s0
	s_mov_b64 s[0:1], 0
	s_branch .LBB277_8
.LBB277_7:
	s_mov_b64 s[0:1], -1
                                        ; implicit-def: $sgpr42
.LBB277_8:
	s_load_dwordx2 s[36:37], s[4:5], 0x38
	s_ashr_i32 s11, s11, 31
	s_andn2_b64 vcc, exec, s[0:1]
	s_ashr_i32 s53, s23, 31
	s_cbranch_vccnz .LBB277_10
; %bb.9:
	s_mul_i32 s0, s9, s20
	s_add_i32 s0, s0, s6
	s_mul_i32 s0, s0, s10
	s_add_i32 s42, s0, 1
.LBB277_10:
	s_load_dwordx2 s[40:41], s[4:5], 0x28
	s_load_dword s0, s[4:5], 0x48
	s_load_dwordx4 s[24:27], s[4:5], 0x0
	s_load_dwordx2 s[30:31], s[4:5], 0x10
	s_load_dword s29, s[4:5], 0x98
	s_load_dwordx4 s[12:15], s[4:5], 0x68
	s_mul_i32 s1, s7, s35
	s_waitcnt lgkmcnt(0)
	s_mul_i32 s38, s34, s0
	s_sub_i32 s1, s3, s1
	s_ashr_i32 s39, s38, 31
	s_xor_b32 s0, s11, s53
	s_add_i32 s3, s7, 1
	s_sub_i32 s10, s1, s35
	s_cmp_ge_u32 s1, s35
	s_cselect_b32 s3, s3, s7
	s_cselect_b32 s1, s10, s1
	s_add_i32 s7, s3, 1
	s_cmp_ge_u32 s1, s35
	s_cselect_b32 s1, s7, s3
	s_xor_b32 s1, s1, s0
	s_sub_i32 s16, s1, s0
	s_add_i32 s0, s33, 15
	s_ashr_i32 s1, s0, 31
	s_lshr_b32 s1, s1, 28
	s_add_i32 s0, s0, s1
	s_lshl_b32 s23, s8, 5
	s_ashr_i32 s7, s0, 4
	s_add_i32 s0, s23, 32
	v_lshrrev_b32_e32 v13, 6, v0
	s_min_i32 s54, s0, s7
	v_or_b32_e32 v6, s23, v13
	v_cmp_gt_i32_e64 s[0:1], s54, v6
	v_mov_b32_e32 v17, 0xff7fffff
	s_mul_i32 s20, s2, s18
	v_ashrrev_i32_e32 v7, 31, v6
	v_lshl_add_u32 v1, v13, 4, s55
	v_mbcnt_lo_u32_b32 v5, -1, 0
	s_and_saveexec_b64 s[18:19], s[0:1]
	s_cbranch_execz .LBB277_140
; %bb.11:
	s_load_dwordx2 s[2:3], s[4:5], 0x20
	s_sub_i32 s57, s16, s21
	s_ashr_i32 s4, s20, 31
	v_bfe_u32 v14, v0, 2, 4
	v_lshlrev_b32_e32 v3, 4, v14
	s_waitcnt lgkmcnt(0)
	s_add_u32 s2, s2, s20
	s_addc_u32 s3, s3, s4
	s_abs_i32 s59, s22
	v_cvt_f32_u32_e32 v2, s59
	v_mov_b32_e32 v4, s3
	s_sub_i32 s4, 0, s59
	v_cmp_eq_u32_e32 vcc, 0, v8
	v_rcp_iflag_f32_e32 v9, v2
	v_add_co_u32_e64 v2, s[2:3], s2, v3
	v_addc_co_u32_e64 v3, s[2:3], 0, v4, s[2:3]
	v_mul_f32_e32 v9, 0x4f7ffffe, v9
	v_cvt_u32_f32_e32 v9, v9
	v_lshlrev_b32_e32 v4, 1, v8
	v_mul_u32_u24_e32 v16, 40, v8
	s_mov_b32 s58, s17
	v_mul_lo_u32 v8, s4, v9
	s_lshl_b64 s[4:5], s[38:39], 2
	v_mul_hi_u32 v8, v9, v8
	s_add_u32 s4, s36, s4
	v_add_u32_e32 v18, v9, v8
	v_lshlrev_b64 v[8:9], 2, v[6:7]
	s_addc_u32 s5, s37, s5
	v_mov_b32_e32 v10, s5
	v_add_co_u32_e64 v8, s[4:5], s4, v8
	v_addc_co_u32_e64 v9, s[4:5], v10, v9, s[4:5]
	v_lshlrev_b32_e32 v10, 2, v14
	v_lshl_or_b32 v10, v13, 6, v10
	v_add_u32_e32 v20, 0xb0, v10
	v_subrev_u32_e32 v10, s33, v14
	v_mov_b32_e32 v15, 0
	v_cmp_neq_f32_e64 s[2:3], s56, 0
	v_lshl_add_u32 v19, v13, 4, s55
	v_add_u32_e32 v21, 1, v10
	s_mov_b64 s[44:45], 0
	v_mov_b32_e32 v22, 0xff7fffff
	s_movk_i32 s60, 0x80
	s_movk_i32 s61, 0x7f
	s_mov_b32 s62, 0x8000
	v_mov_b32_e32 v23, 0x2000
	v_mbcnt_hi_u32_b32 v24, -1, v5
	v_mov_b32_e32 v17, 0xff7fffff
	v_mov_b32_e32 v25, v6
	s_branch .LBB277_14
.LBB277_12:                             ;   in Loop: Header=BB277_14 Depth=1
	s_or_b64 exec, exec, s[46:47]
.LBB277_13:                             ;   in Loop: Header=BB277_14 Depth=1
	s_or_b64 exec, exec, s[10:11]
	v_add_co_u32_e64 v8, s[4:5], 8, v8
	v_add_u32_e32 v25, 2, v25
	v_addc_co_u32_e64 v9, s[4:5], 0, v9, s[4:5]
	v_cmp_le_i32_e64 s[4:5], s54, v25
	v_add_u32_e32 v19, 32, v19
	s_or_b64 s[44:45], s[4:5], s[44:45]
	v_add_u32_e32 v20, 0x80, v20
	s_andn2_b64 exec, exec, s[44:45]
	s_cbranch_execz .LBB277_139
.LBB277_14:                             ; =>This Inner Loop Header: Depth=1
	s_waitcnt lgkmcnt(0)
	v_sub_u32_e32 v11, 0, v19
	v_max_i32_e32 v11, v19, v11
	v_mul_hi_u32 v12, v11, s52
	v_mul_lo_u32 v26, v12, s35
	v_sub_u32_e32 v11, v11, v26
	v_add_u32_e32 v26, 1, v12
	v_cmp_le_u32_e64 s[4:5], s35, v11
	v_cndmask_b32_e64 v12, v12, v26, s[4:5]
	v_subrev_u32_e32 v26, s35, v11
	v_cndmask_b32_e64 v11, v11, v26, s[4:5]
	v_ashrrev_i32_e32 v10, 31, v19
	v_add_u32_e32 v26, 1, v12
	v_cmp_le_u32_e64 s[4:5], s35, v11
	v_xor_b32_e32 v10, s53, v10
	v_cndmask_b32_e64 v11, v12, v26, s[4:5]
	v_xor_b32_e32 v11, v11, v10
	v_sub_u32_e32 v10, v11, v10
	v_add_u32_e32 v11, s42, v10
	v_sub_u32_e32 v26, 0, v11
	v_ashrrev_i32_e32 v12, 31, v11
	v_max_i32_e32 v11, v11, v26
	v_mul_hi_u32 v26, v11, v18
	v_mul_lo_u32 v26, v26, s59
	v_sub_u32_e32 v11, v11, v26
	v_subrev_u32_e32 v26, s59, v11
	v_cmp_le_u32_e64 s[4:5], s59, v11
	v_cndmask_b32_e64 v11, v11, v26, s[4:5]
	v_subrev_u32_e32 v26, s59, v11
	v_cmp_le_u32_e64 s[4:5], s59, v11
	v_cndmask_b32_e64 v11, v11, v26, s[4:5]
	v_xor_b32_e32 v11, v11, v12
	v_sub_u32_e32 v11, v11, v12
	v_cmp_ne_u32_e64 s[4:5], 0, v11
	v_cmp_ge_i32_e64 s[10:11], s57, v10
	s_and_b64 s[4:5], s[4:5], s[10:11]
	s_and_b64 s[46:47], vcc, s[4:5]
	s_and_saveexec_b64 s[10:11], s[46:47]
	s_cbranch_execz .LBB277_16
; %bb.15:                               ;   in Loop: Header=BB277_14 Depth=1
	ds_write_b32 v20, v22
.LBB277_16:                             ;   in Loop: Header=BB277_14 Depth=1
	s_or_b64 exec, exec, s[10:11]
	s_xor_b64 s[4:5], s[4:5], -1
	s_and_saveexec_b64 s[10:11], s[4:5]
	s_cbranch_execz .LBB277_13
; %bb.17:                               ;   in Loop: Header=BB277_14 Depth=1
	global_load_dword v10, v[8:9], off
	v_mov_b32_e32 v27, 0
	s_waitcnt vmcnt(0)
	v_mad_i64_i32 v[10:11], s[4:5], v10, s58, v[2:3]
	v_add_co_u32_e64 v10, s[4:5], v10, v4
	v_addc_co_u32_e64 v11, s[4:5], 0, v11, s[4:5]
	global_load_ushort v28, v[10:11], off
	global_load_dword v26, v15, s[12:13]
	s_waitcnt vmcnt(1)
	v_and_b32_e32 v12, 0xffff, v28
	v_cmp_ne_u16_sdwa s[4:5], v28, v15 src0_sel:BYTE_0 src1_sel:DWORD
	v_mov_b32_e32 v28, 0
	s_and_saveexec_b64 s[46:47], s[4:5]
	s_cbranch_execz .LBB277_23
; %bb.18:                               ;   in Loop: Header=BB277_14 Depth=1
	v_cmp_ne_u16_sdwa s[4:5], v12, s60 src0_sel:BYTE_0 src1_sel:DWORD
	v_bfrev_b32_e32 v28, 1
	s_and_saveexec_b64 s[48:49], s[4:5]
	s_cbranch_execz .LBB277_22
; %bb.19:                               ;   in Loop: Header=BB277_14 Depth=1
	v_and_b32_e32 v29, 0x7f, v12
	v_cmp_ne_u32_e64 s[4:5], s61, v29
	v_mov_b32_e32 v28, 0x7fc02000
	s_and_saveexec_b64 s[50:51], s[4:5]
	s_cbranch_execz .LBB277_21
; %bb.20:                               ;   in Loop: Header=BB277_14 Depth=1
	v_and_b32_e32 v28, 7, v12
	v_ffbh_u32_e32 v30, v28
	v_min_u32_e32 v33, 32, v30
	v_subrev_u32_e32 v30, 28, v33
	v_lshlrev_b64 v[30:31], v30, v[12:13]
	v_lshrrev_b32_e32 v32, 3, v29
	v_sub_u32_e32 v31, 29, v33
	v_cmp_gt_u32_e64 s[4:5], 8, v29
	v_and_b32_e32 v30, 7, v30
	v_cndmask_b32_e64 v29, v32, v31, s[4:5]
	v_cndmask_b32_e64 v28, v28, v30, s[4:5]
	v_lshlrev_b32_e32 v30, 8, v12
	v_lshl_add_u32 v29, v29, 10, v23
	v_and_or_b32 v29, v30, s62, v29
	v_lshl_or_b32 v28, v28, 7, v29
	v_cvt_f32_f16_e32 v28, v28
.LBB277_21:                             ;   in Loop: Header=BB277_14 Depth=1
	s_or_b64 exec, exec, s[50:51]
.LBB277_22:                             ;   in Loop: Header=BB277_14 Depth=1
	s_or_b64 exec, exec, s[48:49]
.LBB277_23:                             ;   in Loop: Header=BB277_14 Depth=1
	s_or_b64 exec, exec, s[46:47]
	v_lshrrev_b16_e32 v12, 8, v12
	v_cmp_ne_u16_e64 s[4:5], 0, v12
	s_and_saveexec_b64 s[46:47], s[4:5]
	s_cbranch_execz .LBB277_29
; %bb.24:                               ;   in Loop: Header=BB277_14 Depth=1
	v_cmp_ne_u16_e64 s[4:5], s60, v12
	v_bfrev_b32_e32 v27, 1
	s_and_saveexec_b64 s[48:49], s[4:5]
	s_cbranch_execz .LBB277_28
; %bb.25:                               ;   in Loop: Header=BB277_14 Depth=1
	v_and_b32_e32 v29, 0x7f, v12
	v_cmp_ne_u32_e64 s[4:5], s61, v29
	v_mov_b32_e32 v27, 0x7fc02000
	s_and_saveexec_b64 s[50:51], s[4:5]
	s_cbranch_execz .LBB277_27
; %bb.26:                               ;   in Loop: Header=BB277_14 Depth=1
	v_and_b32_e32 v27, 7, v12
	v_ffbh_u32_e32 v30, v27
	v_min_u32_e32 v33, 32, v30
	v_subrev_u32_e32 v30, 28, v33
	v_lshlrev_b64 v[30:31], v30, v[12:13]
	v_lshrrev_b32_e32 v32, 3, v29
	v_sub_u32_e32 v31, 29, v33
	v_cmp_gt_u32_e64 s[4:5], 8, v29
	v_cndmask_b32_e64 v29, v32, v31, s[4:5]
	v_and_b32_e32 v30, 7, v30
	v_lshlrev_b32_e32 v12, 8, v12
	v_lshl_add_u32 v29, v29, 10, v23
	v_cndmask_b32_e64 v27, v27, v30, s[4:5]
	v_and_or_b32 v12, v12, s62, v29
	v_lshl_or_b32 v12, v27, 7, v12
	v_cvt_f32_f16_e32 v27, v12
.LBB277_27:                             ;   in Loop: Header=BB277_14 Depth=1
	s_or_b64 exec, exec, s[50:51]
.LBB277_28:                             ;   in Loop: Header=BB277_14 Depth=1
	s_or_b64 exec, exec, s[48:49]
.LBB277_29:                             ;   in Loop: Header=BB277_14 Depth=1
	s_or_b64 exec, exec, s[46:47]
	global_load_ushort v30, v[10:11], off offset:8
	v_mov_b32_e32 v29, 0
	s_waitcnt vmcnt(0)
	v_and_b32_e32 v12, 0xffff, v30
	v_cmp_ne_u16_sdwa s[4:5], v30, v15 src0_sel:BYTE_0 src1_sel:DWORD
	v_mov_b32_e32 v30, 0
	s_and_saveexec_b64 s[46:47], s[4:5]
	s_cbranch_execz .LBB277_35
; %bb.30:                               ;   in Loop: Header=BB277_14 Depth=1
	v_cmp_ne_u16_sdwa s[4:5], v12, s60 src0_sel:BYTE_0 src1_sel:DWORD
	v_bfrev_b32_e32 v30, 1
	s_and_saveexec_b64 s[48:49], s[4:5]
	s_cbranch_execz .LBB277_34
; %bb.31:                               ;   in Loop: Header=BB277_14 Depth=1
	v_and_b32_e32 v31, 0x7f, v12
	v_cmp_ne_u32_e64 s[4:5], s61, v31
	v_mov_b32_e32 v30, 0x7fc02000
	s_and_saveexec_b64 s[50:51], s[4:5]
	s_cbranch_execz .LBB277_33
; %bb.32:                               ;   in Loop: Header=BB277_14 Depth=1
	v_and_b32_e32 v30, 7, v12
	v_ffbh_u32_e32 v32, v30
	v_min_u32_e32 v35, 32, v32
	v_subrev_u32_e32 v32, 28, v35
	v_lshlrev_b64 v[32:33], v32, v[12:13]
	v_lshrrev_b32_e32 v34, 3, v31
	v_sub_u32_e32 v33, 29, v35
	v_cmp_gt_u32_e64 s[4:5], 8, v31
	v_and_b32_e32 v32, 7, v32
	v_cndmask_b32_e64 v31, v34, v33, s[4:5]
	v_cndmask_b32_e64 v30, v30, v32, s[4:5]
	v_lshlrev_b32_e32 v32, 8, v12
	v_lshl_add_u32 v31, v31, 10, v23
	v_and_or_b32 v31, v32, s62, v31
	v_lshl_or_b32 v30, v30, 7, v31
	v_cvt_f32_f16_e32 v30, v30
.LBB277_33:                             ;   in Loop: Header=BB277_14 Depth=1
	s_or_b64 exec, exec, s[50:51]
.LBB277_34:                             ;   in Loop: Header=BB277_14 Depth=1
	s_or_b64 exec, exec, s[48:49]
.LBB277_35:                             ;   in Loop: Header=BB277_14 Depth=1
	s_or_b64 exec, exec, s[46:47]
	v_lshrrev_b16_e32 v12, 8, v12
	v_cmp_ne_u16_e64 s[4:5], 0, v12
	s_and_saveexec_b64 s[46:47], s[4:5]
	s_cbranch_execz .LBB277_41
; %bb.36:                               ;   in Loop: Header=BB277_14 Depth=1
	v_cmp_ne_u16_e64 s[4:5], s60, v12
	v_bfrev_b32_e32 v29, 1
	s_and_saveexec_b64 s[48:49], s[4:5]
	s_cbranch_execz .LBB277_40
; %bb.37:                               ;   in Loop: Header=BB277_14 Depth=1
	v_and_b32_e32 v31, 0x7f, v12
	v_cmp_ne_u32_e64 s[4:5], s61, v31
	v_mov_b32_e32 v29, 0x7fc02000
	s_and_saveexec_b64 s[50:51], s[4:5]
	s_cbranch_execz .LBB277_39
; %bb.38:                               ;   in Loop: Header=BB277_14 Depth=1
	v_and_b32_e32 v29, 7, v12
	v_ffbh_u32_e32 v32, v29
	v_min_u32_e32 v35, 32, v32
	v_subrev_u32_e32 v32, 28, v35
	v_lshlrev_b64 v[32:33], v32, v[12:13]
	v_lshrrev_b32_e32 v34, 3, v31
	v_sub_u32_e32 v33, 29, v35
	v_cmp_gt_u32_e64 s[4:5], 8, v31
	v_cndmask_b32_e64 v31, v34, v33, s[4:5]
	v_and_b32_e32 v32, 7, v32
	v_lshlrev_b32_e32 v12, 8, v12
	v_lshl_add_u32 v31, v31, 10, v23
	v_cndmask_b32_e64 v29, v29, v32, s[4:5]
	v_and_or_b32 v12, v12, s62, v31
	v_lshl_or_b32 v12, v29, 7, v12
	v_cvt_f32_f16_e32 v29, v12
.LBB277_39:                             ;   in Loop: Header=BB277_14 Depth=1
	s_or_b64 exec, exec, s[50:51]
.LBB277_40:                             ;   in Loop: Header=BB277_14 Depth=1
	s_or_b64 exec, exec, s[48:49]
.LBB277_41:                             ;   in Loop: Header=BB277_14 Depth=1
	s_or_b64 exec, exec, s[46:47]
	global_load_ushort v32, v[10:11], off offset:256
	v_mov_b32_e32 v31, 0
	s_waitcnt vmcnt(0)
	v_and_b32_e32 v12, 0xffff, v32
	v_cmp_ne_u16_sdwa s[4:5], v32, v15 src0_sel:BYTE_0 src1_sel:DWORD
	v_mov_b32_e32 v32, 0
	s_and_saveexec_b64 s[46:47], s[4:5]
	s_cbranch_execz .LBB277_47
; %bb.42:                               ;   in Loop: Header=BB277_14 Depth=1
	v_cmp_ne_u16_sdwa s[4:5], v12, s60 src0_sel:BYTE_0 src1_sel:DWORD
	v_bfrev_b32_e32 v32, 1
	s_and_saveexec_b64 s[48:49], s[4:5]
	s_cbranch_execz .LBB277_46
; %bb.43:                               ;   in Loop: Header=BB277_14 Depth=1
	v_and_b32_e32 v33, 0x7f, v12
	v_cmp_ne_u32_e64 s[4:5], s61, v33
	v_mov_b32_e32 v32, 0x7fc02000
	s_and_saveexec_b64 s[50:51], s[4:5]
	s_cbranch_execz .LBB277_45
; %bb.44:                               ;   in Loop: Header=BB277_14 Depth=1
	v_and_b32_e32 v32, 7, v12
	v_ffbh_u32_e32 v34, v32
	v_min_u32_e32 v37, 32, v34
	v_subrev_u32_e32 v34, 28, v37
	v_lshlrev_b64 v[34:35], v34, v[12:13]
	v_lshrrev_b32_e32 v36, 3, v33
	v_sub_u32_e32 v35, 29, v37
	v_cmp_gt_u32_e64 s[4:5], 8, v33
	v_and_b32_e32 v34, 7, v34
	v_cndmask_b32_e64 v33, v36, v35, s[4:5]
	v_cndmask_b32_e64 v32, v32, v34, s[4:5]
	v_lshlrev_b32_e32 v34, 8, v12
	v_lshl_add_u32 v33, v33, 10, v23
	v_and_or_b32 v33, v34, s62, v33
	v_lshl_or_b32 v32, v32, 7, v33
	v_cvt_f32_f16_e32 v32, v32
.LBB277_45:                             ;   in Loop: Header=BB277_14 Depth=1
	s_or_b64 exec, exec, s[50:51]
.LBB277_46:                             ;   in Loop: Header=BB277_14 Depth=1
	s_or_b64 exec, exec, s[48:49]
.LBB277_47:                             ;   in Loop: Header=BB277_14 Depth=1
	s_or_b64 exec, exec, s[46:47]
	v_lshrrev_b16_e32 v12, 8, v12
	v_cmp_ne_u16_e64 s[4:5], 0, v12
	s_and_saveexec_b64 s[46:47], s[4:5]
	s_cbranch_execz .LBB277_53
; %bb.48:                               ;   in Loop: Header=BB277_14 Depth=1
	v_cmp_ne_u16_e64 s[4:5], s60, v12
	v_bfrev_b32_e32 v31, 1
	s_and_saveexec_b64 s[48:49], s[4:5]
	s_cbranch_execz .LBB277_52
; %bb.49:                               ;   in Loop: Header=BB277_14 Depth=1
	v_and_b32_e32 v33, 0x7f, v12
	v_cmp_ne_u32_e64 s[4:5], s61, v33
	v_mov_b32_e32 v31, 0x7fc02000
	s_and_saveexec_b64 s[50:51], s[4:5]
	s_cbranch_execz .LBB277_51
; %bb.50:                               ;   in Loop: Header=BB277_14 Depth=1
	v_and_b32_e32 v31, 7, v12
	v_ffbh_u32_e32 v34, v31
	v_min_u32_e32 v37, 32, v34
	v_subrev_u32_e32 v34, 28, v37
	v_lshlrev_b64 v[34:35], v34, v[12:13]
	v_lshrrev_b32_e32 v36, 3, v33
	v_sub_u32_e32 v35, 29, v37
	v_cmp_gt_u32_e64 s[4:5], 8, v33
	v_cndmask_b32_e64 v33, v36, v35, s[4:5]
	v_and_b32_e32 v34, 7, v34
	v_lshlrev_b32_e32 v12, 8, v12
	v_lshl_add_u32 v33, v33, 10, v23
	v_cndmask_b32_e64 v31, v31, v34, s[4:5]
	v_and_or_b32 v12, v12, s62, v33
	v_lshl_or_b32 v12, v31, 7, v12
	v_cvt_f32_f16_e32 v31, v12
.LBB277_51:                             ;   in Loop: Header=BB277_14 Depth=1
	s_or_b64 exec, exec, s[50:51]
.LBB277_52:                             ;   in Loop: Header=BB277_14 Depth=1
	s_or_b64 exec, exec, s[48:49]
.LBB277_53:                             ;   in Loop: Header=BB277_14 Depth=1
	s_or_b64 exec, exec, s[46:47]
	global_load_ushort v34, v[10:11], off offset:264
	v_mov_b32_e32 v33, 0
	s_waitcnt vmcnt(0)
	v_and_b32_e32 v12, 0xffff, v34
	v_cmp_ne_u16_sdwa s[4:5], v34, v15 src0_sel:BYTE_0 src1_sel:DWORD
	v_mov_b32_e32 v34, 0
	s_and_saveexec_b64 s[46:47], s[4:5]
	s_cbranch_execz .LBB277_59
; %bb.54:                               ;   in Loop: Header=BB277_14 Depth=1
	v_cmp_ne_u16_sdwa s[4:5], v12, s60 src0_sel:BYTE_0 src1_sel:DWORD
	v_bfrev_b32_e32 v34, 1
	s_and_saveexec_b64 s[48:49], s[4:5]
	s_cbranch_execz .LBB277_58
; %bb.55:                               ;   in Loop: Header=BB277_14 Depth=1
	v_and_b32_e32 v35, 0x7f, v12
	v_cmp_ne_u32_e64 s[4:5], s61, v35
	v_mov_b32_e32 v34, 0x7fc02000
	s_and_saveexec_b64 s[50:51], s[4:5]
	s_cbranch_execz .LBB277_57
; %bb.56:                               ;   in Loop: Header=BB277_14 Depth=1
	v_and_b32_e32 v34, 7, v12
	v_ffbh_u32_e32 v36, v34
	v_min_u32_e32 v39, 32, v36
	v_subrev_u32_e32 v36, 28, v39
	v_lshlrev_b64 v[36:37], v36, v[12:13]
	v_lshrrev_b32_e32 v38, 3, v35
	v_sub_u32_e32 v37, 29, v39
	v_cmp_gt_u32_e64 s[4:5], 8, v35
	v_and_b32_e32 v36, 7, v36
	v_cndmask_b32_e64 v35, v38, v37, s[4:5]
	v_cndmask_b32_e64 v34, v34, v36, s[4:5]
	v_lshlrev_b32_e32 v36, 8, v12
	v_lshl_add_u32 v35, v35, 10, v23
	v_and_or_b32 v35, v36, s62, v35
	v_lshl_or_b32 v34, v34, 7, v35
	v_cvt_f32_f16_e32 v34, v34
.LBB277_57:                             ;   in Loop: Header=BB277_14 Depth=1
	s_or_b64 exec, exec, s[50:51]
.LBB277_58:                             ;   in Loop: Header=BB277_14 Depth=1
	s_or_b64 exec, exec, s[48:49]
.LBB277_59:                             ;   in Loop: Header=BB277_14 Depth=1
	s_or_b64 exec, exec, s[46:47]
	v_lshrrev_b16_e32 v12, 8, v12
	v_cmp_ne_u16_e64 s[4:5], 0, v12
	s_and_saveexec_b64 s[46:47], s[4:5]
	s_cbranch_execz .LBB277_65
; %bb.60:                               ;   in Loop: Header=BB277_14 Depth=1
	v_cmp_ne_u16_e64 s[4:5], s60, v12
	v_bfrev_b32_e32 v33, 1
	s_and_saveexec_b64 s[48:49], s[4:5]
	s_cbranch_execz .LBB277_64
; %bb.61:                               ;   in Loop: Header=BB277_14 Depth=1
	v_and_b32_e32 v35, 0x7f, v12
	v_cmp_ne_u32_e64 s[4:5], s61, v35
	v_mov_b32_e32 v33, 0x7fc02000
	s_and_saveexec_b64 s[50:51], s[4:5]
	s_cbranch_execz .LBB277_63
; %bb.62:                               ;   in Loop: Header=BB277_14 Depth=1
	v_and_b32_e32 v33, 7, v12
	v_ffbh_u32_e32 v36, v33
	v_min_u32_e32 v39, 32, v36
	v_subrev_u32_e32 v36, 28, v39
	v_lshlrev_b64 v[36:37], v36, v[12:13]
	v_lshrrev_b32_e32 v38, 3, v35
	v_sub_u32_e32 v37, 29, v39
	v_cmp_gt_u32_e64 s[4:5], 8, v35
	v_cndmask_b32_e64 v35, v38, v37, s[4:5]
	v_and_b32_e32 v36, 7, v36
	v_lshlrev_b32_e32 v12, 8, v12
	v_lshl_add_u32 v35, v35, 10, v23
	v_cndmask_b32_e64 v33, v33, v36, s[4:5]
	v_and_or_b32 v12, v12, s62, v35
	v_lshl_or_b32 v12, v33, 7, v12
	v_cvt_f32_f16_e32 v33, v12
.LBB277_63:                             ;   in Loop: Header=BB277_14 Depth=1
	s_or_b64 exec, exec, s[50:51]
.LBB277_64:                             ;   in Loop: Header=BB277_14 Depth=1
	s_or_b64 exec, exec, s[48:49]
.LBB277_65:                             ;   in Loop: Header=BB277_14 Depth=1
	s_or_b64 exec, exec, s[46:47]
	global_load_ushort v36, v[10:11], off offset:512
	v_mov_b32_e32 v35, 0
	s_waitcnt vmcnt(0)
	v_and_b32_e32 v12, 0xffff, v36
	v_cmp_ne_u16_sdwa s[4:5], v36, v15 src0_sel:BYTE_0 src1_sel:DWORD
	v_mov_b32_e32 v36, 0
	s_and_saveexec_b64 s[46:47], s[4:5]
	s_cbranch_execz .LBB277_71
; %bb.66:                               ;   in Loop: Header=BB277_14 Depth=1
	v_cmp_ne_u16_sdwa s[4:5], v12, s60 src0_sel:BYTE_0 src1_sel:DWORD
	v_bfrev_b32_e32 v36, 1
	s_and_saveexec_b64 s[48:49], s[4:5]
	s_cbranch_execz .LBB277_70
; %bb.67:                               ;   in Loop: Header=BB277_14 Depth=1
	v_and_b32_e32 v37, 0x7f, v12
	v_cmp_ne_u32_e64 s[4:5], s61, v37
	v_mov_b32_e32 v36, 0x7fc02000
	s_and_saveexec_b64 s[50:51], s[4:5]
	s_cbranch_execz .LBB277_69
; %bb.68:                               ;   in Loop: Header=BB277_14 Depth=1
	v_and_b32_e32 v36, 7, v12
	v_ffbh_u32_e32 v38, v36
	v_min_u32_e32 v41, 32, v38
	v_subrev_u32_e32 v38, 28, v41
	v_lshlrev_b64 v[38:39], v38, v[12:13]
	v_lshrrev_b32_e32 v40, 3, v37
	v_sub_u32_e32 v39, 29, v41
	v_cmp_gt_u32_e64 s[4:5], 8, v37
	v_and_b32_e32 v38, 7, v38
	v_cndmask_b32_e64 v37, v40, v39, s[4:5]
	v_cndmask_b32_e64 v36, v36, v38, s[4:5]
	v_lshlrev_b32_e32 v38, 8, v12
	v_lshl_add_u32 v37, v37, 10, v23
	v_and_or_b32 v37, v38, s62, v37
	v_lshl_or_b32 v36, v36, 7, v37
	v_cvt_f32_f16_e32 v36, v36
.LBB277_69:                             ;   in Loop: Header=BB277_14 Depth=1
	s_or_b64 exec, exec, s[50:51]
.LBB277_70:                             ;   in Loop: Header=BB277_14 Depth=1
	s_or_b64 exec, exec, s[48:49]
.LBB277_71:                             ;   in Loop: Header=BB277_14 Depth=1
	s_or_b64 exec, exec, s[46:47]
	v_lshrrev_b16_e32 v12, 8, v12
	v_cmp_ne_u16_e64 s[4:5], 0, v12
	s_and_saveexec_b64 s[46:47], s[4:5]
	s_cbranch_execz .LBB277_77
; %bb.72:                               ;   in Loop: Header=BB277_14 Depth=1
	v_cmp_ne_u16_e64 s[4:5], s60, v12
	v_bfrev_b32_e32 v35, 1
	s_and_saveexec_b64 s[48:49], s[4:5]
	s_cbranch_execz .LBB277_76
; %bb.73:                               ;   in Loop: Header=BB277_14 Depth=1
	v_and_b32_e32 v37, 0x7f, v12
	v_cmp_ne_u32_e64 s[4:5], s61, v37
	v_mov_b32_e32 v35, 0x7fc02000
	s_and_saveexec_b64 s[50:51], s[4:5]
	s_cbranch_execz .LBB277_75
; %bb.74:                               ;   in Loop: Header=BB277_14 Depth=1
	v_and_b32_e32 v35, 7, v12
	v_ffbh_u32_e32 v38, v35
	v_min_u32_e32 v41, 32, v38
	v_subrev_u32_e32 v38, 28, v41
	v_lshlrev_b64 v[38:39], v38, v[12:13]
	v_lshrrev_b32_e32 v40, 3, v37
	v_sub_u32_e32 v39, 29, v41
	v_cmp_gt_u32_e64 s[4:5], 8, v37
	v_cndmask_b32_e64 v37, v40, v39, s[4:5]
	v_and_b32_e32 v38, 7, v38
	v_lshlrev_b32_e32 v12, 8, v12
	v_lshl_add_u32 v37, v37, 10, v23
	v_cndmask_b32_e64 v35, v35, v38, s[4:5]
	v_and_or_b32 v12, v12, s62, v37
	v_lshl_or_b32 v12, v35, 7, v12
	v_cvt_f32_f16_e32 v35, v12
.LBB277_75:                             ;   in Loop: Header=BB277_14 Depth=1
	s_or_b64 exec, exec, s[50:51]
.LBB277_76:                             ;   in Loop: Header=BB277_14 Depth=1
	s_or_b64 exec, exec, s[48:49]
.LBB277_77:                             ;   in Loop: Header=BB277_14 Depth=1
	s_or_b64 exec, exec, s[46:47]
	global_load_ushort v38, v[10:11], off offset:520
	v_mov_b32_e32 v37, 0
	s_waitcnt vmcnt(0)
	v_and_b32_e32 v12, 0xffff, v38
	v_cmp_ne_u16_sdwa s[4:5], v38, v15 src0_sel:BYTE_0 src1_sel:DWORD
	v_mov_b32_e32 v38, 0
	s_and_saveexec_b64 s[46:47], s[4:5]
	s_cbranch_execz .LBB277_83
; %bb.78:                               ;   in Loop: Header=BB277_14 Depth=1
	v_cmp_ne_u16_sdwa s[4:5], v12, s60 src0_sel:BYTE_0 src1_sel:DWORD
	v_bfrev_b32_e32 v38, 1
	s_and_saveexec_b64 s[48:49], s[4:5]
	s_cbranch_execz .LBB277_82
; %bb.79:                               ;   in Loop: Header=BB277_14 Depth=1
	v_and_b32_e32 v39, 0x7f, v12
	v_cmp_ne_u32_e64 s[4:5], s61, v39
	v_mov_b32_e32 v38, 0x7fc02000
	s_and_saveexec_b64 s[50:51], s[4:5]
	s_cbranch_execz .LBB277_81
; %bb.80:                               ;   in Loop: Header=BB277_14 Depth=1
	v_and_b32_e32 v38, 7, v12
	v_ffbh_u32_e32 v40, v38
	v_min_u32_e32 v43, 32, v40
	v_subrev_u32_e32 v40, 28, v43
	v_lshlrev_b64 v[40:41], v40, v[12:13]
	v_lshrrev_b32_e32 v42, 3, v39
	v_sub_u32_e32 v41, 29, v43
	v_cmp_gt_u32_e64 s[4:5], 8, v39
	v_and_b32_e32 v40, 7, v40
	v_cndmask_b32_e64 v39, v42, v41, s[4:5]
	v_cndmask_b32_e64 v38, v38, v40, s[4:5]
	v_lshlrev_b32_e32 v40, 8, v12
	v_lshl_add_u32 v39, v39, 10, v23
	v_and_or_b32 v39, v40, s62, v39
	v_lshl_or_b32 v38, v38, 7, v39
	v_cvt_f32_f16_e32 v38, v38
.LBB277_81:                             ;   in Loop: Header=BB277_14 Depth=1
	s_or_b64 exec, exec, s[50:51]
.LBB277_82:                             ;   in Loop: Header=BB277_14 Depth=1
	s_or_b64 exec, exec, s[48:49]
.LBB277_83:                             ;   in Loop: Header=BB277_14 Depth=1
	s_or_b64 exec, exec, s[46:47]
	v_lshrrev_b16_e32 v12, 8, v12
	v_cmp_ne_u16_e64 s[4:5], 0, v12
	s_and_saveexec_b64 s[46:47], s[4:5]
	s_cbranch_execz .LBB277_89
; %bb.84:                               ;   in Loop: Header=BB277_14 Depth=1
	v_cmp_ne_u16_e64 s[4:5], s60, v12
	v_bfrev_b32_e32 v37, 1
	s_and_saveexec_b64 s[48:49], s[4:5]
	s_cbranch_execz .LBB277_88
; %bb.85:                               ;   in Loop: Header=BB277_14 Depth=1
	v_and_b32_e32 v39, 0x7f, v12
	v_cmp_ne_u32_e64 s[4:5], s61, v39
	v_mov_b32_e32 v37, 0x7fc02000
	s_and_saveexec_b64 s[50:51], s[4:5]
	s_cbranch_execz .LBB277_87
; %bb.86:                               ;   in Loop: Header=BB277_14 Depth=1
	v_and_b32_e32 v37, 7, v12
	v_ffbh_u32_e32 v40, v37
	v_min_u32_e32 v43, 32, v40
	v_subrev_u32_e32 v40, 28, v43
	v_lshlrev_b64 v[40:41], v40, v[12:13]
	v_lshrrev_b32_e32 v42, 3, v39
	v_sub_u32_e32 v41, 29, v43
	v_cmp_gt_u32_e64 s[4:5], 8, v39
	v_cndmask_b32_e64 v39, v42, v41, s[4:5]
	v_and_b32_e32 v40, 7, v40
	v_lshlrev_b32_e32 v12, 8, v12
	v_lshl_add_u32 v39, v39, 10, v23
	v_cndmask_b32_e64 v37, v37, v40, s[4:5]
	v_and_or_b32 v12, v12, s62, v39
	v_lshl_or_b32 v12, v37, 7, v12
	v_cvt_f32_f16_e32 v37, v12
.LBB277_87:                             ;   in Loop: Header=BB277_14 Depth=1
	s_or_b64 exec, exec, s[50:51]
.LBB277_88:                             ;   in Loop: Header=BB277_14 Depth=1
	s_or_b64 exec, exec, s[48:49]
.LBB277_89:                             ;   in Loop: Header=BB277_14 Depth=1
	s_or_b64 exec, exec, s[46:47]
	global_load_ushort v40, v[10:11], off offset:768
	v_mov_b32_e32 v39, 0
	s_waitcnt vmcnt(0)
	v_and_b32_e32 v12, 0xffff, v40
	v_cmp_ne_u16_sdwa s[4:5], v40, v15 src0_sel:BYTE_0 src1_sel:DWORD
	v_mov_b32_e32 v40, 0
	s_and_saveexec_b64 s[46:47], s[4:5]
	s_cbranch_execz .LBB277_95
; %bb.90:                               ;   in Loop: Header=BB277_14 Depth=1
	v_cmp_ne_u16_sdwa s[4:5], v12, s60 src0_sel:BYTE_0 src1_sel:DWORD
	v_bfrev_b32_e32 v40, 1
	s_and_saveexec_b64 s[48:49], s[4:5]
	s_cbranch_execz .LBB277_94
; %bb.91:                               ;   in Loop: Header=BB277_14 Depth=1
	v_and_b32_e32 v41, 0x7f, v12
	v_cmp_ne_u32_e64 s[4:5], s61, v41
	v_mov_b32_e32 v40, 0x7fc02000
	s_and_saveexec_b64 s[50:51], s[4:5]
	s_cbranch_execz .LBB277_93
; %bb.92:                               ;   in Loop: Header=BB277_14 Depth=1
	v_and_b32_e32 v40, 7, v12
	v_ffbh_u32_e32 v42, v40
	v_min_u32_e32 v45, 32, v42
	v_subrev_u32_e32 v42, 28, v45
	v_lshlrev_b64 v[42:43], v42, v[12:13]
	v_lshrrev_b32_e32 v44, 3, v41
	v_sub_u32_e32 v43, 29, v45
	v_cmp_gt_u32_e64 s[4:5], 8, v41
	v_and_b32_e32 v42, 7, v42
	v_cndmask_b32_e64 v41, v44, v43, s[4:5]
	v_cndmask_b32_e64 v40, v40, v42, s[4:5]
	v_lshlrev_b32_e32 v42, 8, v12
	v_lshl_add_u32 v41, v41, 10, v23
	v_and_or_b32 v41, v42, s62, v41
	v_lshl_or_b32 v40, v40, 7, v41
	v_cvt_f32_f16_e32 v40, v40
.LBB277_93:                             ;   in Loop: Header=BB277_14 Depth=1
	s_or_b64 exec, exec, s[50:51]
.LBB277_94:                             ;   in Loop: Header=BB277_14 Depth=1
	s_or_b64 exec, exec, s[48:49]
.LBB277_95:                             ;   in Loop: Header=BB277_14 Depth=1
	s_or_b64 exec, exec, s[46:47]
	v_lshrrev_b16_e32 v12, 8, v12
	v_cmp_ne_u16_e64 s[4:5], 0, v12
	s_and_saveexec_b64 s[46:47], s[4:5]
	s_cbranch_execz .LBB277_101
; %bb.96:                               ;   in Loop: Header=BB277_14 Depth=1
	v_cmp_ne_u16_e64 s[4:5], s60, v12
	v_bfrev_b32_e32 v39, 1
	s_and_saveexec_b64 s[48:49], s[4:5]
	s_cbranch_execz .LBB277_100
; %bb.97:                               ;   in Loop: Header=BB277_14 Depth=1
	v_and_b32_e32 v41, 0x7f, v12
	v_cmp_ne_u32_e64 s[4:5], s61, v41
	v_mov_b32_e32 v39, 0x7fc02000
	s_and_saveexec_b64 s[50:51], s[4:5]
	s_cbranch_execz .LBB277_99
; %bb.98:                               ;   in Loop: Header=BB277_14 Depth=1
	v_and_b32_e32 v39, 7, v12
	v_ffbh_u32_e32 v42, v39
	v_min_u32_e32 v45, 32, v42
	v_subrev_u32_e32 v42, 28, v45
	v_lshlrev_b64 v[42:43], v42, v[12:13]
	v_lshrrev_b32_e32 v44, 3, v41
	v_sub_u32_e32 v43, 29, v45
	v_cmp_gt_u32_e64 s[4:5], 8, v41
	v_cndmask_b32_e64 v41, v44, v43, s[4:5]
	v_and_b32_e32 v42, 7, v42
	v_lshlrev_b32_e32 v12, 8, v12
	v_lshl_add_u32 v41, v41, 10, v23
	v_cndmask_b32_e64 v39, v39, v42, s[4:5]
	v_and_or_b32 v12, v12, s62, v41
	v_lshl_or_b32 v12, v39, 7, v12
	v_cvt_f32_f16_e32 v39, v12
.LBB277_99:                             ;   in Loop: Header=BB277_14 Depth=1
	s_or_b64 exec, exec, s[50:51]
.LBB277_100:                            ;   in Loop: Header=BB277_14 Depth=1
	s_or_b64 exec, exec, s[48:49]
.LBB277_101:                            ;   in Loop: Header=BB277_14 Depth=1
	s_or_b64 exec, exec, s[46:47]
	global_load_ushort v42, v[10:11], off offset:776
	v_mov_b32_e32 v41, 0
	s_waitcnt vmcnt(0)
	v_and_b32_e32 v12, 0xffff, v42
	v_cmp_ne_u16_sdwa s[4:5], v42, v15 src0_sel:BYTE_0 src1_sel:DWORD
	v_mov_b32_e32 v42, 0
	s_and_saveexec_b64 s[46:47], s[4:5]
	s_cbranch_execz .LBB277_107
; %bb.102:                              ;   in Loop: Header=BB277_14 Depth=1
	v_cmp_ne_u16_sdwa s[4:5], v12, s60 src0_sel:BYTE_0 src1_sel:DWORD
	v_bfrev_b32_e32 v42, 1
	s_and_saveexec_b64 s[48:49], s[4:5]
	s_cbranch_execz .LBB277_106
; %bb.103:                              ;   in Loop: Header=BB277_14 Depth=1
	v_and_b32_e32 v43, 0x7f, v12
	v_cmp_ne_u32_e64 s[4:5], s61, v43
	v_mov_b32_e32 v42, 0x7fc02000
	s_and_saveexec_b64 s[50:51], s[4:5]
	s_cbranch_execz .LBB277_105
; %bb.104:                              ;   in Loop: Header=BB277_14 Depth=1
	v_and_b32_e32 v42, 7, v12
	v_ffbh_u32_e32 v44, v42
	v_min_u32_e32 v47, 32, v44
	v_subrev_u32_e32 v44, 28, v47
	v_lshlrev_b64 v[44:45], v44, v[12:13]
	v_lshrrev_b32_e32 v46, 3, v43
	v_sub_u32_e32 v45, 29, v47
	v_cmp_gt_u32_e64 s[4:5], 8, v43
	v_and_b32_e32 v44, 7, v44
	v_cndmask_b32_e64 v43, v46, v45, s[4:5]
	v_cndmask_b32_e64 v42, v42, v44, s[4:5]
	v_lshlrev_b32_e32 v44, 8, v12
	v_lshl_add_u32 v43, v43, 10, v23
	v_and_or_b32 v43, v44, s62, v43
	v_lshl_or_b32 v42, v42, 7, v43
	v_cvt_f32_f16_e32 v42, v42
.LBB277_105:                            ;   in Loop: Header=BB277_14 Depth=1
	s_or_b64 exec, exec, s[50:51]
.LBB277_106:                            ;   in Loop: Header=BB277_14 Depth=1
	s_or_b64 exec, exec, s[48:49]
.LBB277_107:                            ;   in Loop: Header=BB277_14 Depth=1
	s_or_b64 exec, exec, s[46:47]
	v_lshrrev_b16_e32 v12, 8, v12
	v_cmp_ne_u16_e64 s[4:5], 0, v12
	s_and_saveexec_b64 s[46:47], s[4:5]
	s_cbranch_execz .LBB277_113
; %bb.108:                              ;   in Loop: Header=BB277_14 Depth=1
	v_cmp_ne_u16_e64 s[4:5], s60, v12
	v_bfrev_b32_e32 v41, 1
	s_and_saveexec_b64 s[48:49], s[4:5]
	s_cbranch_execz .LBB277_112
; %bb.109:                              ;   in Loop: Header=BB277_14 Depth=1
	v_and_b32_e32 v43, 0x7f, v12
	v_cmp_ne_u32_e64 s[4:5], s61, v43
	v_mov_b32_e32 v41, 0x7fc02000
	s_and_saveexec_b64 s[50:51], s[4:5]
	s_cbranch_execz .LBB277_111
; %bb.110:                              ;   in Loop: Header=BB277_14 Depth=1
	v_and_b32_e32 v41, 7, v12
	v_ffbh_u32_e32 v44, v41
	v_min_u32_e32 v47, 32, v44
	v_subrev_u32_e32 v44, 28, v47
	v_lshlrev_b64 v[44:45], v44, v[12:13]
	v_lshrrev_b32_e32 v46, 3, v43
	v_sub_u32_e32 v45, 29, v47
	v_cmp_gt_u32_e64 s[4:5], 8, v43
	v_cndmask_b32_e64 v43, v46, v45, s[4:5]
	v_and_b32_e32 v44, 7, v44
	v_lshlrev_b32_e32 v12, 8, v12
	v_lshl_add_u32 v43, v43, 10, v23
	v_cndmask_b32_e64 v41, v41, v44, s[4:5]
	v_and_or_b32 v12, v12, s62, v43
	v_lshl_or_b32 v12, v41, 7, v12
	v_cvt_f32_f16_e32 v41, v12
.LBB277_111:                            ;   in Loop: Header=BB277_14 Depth=1
	s_or_b64 exec, exec, s[50:51]
.LBB277_112:                            ;   in Loop: Header=BB277_14 Depth=1
	s_or_b64 exec, exec, s[48:49]
.LBB277_113:                            ;   in Loop: Header=BB277_14 Depth=1
	s_or_b64 exec, exec, s[46:47]
	global_load_ushort v44, v[10:11], off offset:1024
	v_mov_b32_e32 v43, 0
	s_waitcnt vmcnt(0)
	v_and_b32_e32 v12, 0xffff, v44
	v_cmp_ne_u16_sdwa s[4:5], v44, v15 src0_sel:BYTE_0 src1_sel:DWORD
	v_mov_b32_e32 v44, 0
	s_and_saveexec_b64 s[46:47], s[4:5]
	s_cbranch_execz .LBB277_119
; %bb.114:                              ;   in Loop: Header=BB277_14 Depth=1
	v_cmp_ne_u16_sdwa s[4:5], v12, s60 src0_sel:BYTE_0 src1_sel:DWORD
	v_bfrev_b32_e32 v44, 1
	s_and_saveexec_b64 s[48:49], s[4:5]
	s_cbranch_execz .LBB277_118
; %bb.115:                              ;   in Loop: Header=BB277_14 Depth=1
	v_and_b32_e32 v45, 0x7f, v12
	v_cmp_ne_u32_e64 s[4:5], s61, v45
	v_mov_b32_e32 v44, 0x7fc02000
	s_and_saveexec_b64 s[50:51], s[4:5]
	s_cbranch_execz .LBB277_117
; %bb.116:                              ;   in Loop: Header=BB277_14 Depth=1
	v_and_b32_e32 v44, 7, v12
	v_ffbh_u32_e32 v46, v44
	v_min_u32_e32 v49, 32, v46
	v_subrev_u32_e32 v46, 28, v49
	v_lshlrev_b64 v[46:47], v46, v[12:13]
	v_lshrrev_b32_e32 v48, 3, v45
	v_sub_u32_e32 v47, 29, v49
	v_cmp_gt_u32_e64 s[4:5], 8, v45
	v_and_b32_e32 v46, 7, v46
	v_cndmask_b32_e64 v45, v48, v47, s[4:5]
	v_cndmask_b32_e64 v44, v44, v46, s[4:5]
	v_lshlrev_b32_e32 v46, 8, v12
	v_lshl_add_u32 v45, v45, 10, v23
	v_and_or_b32 v45, v46, s62, v45
	v_lshl_or_b32 v44, v44, 7, v45
	v_cvt_f32_f16_e32 v44, v44
.LBB277_117:                            ;   in Loop: Header=BB277_14 Depth=1
	s_or_b64 exec, exec, s[50:51]
.LBB277_118:                            ;   in Loop: Header=BB277_14 Depth=1
	s_or_b64 exec, exec, s[48:49]
.LBB277_119:                            ;   in Loop: Header=BB277_14 Depth=1
	s_or_b64 exec, exec, s[46:47]
	v_lshrrev_b16_e32 v12, 8, v12
	v_cmp_ne_u16_e64 s[4:5], 0, v12
	s_and_saveexec_b64 s[46:47], s[4:5]
	s_cbranch_execz .LBB277_125
; %bb.120:                              ;   in Loop: Header=BB277_14 Depth=1
	v_cmp_ne_u16_e64 s[4:5], s60, v12
	v_bfrev_b32_e32 v43, 1
	s_and_saveexec_b64 s[48:49], s[4:5]
	s_cbranch_execz .LBB277_124
; %bb.121:                              ;   in Loop: Header=BB277_14 Depth=1
	v_and_b32_e32 v45, 0x7f, v12
	v_cmp_ne_u32_e64 s[4:5], s61, v45
	v_mov_b32_e32 v43, 0x7fc02000
	s_and_saveexec_b64 s[50:51], s[4:5]
	s_cbranch_execz .LBB277_123
; %bb.122:                              ;   in Loop: Header=BB277_14 Depth=1
	v_and_b32_e32 v43, 7, v12
	v_ffbh_u32_e32 v46, v43
	v_min_u32_e32 v49, 32, v46
	v_subrev_u32_e32 v46, 28, v49
	v_lshlrev_b64 v[46:47], v46, v[12:13]
	v_lshrrev_b32_e32 v48, 3, v45
	v_sub_u32_e32 v47, 29, v49
	v_cmp_gt_u32_e64 s[4:5], 8, v45
	v_cndmask_b32_e64 v45, v48, v47, s[4:5]
	v_and_b32_e32 v46, 7, v46
	v_lshlrev_b32_e32 v12, 8, v12
	v_lshl_add_u32 v45, v45, 10, v23
	v_cndmask_b32_e64 v43, v43, v46, s[4:5]
	v_and_or_b32 v12, v12, s62, v45
	v_lshl_or_b32 v12, v43, 7, v12
	v_cvt_f32_f16_e32 v43, v12
.LBB277_123:                            ;   in Loop: Header=BB277_14 Depth=1
	s_or_b64 exec, exec, s[50:51]
.LBB277_124:                            ;   in Loop: Header=BB277_14 Depth=1
	s_or_b64 exec, exec, s[48:49]
.LBB277_125:                            ;   in Loop: Header=BB277_14 Depth=1
	s_or_b64 exec, exec, s[46:47]
	global_load_ushort v12, v[10:11], off offset:1032
	v_mov_b32_e32 v11, 0
	s_waitcnt vmcnt(0)
	v_and_b32_e32 v10, 0xffff, v12
	v_cmp_ne_u16_sdwa s[4:5], v12, v15 src0_sel:BYTE_0 src1_sel:DWORD
	v_mov_b32_e32 v12, 0
	s_and_saveexec_b64 s[46:47], s[4:5]
	s_cbranch_execz .LBB277_131
; %bb.126:                              ;   in Loop: Header=BB277_14 Depth=1
	v_cmp_ne_u16_sdwa s[4:5], v10, s60 src0_sel:BYTE_0 src1_sel:DWORD
	v_bfrev_b32_e32 v12, 1
	s_and_saveexec_b64 s[48:49], s[4:5]
	s_cbranch_execz .LBB277_130
; %bb.127:                              ;   in Loop: Header=BB277_14 Depth=1
	v_and_b32_e32 v45, 0x7f, v10
	v_cmp_ne_u32_e64 s[4:5], s61, v45
	v_mov_b32_e32 v12, 0x7fc02000
	s_and_saveexec_b64 s[50:51], s[4:5]
	s_cbranch_execz .LBB277_129
; %bb.128:                              ;   in Loop: Header=BB277_14 Depth=1
	v_and_b32_e32 v12, 7, v10
	v_ffbh_u32_e32 v46, v12
	v_min_u32_e32 v49, 32, v46
	v_subrev_u32_e32 v46, 28, v49
	v_lshlrev_b64 v[46:47], v46, v[10:11]
	v_lshrrev_b32_e32 v48, 3, v45
	v_sub_u32_e32 v47, 29, v49
	v_cmp_gt_u32_e64 s[4:5], 8, v45
	v_and_b32_e32 v46, 7, v46
	v_cndmask_b32_e64 v45, v48, v47, s[4:5]
	v_cndmask_b32_e64 v12, v12, v46, s[4:5]
	v_lshlrev_b32_e32 v46, 8, v10
	v_lshl_add_u32 v45, v45, 10, v23
	v_and_or_b32 v45, v46, s62, v45
	v_lshl_or_b32 v12, v12, 7, v45
	v_cvt_f32_f16_e32 v12, v12
.LBB277_129:                            ;   in Loop: Header=BB277_14 Depth=1
	s_or_b64 exec, exec, s[50:51]
.LBB277_130:                            ;   in Loop: Header=BB277_14 Depth=1
	s_or_b64 exec, exec, s[48:49]
.LBB277_131:                            ;   in Loop: Header=BB277_14 Depth=1
	s_or_b64 exec, exec, s[46:47]
	v_lshrrev_b16_e32 v10, 8, v10
	v_cmp_ne_u16_e64 s[4:5], 0, v10
	s_and_saveexec_b64 s[46:47], s[4:5]
	s_cbranch_execz .LBB277_137
; %bb.132:                              ;   in Loop: Header=BB277_14 Depth=1
	v_cmp_ne_u16_e64 s[4:5], s60, v10
	v_bfrev_b32_e32 v11, 1
	s_and_saveexec_b64 s[48:49], s[4:5]
	s_cbranch_execz .LBB277_136
; %bb.133:                              ;   in Loop: Header=BB277_14 Depth=1
	v_and_b32_e32 v45, 0x7f, v10
	v_cmp_ne_u32_e64 s[4:5], s61, v45
	v_mov_b32_e32 v11, 0x7fc02000
	s_and_saveexec_b64 s[50:51], s[4:5]
	s_cbranch_execz .LBB277_135
; %bb.134:                              ;   in Loop: Header=BB277_14 Depth=1
	v_and_b32_e32 v11, 7, v10
	v_ffbh_u32_e32 v46, v11
	v_min_u32_e32 v49, 32, v46
	v_subrev_u32_e32 v46, 28, v49
	v_lshlrev_b64 v[46:47], v46, v[10:11]
	v_lshrrev_b32_e32 v48, 3, v45
	v_sub_u32_e32 v47, 29, v49
	v_cmp_gt_u32_e64 s[4:5], 8, v45
	v_cndmask_b32_e64 v45, v48, v47, s[4:5]
	v_and_b32_e32 v46, 7, v46
	v_lshlrev_b32_e32 v10, 8, v10
	v_lshl_add_u32 v45, v45, 10, v23
	v_cndmask_b32_e64 v11, v11, v46, s[4:5]
	v_and_or_b32 v10, v10, s62, v45
	v_lshl_or_b32 v10, v11, 7, v10
	v_cvt_f32_f16_e32 v11, v10
.LBB277_135:                            ;   in Loop: Header=BB277_14 Depth=1
	s_or_b64 exec, exec, s[50:51]
.LBB277_136:                            ;   in Loop: Header=BB277_14 Depth=1
	s_or_b64 exec, exec, s[48:49]
.LBB277_137:                            ;   in Loop: Header=BB277_14 Depth=1
	s_or_b64 exec, exec, s[46:47]
	ds_read_b32 v10, v16
	v_fma_mixlo_f16 v28, v26, v28, 0
	v_fma_mixlo_f16 v27, v26, v27, 0
	v_and_b32_e32 v28, 0xffff, v28
	v_and_b32_e32 v27, 0xffff, v27
	s_waitcnt lgkmcnt(0)
	v_lshrrev_b32_e32 v45, 16, v10
	v_and_b32_e32 v10, 0xffff, v10
	;;#ASMSTART
	v_cvt_f32_f16 v10, v10;
	;;#ASMEND
	;;#ASMSTART
	v_cvt_f32_f16 v45, v45;
	;;#ASMEND
	;;#ASMSTART
	v_cvt_f32_f16 v28, v28;
	;;#ASMEND
	;;#ASMSTART
	v_cvt_f32_f16 v27, v27;
	;;#ASMEND
	ds_read_b32 v46, v16 offset:4
	v_fma_mixlo_f16 v30, v26, v30, 0
	v_fma_mixlo_f16 v29, v26, v29, 0
	v_and_b32_e32 v30, 0xffff, v30
	v_and_b32_e32 v29, 0xffff, v29
	s_waitcnt lgkmcnt(0)
	v_lshrrev_b32_e32 v47, 16, v46
	v_and_b32_e32 v46, 0xffff, v46
	;;#ASMSTART
	v_cvt_f32_f16 v46, v46;
	;;#ASMEND
	;;#ASMSTART
	v_cvt_f32_f16 v47, v47;
	;;#ASMEND
	;;#ASMSTART
	v_cvt_f32_f16 v30, v30;
	;;#ASMEND
	;;#ASMSTART
	v_cvt_f32_f16 v29, v29;
	;;#ASMEND
	ds_read_b32 v48, v16 offset:8
	v_fma_mixlo_f16 v32, v26, v32, 0
	v_fma_mixlo_f16 v31, v26, v31, 0
	v_and_b32_e32 v32, 0xffff, v32
	v_and_b32_e32 v31, 0xffff, v31
	s_waitcnt lgkmcnt(0)
	v_lshrrev_b32_e32 v49, 16, v48
	v_and_b32_e32 v48, 0xffff, v48
	;;#ASMSTART
	v_cvt_f32_f16 v48, v48;
	;;#ASMEND
	;;#ASMSTART
	v_cvt_f32_f16 v49, v49;
	;;#ASMEND
	;;#ASMSTART
	v_cvt_f32_f16 v32, v32;
	;;#ASMEND
	;;#ASMSTART
	v_cvt_f32_f16 v31, v31;
	;;#ASMEND
	ds_read_b32 v50, v16 offset:12
	v_fma_mixlo_f16 v34, v26, v34, 0
	v_fma_mixlo_f16 v33, v26, v33, 0
	v_and_b32_e32 v34, 0xffff, v34
	v_and_b32_e32 v33, 0xffff, v33
	s_waitcnt lgkmcnt(0)
	v_lshrrev_b32_e32 v51, 16, v50
	v_and_b32_e32 v50, 0xffff, v50
	;;#ASMSTART
	v_cvt_f32_f16 v50, v50;
	;;#ASMEND
	;;#ASMSTART
	v_cvt_f32_f16 v51, v51;
	;;#ASMEND
	;;#ASMSTART
	v_cvt_f32_f16 v34, v34;
	;;#ASMEND
	;;#ASMSTART
	v_cvt_f32_f16 v33, v33;
	;;#ASMEND
	ds_read_b32 v52, v16 offset:16
	v_fma_mixlo_f16 v36, v26, v36, 0
	v_fma_mixlo_f16 v35, v26, v35, 0
	v_and_b32_e32 v36, 0xffff, v36
	v_and_b32_e32 v35, 0xffff, v35
	s_waitcnt lgkmcnt(0)
	v_lshrrev_b32_e32 v53, 16, v52
	v_and_b32_e32 v52, 0xffff, v52
	;;#ASMSTART
	v_cvt_f32_f16 v52, v52;
	;;#ASMEND
	;;#ASMSTART
	v_cvt_f32_f16 v53, v53;
	;;#ASMEND
	;;#ASMSTART
	v_cvt_f32_f16 v36, v36;
	;;#ASMEND
	;;#ASMSTART
	v_cvt_f32_f16 v35, v35;
	;;#ASMEND
	ds_read_b32 v54, v16 offset:20
	v_fma_mixlo_f16 v44, v26, v44, 0
	v_fma_mixlo_f16 v43, v26, v43, 0
	;; [unrolled: 1-line block ×10, first 2 shown]
	v_mul_f32_e32 v26, v46, v30
	v_fmac_f32_e32 v26, v10, v28
	s_waitcnt lgkmcnt(0)
	v_lshrrev_b32_e32 v10, 16, v54
	v_and_b32_e32 v28, 0xffff, v54
	v_and_b32_e32 v30, 0xffff, v38
	;; [unrolled: 1-line block ×3, first 2 shown]
	;;#ASMSTART
	v_cvt_f32_f16 v28, v28;
	;;#ASMEND
	;;#ASMSTART
	v_cvt_f32_f16 v10, v10;
	;;#ASMEND
	;; [unrolled: 3-line block ×4, first 2 shown]
	ds_read_b32 v38, v16 offset:24
	v_mul_f32_e32 v29, v47, v29
	v_fmac_f32_e32 v29, v45, v27
	v_fmac_f32_e32 v26, v48, v32
	;; [unrolled: 1-line block ×3, first 2 shown]
	s_waitcnt lgkmcnt(0)
	v_lshrrev_b32_e32 v27, 16, v38
	v_and_b32_e32 v31, 0xffff, v38
	v_and_b32_e32 v32, 0xffff, v40
	;; [unrolled: 1-line block ×3, first 2 shown]
	;;#ASMSTART
	v_cvt_f32_f16 v31, v31;
	;;#ASMEND
	;;#ASMSTART
	v_cvt_f32_f16 v27, v27;
	;;#ASMEND
	;; [unrolled: 3-line block ×4, first 2 shown]
	ds_read_b32 v39, v16 offset:28
	v_fmac_f32_e32 v26, v50, v34
	v_fmac_f32_e32 v29, v51, v33
	;; [unrolled: 1-line block ×4, first 2 shown]
	s_waitcnt lgkmcnt(0)
	v_lshrrev_b32_e32 v33, 16, v39
	v_and_b32_e32 v34, 0xffff, v39
	v_and_b32_e32 v35, 0xffff, v42
	;; [unrolled: 1-line block ×3, first 2 shown]
	;;#ASMSTART
	v_cvt_f32_f16 v34, v34;
	;;#ASMEND
	;;#ASMSTART
	v_cvt_f32_f16 v33, v33;
	;;#ASMEND
	;;#ASMSTART
	v_cvt_f32_f16 v35, v35;
	;;#ASMEND
	;;#ASMSTART
	v_cvt_f32_f16 v36, v36;
	;;#ASMEND
	ds_read_b32 v39, v16 offset:32
	v_fmac_f32_e32 v29, v10, v37
	v_fmac_f32_e32 v26, v28, v30
	;; [unrolled: 1-line block ×3, first 2 shown]
	v_and_b32_e32 v28, 0xffff, v44
	s_waitcnt lgkmcnt(0)
	v_lshrrev_b32_e32 v10, 16, v39
	v_and_b32_e32 v27, 0xffff, v39
	v_and_b32_e32 v30, 0xffff, v43
	v_fmac_f32_e32 v26, v31, v32
	;;#ASMSTART
	v_cvt_f32_f16 v27, v27;
	;;#ASMEND
	;;#ASMSTART
	v_cvt_f32_f16 v10, v10;
	;;#ASMEND
	;; [unrolled: 3-line block ×4, first 2 shown]
	ds_read_b32 v31, v16 offset:36
	v_fmac_f32_e32 v26, v34, v35
	v_fmac_f32_e32 v29, v33, v36
	;; [unrolled: 1-line block ×4, first 2 shown]
	s_waitcnt lgkmcnt(0)
	v_lshrrev_b32_e32 v10, 16, v31
	v_and_b32_e32 v27, 0xffff, v31
	v_and_b32_e32 v12, 0xffff, v12
	;; [unrolled: 1-line block ×3, first 2 shown]
	;;#ASMSTART
	v_cvt_f32_f16 v27, v27;
	;;#ASMEND
	;;#ASMSTART
	v_cvt_f32_f16 v10, v10;
	;;#ASMEND
	;; [unrolled: 3-line block ×4, first 2 shown]
	v_fmac_f32_e32 v29, v10, v11
	v_and_b32_e32 v11, 64, v24
	v_fmac_f32_e32 v26, v27, v12
	v_add_u32_e32 v11, 64, v11
	v_xor_b32_e32 v12, 2, v24
	v_cmp_lt_i32_e64 s[4:5], v12, v11
	v_cndmask_b32_e64 v12, v24, v12, s[4:5]
	v_add_f32_e32 v10, v26, v29
	v_lshlrev_b32_e32 v12, 2, v12
	ds_bpermute_b32 v12, v12, v10
	s_waitcnt lgkmcnt(0)
	v_add_f32_e32 v10, v10, v12
	v_xor_b32_e32 v12, 1, v24
	v_cmp_lt_i32_e64 s[4:5], v12, v11
	v_cndmask_b32_e64 v11, v24, v12, s[4:5]
	v_lshlrev_b32_e32 v11, 2, v11
	ds_bpermute_b32 v11, v11, v10
	s_and_saveexec_b64 s[46:47], vcc
	s_cbranch_execz .LBB277_12
; %bb.138:                              ;   in Loop: Header=BB277_14 Depth=1
	v_add_u32_e32 v12, v21, v19
	v_cvt_f32_i32_e32 v12, v12
	s_waitcnt lgkmcnt(0)
	v_add_f32_e32 v10, v10, v11
	v_add_u32_e32 v26, v14, v19
	v_cmp_gt_i32_e64 s[4:5], s33, v26
	v_mul_f32_e32 v11, s56, v12
	v_cndmask_b32_e64 v11, 0, v11, s[2:3]
	v_fmac_f32_e32 v11, s43, v10
	v_cndmask_b32_e64 v10, 0, v11, s[4:5]
	ds_write_b32 v20, v10
	v_max_f32_e32 v10, v17, v17
	v_max_f32_e32 v10, v10, v11
	v_cndmask_b32_e64 v17, v17, v10, s[4:5]
	s_branch .LBB277_12
.LBB277_139:
	s_or_b64 exec, exec, s[44:45]
.LBB277_140:
	s_or_b64 exec, exec, s[18:19]
	v_mbcnt_hi_u32_b32 v2, -1, v5
	v_and_b32_e32 v3, 64, v2
	v_add_u32_e32 v3, 64, v3
	v_xor_b32_e32 v4, 32, v2
	v_cmp_lt_i32_e32 vcc, v4, v3
	v_cndmask_b32_e32 v4, v2, v4, vcc
	v_lshlrev_b32_e32 v9, 2, v4
	ds_bpermute_b32 v4, v9, v17
	v_xor_b32_e32 v8, 16, v2
	v_max_f32_e32 v5, v17, v17
	v_cmp_lt_i32_e32 vcc, v8, v3
	s_waitcnt lgkmcnt(1)
	v_lshlrev_b32_e32 v11, 2, v13
	s_waitcnt lgkmcnt(0)
	v_max_f32_e32 v4, v4, v4
	v_max_f32_e32 v4, v5, v4
	v_cndmask_b32_e32 v5, v2, v8, vcc
	v_lshlrev_b32_e32 v10, 2, v5
	ds_bpermute_b32 v5, v10, v4
	v_xor_b32_e32 v8, 8, v2
	v_cmp_lt_i32_e32 vcc, v8, v3
	s_waitcnt lgkmcnt(0)
	v_max_f32_e32 v5, v5, v5
	v_max_f32_e32 v4, v4, v5
	v_cndmask_b32_e32 v5, v2, v8, vcc
	v_lshlrev_b32_e32 v14, 2, v5
	ds_bpermute_b32 v5, v14, v4
	v_xor_b32_e32 v8, 4, v2
	v_cmp_lt_i32_e32 vcc, v8, v3
	s_waitcnt lgkmcnt(0)
	v_max_f32_e32 v5, v5, v5
	v_max_f32_e32 v4, v4, v5
	v_cndmask_b32_e32 v5, v2, v8, vcc
	v_lshlrev_b32_e32 v15, 2, v5
	ds_bpermute_b32 v5, v15, v4
	v_and_b32_e32 v8, 63, v0
	v_cmp_eq_u32_e32 vcc, 0, v8
	s_and_saveexec_b64 s[2:3], vcc
	s_cbranch_execz .LBB277_142
; %bb.141:
	s_waitcnt lgkmcnt(0)
	v_max_f32_e32 v5, v5, v5
	v_max_f32_e32 v4, v4, v4
	;; [unrolled: 1-line block ×3, first 2 shown]
	ds_write_b32 v11, v4 offset:160
.LBB277_142:
	s_or_b64 exec, exec, s[2:3]
	v_cmp_gt_u32_e64 s[2:3], 2, v8
	v_mov_b32_e32 v4, 0xff7fffff
	v_lshlrev_b32_e32 v12, 2, v8
	s_waitcnt lgkmcnt(0)
	s_barrier
	s_and_saveexec_b64 s[4:5], s[2:3]
	s_cbranch_execz .LBB277_144
; %bb.143:
	ds_read_b32 v4, v12 offset:160
.LBB277_144:
	s_or_b64 exec, exec, s[4:5]
	v_xor_b32_e32 v5, 1, v2
	v_cmp_lt_i32_e64 s[4:5], v5, v3
	v_cndmask_b32_e64 v5, v2, v5, s[4:5]
	v_lshlrev_b32_e32 v5, 2, v5
	s_waitcnt lgkmcnt(0)
	ds_bpermute_b32 v16, v5, v4
	v_max_f32_e32 v4, v4, v4
	s_sub_i32 s4, s54, s23
	s_lshl_b32 s4, s4, 4
	s_add_i32 s4, s4, s55
	s_waitcnt lgkmcnt(0)
	v_max_f32_e32 v16, v16, v16
	v_max_f32_e32 v4, v4, v16
	v_lshlrev_b32_e32 v16, 2, v2
	v_and_b32_e32 v16, 0x100, v16
	ds_bpermute_b32 v4, v16, v4
	s_min_i32 s43, s4, s33
	s_sub_i32 s23, s43, s55
	v_cmp_gt_i32_e64 s[4:5], s23, v0
	v_mov_b32_e32 v17, 0
	s_and_saveexec_b64 s[12:13], s[4:5]
	s_cbranch_execz .LBB277_148
; %bb.145:
	v_mov_b32_e32 v17, 0xb0
	v_lshl_add_u32 v18, v0, 2, v17
	s_mov_b64 s[18:19], 0
	v_mov_b32_e32 v17, 0
	v_mov_b32_e32 v19, v0
.LBB277_146:                            ; =>This Inner Loop Header: Depth=1
	ds_read_b32 v20, v18
	v_add_u32_e32 v19, 0x80, v19
	v_cmp_le_i32_e64 s[10:11], s23, v19
	s_or_b64 s[18:19], s[10:11], s[18:19]
	s_waitcnt lgkmcnt(0)
	v_sub_f32_e32 v20, v20, v4
	v_mul_f32_e32 v20, 0x3fb8aa3b, v20
	v_exp_f32_e32 v20, v20
	ds_write_b32 v18, v20
	v_add_f32_e32 v17, v17, v20
	v_add_u32_e32 v18, 0x200, v18
	s_andn2_b64 exec, exec, s[18:19]
	s_cbranch_execnz .LBB277_146
; %bb.147:
	s_or_b64 exec, exec, s[18:19]
.LBB277_148:
	s_or_b64 exec, exec, s[12:13]
	ds_bpermute_b32 v9, v9, v17
	s_waitcnt lgkmcnt(0)
	v_add_f32_e32 v9, v17, v9
	ds_bpermute_b32 v10, v10, v9
	s_waitcnt lgkmcnt(0)
	v_add_f32_e32 v9, v9, v10
	ds_bpermute_b32 v10, v14, v9
	v_xor_b32_e32 v14, 2, v2
	v_cmp_lt_i32_e64 s[10:11], v14, v3
	v_cndmask_b32_e64 v2, v2, v14, s[10:11]
	v_lshlrev_b32_e32 v2, 2, v2
	s_waitcnt lgkmcnt(0)
	v_add_f32_e32 v9, v9, v10
	ds_bpermute_b32 v10, v15, v9
	s_waitcnt lgkmcnt(0)
	v_add_f32_e32 v3, v9, v10
	ds_bpermute_b32 v2, v2, v3
	;; [unrolled: 3-line block ×3, first 2 shown]
	s_waitcnt lgkmcnt(0)
	v_add_f32_e32 v2, v2, v3
	s_and_saveexec_b64 s[10:11], vcc
	s_cbranch_execz .LBB277_150
; %bb.149:
	ds_write_b32 v11, v2 offset:168
.LBB277_150:
	s_or_b64 exec, exec, s[10:11]
	s_waitcnt lgkmcnt(0)
	s_barrier
	s_and_saveexec_b64 s[10:11], s[2:3]
	s_cbranch_execz .LBB277_152
; %bb.151:
	ds_read_b32 v2, v12 offset:168
.LBB277_152:
	s_or_b64 exec, exec, s[10:11]
	s_waitcnt lgkmcnt(0)
	ds_bpermute_b32 v3, v5, v2
	s_waitcnt lgkmcnt(0)
	v_add_f32_e32 v2, v2, v3
	ds_bpermute_b32 v9, v16, v2
	s_and_saveexec_b64 s[2:3], s[4:5]
	s_cbranch_execz .LBB277_165
; %bb.153:
	s_waitcnt lgkmcnt(0)
	v_add_f32_e32 v2, 0x358637bd, v9
	v_div_scale_f32 v3, s[4:5], v2, v2, 1.0
	v_rcp_f32_e32 v10, v3
	v_div_scale_f32 v11, vcc, 1.0, v2, 1.0
	s_movk_i32 s4, 0x7f
	v_fma_f32 v12, -v3, v10, 1.0
	v_fmac_f32_e32 v10, v12, v10
	v_mul_f32_e32 v12, v11, v10
	v_fma_f32 v14, -v3, v12, v11
	v_fmac_f32_e32 v12, v14, v10
	v_fma_f32 v3, -v3, v12, v11
	v_div_fmas_f32 v3, v3, v10, v12
	v_div_fixup_f32 v2, v3, v2, 1.0
	v_xad_u32 v3, v0, -1, s43
	v_subrev_u32_e32 v10, s55, v3
	v_cmp_lt_u32_e32 vcc, s4, v10
	s_mov_b64 s[10:11], -1
	v_mov_b32_e32 v3, v0
	s_and_saveexec_b64 s[4:5], vcc
	s_cbranch_execz .LBB277_162
; %bb.154:
	v_lshrrev_b32_e32 v10, 7, v10
	v_add_u32_e32 v12, -1, v10
	v_lshrrev_b32_e32 v11, 1, v12
	v_mov_b32_e32 v3, v2
	v_add_u32_e32 v11, 1, v11
	v_cmp_lt_u32_e32 vcc, 13, v12
	v_mov_b32_e32 v15, 0
	s_and_saveexec_b64 s[10:11], vcc
	s_cbranch_execz .LBB277_158
; %bb.155:
	v_mov_b32_e32 v14, 0xb0
	v_and_b32_e32 v12, -8, v11
	v_lshl_add_u32 v14, v0, 2, v14
	s_mov_b32 s18, 0
	s_mov_b64 s[12:13], 0
.LBB277_156:                            ; =>This Inner Loop Header: Depth=1
	ds_read2st64_b32 v[16:17], v14 offset1:2
	ds_read2st64_b32 v[18:19], v14 offset0:4 offset1:6
	ds_read2st64_b32 v[20:21], v14 offset0:8 offset1:10
	;; [unrolled: 1-line block ×3, first 2 shown]
	v_add_u32_e32 v12, -8, v12
	s_waitcnt lgkmcnt(3)
	v_pk_mul_f32 v[16:17], v[2:3], v[16:17]
	s_waitcnt lgkmcnt(2)
	v_pk_mul_f32 v[18:19], v[2:3], v[18:19]
	ds_write2st64_b32 v14, v16, v17 offset1:2
	ds_write2st64_b32 v14, v18, v19 offset0:4 offset1:6
	ds_read2st64_b32 v[18:19], v14 offset0:16 offset1:18
	s_waitcnt lgkmcnt(4)
	v_pk_mul_f32 v[16:17], v[2:3], v[20:21]
	ds_write2st64_b32 v14, v16, v17 offset0:8 offset1:10
	s_waitcnt lgkmcnt(4)
	v_pk_mul_f32 v[16:17], v[2:3], v[22:23]
	ds_write2st64_b32 v14, v16, v17 offset0:12 offset1:14
	ds_read2st64_b32 v[16:17], v14 offset0:20 offset1:22
	s_waitcnt lgkmcnt(3)
	v_pk_mul_f32 v[18:19], v[2:3], v[18:19]
	ds_read2st64_b32 v[20:21], v14 offset0:24 offset1:26
	ds_write2st64_b32 v14, v18, v19 offset0:16 offset1:18
	ds_read2st64_b32 v[18:19], v14 offset0:28 offset1:30
	s_waitcnt lgkmcnt(3)
	v_pk_mul_f32 v[16:17], v[2:3], v[16:17]
	ds_write2st64_b32 v14, v16, v17 offset0:20 offset1:22
	s_waitcnt lgkmcnt(3)
	v_pk_mul_f32 v[16:17], v[2:3], v[20:21]
	ds_write2st64_b32 v14, v16, v17 offset0:24 offset1:26
	s_waitcnt lgkmcnt(2)
	v_pk_mul_f32 v[16:17], v[2:3], v[18:19]
	s_add_i32 s18, s18, 16
	v_cmp_eq_u32_e32 vcc, 0, v12
	ds_write2st64_b32 v14, v16, v17 offset0:28 offset1:30
	v_add_u32_e32 v14, 0x2000, v14
	s_or_b64 s[12:13], vcc, s[12:13]
	v_mov_b32_e32 v15, s18
	s_andn2_b64 exec, exec, s[12:13]
	s_cbranch_execnz .LBB277_156
; %bb.157:
	s_or_b64 exec, exec, s[12:13]
.LBB277_158:
	s_or_b64 exec, exec, s[10:11]
	v_and_b32_e32 v11, 7, v11
	v_cmp_ne_u32_e32 vcc, 0, v11
	s_and_saveexec_b64 s[10:11], vcc
	s_cbranch_execz .LBB277_161
; %bb.159:
	v_lshlrev_b32_e32 v12, 9, v15
	v_lshlrev_b32_e32 v14, 2, v0
	s_movk_i32 s12, 0xb0
	v_add3_u32 v12, v12, v14, s12
	s_mov_b64 s[12:13], 0
.LBB277_160:                            ; =>This Inner Loop Header: Depth=1
	ds_read2st64_b32 v[14:15], v12 offset1:2
	v_add_u32_e32 v11, -1, v11
	v_cmp_eq_u32_e32 vcc, 0, v11
	s_or_b64 s[12:13], vcc, s[12:13]
	s_waitcnt lgkmcnt(0)
	v_pk_mul_f32 v[14:15], v[2:3], v[14:15]
	ds_write2st64_b32 v12, v14, v15 offset1:2
	v_add_u32_e32 v12, 0x400, v12
	s_andn2_b64 exec, exec, s[12:13]
	s_cbranch_execnz .LBB277_160
.LBB277_161:
	s_or_b64 exec, exec, s[10:11]
	v_add_u32_e32 v10, 1, v10
	v_and_b32_e32 v11, 0x3fffffe, v10
	v_cmp_ne_u32_e32 vcc, v10, v11
	v_lshl_add_u32 v3, v11, 7, v0
	s_orn2_b64 s[10:11], vcc, exec
.LBB277_162:
	s_or_b64 exec, exec, s[4:5]
	s_and_b64 exec, exec, s[10:11]
	s_cbranch_execz .LBB277_165
; %bb.163:
	v_mov_b32_e32 v10, 0xb0
	v_lshl_add_u32 v10, v3, 2, v10
	s_mov_b64 s[4:5], 0
.LBB277_164:                            ; =>This Inner Loop Header: Depth=1
	ds_read_b32 v11, v10
	v_add_u32_e32 v3, 0x80, v3
	v_cmp_le_i32_e32 vcc, s23, v3
	s_or_b64 s[4:5], vcc, s[4:5]
	s_waitcnt lgkmcnt(0)
	v_mul_f32_e32 v11, v2, v11
	ds_write_b32 v10, v11
	v_add_u32_e32 v10, 0x200, v10
	s_andn2_b64 exec, exec, s[4:5]
	s_cbranch_execnz .LBB277_164
.LBB277_165:
	s_or_b64 exec, exec, s[2:3]
	s_mul_i32 s2, s29, s34
	v_cmp_eq_u32_e32 vcc, 0, v0
	s_mul_i32 s10, s2, s9
	s_waitcnt lgkmcnt(0)
	s_barrier
	s_and_saveexec_b64 s[2:3], vcc
	s_cbranch_execz .LBB277_167
; %bb.166:
	s_ashr_i32 s11, s10, 31
	s_lshl_b64 s[4:5], s[10:11], 2
	s_add_u32 s9, s26, s4
	s_mul_i32 s12, s29, s6
	s_addc_u32 s11, s27, s5
	s_ashr_i32 s13, s12, 31
	s_lshl_b64 s[12:13], s[12:13], 2
	s_add_u32 s6, s9, s12
	s_addc_u32 s11, s11, s13
	s_ashr_i32 s9, s8, 31
	s_lshl_b64 s[18:19], s[8:9], 2
	s_add_u32 s26, s6, s18
	s_addc_u32 s27, s11, s19
	s_add_u32 s4, s24, s4
	s_addc_u32 s5, s25, s5
	;; [unrolled: 2-line block ×3, first 2 shown]
	s_add_u32 s4, s4, s18
	v_mov_b32_e32 v2, 0
	s_addc_u32 s5, s5, s19
	global_store_dword v2, v4, s[26:27]
	global_store_dword v2, v9, s[4:5]
.LBB277_167:
	s_or_b64 exec, exec, s[2:3]
	s_mov_b32 s4, 0
	v_mov_b32_e32 v4, 0
	v_lshrrev_b32_e32 v28, 1, v8
	v_and_b32_e32 v9, 1, v0
	v_mov_b32_e32 v3, 0
	v_mov_b32_e32 v2, 0
	s_and_saveexec_b64 s[12:13], s[0:1]
	s_cbranch_execz .LBB277_325
; %bb.168:
	s_sub_i32 s9, s16, s21
	s_ashr_i32 s0, s20, 31
	s_add_u32 s16, s40, s20
	v_lshlrev_b32_e32 v2, 3, v0
	s_mov_b32 s11, s17
	s_addc_u32 s17, s41, s0
	s_abs_i32 s34, s22
	v_and_b32_e32 v29, 8, v2
	v_cvt_f32_u32_e32 v2, s34
	v_or_b32_e32 v3, 64, v28
	s_movk_i32 s0, 0x50
	v_cmp_gt_u32_e32 vcc, s0, v3
	v_rcp_iflag_f32_e32 v2, v2
	s_sub_i32 s0, 0, s34
	s_add_i32 s40, s7, -1
	v_lshl_or_b32 v12, v3, 4, v29
	v_mul_f32_e32 v2, 0x4f7ffffe, v2
	v_cvt_u32_f32_e32 v2, v2
	s_mov_b32 s18, -1
	s_mov_b32 s5, s4
	s_mov_b32 s6, s4
	v_mul_lo_u32 v3, s0, v2
	s_lshl_b64 s[0:1], s[38:39], 2
	v_mul_hi_u32 v3, v2, v3
	s_add_u32 s0, s36, s0
	v_add_u32_e32 v30, v2, v3
	v_lshlrev_b64 v[2:3], 2, v[6:7]
	s_addc_u32 s1, s37, s1
	v_mov_b32_e32 v4, s1
	v_add_co_u32_e64 v14, s[0:1], s0, v2
	v_lshlrev_b32_e32 v2, 5, v9
	v_lshl_or_b32 v2, v13, 6, v2
	v_addc_co_u32_e64 v15, s[0:1], v4, v3, s[0:1]
	v_add_u32_e32 v7, 0xb0, v2
	v_mov_b32_e32 v2, s4
	s_mov_b32 s19, 0xffffff
	v_lshl_or_b32 v8, v28, 4, v29
	v_mov_b32_e32 v11, 0
	s_mov_b32 s41, s33
	s_mov_b64 s[20:21], 0
	v_mov_b32_e32 v3, s5
	v_mov_b32_e32 v4, s6
	s_movk_i32 s36, 0x80
	s_movk_i32 s37, 0x7f
	s_mov_b32 s38, 0x8000
	s_movk_i32 s39, 0x380
	s_mov_b32 s43, 0x3020706
	s_mov_b32 s44, 0x1000504
	;; [unrolled: 1-line block ×3, first 2 shown]
	v_mov_b32_e32 v13, 0x2000
	s_branch .LBB277_172
.LBB277_169:                            ;   in Loop: Header=BB277_172 Depth=1
	s_or_b64 exec, exec, s[2:3]
	;;#ASMSTART
	v_pk_mul_f16 v18, v33, v18;

	;;#ASMEND
	;;#ASMSTART
	v_pk_mul_f16 v10, v32, v10;

	;;#ASMEND
	;; [unrolled: 4-line block ×4, first 2 shown]
	;;#ASMSTART
	v_pk_add_f16 v10, v18, v10;

	;;#ASMEND
	;;#ASMSTART
	v_pk_add_f16 v10, v10, v17;

	;;#ASMEND
	;; [unrolled: 4-line block ×3, first 2 shown]
	v_lshrrev_b32_e32 v16, 16, v10
	v_and_b32_e32 v10, 0xffff, v10
	;;#ASMSTART
	v_cvt_f32_f16 v10, v10;
	;;#ASMEND
	;;#ASMSTART
	v_cvt_f32_f16 v16, v16;
	;;#ASMEND
	v_add_f32_e32 v10, v10, v16
	v_add_f32_e32 v4, v4, v10
.LBB277_170:                            ;   in Loop: Header=BB277_172 Depth=1
	s_or_b64 exec, exec, s[6:7]
.LBB277_171:                            ;   in Loop: Header=BB277_172 Depth=1
	s_or_b64 exec, exec, s[4:5]
	v_add_co_u32_e64 v14, s[0:1], 8, v14
	v_add_u32_e32 v6, 2, v6
	v_addc_co_u32_e64 v15, s[0:1], 0, v15, s[0:1]
	v_cmp_le_i32_e64 s[0:1], s54, v6
	v_add_u32_e32 v1, 32, v1
	s_or_b64 s[20:21], s[0:1], s[20:21]
	v_add_u32_e32 v7, 0x80, v7
	s_andn2_b64 exec, exec, s[20:21]
	s_cbranch_execz .LBB277_324
.LBB277_172:                            ; =>This Inner Loop Header: Depth=1
	v_sub_u32_e32 v16, 0, v1
	v_max_i32_e32 v16, v1, v16
	v_mul_hi_u32 v17, v16, s52
	v_mul_lo_u32 v18, v17, s35
	v_sub_u32_e32 v16, v16, v18
	v_add_u32_e32 v18, 1, v17
	v_cmp_le_u32_e64 s[0:1], s35, v16
	v_cndmask_b32_e64 v17, v17, v18, s[0:1]
	v_subrev_u32_e32 v18, s35, v16
	v_cndmask_b32_e64 v16, v16, v18, s[0:1]
	v_ashrrev_i32_e32 v10, 31, v1
	v_add_u32_e32 v18, 1, v17
	v_cmp_le_u32_e64 s[0:1], s35, v16
	v_xor_b32_e32 v10, s53, v10
	v_cndmask_b32_e64 v16, v17, v18, s[0:1]
	v_xor_b32_e32 v16, v16, v10
	v_sub_u32_e32 v10, v16, v10
	v_add_u32_e32 v16, s42, v10
	v_sub_u32_e32 v18, 0, v16
	v_ashrrev_i32_e32 v17, 31, v16
	v_max_i32_e32 v16, v16, v18
	v_mul_hi_u32 v18, v16, v30
	v_mul_lo_u32 v18, v18, s34
	v_sub_u32_e32 v16, v16, v18
	v_subrev_u32_e32 v18, s34, v16
	v_cmp_le_u32_e64 s[0:1], s34, v16
	v_cndmask_b32_e64 v16, v16, v18, s[0:1]
	v_subrev_u32_e32 v18, s34, v16
	v_cmp_le_u32_e64 s[0:1], s34, v16
	v_cndmask_b32_e64 v16, v16, v18, s[0:1]
	v_xor_b32_e32 v16, v16, v17
	v_sub_u32_e32 v16, v16, v17
	v_cmp_eq_u32_e64 s[0:1], 0, v16
	v_cmp_lt_i32_e64 s[2:3], s9, v10
	s_or_b64 s[0:1], s[0:1], s[2:3]
	s_and_saveexec_b64 s[4:5], s[0:1]
	s_cbranch_execz .LBB277_171
; %bb.173:                              ;   in Loop: Header=BB277_172 Depth=1
	global_load_dword v10, v[14:15], off
	ds_read2_b64 v[16:19], v7 offset1:1
	ds_read2_b64 v[22:25], v7 offset0:2 offset1:3
	v_pk_mov_b32 v[26:27], s[16:17], s[16:17] op_sel:[0,1]
	s_waitcnt lgkmcnt(1)
	;;#ASMSTART
	v_cvt_f16_f32 v21, v16;

	;;#ASMEND
	;;#ASMSTART
	v_cvt_f16_f32 v31, v17;

	;;#ASMEND
	;;#ASMSTART
	v_cvt_f16_f32 v32, v18;

	;;#ASMEND
	;;#ASMSTART
	v_cvt_f16_f32 v34, v19;

	;;#ASMEND
	s_waitcnt lgkmcnt(0)
	;;#ASMSTART
	v_cvt_f16_f32 v35, v22;

	;;#ASMEND
	;;#ASMSTART
	v_cvt_f16_f32 v36, v23;

	;;#ASMEND
	;; [unrolled: 4-line block ×4, first 2 shown]
	v_mov_b32_e32 v24, 0
	v_mov_b32_e32 v22, 0
	s_waitcnt vmcnt(0)
	v_mad_i64_i32 v[16:17], s[0:1], v10, s11, v[26:27]
	v_add_co_u32_e64 v18, s[0:1], v16, v8
	v_addc_co_u32_e64 v19, s[0:1], 0, v17, s[0:1]
	global_load_dwordx2 v[26:27], v[18:19], off
	global_load_dword v20, v11, s[14:15]
	s_waitcnt vmcnt(1)
	v_cmp_ne_u16_sdwa s[0:1], v26, v11 src0_sel:BYTE_0 src1_sel:DWORD
	s_and_saveexec_b64 s[2:3], s[0:1]
	s_cbranch_execz .LBB277_179
; %bb.174:                              ;   in Loop: Header=BB277_172 Depth=1
	v_cmp_ne_u16_sdwa s[0:1], v26, s36 src0_sel:BYTE_0 src1_sel:DWORD
	v_bfrev_b32_e32 v22, 1
	s_and_saveexec_b64 s[6:7], s[0:1]
	s_cbranch_execz .LBB277_178
; %bb.175:                              ;   in Loop: Header=BB277_172 Depth=1
	v_and_b32_e32 v10, 0x7f, v26
	v_cmp_ne_u32_e64 s[0:1], s37, v10
	v_mov_b32_e32 v22, 0x7fc02000
	s_and_saveexec_b64 s[22:23], s[0:1]
	s_cbranch_execz .LBB277_177
; %bb.176:                              ;   in Loop: Header=BB277_172 Depth=1
	v_and_b32_e32 v22, 7, v26
	v_ffbh_u32_e32 v22, v22
	v_min_u32_e32 v22, 32, v22
	v_subrev_u32_e32 v23, 28, v22
	v_cmp_gt_u32_e64 s[0:1], 8, v10
	v_lshrrev_b32_e32 v25, 3, v10
	v_sub_u32_e32 v33, 29, v22
	v_cndmask_b32_e64 v10, 0, v23, s[0:1]
	v_lshlrev_b64 v[22:23], v10, v[26:27]
	v_cndmask_b32_e64 v10, v25, v33, s[0:1]
	v_lshlrev_b32_e32 v23, 8, v26
	v_lshl_add_u32 v10, v10, 10, v13
	v_lshlrev_b32_e32 v22, 7, v22
	v_and_or_b32 v10, v23, s38, v10
	v_and_or_b32 v10, v22, s39, v10
	v_cvt_f32_f16_e32 v22, v10
.LBB277_177:                            ;   in Loop: Header=BB277_172 Depth=1
	s_or_b64 exec, exec, s[22:23]
.LBB277_178:                            ;   in Loop: Header=BB277_172 Depth=1
	s_or_b64 exec, exec, s[6:7]
.LBB277_179:                            ;   in Loop: Header=BB277_172 Depth=1
	s_or_b64 exec, exec, s[2:3]
	v_lshrrev_b16_e32 v10, 8, v26
	v_cmp_ne_u16_e64 s[0:1], 0, v10
	s_and_saveexec_b64 s[2:3], s[0:1]
	s_cbranch_execz .LBB277_185
; %bb.180:                              ;   in Loop: Header=BB277_172 Depth=1
	v_cmp_ne_u16_e64 s[0:1], s36, v10
	v_bfrev_b32_e32 v24, 1
	s_and_saveexec_b64 s[6:7], s[0:1]
	s_cbranch_execz .LBB277_184
; %bb.181:                              ;   in Loop: Header=BB277_172 Depth=1
	v_and_b32_e32 v23, 0x7f, v10
	v_cmp_ne_u32_e64 s[0:1], s37, v23
	v_mov_b32_e32 v24, 0x7fc02000
	s_and_saveexec_b64 s[22:23], s[0:1]
	s_cbranch_execz .LBB277_183
; %bb.182:                              ;   in Loop: Header=BB277_172 Depth=1
	v_and_b32_e32 v33, 7, v10
	v_ffbh_u32_e32 v24, v33
	v_min_u32_e32 v40, 32, v24
	v_subrev_u32_e32 v24, 28, v40
	v_lshlrev_b64 v[24:25], v24, v[10:11]
	v_lshrrev_b32_e32 v39, 3, v23
	v_sub_u32_e32 v25, 29, v40
	v_cmp_gt_u32_e64 s[0:1], 8, v23
	v_cndmask_b32_e64 v23, v39, v25, s[0:1]
	v_and_b32_e32 v24, 7, v24
	v_lshlrev_b32_e32 v10, 8, v10
	v_lshl_add_u32 v23, v23, 10, v13
	v_cndmask_b32_e64 v24, v33, v24, s[0:1]
	v_and_or_b32 v10, v10, s38, v23
	v_lshl_or_b32 v10, v24, 7, v10
	v_cvt_f32_f16_e32 v24, v10
.LBB277_183:                            ;   in Loop: Header=BB277_172 Depth=1
	s_or_b64 exec, exec, s[22:23]
.LBB277_184:                            ;   in Loop: Header=BB277_172 Depth=1
	s_or_b64 exec, exec, s[6:7]
.LBB277_185:                            ;   in Loop: Header=BB277_172 Depth=1
	s_or_b64 exec, exec, s[2:3]
	v_lshrrev_b32_e32 v10, 16, v26
	v_cmp_ne_u16_sdwa s[0:1], v10, v11 src0_sel:BYTE_0 src1_sel:DWORD
	v_mov_b32_e32 v25, 0
	v_mov_b32_e32 v23, 0
	s_and_saveexec_b64 s[2:3], s[0:1]
	s_cbranch_execz .LBB277_191
; %bb.186:                              ;   in Loop: Header=BB277_172 Depth=1
	v_cmp_ne_u16_sdwa s[0:1], v10, s36 src0_sel:BYTE_0 src1_sel:DWORD
	v_bfrev_b32_e32 v23, 1
	s_and_saveexec_b64 s[6:7], s[0:1]
	s_cbranch_execz .LBB277_190
; %bb.187:                              ;   in Loop: Header=BB277_172 Depth=1
	v_bfe_u32 v33, v26, 16, 7
	v_cmp_ne_u32_e64 s[0:1], s37, v33
	v_mov_b32_e32 v23, 0x7fc02000
	s_and_saveexec_b64 s[22:23], s[0:1]
	s_cbranch_execz .LBB277_189
; %bb.188:                              ;   in Loop: Header=BB277_172 Depth=1
	v_and_b32_e32 v23, 7, v10
	v_ffbh_u32_e32 v40, v23
	v_min_u32_e32 v42, 32, v40
	v_subrev_u32_e32 v40, 28, v42
	v_lshlrev_b64 v[40:41], v40, v[10:11]
	v_lshrrev_b32_e32 v39, 3, v33
	v_sub_u32_e32 v41, 29, v42
	v_cmp_gt_u32_e64 s[0:1], 8, v33
	v_cndmask_b32_e64 v33, v39, v41, s[0:1]
	v_and_b32_e32 v40, 7, v40
	v_lshlrev_b32_e32 v10, 8, v10
	v_lshl_add_u32 v33, v33, 10, v13
	v_cndmask_b32_e64 v23, v23, v40, s[0:1]
	v_and_or_b32 v10, v10, s38, v33
	v_lshl_or_b32 v10, v23, 7, v10
	v_cvt_f32_f16_e32 v23, v10
.LBB277_189:                            ;   in Loop: Header=BB277_172 Depth=1
	s_or_b64 exec, exec, s[22:23]
.LBB277_190:                            ;   in Loop: Header=BB277_172 Depth=1
	s_or_b64 exec, exec, s[6:7]
.LBB277_191:                            ;   in Loop: Header=BB277_172 Depth=1
	s_or_b64 exec, exec, s[2:3]
	v_cmp_lt_u32_e64 s[0:1], s19, v26
	s_and_saveexec_b64 s[2:3], s[0:1]
	s_cbranch_execz .LBB277_197
; %bb.192:                              ;   in Loop: Header=BB277_172 Depth=1
	v_lshrrev_b32_e32 v10, 24, v26
	v_cmp_ne_u32_e64 s[0:1], s36, v10
	v_bfrev_b32_e32 v25, 1
	s_and_saveexec_b64 s[6:7], s[0:1]
	s_cbranch_execz .LBB277_196
; %bb.193:                              ;   in Loop: Header=BB277_172 Depth=1
	v_and_b32_e32 v33, 0x7f, v10
	v_cmp_ne_u32_e64 s[0:1], s37, v33
	v_mov_b32_e32 v25, 0x7fc02000
	s_and_saveexec_b64 s[22:23], s[0:1]
	s_cbranch_execz .LBB277_195
; %bb.194:                              ;   in Loop: Header=BB277_172 Depth=1
	v_and_b32_e32 v25, 7, v10
	v_ffbh_u32_e32 v40, v25
	v_min_u32_e32 v42, 32, v40
	v_subrev_u32_e32 v40, 28, v42
	v_lshlrev_b64 v[40:41], v40, v[10:11]
	v_lshrrev_b32_e32 v39, 3, v33
	v_sub_u32_e32 v41, 29, v42
	v_cmp_gt_u32_e64 s[0:1], 8, v33
	v_cndmask_b32_e64 v33, v39, v41, s[0:1]
	v_and_b32_e32 v40, 7, v40
	v_lshlrev_b32_e32 v10, 8, v10
	v_lshl_add_u32 v33, v33, 10, v13
	v_cndmask_b32_e64 v25, v25, v40, s[0:1]
	v_and_or_b32 v10, v10, s38, v33
	v_lshl_or_b32 v10, v25, 7, v10
	v_cvt_f32_f16_e32 v25, v10
.LBB277_195:                            ;   in Loop: Header=BB277_172 Depth=1
	s_or_b64 exec, exec, s[22:23]
.LBB277_196:                            ;   in Loop: Header=BB277_172 Depth=1
	s_or_b64 exec, exec, s[6:7]
.LBB277_197:                            ;   in Loop: Header=BB277_172 Depth=1
	s_or_b64 exec, exec, s[2:3]
	v_mov_b32_e32 v10, v27
	v_cmp_ne_u16_sdwa s[0:1], v27, v11 src0_sel:BYTE_0 src1_sel:DWORD
	v_mov_b32_e32 v39, 0
	v_mov_b32_e32 v33, 0
	s_and_saveexec_b64 s[2:3], s[0:1]
	s_cbranch_execz .LBB277_203
; %bb.198:                              ;   in Loop: Header=BB277_172 Depth=1
	v_cmp_ne_u16_sdwa s[0:1], v27, s36 src0_sel:BYTE_0 src1_sel:DWORD
	v_bfrev_b32_e32 v33, 1
	s_and_saveexec_b64 s[6:7], s[0:1]
	s_cbranch_execz .LBB277_202
; %bb.199:                              ;   in Loop: Header=BB277_172 Depth=1
	v_and_b32_e32 v40, 0x7f, v27
	v_cmp_ne_u32_e64 s[0:1], s37, v40
	v_mov_b32_e32 v33, 0x7fc02000
	s_and_saveexec_b64 s[22:23], s[0:1]
	s_cbranch_execz .LBB277_201
; %bb.200:                              ;   in Loop: Header=BB277_172 Depth=1
	v_and_b32_e32 v33, 7, v27
	v_ffbh_u32_e32 v33, v33
	v_min_u32_e32 v33, 32, v33
	v_subrev_u32_e32 v41, 28, v33
	v_cmp_gt_u32_e64 s[0:1], 8, v40
	v_lshrrev_b32_e32 v42, 3, v40
	v_sub_u32_e32 v33, 29, v33
	v_cndmask_b32_e64 v40, 0, v41, s[0:1]
	v_lshlrev_b64 v[40:41], v40, v[10:11]
	v_cndmask_b32_e64 v33, v42, v33, s[0:1]
	v_lshlrev_b32_e32 v41, 8, v27
	v_lshl_add_u32 v33, v33, 10, v13
	v_lshlrev_b32_e32 v40, 7, v40
	v_and_or_b32 v33, v41, s38, v33
	v_and_or_b32 v33, v40, s39, v33
	v_cvt_f32_f16_e32 v33, v33
.LBB277_201:                            ;   in Loop: Header=BB277_172 Depth=1
	s_or_b64 exec, exec, s[22:23]
.LBB277_202:                            ;   in Loop: Header=BB277_172 Depth=1
	s_or_b64 exec, exec, s[6:7]
.LBB277_203:                            ;   in Loop: Header=BB277_172 Depth=1
	s_or_b64 exec, exec, s[2:3]
	v_lshrrev_b16_e32 v10, 8, v10
	v_cmp_ne_u16_e64 s[0:1], 0, v10
	s_and_saveexec_b64 s[2:3], s[0:1]
	s_cbranch_execz .LBB277_209
; %bb.204:                              ;   in Loop: Header=BB277_172 Depth=1
	v_cmp_ne_u16_e64 s[0:1], s36, v10
	v_bfrev_b32_e32 v39, 1
	s_and_saveexec_b64 s[6:7], s[0:1]
	s_cbranch_execz .LBB277_208
; %bb.205:                              ;   in Loop: Header=BB277_172 Depth=1
	v_and_b32_e32 v40, 0x7f, v10
	v_cmp_ne_u32_e64 s[0:1], s37, v40
	v_mov_b32_e32 v39, 0x7fc02000
	s_and_saveexec_b64 s[22:23], s[0:1]
	s_cbranch_execz .LBB277_207
; %bb.206:                              ;   in Loop: Header=BB277_172 Depth=1
	v_and_b32_e32 v39, 7, v10
	v_ffbh_u32_e32 v42, v39
	v_min_u32_e32 v44, 32, v42
	v_subrev_u32_e32 v42, 28, v44
	v_lshlrev_b64 v[42:43], v42, v[10:11]
	v_lshrrev_b32_e32 v41, 3, v40
	v_sub_u32_e32 v43, 29, v44
	v_cmp_gt_u32_e64 s[0:1], 8, v40
	v_cndmask_b32_e64 v40, v41, v43, s[0:1]
	v_and_b32_e32 v42, 7, v42
	v_lshlrev_b32_e32 v10, 8, v10
	v_lshl_add_u32 v40, v40, 10, v13
	v_cndmask_b32_e64 v39, v39, v42, s[0:1]
	v_and_or_b32 v10, v10, s38, v40
	v_lshl_or_b32 v10, v39, 7, v10
	v_cvt_f32_f16_e32 v39, v10
.LBB277_207:                            ;   in Loop: Header=BB277_172 Depth=1
	s_or_b64 exec, exec, s[22:23]
.LBB277_208:                            ;   in Loop: Header=BB277_172 Depth=1
	s_or_b64 exec, exec, s[6:7]
.LBB277_209:                            ;   in Loop: Header=BB277_172 Depth=1
	s_or_b64 exec, exec, s[2:3]
	v_lshrrev_b32_e32 v10, 16, v27
	v_cmp_ne_u16_sdwa s[0:1], v10, v11 src0_sel:BYTE_0 src1_sel:DWORD
	v_mov_b32_e32 v40, 0
	v_mov_b32_e32 v41, 0
	s_and_saveexec_b64 s[2:3], s[0:1]
	s_cbranch_execz .LBB277_215
; %bb.210:                              ;   in Loop: Header=BB277_172 Depth=1
	v_cmp_ne_u16_sdwa s[0:1], v10, s36 src0_sel:BYTE_0 src1_sel:DWORD
	v_bfrev_b32_e32 v41, 1
	s_and_saveexec_b64 s[6:7], s[0:1]
	s_cbranch_execz .LBB277_214
; %bb.211:                              ;   in Loop: Header=BB277_172 Depth=1
	v_bfe_u32 v42, v27, 16, 7
	v_cmp_ne_u32_e64 s[0:1], s37, v42
	v_mov_b32_e32 v41, 0x7fc02000
	s_and_saveexec_b64 s[22:23], s[0:1]
	s_cbranch_execz .LBB277_213
; %bb.212:                              ;   in Loop: Header=BB277_172 Depth=1
	v_and_b32_e32 v41, 7, v10
	v_ffbh_u32_e32 v44, v41
	v_min_u32_e32 v46, 32, v44
	v_subrev_u32_e32 v44, 28, v46
	v_lshlrev_b64 v[44:45], v44, v[10:11]
	v_lshrrev_b32_e32 v43, 3, v42
	v_sub_u32_e32 v45, 29, v46
	v_cmp_gt_u32_e64 s[0:1], 8, v42
	v_cndmask_b32_e64 v42, v43, v45, s[0:1]
	v_and_b32_e32 v44, 7, v44
	v_lshlrev_b32_e32 v10, 8, v10
	v_lshl_add_u32 v42, v42, 10, v13
	v_cndmask_b32_e64 v41, v41, v44, s[0:1]
	v_and_or_b32 v10, v10, s38, v42
	v_lshl_or_b32 v10, v41, 7, v10
	v_cvt_f32_f16_e32 v41, v10
.LBB277_213:                            ;   in Loop: Header=BB277_172 Depth=1
	s_or_b64 exec, exec, s[22:23]
.LBB277_214:                            ;   in Loop: Header=BB277_172 Depth=1
	s_or_b64 exec, exec, s[6:7]
.LBB277_215:                            ;   in Loop: Header=BB277_172 Depth=1
	s_or_b64 exec, exec, s[2:3]
	v_cmp_lt_u64_e64 s[0:1], s[18:19], v[26:27]
	s_and_saveexec_b64 s[2:3], s[0:1]
	s_cbranch_execz .LBB277_221
; %bb.216:                              ;   in Loop: Header=BB277_172 Depth=1
	v_lshrrev_b32_e32 v10, 24, v27
	v_cmp_ne_u32_e64 s[0:1], s36, v10
	v_bfrev_b32_e32 v40, 1
	s_and_saveexec_b64 s[6:7], s[0:1]
	s_cbranch_execz .LBB277_220
; %bb.217:                              ;   in Loop: Header=BB277_172 Depth=1
	v_and_b32_e32 v26, 0x7f, v10
	v_cmp_ne_u32_e64 s[0:1], s37, v26
	v_mov_b32_e32 v40, 0x7fc02000
	s_and_saveexec_b64 s[22:23], s[0:1]
	s_cbranch_execz .LBB277_219
; %bb.218:                              ;   in Loop: Header=BB277_172 Depth=1
	v_and_b32_e32 v27, 7, v10
	v_ffbh_u32_e32 v42, v27
	v_min_u32_e32 v44, 32, v42
	v_subrev_u32_e32 v42, 28, v44
	v_lshlrev_b64 v[42:43], v42, v[10:11]
	v_lshrrev_b32_e32 v40, 3, v26
	v_sub_u32_e32 v43, 29, v44
	v_cmp_gt_u32_e64 s[0:1], 8, v26
	v_cndmask_b32_e64 v26, v40, v43, s[0:1]
	v_and_b32_e32 v42, 7, v42
	v_lshlrev_b32_e32 v10, 8, v10
	v_lshl_add_u32 v26, v26, 10, v13
	v_cndmask_b32_e64 v27, v27, v42, s[0:1]
	v_and_or_b32 v10, v10, s38, v26
	v_lshl_or_b32 v10, v27, 7, v10
	v_cvt_f32_f16_e32 v40, v10
.LBB277_219:                            ;   in Loop: Header=BB277_172 Depth=1
	s_or_b64 exec, exec, s[22:23]
.LBB277_220:                            ;   in Loop: Header=BB277_172 Depth=1
	s_or_b64 exec, exec, s[6:7]
.LBB277_221:                            ;   in Loop: Header=BB277_172 Depth=1
	s_or_b64 exec, exec, s[2:3]
	s_waitcnt vmcnt(0)
	v_pk_mul_f32 v[24:25], v[20:21], v[24:25] op_sel_hi:[0,1]
	v_pk_mul_f32 v[22:23], v[20:21], v[22:23] op_sel_hi:[0,1]
	v_cvt_f16_f32_e32 v10, v25
	v_cvt_f16_f32_e32 v24, v24
	;; [unrolled: 1-line block ×4, first 2 shown]
	v_add_u32_e32 v26, v29, v1
	v_pack_b32_f16 v24, v24, v10
	v_cmp_eq_u32_e64 s[0:1], s40, v6
	v_pack_b32_f16 v22, v22, v23
	v_fma_mixlo_f16 v23, v20, v39, 0
	v_perm_b32 v10, v22, v24, s43
	v_perm_b32 v22, v22, v24, s44
	v_lshlrev_b32_e32 v23, 16, v23
	v_fma_mixlo_f16 v24, v20, v33, 0
	v_or_b32_sdwa v23, v23, v24 dst_sel:DWORD dst_unused:UNUSED_PAD src0_sel:DWORD src1_sel:WORD_0
	v_fma_mixlo_f16 v24, v20, v41, 0
	v_fma_mixlo_f16 v20, v20, v40, 0
	v_lshlrev_b32_e32 v20, 16, v20
	v_or_b32_sdwa v20, v20, v24 dst_sel:DWORD dst_unused:UNUSED_PAD src0_sel:DWORD src1_sel:WORD_0
	s_and_saveexec_b64 s[6:7], s[0:1]
	s_cbranch_execz .LBB277_223
; %bb.222:                              ;   in Loop: Header=BB277_172 Depth=1
	v_add_u32_e32 v25, 1, v26
	v_lshrrev_b32_e32 v27, 16, v22
	v_cmp_gt_i32_e64 s[2:3], s41, v25
	v_cndmask_b32_e64 v25, 0, v27, s[2:3]
	v_cmp_gt_i32_e64 s[2:3], s33, v26
	v_cndmask_b32_e64 v22, 0, v22, s[2:3]
	v_perm_b32 v22, v25, v22, s45
	v_or_b32_e32 v25, 3, v26
	v_or_b32_e32 v27, 2, v26
	v_lshrrev_b32_e32 v33, 16, v10
	v_cmp_gt_i32_e64 s[2:3], s41, v25
	v_cndmask_b32_e64 v25, 0, v33, s[2:3]
	v_cmp_gt_i32_e64 s[2:3], s33, v27
	v_cndmask_b32_e64 v10, 0, v10, s[2:3]
	v_perm_b32 v10, v25, v10, s45
	v_or_b32_e32 v25, 5, v26
	v_or_b32_e32 v27, 4, v26
	;; [unrolled: 8-line block ×3, first 2 shown]
	v_lshrrev_b32_e32 v20, 16, v20
	v_cmp_gt_i32_e64 s[2:3], s41, v25
	v_cndmask_b32_e64 v20, 0, v20, s[2:3]
	v_cmp_gt_i32_e64 s[2:3], s33, v27
	v_cndmask_b32_e64 v24, 0, v24, s[2:3]
	v_perm_b32 v20, v20, v24, s45
.LBB277_223:                            ;   in Loop: Header=BB277_172 Depth=1
	s_or_b64 exec, exec, s[6:7]
	v_and_b32_e32 v21, 0xffff, v21
	v_lshl_or_b32 v33, v31, 16, v21
	v_and_b32_e32 v21, 0xffff, v32
	v_lshl_or_b32 v32, v34, 16, v21
	;; [unrolled: 2-line block ×4, first 2 shown]
	;;#ASMSTART
	v_pk_mul_f16 v21, v33, v22;

	;;#ASMEND
	;;#ASMSTART
	v_pk_mul_f16 v10, v32, v10;

	;;#ASMEND
	;;#ASMSTART
	v_pk_mul_f16 v22, v31, v23;

	;;#ASMEND
	;;#ASMSTART
	v_pk_mul_f16 v20, v27, v20;

	;;#ASMEND
	;;#ASMSTART
	v_pk_add_f16 v10, v21, v10;

	;;#ASMEND
	;;#ASMSTART
	v_pk_add_f16 v10, v10, v22;

	;;#ASMEND
	;; [unrolled: 4-line block ×3, first 2 shown]
	v_lshrrev_b32_e32 v20, 16, v10
	v_and_b32_e32 v10, 0xffff, v10
	;;#ASMSTART
	v_cvt_f32_f16 v21, v10;
	;;#ASMEND
	;;#ASMSTART
	v_cvt_f32_f16 v34, v20;
	;;#ASMEND
	global_load_dwordx2 v[24:25], v[18:19], off offset:512
	global_load_dword v20, v11, s[14:15]
	v_mov_b32_e32 v22, 0
	v_mov_b32_e32 v18, 0
	s_waitcnt vmcnt(1)
	v_cmp_ne_u16_sdwa s[2:3], v24, v11 src0_sel:BYTE_0 src1_sel:DWORD
	s_and_saveexec_b64 s[6:7], s[2:3]
	s_cbranch_execz .LBB277_229
; %bb.224:                              ;   in Loop: Header=BB277_172 Depth=1
	v_cmp_ne_u16_sdwa s[2:3], v24, s36 src0_sel:BYTE_0 src1_sel:DWORD
	v_bfrev_b32_e32 v18, 1
	s_and_saveexec_b64 s[22:23], s[2:3]
	s_cbranch_execz .LBB277_228
; %bb.225:                              ;   in Loop: Header=BB277_172 Depth=1
	v_and_b32_e32 v10, 0x7f, v24
	v_cmp_ne_u32_e64 s[2:3], s37, v10
	v_mov_b32_e32 v18, 0x7fc02000
	s_and_saveexec_b64 s[24:25], s[2:3]
	s_cbranch_execz .LBB277_227
; %bb.226:                              ;   in Loop: Header=BB277_172 Depth=1
	v_and_b32_e32 v18, 7, v24
	v_ffbh_u32_e32 v18, v18
	v_min_u32_e32 v18, 32, v18
	v_subrev_u32_e32 v19, 28, v18
	v_cmp_gt_u32_e64 s[2:3], 8, v10
	v_lshrrev_b32_e32 v23, 3, v10
	v_sub_u32_e32 v35, 29, v18
	v_cndmask_b32_e64 v10, 0, v19, s[2:3]
	v_lshlrev_b64 v[18:19], v10, v[24:25]
	v_cndmask_b32_e64 v10, v23, v35, s[2:3]
	v_lshlrev_b32_e32 v19, 8, v24
	v_lshl_add_u32 v10, v10, 10, v13
	v_lshlrev_b32_e32 v18, 7, v18
	v_and_or_b32 v10, v19, s38, v10
	v_and_or_b32 v10, v18, s39, v10
	v_cvt_f32_f16_e32 v18, v10
.LBB277_227:                            ;   in Loop: Header=BB277_172 Depth=1
	s_or_b64 exec, exec, s[24:25]
.LBB277_228:                            ;   in Loop: Header=BB277_172 Depth=1
	s_or_b64 exec, exec, s[22:23]
.LBB277_229:                            ;   in Loop: Header=BB277_172 Depth=1
	s_or_b64 exec, exec, s[6:7]
	v_lshrrev_b16_e32 v10, 8, v24
	v_cmp_ne_u16_e64 s[2:3], 0, v10
	s_and_saveexec_b64 s[6:7], s[2:3]
	s_cbranch_execz .LBB277_235
; %bb.230:                              ;   in Loop: Header=BB277_172 Depth=1
	v_cmp_ne_u16_e64 s[2:3], s36, v10
	v_bfrev_b32_e32 v22, 1
	s_and_saveexec_b64 s[22:23], s[2:3]
	s_cbranch_execz .LBB277_234
; %bb.231:                              ;   in Loop: Header=BB277_172 Depth=1
	v_and_b32_e32 v19, 0x7f, v10
	v_cmp_ne_u32_e64 s[2:3], s37, v19
	v_mov_b32_e32 v22, 0x7fc02000
	s_and_saveexec_b64 s[24:25], s[2:3]
	s_cbranch_execz .LBB277_233
; %bb.232:                              ;   in Loop: Header=BB277_172 Depth=1
	v_and_b32_e32 v35, 7, v10
	v_ffbh_u32_e32 v22, v35
	v_min_u32_e32 v37, 32, v22
	v_subrev_u32_e32 v22, 28, v37
	v_lshlrev_b64 v[22:23], v22, v[10:11]
	v_lshrrev_b32_e32 v36, 3, v19
	v_sub_u32_e32 v23, 29, v37
	v_cmp_gt_u32_e64 s[2:3], 8, v19
	v_cndmask_b32_e64 v19, v36, v23, s[2:3]
	v_and_b32_e32 v22, 7, v22
	v_lshlrev_b32_e32 v10, 8, v10
	v_lshl_add_u32 v19, v19, 10, v13
	v_cndmask_b32_e64 v22, v35, v22, s[2:3]
	v_and_or_b32 v10, v10, s38, v19
	v_lshl_or_b32 v10, v22, 7, v10
	v_cvt_f32_f16_e32 v22, v10
.LBB277_233:                            ;   in Loop: Header=BB277_172 Depth=1
	s_or_b64 exec, exec, s[24:25]
.LBB277_234:                            ;   in Loop: Header=BB277_172 Depth=1
	s_or_b64 exec, exec, s[22:23]
.LBB277_235:                            ;   in Loop: Header=BB277_172 Depth=1
	s_or_b64 exec, exec, s[6:7]
	v_lshrrev_b32_e32 v10, 16, v24
	v_cmp_ne_u16_sdwa s[2:3], v10, v11 src0_sel:BYTE_0 src1_sel:DWORD
	v_mov_b32_e32 v23, 0
	v_mov_b32_e32 v19, 0
	s_and_saveexec_b64 s[6:7], s[2:3]
	s_cbranch_execz .LBB277_241
; %bb.236:                              ;   in Loop: Header=BB277_172 Depth=1
	v_cmp_ne_u16_sdwa s[2:3], v10, s36 src0_sel:BYTE_0 src1_sel:DWORD
	v_bfrev_b32_e32 v19, 1
	s_and_saveexec_b64 s[22:23], s[2:3]
	s_cbranch_execz .LBB277_240
; %bb.237:                              ;   in Loop: Header=BB277_172 Depth=1
	v_bfe_u32 v35, v24, 16, 7
	v_cmp_ne_u32_e64 s[2:3], s37, v35
	v_mov_b32_e32 v19, 0x7fc02000
	s_and_saveexec_b64 s[24:25], s[2:3]
	s_cbranch_execz .LBB277_239
; %bb.238:                              ;   in Loop: Header=BB277_172 Depth=1
	v_and_b32_e32 v19, 7, v10
	v_ffbh_u32_e32 v36, v19
	v_min_u32_e32 v39, 32, v36
	v_subrev_u32_e32 v36, 28, v39
	v_lshlrev_b64 v[36:37], v36, v[10:11]
	v_lshrrev_b32_e32 v38, 3, v35
	v_sub_u32_e32 v37, 29, v39
	v_cmp_gt_u32_e64 s[2:3], 8, v35
	v_cndmask_b32_e64 v35, v38, v37, s[2:3]
	v_and_b32_e32 v36, 7, v36
	v_lshlrev_b32_e32 v10, 8, v10
	v_lshl_add_u32 v35, v35, 10, v13
	v_cndmask_b32_e64 v19, v19, v36, s[2:3]
	v_and_or_b32 v10, v10, s38, v35
	v_lshl_or_b32 v10, v19, 7, v10
	v_cvt_f32_f16_e32 v19, v10
.LBB277_239:                            ;   in Loop: Header=BB277_172 Depth=1
	s_or_b64 exec, exec, s[24:25]
.LBB277_240:                            ;   in Loop: Header=BB277_172 Depth=1
	s_or_b64 exec, exec, s[22:23]
.LBB277_241:                            ;   in Loop: Header=BB277_172 Depth=1
	s_or_b64 exec, exec, s[6:7]
	v_cmp_lt_u32_e64 s[2:3], s19, v24
	s_and_saveexec_b64 s[6:7], s[2:3]
	s_cbranch_execz .LBB277_247
; %bb.242:                              ;   in Loop: Header=BB277_172 Depth=1
	v_lshrrev_b32_e32 v10, 24, v24
	v_cmp_ne_u32_e64 s[2:3], s36, v10
	v_bfrev_b32_e32 v23, 1
	s_and_saveexec_b64 s[22:23], s[2:3]
	s_cbranch_execz .LBB277_246
; %bb.243:                              ;   in Loop: Header=BB277_172 Depth=1
	v_and_b32_e32 v35, 0x7f, v10
	v_cmp_ne_u32_e64 s[2:3], s37, v35
	v_mov_b32_e32 v23, 0x7fc02000
	s_and_saveexec_b64 s[24:25], s[2:3]
	s_cbranch_execz .LBB277_245
; %bb.244:                              ;   in Loop: Header=BB277_172 Depth=1
	v_and_b32_e32 v23, 7, v10
	v_ffbh_u32_e32 v36, v23
	v_min_u32_e32 v39, 32, v36
	v_subrev_u32_e32 v36, 28, v39
	v_lshlrev_b64 v[36:37], v36, v[10:11]
	v_lshrrev_b32_e32 v38, 3, v35
	v_sub_u32_e32 v37, 29, v39
	v_cmp_gt_u32_e64 s[2:3], 8, v35
	v_cndmask_b32_e64 v35, v38, v37, s[2:3]
	v_and_b32_e32 v36, 7, v36
	v_lshlrev_b32_e32 v10, 8, v10
	v_lshl_add_u32 v35, v35, 10, v13
	v_cndmask_b32_e64 v23, v23, v36, s[2:3]
	v_and_or_b32 v10, v10, s38, v35
	v_lshl_or_b32 v10, v23, 7, v10
	v_cvt_f32_f16_e32 v23, v10
.LBB277_245:                            ;   in Loop: Header=BB277_172 Depth=1
	s_or_b64 exec, exec, s[24:25]
.LBB277_246:                            ;   in Loop: Header=BB277_172 Depth=1
	s_or_b64 exec, exec, s[22:23]
.LBB277_247:                            ;   in Loop: Header=BB277_172 Depth=1
	s_or_b64 exec, exec, s[6:7]
	v_mov_b32_e32 v10, v25
	v_cmp_ne_u16_sdwa s[2:3], v25, v11 src0_sel:BYTE_0 src1_sel:DWORD
	v_mov_b32_e32 v36, 0
	v_mov_b32_e32 v35, 0
	s_and_saveexec_b64 s[6:7], s[2:3]
	s_cbranch_execz .LBB277_253
; %bb.248:                              ;   in Loop: Header=BB277_172 Depth=1
	v_cmp_ne_u16_sdwa s[2:3], v25, s36 src0_sel:BYTE_0 src1_sel:DWORD
	v_bfrev_b32_e32 v35, 1
	s_and_saveexec_b64 s[22:23], s[2:3]
	s_cbranch_execz .LBB277_252
; %bb.249:                              ;   in Loop: Header=BB277_172 Depth=1
	v_and_b32_e32 v37, 0x7f, v25
	v_cmp_ne_u32_e64 s[2:3], s37, v37
	v_mov_b32_e32 v35, 0x7fc02000
	s_and_saveexec_b64 s[24:25], s[2:3]
	s_cbranch_execz .LBB277_251
; %bb.250:                              ;   in Loop: Header=BB277_172 Depth=1
	v_and_b32_e32 v35, 7, v25
	v_ffbh_u32_e32 v35, v35
	v_min_u32_e32 v35, 32, v35
	v_subrev_u32_e32 v38, 28, v35
	v_cmp_gt_u32_e64 s[2:3], 8, v37
	v_lshrrev_b32_e32 v40, 3, v37
	v_sub_u32_e32 v35, 29, v35
	v_cndmask_b32_e64 v37, 0, v38, s[2:3]
	v_lshlrev_b64 v[38:39], v37, v[10:11]
	v_cndmask_b32_e64 v35, v40, v35, s[2:3]
	v_lshlrev_b32_e32 v37, 7, v38
	v_lshlrev_b32_e32 v38, 8, v25
	v_lshl_add_u32 v35, v35, 10, v13
	v_and_or_b32 v35, v38, s38, v35
	v_and_or_b32 v35, v37, s39, v35
	v_cvt_f32_f16_e32 v35, v35
.LBB277_251:                            ;   in Loop: Header=BB277_172 Depth=1
	s_or_b64 exec, exec, s[24:25]
.LBB277_252:                            ;   in Loop: Header=BB277_172 Depth=1
	s_or_b64 exec, exec, s[22:23]
.LBB277_253:                            ;   in Loop: Header=BB277_172 Depth=1
	s_or_b64 exec, exec, s[6:7]
	v_lshrrev_b16_e32 v10, 8, v10
	v_cmp_ne_u16_e64 s[2:3], 0, v10
	s_and_saveexec_b64 s[6:7], s[2:3]
	s_cbranch_execz .LBB277_259
; %bb.254:                              ;   in Loop: Header=BB277_172 Depth=1
	v_cmp_ne_u16_e64 s[2:3], s36, v10
	v_bfrev_b32_e32 v36, 1
	s_and_saveexec_b64 s[22:23], s[2:3]
	s_cbranch_execz .LBB277_258
; %bb.255:                              ;   in Loop: Header=BB277_172 Depth=1
	v_and_b32_e32 v37, 0x7f, v10
	v_cmp_ne_u32_e64 s[2:3], s37, v37
	v_mov_b32_e32 v36, 0x7fc02000
	s_and_saveexec_b64 s[24:25], s[2:3]
	s_cbranch_execz .LBB277_257
; %bb.256:                              ;   in Loop: Header=BB277_172 Depth=1
	v_and_b32_e32 v36, 7, v10
	v_ffbh_u32_e32 v38, v36
	v_min_u32_e32 v41, 32, v38
	v_subrev_u32_e32 v38, 28, v41
	v_lshlrev_b64 v[38:39], v38, v[10:11]
	v_lshrrev_b32_e32 v40, 3, v37
	v_sub_u32_e32 v39, 29, v41
	v_cmp_gt_u32_e64 s[2:3], 8, v37
	v_cndmask_b32_e64 v37, v40, v39, s[2:3]
	v_and_b32_e32 v38, 7, v38
	v_lshlrev_b32_e32 v10, 8, v10
	v_lshl_add_u32 v37, v37, 10, v13
	v_cndmask_b32_e64 v36, v36, v38, s[2:3]
	v_and_or_b32 v10, v10, s38, v37
	v_lshl_or_b32 v10, v36, 7, v10
	v_cvt_f32_f16_e32 v36, v10
.LBB277_257:                            ;   in Loop: Header=BB277_172 Depth=1
	s_or_b64 exec, exec, s[24:25]
.LBB277_258:                            ;   in Loop: Header=BB277_172 Depth=1
	s_or_b64 exec, exec, s[22:23]
.LBB277_259:                            ;   in Loop: Header=BB277_172 Depth=1
	s_or_b64 exec, exec, s[6:7]
	v_lshrrev_b32_e32 v10, 16, v25
	v_cmp_ne_u16_sdwa s[2:3], v10, v11 src0_sel:BYTE_0 src1_sel:DWORD
	v_mov_b32_e32 v37, 0
	v_mov_b32_e32 v38, 0
	s_and_saveexec_b64 s[6:7], s[2:3]
	s_cbranch_execz .LBB277_265
; %bb.260:                              ;   in Loop: Header=BB277_172 Depth=1
	v_cmp_ne_u16_sdwa s[2:3], v10, s36 src0_sel:BYTE_0 src1_sel:DWORD
	v_bfrev_b32_e32 v38, 1
	s_and_saveexec_b64 s[22:23], s[2:3]
	s_cbranch_execz .LBB277_264
; %bb.261:                              ;   in Loop: Header=BB277_172 Depth=1
	v_bfe_u32 v39, v25, 16, 7
	v_cmp_ne_u32_e64 s[2:3], s37, v39
	v_mov_b32_e32 v38, 0x7fc02000
	s_and_saveexec_b64 s[24:25], s[2:3]
	s_cbranch_execz .LBB277_263
; %bb.262:                              ;   in Loop: Header=BB277_172 Depth=1
	v_and_b32_e32 v38, 7, v10
	v_ffbh_u32_e32 v40, v38
	v_min_u32_e32 v43, 32, v40
	v_subrev_u32_e32 v40, 28, v43
	v_lshlrev_b64 v[40:41], v40, v[10:11]
	v_lshrrev_b32_e32 v42, 3, v39
	v_sub_u32_e32 v41, 29, v43
	v_cmp_gt_u32_e64 s[2:3], 8, v39
	v_cndmask_b32_e64 v39, v42, v41, s[2:3]
	v_and_b32_e32 v40, 7, v40
	v_lshlrev_b32_e32 v10, 8, v10
	v_lshl_add_u32 v39, v39, 10, v13
	v_cndmask_b32_e64 v38, v38, v40, s[2:3]
	v_and_or_b32 v10, v10, s38, v39
	v_lshl_or_b32 v10, v38, 7, v10
	v_cvt_f32_f16_e32 v38, v10
.LBB277_263:                            ;   in Loop: Header=BB277_172 Depth=1
	s_or_b64 exec, exec, s[24:25]
.LBB277_264:                            ;   in Loop: Header=BB277_172 Depth=1
	s_or_b64 exec, exec, s[22:23]
.LBB277_265:                            ;   in Loop: Header=BB277_172 Depth=1
	s_or_b64 exec, exec, s[6:7]
	v_cmp_lt_u64_e64 s[2:3], s[18:19], v[24:25]
	s_and_saveexec_b64 s[6:7], s[2:3]
	s_cbranch_execz .LBB277_271
; %bb.266:                              ;   in Loop: Header=BB277_172 Depth=1
	v_lshrrev_b32_e32 v10, 24, v25
	v_cmp_ne_u32_e64 s[2:3], s36, v10
	v_bfrev_b32_e32 v37, 1
	s_and_saveexec_b64 s[22:23], s[2:3]
	s_cbranch_execz .LBB277_270
; %bb.267:                              ;   in Loop: Header=BB277_172 Depth=1
	v_and_b32_e32 v24, 0x7f, v10
	v_cmp_ne_u32_e64 s[2:3], s37, v24
	v_mov_b32_e32 v37, 0x7fc02000
	s_and_saveexec_b64 s[24:25], s[2:3]
	s_cbranch_execz .LBB277_269
; %bb.268:                              ;   in Loop: Header=BB277_172 Depth=1
	v_and_b32_e32 v25, 7, v10
	v_ffbh_u32_e32 v39, v25
	v_min_u32_e32 v39, 32, v39
	v_lshrrev_b32_e32 v37, 3, v24
	v_subrev_u32_e32 v40, 28, v39
	v_sub_u32_e32 v39, 29, v39
	v_cmp_gt_u32_e64 s[2:3], 8, v24
	v_lshlrev_b64 v[40:41], v40, v[10:11]
	v_cndmask_b32_e64 v24, v37, v39, s[2:3]
	v_and_b32_e32 v40, 7, v40
	v_lshlrev_b32_e32 v10, 8, v10
	v_lshl_add_u32 v24, v24, 10, v13
	v_cndmask_b32_e64 v25, v25, v40, s[2:3]
	v_and_or_b32 v10, v10, s38, v24
	v_lshl_or_b32 v10, v25, 7, v10
	v_cvt_f32_f16_e32 v37, v10
.LBB277_269:                            ;   in Loop: Header=BB277_172 Depth=1
	s_or_b64 exec, exec, s[24:25]
.LBB277_270:                            ;   in Loop: Header=BB277_172 Depth=1
	s_or_b64 exec, exec, s[22:23]
.LBB277_271:                            ;   in Loop: Header=BB277_172 Depth=1
	s_or_b64 exec, exec, s[6:7]
	s_waitcnt vmcnt(0)
	v_pk_mul_f32 v[22:23], v[20:21], v[22:23] op_sel_hi:[0,1]
	v_pk_mul_f32 v[18:19], v[20:21], v[18:19] op_sel_hi:[0,1]
	v_cvt_f16_f32_e32 v10, v23
	v_cvt_f16_f32_e32 v22, v22
	;; [unrolled: 1-line block ×4, first 2 shown]
	v_pack_b32_f16 v22, v22, v10
	v_pack_b32_f16 v18, v18, v19
	v_fma_mixlo_f16 v19, v20, v36, 0
	v_perm_b32 v10, v18, v22, s43
	v_perm_b32 v18, v18, v22, s44
	v_lshlrev_b32_e32 v19, 16, v19
	v_fma_mixlo_f16 v22, v20, v35, 0
	v_or_b32_sdwa v19, v19, v22 dst_sel:DWORD dst_unused:UNUSED_PAD src0_sel:DWORD src1_sel:WORD_0
	v_fma_mixlo_f16 v22, v20, v38, 0
	v_fma_mixlo_f16 v20, v20, v37, 0
	v_lshlrev_b32_e32 v20, 16, v20
	v_or_b32_sdwa v20, v20, v22 dst_sel:DWORD dst_unused:UNUSED_PAD src0_sel:DWORD src1_sel:WORD_0
	s_and_saveexec_b64 s[6:7], s[0:1]
	s_cbranch_execz .LBB277_273
; %bb.272:                              ;   in Loop: Header=BB277_172 Depth=1
	v_add_u32_e32 v23, 1, v26
	v_lshrrev_b32_e32 v24, 16, v18
	v_cmp_gt_i32_e64 s[2:3], s41, v23
	v_cndmask_b32_e64 v23, 0, v24, s[2:3]
	v_cmp_gt_i32_e64 s[2:3], s33, v26
	v_cndmask_b32_e64 v18, 0, v18, s[2:3]
	v_perm_b32 v18, v23, v18, s45
	v_or_b32_e32 v23, 3, v26
	v_or_b32_e32 v24, 2, v26
	v_lshrrev_b32_e32 v25, 16, v10
	v_cmp_gt_i32_e64 s[2:3], s41, v23
	v_cndmask_b32_e64 v23, 0, v25, s[2:3]
	v_cmp_gt_i32_e64 s[2:3], s33, v24
	v_cndmask_b32_e64 v10, 0, v10, s[2:3]
	v_perm_b32 v10, v23, v10, s45
	v_or_b32_e32 v23, 5, v26
	v_or_b32_e32 v24, 4, v26
	;; [unrolled: 8-line block ×3, first 2 shown]
	v_lshrrev_b32_e32 v20, 16, v20
	v_cmp_gt_i32_e64 s[2:3], s41, v23
	v_cndmask_b32_e64 v20, 0, v20, s[2:3]
	v_cmp_gt_i32_e64 s[2:3], s33, v24
	v_cndmask_b32_e64 v22, 0, v22, s[2:3]
	v_perm_b32 v20, v20, v22, s45
.LBB277_273:                            ;   in Loop: Header=BB277_172 Depth=1
	s_or_b64 exec, exec, s[6:7]
	;;#ASMSTART
	v_pk_mul_f16 v18, v33, v18;

	;;#ASMEND
	;;#ASMSTART
	v_pk_mul_f16 v10, v32, v10;

	;;#ASMEND
	;; [unrolled: 4-line block ×4, first 2 shown]
	;;#ASMSTART
	v_pk_add_f16 v10, v18, v10;

	;;#ASMEND
	;;#ASMSTART
	v_pk_add_f16 v10, v10, v19;

	;;#ASMEND
	;; [unrolled: 4-line block ×3, first 2 shown]
	v_lshrrev_b32_e32 v18, 16, v10
	v_and_b32_e32 v10, 0xffff, v10
	;;#ASMSTART
	v_cvt_f32_f16 v10, v10;
	;;#ASMEND
	v_add_f32_e32 v21, v21, v34
	;;#ASMSTART
	v_cvt_f32_f16 v18, v18;
	;;#ASMEND
	v_add_f32_e32 v10, v10, v18
	v_add_f32_e32 v2, v2, v21
	;; [unrolled: 1-line block ×3, first 2 shown]
	s_and_saveexec_b64 s[6:7], vcc
	s_cbranch_execz .LBB277_170
; %bb.274:                              ;   in Loop: Header=BB277_172 Depth=1
	v_add_co_u32_e64 v18, s[2:3], v16, v12
	v_addc_co_u32_e64 v19, s[2:3], 0, v17, s[2:3]
	global_load_dwordx2 v[22:23], v[18:19], off
	global_load_dword v16, v11, s[14:15]
	v_mov_b32_e32 v20, 0
	v_mov_b32_e32 v18, 0
	s_waitcnt vmcnt(1)
	v_cmp_ne_u16_sdwa s[2:3], v22, v11 src0_sel:BYTE_0 src1_sel:DWORD
	s_and_saveexec_b64 s[22:23], s[2:3]
	s_cbranch_execz .LBB277_280
; %bb.275:                              ;   in Loop: Header=BB277_172 Depth=1
	v_cmp_ne_u16_sdwa s[2:3], v22, s36 src0_sel:BYTE_0 src1_sel:DWORD
	v_bfrev_b32_e32 v18, 1
	s_and_saveexec_b64 s[24:25], s[2:3]
	s_cbranch_execz .LBB277_279
; %bb.276:                              ;   in Loop: Header=BB277_172 Depth=1
	v_and_b32_e32 v10, 0x7f, v22
	v_cmp_ne_u32_e64 s[2:3], s37, v10
	v_mov_b32_e32 v18, 0x7fc02000
	s_and_saveexec_b64 s[26:27], s[2:3]
	s_cbranch_execz .LBB277_278
; %bb.277:                              ;   in Loop: Header=BB277_172 Depth=1
	v_and_b32_e32 v17, 7, v22
	v_ffbh_u32_e32 v17, v17
	v_min_u32_e32 v17, 32, v17
	v_subrev_u32_e32 v18, 28, v17
	v_cmp_gt_u32_e64 s[2:3], 8, v10
	v_lshrrev_b32_e32 v21, 3, v10
	v_sub_u32_e32 v17, 29, v17
	v_cndmask_b32_e64 v10, 0, v18, s[2:3]
	v_lshlrev_b64 v[18:19], v10, v[22:23]
	v_cndmask_b32_e64 v10, v21, v17, s[2:3]
	v_lshlrev_b32_e32 v17, 7, v18
	v_lshlrev_b32_e32 v18, 8, v22
	v_lshl_add_u32 v10, v10, 10, v13
	v_and_or_b32 v10, v18, s38, v10
	v_and_or_b32 v10, v17, s39, v10
	v_cvt_f32_f16_e32 v18, v10
.LBB277_278:                            ;   in Loop: Header=BB277_172 Depth=1
	s_or_b64 exec, exec, s[26:27]
.LBB277_279:                            ;   in Loop: Header=BB277_172 Depth=1
	s_or_b64 exec, exec, s[24:25]
.LBB277_280:                            ;   in Loop: Header=BB277_172 Depth=1
	s_or_b64 exec, exec, s[22:23]
	v_lshrrev_b16_e32 v10, 8, v22
	v_cmp_ne_u16_e64 s[2:3], 0, v10
	s_and_saveexec_b64 s[22:23], s[2:3]
	s_cbranch_execz .LBB277_286
; %bb.281:                              ;   in Loop: Header=BB277_172 Depth=1
	v_cmp_ne_u16_e64 s[2:3], s36, v10
	v_bfrev_b32_e32 v20, 1
	s_and_saveexec_b64 s[24:25], s[2:3]
	s_cbranch_execz .LBB277_285
; %bb.282:                              ;   in Loop: Header=BB277_172 Depth=1
	v_and_b32_e32 v17, 0x7f, v10
	v_cmp_ne_u32_e64 s[2:3], s37, v17
	v_mov_b32_e32 v20, 0x7fc02000
	s_and_saveexec_b64 s[26:27], s[2:3]
	s_cbranch_execz .LBB277_284
; %bb.283:                              ;   in Loop: Header=BB277_172 Depth=1
	v_and_b32_e32 v19, 7, v10
	v_ffbh_u32_e32 v20, v19
	v_min_u32_e32 v25, 32, v20
	v_subrev_u32_e32 v20, 28, v25
	v_lshlrev_b64 v[20:21], v20, v[10:11]
	v_lshrrev_b32_e32 v24, 3, v17
	v_sub_u32_e32 v21, 29, v25
	v_cmp_gt_u32_e64 s[2:3], 8, v17
	v_cndmask_b32_e64 v17, v24, v21, s[2:3]
	v_and_b32_e32 v20, 7, v20
	v_lshlrev_b32_e32 v10, 8, v10
	v_lshl_add_u32 v17, v17, 10, v13
	v_cndmask_b32_e64 v19, v19, v20, s[2:3]
	v_and_or_b32 v10, v10, s38, v17
	v_lshl_or_b32 v10, v19, 7, v10
	v_cvt_f32_f16_e32 v20, v10
.LBB277_284:                            ;   in Loop: Header=BB277_172 Depth=1
	s_or_b64 exec, exec, s[26:27]
.LBB277_285:                            ;   in Loop: Header=BB277_172 Depth=1
	s_or_b64 exec, exec, s[24:25]
.LBB277_286:                            ;   in Loop: Header=BB277_172 Depth=1
	s_or_b64 exec, exec, s[22:23]
	v_lshrrev_b32_e32 v10, 16, v22
	v_cmp_ne_u16_sdwa s[2:3], v10, v11 src0_sel:BYTE_0 src1_sel:DWORD
	v_mov_b32_e32 v21, 0
	v_mov_b32_e32 v19, 0
	s_and_saveexec_b64 s[22:23], s[2:3]
	s_cbranch_execz .LBB277_292
; %bb.287:                              ;   in Loop: Header=BB277_172 Depth=1
	v_cmp_ne_u16_sdwa s[2:3], v10, s36 src0_sel:BYTE_0 src1_sel:DWORD
	v_bfrev_b32_e32 v19, 1
	s_and_saveexec_b64 s[24:25], s[2:3]
	s_cbranch_execz .LBB277_291
; %bb.288:                              ;   in Loop: Header=BB277_172 Depth=1
	v_bfe_u32 v17, v22, 16, 7
	v_cmp_ne_u32_e64 s[2:3], s37, v17
	v_mov_b32_e32 v19, 0x7fc02000
	s_and_saveexec_b64 s[26:27], s[2:3]
	s_cbranch_execz .LBB277_290
; %bb.289:                              ;   in Loop: Header=BB277_172 Depth=1
	v_and_b32_e32 v19, 7, v10
	v_ffbh_u32_e32 v24, v19
	v_min_u32_e32 v35, 32, v24
	v_subrev_u32_e32 v24, 28, v35
	v_lshlrev_b64 v[24:25], v24, v[10:11]
	v_lshrrev_b32_e32 v34, 3, v17
	v_sub_u32_e32 v25, 29, v35
	v_cmp_gt_u32_e64 s[2:3], 8, v17
	v_cndmask_b32_e64 v17, v34, v25, s[2:3]
	v_and_b32_e32 v24, 7, v24
	v_lshlrev_b32_e32 v10, 8, v10
	v_lshl_add_u32 v17, v17, 10, v13
	v_cndmask_b32_e64 v19, v19, v24, s[2:3]
	v_and_or_b32 v10, v10, s38, v17
	v_lshl_or_b32 v10, v19, 7, v10
	v_cvt_f32_f16_e32 v19, v10
.LBB277_290:                            ;   in Loop: Header=BB277_172 Depth=1
	s_or_b64 exec, exec, s[26:27]
.LBB277_291:                            ;   in Loop: Header=BB277_172 Depth=1
	s_or_b64 exec, exec, s[24:25]
.LBB277_292:                            ;   in Loop: Header=BB277_172 Depth=1
	s_or_b64 exec, exec, s[22:23]
	v_cmp_lt_u32_e64 s[2:3], s19, v22
	s_and_saveexec_b64 s[22:23], s[2:3]
	s_cbranch_execz .LBB277_298
; %bb.293:                              ;   in Loop: Header=BB277_172 Depth=1
	v_lshrrev_b32_e32 v10, 24, v22
	v_cmp_ne_u32_e64 s[2:3], s36, v10
	v_bfrev_b32_e32 v21, 1
	s_and_saveexec_b64 s[24:25], s[2:3]
	s_cbranch_execz .LBB277_297
; %bb.294:                              ;   in Loop: Header=BB277_172 Depth=1
	v_and_b32_e32 v17, 0x7f, v10
	v_cmp_ne_u32_e64 s[2:3], s37, v17
	v_mov_b32_e32 v21, 0x7fc02000
	s_and_saveexec_b64 s[26:27], s[2:3]
	s_cbranch_execz .LBB277_296
; %bb.295:                              ;   in Loop: Header=BB277_172 Depth=1
	v_and_b32_e32 v21, 7, v10
	v_ffbh_u32_e32 v24, v21
	v_min_u32_e32 v35, 32, v24
	v_subrev_u32_e32 v24, 28, v35
	v_lshlrev_b64 v[24:25], v24, v[10:11]
	v_lshrrev_b32_e32 v34, 3, v17
	v_sub_u32_e32 v25, 29, v35
	v_cmp_gt_u32_e64 s[2:3], 8, v17
	v_cndmask_b32_e64 v17, v34, v25, s[2:3]
	v_and_b32_e32 v24, 7, v24
	v_lshlrev_b32_e32 v10, 8, v10
	v_lshl_add_u32 v17, v17, 10, v13
	v_cndmask_b32_e64 v21, v21, v24, s[2:3]
	v_and_or_b32 v10, v10, s38, v17
	v_lshl_or_b32 v10, v21, 7, v10
	v_cvt_f32_f16_e32 v21, v10
.LBB277_296:                            ;   in Loop: Header=BB277_172 Depth=1
	s_or_b64 exec, exec, s[26:27]
.LBB277_297:                            ;   in Loop: Header=BB277_172 Depth=1
	s_or_b64 exec, exec, s[24:25]
.LBB277_298:                            ;   in Loop: Header=BB277_172 Depth=1
	s_or_b64 exec, exec, s[22:23]
	v_mov_b32_e32 v10, v23
	v_cmp_ne_u16_sdwa s[2:3], v23, v11 src0_sel:BYTE_0 src1_sel:DWORD
	v_mov_b32_e32 v24, 0
	v_mov_b32_e32 v17, 0
	s_and_saveexec_b64 s[22:23], s[2:3]
	s_cbranch_execz .LBB277_304
; %bb.299:                              ;   in Loop: Header=BB277_172 Depth=1
	v_cmp_ne_u16_sdwa s[2:3], v23, s36 src0_sel:BYTE_0 src1_sel:DWORD
	v_bfrev_b32_e32 v17, 1
	s_and_saveexec_b64 s[24:25], s[2:3]
	s_cbranch_execz .LBB277_303
; %bb.300:                              ;   in Loop: Header=BB277_172 Depth=1
	v_and_b32_e32 v25, 0x7f, v23
	v_cmp_ne_u32_e64 s[2:3], s37, v25
	v_mov_b32_e32 v17, 0x7fc02000
	s_and_saveexec_b64 s[26:27], s[2:3]
	s_cbranch_execz .LBB277_302
; %bb.301:                              ;   in Loop: Header=BB277_172 Depth=1
	v_and_b32_e32 v17, 7, v23
	v_ffbh_u32_e32 v17, v17
	v_min_u32_e32 v17, 32, v17
	v_subrev_u32_e32 v34, 28, v17
	v_cmp_gt_u32_e64 s[2:3], 8, v25
	v_lshrrev_b32_e32 v36, 3, v25
	v_sub_u32_e32 v17, 29, v17
	v_cndmask_b32_e64 v25, 0, v34, s[2:3]
	v_lshlrev_b64 v[34:35], v25, v[10:11]
	v_cndmask_b32_e64 v17, v36, v17, s[2:3]
	v_lshlrev_b32_e32 v25, 7, v34
	v_lshlrev_b32_e32 v34, 8, v23
	v_lshl_add_u32 v17, v17, 10, v13
	v_and_or_b32 v17, v34, s38, v17
	v_and_or_b32 v17, v25, s39, v17
	v_cvt_f32_f16_e32 v17, v17
.LBB277_302:                            ;   in Loop: Header=BB277_172 Depth=1
	s_or_b64 exec, exec, s[26:27]
.LBB277_303:                            ;   in Loop: Header=BB277_172 Depth=1
	s_or_b64 exec, exec, s[24:25]
.LBB277_304:                            ;   in Loop: Header=BB277_172 Depth=1
	s_or_b64 exec, exec, s[22:23]
	v_lshrrev_b16_e32 v10, 8, v10
	v_cmp_ne_u16_e64 s[2:3], 0, v10
	s_and_saveexec_b64 s[22:23], s[2:3]
	s_cbranch_execz .LBB277_310
; %bb.305:                              ;   in Loop: Header=BB277_172 Depth=1
	v_cmp_ne_u16_e64 s[2:3], s36, v10
	v_bfrev_b32_e32 v24, 1
	s_and_saveexec_b64 s[24:25], s[2:3]
	s_cbranch_execz .LBB277_309
; %bb.306:                              ;   in Loop: Header=BB277_172 Depth=1
	v_and_b32_e32 v25, 0x7f, v10
	v_cmp_ne_u32_e64 s[2:3], s37, v25
	v_mov_b32_e32 v24, 0x7fc02000
	s_and_saveexec_b64 s[26:27], s[2:3]
	s_cbranch_execz .LBB277_308
; %bb.307:                              ;   in Loop: Header=BB277_172 Depth=1
	v_and_b32_e32 v24, 7, v10
	v_ffbh_u32_e32 v34, v24
	v_min_u32_e32 v37, 32, v34
	v_subrev_u32_e32 v34, 28, v37
	v_lshlrev_b64 v[34:35], v34, v[10:11]
	v_lshrrev_b32_e32 v36, 3, v25
	v_sub_u32_e32 v35, 29, v37
	v_cmp_gt_u32_e64 s[2:3], 8, v25
	v_cndmask_b32_e64 v25, v36, v35, s[2:3]
	v_and_b32_e32 v34, 7, v34
	v_lshlrev_b32_e32 v10, 8, v10
	v_lshl_add_u32 v25, v25, 10, v13
	v_cndmask_b32_e64 v24, v24, v34, s[2:3]
	v_and_or_b32 v10, v10, s38, v25
	v_lshl_or_b32 v10, v24, 7, v10
	v_cvt_f32_f16_e32 v24, v10
.LBB277_308:                            ;   in Loop: Header=BB277_172 Depth=1
	s_or_b64 exec, exec, s[26:27]
.LBB277_309:                            ;   in Loop: Header=BB277_172 Depth=1
	s_or_b64 exec, exec, s[24:25]
.LBB277_310:                            ;   in Loop: Header=BB277_172 Depth=1
	s_or_b64 exec, exec, s[22:23]
	v_lshrrev_b32_e32 v10, 16, v23
	v_cmp_ne_u16_sdwa s[2:3], v10, v11 src0_sel:BYTE_0 src1_sel:DWORD
	v_mov_b32_e32 v25, 0
	v_mov_b32_e32 v34, 0
	s_and_saveexec_b64 s[22:23], s[2:3]
	s_cbranch_execz .LBB277_316
; %bb.311:                              ;   in Loop: Header=BB277_172 Depth=1
	v_cmp_ne_u16_sdwa s[2:3], v10, s36 src0_sel:BYTE_0 src1_sel:DWORD
	v_bfrev_b32_e32 v34, 1
	s_and_saveexec_b64 s[24:25], s[2:3]
	s_cbranch_execz .LBB277_315
; %bb.312:                              ;   in Loop: Header=BB277_172 Depth=1
	v_bfe_u32 v35, v23, 16, 7
	v_cmp_ne_u32_e64 s[2:3], s37, v35
	v_mov_b32_e32 v34, 0x7fc02000
	s_and_saveexec_b64 s[26:27], s[2:3]
	s_cbranch_execz .LBB277_314
; %bb.313:                              ;   in Loop: Header=BB277_172 Depth=1
	v_and_b32_e32 v34, 7, v10
	v_ffbh_u32_e32 v36, v34
	v_min_u32_e32 v39, 32, v36
	v_subrev_u32_e32 v36, 28, v39
	v_lshlrev_b64 v[36:37], v36, v[10:11]
	v_lshrrev_b32_e32 v38, 3, v35
	v_sub_u32_e32 v37, 29, v39
	v_cmp_gt_u32_e64 s[2:3], 8, v35
	v_cndmask_b32_e64 v35, v38, v37, s[2:3]
	v_and_b32_e32 v36, 7, v36
	v_lshlrev_b32_e32 v10, 8, v10
	v_lshl_add_u32 v35, v35, 10, v13
	v_cndmask_b32_e64 v34, v34, v36, s[2:3]
	v_and_or_b32 v10, v10, s38, v35
	v_lshl_or_b32 v10, v34, 7, v10
	v_cvt_f32_f16_e32 v34, v10
.LBB277_314:                            ;   in Loop: Header=BB277_172 Depth=1
	s_or_b64 exec, exec, s[26:27]
.LBB277_315:                            ;   in Loop: Header=BB277_172 Depth=1
	s_or_b64 exec, exec, s[24:25]
.LBB277_316:                            ;   in Loop: Header=BB277_172 Depth=1
	s_or_b64 exec, exec, s[22:23]
	v_cmp_lt_u64_e64 s[2:3], s[18:19], v[22:23]
	s_and_saveexec_b64 s[22:23], s[2:3]
	s_cbranch_execz .LBB277_322
; %bb.317:                              ;   in Loop: Header=BB277_172 Depth=1
	v_lshrrev_b32_e32 v10, 24, v23
	v_cmp_ne_u32_e64 s[2:3], s36, v10
	v_bfrev_b32_e32 v25, 1
	s_and_saveexec_b64 s[24:25], s[2:3]
	s_cbranch_execz .LBB277_321
; %bb.318:                              ;   in Loop: Header=BB277_172 Depth=1
	v_and_b32_e32 v22, 0x7f, v10
	v_cmp_ne_u32_e64 s[2:3], s37, v22
	v_mov_b32_e32 v25, 0x7fc02000
	s_and_saveexec_b64 s[26:27], s[2:3]
	s_cbranch_execz .LBB277_320
; %bb.319:                              ;   in Loop: Header=BB277_172 Depth=1
	v_and_b32_e32 v23, 7, v10
	v_ffbh_u32_e32 v35, v23
	v_min_u32_e32 v35, 32, v35
	v_lshrrev_b32_e32 v25, 3, v22
	v_subrev_u32_e32 v36, 28, v35
	v_sub_u32_e32 v35, 29, v35
	v_cmp_gt_u32_e64 s[2:3], 8, v22
	v_lshlrev_b64 v[36:37], v36, v[10:11]
	v_cndmask_b32_e64 v22, v25, v35, s[2:3]
	v_and_b32_e32 v36, 7, v36
	v_lshlrev_b32_e32 v10, 8, v10
	v_lshl_add_u32 v22, v22, 10, v13
	v_cndmask_b32_e64 v23, v23, v36, s[2:3]
	v_and_or_b32 v10, v10, s38, v22
	v_lshl_or_b32 v10, v23, 7, v10
	v_cvt_f32_f16_e32 v25, v10
.LBB277_320:                            ;   in Loop: Header=BB277_172 Depth=1
	s_or_b64 exec, exec, s[26:27]
.LBB277_321:                            ;   in Loop: Header=BB277_172 Depth=1
	s_or_b64 exec, exec, s[24:25]
.LBB277_322:                            ;   in Loop: Header=BB277_172 Depth=1
	s_or_b64 exec, exec, s[22:23]
	s_waitcnt vmcnt(0)
	v_pk_mul_f32 v[18:19], v[16:17], v[18:19] op_sel_hi:[0,1]
	v_cvt_f16_f32_e32 v19, v19
	v_cvt_f16_f32_e32 v18, v18
	v_pk_mul_f32 v[20:21], v[16:17], v[20:21] op_sel_hi:[0,1]
	v_cvt_f16_f32_e32 v10, v21
	v_cvt_f16_f32_e32 v20, v20
	v_pack_b32_f16 v18, v18, v19
	v_fma_mixlo_f16 v19, v16, v24, 0
	v_lshlrev_b32_e32 v19, 16, v19
	v_fma_mixlo_f16 v17, v16, v17, 0
	v_or_b32_sdwa v17, v19, v17 dst_sel:DWORD dst_unused:UNUSED_PAD src0_sel:DWORD src1_sel:WORD_0
	v_fma_mixlo_f16 v19, v16, v34, 0
	v_fma_mixlo_f16 v16, v16, v25, 0
	v_pack_b32_f16 v20, v20, v10
	v_lshlrev_b32_e32 v16, 16, v16
	v_perm_b32 v10, v18, v20, s43
	v_perm_b32 v18, v18, v20, s44
	v_or_b32_sdwa v16, v16, v19 dst_sel:DWORD dst_unused:UNUSED_PAD src0_sel:DWORD src1_sel:WORD_0
	s_and_saveexec_b64 s[2:3], s[0:1]
	s_cbranch_execz .LBB277_169
; %bb.323:                              ;   in Loop: Header=BB277_172 Depth=1
	v_add_u32_e32 v20, 1, v26
	v_lshrrev_b32_e32 v21, 16, v18
	v_cmp_gt_i32_e64 s[0:1], s41, v20
	v_cndmask_b32_e64 v20, 0, v21, s[0:1]
	v_cmp_gt_i32_e64 s[0:1], s33, v26
	v_cndmask_b32_e64 v18, 0, v18, s[0:1]
	v_perm_b32 v18, v20, v18, s45
	v_or_b32_e32 v20, 3, v26
	v_or_b32_e32 v21, 2, v26
	v_lshrrev_b32_e32 v22, 16, v10
	v_cmp_gt_i32_e64 s[0:1], s41, v20
	v_cndmask_b32_e64 v20, 0, v22, s[0:1]
	v_cmp_gt_i32_e64 s[0:1], s33, v21
	v_cndmask_b32_e64 v10, 0, v10, s[0:1]
	v_perm_b32 v10, v20, v10, s45
	v_or_b32_e32 v20, 5, v26
	v_or_b32_e32 v21, 4, v26
	;; [unrolled: 8-line block ×3, first 2 shown]
	v_lshrrev_b32_e32 v16, 16, v16
	v_cmp_gt_i32_e64 s[0:1], s41, v20
	v_cndmask_b32_e64 v16, 0, v16, s[0:1]
	v_cmp_gt_i32_e64 s[0:1], s33, v21
	v_cndmask_b32_e64 v19, 0, v19, s[0:1]
	v_perm_b32 v16, v16, v19, s45
	s_branch .LBB277_169
.LBB277_324:
	s_or_b64 exec, exec, s[20:21]
.LBB277_325:
	s_or_b64 exec, exec, s[12:13]
	ds_bpermute_b32 v1, v5, v4
	ds_bpermute_b32 v6, v5, v2
	;; [unrolled: 1-line block ×3, first 2 shown]
	s_waitcnt lgkmcnt(0)
	s_barrier
	v_add_f32_e32 v1, v4, v1
	v_and_b32_e32 v4, 0x3c0, v0
	v_pk_add_f32 v[2:3], v[2:3], v[6:7]
	v_cmp_eq_u32_e32 vcc, 64, v4
	s_and_saveexec_b64 s[2:3], vcc
	s_cbranch_execz .LBB277_330
; %bb.326:
	v_cmp_eq_u32_e32 vcc, 0, v9
	s_and_saveexec_b64 s[0:1], vcc
	s_cbranch_execz .LBB277_328
; %bb.327:
	v_mov_b32_e32 v4, 0xb0
	v_lshl_add_u32 v4, v28, 2, v4
	ds_write2_b32 v4, v2, v3 offset1:32
.LBB277_328:
	s_or_b64 exec, exec, s[0:1]
	v_or_b32_e32 v4, 64, v28
	s_movk_i32 s0, 0x50
	v_cmp_gt_u32_e64 s[0:1], s0, v4
	s_and_b64 s[0:1], vcc, s[0:1]
	s_and_b64 exec, exec, s[0:1]
	s_cbranch_execz .LBB277_330
; %bb.329:
	v_mov_b32_e32 v4, 0xb0
	v_lshl_add_u32 v4, v28, 2, v4
	ds_write_b32 v4, v1 offset:256
.LBB277_330:
	s_or_b64 exec, exec, s[2:3]
	v_cmp_gt_u32_e32 vcc, 64, v0
	v_lshrrev_b32_e32 v0, 1, v0
	s_waitcnt lgkmcnt(0)
	s_barrier
	s_and_saveexec_b64 s[4:5], vcc
	s_cbranch_execz .LBB277_338
; %bb.331:
	v_cmp_eq_u32_e64 s[0:1], 0, v9
	s_and_saveexec_b64 s[2:3], s[0:1]
	s_cbranch_execz .LBB277_333
; %bb.332:
	v_mov_b32_e32 v4, 0xb0
	v_lshl_add_u32 v4, v0, 2, v4
	ds_read_b32 v4, v4
	s_waitcnt lgkmcnt(0)
	v_add_f32_e32 v2, v2, v4
.LBB277_333:
	s_or_b64 exec, exec, s[2:3]
	s_and_saveexec_b64 s[2:3], s[0:1]
	s_cbranch_execz .LBB277_335
; %bb.334:
	v_mov_b32_e32 v4, 0xb0
	v_lshl_add_u32 v4, v0, 2, v4
	ds_read_b32 v4, v4 offset:128
	s_waitcnt lgkmcnt(0)
	v_add_f32_e32 v3, v3, v4
.LBB277_335:
	s_or_b64 exec, exec, s[2:3]
	v_or_b32_e32 v4, 64, v0
	s_movk_i32 s2, 0x50
	v_cmp_gt_u32_e64 s[2:3], s2, v4
	s_and_b64 s[2:3], s[0:1], s[2:3]
	s_and_saveexec_b64 s[0:1], s[2:3]
	s_cbranch_execz .LBB277_337
; %bb.336:
	v_mov_b32_e32 v4, 0xb0
	v_lshl_add_u32 v4, v0, 2, v4
	ds_read_b32 v4, v4 offset:256
	s_waitcnt lgkmcnt(0)
	v_add_f32_e32 v1, v1, v4
.LBB277_337:
	s_or_b64 exec, exec, s[0:1]
.LBB277_338:
	s_or_b64 exec, exec, s[4:5]
	s_barrier
	s_and_saveexec_b64 s[0:1], vcc
	s_cbranch_execz .LBB277_343
; %bb.339:
	s_mul_i32 s0, s10, 0x50
	s_ashr_i32 s1, s0, 31
	s_lshl_b64 s[0:1], s[0:1], 1
	s_add_u32 s2, s30, s0
	s_mul_i32 s0, s29, s28
	s_addc_u32 s3, s31, s1
	s_ashr_i32 s1, s0, 31
	s_lshl_b64 s[0:1], s[0:1], 1
	s_add_u32 s2, s2, s0
	s_mul_i32 s0, s8, 0x50
	s_addc_u32 s3, s3, s1
	s_ashr_i32 s1, s0, 31
	s_lshl_b64 s[0:1], s[0:1], 1
	s_add_u32 s2, s2, s0
	s_movk_i32 s4, 0x50
	s_addc_u32 s3, s3, s1
	v_cmp_eq_u32_e32 vcc, 0, v9
	v_lshlrev_b32_e32 v4, 1, v0
	s_and_saveexec_b64 s[0:1], vcc
	s_cbranch_execz .LBB277_341
; %bb.340:
	;;#ASMSTART
	v_cvt_f16_f32 v2, v2;

	;;#ASMEND
	global_store_short v4, v2, s[2:3]
	;;#ASMSTART
	v_cvt_f16_f32 v2, v3;

	;;#ASMEND
	global_store_short v4, v2, s[2:3] offset:64
.LBB277_341:
	s_or_b64 exec, exec, s[0:1]
	v_or_b32_e32 v0, 64, v0
	v_cmp_gt_u32_e64 s[0:1], s4, v0
	s_and_b64 s[0:1], vcc, s[0:1]
	s_and_b64 exec, exec, s[0:1]
	s_cbranch_execz .LBB277_343
; %bb.342:
	;;#ASMSTART
	v_cvt_f16_f32 v0, v1;

	;;#ASMEND
	global_store_short v4, v0, s[2:3] offset:128
.LBB277_343:
	s_endpgm
	.section	.rodata,"a",@progbits
	.p2align	6, 0x0
	.amdhsa_kernel _ZN4vllm25paged_attention_v2_kernelIthLi80ELi16ELi128ELNS_18Fp8KVCacheDataTypeE1ELb1ELi512EEEvPfS2_PT_PKS3_PKT0_S9_ifPKiSB_iPKfiiiSD_SD_iiiii
		.amdhsa_group_segment_fixed_size 176
		.amdhsa_private_segment_fixed_size 0
		.amdhsa_kernarg_size 400
		.amdhsa_user_sgpr_count 6
		.amdhsa_user_sgpr_private_segment_buffer 1
		.amdhsa_user_sgpr_dispatch_ptr 0
		.amdhsa_user_sgpr_queue_ptr 0
		.amdhsa_user_sgpr_kernarg_segment_ptr 1
		.amdhsa_user_sgpr_dispatch_id 0
		.amdhsa_user_sgpr_flat_scratch_init 0
		.amdhsa_user_sgpr_kernarg_preload_length 0
		.amdhsa_user_sgpr_kernarg_preload_offset 0
		.amdhsa_user_sgpr_private_segment_size 0
		.amdhsa_uses_dynamic_stack 0
		.amdhsa_system_sgpr_private_segment_wavefront_offset 0
		.amdhsa_system_sgpr_workgroup_id_x 1
		.amdhsa_system_sgpr_workgroup_id_y 1
		.amdhsa_system_sgpr_workgroup_id_z 1
		.amdhsa_system_sgpr_workgroup_info 0
		.amdhsa_system_vgpr_workitem_id 0
		.amdhsa_next_free_vgpr 55
		.amdhsa_next_free_sgpr 63
		.amdhsa_accum_offset 56
		.amdhsa_reserve_vcc 1
		.amdhsa_reserve_flat_scratch 0
		.amdhsa_float_round_mode_32 0
		.amdhsa_float_round_mode_16_64 0
		.amdhsa_float_denorm_mode_32 3
		.amdhsa_float_denorm_mode_16_64 3
		.amdhsa_dx10_clamp 1
		.amdhsa_ieee_mode 1
		.amdhsa_fp16_overflow 0
		.amdhsa_tg_split 0
		.amdhsa_exception_fp_ieee_invalid_op 0
		.amdhsa_exception_fp_denorm_src 0
		.amdhsa_exception_fp_ieee_div_zero 0
		.amdhsa_exception_fp_ieee_overflow 0
		.amdhsa_exception_fp_ieee_underflow 0
		.amdhsa_exception_fp_ieee_inexact 0
		.amdhsa_exception_int_div_zero 0
	.end_amdhsa_kernel
	.section	.text._ZN4vllm25paged_attention_v2_kernelIthLi80ELi16ELi128ELNS_18Fp8KVCacheDataTypeE1ELb1ELi512EEEvPfS2_PT_PKS3_PKT0_S9_ifPKiSB_iPKfiiiSD_SD_iiiii,"axG",@progbits,_ZN4vllm25paged_attention_v2_kernelIthLi80ELi16ELi128ELNS_18Fp8KVCacheDataTypeE1ELb1ELi512EEEvPfS2_PT_PKS3_PKT0_S9_ifPKiSB_iPKfiiiSD_SD_iiiii,comdat
.Lfunc_end277:
	.size	_ZN4vllm25paged_attention_v2_kernelIthLi80ELi16ELi128ELNS_18Fp8KVCacheDataTypeE1ELb1ELi512EEEvPfS2_PT_PKS3_PKT0_S9_ifPKiSB_iPKfiiiSD_SD_iiiii, .Lfunc_end277-_ZN4vllm25paged_attention_v2_kernelIthLi80ELi16ELi128ELNS_18Fp8KVCacheDataTypeE1ELb1ELi512EEEvPfS2_PT_PKS3_PKT0_S9_ifPKiSB_iPKfiiiSD_SD_iiiii
                                        ; -- End function
	.section	.AMDGPU.csdata,"",@progbits
; Kernel info:
; codeLenInByte = 14824
; NumSgprs: 67
; NumVgprs: 55
; NumAgprs: 0
; TotalNumVgprs: 55
; ScratchSize: 0
; MemoryBound: 0
; FloatMode: 240
; IeeeMode: 1
; LDSByteSize: 176 bytes/workgroup (compile time only)
; SGPRBlocks: 8
; VGPRBlocks: 6
; NumSGPRsForWavesPerEU: 67
; NumVGPRsForWavesPerEU: 55
; AccumOffset: 56
; Occupancy: 8
; WaveLimiterHint : 1
; COMPUTE_PGM_RSRC2:SCRATCH_EN: 0
; COMPUTE_PGM_RSRC2:USER_SGPR: 6
; COMPUTE_PGM_RSRC2:TRAP_HANDLER: 0
; COMPUTE_PGM_RSRC2:TGID_X_EN: 1
; COMPUTE_PGM_RSRC2:TGID_Y_EN: 1
; COMPUTE_PGM_RSRC2:TGID_Z_EN: 1
; COMPUTE_PGM_RSRC2:TIDIG_COMP_CNT: 0
; COMPUTE_PGM_RSRC3_GFX90A:ACCUM_OFFSET: 13
; COMPUTE_PGM_RSRC3_GFX90A:TG_SPLIT: 0
	.section	.text._ZN4vllm25paged_attention_v2_kernelIthLi96ELi16ELi128ELNS_18Fp8KVCacheDataTypeE1ELb1ELi512EEEvPfS2_PT_PKS3_PKT0_S9_ifPKiSB_iPKfiiiSD_SD_iiiii,"axG",@progbits,_ZN4vllm25paged_attention_v2_kernelIthLi96ELi16ELi128ELNS_18Fp8KVCacheDataTypeE1ELb1ELi512EEEvPfS2_PT_PKS3_PKT0_S9_ifPKiSB_iPKfiiiSD_SD_iiiii,comdat
	.protected	_ZN4vllm25paged_attention_v2_kernelIthLi96ELi16ELi128ELNS_18Fp8KVCacheDataTypeE1ELb1ELi512EEEvPfS2_PT_PKS3_PKT0_S9_ifPKiSB_iPKfiiiSD_SD_iiiii ; -- Begin function _ZN4vllm25paged_attention_v2_kernelIthLi96ELi16ELi128ELNS_18Fp8KVCacheDataTypeE1ELb1ELi512EEEvPfS2_PT_PKS3_PKT0_S9_ifPKiSB_iPKfiiiSD_SD_iiiii
	.globl	_ZN4vllm25paged_attention_v2_kernelIthLi96ELi16ELi128ELNS_18Fp8KVCacheDataTypeE1ELb1ELi512EEEvPfS2_PT_PKS3_PKT0_S9_ifPKiSB_iPKfiiiSD_SD_iiiii
	.p2align	8
	.type	_ZN4vllm25paged_attention_v2_kernelIthLi96ELi16ELi128ELNS_18Fp8KVCacheDataTypeE1ELb1ELi512EEEvPfS2_PT_PKS3_PKT0_S9_ifPKiSB_iPKfiiiSD_SD_iiiii,@function
_ZN4vllm25paged_attention_v2_kernelIthLi96ELi16ELi128ELNS_18Fp8KVCacheDataTypeE1ELb1ELi512EEEvPfS2_PT_PKS3_PKT0_S9_ifPKiSB_iPKfiiiSD_SD_iiiii: ; @_ZN4vllm25paged_attention_v2_kernelIthLi96ELi16ELi128ELNS_18Fp8KVCacheDataTypeE1ELb1ELi512EEEvPfS2_PT_PKS3_PKT0_S9_ifPKiSB_iPKfiiiSD_SD_iiiii
; %bb.0:
	s_load_dwordx2 s[0:1], s[4:5], 0x40
	s_mov_b32 s34, s7
	s_ashr_i32 s35, s7, 31
	s_lshl_b64 s[2:3], s[34:35], 2
	s_waitcnt lgkmcnt(0)
	s_add_u32 s0, s0, s2
	s_addc_u32 s1, s1, s3
	s_load_dword s33, s[0:1], 0x0
	s_lshl_b32 s54, s8, 9
	s_waitcnt lgkmcnt(0)
	s_cmp_ge_i32 s54, s33
	s_cbranch_scc1 .LBB278_357
; %bb.1:
	s_load_dword s9, s[4:5], 0x90
	s_load_dwordx2 s[42:43], s[4:5], 0x30
	s_mov_b32 s55, 0
	s_waitcnt lgkmcnt(0)
	s_abs_i32 s2, s9
	s_abs_i32 s0, s42
	v_cvt_f32_u32_e32 v1, s0
	s_sub_i32 s3, 0, s0
	s_xor_b32 s1, s9, s42
	s_ashr_i32 s1, s1, 31
	v_rcp_iflag_f32_e32 v1, v1
	v_mul_f32_e32 v1, 0x4f7ffffe, v1
	v_cvt_u32_f32_e32 v1, v1
	v_readfirstlane_b32 s7, v1
	s_mul_i32 s3, s3, s7
	s_mul_hi_u32 s3, s7, s3
	s_add_i32 s7, s7, s3
	s_mul_hi_u32 s3, s2, s7
	s_mul_i32 s7, s3, s0
	s_sub_i32 s2, s2, s7
	s_add_i32 s10, s3, 1
	s_sub_i32 s7, s2, s0
	s_cmp_ge_u32 s2, s0
	s_cselect_b32 s3, s10, s3
	s_cselect_b32 s2, s7, s2
	s_add_i32 s7, s3, 1
	s_cmp_ge_u32 s2, s0
	s_cselect_b32 s0, s7, s3
	s_xor_b32 s0, s0, s1
	s_sub_i32 s11, s0, s1
	s_abs_i32 s2, s11
	v_cvt_f32_u32_e32 v1, s2
	s_load_dwordx2 s[0:1], s[4:5], 0x50
	s_sub_i32 s7, 0, s2
	s_abs_i32 s3, s6
	v_rcp_iflag_f32_e32 v1, v1
	v_mul_f32_e32 v1, 0x4f7ffffe, v1
	v_cvt_u32_f32_e32 v1, v1
	v_readfirstlane_b32 s10, v1
	s_mul_i32 s7, s7, s10
	s_mul_hi_u32 s7, s10, s7
	s_add_i32 s10, s10, s7
	s_waitcnt lgkmcnt(0)
	s_cmp_eq_u64 s[0:1], 0
	s_mul_hi_u32 s10, s3, s10
	s_cbranch_scc1 .LBB278_3
; %bb.2:
	s_ashr_i32 s7, s6, 31
	s_lshl_b64 s[12:13], s[6:7], 2
	s_add_u32 s0, s0, s12
	s_addc_u32 s1, s1, s13
	s_load_dword s55, s[0:1], 0x0
.LBB278_3:
	s_load_dwordx4 s[16:19], s[4:5], 0x58
	s_ashr_i32 s7, s6, 31
	s_ashr_i32 s11, s11, 31
	v_and_b32_e32 v8, 3, v0
	s_mul_i32 s28, s6, 0x60
	v_cmp_gt_u32_e32 vcc, 48, v0
	s_and_saveexec_b64 s[0:1], vcc
	s_cbranch_execz .LBB278_5
; %bb.4:
	s_load_dwordx2 s[12:13], s[4:5], 0x18
	s_waitcnt lgkmcnt(0)
	s_mul_i32 s14, s34, s16
	s_ashr_i32 s15, s14, 31
	s_lshl_b64 s[14:15], s[14:15], 1
	v_lshlrev_b32_e32 v1, 2, v0
	s_add_u32 s14, s12, s14
	s_addc_u32 s15, s13, s15
	s_ashr_i32 s29, s28, 31
	s_lshl_b64 s[12:13], s[28:29], 1
	s_add_u32 s12, s14, s12
	s_addc_u32 s13, s15, s13
	global_load_dword v1, v1, s[12:13]
	v_and_b32_e32 v2, 0x3fc, v0
	v_mad_u32_u24 v2, v8, 48, v2
	s_waitcnt vmcnt(0)
	ds_write_b32 v2, v1
.LBB278_5:
	s_or_b64 exec, exec, s[0:1]
	s_mul_i32 s1, s10, s2
	s_sub_i32 s1, s3, s1
	s_xor_b32 s0, s7, s11
	s_add_i32 s3, s10, 1
	s_sub_i32 s7, s1, s2
	s_load_dwordx4 s[20:23], s[4:5], 0x78
	s_cmp_ge_u32 s1, s2
	s_cselect_b32 s3, s3, s10
	s_load_dword s10, s[4:5], 0x88
	s_cselect_b32 s1, s7, s1
	s_add_i32 s7, s3, 1
	s_cmp_ge_u32 s1, s2
	s_cselect_b32 s1, s7, s3
	s_waitcnt lgkmcnt(0)
	s_abs_i32 s29, s23
	v_cvt_f32_u32_e32 v1, s29
	s_xor_b32 s1, s1, s0
	s_sub_i32 s2, s1, s0
	s_sub_i32 s0, 0, s29
	v_rcp_iflag_f32_e32 v1, v1
	s_add_i32 s11, s33, -1
	s_abs_i32 s3, s11
	v_mul_f32_e32 v1, 0x4f7ffffe, v1
	v_cvt_u32_f32_e32 v1, v1
	s_barrier
	v_readfirstlane_b32 s35, v1
	s_mul_i32 s0, s0, s35
	s_mul_hi_u32 s0, s35, s0
	s_add_i32 s35, s35, s0
	s_cmp_lt_i32 s10, 0
	s_mul_hi_u32 s7, s3, s35
	s_cbranch_scc0 .LBB278_7
; %bb.6:
	s_mul_i32 s0, s20, s42
	s_add_i32 s0, s2, s0
	s_mul_i32 s0, s0, s10
	s_sub_i32 s42, 1, s0
	s_mov_b64 s[0:1], 0
	s_branch .LBB278_8
.LBB278_7:
	s_mov_b64 s[0:1], -1
                                        ; implicit-def: $sgpr42
.LBB278_8:
	s_load_dwordx2 s[36:37], s[4:5], 0x38
	s_ashr_i32 s11, s11, 31
	s_andn2_b64 vcc, exec, s[0:1]
	s_ashr_i32 s52, s23, 31
	s_cbranch_vccnz .LBB278_10
; %bb.9:
	s_mul_i32 s0, s9, s20
	s_add_i32 s0, s0, s6
	s_mul_i32 s0, s0, s10
	s_add_i32 s42, s0, 1
.LBB278_10:
	s_load_dwordx2 s[40:41], s[4:5], 0x28
	s_load_dword s0, s[4:5], 0x48
	s_load_dwordx4 s[24:27], s[4:5], 0x0
	s_load_dwordx2 s[30:31], s[4:5], 0x10
	s_load_dword s23, s[4:5], 0x98
	s_load_dwordx4 s[12:15], s[4:5], 0x68
	s_mul_i32 s1, s7, s29
	s_waitcnt lgkmcnt(0)
	s_mul_i32 s38, s34, s0
	s_sub_i32 s1, s3, s1
	s_ashr_i32 s39, s38, 31
	s_xor_b32 s0, s11, s52
	s_add_i32 s3, s7, 1
	s_sub_i32 s10, s1, s29
	s_cmp_ge_u32 s1, s29
	s_cselect_b32 s3, s3, s7
	s_cselect_b32 s1, s10, s1
	s_add_i32 s7, s3, 1
	s_cmp_ge_u32 s1, s29
	s_cselect_b32 s1, s7, s3
	s_xor_b32 s1, s1, s0
	s_sub_i32 s16, s1, s0
	s_add_i32 s0, s33, 15
	s_ashr_i32 s1, s0, 31
	s_lshr_b32 s1, s1, 28
	s_add_i32 s0, s0, s1
	s_lshl_b32 s56, s8, 5
	s_ashr_i32 s7, s0, 4
	s_add_i32 s0, s56, 32
	v_lshrrev_b32_e32 v5, 6, v0
	s_min_i32 s53, s0, s7
	v_or_b32_e32 v6, s56, v5
	v_cmp_gt_i32_e64 s[0:1], s53, v6
	v_mov_b32_e32 v17, 0xff7fffff
	s_mul_i32 s20, s2, s18
	v_ashrrev_i32_e32 v7, 31, v6
	v_lshl_add_u32 v1, v5, 4, s54
	v_mbcnt_lo_u32_b32 v13, -1, 0
	s_and_saveexec_b64 s[18:19], s[0:1]
	s_cbranch_execz .LBB278_164
; %bb.11:
	s_load_dwordx2 s[2:3], s[4:5], 0x20
	s_sub_i32 s57, s16, s21
	s_ashr_i32 s4, s20, 31
	v_bfe_u32 v14, v0, 2, 4
	v_lshlrev_b32_e32 v3, 4, v14
	s_waitcnt lgkmcnt(0)
	s_add_u32 s2, s2, s20
	s_addc_u32 s3, s3, s4
	s_abs_i32 s59, s22
	v_cvt_f32_u32_e32 v2, s59
	v_mov_b32_e32 v4, s3
	s_sub_i32 s4, 0, s59
	v_cmp_eq_u32_e32 vcc, 0, v8
	v_rcp_iflag_f32_e32 v9, v2
	v_add_co_u32_e64 v2, s[2:3], s2, v3
	v_addc_co_u32_e64 v3, s[2:3], 0, v4, s[2:3]
	v_mul_f32_e32 v9, 0x4f7ffffe, v9
	v_cvt_u32_f32_e32 v9, v9
	v_lshlrev_b32_e32 v4, 1, v8
	v_mul_u32_u24_e32 v16, 48, v8
	s_mov_b32 s58, s17
	v_mul_lo_u32 v8, s4, v9
	s_lshl_b64 s[4:5], s[38:39], 2
	v_mul_hi_u32 v8, v9, v8
	s_add_u32 s4, s36, s4
	v_add_u32_e32 v18, v9, v8
	v_lshlrev_b64 v[8:9], 2, v[6:7]
	s_addc_u32 s5, s37, s5
	v_mov_b32_e32 v10, s5
	v_add_co_u32_e64 v8, s[4:5], s4, v8
	v_addc_co_u32_e64 v9, s[4:5], v10, v9, s[4:5]
	v_lshlrev_b32_e32 v10, 2, v14
	v_lshl_or_b32 v10, v5, 6, v10
	v_add_u32_e32 v20, 0xd0, v10
	v_subrev_u32_e32 v10, s33, v14
	v_mov_b32_e32 v15, 0
	v_cmp_neq_f32_e64 s[2:3], s55, 0
	v_lshl_add_u32 v19, v5, 4, s54
	v_add_u32_e32 v21, 1, v10
	s_mov_b64 s[44:45], 0
	v_mov_b32_e32 v22, 0xff7fffff
	s_movk_i32 s60, 0x80
	s_movk_i32 s61, 0x7f
	s_mov_b32 s62, 0x8000
	v_mov_b32_e32 v23, 0x2000
	v_mbcnt_hi_u32_b32 v24, -1, v13
	v_mov_b32_e32 v17, 0xff7fffff
	v_mov_b32_e32 v25, v6
	s_branch .LBB278_14
.LBB278_12:                             ;   in Loop: Header=BB278_14 Depth=1
	s_or_b64 exec, exec, s[46:47]
.LBB278_13:                             ;   in Loop: Header=BB278_14 Depth=1
	s_or_b64 exec, exec, s[10:11]
	v_add_co_u32_e64 v8, s[4:5], 8, v8
	v_add_u32_e32 v25, 2, v25
	v_addc_co_u32_e64 v9, s[4:5], 0, v9, s[4:5]
	v_cmp_le_i32_e64 s[4:5], s53, v25
	v_add_u32_e32 v19, 32, v19
	s_or_b64 s[44:45], s[4:5], s[44:45]
	v_add_u32_e32 v20, 0x80, v20
	s_andn2_b64 exec, exec, s[44:45]
	s_cbranch_execz .LBB278_163
.LBB278_14:                             ; =>This Inner Loop Header: Depth=1
	s_waitcnt lgkmcnt(0)
	v_sub_u32_e32 v11, 0, v19
	v_max_i32_e32 v11, v19, v11
	v_mul_hi_u32 v12, v11, s35
	v_mul_lo_u32 v26, v12, s29
	v_sub_u32_e32 v11, v11, v26
	v_add_u32_e32 v26, 1, v12
	v_cmp_le_u32_e64 s[4:5], s29, v11
	v_cndmask_b32_e64 v12, v12, v26, s[4:5]
	v_subrev_u32_e32 v26, s29, v11
	v_cndmask_b32_e64 v11, v11, v26, s[4:5]
	v_ashrrev_i32_e32 v10, 31, v19
	v_add_u32_e32 v26, 1, v12
	v_cmp_le_u32_e64 s[4:5], s29, v11
	v_xor_b32_e32 v10, s52, v10
	v_cndmask_b32_e64 v11, v12, v26, s[4:5]
	v_xor_b32_e32 v11, v11, v10
	v_sub_u32_e32 v10, v11, v10
	v_add_u32_e32 v11, s42, v10
	v_sub_u32_e32 v26, 0, v11
	v_ashrrev_i32_e32 v12, 31, v11
	v_max_i32_e32 v11, v11, v26
	v_mul_hi_u32 v26, v11, v18
	v_mul_lo_u32 v26, v26, s59
	v_sub_u32_e32 v11, v11, v26
	v_subrev_u32_e32 v26, s59, v11
	v_cmp_le_u32_e64 s[4:5], s59, v11
	v_cndmask_b32_e64 v11, v11, v26, s[4:5]
	v_subrev_u32_e32 v26, s59, v11
	v_cmp_le_u32_e64 s[4:5], s59, v11
	v_cndmask_b32_e64 v11, v11, v26, s[4:5]
	v_xor_b32_e32 v11, v11, v12
	v_sub_u32_e32 v11, v11, v12
	v_cmp_ne_u32_e64 s[4:5], 0, v11
	v_cmp_ge_i32_e64 s[10:11], s57, v10
	s_and_b64 s[4:5], s[4:5], s[10:11]
	s_and_b64 s[46:47], vcc, s[4:5]
	s_and_saveexec_b64 s[10:11], s[46:47]
	s_cbranch_execz .LBB278_16
; %bb.15:                               ;   in Loop: Header=BB278_14 Depth=1
	ds_write_b32 v20, v22
.LBB278_16:                             ;   in Loop: Header=BB278_14 Depth=1
	s_or_b64 exec, exec, s[10:11]
	s_xor_b64 s[4:5], s[4:5], -1
	s_and_saveexec_b64 s[10:11], s[4:5]
	s_cbranch_execz .LBB278_13
; %bb.17:                               ;   in Loop: Header=BB278_14 Depth=1
	global_load_dword v10, v[8:9], off
	v_mov_b32_e32 v27, 0
	s_waitcnt vmcnt(0)
	v_mad_i64_i32 v[10:11], s[4:5], v10, s58, v[2:3]
	v_add_co_u32_e64 v10, s[4:5], v10, v4
	v_addc_co_u32_e64 v11, s[4:5], 0, v11, s[4:5]
	global_load_ushort v28, v[10:11], off
	global_load_dword v26, v15, s[12:13]
	s_waitcnt vmcnt(1)
	v_and_b32_e32 v12, 0xffff, v28
	v_cmp_ne_u16_sdwa s[4:5], v28, v15 src0_sel:BYTE_0 src1_sel:DWORD
	v_mov_b32_e32 v28, 0
	s_and_saveexec_b64 s[46:47], s[4:5]
	s_cbranch_execz .LBB278_23
; %bb.18:                               ;   in Loop: Header=BB278_14 Depth=1
	v_cmp_ne_u16_sdwa s[4:5], v12, s60 src0_sel:BYTE_0 src1_sel:DWORD
	v_bfrev_b32_e32 v28, 1
	s_and_saveexec_b64 s[48:49], s[4:5]
	s_cbranch_execz .LBB278_22
; %bb.19:                               ;   in Loop: Header=BB278_14 Depth=1
	v_and_b32_e32 v29, 0x7f, v12
	v_cmp_ne_u32_e64 s[4:5], s61, v29
	v_mov_b32_e32 v28, 0x7fc02000
	s_and_saveexec_b64 s[50:51], s[4:5]
	s_cbranch_execz .LBB278_21
; %bb.20:                               ;   in Loop: Header=BB278_14 Depth=1
	v_and_b32_e32 v28, 7, v12
	v_ffbh_u32_e32 v30, v28
	v_min_u32_e32 v33, 32, v30
	v_subrev_u32_e32 v30, 28, v33
	v_lshlrev_b64 v[30:31], v30, v[12:13]
	v_lshrrev_b32_e32 v32, 3, v29
	v_sub_u32_e32 v31, 29, v33
	v_cmp_gt_u32_e64 s[4:5], 8, v29
	v_and_b32_e32 v30, 7, v30
	v_cndmask_b32_e64 v29, v32, v31, s[4:5]
	v_cndmask_b32_e64 v28, v28, v30, s[4:5]
	v_lshlrev_b32_e32 v30, 8, v12
	v_lshl_add_u32 v29, v29, 10, v23
	v_and_or_b32 v29, v30, s62, v29
	v_lshl_or_b32 v28, v28, 7, v29
	v_cvt_f32_f16_e32 v28, v28
.LBB278_21:                             ;   in Loop: Header=BB278_14 Depth=1
	s_or_b64 exec, exec, s[50:51]
.LBB278_22:                             ;   in Loop: Header=BB278_14 Depth=1
	s_or_b64 exec, exec, s[48:49]
.LBB278_23:                             ;   in Loop: Header=BB278_14 Depth=1
	s_or_b64 exec, exec, s[46:47]
	v_lshrrev_b16_e32 v12, 8, v12
	v_cmp_ne_u16_e64 s[4:5], 0, v12
	s_and_saveexec_b64 s[46:47], s[4:5]
	s_cbranch_execz .LBB278_29
; %bb.24:                               ;   in Loop: Header=BB278_14 Depth=1
	v_cmp_ne_u16_e64 s[4:5], s60, v12
	v_bfrev_b32_e32 v27, 1
	s_and_saveexec_b64 s[48:49], s[4:5]
	s_cbranch_execz .LBB278_28
; %bb.25:                               ;   in Loop: Header=BB278_14 Depth=1
	v_and_b32_e32 v29, 0x7f, v12
	v_cmp_ne_u32_e64 s[4:5], s61, v29
	v_mov_b32_e32 v27, 0x7fc02000
	s_and_saveexec_b64 s[50:51], s[4:5]
	s_cbranch_execz .LBB278_27
; %bb.26:                               ;   in Loop: Header=BB278_14 Depth=1
	v_and_b32_e32 v27, 7, v12
	v_ffbh_u32_e32 v30, v27
	v_min_u32_e32 v33, 32, v30
	v_subrev_u32_e32 v30, 28, v33
	v_lshlrev_b64 v[30:31], v30, v[12:13]
	v_lshrrev_b32_e32 v32, 3, v29
	v_sub_u32_e32 v31, 29, v33
	v_cmp_gt_u32_e64 s[4:5], 8, v29
	v_cndmask_b32_e64 v29, v32, v31, s[4:5]
	v_and_b32_e32 v30, 7, v30
	v_lshlrev_b32_e32 v12, 8, v12
	v_lshl_add_u32 v29, v29, 10, v23
	v_cndmask_b32_e64 v27, v27, v30, s[4:5]
	v_and_or_b32 v12, v12, s62, v29
	v_lshl_or_b32 v12, v27, 7, v12
	v_cvt_f32_f16_e32 v27, v12
.LBB278_27:                             ;   in Loop: Header=BB278_14 Depth=1
	s_or_b64 exec, exec, s[50:51]
.LBB278_28:                             ;   in Loop: Header=BB278_14 Depth=1
	s_or_b64 exec, exec, s[48:49]
.LBB278_29:                             ;   in Loop: Header=BB278_14 Depth=1
	s_or_b64 exec, exec, s[46:47]
	global_load_ushort v30, v[10:11], off offset:8
	v_mov_b32_e32 v29, 0
	s_waitcnt vmcnt(0)
	v_and_b32_e32 v12, 0xffff, v30
	v_cmp_ne_u16_sdwa s[4:5], v30, v15 src0_sel:BYTE_0 src1_sel:DWORD
	v_mov_b32_e32 v30, 0
	s_and_saveexec_b64 s[46:47], s[4:5]
	s_cbranch_execz .LBB278_35
; %bb.30:                               ;   in Loop: Header=BB278_14 Depth=1
	v_cmp_ne_u16_sdwa s[4:5], v12, s60 src0_sel:BYTE_0 src1_sel:DWORD
	v_bfrev_b32_e32 v30, 1
	s_and_saveexec_b64 s[48:49], s[4:5]
	s_cbranch_execz .LBB278_34
; %bb.31:                               ;   in Loop: Header=BB278_14 Depth=1
	v_and_b32_e32 v31, 0x7f, v12
	v_cmp_ne_u32_e64 s[4:5], s61, v31
	v_mov_b32_e32 v30, 0x7fc02000
	s_and_saveexec_b64 s[50:51], s[4:5]
	s_cbranch_execz .LBB278_33
; %bb.32:                               ;   in Loop: Header=BB278_14 Depth=1
	v_and_b32_e32 v30, 7, v12
	v_ffbh_u32_e32 v32, v30
	v_min_u32_e32 v35, 32, v32
	v_subrev_u32_e32 v32, 28, v35
	v_lshlrev_b64 v[32:33], v32, v[12:13]
	v_lshrrev_b32_e32 v34, 3, v31
	v_sub_u32_e32 v33, 29, v35
	v_cmp_gt_u32_e64 s[4:5], 8, v31
	v_and_b32_e32 v32, 7, v32
	v_cndmask_b32_e64 v31, v34, v33, s[4:5]
	v_cndmask_b32_e64 v30, v30, v32, s[4:5]
	v_lshlrev_b32_e32 v32, 8, v12
	v_lshl_add_u32 v31, v31, 10, v23
	v_and_or_b32 v31, v32, s62, v31
	v_lshl_or_b32 v30, v30, 7, v31
	v_cvt_f32_f16_e32 v30, v30
.LBB278_33:                             ;   in Loop: Header=BB278_14 Depth=1
	s_or_b64 exec, exec, s[50:51]
.LBB278_34:                             ;   in Loop: Header=BB278_14 Depth=1
	s_or_b64 exec, exec, s[48:49]
.LBB278_35:                             ;   in Loop: Header=BB278_14 Depth=1
	s_or_b64 exec, exec, s[46:47]
	v_lshrrev_b16_e32 v12, 8, v12
	v_cmp_ne_u16_e64 s[4:5], 0, v12
	s_and_saveexec_b64 s[46:47], s[4:5]
	s_cbranch_execz .LBB278_41
; %bb.36:                               ;   in Loop: Header=BB278_14 Depth=1
	v_cmp_ne_u16_e64 s[4:5], s60, v12
	v_bfrev_b32_e32 v29, 1
	s_and_saveexec_b64 s[48:49], s[4:5]
	s_cbranch_execz .LBB278_40
; %bb.37:                               ;   in Loop: Header=BB278_14 Depth=1
	v_and_b32_e32 v31, 0x7f, v12
	v_cmp_ne_u32_e64 s[4:5], s61, v31
	v_mov_b32_e32 v29, 0x7fc02000
	s_and_saveexec_b64 s[50:51], s[4:5]
	s_cbranch_execz .LBB278_39
; %bb.38:                               ;   in Loop: Header=BB278_14 Depth=1
	v_and_b32_e32 v29, 7, v12
	v_ffbh_u32_e32 v32, v29
	v_min_u32_e32 v35, 32, v32
	v_subrev_u32_e32 v32, 28, v35
	v_lshlrev_b64 v[32:33], v32, v[12:13]
	v_lshrrev_b32_e32 v34, 3, v31
	v_sub_u32_e32 v33, 29, v35
	v_cmp_gt_u32_e64 s[4:5], 8, v31
	v_cndmask_b32_e64 v31, v34, v33, s[4:5]
	v_and_b32_e32 v32, 7, v32
	v_lshlrev_b32_e32 v12, 8, v12
	v_lshl_add_u32 v31, v31, 10, v23
	v_cndmask_b32_e64 v29, v29, v32, s[4:5]
	v_and_or_b32 v12, v12, s62, v31
	v_lshl_or_b32 v12, v29, 7, v12
	v_cvt_f32_f16_e32 v29, v12
.LBB278_39:                             ;   in Loop: Header=BB278_14 Depth=1
	s_or_b64 exec, exec, s[50:51]
.LBB278_40:                             ;   in Loop: Header=BB278_14 Depth=1
	s_or_b64 exec, exec, s[48:49]
.LBB278_41:                             ;   in Loop: Header=BB278_14 Depth=1
	s_or_b64 exec, exec, s[46:47]
	global_load_ushort v32, v[10:11], off offset:256
	v_mov_b32_e32 v31, 0
	s_waitcnt vmcnt(0)
	v_and_b32_e32 v12, 0xffff, v32
	v_cmp_ne_u16_sdwa s[4:5], v32, v15 src0_sel:BYTE_0 src1_sel:DWORD
	v_mov_b32_e32 v32, 0
	s_and_saveexec_b64 s[46:47], s[4:5]
	s_cbranch_execz .LBB278_47
; %bb.42:                               ;   in Loop: Header=BB278_14 Depth=1
	v_cmp_ne_u16_sdwa s[4:5], v12, s60 src0_sel:BYTE_0 src1_sel:DWORD
	v_bfrev_b32_e32 v32, 1
	s_and_saveexec_b64 s[48:49], s[4:5]
	s_cbranch_execz .LBB278_46
; %bb.43:                               ;   in Loop: Header=BB278_14 Depth=1
	v_and_b32_e32 v33, 0x7f, v12
	v_cmp_ne_u32_e64 s[4:5], s61, v33
	v_mov_b32_e32 v32, 0x7fc02000
	s_and_saveexec_b64 s[50:51], s[4:5]
	s_cbranch_execz .LBB278_45
; %bb.44:                               ;   in Loop: Header=BB278_14 Depth=1
	v_and_b32_e32 v32, 7, v12
	v_ffbh_u32_e32 v34, v32
	v_min_u32_e32 v37, 32, v34
	v_subrev_u32_e32 v34, 28, v37
	v_lshlrev_b64 v[34:35], v34, v[12:13]
	v_lshrrev_b32_e32 v36, 3, v33
	v_sub_u32_e32 v35, 29, v37
	v_cmp_gt_u32_e64 s[4:5], 8, v33
	v_and_b32_e32 v34, 7, v34
	v_cndmask_b32_e64 v33, v36, v35, s[4:5]
	v_cndmask_b32_e64 v32, v32, v34, s[4:5]
	v_lshlrev_b32_e32 v34, 8, v12
	v_lshl_add_u32 v33, v33, 10, v23
	v_and_or_b32 v33, v34, s62, v33
	v_lshl_or_b32 v32, v32, 7, v33
	v_cvt_f32_f16_e32 v32, v32
.LBB278_45:                             ;   in Loop: Header=BB278_14 Depth=1
	s_or_b64 exec, exec, s[50:51]
.LBB278_46:                             ;   in Loop: Header=BB278_14 Depth=1
	s_or_b64 exec, exec, s[48:49]
.LBB278_47:                             ;   in Loop: Header=BB278_14 Depth=1
	s_or_b64 exec, exec, s[46:47]
	v_lshrrev_b16_e32 v12, 8, v12
	v_cmp_ne_u16_e64 s[4:5], 0, v12
	s_and_saveexec_b64 s[46:47], s[4:5]
	s_cbranch_execz .LBB278_53
; %bb.48:                               ;   in Loop: Header=BB278_14 Depth=1
	v_cmp_ne_u16_e64 s[4:5], s60, v12
	v_bfrev_b32_e32 v31, 1
	s_and_saveexec_b64 s[48:49], s[4:5]
	s_cbranch_execz .LBB278_52
; %bb.49:                               ;   in Loop: Header=BB278_14 Depth=1
	v_and_b32_e32 v33, 0x7f, v12
	v_cmp_ne_u32_e64 s[4:5], s61, v33
	v_mov_b32_e32 v31, 0x7fc02000
	s_and_saveexec_b64 s[50:51], s[4:5]
	s_cbranch_execz .LBB278_51
; %bb.50:                               ;   in Loop: Header=BB278_14 Depth=1
	v_and_b32_e32 v31, 7, v12
	v_ffbh_u32_e32 v34, v31
	v_min_u32_e32 v37, 32, v34
	v_subrev_u32_e32 v34, 28, v37
	v_lshlrev_b64 v[34:35], v34, v[12:13]
	v_lshrrev_b32_e32 v36, 3, v33
	v_sub_u32_e32 v35, 29, v37
	v_cmp_gt_u32_e64 s[4:5], 8, v33
	v_cndmask_b32_e64 v33, v36, v35, s[4:5]
	v_and_b32_e32 v34, 7, v34
	v_lshlrev_b32_e32 v12, 8, v12
	v_lshl_add_u32 v33, v33, 10, v23
	v_cndmask_b32_e64 v31, v31, v34, s[4:5]
	v_and_or_b32 v12, v12, s62, v33
	v_lshl_or_b32 v12, v31, 7, v12
	v_cvt_f32_f16_e32 v31, v12
.LBB278_51:                             ;   in Loop: Header=BB278_14 Depth=1
	s_or_b64 exec, exec, s[50:51]
.LBB278_52:                             ;   in Loop: Header=BB278_14 Depth=1
	s_or_b64 exec, exec, s[48:49]
.LBB278_53:                             ;   in Loop: Header=BB278_14 Depth=1
	s_or_b64 exec, exec, s[46:47]
	global_load_ushort v34, v[10:11], off offset:264
	v_mov_b32_e32 v33, 0
	s_waitcnt vmcnt(0)
	v_and_b32_e32 v12, 0xffff, v34
	v_cmp_ne_u16_sdwa s[4:5], v34, v15 src0_sel:BYTE_0 src1_sel:DWORD
	v_mov_b32_e32 v34, 0
	s_and_saveexec_b64 s[46:47], s[4:5]
	s_cbranch_execz .LBB278_59
; %bb.54:                               ;   in Loop: Header=BB278_14 Depth=1
	v_cmp_ne_u16_sdwa s[4:5], v12, s60 src0_sel:BYTE_0 src1_sel:DWORD
	v_bfrev_b32_e32 v34, 1
	s_and_saveexec_b64 s[48:49], s[4:5]
	s_cbranch_execz .LBB278_58
; %bb.55:                               ;   in Loop: Header=BB278_14 Depth=1
	v_and_b32_e32 v35, 0x7f, v12
	v_cmp_ne_u32_e64 s[4:5], s61, v35
	v_mov_b32_e32 v34, 0x7fc02000
	s_and_saveexec_b64 s[50:51], s[4:5]
	s_cbranch_execz .LBB278_57
; %bb.56:                               ;   in Loop: Header=BB278_14 Depth=1
	v_and_b32_e32 v34, 7, v12
	v_ffbh_u32_e32 v36, v34
	v_min_u32_e32 v39, 32, v36
	v_subrev_u32_e32 v36, 28, v39
	v_lshlrev_b64 v[36:37], v36, v[12:13]
	v_lshrrev_b32_e32 v38, 3, v35
	v_sub_u32_e32 v37, 29, v39
	v_cmp_gt_u32_e64 s[4:5], 8, v35
	v_and_b32_e32 v36, 7, v36
	v_cndmask_b32_e64 v35, v38, v37, s[4:5]
	v_cndmask_b32_e64 v34, v34, v36, s[4:5]
	v_lshlrev_b32_e32 v36, 8, v12
	v_lshl_add_u32 v35, v35, 10, v23
	v_and_or_b32 v35, v36, s62, v35
	v_lshl_or_b32 v34, v34, 7, v35
	v_cvt_f32_f16_e32 v34, v34
.LBB278_57:                             ;   in Loop: Header=BB278_14 Depth=1
	s_or_b64 exec, exec, s[50:51]
.LBB278_58:                             ;   in Loop: Header=BB278_14 Depth=1
	s_or_b64 exec, exec, s[48:49]
.LBB278_59:                             ;   in Loop: Header=BB278_14 Depth=1
	s_or_b64 exec, exec, s[46:47]
	v_lshrrev_b16_e32 v12, 8, v12
	v_cmp_ne_u16_e64 s[4:5], 0, v12
	s_and_saveexec_b64 s[46:47], s[4:5]
	s_cbranch_execz .LBB278_65
; %bb.60:                               ;   in Loop: Header=BB278_14 Depth=1
	v_cmp_ne_u16_e64 s[4:5], s60, v12
	v_bfrev_b32_e32 v33, 1
	s_and_saveexec_b64 s[48:49], s[4:5]
	s_cbranch_execz .LBB278_64
; %bb.61:                               ;   in Loop: Header=BB278_14 Depth=1
	v_and_b32_e32 v35, 0x7f, v12
	v_cmp_ne_u32_e64 s[4:5], s61, v35
	v_mov_b32_e32 v33, 0x7fc02000
	s_and_saveexec_b64 s[50:51], s[4:5]
	s_cbranch_execz .LBB278_63
; %bb.62:                               ;   in Loop: Header=BB278_14 Depth=1
	v_and_b32_e32 v33, 7, v12
	v_ffbh_u32_e32 v36, v33
	v_min_u32_e32 v39, 32, v36
	v_subrev_u32_e32 v36, 28, v39
	v_lshlrev_b64 v[36:37], v36, v[12:13]
	v_lshrrev_b32_e32 v38, 3, v35
	v_sub_u32_e32 v37, 29, v39
	v_cmp_gt_u32_e64 s[4:5], 8, v35
	v_cndmask_b32_e64 v35, v38, v37, s[4:5]
	v_and_b32_e32 v36, 7, v36
	v_lshlrev_b32_e32 v12, 8, v12
	v_lshl_add_u32 v35, v35, 10, v23
	v_cndmask_b32_e64 v33, v33, v36, s[4:5]
	v_and_or_b32 v12, v12, s62, v35
	v_lshl_or_b32 v12, v33, 7, v12
	v_cvt_f32_f16_e32 v33, v12
.LBB278_63:                             ;   in Loop: Header=BB278_14 Depth=1
	s_or_b64 exec, exec, s[50:51]
.LBB278_64:                             ;   in Loop: Header=BB278_14 Depth=1
	s_or_b64 exec, exec, s[48:49]
.LBB278_65:                             ;   in Loop: Header=BB278_14 Depth=1
	s_or_b64 exec, exec, s[46:47]
	global_load_ushort v36, v[10:11], off offset:512
	v_mov_b32_e32 v35, 0
	s_waitcnt vmcnt(0)
	v_and_b32_e32 v12, 0xffff, v36
	v_cmp_ne_u16_sdwa s[4:5], v36, v15 src0_sel:BYTE_0 src1_sel:DWORD
	v_mov_b32_e32 v36, 0
	s_and_saveexec_b64 s[46:47], s[4:5]
	s_cbranch_execz .LBB278_71
; %bb.66:                               ;   in Loop: Header=BB278_14 Depth=1
	v_cmp_ne_u16_sdwa s[4:5], v12, s60 src0_sel:BYTE_0 src1_sel:DWORD
	v_bfrev_b32_e32 v36, 1
	s_and_saveexec_b64 s[48:49], s[4:5]
	s_cbranch_execz .LBB278_70
; %bb.67:                               ;   in Loop: Header=BB278_14 Depth=1
	v_and_b32_e32 v37, 0x7f, v12
	v_cmp_ne_u32_e64 s[4:5], s61, v37
	v_mov_b32_e32 v36, 0x7fc02000
	s_and_saveexec_b64 s[50:51], s[4:5]
	s_cbranch_execz .LBB278_69
; %bb.68:                               ;   in Loop: Header=BB278_14 Depth=1
	v_and_b32_e32 v36, 7, v12
	v_ffbh_u32_e32 v38, v36
	v_min_u32_e32 v41, 32, v38
	v_subrev_u32_e32 v38, 28, v41
	v_lshlrev_b64 v[38:39], v38, v[12:13]
	v_lshrrev_b32_e32 v40, 3, v37
	v_sub_u32_e32 v39, 29, v41
	v_cmp_gt_u32_e64 s[4:5], 8, v37
	v_and_b32_e32 v38, 7, v38
	v_cndmask_b32_e64 v37, v40, v39, s[4:5]
	v_cndmask_b32_e64 v36, v36, v38, s[4:5]
	v_lshlrev_b32_e32 v38, 8, v12
	v_lshl_add_u32 v37, v37, 10, v23
	v_and_or_b32 v37, v38, s62, v37
	v_lshl_or_b32 v36, v36, 7, v37
	v_cvt_f32_f16_e32 v36, v36
.LBB278_69:                             ;   in Loop: Header=BB278_14 Depth=1
	s_or_b64 exec, exec, s[50:51]
.LBB278_70:                             ;   in Loop: Header=BB278_14 Depth=1
	s_or_b64 exec, exec, s[48:49]
.LBB278_71:                             ;   in Loop: Header=BB278_14 Depth=1
	s_or_b64 exec, exec, s[46:47]
	v_lshrrev_b16_e32 v12, 8, v12
	v_cmp_ne_u16_e64 s[4:5], 0, v12
	s_and_saveexec_b64 s[46:47], s[4:5]
	s_cbranch_execz .LBB278_77
; %bb.72:                               ;   in Loop: Header=BB278_14 Depth=1
	v_cmp_ne_u16_e64 s[4:5], s60, v12
	v_bfrev_b32_e32 v35, 1
	s_and_saveexec_b64 s[48:49], s[4:5]
	s_cbranch_execz .LBB278_76
; %bb.73:                               ;   in Loop: Header=BB278_14 Depth=1
	v_and_b32_e32 v37, 0x7f, v12
	v_cmp_ne_u32_e64 s[4:5], s61, v37
	v_mov_b32_e32 v35, 0x7fc02000
	s_and_saveexec_b64 s[50:51], s[4:5]
	s_cbranch_execz .LBB278_75
; %bb.74:                               ;   in Loop: Header=BB278_14 Depth=1
	v_and_b32_e32 v35, 7, v12
	v_ffbh_u32_e32 v38, v35
	v_min_u32_e32 v41, 32, v38
	v_subrev_u32_e32 v38, 28, v41
	v_lshlrev_b64 v[38:39], v38, v[12:13]
	v_lshrrev_b32_e32 v40, 3, v37
	v_sub_u32_e32 v39, 29, v41
	v_cmp_gt_u32_e64 s[4:5], 8, v37
	v_cndmask_b32_e64 v37, v40, v39, s[4:5]
	v_and_b32_e32 v38, 7, v38
	v_lshlrev_b32_e32 v12, 8, v12
	v_lshl_add_u32 v37, v37, 10, v23
	v_cndmask_b32_e64 v35, v35, v38, s[4:5]
	v_and_or_b32 v12, v12, s62, v37
	v_lshl_or_b32 v12, v35, 7, v12
	v_cvt_f32_f16_e32 v35, v12
.LBB278_75:                             ;   in Loop: Header=BB278_14 Depth=1
	s_or_b64 exec, exec, s[50:51]
.LBB278_76:                             ;   in Loop: Header=BB278_14 Depth=1
	s_or_b64 exec, exec, s[48:49]
.LBB278_77:                             ;   in Loop: Header=BB278_14 Depth=1
	s_or_b64 exec, exec, s[46:47]
	global_load_ushort v38, v[10:11], off offset:520
	v_mov_b32_e32 v37, 0
	s_waitcnt vmcnt(0)
	v_and_b32_e32 v12, 0xffff, v38
	v_cmp_ne_u16_sdwa s[4:5], v38, v15 src0_sel:BYTE_0 src1_sel:DWORD
	v_mov_b32_e32 v38, 0
	s_and_saveexec_b64 s[46:47], s[4:5]
	s_cbranch_execz .LBB278_83
; %bb.78:                               ;   in Loop: Header=BB278_14 Depth=1
	v_cmp_ne_u16_sdwa s[4:5], v12, s60 src0_sel:BYTE_0 src1_sel:DWORD
	v_bfrev_b32_e32 v38, 1
	s_and_saveexec_b64 s[48:49], s[4:5]
	s_cbranch_execz .LBB278_82
; %bb.79:                               ;   in Loop: Header=BB278_14 Depth=1
	v_and_b32_e32 v39, 0x7f, v12
	v_cmp_ne_u32_e64 s[4:5], s61, v39
	v_mov_b32_e32 v38, 0x7fc02000
	s_and_saveexec_b64 s[50:51], s[4:5]
	s_cbranch_execz .LBB278_81
; %bb.80:                               ;   in Loop: Header=BB278_14 Depth=1
	v_and_b32_e32 v38, 7, v12
	v_ffbh_u32_e32 v40, v38
	v_min_u32_e32 v43, 32, v40
	v_subrev_u32_e32 v40, 28, v43
	v_lshlrev_b64 v[40:41], v40, v[12:13]
	v_lshrrev_b32_e32 v42, 3, v39
	v_sub_u32_e32 v41, 29, v43
	v_cmp_gt_u32_e64 s[4:5], 8, v39
	v_and_b32_e32 v40, 7, v40
	v_cndmask_b32_e64 v39, v42, v41, s[4:5]
	v_cndmask_b32_e64 v38, v38, v40, s[4:5]
	v_lshlrev_b32_e32 v40, 8, v12
	v_lshl_add_u32 v39, v39, 10, v23
	v_and_or_b32 v39, v40, s62, v39
	v_lshl_or_b32 v38, v38, 7, v39
	v_cvt_f32_f16_e32 v38, v38
.LBB278_81:                             ;   in Loop: Header=BB278_14 Depth=1
	s_or_b64 exec, exec, s[50:51]
.LBB278_82:                             ;   in Loop: Header=BB278_14 Depth=1
	s_or_b64 exec, exec, s[48:49]
.LBB278_83:                             ;   in Loop: Header=BB278_14 Depth=1
	s_or_b64 exec, exec, s[46:47]
	v_lshrrev_b16_e32 v12, 8, v12
	v_cmp_ne_u16_e64 s[4:5], 0, v12
	s_and_saveexec_b64 s[46:47], s[4:5]
	s_cbranch_execz .LBB278_89
; %bb.84:                               ;   in Loop: Header=BB278_14 Depth=1
	v_cmp_ne_u16_e64 s[4:5], s60, v12
	v_bfrev_b32_e32 v37, 1
	s_and_saveexec_b64 s[48:49], s[4:5]
	s_cbranch_execz .LBB278_88
; %bb.85:                               ;   in Loop: Header=BB278_14 Depth=1
	v_and_b32_e32 v39, 0x7f, v12
	v_cmp_ne_u32_e64 s[4:5], s61, v39
	v_mov_b32_e32 v37, 0x7fc02000
	s_and_saveexec_b64 s[50:51], s[4:5]
	s_cbranch_execz .LBB278_87
; %bb.86:                               ;   in Loop: Header=BB278_14 Depth=1
	v_and_b32_e32 v37, 7, v12
	v_ffbh_u32_e32 v40, v37
	v_min_u32_e32 v43, 32, v40
	v_subrev_u32_e32 v40, 28, v43
	v_lshlrev_b64 v[40:41], v40, v[12:13]
	v_lshrrev_b32_e32 v42, 3, v39
	v_sub_u32_e32 v41, 29, v43
	v_cmp_gt_u32_e64 s[4:5], 8, v39
	v_cndmask_b32_e64 v39, v42, v41, s[4:5]
	v_and_b32_e32 v40, 7, v40
	v_lshlrev_b32_e32 v12, 8, v12
	v_lshl_add_u32 v39, v39, 10, v23
	v_cndmask_b32_e64 v37, v37, v40, s[4:5]
	v_and_or_b32 v12, v12, s62, v39
	v_lshl_or_b32 v12, v37, 7, v12
	v_cvt_f32_f16_e32 v37, v12
.LBB278_87:                             ;   in Loop: Header=BB278_14 Depth=1
	s_or_b64 exec, exec, s[50:51]
.LBB278_88:                             ;   in Loop: Header=BB278_14 Depth=1
	s_or_b64 exec, exec, s[48:49]
.LBB278_89:                             ;   in Loop: Header=BB278_14 Depth=1
	s_or_b64 exec, exec, s[46:47]
	global_load_ushort v40, v[10:11], off offset:768
	v_mov_b32_e32 v39, 0
	s_waitcnt vmcnt(0)
	v_and_b32_e32 v12, 0xffff, v40
	v_cmp_ne_u16_sdwa s[4:5], v40, v15 src0_sel:BYTE_0 src1_sel:DWORD
	v_mov_b32_e32 v40, 0
	s_and_saveexec_b64 s[46:47], s[4:5]
	s_cbranch_execz .LBB278_95
; %bb.90:                               ;   in Loop: Header=BB278_14 Depth=1
	v_cmp_ne_u16_sdwa s[4:5], v12, s60 src0_sel:BYTE_0 src1_sel:DWORD
	v_bfrev_b32_e32 v40, 1
	s_and_saveexec_b64 s[48:49], s[4:5]
	s_cbranch_execz .LBB278_94
; %bb.91:                               ;   in Loop: Header=BB278_14 Depth=1
	v_and_b32_e32 v41, 0x7f, v12
	v_cmp_ne_u32_e64 s[4:5], s61, v41
	v_mov_b32_e32 v40, 0x7fc02000
	s_and_saveexec_b64 s[50:51], s[4:5]
	s_cbranch_execz .LBB278_93
; %bb.92:                               ;   in Loop: Header=BB278_14 Depth=1
	v_and_b32_e32 v40, 7, v12
	v_ffbh_u32_e32 v42, v40
	v_min_u32_e32 v45, 32, v42
	v_subrev_u32_e32 v42, 28, v45
	v_lshlrev_b64 v[42:43], v42, v[12:13]
	v_lshrrev_b32_e32 v44, 3, v41
	v_sub_u32_e32 v43, 29, v45
	v_cmp_gt_u32_e64 s[4:5], 8, v41
	v_and_b32_e32 v42, 7, v42
	v_cndmask_b32_e64 v41, v44, v43, s[4:5]
	v_cndmask_b32_e64 v40, v40, v42, s[4:5]
	v_lshlrev_b32_e32 v42, 8, v12
	v_lshl_add_u32 v41, v41, 10, v23
	v_and_or_b32 v41, v42, s62, v41
	v_lshl_or_b32 v40, v40, 7, v41
	v_cvt_f32_f16_e32 v40, v40
.LBB278_93:                             ;   in Loop: Header=BB278_14 Depth=1
	s_or_b64 exec, exec, s[50:51]
.LBB278_94:                             ;   in Loop: Header=BB278_14 Depth=1
	s_or_b64 exec, exec, s[48:49]
.LBB278_95:                             ;   in Loop: Header=BB278_14 Depth=1
	s_or_b64 exec, exec, s[46:47]
	v_lshrrev_b16_e32 v12, 8, v12
	v_cmp_ne_u16_e64 s[4:5], 0, v12
	s_and_saveexec_b64 s[46:47], s[4:5]
	s_cbranch_execz .LBB278_101
; %bb.96:                               ;   in Loop: Header=BB278_14 Depth=1
	v_cmp_ne_u16_e64 s[4:5], s60, v12
	v_bfrev_b32_e32 v39, 1
	s_and_saveexec_b64 s[48:49], s[4:5]
	s_cbranch_execz .LBB278_100
; %bb.97:                               ;   in Loop: Header=BB278_14 Depth=1
	v_and_b32_e32 v41, 0x7f, v12
	v_cmp_ne_u32_e64 s[4:5], s61, v41
	v_mov_b32_e32 v39, 0x7fc02000
	s_and_saveexec_b64 s[50:51], s[4:5]
	s_cbranch_execz .LBB278_99
; %bb.98:                               ;   in Loop: Header=BB278_14 Depth=1
	v_and_b32_e32 v39, 7, v12
	v_ffbh_u32_e32 v42, v39
	v_min_u32_e32 v45, 32, v42
	v_subrev_u32_e32 v42, 28, v45
	v_lshlrev_b64 v[42:43], v42, v[12:13]
	v_lshrrev_b32_e32 v44, 3, v41
	v_sub_u32_e32 v43, 29, v45
	v_cmp_gt_u32_e64 s[4:5], 8, v41
	v_cndmask_b32_e64 v41, v44, v43, s[4:5]
	v_and_b32_e32 v42, 7, v42
	v_lshlrev_b32_e32 v12, 8, v12
	v_lshl_add_u32 v41, v41, 10, v23
	v_cndmask_b32_e64 v39, v39, v42, s[4:5]
	v_and_or_b32 v12, v12, s62, v41
	v_lshl_or_b32 v12, v39, 7, v12
	v_cvt_f32_f16_e32 v39, v12
.LBB278_99:                             ;   in Loop: Header=BB278_14 Depth=1
	s_or_b64 exec, exec, s[50:51]
.LBB278_100:                            ;   in Loop: Header=BB278_14 Depth=1
	s_or_b64 exec, exec, s[48:49]
.LBB278_101:                            ;   in Loop: Header=BB278_14 Depth=1
	s_or_b64 exec, exec, s[46:47]
	global_load_ushort v42, v[10:11], off offset:776
	v_mov_b32_e32 v41, 0
	s_waitcnt vmcnt(0)
	v_and_b32_e32 v12, 0xffff, v42
	v_cmp_ne_u16_sdwa s[4:5], v42, v15 src0_sel:BYTE_0 src1_sel:DWORD
	v_mov_b32_e32 v42, 0
	s_and_saveexec_b64 s[46:47], s[4:5]
	s_cbranch_execz .LBB278_107
; %bb.102:                              ;   in Loop: Header=BB278_14 Depth=1
	v_cmp_ne_u16_sdwa s[4:5], v12, s60 src0_sel:BYTE_0 src1_sel:DWORD
	v_bfrev_b32_e32 v42, 1
	s_and_saveexec_b64 s[48:49], s[4:5]
	s_cbranch_execz .LBB278_106
; %bb.103:                              ;   in Loop: Header=BB278_14 Depth=1
	v_and_b32_e32 v43, 0x7f, v12
	v_cmp_ne_u32_e64 s[4:5], s61, v43
	v_mov_b32_e32 v42, 0x7fc02000
	s_and_saveexec_b64 s[50:51], s[4:5]
	s_cbranch_execz .LBB278_105
; %bb.104:                              ;   in Loop: Header=BB278_14 Depth=1
	v_and_b32_e32 v42, 7, v12
	v_ffbh_u32_e32 v44, v42
	v_min_u32_e32 v47, 32, v44
	v_subrev_u32_e32 v44, 28, v47
	v_lshlrev_b64 v[44:45], v44, v[12:13]
	v_lshrrev_b32_e32 v46, 3, v43
	v_sub_u32_e32 v45, 29, v47
	v_cmp_gt_u32_e64 s[4:5], 8, v43
	v_and_b32_e32 v44, 7, v44
	v_cndmask_b32_e64 v43, v46, v45, s[4:5]
	v_cndmask_b32_e64 v42, v42, v44, s[4:5]
	v_lshlrev_b32_e32 v44, 8, v12
	v_lshl_add_u32 v43, v43, 10, v23
	v_and_or_b32 v43, v44, s62, v43
	v_lshl_or_b32 v42, v42, 7, v43
	v_cvt_f32_f16_e32 v42, v42
.LBB278_105:                            ;   in Loop: Header=BB278_14 Depth=1
	s_or_b64 exec, exec, s[50:51]
.LBB278_106:                            ;   in Loop: Header=BB278_14 Depth=1
	s_or_b64 exec, exec, s[48:49]
.LBB278_107:                            ;   in Loop: Header=BB278_14 Depth=1
	s_or_b64 exec, exec, s[46:47]
	v_lshrrev_b16_e32 v12, 8, v12
	v_cmp_ne_u16_e64 s[4:5], 0, v12
	s_and_saveexec_b64 s[46:47], s[4:5]
	s_cbranch_execz .LBB278_113
; %bb.108:                              ;   in Loop: Header=BB278_14 Depth=1
	v_cmp_ne_u16_e64 s[4:5], s60, v12
	v_bfrev_b32_e32 v41, 1
	s_and_saveexec_b64 s[48:49], s[4:5]
	s_cbranch_execz .LBB278_112
; %bb.109:                              ;   in Loop: Header=BB278_14 Depth=1
	v_and_b32_e32 v43, 0x7f, v12
	v_cmp_ne_u32_e64 s[4:5], s61, v43
	v_mov_b32_e32 v41, 0x7fc02000
	s_and_saveexec_b64 s[50:51], s[4:5]
	s_cbranch_execz .LBB278_111
; %bb.110:                              ;   in Loop: Header=BB278_14 Depth=1
	v_and_b32_e32 v41, 7, v12
	v_ffbh_u32_e32 v44, v41
	v_min_u32_e32 v47, 32, v44
	v_subrev_u32_e32 v44, 28, v47
	v_lshlrev_b64 v[44:45], v44, v[12:13]
	v_lshrrev_b32_e32 v46, 3, v43
	v_sub_u32_e32 v45, 29, v47
	v_cmp_gt_u32_e64 s[4:5], 8, v43
	v_cndmask_b32_e64 v43, v46, v45, s[4:5]
	v_and_b32_e32 v44, 7, v44
	v_lshlrev_b32_e32 v12, 8, v12
	v_lshl_add_u32 v43, v43, 10, v23
	v_cndmask_b32_e64 v41, v41, v44, s[4:5]
	v_and_or_b32 v12, v12, s62, v43
	v_lshl_or_b32 v12, v41, 7, v12
	v_cvt_f32_f16_e32 v41, v12
.LBB278_111:                            ;   in Loop: Header=BB278_14 Depth=1
	s_or_b64 exec, exec, s[50:51]
.LBB278_112:                            ;   in Loop: Header=BB278_14 Depth=1
	s_or_b64 exec, exec, s[48:49]
.LBB278_113:                            ;   in Loop: Header=BB278_14 Depth=1
	s_or_b64 exec, exec, s[46:47]
	global_load_ushort v44, v[10:11], off offset:1024
	v_mov_b32_e32 v43, 0
	s_waitcnt vmcnt(0)
	v_and_b32_e32 v12, 0xffff, v44
	v_cmp_ne_u16_sdwa s[4:5], v44, v15 src0_sel:BYTE_0 src1_sel:DWORD
	v_mov_b32_e32 v44, 0
	s_and_saveexec_b64 s[46:47], s[4:5]
	s_cbranch_execz .LBB278_119
; %bb.114:                              ;   in Loop: Header=BB278_14 Depth=1
	v_cmp_ne_u16_sdwa s[4:5], v12, s60 src0_sel:BYTE_0 src1_sel:DWORD
	v_bfrev_b32_e32 v44, 1
	s_and_saveexec_b64 s[48:49], s[4:5]
	s_cbranch_execz .LBB278_118
; %bb.115:                              ;   in Loop: Header=BB278_14 Depth=1
	v_and_b32_e32 v45, 0x7f, v12
	v_cmp_ne_u32_e64 s[4:5], s61, v45
	v_mov_b32_e32 v44, 0x7fc02000
	s_and_saveexec_b64 s[50:51], s[4:5]
	s_cbranch_execz .LBB278_117
; %bb.116:                              ;   in Loop: Header=BB278_14 Depth=1
	v_and_b32_e32 v44, 7, v12
	v_ffbh_u32_e32 v46, v44
	v_min_u32_e32 v49, 32, v46
	v_subrev_u32_e32 v46, 28, v49
	v_lshlrev_b64 v[46:47], v46, v[12:13]
	v_lshrrev_b32_e32 v48, 3, v45
	v_sub_u32_e32 v47, 29, v49
	v_cmp_gt_u32_e64 s[4:5], 8, v45
	v_and_b32_e32 v46, 7, v46
	v_cndmask_b32_e64 v45, v48, v47, s[4:5]
	v_cndmask_b32_e64 v44, v44, v46, s[4:5]
	v_lshlrev_b32_e32 v46, 8, v12
	v_lshl_add_u32 v45, v45, 10, v23
	v_and_or_b32 v45, v46, s62, v45
	v_lshl_or_b32 v44, v44, 7, v45
	v_cvt_f32_f16_e32 v44, v44
.LBB278_117:                            ;   in Loop: Header=BB278_14 Depth=1
	s_or_b64 exec, exec, s[50:51]
.LBB278_118:                            ;   in Loop: Header=BB278_14 Depth=1
	s_or_b64 exec, exec, s[48:49]
.LBB278_119:                            ;   in Loop: Header=BB278_14 Depth=1
	s_or_b64 exec, exec, s[46:47]
	v_lshrrev_b16_e32 v12, 8, v12
	v_cmp_ne_u16_e64 s[4:5], 0, v12
	s_and_saveexec_b64 s[46:47], s[4:5]
	s_cbranch_execz .LBB278_125
; %bb.120:                              ;   in Loop: Header=BB278_14 Depth=1
	v_cmp_ne_u16_e64 s[4:5], s60, v12
	v_bfrev_b32_e32 v43, 1
	s_and_saveexec_b64 s[48:49], s[4:5]
	s_cbranch_execz .LBB278_124
; %bb.121:                              ;   in Loop: Header=BB278_14 Depth=1
	v_and_b32_e32 v45, 0x7f, v12
	v_cmp_ne_u32_e64 s[4:5], s61, v45
	v_mov_b32_e32 v43, 0x7fc02000
	s_and_saveexec_b64 s[50:51], s[4:5]
	s_cbranch_execz .LBB278_123
; %bb.122:                              ;   in Loop: Header=BB278_14 Depth=1
	v_and_b32_e32 v43, 7, v12
	v_ffbh_u32_e32 v46, v43
	v_min_u32_e32 v49, 32, v46
	v_subrev_u32_e32 v46, 28, v49
	v_lshlrev_b64 v[46:47], v46, v[12:13]
	v_lshrrev_b32_e32 v48, 3, v45
	v_sub_u32_e32 v47, 29, v49
	v_cmp_gt_u32_e64 s[4:5], 8, v45
	v_cndmask_b32_e64 v45, v48, v47, s[4:5]
	v_and_b32_e32 v46, 7, v46
	v_lshlrev_b32_e32 v12, 8, v12
	v_lshl_add_u32 v45, v45, 10, v23
	v_cndmask_b32_e64 v43, v43, v46, s[4:5]
	v_and_or_b32 v12, v12, s62, v45
	v_lshl_or_b32 v12, v43, 7, v12
	v_cvt_f32_f16_e32 v43, v12
.LBB278_123:                            ;   in Loop: Header=BB278_14 Depth=1
	s_or_b64 exec, exec, s[50:51]
.LBB278_124:                            ;   in Loop: Header=BB278_14 Depth=1
	s_or_b64 exec, exec, s[48:49]
.LBB278_125:                            ;   in Loop: Header=BB278_14 Depth=1
	s_or_b64 exec, exec, s[46:47]
	global_load_ushort v46, v[10:11], off offset:1032
	v_mov_b32_e32 v45, 0
	s_waitcnt vmcnt(0)
	v_and_b32_e32 v12, 0xffff, v46
	v_cmp_ne_u16_sdwa s[4:5], v46, v15 src0_sel:BYTE_0 src1_sel:DWORD
	v_mov_b32_e32 v46, 0
	s_and_saveexec_b64 s[46:47], s[4:5]
	s_cbranch_execz .LBB278_131
; %bb.126:                              ;   in Loop: Header=BB278_14 Depth=1
	v_cmp_ne_u16_sdwa s[4:5], v12, s60 src0_sel:BYTE_0 src1_sel:DWORD
	v_bfrev_b32_e32 v46, 1
	s_and_saveexec_b64 s[48:49], s[4:5]
	s_cbranch_execz .LBB278_130
; %bb.127:                              ;   in Loop: Header=BB278_14 Depth=1
	v_and_b32_e32 v47, 0x7f, v12
	v_cmp_ne_u32_e64 s[4:5], s61, v47
	v_mov_b32_e32 v46, 0x7fc02000
	s_and_saveexec_b64 s[50:51], s[4:5]
	s_cbranch_execz .LBB278_129
; %bb.128:                              ;   in Loop: Header=BB278_14 Depth=1
	v_and_b32_e32 v46, 7, v12
	v_ffbh_u32_e32 v48, v46
	v_min_u32_e32 v51, 32, v48
	v_subrev_u32_e32 v48, 28, v51
	v_lshlrev_b64 v[48:49], v48, v[12:13]
	v_lshrrev_b32_e32 v50, 3, v47
	v_sub_u32_e32 v49, 29, v51
	v_cmp_gt_u32_e64 s[4:5], 8, v47
	v_and_b32_e32 v48, 7, v48
	v_cndmask_b32_e64 v47, v50, v49, s[4:5]
	v_cndmask_b32_e64 v46, v46, v48, s[4:5]
	v_lshlrev_b32_e32 v48, 8, v12
	v_lshl_add_u32 v47, v47, 10, v23
	v_and_or_b32 v47, v48, s62, v47
	v_lshl_or_b32 v46, v46, 7, v47
	v_cvt_f32_f16_e32 v46, v46
.LBB278_129:                            ;   in Loop: Header=BB278_14 Depth=1
	s_or_b64 exec, exec, s[50:51]
.LBB278_130:                            ;   in Loop: Header=BB278_14 Depth=1
	s_or_b64 exec, exec, s[48:49]
.LBB278_131:                            ;   in Loop: Header=BB278_14 Depth=1
	s_or_b64 exec, exec, s[46:47]
	v_lshrrev_b16_e32 v12, 8, v12
	v_cmp_ne_u16_e64 s[4:5], 0, v12
	s_and_saveexec_b64 s[46:47], s[4:5]
	s_cbranch_execz .LBB278_137
; %bb.132:                              ;   in Loop: Header=BB278_14 Depth=1
	v_cmp_ne_u16_e64 s[4:5], s60, v12
	v_bfrev_b32_e32 v45, 1
	s_and_saveexec_b64 s[48:49], s[4:5]
	s_cbranch_execz .LBB278_136
; %bb.133:                              ;   in Loop: Header=BB278_14 Depth=1
	v_and_b32_e32 v47, 0x7f, v12
	v_cmp_ne_u32_e64 s[4:5], s61, v47
	v_mov_b32_e32 v45, 0x7fc02000
	s_and_saveexec_b64 s[50:51], s[4:5]
	s_cbranch_execz .LBB278_135
; %bb.134:                              ;   in Loop: Header=BB278_14 Depth=1
	v_and_b32_e32 v45, 7, v12
	v_ffbh_u32_e32 v48, v45
	v_min_u32_e32 v51, 32, v48
	v_subrev_u32_e32 v48, 28, v51
	v_lshlrev_b64 v[48:49], v48, v[12:13]
	v_lshrrev_b32_e32 v50, 3, v47
	v_sub_u32_e32 v49, 29, v51
	v_cmp_gt_u32_e64 s[4:5], 8, v47
	v_cndmask_b32_e64 v47, v50, v49, s[4:5]
	v_and_b32_e32 v48, 7, v48
	v_lshlrev_b32_e32 v12, 8, v12
	v_lshl_add_u32 v47, v47, 10, v23
	v_cndmask_b32_e64 v45, v45, v48, s[4:5]
	v_and_or_b32 v12, v12, s62, v47
	v_lshl_or_b32 v12, v45, 7, v12
	v_cvt_f32_f16_e32 v45, v12
.LBB278_135:                            ;   in Loop: Header=BB278_14 Depth=1
	s_or_b64 exec, exec, s[50:51]
.LBB278_136:                            ;   in Loop: Header=BB278_14 Depth=1
	s_or_b64 exec, exec, s[48:49]
.LBB278_137:                            ;   in Loop: Header=BB278_14 Depth=1
	s_or_b64 exec, exec, s[46:47]
	global_load_ushort v48, v[10:11], off offset:1280
	v_mov_b32_e32 v47, 0
	s_waitcnt vmcnt(0)
	v_and_b32_e32 v12, 0xffff, v48
	v_cmp_ne_u16_sdwa s[4:5], v48, v15 src0_sel:BYTE_0 src1_sel:DWORD
	v_mov_b32_e32 v48, 0
	s_and_saveexec_b64 s[46:47], s[4:5]
	s_cbranch_execz .LBB278_143
; %bb.138:                              ;   in Loop: Header=BB278_14 Depth=1
	v_cmp_ne_u16_sdwa s[4:5], v12, s60 src0_sel:BYTE_0 src1_sel:DWORD
	v_bfrev_b32_e32 v48, 1
	s_and_saveexec_b64 s[48:49], s[4:5]
	s_cbranch_execz .LBB278_142
; %bb.139:                              ;   in Loop: Header=BB278_14 Depth=1
	v_and_b32_e32 v49, 0x7f, v12
	v_cmp_ne_u32_e64 s[4:5], s61, v49
	v_mov_b32_e32 v48, 0x7fc02000
	s_and_saveexec_b64 s[50:51], s[4:5]
	s_cbranch_execz .LBB278_141
; %bb.140:                              ;   in Loop: Header=BB278_14 Depth=1
	v_and_b32_e32 v48, 7, v12
	v_ffbh_u32_e32 v50, v48
	v_min_u32_e32 v53, 32, v50
	v_subrev_u32_e32 v50, 28, v53
	v_lshlrev_b64 v[50:51], v50, v[12:13]
	v_lshrrev_b32_e32 v52, 3, v49
	v_sub_u32_e32 v51, 29, v53
	v_cmp_gt_u32_e64 s[4:5], 8, v49
	v_and_b32_e32 v50, 7, v50
	v_cndmask_b32_e64 v49, v52, v51, s[4:5]
	v_cndmask_b32_e64 v48, v48, v50, s[4:5]
	v_lshlrev_b32_e32 v50, 8, v12
	v_lshl_add_u32 v49, v49, 10, v23
	v_and_or_b32 v49, v50, s62, v49
	v_lshl_or_b32 v48, v48, 7, v49
	v_cvt_f32_f16_e32 v48, v48
.LBB278_141:                            ;   in Loop: Header=BB278_14 Depth=1
	s_or_b64 exec, exec, s[50:51]
.LBB278_142:                            ;   in Loop: Header=BB278_14 Depth=1
	s_or_b64 exec, exec, s[48:49]
.LBB278_143:                            ;   in Loop: Header=BB278_14 Depth=1
	s_or_b64 exec, exec, s[46:47]
	v_lshrrev_b16_e32 v12, 8, v12
	v_cmp_ne_u16_e64 s[4:5], 0, v12
	s_and_saveexec_b64 s[46:47], s[4:5]
	s_cbranch_execz .LBB278_149
; %bb.144:                              ;   in Loop: Header=BB278_14 Depth=1
	v_cmp_ne_u16_e64 s[4:5], s60, v12
	v_bfrev_b32_e32 v47, 1
	s_and_saveexec_b64 s[48:49], s[4:5]
	s_cbranch_execz .LBB278_148
; %bb.145:                              ;   in Loop: Header=BB278_14 Depth=1
	v_and_b32_e32 v49, 0x7f, v12
	v_cmp_ne_u32_e64 s[4:5], s61, v49
	v_mov_b32_e32 v47, 0x7fc02000
	s_and_saveexec_b64 s[50:51], s[4:5]
	s_cbranch_execz .LBB278_147
; %bb.146:                              ;   in Loop: Header=BB278_14 Depth=1
	v_and_b32_e32 v47, 7, v12
	v_ffbh_u32_e32 v50, v47
	v_min_u32_e32 v53, 32, v50
	v_subrev_u32_e32 v50, 28, v53
	v_lshlrev_b64 v[50:51], v50, v[12:13]
	v_lshrrev_b32_e32 v52, 3, v49
	v_sub_u32_e32 v51, 29, v53
	v_cmp_gt_u32_e64 s[4:5], 8, v49
	v_cndmask_b32_e64 v49, v52, v51, s[4:5]
	v_and_b32_e32 v50, 7, v50
	v_lshlrev_b32_e32 v12, 8, v12
	v_lshl_add_u32 v49, v49, 10, v23
	v_cndmask_b32_e64 v47, v47, v50, s[4:5]
	v_and_or_b32 v12, v12, s62, v49
	v_lshl_or_b32 v12, v47, 7, v12
	v_cvt_f32_f16_e32 v47, v12
.LBB278_147:                            ;   in Loop: Header=BB278_14 Depth=1
	s_or_b64 exec, exec, s[50:51]
.LBB278_148:                            ;   in Loop: Header=BB278_14 Depth=1
	s_or_b64 exec, exec, s[48:49]
.LBB278_149:                            ;   in Loop: Header=BB278_14 Depth=1
	s_or_b64 exec, exec, s[46:47]
	global_load_ushort v12, v[10:11], off offset:1288
	v_mov_b32_e32 v11, 0
	s_waitcnt vmcnt(0)
	v_and_b32_e32 v10, 0xffff, v12
	v_cmp_ne_u16_sdwa s[4:5], v12, v15 src0_sel:BYTE_0 src1_sel:DWORD
	v_mov_b32_e32 v12, 0
	s_and_saveexec_b64 s[46:47], s[4:5]
	s_cbranch_execz .LBB278_155
; %bb.150:                              ;   in Loop: Header=BB278_14 Depth=1
	v_cmp_ne_u16_sdwa s[4:5], v10, s60 src0_sel:BYTE_0 src1_sel:DWORD
	v_bfrev_b32_e32 v12, 1
	s_and_saveexec_b64 s[48:49], s[4:5]
	s_cbranch_execz .LBB278_154
; %bb.151:                              ;   in Loop: Header=BB278_14 Depth=1
	v_and_b32_e32 v49, 0x7f, v10
	v_cmp_ne_u32_e64 s[4:5], s61, v49
	v_mov_b32_e32 v12, 0x7fc02000
	s_and_saveexec_b64 s[50:51], s[4:5]
	s_cbranch_execz .LBB278_153
; %bb.152:                              ;   in Loop: Header=BB278_14 Depth=1
	v_and_b32_e32 v12, 7, v10
	v_ffbh_u32_e32 v50, v12
	v_min_u32_e32 v53, 32, v50
	v_subrev_u32_e32 v50, 28, v53
	v_lshlrev_b64 v[50:51], v50, v[10:11]
	v_lshrrev_b32_e32 v52, 3, v49
	v_sub_u32_e32 v51, 29, v53
	v_cmp_gt_u32_e64 s[4:5], 8, v49
	v_and_b32_e32 v50, 7, v50
	v_cndmask_b32_e64 v49, v52, v51, s[4:5]
	v_cndmask_b32_e64 v12, v12, v50, s[4:5]
	v_lshlrev_b32_e32 v50, 8, v10
	v_lshl_add_u32 v49, v49, 10, v23
	v_and_or_b32 v49, v50, s62, v49
	v_lshl_or_b32 v12, v12, 7, v49
	v_cvt_f32_f16_e32 v12, v12
.LBB278_153:                            ;   in Loop: Header=BB278_14 Depth=1
	s_or_b64 exec, exec, s[50:51]
.LBB278_154:                            ;   in Loop: Header=BB278_14 Depth=1
	s_or_b64 exec, exec, s[48:49]
.LBB278_155:                            ;   in Loop: Header=BB278_14 Depth=1
	s_or_b64 exec, exec, s[46:47]
	v_lshrrev_b16_e32 v10, 8, v10
	v_cmp_ne_u16_e64 s[4:5], 0, v10
	s_and_saveexec_b64 s[46:47], s[4:5]
	s_cbranch_execz .LBB278_161
; %bb.156:                              ;   in Loop: Header=BB278_14 Depth=1
	v_cmp_ne_u16_e64 s[4:5], s60, v10
	v_bfrev_b32_e32 v11, 1
	s_and_saveexec_b64 s[48:49], s[4:5]
	s_cbranch_execz .LBB278_160
; %bb.157:                              ;   in Loop: Header=BB278_14 Depth=1
	v_and_b32_e32 v49, 0x7f, v10
	v_cmp_ne_u32_e64 s[4:5], s61, v49
	v_mov_b32_e32 v11, 0x7fc02000
	s_and_saveexec_b64 s[50:51], s[4:5]
	s_cbranch_execz .LBB278_159
; %bb.158:                              ;   in Loop: Header=BB278_14 Depth=1
	v_and_b32_e32 v11, 7, v10
	v_ffbh_u32_e32 v50, v11
	v_min_u32_e32 v53, 32, v50
	v_subrev_u32_e32 v50, 28, v53
	v_lshlrev_b64 v[50:51], v50, v[10:11]
	v_lshrrev_b32_e32 v52, 3, v49
	v_sub_u32_e32 v51, 29, v53
	v_cmp_gt_u32_e64 s[4:5], 8, v49
	v_cndmask_b32_e64 v49, v52, v51, s[4:5]
	v_and_b32_e32 v50, 7, v50
	v_lshlrev_b32_e32 v10, 8, v10
	v_lshl_add_u32 v49, v49, 10, v23
	v_cndmask_b32_e64 v11, v11, v50, s[4:5]
	v_and_or_b32 v10, v10, s62, v49
	v_lshl_or_b32 v10, v11, 7, v10
	v_cvt_f32_f16_e32 v11, v10
.LBB278_159:                            ;   in Loop: Header=BB278_14 Depth=1
	s_or_b64 exec, exec, s[50:51]
.LBB278_160:                            ;   in Loop: Header=BB278_14 Depth=1
	s_or_b64 exec, exec, s[48:49]
.LBB278_161:                            ;   in Loop: Header=BB278_14 Depth=1
	s_or_b64 exec, exec, s[46:47]
	ds_read_b32 v10, v16
	v_fma_mixlo_f16 v28, v26, v28, 0
	v_fma_mixlo_f16 v27, v26, v27, 0
	v_and_b32_e32 v28, 0xffff, v28
	v_and_b32_e32 v27, 0xffff, v27
	s_waitcnt lgkmcnt(0)
	v_lshrrev_b32_e32 v49, 16, v10
	v_and_b32_e32 v10, 0xffff, v10
	;;#ASMSTART
	v_cvt_f32_f16 v10, v10;
	;;#ASMEND
	;;#ASMSTART
	v_cvt_f32_f16 v49, v49;
	;;#ASMEND
	;;#ASMSTART
	v_cvt_f32_f16 v28, v28;
	;;#ASMEND
	;;#ASMSTART
	v_cvt_f32_f16 v27, v27;
	;;#ASMEND
	ds_read_b32 v50, v16 offset:4
	v_fma_mixlo_f16 v30, v26, v30, 0
	v_fma_mixlo_f16 v29, v26, v29, 0
	v_and_b32_e32 v30, 0xffff, v30
	v_and_b32_e32 v29, 0xffff, v29
	s_waitcnt lgkmcnt(0)
	v_lshrrev_b32_e32 v51, 16, v50
	v_and_b32_e32 v50, 0xffff, v50
	;;#ASMSTART
	v_cvt_f32_f16 v50, v50;
	;;#ASMEND
	;;#ASMSTART
	v_cvt_f32_f16 v51, v51;
	;;#ASMEND
	;;#ASMSTART
	v_cvt_f32_f16 v30, v30;
	;;#ASMEND
	;;#ASMSTART
	v_cvt_f32_f16 v29, v29;
	;;#ASMEND
	ds_read_b32 v52, v16 offset:8
	v_fma_mixlo_f16 v32, v26, v32, 0
	v_fma_mixlo_f16 v31, v26, v31, 0
	v_and_b32_e32 v32, 0xffff, v32
	v_and_b32_e32 v31, 0xffff, v31
	s_waitcnt lgkmcnt(0)
	v_lshrrev_b32_e32 v53, 16, v52
	v_and_b32_e32 v52, 0xffff, v52
	;;#ASMSTART
	v_cvt_f32_f16 v52, v52;
	;;#ASMEND
	;;#ASMSTART
	v_cvt_f32_f16 v53, v53;
	;;#ASMEND
	;;#ASMSTART
	v_cvt_f32_f16 v32, v32;
	;;#ASMEND
	;;#ASMSTART
	v_cvt_f32_f16 v31, v31;
	;;#ASMEND
	ds_read_b32 v54, v16 offset:12
	v_fma_mixlo_f16 v34, v26, v34, 0
	v_fma_mixlo_f16 v33, v26, v33, 0
	v_and_b32_e32 v34, 0xffff, v34
	v_and_b32_e32 v33, 0xffff, v33
	s_waitcnt lgkmcnt(0)
	v_lshrrev_b32_e32 v55, 16, v54
	v_and_b32_e32 v54, 0xffff, v54
	;;#ASMSTART
	v_cvt_f32_f16 v54, v54;
	;;#ASMEND
	;;#ASMSTART
	v_cvt_f32_f16 v55, v55;
	;;#ASMEND
	;;#ASMSTART
	v_cvt_f32_f16 v34, v34;
	;;#ASMEND
	;;#ASMSTART
	v_cvt_f32_f16 v33, v33;
	;;#ASMEND
	ds_read_b32 v56, v16 offset:16
	v_fma_mixlo_f16 v36, v26, v36, 0
	v_fma_mixlo_f16 v35, v26, v35, 0
	v_and_b32_e32 v36, 0xffff, v36
	v_and_b32_e32 v35, 0xffff, v35
	s_waitcnt lgkmcnt(0)
	v_lshrrev_b32_e32 v57, 16, v56
	v_and_b32_e32 v56, 0xffff, v56
	;;#ASMSTART
	v_cvt_f32_f16 v56, v56;
	;;#ASMEND
	;;#ASMSTART
	v_cvt_f32_f16 v57, v57;
	;;#ASMEND
	;;#ASMSTART
	v_cvt_f32_f16 v36, v36;
	;;#ASMEND
	;;#ASMSTART
	v_cvt_f32_f16 v35, v35;
	;;#ASMEND
	ds_read_b32 v58, v16 offset:20
	v_fma_mixlo_f16 v38, v26, v38, 0
	v_fma_mixlo_f16 v37, v26, v37, 0
	v_and_b32_e32 v38, 0xffff, v38
	v_and_b32_e32 v37, 0xffff, v37
	s_waitcnt lgkmcnt(0)
	v_lshrrev_b32_e32 v59, 16, v58
	v_and_b32_e32 v58, 0xffff, v58
	;;#ASMSTART
	v_cvt_f32_f16 v58, v58;
	;;#ASMEND
	;;#ASMSTART
	v_cvt_f32_f16 v59, v59;
	;;#ASMEND
	;;#ASMSTART
	v_cvt_f32_f16 v38, v38;
	;;#ASMEND
	;;#ASMSTART
	v_cvt_f32_f16 v37, v37;
	;;#ASMEND
	ds_read_b32 v60, v16 offset:24
	v_fma_mixlo_f16 v48, v26, v48, 0
	v_fma_mixlo_f16 v47, v26, v47, 0
	;; [unrolled: 1-line block ×12, first 2 shown]
	v_mul_f32_e32 v26, v50, v30
	v_fmac_f32_e32 v26, v10, v28
	s_waitcnt lgkmcnt(0)
	v_lshrrev_b32_e32 v10, 16, v60
	v_and_b32_e32 v28, 0xffff, v60
	v_and_b32_e32 v30, 0xffff, v40
	;; [unrolled: 1-line block ×3, first 2 shown]
	;;#ASMSTART
	v_cvt_f32_f16 v28, v28;
	;;#ASMEND
	;;#ASMSTART
	v_cvt_f32_f16 v10, v10;
	;;#ASMEND
	;; [unrolled: 3-line block ×4, first 2 shown]
	ds_read_b32 v40, v16 offset:28
	v_mul_f32_e32 v29, v51, v29
	v_fmac_f32_e32 v29, v49, v27
	v_fmac_f32_e32 v26, v52, v32
	v_fmac_f32_e32 v29, v53, v31
	s_waitcnt lgkmcnt(0)
	v_lshrrev_b32_e32 v27, 16, v40
	v_and_b32_e32 v31, 0xffff, v40
	v_and_b32_e32 v32, 0xffff, v42
	v_and_b32_e32 v40, 0xffff, v41
	;;#ASMSTART
	v_cvt_f32_f16 v31, v31;
	;;#ASMEND
	;;#ASMSTART
	v_cvt_f32_f16 v27, v27;
	;;#ASMEND
	;;#ASMSTART
	v_cvt_f32_f16 v32, v32;
	;;#ASMEND
	;;#ASMSTART
	v_cvt_f32_f16 v40, v40;
	;;#ASMEND
	ds_read_b32 v41, v16 offset:32
	v_fmac_f32_e32 v26, v54, v34
	v_fmac_f32_e32 v29, v55, v33
	v_fmac_f32_e32 v26, v56, v36
	v_fmac_f32_e32 v29, v57, v35
	s_waitcnt lgkmcnt(0)
	v_lshrrev_b32_e32 v33, 16, v41
	v_and_b32_e32 v34, 0xffff, v41
	v_and_b32_e32 v35, 0xffff, v44
	v_and_b32_e32 v36, 0xffff, v43
	;;#ASMSTART
	v_cvt_f32_f16 v34, v34;
	;;#ASMEND
	;;#ASMSTART
	v_cvt_f32_f16 v33, v33;
	;;#ASMEND
	;;#ASMSTART
	v_cvt_f32_f16 v35, v35;
	;;#ASMEND
	;;#ASMSTART
	v_cvt_f32_f16 v36, v36;
	;;#ASMEND
	ds_read_b32 v41, v16 offset:36
	v_fmac_f32_e32 v26, v58, v38
	;; [unrolled: 22-line block ×3, first 2 shown]
	v_fmac_f32_e32 v26, v31, v32
	v_fmac_f32_e32 v29, v33, v36
	v_and_b32_e32 v32, 0xffff, v48
	s_waitcnt lgkmcnt(0)
	v_lshrrev_b32_e32 v27, 16, v38
	v_and_b32_e32 v31, 0xffff, v38
	v_and_b32_e32 v33, 0xffff, v47
	v_fmac_f32_e32 v26, v34, v35
	;;#ASMSTART
	v_cvt_f32_f16 v31, v31;
	;;#ASMEND
	;;#ASMSTART
	v_cvt_f32_f16 v27, v27;
	;;#ASMEND
	;; [unrolled: 3-line block ×4, first 2 shown]
	ds_read_b32 v34, v16 offset:44
	v_fmac_f32_e32 v29, v10, v37
	v_fmac_f32_e32 v29, v27, v33
	v_and_b32_e32 v12, 0xffff, v12
	v_and_b32_e32 v11, 0xffff, v11
	s_waitcnt lgkmcnt(0)
	v_lshrrev_b32_e32 v10, 16, v34
	v_and_b32_e32 v27, 0xffff, v34
	v_fmac_f32_e32 v26, v28, v30
	;;#ASMSTART
	v_cvt_f32_f16 v27, v27;
	;;#ASMEND
	;;#ASMSTART
	v_cvt_f32_f16 v10, v10;
	;;#ASMEND
	;; [unrolled: 3-line block ×4, first 2 shown]
	v_fmac_f32_e32 v26, v31, v32
	v_fmac_f32_e32 v29, v10, v11
	v_and_b32_e32 v11, 64, v24
	v_fmac_f32_e32 v26, v27, v12
	v_add_u32_e32 v11, 64, v11
	v_xor_b32_e32 v12, 2, v24
	v_cmp_lt_i32_e64 s[4:5], v12, v11
	v_cndmask_b32_e64 v12, v24, v12, s[4:5]
	v_add_f32_e32 v10, v26, v29
	v_lshlrev_b32_e32 v12, 2, v12
	ds_bpermute_b32 v12, v12, v10
	s_waitcnt lgkmcnt(0)
	v_add_f32_e32 v10, v10, v12
	v_xor_b32_e32 v12, 1, v24
	v_cmp_lt_i32_e64 s[4:5], v12, v11
	v_cndmask_b32_e64 v11, v24, v12, s[4:5]
	v_lshlrev_b32_e32 v11, 2, v11
	ds_bpermute_b32 v11, v11, v10
	s_and_saveexec_b64 s[46:47], vcc
	s_cbranch_execz .LBB278_12
; %bb.162:                              ;   in Loop: Header=BB278_14 Depth=1
	v_add_u32_e32 v12, v21, v19
	v_cvt_f32_i32_e32 v12, v12
	s_waitcnt lgkmcnt(0)
	v_add_f32_e32 v10, v10, v11
	v_add_u32_e32 v26, v14, v19
	v_cmp_gt_i32_e64 s[4:5], s33, v26
	v_mul_f32_e32 v11, s55, v12
	v_cndmask_b32_e64 v11, 0, v11, s[2:3]
	v_fmac_f32_e32 v11, s43, v10
	v_cndmask_b32_e64 v10, 0, v11, s[4:5]
	ds_write_b32 v20, v10
	v_max_f32_e32 v10, v17, v17
	v_max_f32_e32 v10, v10, v11
	v_cndmask_b32_e64 v17, v17, v10, s[4:5]
	s_branch .LBB278_12
.LBB278_163:
	s_or_b64 exec, exec, s[44:45]
.LBB278_164:
	s_or_b64 exec, exec, s[18:19]
	v_mbcnt_hi_u32_b32 v2, -1, v13
	v_and_b32_e32 v3, 64, v2
	v_add_u32_e32 v3, 64, v3
	v_xor_b32_e32 v4, 32, v2
	v_cmp_lt_i32_e32 vcc, v4, v3
	v_cndmask_b32_e32 v4, v2, v4, vcc
	v_lshlrev_b32_e32 v8, 2, v4
	ds_bpermute_b32 v4, v8, v17
	v_xor_b32_e32 v10, 16, v2
	v_max_f32_e32 v9, v17, v17
	v_cmp_lt_i32_e32 vcc, v10, v3
	s_waitcnt lgkmcnt(1)
	v_xor_b32_e32 v11, 8, v2
	s_waitcnt lgkmcnt(0)
	v_max_f32_e32 v4, v4, v4
	v_max_f32_e32 v4, v9, v4
	v_cndmask_b32_e32 v9, v2, v10, vcc
	v_lshlrev_b32_e32 v9, 2, v9
	ds_bpermute_b32 v10, v9, v4
	v_cmp_lt_i32_e32 vcc, v11, v3
	v_and_b32_e32 v17, 63, v0
	s_waitcnt lgkmcnt(0)
	v_max_f32_e32 v10, v10, v10
	v_max_f32_e32 v4, v4, v10
	v_cndmask_b32_e32 v10, v2, v11, vcc
	v_lshlrev_b32_e32 v12, 2, v10
	ds_bpermute_b32 v10, v12, v4
	v_xor_b32_e32 v11, 4, v2
	v_cmp_lt_i32_e32 vcc, v11, v3
	s_waitcnt lgkmcnt(0)
	v_max_f32_e32 v10, v10, v10
	v_max_f32_e32 v4, v4, v10
	v_cndmask_b32_e32 v10, v2, v11, vcc
	v_lshlrev_b32_e32 v13, 2, v10
	ds_bpermute_b32 v11, v13, v4
	v_cmp_eq_u32_e32 vcc, 0, v17
	v_lshlrev_b32_e32 v10, 2, v5
	s_and_saveexec_b64 s[2:3], vcc
	s_cbranch_execz .LBB278_166
; %bb.165:
	s_waitcnt lgkmcnt(0)
	v_max_f32_e32 v11, v11, v11
	v_max_f32_e32 v4, v4, v4
	v_max_f32_e32 v4, v4, v11
	ds_write_b32 v10, v4 offset:192
.LBB278_166:
	s_or_b64 exec, exec, s[2:3]
	v_cmp_gt_u32_e64 s[2:3], 2, v17
	v_mov_b32_e32 v4, 0xff7fffff
	s_waitcnt lgkmcnt(0)
	v_lshlrev_b32_e32 v11, 2, v17
	s_barrier
	s_and_saveexec_b64 s[4:5], s[2:3]
	s_cbranch_execz .LBB278_168
; %bb.167:
	ds_read_b32 v4, v11 offset:192
.LBB278_168:
	s_or_b64 exec, exec, s[4:5]
	v_xor_b32_e32 v14, 1, v2
	v_cmp_lt_i32_e64 s[4:5], v14, v3
	v_cndmask_b32_e64 v14, v2, v14, s[4:5]
	v_lshlrev_b32_e32 v24, 2, v14
	s_waitcnt lgkmcnt(0)
	ds_bpermute_b32 v14, v24, v4
	v_max_f32_e32 v4, v4, v4
	s_sub_i32 s4, s53, s56
	s_lshl_b32 s4, s4, 4
	s_add_i32 s4, s4, s54
	s_waitcnt lgkmcnt(0)
	v_max_f32_e32 v14, v14, v14
	v_max_f32_e32 v4, v4, v14
	v_lshlrev_b32_e32 v14, 2, v2
	v_and_b32_e32 v14, 0x100, v14
	ds_bpermute_b32 v4, v14, v4
	s_min_i32 s44, s4, s33
	s_sub_i32 s43, s44, s54
	v_cmp_gt_i32_e64 s[4:5], s43, v0
	v_mov_b32_e32 v15, 0
	s_and_saveexec_b64 s[12:13], s[4:5]
	s_cbranch_execz .LBB278_172
; %bb.169:
	v_mov_b32_e32 v15, 0xd0
	v_lshl_add_u32 v16, v0, 2, v15
	s_mov_b64 s[18:19], 0
	v_mov_b32_e32 v15, 0
	v_mov_b32_e32 v18, v0
.LBB278_170:                            ; =>This Inner Loop Header: Depth=1
	ds_read_b32 v19, v16
	v_add_u32_e32 v18, 0x80, v18
	v_cmp_le_i32_e64 s[10:11], s43, v18
	s_or_b64 s[18:19], s[10:11], s[18:19]
	s_waitcnt lgkmcnt(0)
	v_sub_f32_e32 v19, v19, v4
	v_mul_f32_e32 v19, 0x3fb8aa3b, v19
	v_exp_f32_e32 v19, v19
	ds_write_b32 v16, v19
	v_add_f32_e32 v15, v15, v19
	v_add_u32_e32 v16, 0x200, v16
	s_andn2_b64 exec, exec, s[18:19]
	s_cbranch_execnz .LBB278_170
; %bb.171:
	s_or_b64 exec, exec, s[18:19]
.LBB278_172:
	s_or_b64 exec, exec, s[12:13]
	ds_bpermute_b32 v8, v8, v15
	s_waitcnt lgkmcnt(0)
	v_add_f32_e32 v8, v15, v8
	ds_bpermute_b32 v9, v9, v8
	s_waitcnt lgkmcnt(0)
	v_add_f32_e32 v8, v8, v9
	ds_bpermute_b32 v9, v12, v8
	v_xor_b32_e32 v12, 2, v2
	v_cmp_lt_i32_e64 s[10:11], v12, v3
	v_cndmask_b32_e64 v2, v2, v12, s[10:11]
	v_lshlrev_b32_e32 v2, 2, v2
	s_waitcnt lgkmcnt(0)
	v_add_f32_e32 v8, v8, v9
	ds_bpermute_b32 v9, v13, v8
	s_waitcnt lgkmcnt(0)
	v_add_f32_e32 v3, v8, v9
	ds_bpermute_b32 v2, v2, v3
	;; [unrolled: 3-line block ×3, first 2 shown]
	s_waitcnt lgkmcnt(0)
	v_add_f32_e32 v2, v2, v3
	s_and_saveexec_b64 s[10:11], vcc
	s_cbranch_execz .LBB278_174
; %bb.173:
	ds_write_b32 v10, v2 offset:200
.LBB278_174:
	s_or_b64 exec, exec, s[10:11]
	s_waitcnt lgkmcnt(0)
	s_barrier
	s_and_saveexec_b64 s[10:11], s[2:3]
	s_cbranch_execz .LBB278_176
; %bb.175:
	ds_read_b32 v2, v11 offset:200
.LBB278_176:
	s_or_b64 exec, exec, s[10:11]
	s_waitcnt lgkmcnt(0)
	ds_bpermute_b32 v3, v24, v2
	s_waitcnt lgkmcnt(0)
	v_add_f32_e32 v2, v2, v3
	ds_bpermute_b32 v8, v14, v2
	s_and_saveexec_b64 s[2:3], s[4:5]
	s_cbranch_execz .LBB278_189
; %bb.177:
	s_waitcnt lgkmcnt(0)
	v_add_f32_e32 v2, 0x358637bd, v8
	v_div_scale_f32 v3, s[4:5], v2, v2, 1.0
	v_rcp_f32_e32 v9, v3
	v_div_scale_f32 v10, vcc, 1.0, v2, 1.0
	s_movk_i32 s4, 0x7f
	v_fma_f32 v11, -v3, v9, 1.0
	v_fmac_f32_e32 v9, v11, v9
	v_mul_f32_e32 v11, v10, v9
	v_fma_f32 v12, -v3, v11, v10
	v_fmac_f32_e32 v11, v12, v9
	v_fma_f32 v3, -v3, v11, v10
	v_div_fmas_f32 v3, v3, v9, v11
	v_div_fixup_f32 v2, v3, v2, 1.0
	v_xad_u32 v3, v0, -1, s44
	v_subrev_u32_e32 v9, s54, v3
	v_cmp_lt_u32_e32 vcc, s4, v9
	s_mov_b64 s[10:11], -1
	v_mov_b32_e32 v3, v0
	s_and_saveexec_b64 s[4:5], vcc
	s_cbranch_execz .LBB278_186
; %bb.178:
	v_lshrrev_b32_e32 v9, 7, v9
	v_add_u32_e32 v11, -1, v9
	v_lshrrev_b32_e32 v10, 1, v11
	v_mov_b32_e32 v3, v2
	v_add_u32_e32 v10, 1, v10
	v_cmp_lt_u32_e32 vcc, 13, v11
	v_mov_b32_e32 v13, 0
	s_and_saveexec_b64 s[10:11], vcc
	s_cbranch_execz .LBB278_182
; %bb.179:
	v_mov_b32_e32 v12, 0xd0
	v_and_b32_e32 v11, -8, v10
	v_lshl_add_u32 v12, v0, 2, v12
	s_mov_b32 s18, 0
	s_mov_b64 s[12:13], 0
.LBB278_180:                            ; =>This Inner Loop Header: Depth=1
	ds_read2st64_b32 v[14:15], v12 offset1:2
	ds_read2st64_b32 v[18:19], v12 offset0:4 offset1:6
	ds_read2st64_b32 v[20:21], v12 offset0:8 offset1:10
	ds_read2st64_b32 v[22:23], v12 offset0:12 offset1:14
	v_add_u32_e32 v11, -8, v11
	s_waitcnt lgkmcnt(3)
	v_pk_mul_f32 v[14:15], v[2:3], v[14:15]
	s_waitcnt lgkmcnt(2)
	v_pk_mul_f32 v[18:19], v[2:3], v[18:19]
	ds_write2st64_b32 v12, v14, v15 offset1:2
	ds_write2st64_b32 v12, v18, v19 offset0:4 offset1:6
	ds_read2st64_b32 v[18:19], v12 offset0:16 offset1:18
	s_waitcnt lgkmcnt(4)
	v_pk_mul_f32 v[14:15], v[2:3], v[20:21]
	ds_write2st64_b32 v12, v14, v15 offset0:8 offset1:10
	s_waitcnt lgkmcnt(4)
	v_pk_mul_f32 v[14:15], v[2:3], v[22:23]
	ds_write2st64_b32 v12, v14, v15 offset0:12 offset1:14
	ds_read2st64_b32 v[14:15], v12 offset0:20 offset1:22
	s_waitcnt lgkmcnt(3)
	v_pk_mul_f32 v[18:19], v[2:3], v[18:19]
	ds_read2st64_b32 v[20:21], v12 offset0:24 offset1:26
	ds_write2st64_b32 v12, v18, v19 offset0:16 offset1:18
	ds_read2st64_b32 v[18:19], v12 offset0:28 offset1:30
	s_waitcnt lgkmcnt(3)
	v_pk_mul_f32 v[14:15], v[2:3], v[14:15]
	ds_write2st64_b32 v12, v14, v15 offset0:20 offset1:22
	s_waitcnt lgkmcnt(3)
	v_pk_mul_f32 v[14:15], v[2:3], v[20:21]
	ds_write2st64_b32 v12, v14, v15 offset0:24 offset1:26
	s_waitcnt lgkmcnt(2)
	v_pk_mul_f32 v[14:15], v[2:3], v[18:19]
	s_add_i32 s18, s18, 16
	v_cmp_eq_u32_e32 vcc, 0, v11
	ds_write2st64_b32 v12, v14, v15 offset0:28 offset1:30
	v_add_u32_e32 v12, 0x2000, v12
	s_or_b64 s[12:13], vcc, s[12:13]
	v_mov_b32_e32 v13, s18
	s_andn2_b64 exec, exec, s[12:13]
	s_cbranch_execnz .LBB278_180
; %bb.181:
	s_or_b64 exec, exec, s[12:13]
.LBB278_182:
	s_or_b64 exec, exec, s[10:11]
	v_and_b32_e32 v10, 7, v10
	v_cmp_ne_u32_e32 vcc, 0, v10
	s_and_saveexec_b64 s[10:11], vcc
	s_cbranch_execz .LBB278_185
; %bb.183:
	v_lshlrev_b32_e32 v11, 9, v13
	v_lshlrev_b32_e32 v12, 2, v0
	s_movk_i32 s12, 0xd0
	v_add3_u32 v11, v11, v12, s12
	s_mov_b64 s[12:13], 0
.LBB278_184:                            ; =>This Inner Loop Header: Depth=1
	ds_read2st64_b32 v[12:13], v11 offset1:2
	v_add_u32_e32 v10, -1, v10
	v_cmp_eq_u32_e32 vcc, 0, v10
	s_or_b64 s[12:13], vcc, s[12:13]
	s_waitcnt lgkmcnt(0)
	v_pk_mul_f32 v[12:13], v[2:3], v[12:13]
	ds_write2st64_b32 v11, v12, v13 offset1:2
	v_add_u32_e32 v11, 0x400, v11
	s_andn2_b64 exec, exec, s[12:13]
	s_cbranch_execnz .LBB278_184
.LBB278_185:
	s_or_b64 exec, exec, s[10:11]
	v_add_u32_e32 v9, 1, v9
	v_and_b32_e32 v10, 0x3fffffe, v9
	v_cmp_ne_u32_e32 vcc, v9, v10
	v_lshl_add_u32 v3, v10, 7, v0
	s_orn2_b64 s[10:11], vcc, exec
.LBB278_186:
	s_or_b64 exec, exec, s[4:5]
	s_and_b64 exec, exec, s[10:11]
	s_cbranch_execz .LBB278_189
; %bb.187:
	v_mov_b32_e32 v9, 0xd0
	v_lshl_add_u32 v9, v3, 2, v9
	s_mov_b64 s[4:5], 0
.LBB278_188:                            ; =>This Inner Loop Header: Depth=1
	ds_read_b32 v10, v9
	v_add_u32_e32 v3, 0x80, v3
	v_cmp_le_i32_e32 vcc, s43, v3
	s_or_b64 s[4:5], vcc, s[4:5]
	s_waitcnt lgkmcnt(0)
	v_mul_f32_e32 v10, v2, v10
	ds_write_b32 v9, v10
	v_add_u32_e32 v9, 0x200, v9
	s_andn2_b64 exec, exec, s[4:5]
	s_cbranch_execnz .LBB278_188
.LBB278_189:
	s_or_b64 exec, exec, s[2:3]
	s_mul_i32 s2, s23, s34
	v_cmp_eq_u32_e32 vcc, 0, v0
	s_mul_i32 s2, s2, s9
	s_waitcnt lgkmcnt(0)
	s_barrier
	s_and_saveexec_b64 s[4:5], vcc
	s_cbranch_execz .LBB278_191
; %bb.190:
	s_ashr_i32 s3, s2, 31
	s_lshl_b64 s[10:11], s[2:3], 2
	s_add_u32 s3, s26, s10
	s_mul_i32 s12, s23, s6
	s_addc_u32 s9, s27, s11
	s_ashr_i32 s13, s12, 31
	s_lshl_b64 s[12:13], s[12:13], 2
	s_add_u32 s3, s3, s12
	s_addc_u32 s6, s9, s13
	s_ashr_i32 s9, s8, 31
	s_lshl_b64 s[18:19], s[8:9], 2
	s_add_u32 s26, s3, s18
	s_addc_u32 s27, s6, s19
	s_add_u32 s3, s24, s10
	s_addc_u32 s6, s25, s11
	;; [unrolled: 2-line block ×3, first 2 shown]
	s_add_u32 s10, s3, s18
	v_mov_b32_e32 v2, 0
	s_addc_u32 s11, s6, s19
	global_store_dword v2, v4, s[26:27]
	global_store_dword v2, v8, s[10:11]
.LBB278_191:
	s_or_b64 exec, exec, s[4:5]
	s_mov_b32 s4, 0
	v_mov_b32_e32 v4, 0
	v_and_b32_e32 v25, 1, v0
	v_mov_b32_e32 v3, 0
	v_mov_b32_e32 v2, 0
	s_and_saveexec_b64 s[10:11], s[0:1]
	s_cbranch_execz .LBB278_347
; %bb.192:
	s_sub_i32 s3, s16, s21
	s_ashr_i32 s0, s20, 31
	s_add_u32 s1, s40, s20
	s_addc_u32 s0, s41, s0
	s_abs_i32 s9, s22
	v_cvt_f32_u32_e32 v2, s9
	s_sub_i32 s5, 0, s9
	v_lshlrev_b32_e32 v3, 3, v0
	v_and_b32_e32 v26, 8, v3
	v_rcp_iflag_f32_e32 v2, v2
	v_and_b32_e32 v3, 0x1f8, v3
	s_add_i32 s24, s7, -1
	v_add_co_u32_e32 v8, vcc, s1, v3
	v_mul_f32_e32 v2, 0x4f7ffffe, v2
	v_cvt_u32_f32_e32 v2, v2
	s_mov_b32 s12, -1
	s_mov_b32 s6, s4
	s_mov_b32 s22, s17
	v_mul_lo_u32 v4, s5, v2
	v_mul_hi_u32 v4, v2, v4
	v_add_u32_e32 v27, v2, v4
	v_mov_b32_e32 v2, s0
	s_lshl_b64 s[0:1], s[38:39], 2
	v_addc_co_u32_e32 v9, vcc, 0, v2, vcc
	v_lshlrev_b64 v[2:3], 2, v[6:7]
	s_add_u32 s0, s36, s0
	s_addc_u32 s1, s37, s1
	v_add_co_u32_e32 v10, vcc, s0, v2
	v_lshlrev_b32_e32 v2, 5, v25
	v_mov_b32_e32 v4, s1
	v_lshl_or_b32 v2, v5, 6, v2
	v_addc_co_u32_e32 v11, vcc, v4, v3, vcc
	v_add_u32_e32 v5, 0xd0, v2
	s_mov_b32 s5, s4
	v_mov_b32_e32 v2, s4
	s_mov_b32 s13, 0xffffff
	s_mov_b32 s25, s33
	s_mov_b64 s[16:17], 0
	v_mov_b32_e32 v3, s5
	v_mov_b32_e32 v4, s6
	;; [unrolled: 1-line block ×3, first 2 shown]
	s_movk_i32 s26, 0x80
	s_movk_i32 s27, 0x7f
	s_mov_b32 s34, 0x8000
	s_movk_i32 s36, 0x380
	s_mov_b32 s37, 0x3020706
	s_mov_b32 s38, 0x1000504
	s_mov_b32 s39, 0x5040100
	v_mov_b32_e32 v7, 0x2000
	s_branch .LBB278_195
.LBB278_193:                            ;   in Loop: Header=BB278_195 Depth=1
	s_or_b64 exec, exec, s[0:1]
	;;#ASMSTART
	v_pk_mul_f16 v15, v39, v15;

	;;#ASMEND
	;;#ASMSTART
	v_pk_mul_f16 v12, v38, v12;

	;;#ASMEND
	;; [unrolled: 4-line block ×4, first 2 shown]
	;;#ASMSTART
	v_pk_add_f16 v12, v15, v12;

	;;#ASMEND
	;;#ASMSTART
	v_pk_add_f16 v12, v12, v14;

	;;#ASMEND
	;; [unrolled: 4-line block ×3, first 2 shown]
	v_lshrrev_b32_e32 v14, 16, v12
	v_and_b32_e32 v12, 0xffff, v12
	v_add_f32_e32 v18, v40, v41
	;;#ASMSTART
	v_cvt_f32_f16 v12, v12;
	;;#ASMEND
	v_add_f32_e32 v2, v2, v18
	v_add_f32_e32 v18, v22, v23
	;;#ASMSTART
	v_cvt_f32_f16 v14, v14;
	;;#ASMEND
	v_add_f32_e32 v12, v12, v14
	v_add_f32_e32 v3, v3, v18
	;; [unrolled: 1-line block ×3, first 2 shown]
.LBB278_194:                            ;   in Loop: Header=BB278_195 Depth=1
	s_or_b64 exec, exec, s[4:5]
	v_add_co_u32_e32 v10, vcc, 8, v10
	v_add_u32_e32 v6, 2, v6
	v_addc_co_u32_e32 v11, vcc, 0, v11, vcc
	v_cmp_le_i32_e32 vcc, s53, v6
	v_add_u32_e32 v1, 32, v1
	s_or_b64 s[16:17], vcc, s[16:17]
	v_add_u32_e32 v5, 0x80, v5
	s_andn2_b64 exec, exec, s[16:17]
	s_cbranch_execz .LBB278_346
.LBB278_195:                            ; =>This Inner Loop Header: Depth=1
	v_sub_u32_e32 v14, 0, v1
	v_max_i32_e32 v14, v1, v14
	v_mul_hi_u32 v15, v14, s35
	v_mul_lo_u32 v16, v15, s29
	v_sub_u32_e32 v14, v14, v16
	v_add_u32_e32 v16, 1, v15
	v_cmp_le_u32_e32 vcc, s29, v14
	v_cndmask_b32_e32 v15, v15, v16, vcc
	v_subrev_u32_e32 v16, s29, v14
	v_cndmask_b32_e32 v14, v14, v16, vcc
	v_ashrrev_i32_e32 v12, 31, v1
	v_add_u32_e32 v16, 1, v15
	v_cmp_le_u32_e32 vcc, s29, v14
	v_xor_b32_e32 v12, s52, v12
	v_cndmask_b32_e32 v14, v15, v16, vcc
	v_xor_b32_e32 v14, v14, v12
	v_sub_u32_e32 v12, v14, v12
	v_add_u32_e32 v14, s42, v12
	v_sub_u32_e32 v16, 0, v14
	v_ashrrev_i32_e32 v15, 31, v14
	v_max_i32_e32 v14, v14, v16
	v_mul_hi_u32 v16, v14, v27
	v_mul_lo_u32 v16, v16, s9
	v_sub_u32_e32 v14, v14, v16
	v_subrev_u32_e32 v16, s9, v14
	v_cmp_le_u32_e32 vcc, s9, v14
	v_cndmask_b32_e32 v14, v14, v16, vcc
	v_subrev_u32_e32 v16, s9, v14
	v_cmp_le_u32_e32 vcc, s9, v14
	v_cndmask_b32_e32 v14, v14, v16, vcc
	v_xor_b32_e32 v14, v14, v15
	v_sub_u32_e32 v14, v14, v15
	v_cmp_eq_u32_e32 vcc, 0, v14
	v_cmp_lt_i32_e64 s[0:1], s3, v12
	s_or_b64 s[0:1], vcc, s[0:1]
	s_and_saveexec_b64 s[4:5], s[0:1]
	s_cbranch_execz .LBB278_194
; %bb.196:                              ;   in Loop: Header=BB278_195 Depth=1
	global_load_dword v12, v[10:11], off
	ds_read2_b64 v[18:21], v5 offset1:1
	ds_read2_b64 v[28:31], v5 offset0:2 offset1:3
	s_waitcnt lgkmcnt(1)
	;;#ASMSTART
	v_cvt_f16_f32 v36, v18;

	;;#ASMEND
	;;#ASMSTART
	v_cvt_f16_f32 v37, v19;

	;;#ASMEND
	;; [unrolled: 4-line block ×4, first 2 shown]
	s_waitcnt lgkmcnt(0)
	;;#ASMSTART
	v_cvt_f16_f32 v41, v28;

	;;#ASMEND
	;;#ASMSTART
	v_cvt_f16_f32 v42, v29;

	;;#ASMEND
	;; [unrolled: 4-line block ×4, first 2 shown]
	v_mov_b32_e32 v20, 0
	v_mov_b32_e32 v18, 0
	s_waitcnt vmcnt(0)
	v_mad_i64_i32 v[14:15], s[0:1], v12, s22, v[8:9]
	global_load_dwordx2 v[22:23], v[14:15], off
	global_load_dword v16, v13, s[14:15]
	s_waitcnt vmcnt(1)
	v_cmp_ne_u16_sdwa s[6:7], v22, v13 src0_sel:BYTE_0 src1_sel:DWORD
	s_and_saveexec_b64 s[0:1], s[6:7]
	s_cbranch_execz .LBB278_202
; %bb.197:                              ;   in Loop: Header=BB278_195 Depth=1
	v_cmp_ne_u16_sdwa s[18:19], v22, s26 src0_sel:BYTE_0 src1_sel:DWORD
	v_bfrev_b32_e32 v18, 1
	s_and_saveexec_b64 s[6:7], s[18:19]
	s_cbranch_execz .LBB278_201
; %bb.198:                              ;   in Loop: Header=BB278_195 Depth=1
	v_and_b32_e32 v12, 0x7f, v22
	v_cmp_ne_u32_e32 vcc, s27, v12
	v_mov_b32_e32 v18, 0x7fc02000
	s_and_saveexec_b64 s[18:19], vcc
	s_cbranch_execz .LBB278_200
; %bb.199:                              ;   in Loop: Header=BB278_195 Depth=1
	v_and_b32_e32 v18, 7, v22
	v_ffbh_u32_e32 v18, v18
	v_min_u32_e32 v18, 32, v18
	v_subrev_u32_e32 v19, 28, v18
	v_cmp_gt_u32_e32 vcc, 8, v12
	v_lshrrev_b32_e32 v21, 3, v12
	v_sub_u32_e32 v28, 29, v18
	v_cndmask_b32_e32 v12, 0, v19, vcc
	v_lshlrev_b64 v[18:19], v12, v[22:23]
	v_cndmask_b32_e32 v12, v21, v28, vcc
	v_lshlrev_b32_e32 v19, 8, v22
	v_lshl_add_u32 v12, v12, 10, v7
	v_lshlrev_b32_e32 v18, 7, v18
	v_and_or_b32 v12, v19, s34, v12
	v_and_or_b32 v12, v18, s36, v12
	v_cvt_f32_f16_e32 v18, v12
.LBB278_200:                            ;   in Loop: Header=BB278_195 Depth=1
	s_or_b64 exec, exec, s[18:19]
.LBB278_201:                            ;   in Loop: Header=BB278_195 Depth=1
	s_or_b64 exec, exec, s[6:7]
.LBB278_202:                            ;   in Loop: Header=BB278_195 Depth=1
	s_or_b64 exec, exec, s[0:1]
	v_lshrrev_b16_e32 v12, 8, v22
	v_cmp_ne_u16_e32 vcc, 0, v12
	s_and_saveexec_b64 s[0:1], vcc
	s_cbranch_execz .LBB278_208
; %bb.203:                              ;   in Loop: Header=BB278_195 Depth=1
	v_cmp_ne_u16_e32 vcc, s26, v12
	v_bfrev_b32_e32 v20, 1
	s_and_saveexec_b64 s[6:7], vcc
	s_cbranch_execz .LBB278_207
; %bb.204:                              ;   in Loop: Header=BB278_195 Depth=1
	v_and_b32_e32 v19, 0x7f, v12
	v_cmp_ne_u32_e32 vcc, s27, v19
	v_mov_b32_e32 v20, 0x7fc02000
	s_and_saveexec_b64 s[18:19], vcc
	s_cbranch_execz .LBB278_206
; %bb.205:                              ;   in Loop: Header=BB278_195 Depth=1
	v_and_b32_e32 v28, 7, v12
	v_ffbh_u32_e32 v20, v28
	v_min_u32_e32 v30, 32, v20
	v_subrev_u32_e32 v20, 28, v30
	v_lshlrev_b64 v[20:21], v20, v[12:13]
	v_lshrrev_b32_e32 v29, 3, v19
	v_sub_u32_e32 v21, 29, v30
	v_cmp_gt_u32_e32 vcc, 8, v19
	v_cndmask_b32_e32 v19, v29, v21, vcc
	v_and_b32_e32 v20, 7, v20
	v_lshlrev_b32_e32 v12, 8, v12
	v_lshl_add_u32 v19, v19, 10, v7
	v_cndmask_b32_e32 v20, v28, v20, vcc
	v_and_or_b32 v12, v12, s34, v19
	v_lshl_or_b32 v12, v20, 7, v12
	v_cvt_f32_f16_e32 v20, v12
.LBB278_206:                            ;   in Loop: Header=BB278_195 Depth=1
	s_or_b64 exec, exec, s[18:19]
.LBB278_207:                            ;   in Loop: Header=BB278_195 Depth=1
	s_or_b64 exec, exec, s[6:7]
.LBB278_208:                            ;   in Loop: Header=BB278_195 Depth=1
	s_or_b64 exec, exec, s[0:1]
	v_lshrrev_b32_e32 v12, 16, v22
	v_cmp_ne_u16_sdwa s[6:7], v12, v13 src0_sel:BYTE_0 src1_sel:DWORD
	v_mov_b32_e32 v21, 0
	v_mov_b32_e32 v19, 0
	s_and_saveexec_b64 s[0:1], s[6:7]
	s_cbranch_execz .LBB278_214
; %bb.209:                              ;   in Loop: Header=BB278_195 Depth=1
	v_cmp_ne_u16_sdwa s[18:19], v12, s26 src0_sel:BYTE_0 src1_sel:DWORD
	v_bfrev_b32_e32 v19, 1
	s_and_saveexec_b64 s[6:7], s[18:19]
	s_cbranch_execz .LBB278_213
; %bb.210:                              ;   in Loop: Header=BB278_195 Depth=1
	v_bfe_u32 v28, v22, 16, 7
	v_cmp_ne_u32_e32 vcc, s27, v28
	v_mov_b32_e32 v19, 0x7fc02000
	s_and_saveexec_b64 s[18:19], vcc
	s_cbranch_execz .LBB278_212
; %bb.211:                              ;   in Loop: Header=BB278_195 Depth=1
	v_and_b32_e32 v19, 7, v12
	v_ffbh_u32_e32 v30, v19
	v_min_u32_e32 v32, 32, v30
	v_subrev_u32_e32 v30, 28, v32
	v_lshlrev_b64 v[30:31], v30, v[12:13]
	v_lshrrev_b32_e32 v29, 3, v28
	v_sub_u32_e32 v31, 29, v32
	v_cmp_gt_u32_e32 vcc, 8, v28
	v_cndmask_b32_e32 v28, v29, v31, vcc
	v_and_b32_e32 v30, 7, v30
	v_lshlrev_b32_e32 v12, 8, v12
	v_lshl_add_u32 v28, v28, 10, v7
	v_cndmask_b32_e32 v19, v19, v30, vcc
	v_and_or_b32 v12, v12, s34, v28
	v_lshl_or_b32 v12, v19, 7, v12
	v_cvt_f32_f16_e32 v19, v12
.LBB278_212:                            ;   in Loop: Header=BB278_195 Depth=1
	s_or_b64 exec, exec, s[18:19]
.LBB278_213:                            ;   in Loop: Header=BB278_195 Depth=1
	s_or_b64 exec, exec, s[6:7]
.LBB278_214:                            ;   in Loop: Header=BB278_195 Depth=1
	s_or_b64 exec, exec, s[0:1]
	v_cmp_lt_u32_e32 vcc, s13, v22
	s_and_saveexec_b64 s[0:1], vcc
	s_cbranch_execz .LBB278_220
; %bb.215:                              ;   in Loop: Header=BB278_195 Depth=1
	v_lshrrev_b32_e32 v12, 24, v22
	v_cmp_ne_u32_e32 vcc, s26, v12
	v_bfrev_b32_e32 v21, 1
	s_and_saveexec_b64 s[6:7], vcc
	s_cbranch_execz .LBB278_219
; %bb.216:                              ;   in Loop: Header=BB278_195 Depth=1
	v_and_b32_e32 v28, 0x7f, v12
	v_cmp_ne_u32_e32 vcc, s27, v28
	v_mov_b32_e32 v21, 0x7fc02000
	s_and_saveexec_b64 s[18:19], vcc
	s_cbranch_execz .LBB278_218
; %bb.217:                              ;   in Loop: Header=BB278_195 Depth=1
	v_and_b32_e32 v21, 7, v12
	v_ffbh_u32_e32 v30, v21
	v_min_u32_e32 v32, 32, v30
	v_subrev_u32_e32 v30, 28, v32
	v_lshlrev_b64 v[30:31], v30, v[12:13]
	v_lshrrev_b32_e32 v29, 3, v28
	v_sub_u32_e32 v31, 29, v32
	v_cmp_gt_u32_e32 vcc, 8, v28
	v_cndmask_b32_e32 v28, v29, v31, vcc
	v_and_b32_e32 v30, 7, v30
	v_lshlrev_b32_e32 v12, 8, v12
	v_lshl_add_u32 v28, v28, 10, v7
	v_cndmask_b32_e32 v21, v21, v30, vcc
	v_and_or_b32 v12, v12, s34, v28
	v_lshl_or_b32 v12, v21, 7, v12
	v_cvt_f32_f16_e32 v21, v12
.LBB278_218:                            ;   in Loop: Header=BB278_195 Depth=1
	s_or_b64 exec, exec, s[18:19]
.LBB278_219:                            ;   in Loop: Header=BB278_195 Depth=1
	s_or_b64 exec, exec, s[6:7]
.LBB278_220:                            ;   in Loop: Header=BB278_195 Depth=1
	s_or_b64 exec, exec, s[0:1]
	v_mov_b32_e32 v12, v23
	v_cmp_ne_u16_sdwa s[6:7], v23, v13 src0_sel:BYTE_0 src1_sel:DWORD
	v_mov_b32_e32 v29, 0
	v_mov_b32_e32 v28, 0
	s_and_saveexec_b64 s[0:1], s[6:7]
	s_cbranch_execz .LBB278_226
; %bb.221:                              ;   in Loop: Header=BB278_195 Depth=1
	v_cmp_ne_u16_sdwa s[18:19], v23, s26 src0_sel:BYTE_0 src1_sel:DWORD
	v_bfrev_b32_e32 v28, 1
	s_and_saveexec_b64 s[6:7], s[18:19]
	s_cbranch_execz .LBB278_225
; %bb.222:                              ;   in Loop: Header=BB278_195 Depth=1
	v_and_b32_e32 v30, 0x7f, v23
	v_cmp_ne_u32_e32 vcc, s27, v30
	v_mov_b32_e32 v28, 0x7fc02000
	s_and_saveexec_b64 s[18:19], vcc
	s_cbranch_execz .LBB278_224
; %bb.223:                              ;   in Loop: Header=BB278_195 Depth=1
	v_and_b32_e32 v28, 7, v23
	v_ffbh_u32_e32 v28, v28
	v_min_u32_e32 v28, 32, v28
	v_subrev_u32_e32 v31, 28, v28
	v_cmp_gt_u32_e32 vcc, 8, v30
	v_lshrrev_b32_e32 v32, 3, v30
	v_sub_u32_e32 v28, 29, v28
	v_cndmask_b32_e32 v30, 0, v31, vcc
	v_lshlrev_b64 v[30:31], v30, v[12:13]
	v_cndmask_b32_e32 v28, v32, v28, vcc
	v_lshlrev_b32_e32 v31, 8, v23
	v_lshl_add_u32 v28, v28, 10, v7
	v_lshlrev_b32_e32 v30, 7, v30
	v_and_or_b32 v28, v31, s34, v28
	v_and_or_b32 v28, v30, s36, v28
	v_cvt_f32_f16_e32 v28, v28
.LBB278_224:                            ;   in Loop: Header=BB278_195 Depth=1
	s_or_b64 exec, exec, s[18:19]
.LBB278_225:                            ;   in Loop: Header=BB278_195 Depth=1
	s_or_b64 exec, exec, s[6:7]
.LBB278_226:                            ;   in Loop: Header=BB278_195 Depth=1
	s_or_b64 exec, exec, s[0:1]
	v_lshrrev_b16_e32 v12, 8, v12
	v_cmp_ne_u16_e32 vcc, 0, v12
	s_and_saveexec_b64 s[0:1], vcc
	s_cbranch_execz .LBB278_232
; %bb.227:                              ;   in Loop: Header=BB278_195 Depth=1
	v_cmp_ne_u16_e32 vcc, s26, v12
	v_bfrev_b32_e32 v29, 1
	s_and_saveexec_b64 s[6:7], vcc
	s_cbranch_execz .LBB278_231
; %bb.228:                              ;   in Loop: Header=BB278_195 Depth=1
	v_and_b32_e32 v30, 0x7f, v12
	v_cmp_ne_u32_e32 vcc, s27, v30
	v_mov_b32_e32 v29, 0x7fc02000
	s_and_saveexec_b64 s[18:19], vcc
	s_cbranch_execz .LBB278_230
; %bb.229:                              ;   in Loop: Header=BB278_195 Depth=1
	v_and_b32_e32 v29, 7, v12
	v_ffbh_u32_e32 v32, v29
	v_min_u32_e32 v34, 32, v32
	v_subrev_u32_e32 v32, 28, v34
	v_lshlrev_b64 v[32:33], v32, v[12:13]
	v_lshrrev_b32_e32 v31, 3, v30
	v_sub_u32_e32 v33, 29, v34
	v_cmp_gt_u32_e32 vcc, 8, v30
	v_cndmask_b32_e32 v30, v31, v33, vcc
	v_and_b32_e32 v32, 7, v32
	v_lshlrev_b32_e32 v12, 8, v12
	v_lshl_add_u32 v30, v30, 10, v7
	v_cndmask_b32_e32 v29, v29, v32, vcc
	v_and_or_b32 v12, v12, s34, v30
	v_lshl_or_b32 v12, v29, 7, v12
	v_cvt_f32_f16_e32 v29, v12
.LBB278_230:                            ;   in Loop: Header=BB278_195 Depth=1
	s_or_b64 exec, exec, s[18:19]
.LBB278_231:                            ;   in Loop: Header=BB278_195 Depth=1
	s_or_b64 exec, exec, s[6:7]
.LBB278_232:                            ;   in Loop: Header=BB278_195 Depth=1
	s_or_b64 exec, exec, s[0:1]
	v_lshrrev_b32_e32 v12, 16, v23
	v_cmp_ne_u16_sdwa s[6:7], v12, v13 src0_sel:BYTE_0 src1_sel:DWORD
	v_mov_b32_e32 v31, 0
	v_mov_b32_e32 v32, 0
	s_and_saveexec_b64 s[0:1], s[6:7]
	s_cbranch_execz .LBB278_238
; %bb.233:                              ;   in Loop: Header=BB278_195 Depth=1
	v_cmp_ne_u16_sdwa s[18:19], v12, s26 src0_sel:BYTE_0 src1_sel:DWORD
	v_bfrev_b32_e32 v32, 1
	s_and_saveexec_b64 s[6:7], s[18:19]
	s_cbranch_execz .LBB278_237
; %bb.234:                              ;   in Loop: Header=BB278_195 Depth=1
	v_bfe_u32 v30, v23, 16, 7
	v_cmp_ne_u32_e32 vcc, s27, v30
	v_mov_b32_e32 v32, 0x7fc02000
	s_and_saveexec_b64 s[18:19], vcc
	s_cbranch_execz .LBB278_236
; %bb.235:                              ;   in Loop: Header=BB278_195 Depth=1
	v_and_b32_e32 v34, 7, v12
	v_ffbh_u32_e32 v32, v34
	v_min_u32_e32 v39, 32, v32
	v_subrev_u32_e32 v32, 28, v39
	v_lshlrev_b64 v[32:33], v32, v[12:13]
	v_lshrrev_b32_e32 v35, 3, v30
	v_sub_u32_e32 v33, 29, v39
	v_cmp_gt_u32_e32 vcc, 8, v30
	v_cndmask_b32_e32 v30, v35, v33, vcc
	v_and_b32_e32 v32, 7, v32
	v_lshlrev_b32_e32 v12, 8, v12
	v_lshl_add_u32 v30, v30, 10, v7
	v_cndmask_b32_e32 v32, v34, v32, vcc
	v_and_or_b32 v12, v12, s34, v30
	v_lshl_or_b32 v12, v32, 7, v12
	v_cvt_f32_f16_e32 v32, v12
.LBB278_236:                            ;   in Loop: Header=BB278_195 Depth=1
	s_or_b64 exec, exec, s[18:19]
.LBB278_237:                            ;   in Loop: Header=BB278_195 Depth=1
	s_or_b64 exec, exec, s[6:7]
.LBB278_238:                            ;   in Loop: Header=BB278_195 Depth=1
	s_or_b64 exec, exec, s[0:1]
	v_cmp_lt_u64_e32 vcc, s[12:13], v[22:23]
	s_and_saveexec_b64 s[0:1], vcc
	s_cbranch_execz .LBB278_244
; %bb.239:                              ;   in Loop: Header=BB278_195 Depth=1
	v_lshrrev_b32_e32 v12, 24, v23
	v_cmp_ne_u32_e32 vcc, s26, v12
	v_bfrev_b32_e32 v31, 1
	s_and_saveexec_b64 s[6:7], vcc
	s_cbranch_execz .LBB278_243
; %bb.240:                              ;   in Loop: Header=BB278_195 Depth=1
	v_and_b32_e32 v22, 0x7f, v12
	v_cmp_ne_u32_e32 vcc, s27, v22
	v_mov_b32_e32 v31, 0x7fc02000
	s_and_saveexec_b64 s[18:19], vcc
	s_cbranch_execz .LBB278_242
; %bb.241:                              ;   in Loop: Header=BB278_195 Depth=1
	v_and_b32_e32 v23, 7, v12
	v_ffbh_u32_e32 v30, v23
	v_min_u32_e32 v34, 32, v30
	v_subrev_u32_e32 v30, 28, v34
	v_lshlrev_b64 v[30:31], v30, v[12:13]
	v_lshrrev_b32_e32 v33, 3, v22
	v_sub_u32_e32 v31, 29, v34
	v_cmp_gt_u32_e32 vcc, 8, v22
	v_cndmask_b32_e32 v22, v33, v31, vcc
	v_and_b32_e32 v30, 7, v30
	v_lshlrev_b32_e32 v12, 8, v12
	v_lshl_add_u32 v22, v22, 10, v7
	v_cndmask_b32_e32 v23, v23, v30, vcc
	v_and_or_b32 v12, v12, s34, v22
	v_lshl_or_b32 v12, v23, 7, v12
	v_cvt_f32_f16_e32 v31, v12
.LBB278_242:                            ;   in Loop: Header=BB278_195 Depth=1
	s_or_b64 exec, exec, s[18:19]
.LBB278_243:                            ;   in Loop: Header=BB278_195 Depth=1
	s_or_b64 exec, exec, s[6:7]
.LBB278_244:                            ;   in Loop: Header=BB278_195 Depth=1
	s_or_b64 exec, exec, s[0:1]
	s_waitcnt vmcnt(0)
	v_pk_mul_f32 v[20:21], v[16:17], v[20:21] op_sel_hi:[0,1]
	v_pk_mul_f32 v[18:19], v[16:17], v[18:19] op_sel_hi:[0,1]
	v_cvt_f16_f32_e32 v12, v21
	v_cvt_f16_f32_e32 v20, v20
	;; [unrolled: 1-line block ×4, first 2 shown]
	v_add_u32_e32 v30, v26, v1
	v_pack_b32_f16 v20, v20, v12
	v_cmp_eq_u32_e32 vcc, s24, v6
	v_pack_b32_f16 v18, v18, v19
	v_fma_mixlo_f16 v19, v16, v29, 0
	v_perm_b32 v12, v18, v20, s37
	v_perm_b32 v18, v18, v20, s38
	v_lshlrev_b32_e32 v19, 16, v19
	v_fma_mixlo_f16 v20, v16, v28, 0
	v_or_b32_sdwa v19, v19, v20 dst_sel:DWORD dst_unused:UNUSED_PAD src0_sel:DWORD src1_sel:WORD_0
	v_fma_mixlo_f16 v20, v16, v32, 0
	v_fma_mixlo_f16 v16, v16, v31, 0
	v_lshlrev_b32_e32 v16, 16, v16
	v_or_b32_sdwa v16, v16, v20 dst_sel:DWORD dst_unused:UNUSED_PAD src0_sel:DWORD src1_sel:WORD_0
	v_add_u32_e32 v35, 1, v30
	v_or_b32_e32 v34, 3, v30
	v_or_b32_e32 v33, 2, v30
	;; [unrolled: 1-line block ×6, first 2 shown]
	s_and_saveexec_b64 s[6:7], vcc
	s_cbranch_execz .LBB278_246
; %bb.245:                              ;   in Loop: Header=BB278_195 Depth=1
	v_lshrrev_b32_e32 v21, 16, v18
	v_cmp_gt_i32_e64 s[0:1], s25, v35
	v_cndmask_b32_e64 v21, 0, v21, s[0:1]
	v_cmp_gt_i32_e64 s[0:1], s33, v30
	v_cndmask_b32_e64 v18, 0, v18, s[0:1]
	v_perm_b32 v18, v21, v18, s39
	v_lshrrev_b32_e32 v21, 16, v12
	v_cmp_gt_i32_e64 s[0:1], s25, v34
	v_cndmask_b32_e64 v21, 0, v21, s[0:1]
	v_cmp_gt_i32_e64 s[0:1], s33, v33
	v_cndmask_b32_e64 v12, 0, v12, s[0:1]
	v_perm_b32 v12, v21, v12, s39
	v_lshrrev_b32_e32 v21, 16, v19
	v_cmp_gt_i32_e64 s[0:1], s25, v32
	v_cndmask_b32_e64 v21, 0, v21, s[0:1]
	v_cmp_gt_i32_e64 s[0:1], s33, v31
	v_cndmask_b32_e64 v19, 0, v19, s[0:1]
	v_lshrrev_b32_e32 v16, 16, v16
	v_cmp_gt_i32_e64 s[0:1], s25, v29
	v_cndmask_b32_e64 v16, 0, v16, s[0:1]
	v_cmp_gt_i32_e64 s[0:1], s33, v28
	v_cndmask_b32_e64 v20, 0, v20, s[0:1]
	v_perm_b32 v19, v21, v19, s39
	v_perm_b32 v16, v16, v20, s39
.LBB278_246:                            ;   in Loop: Header=BB278_195 Depth=1
	s_or_b64 exec, exec, s[6:7]
	v_and_b32_e32 v20, 0xffff, v36
	v_lshl_or_b32 v39, v37, 16, v20
	v_and_b32_e32 v20, 0xffff, v38
	v_lshl_or_b32 v38, v40, 16, v20
	;; [unrolled: 2-line block ×3, first 2 shown]
	v_and_b32_e32 v20, 0xffff, v43
	;;#ASMSTART
	v_pk_mul_f16 v18, v39, v18;

	;;#ASMEND
	;;#ASMSTART
	v_pk_mul_f16 v12, v38, v12;

	;;#ASMEND
	v_lshl_or_b32 v36, v44, 16, v20
	;;#ASMSTART
	v_pk_mul_f16 v19, v37, v19;

	;;#ASMEND
	;;#ASMSTART
	v_pk_mul_f16 v16, v36, v16;

	;;#ASMEND
	;;#ASMSTART
	v_pk_add_f16 v12, v18, v12;

	;;#ASMEND
	;;#ASMSTART
	v_pk_add_f16 v12, v12, v19;
	;; [unrolled: 4-line block ×3, first 2 shown]

	;;#ASMEND
	v_lshrrev_b32_e32 v16, 16, v12
	v_and_b32_e32 v12, 0xffff, v12
	;;#ASMSTART
	v_cvt_f32_f16 v40, v12;
	;;#ASMEND
	;;#ASMSTART
	v_cvt_f32_f16 v41, v16;
	;;#ASMEND
	global_load_dwordx2 v[22:23], v[14:15], off offset:512
	global_load_dword v16, v13, s[14:15]
	v_mov_b32_e32 v20, 0
	v_mov_b32_e32 v18, 0
	s_waitcnt vmcnt(1)
	v_cmp_ne_u16_sdwa s[0:1], v22, v13 src0_sel:BYTE_0 src1_sel:DWORD
	s_and_saveexec_b64 s[6:7], s[0:1]
	s_cbranch_execz .LBB278_252
; %bb.247:                              ;   in Loop: Header=BB278_195 Depth=1
	v_cmp_ne_u16_sdwa s[0:1], v22, s26 src0_sel:BYTE_0 src1_sel:DWORD
	v_bfrev_b32_e32 v18, 1
	s_and_saveexec_b64 s[18:19], s[0:1]
	s_cbranch_execz .LBB278_251
; %bb.248:                              ;   in Loop: Header=BB278_195 Depth=1
	v_and_b32_e32 v12, 0x7f, v22
	v_cmp_ne_u32_e64 s[0:1], s27, v12
	v_mov_b32_e32 v18, 0x7fc02000
	s_and_saveexec_b64 s[20:21], s[0:1]
	s_cbranch_execz .LBB278_250
; %bb.249:                              ;   in Loop: Header=BB278_195 Depth=1
	v_and_b32_e32 v18, 7, v22
	v_ffbh_u32_e32 v18, v18
	v_min_u32_e32 v18, 32, v18
	v_subrev_u32_e32 v19, 28, v18
	v_cmp_gt_u32_e64 s[0:1], 8, v12
	v_lshrrev_b32_e32 v21, 3, v12
	v_sub_u32_e32 v42, 29, v18
	v_cndmask_b32_e64 v12, 0, v19, s[0:1]
	v_lshlrev_b64 v[18:19], v12, v[22:23]
	v_cndmask_b32_e64 v12, v21, v42, s[0:1]
	v_lshlrev_b32_e32 v19, 8, v22
	v_lshl_add_u32 v12, v12, 10, v7
	v_lshlrev_b32_e32 v18, 7, v18
	v_and_or_b32 v12, v19, s34, v12
	v_and_or_b32 v12, v18, s36, v12
	v_cvt_f32_f16_e32 v18, v12
.LBB278_250:                            ;   in Loop: Header=BB278_195 Depth=1
	s_or_b64 exec, exec, s[20:21]
.LBB278_251:                            ;   in Loop: Header=BB278_195 Depth=1
	s_or_b64 exec, exec, s[18:19]
.LBB278_252:                            ;   in Loop: Header=BB278_195 Depth=1
	s_or_b64 exec, exec, s[6:7]
	v_lshrrev_b16_e32 v12, 8, v22
	v_cmp_ne_u16_e64 s[0:1], 0, v12
	s_and_saveexec_b64 s[6:7], s[0:1]
	s_cbranch_execz .LBB278_258
; %bb.253:                              ;   in Loop: Header=BB278_195 Depth=1
	v_cmp_ne_u16_e64 s[0:1], s26, v12
	v_bfrev_b32_e32 v20, 1
	s_and_saveexec_b64 s[18:19], s[0:1]
	s_cbranch_execz .LBB278_257
; %bb.254:                              ;   in Loop: Header=BB278_195 Depth=1
	v_and_b32_e32 v19, 0x7f, v12
	v_cmp_ne_u32_e64 s[0:1], s27, v19
	v_mov_b32_e32 v20, 0x7fc02000
	s_and_saveexec_b64 s[20:21], s[0:1]
	s_cbranch_execz .LBB278_256
; %bb.255:                              ;   in Loop: Header=BB278_195 Depth=1
	v_and_b32_e32 v42, 7, v12
	v_ffbh_u32_e32 v20, v42
	v_min_u32_e32 v44, 32, v20
	v_subrev_u32_e32 v20, 28, v44
	v_lshlrev_b64 v[20:21], v20, v[12:13]
	v_lshrrev_b32_e32 v43, 3, v19
	v_sub_u32_e32 v21, 29, v44
	v_cmp_gt_u32_e64 s[0:1], 8, v19
	v_cndmask_b32_e64 v19, v43, v21, s[0:1]
	v_and_b32_e32 v20, 7, v20
	v_lshlrev_b32_e32 v12, 8, v12
	v_lshl_add_u32 v19, v19, 10, v7
	v_cndmask_b32_e64 v20, v42, v20, s[0:1]
	v_and_or_b32 v12, v12, s34, v19
	v_lshl_or_b32 v12, v20, 7, v12
	v_cvt_f32_f16_e32 v20, v12
.LBB278_256:                            ;   in Loop: Header=BB278_195 Depth=1
	s_or_b64 exec, exec, s[20:21]
.LBB278_257:                            ;   in Loop: Header=BB278_195 Depth=1
	s_or_b64 exec, exec, s[18:19]
.LBB278_258:                            ;   in Loop: Header=BB278_195 Depth=1
	s_or_b64 exec, exec, s[6:7]
	v_lshrrev_b32_e32 v12, 16, v22
	v_cmp_ne_u16_sdwa s[0:1], v12, v13 src0_sel:BYTE_0 src1_sel:DWORD
	v_mov_b32_e32 v21, 0
	v_mov_b32_e32 v19, 0
	s_and_saveexec_b64 s[6:7], s[0:1]
	s_cbranch_execz .LBB278_264
; %bb.259:                              ;   in Loop: Header=BB278_195 Depth=1
	v_cmp_ne_u16_sdwa s[0:1], v12, s26 src0_sel:BYTE_0 src1_sel:DWORD
	v_bfrev_b32_e32 v19, 1
	s_and_saveexec_b64 s[18:19], s[0:1]
	s_cbranch_execz .LBB278_263
; %bb.260:                              ;   in Loop: Header=BB278_195 Depth=1
	v_bfe_u32 v42, v22, 16, 7
	v_cmp_ne_u32_e64 s[0:1], s27, v42
	v_mov_b32_e32 v19, 0x7fc02000
	s_and_saveexec_b64 s[20:21], s[0:1]
	s_cbranch_execz .LBB278_262
; %bb.261:                              ;   in Loop: Header=BB278_195 Depth=1
	v_and_b32_e32 v19, 7, v12
	v_ffbh_u32_e32 v44, v19
	v_min_u32_e32 v46, 32, v44
	v_subrev_u32_e32 v44, 28, v46
	v_lshlrev_b64 v[44:45], v44, v[12:13]
	v_lshrrev_b32_e32 v43, 3, v42
	v_sub_u32_e32 v45, 29, v46
	v_cmp_gt_u32_e64 s[0:1], 8, v42
	v_cndmask_b32_e64 v42, v43, v45, s[0:1]
	v_and_b32_e32 v44, 7, v44
	v_lshlrev_b32_e32 v12, 8, v12
	v_lshl_add_u32 v42, v42, 10, v7
	v_cndmask_b32_e64 v19, v19, v44, s[0:1]
	v_and_or_b32 v12, v12, s34, v42
	v_lshl_or_b32 v12, v19, 7, v12
	v_cvt_f32_f16_e32 v19, v12
.LBB278_262:                            ;   in Loop: Header=BB278_195 Depth=1
	s_or_b64 exec, exec, s[20:21]
.LBB278_263:                            ;   in Loop: Header=BB278_195 Depth=1
	s_or_b64 exec, exec, s[18:19]
.LBB278_264:                            ;   in Loop: Header=BB278_195 Depth=1
	s_or_b64 exec, exec, s[6:7]
	v_cmp_lt_u32_e64 s[0:1], s13, v22
	s_and_saveexec_b64 s[6:7], s[0:1]
	s_cbranch_execz .LBB278_270
; %bb.265:                              ;   in Loop: Header=BB278_195 Depth=1
	v_lshrrev_b32_e32 v12, 24, v22
	v_cmp_ne_u32_e64 s[0:1], s26, v12
	v_bfrev_b32_e32 v21, 1
	s_and_saveexec_b64 s[18:19], s[0:1]
	s_cbranch_execz .LBB278_269
; %bb.266:                              ;   in Loop: Header=BB278_195 Depth=1
	v_and_b32_e32 v42, 0x7f, v12
	v_cmp_ne_u32_e64 s[0:1], s27, v42
	v_mov_b32_e32 v21, 0x7fc02000
	s_and_saveexec_b64 s[20:21], s[0:1]
	s_cbranch_execz .LBB278_268
; %bb.267:                              ;   in Loop: Header=BB278_195 Depth=1
	v_and_b32_e32 v21, 7, v12
	v_ffbh_u32_e32 v44, v21
	v_min_u32_e32 v46, 32, v44
	v_subrev_u32_e32 v44, 28, v46
	v_lshlrev_b64 v[44:45], v44, v[12:13]
	v_lshrrev_b32_e32 v43, 3, v42
	v_sub_u32_e32 v45, 29, v46
	v_cmp_gt_u32_e64 s[0:1], 8, v42
	v_cndmask_b32_e64 v42, v43, v45, s[0:1]
	v_and_b32_e32 v44, 7, v44
	v_lshlrev_b32_e32 v12, 8, v12
	v_lshl_add_u32 v42, v42, 10, v7
	v_cndmask_b32_e64 v21, v21, v44, s[0:1]
	v_and_or_b32 v12, v12, s34, v42
	v_lshl_or_b32 v12, v21, 7, v12
	v_cvt_f32_f16_e32 v21, v12
.LBB278_268:                            ;   in Loop: Header=BB278_195 Depth=1
	s_or_b64 exec, exec, s[20:21]
.LBB278_269:                            ;   in Loop: Header=BB278_195 Depth=1
	s_or_b64 exec, exec, s[18:19]
.LBB278_270:                            ;   in Loop: Header=BB278_195 Depth=1
	s_or_b64 exec, exec, s[6:7]
	v_mov_b32_e32 v12, v23
	v_cmp_ne_u16_sdwa s[0:1], v23, v13 src0_sel:BYTE_0 src1_sel:DWORD
	v_mov_b32_e32 v43, 0
	v_mov_b32_e32 v42, 0
	s_and_saveexec_b64 s[6:7], s[0:1]
	s_cbranch_execz .LBB278_276
; %bb.271:                              ;   in Loop: Header=BB278_195 Depth=1
	v_cmp_ne_u16_sdwa s[0:1], v23, s26 src0_sel:BYTE_0 src1_sel:DWORD
	v_bfrev_b32_e32 v42, 1
	s_and_saveexec_b64 s[18:19], s[0:1]
	s_cbranch_execz .LBB278_275
; %bb.272:                              ;   in Loop: Header=BB278_195 Depth=1
	v_and_b32_e32 v44, 0x7f, v23
	v_cmp_ne_u32_e64 s[0:1], s27, v44
	v_mov_b32_e32 v42, 0x7fc02000
	s_and_saveexec_b64 s[20:21], s[0:1]
	s_cbranch_execz .LBB278_274
; %bb.273:                              ;   in Loop: Header=BB278_195 Depth=1
	v_and_b32_e32 v42, 7, v23
	v_ffbh_u32_e32 v42, v42
	v_min_u32_e32 v42, 32, v42
	v_subrev_u32_e32 v45, 28, v42
	v_cmp_gt_u32_e64 s[0:1], 8, v44
	v_lshrrev_b32_e32 v46, 3, v44
	v_sub_u32_e32 v42, 29, v42
	v_cndmask_b32_e64 v44, 0, v45, s[0:1]
	v_lshlrev_b64 v[44:45], v44, v[12:13]
	v_cndmask_b32_e64 v42, v46, v42, s[0:1]
	v_lshlrev_b32_e32 v45, 8, v23
	v_lshl_add_u32 v42, v42, 10, v7
	v_lshlrev_b32_e32 v44, 7, v44
	v_and_or_b32 v42, v45, s34, v42
	v_and_or_b32 v42, v44, s36, v42
	v_cvt_f32_f16_e32 v42, v42
.LBB278_274:                            ;   in Loop: Header=BB278_195 Depth=1
	s_or_b64 exec, exec, s[20:21]
.LBB278_275:                            ;   in Loop: Header=BB278_195 Depth=1
	s_or_b64 exec, exec, s[18:19]
.LBB278_276:                            ;   in Loop: Header=BB278_195 Depth=1
	s_or_b64 exec, exec, s[6:7]
	v_lshrrev_b16_e32 v12, 8, v12
	v_cmp_ne_u16_e64 s[0:1], 0, v12
	s_and_saveexec_b64 s[6:7], s[0:1]
	s_cbranch_execz .LBB278_282
; %bb.277:                              ;   in Loop: Header=BB278_195 Depth=1
	v_cmp_ne_u16_e64 s[0:1], s26, v12
	v_bfrev_b32_e32 v43, 1
	s_and_saveexec_b64 s[18:19], s[0:1]
	s_cbranch_execz .LBB278_281
; %bb.278:                              ;   in Loop: Header=BB278_195 Depth=1
	v_and_b32_e32 v44, 0x7f, v12
	v_cmp_ne_u32_e64 s[0:1], s27, v44
	v_mov_b32_e32 v43, 0x7fc02000
	s_and_saveexec_b64 s[20:21], s[0:1]
	s_cbranch_execz .LBB278_280
; %bb.279:                              ;   in Loop: Header=BB278_195 Depth=1
	v_and_b32_e32 v43, 7, v12
	v_ffbh_u32_e32 v46, v43
	v_min_u32_e32 v48, 32, v46
	v_subrev_u32_e32 v46, 28, v48
	v_lshlrev_b64 v[46:47], v46, v[12:13]
	v_lshrrev_b32_e32 v45, 3, v44
	v_sub_u32_e32 v47, 29, v48
	v_cmp_gt_u32_e64 s[0:1], 8, v44
	v_cndmask_b32_e64 v44, v45, v47, s[0:1]
	v_and_b32_e32 v46, 7, v46
	v_lshlrev_b32_e32 v12, 8, v12
	v_lshl_add_u32 v44, v44, 10, v7
	v_cndmask_b32_e64 v43, v43, v46, s[0:1]
	v_and_or_b32 v12, v12, s34, v44
	v_lshl_or_b32 v12, v43, 7, v12
	v_cvt_f32_f16_e32 v43, v12
.LBB278_280:                            ;   in Loop: Header=BB278_195 Depth=1
	s_or_b64 exec, exec, s[20:21]
.LBB278_281:                            ;   in Loop: Header=BB278_195 Depth=1
	s_or_b64 exec, exec, s[18:19]
.LBB278_282:                            ;   in Loop: Header=BB278_195 Depth=1
	s_or_b64 exec, exec, s[6:7]
	v_lshrrev_b32_e32 v12, 16, v23
	v_cmp_ne_u16_sdwa s[0:1], v12, v13 src0_sel:BYTE_0 src1_sel:DWORD
	v_mov_b32_e32 v44, 0
	v_mov_b32_e32 v45, 0
	s_and_saveexec_b64 s[6:7], s[0:1]
	s_cbranch_execz .LBB278_288
; %bb.283:                              ;   in Loop: Header=BB278_195 Depth=1
	v_cmp_ne_u16_sdwa s[0:1], v12, s26 src0_sel:BYTE_0 src1_sel:DWORD
	v_bfrev_b32_e32 v45, 1
	s_and_saveexec_b64 s[18:19], s[0:1]
	s_cbranch_execz .LBB278_287
; %bb.284:                              ;   in Loop: Header=BB278_195 Depth=1
	v_bfe_u32 v46, v23, 16, 7
	v_cmp_ne_u32_e64 s[0:1], s27, v46
	v_mov_b32_e32 v45, 0x7fc02000
	s_and_saveexec_b64 s[20:21], s[0:1]
	s_cbranch_execz .LBB278_286
; %bb.285:                              ;   in Loop: Header=BB278_195 Depth=1
	v_and_b32_e32 v45, 7, v12
	v_ffbh_u32_e32 v48, v45
	v_min_u32_e32 v50, 32, v48
	v_subrev_u32_e32 v48, 28, v50
	v_lshlrev_b64 v[48:49], v48, v[12:13]
	v_lshrrev_b32_e32 v47, 3, v46
	v_sub_u32_e32 v49, 29, v50
	v_cmp_gt_u32_e64 s[0:1], 8, v46
	v_cndmask_b32_e64 v46, v47, v49, s[0:1]
	v_and_b32_e32 v48, 7, v48
	v_lshlrev_b32_e32 v12, 8, v12
	v_lshl_add_u32 v46, v46, 10, v7
	v_cndmask_b32_e64 v45, v45, v48, s[0:1]
	v_and_or_b32 v12, v12, s34, v46
	v_lshl_or_b32 v12, v45, 7, v12
	v_cvt_f32_f16_e32 v45, v12
.LBB278_286:                            ;   in Loop: Header=BB278_195 Depth=1
	s_or_b64 exec, exec, s[20:21]
.LBB278_287:                            ;   in Loop: Header=BB278_195 Depth=1
	s_or_b64 exec, exec, s[18:19]
.LBB278_288:                            ;   in Loop: Header=BB278_195 Depth=1
	s_or_b64 exec, exec, s[6:7]
	v_cmp_lt_u64_e64 s[0:1], s[12:13], v[22:23]
	s_and_saveexec_b64 s[6:7], s[0:1]
	s_cbranch_execz .LBB278_294
; %bb.289:                              ;   in Loop: Header=BB278_195 Depth=1
	v_lshrrev_b32_e32 v12, 24, v23
	v_cmp_ne_u32_e64 s[0:1], s26, v12
	v_bfrev_b32_e32 v44, 1
	s_and_saveexec_b64 s[18:19], s[0:1]
	s_cbranch_execz .LBB278_293
; %bb.290:                              ;   in Loop: Header=BB278_195 Depth=1
	v_and_b32_e32 v22, 0x7f, v12
	v_cmp_ne_u32_e64 s[0:1], s27, v22
	v_mov_b32_e32 v44, 0x7fc02000
	s_and_saveexec_b64 s[20:21], s[0:1]
	s_cbranch_execz .LBB278_292
; %bb.291:                              ;   in Loop: Header=BB278_195 Depth=1
	v_and_b32_e32 v23, 7, v12
	v_ffbh_u32_e32 v46, v23
	v_min_u32_e32 v48, 32, v46
	v_subrev_u32_e32 v46, 28, v48
	v_lshlrev_b64 v[46:47], v46, v[12:13]
	v_lshrrev_b32_e32 v44, 3, v22
	v_sub_u32_e32 v47, 29, v48
	v_cmp_gt_u32_e64 s[0:1], 8, v22
	v_cndmask_b32_e64 v22, v44, v47, s[0:1]
	v_and_b32_e32 v46, 7, v46
	v_lshlrev_b32_e32 v12, 8, v12
	v_lshl_add_u32 v22, v22, 10, v7
	v_cndmask_b32_e64 v23, v23, v46, s[0:1]
	v_and_or_b32 v12, v12, s34, v22
	v_lshl_or_b32 v12, v23, 7, v12
	v_cvt_f32_f16_e32 v44, v12
.LBB278_292:                            ;   in Loop: Header=BB278_195 Depth=1
	s_or_b64 exec, exec, s[20:21]
.LBB278_293:                            ;   in Loop: Header=BB278_195 Depth=1
	s_or_b64 exec, exec, s[18:19]
.LBB278_294:                            ;   in Loop: Header=BB278_195 Depth=1
	s_or_b64 exec, exec, s[6:7]
	s_waitcnt vmcnt(0)
	v_pk_mul_f32 v[20:21], v[16:17], v[20:21] op_sel_hi:[0,1]
	v_pk_mul_f32 v[18:19], v[16:17], v[18:19] op_sel_hi:[0,1]
	v_cvt_f16_f32_e32 v12, v21
	v_cvt_f16_f32_e32 v20, v20
	;; [unrolled: 1-line block ×4, first 2 shown]
	v_pack_b32_f16 v20, v20, v12
	v_pack_b32_f16 v18, v18, v19
	v_fma_mixlo_f16 v19, v16, v43, 0
	v_perm_b32 v12, v18, v20, s37
	v_perm_b32 v18, v18, v20, s38
	v_lshlrev_b32_e32 v19, 16, v19
	v_fma_mixlo_f16 v20, v16, v42, 0
	v_or_b32_sdwa v19, v19, v20 dst_sel:DWORD dst_unused:UNUSED_PAD src0_sel:DWORD src1_sel:WORD_0
	v_fma_mixlo_f16 v20, v16, v45, 0
	v_fma_mixlo_f16 v16, v16, v44, 0
	v_lshlrev_b32_e32 v16, 16, v16
	v_or_b32_sdwa v16, v16, v20 dst_sel:DWORD dst_unused:UNUSED_PAD src0_sel:DWORD src1_sel:WORD_0
	s_and_saveexec_b64 s[6:7], vcc
	s_cbranch_execz .LBB278_296
; %bb.295:                              ;   in Loop: Header=BB278_195 Depth=1
	v_lshrrev_b32_e32 v21, 16, v18
	v_cmp_gt_i32_e64 s[0:1], s25, v35
	v_cndmask_b32_e64 v21, 0, v21, s[0:1]
	v_cmp_gt_i32_e64 s[0:1], s33, v30
	v_cndmask_b32_e64 v18, 0, v18, s[0:1]
	v_perm_b32 v18, v21, v18, s39
	v_lshrrev_b32_e32 v21, 16, v12
	v_cmp_gt_i32_e64 s[0:1], s25, v34
	v_cndmask_b32_e64 v21, 0, v21, s[0:1]
	v_cmp_gt_i32_e64 s[0:1], s33, v33
	v_cndmask_b32_e64 v12, 0, v12, s[0:1]
	v_perm_b32 v12, v21, v12, s39
	v_lshrrev_b32_e32 v21, 16, v19
	v_cmp_gt_i32_e64 s[0:1], s25, v32
	v_cndmask_b32_e64 v21, 0, v21, s[0:1]
	v_cmp_gt_i32_e64 s[0:1], s33, v31
	v_cndmask_b32_e64 v19, 0, v19, s[0:1]
	v_lshrrev_b32_e32 v16, 16, v16
	v_cmp_gt_i32_e64 s[0:1], s25, v29
	v_cndmask_b32_e64 v16, 0, v16, s[0:1]
	v_cmp_gt_i32_e64 s[0:1], s33, v28
	v_cndmask_b32_e64 v20, 0, v20, s[0:1]
	v_perm_b32 v19, v21, v19, s39
	v_perm_b32 v16, v16, v20, s39
.LBB278_296:                            ;   in Loop: Header=BB278_195 Depth=1
	s_or_b64 exec, exec, s[6:7]
	;;#ASMSTART
	v_pk_mul_f16 v18, v39, v18;

	;;#ASMEND
	;;#ASMSTART
	v_pk_mul_f16 v12, v38, v12;

	;;#ASMEND
	;; [unrolled: 4-line block ×4, first 2 shown]
	;;#ASMSTART
	v_pk_add_f16 v12, v18, v12;

	;;#ASMEND
	;;#ASMSTART
	v_pk_add_f16 v12, v12, v19;

	;;#ASMEND
	;; [unrolled: 4-line block ×3, first 2 shown]
	v_lshrrev_b32_e32 v16, 16, v12
	v_and_b32_e32 v12, 0xffff, v12
	;;#ASMSTART
	v_cvt_f32_f16 v22, v12;
	;;#ASMEND
	;;#ASMSTART
	v_cvt_f32_f16 v23, v16;
	;;#ASMEND
	global_load_dwordx2 v[20:21], v[14:15], off offset:1024
	global_load_dword v16, v13, s[14:15]
	v_mov_b32_e32 v18, 0
	v_mov_b32_e32 v14, 0
	s_waitcnt vmcnt(1)
	v_cmp_ne_u16_sdwa s[0:1], v20, v13 src0_sel:BYTE_0 src1_sel:DWORD
	s_and_saveexec_b64 s[6:7], s[0:1]
	s_cbranch_execz .LBB278_302
; %bb.297:                              ;   in Loop: Header=BB278_195 Depth=1
	v_cmp_ne_u16_sdwa s[0:1], v20, s26 src0_sel:BYTE_0 src1_sel:DWORD
	v_bfrev_b32_e32 v14, 1
	s_and_saveexec_b64 s[18:19], s[0:1]
	s_cbranch_execz .LBB278_301
; %bb.298:                              ;   in Loop: Header=BB278_195 Depth=1
	v_and_b32_e32 v12, 0x7f, v20
	v_cmp_ne_u32_e64 s[0:1], s27, v12
	v_mov_b32_e32 v14, 0x7fc02000
	s_and_saveexec_b64 s[20:21], s[0:1]
	s_cbranch_execz .LBB278_300
; %bb.299:                              ;   in Loop: Header=BB278_195 Depth=1
	v_and_b32_e32 v14, 7, v20
	v_ffbh_u32_e32 v14, v14
	v_min_u32_e32 v14, 32, v14
	v_subrev_u32_e32 v15, 28, v14
	v_cmp_gt_u32_e64 s[0:1], 8, v12
	v_lshrrev_b32_e32 v19, 3, v12
	v_sub_u32_e32 v42, 29, v14
	v_cndmask_b32_e64 v12, 0, v15, s[0:1]
	v_lshlrev_b64 v[14:15], v12, v[20:21]
	v_cndmask_b32_e64 v12, v19, v42, s[0:1]
	v_lshlrev_b32_e32 v15, 8, v20
	v_lshl_add_u32 v12, v12, 10, v7
	v_lshlrev_b32_e32 v14, 7, v14
	v_and_or_b32 v12, v15, s34, v12
	v_and_or_b32 v12, v14, s36, v12
	v_cvt_f32_f16_e32 v14, v12
.LBB278_300:                            ;   in Loop: Header=BB278_195 Depth=1
	s_or_b64 exec, exec, s[20:21]
.LBB278_301:                            ;   in Loop: Header=BB278_195 Depth=1
	s_or_b64 exec, exec, s[18:19]
.LBB278_302:                            ;   in Loop: Header=BB278_195 Depth=1
	s_or_b64 exec, exec, s[6:7]
	v_lshrrev_b16_e32 v12, 8, v20
	v_cmp_ne_u16_e64 s[0:1], 0, v12
	s_and_saveexec_b64 s[6:7], s[0:1]
	s_cbranch_execz .LBB278_308
; %bb.303:                              ;   in Loop: Header=BB278_195 Depth=1
	v_cmp_ne_u16_e64 s[0:1], s26, v12
	v_bfrev_b32_e32 v18, 1
	s_and_saveexec_b64 s[18:19], s[0:1]
	s_cbranch_execz .LBB278_307
; %bb.304:                              ;   in Loop: Header=BB278_195 Depth=1
	v_and_b32_e32 v15, 0x7f, v12
	v_cmp_ne_u32_e64 s[0:1], s27, v15
	v_mov_b32_e32 v18, 0x7fc02000
	s_and_saveexec_b64 s[20:21], s[0:1]
	s_cbranch_execz .LBB278_306
; %bb.305:                              ;   in Loop: Header=BB278_195 Depth=1
	v_and_b32_e32 v42, 7, v12
	v_ffbh_u32_e32 v18, v42
	v_min_u32_e32 v44, 32, v18
	v_subrev_u32_e32 v18, 28, v44
	v_lshlrev_b64 v[18:19], v18, v[12:13]
	v_lshrrev_b32_e32 v43, 3, v15
	v_sub_u32_e32 v19, 29, v44
	v_cmp_gt_u32_e64 s[0:1], 8, v15
	v_cndmask_b32_e64 v15, v43, v19, s[0:1]
	v_and_b32_e32 v18, 7, v18
	v_lshlrev_b32_e32 v12, 8, v12
	v_lshl_add_u32 v15, v15, 10, v7
	v_cndmask_b32_e64 v18, v42, v18, s[0:1]
	v_and_or_b32 v12, v12, s34, v15
	v_lshl_or_b32 v12, v18, 7, v12
	v_cvt_f32_f16_e32 v18, v12
.LBB278_306:                            ;   in Loop: Header=BB278_195 Depth=1
	s_or_b64 exec, exec, s[20:21]
.LBB278_307:                            ;   in Loop: Header=BB278_195 Depth=1
	s_or_b64 exec, exec, s[18:19]
.LBB278_308:                            ;   in Loop: Header=BB278_195 Depth=1
	s_or_b64 exec, exec, s[6:7]
	v_lshrrev_b32_e32 v12, 16, v20
	v_cmp_ne_u16_sdwa s[0:1], v12, v13 src0_sel:BYTE_0 src1_sel:DWORD
	v_mov_b32_e32 v19, 0
	v_mov_b32_e32 v15, 0
	s_and_saveexec_b64 s[6:7], s[0:1]
	s_cbranch_execz .LBB278_314
; %bb.309:                              ;   in Loop: Header=BB278_195 Depth=1
	v_cmp_ne_u16_sdwa s[0:1], v12, s26 src0_sel:BYTE_0 src1_sel:DWORD
	v_bfrev_b32_e32 v15, 1
	s_and_saveexec_b64 s[18:19], s[0:1]
	s_cbranch_execz .LBB278_313
; %bb.310:                              ;   in Loop: Header=BB278_195 Depth=1
	v_bfe_u32 v42, v20, 16, 7
	v_cmp_ne_u32_e64 s[0:1], s27, v42
	v_mov_b32_e32 v15, 0x7fc02000
	s_and_saveexec_b64 s[20:21], s[0:1]
	s_cbranch_execz .LBB278_312
; %bb.311:                              ;   in Loop: Header=BB278_195 Depth=1
	v_and_b32_e32 v15, 7, v12
	v_ffbh_u32_e32 v44, v15
	v_min_u32_e32 v46, 32, v44
	v_subrev_u32_e32 v44, 28, v46
	v_lshlrev_b64 v[44:45], v44, v[12:13]
	v_lshrrev_b32_e32 v43, 3, v42
	v_sub_u32_e32 v45, 29, v46
	v_cmp_gt_u32_e64 s[0:1], 8, v42
	v_cndmask_b32_e64 v42, v43, v45, s[0:1]
	v_and_b32_e32 v44, 7, v44
	v_lshlrev_b32_e32 v12, 8, v12
	v_lshl_add_u32 v42, v42, 10, v7
	v_cndmask_b32_e64 v15, v15, v44, s[0:1]
	v_and_or_b32 v12, v12, s34, v42
	v_lshl_or_b32 v12, v15, 7, v12
	v_cvt_f32_f16_e32 v15, v12
.LBB278_312:                            ;   in Loop: Header=BB278_195 Depth=1
	s_or_b64 exec, exec, s[20:21]
.LBB278_313:                            ;   in Loop: Header=BB278_195 Depth=1
	s_or_b64 exec, exec, s[18:19]
.LBB278_314:                            ;   in Loop: Header=BB278_195 Depth=1
	s_or_b64 exec, exec, s[6:7]
	v_cmp_lt_u32_e64 s[0:1], s13, v20
	s_and_saveexec_b64 s[6:7], s[0:1]
	s_cbranch_execz .LBB278_320
; %bb.315:                              ;   in Loop: Header=BB278_195 Depth=1
	v_lshrrev_b32_e32 v12, 24, v20
	v_cmp_ne_u32_e64 s[0:1], s26, v12
	v_bfrev_b32_e32 v19, 1
	s_and_saveexec_b64 s[18:19], s[0:1]
	s_cbranch_execz .LBB278_319
; %bb.316:                              ;   in Loop: Header=BB278_195 Depth=1
	v_and_b32_e32 v42, 0x7f, v12
	v_cmp_ne_u32_e64 s[0:1], s27, v42
	v_mov_b32_e32 v19, 0x7fc02000
	s_and_saveexec_b64 s[20:21], s[0:1]
	s_cbranch_execz .LBB278_318
; %bb.317:                              ;   in Loop: Header=BB278_195 Depth=1
	v_and_b32_e32 v19, 7, v12
	v_ffbh_u32_e32 v44, v19
	v_min_u32_e32 v46, 32, v44
	v_subrev_u32_e32 v44, 28, v46
	v_lshlrev_b64 v[44:45], v44, v[12:13]
	v_lshrrev_b32_e32 v43, 3, v42
	v_sub_u32_e32 v45, 29, v46
	v_cmp_gt_u32_e64 s[0:1], 8, v42
	v_cndmask_b32_e64 v42, v43, v45, s[0:1]
	v_and_b32_e32 v44, 7, v44
	v_lshlrev_b32_e32 v12, 8, v12
	v_lshl_add_u32 v42, v42, 10, v7
	v_cndmask_b32_e64 v19, v19, v44, s[0:1]
	v_and_or_b32 v12, v12, s34, v42
	v_lshl_or_b32 v12, v19, 7, v12
	v_cvt_f32_f16_e32 v19, v12
.LBB278_318:                            ;   in Loop: Header=BB278_195 Depth=1
	s_or_b64 exec, exec, s[20:21]
.LBB278_319:                            ;   in Loop: Header=BB278_195 Depth=1
	s_or_b64 exec, exec, s[18:19]
.LBB278_320:                            ;   in Loop: Header=BB278_195 Depth=1
	s_or_b64 exec, exec, s[6:7]
	v_mov_b32_e32 v12, v21
	v_cmp_ne_u16_sdwa s[0:1], v21, v13 src0_sel:BYTE_0 src1_sel:DWORD
	v_mov_b32_e32 v43, 0
	v_mov_b32_e32 v42, 0
	s_and_saveexec_b64 s[6:7], s[0:1]
	s_cbranch_execz .LBB278_326
; %bb.321:                              ;   in Loop: Header=BB278_195 Depth=1
	v_cmp_ne_u16_sdwa s[0:1], v21, s26 src0_sel:BYTE_0 src1_sel:DWORD
	v_bfrev_b32_e32 v42, 1
	s_and_saveexec_b64 s[18:19], s[0:1]
	s_cbranch_execz .LBB278_325
; %bb.322:                              ;   in Loop: Header=BB278_195 Depth=1
	v_and_b32_e32 v44, 0x7f, v21
	v_cmp_ne_u32_e64 s[0:1], s27, v44
	v_mov_b32_e32 v42, 0x7fc02000
	s_and_saveexec_b64 s[20:21], s[0:1]
	s_cbranch_execz .LBB278_324
; %bb.323:                              ;   in Loop: Header=BB278_195 Depth=1
	v_and_b32_e32 v42, 7, v21
	v_ffbh_u32_e32 v42, v42
	v_min_u32_e32 v42, 32, v42
	v_subrev_u32_e32 v45, 28, v42
	v_cmp_gt_u32_e64 s[0:1], 8, v44
	v_lshrrev_b32_e32 v46, 3, v44
	v_sub_u32_e32 v42, 29, v42
	v_cndmask_b32_e64 v44, 0, v45, s[0:1]
	v_lshlrev_b64 v[44:45], v44, v[12:13]
	v_cndmask_b32_e64 v42, v46, v42, s[0:1]
	v_lshlrev_b32_e32 v45, 8, v21
	v_lshl_add_u32 v42, v42, 10, v7
	v_lshlrev_b32_e32 v44, 7, v44
	v_and_or_b32 v42, v45, s34, v42
	v_and_or_b32 v42, v44, s36, v42
	v_cvt_f32_f16_e32 v42, v42
.LBB278_324:                            ;   in Loop: Header=BB278_195 Depth=1
	s_or_b64 exec, exec, s[20:21]
.LBB278_325:                            ;   in Loop: Header=BB278_195 Depth=1
	s_or_b64 exec, exec, s[18:19]
.LBB278_326:                            ;   in Loop: Header=BB278_195 Depth=1
	s_or_b64 exec, exec, s[6:7]
	v_lshrrev_b16_e32 v12, 8, v12
	v_cmp_ne_u16_e64 s[0:1], 0, v12
	s_and_saveexec_b64 s[6:7], s[0:1]
	s_cbranch_execz .LBB278_332
; %bb.327:                              ;   in Loop: Header=BB278_195 Depth=1
	v_cmp_ne_u16_e64 s[0:1], s26, v12
	v_bfrev_b32_e32 v43, 1
	s_and_saveexec_b64 s[18:19], s[0:1]
	s_cbranch_execz .LBB278_331
; %bb.328:                              ;   in Loop: Header=BB278_195 Depth=1
	v_and_b32_e32 v44, 0x7f, v12
	v_cmp_ne_u32_e64 s[0:1], s27, v44
	v_mov_b32_e32 v43, 0x7fc02000
	s_and_saveexec_b64 s[20:21], s[0:1]
	s_cbranch_execz .LBB278_330
; %bb.329:                              ;   in Loop: Header=BB278_195 Depth=1
	v_and_b32_e32 v43, 7, v12
	v_ffbh_u32_e32 v46, v43
	v_min_u32_e32 v48, 32, v46
	v_subrev_u32_e32 v46, 28, v48
	v_lshlrev_b64 v[46:47], v46, v[12:13]
	v_lshrrev_b32_e32 v45, 3, v44
	v_sub_u32_e32 v47, 29, v48
	v_cmp_gt_u32_e64 s[0:1], 8, v44
	v_cndmask_b32_e64 v44, v45, v47, s[0:1]
	v_and_b32_e32 v46, 7, v46
	v_lshlrev_b32_e32 v12, 8, v12
	v_lshl_add_u32 v44, v44, 10, v7
	v_cndmask_b32_e64 v43, v43, v46, s[0:1]
	v_and_or_b32 v12, v12, s34, v44
	v_lshl_or_b32 v12, v43, 7, v12
	v_cvt_f32_f16_e32 v43, v12
.LBB278_330:                            ;   in Loop: Header=BB278_195 Depth=1
	s_or_b64 exec, exec, s[20:21]
.LBB278_331:                            ;   in Loop: Header=BB278_195 Depth=1
	s_or_b64 exec, exec, s[18:19]
.LBB278_332:                            ;   in Loop: Header=BB278_195 Depth=1
	s_or_b64 exec, exec, s[6:7]
	v_lshrrev_b32_e32 v12, 16, v21
	v_cmp_ne_u16_sdwa s[0:1], v12, v13 src0_sel:BYTE_0 src1_sel:DWORD
	v_mov_b32_e32 v44, 0
	v_mov_b32_e32 v45, 0
	s_and_saveexec_b64 s[6:7], s[0:1]
	s_cbranch_execz .LBB278_338
; %bb.333:                              ;   in Loop: Header=BB278_195 Depth=1
	v_cmp_ne_u16_sdwa s[0:1], v12, s26 src0_sel:BYTE_0 src1_sel:DWORD
	v_bfrev_b32_e32 v45, 1
	s_and_saveexec_b64 s[18:19], s[0:1]
	s_cbranch_execz .LBB278_337
; %bb.334:                              ;   in Loop: Header=BB278_195 Depth=1
	v_bfe_u32 v46, v21, 16, 7
	v_cmp_ne_u32_e64 s[0:1], s27, v46
	v_mov_b32_e32 v45, 0x7fc02000
	s_and_saveexec_b64 s[20:21], s[0:1]
	s_cbranch_execz .LBB278_336
; %bb.335:                              ;   in Loop: Header=BB278_195 Depth=1
	v_and_b32_e32 v45, 7, v12
	v_ffbh_u32_e32 v48, v45
	v_min_u32_e32 v50, 32, v48
	v_subrev_u32_e32 v48, 28, v50
	v_lshlrev_b64 v[48:49], v48, v[12:13]
	v_lshrrev_b32_e32 v47, 3, v46
	v_sub_u32_e32 v49, 29, v50
	v_cmp_gt_u32_e64 s[0:1], 8, v46
	v_cndmask_b32_e64 v46, v47, v49, s[0:1]
	v_and_b32_e32 v48, 7, v48
	v_lshlrev_b32_e32 v12, 8, v12
	v_lshl_add_u32 v46, v46, 10, v7
	v_cndmask_b32_e64 v45, v45, v48, s[0:1]
	v_and_or_b32 v12, v12, s34, v46
	v_lshl_or_b32 v12, v45, 7, v12
	v_cvt_f32_f16_e32 v45, v12
.LBB278_336:                            ;   in Loop: Header=BB278_195 Depth=1
	s_or_b64 exec, exec, s[20:21]
.LBB278_337:                            ;   in Loop: Header=BB278_195 Depth=1
	s_or_b64 exec, exec, s[18:19]
.LBB278_338:                            ;   in Loop: Header=BB278_195 Depth=1
	s_or_b64 exec, exec, s[6:7]
	v_cmp_lt_u64_e64 s[0:1], s[12:13], v[20:21]
	s_and_saveexec_b64 s[6:7], s[0:1]
	s_cbranch_execz .LBB278_344
; %bb.339:                              ;   in Loop: Header=BB278_195 Depth=1
	v_lshrrev_b32_e32 v12, 24, v21
	v_cmp_ne_u32_e64 s[0:1], s26, v12
	v_bfrev_b32_e32 v44, 1
	s_and_saveexec_b64 s[18:19], s[0:1]
	s_cbranch_execz .LBB278_343
; %bb.340:                              ;   in Loop: Header=BB278_195 Depth=1
	v_and_b32_e32 v20, 0x7f, v12
	v_cmp_ne_u32_e64 s[0:1], s27, v20
	v_mov_b32_e32 v44, 0x7fc02000
	s_and_saveexec_b64 s[20:21], s[0:1]
	s_cbranch_execz .LBB278_342
; %bb.341:                              ;   in Loop: Header=BB278_195 Depth=1
	v_and_b32_e32 v21, 7, v12
	v_ffbh_u32_e32 v46, v21
	v_min_u32_e32 v48, 32, v46
	v_subrev_u32_e32 v46, 28, v48
	v_lshlrev_b64 v[46:47], v46, v[12:13]
	v_lshrrev_b32_e32 v44, 3, v20
	v_sub_u32_e32 v47, 29, v48
	v_cmp_gt_u32_e64 s[0:1], 8, v20
	v_cndmask_b32_e64 v20, v44, v47, s[0:1]
	v_and_b32_e32 v46, 7, v46
	v_lshlrev_b32_e32 v12, 8, v12
	v_lshl_add_u32 v20, v20, 10, v7
	v_cndmask_b32_e64 v21, v21, v46, s[0:1]
	v_and_or_b32 v12, v12, s34, v20
	v_lshl_or_b32 v12, v21, 7, v12
	v_cvt_f32_f16_e32 v44, v12
.LBB278_342:                            ;   in Loop: Header=BB278_195 Depth=1
	s_or_b64 exec, exec, s[20:21]
.LBB278_343:                            ;   in Loop: Header=BB278_195 Depth=1
	s_or_b64 exec, exec, s[18:19]
.LBB278_344:                            ;   in Loop: Header=BB278_195 Depth=1
	s_or_b64 exec, exec, s[6:7]
	s_waitcnt vmcnt(0)
	v_pk_mul_f32 v[18:19], v[16:17], v[18:19] op_sel_hi:[0,1]
	v_pk_mul_f32 v[14:15], v[16:17], v[14:15] op_sel_hi:[0,1]
	v_cvt_f16_f32_e32 v12, v19
	v_cvt_f16_f32_e32 v18, v18
	;; [unrolled: 1-line block ×4, first 2 shown]
	v_pack_b32_f16 v18, v18, v12
	v_pack_b32_f16 v14, v14, v15
	v_perm_b32 v12, v14, v18, s37
	v_perm_b32 v15, v14, v18, s38
	v_fma_mixlo_f16 v14, v16, v43, 0
	v_lshlrev_b32_e32 v14, 16, v14
	v_fma_mixlo_f16 v18, v16, v42, 0
	v_or_b32_sdwa v14, v14, v18 dst_sel:DWORD dst_unused:UNUSED_PAD src0_sel:DWORD src1_sel:WORD_0
	v_fma_mixlo_f16 v18, v16, v45, 0
	v_fma_mixlo_f16 v16, v16, v44, 0
	v_lshlrev_b32_e32 v16, 16, v16
	v_or_b32_sdwa v16, v16, v18 dst_sel:DWORD dst_unused:UNUSED_PAD src0_sel:DWORD src1_sel:WORD_0
	s_and_saveexec_b64 s[0:1], vcc
	s_cbranch_execz .LBB278_193
; %bb.345:                              ;   in Loop: Header=BB278_195 Depth=1
	v_lshrrev_b32_e32 v19, 16, v15
	v_cmp_gt_i32_e32 vcc, s25, v35
	v_cndmask_b32_e32 v19, 0, v19, vcc
	v_cmp_gt_i32_e32 vcc, s33, v30
	v_cndmask_b32_e32 v15, 0, v15, vcc
	v_perm_b32 v15, v19, v15, s39
	v_lshrrev_b32_e32 v19, 16, v12
	v_cmp_gt_i32_e32 vcc, s25, v34
	v_cndmask_b32_e32 v19, 0, v19, vcc
	v_cmp_gt_i32_e32 vcc, s33, v33
	v_cndmask_b32_e32 v12, 0, v12, vcc
	v_perm_b32 v12, v19, v12, s39
	v_lshrrev_b32_e32 v19, 16, v14
	v_cmp_gt_i32_e32 vcc, s25, v32
	v_cndmask_b32_e32 v19, 0, v19, vcc
	v_cmp_gt_i32_e32 vcc, s33, v31
	v_cndmask_b32_e32 v14, 0, v14, vcc
	v_lshrrev_b32_e32 v16, 16, v16
	v_cmp_gt_i32_e32 vcc, s25, v29
	v_cndmask_b32_e32 v16, 0, v16, vcc
	v_cmp_gt_i32_e32 vcc, s33, v28
	v_cndmask_b32_e32 v18, 0, v18, vcc
	v_perm_b32 v14, v19, v14, s39
	v_perm_b32 v16, v16, v18, s39
	s_branch .LBB278_193
.LBB278_346:
	s_or_b64 exec, exec, s[16:17]
.LBB278_347:
	s_or_b64 exec, exec, s[10:11]
	ds_bpermute_b32 v1, v24, v4
	ds_bpermute_b32 v6, v24, v2
	;; [unrolled: 1-line block ×3, first 2 shown]
	s_waitcnt lgkmcnt(0)
	s_barrier
	v_add_f32_e32 v1, v4, v1
	v_and_b32_e32 v4, 0x3c1, v0
	v_pk_add_f32 v[2:3], v[2:3], v[6:7]
	v_cmp_eq_u32_e32 vcc, 64, v4
	s_and_saveexec_b64 s[0:1], vcc
	s_cbranch_execz .LBB278_349
; %bb.348:
	v_mov_b32_e32 v5, 0xd0
	v_lshl_add_u32 v5, v17, 1, v5
	ds_write2_b32 v5, v2, v3 offset1:32
	ds_write_b32 v5, v1 offset:256
.LBB278_349:
	s_or_b64 exec, exec, s[0:1]
	v_cmp_gt_u32_e32 vcc, 64, v0
	s_waitcnt lgkmcnt(0)
	s_barrier
	s_and_saveexec_b64 s[0:1], vcc
	s_cbranch_execz .LBB278_355
; %bb.350:
	v_cmp_eq_u32_e32 vcc, 0, v25
	v_lshrrev_b32_e32 v5, 1, v0
	s_and_saveexec_b64 s[4:5], vcc
	s_cbranch_execnz .LBB278_358
; %bb.351:
	s_or_b64 exec, exec, s[4:5]
	s_and_saveexec_b64 s[4:5], vcc
	s_cbranch_execnz .LBB278_359
.LBB278_352:
	s_or_b64 exec, exec, s[4:5]
	s_and_saveexec_b64 s[4:5], vcc
	s_cbranch_execz .LBB278_354
.LBB278_353:
	v_mov_b32_e32 v6, 0xd0
	v_lshl_add_u32 v5, v5, 2, v6
	ds_read_b32 v5, v5 offset:256
	s_waitcnt lgkmcnt(0)
	v_add_f32_e32 v1, v1, v5
.LBB278_354:
	s_or_b64 exec, exec, s[4:5]
.LBB278_355:
	s_or_b64 exec, exec, s[0:1]
	v_cmp_eq_u32_e32 vcc, 0, v4
	s_barrier
	s_and_saveexec_b64 s[0:1], vcc
	s_cbranch_execz .LBB278_357
; %bb.356:
	s_mul_i32 s0, s2, 0x60
	s_ashr_i32 s1, s0, 31
	s_lshl_b64 s[0:1], s[0:1], 1
	s_add_u32 s2, s30, s0
	s_mul_i32 s0, s23, s28
	s_addc_u32 s3, s31, s1
	s_ashr_i32 s1, s0, 31
	s_lshl_b64 s[0:1], s[0:1], 1
	s_add_u32 s2, s2, s0
	s_mul_i32 s0, s8, 0x60
	s_addc_u32 s3, s3, s1
	s_ashr_i32 s1, s0, 31
	s_lshl_b64 s[0:1], s[0:1], 1
	s_add_u32 s0, s2, s0
	s_addc_u32 s1, s3, s1
	;;#ASMSTART
	v_cvt_f16_f32 v2, v2;

	;;#ASMEND
	global_store_short v0, v2, s[0:1]
	;;#ASMSTART
	v_cvt_f16_f32 v2, v3;

	;;#ASMEND
	global_store_short v0, v2, s[0:1] offset:64
	;;#ASMSTART
	v_cvt_f16_f32 v1, v1;

	;;#ASMEND
	global_store_short v0, v1, s[0:1] offset:128
.LBB278_357:
	s_endpgm
.LBB278_358:
	v_mov_b32_e32 v6, 0xd0
	v_lshl_add_u32 v6, v5, 2, v6
	ds_read_b32 v6, v6
	s_waitcnt lgkmcnt(0)
	v_add_f32_e32 v2, v2, v6
	s_or_b64 exec, exec, s[4:5]
	s_and_saveexec_b64 s[4:5], vcc
	s_cbranch_execz .LBB278_352
.LBB278_359:
	v_mov_b32_e32 v6, 0xd0
	v_lshl_add_u32 v6, v5, 2, v6
	ds_read_b32 v6, v6 offset:128
	s_waitcnt lgkmcnt(0)
	v_add_f32_e32 v3, v3, v6
	s_or_b64 exec, exec, s[4:5]
	s_and_saveexec_b64 s[4:5], vcc
	s_cbranch_execnz .LBB278_353
	s_branch .LBB278_354
	.section	.rodata,"a",@progbits
	.p2align	6, 0x0
	.amdhsa_kernel _ZN4vllm25paged_attention_v2_kernelIthLi96ELi16ELi128ELNS_18Fp8KVCacheDataTypeE1ELb1ELi512EEEvPfS2_PT_PKS3_PKT0_S9_ifPKiSB_iPKfiiiSD_SD_iiiii
		.amdhsa_group_segment_fixed_size 208
		.amdhsa_private_segment_fixed_size 0
		.amdhsa_kernarg_size 400
		.amdhsa_user_sgpr_count 6
		.amdhsa_user_sgpr_private_segment_buffer 1
		.amdhsa_user_sgpr_dispatch_ptr 0
		.amdhsa_user_sgpr_queue_ptr 0
		.amdhsa_user_sgpr_kernarg_segment_ptr 1
		.amdhsa_user_sgpr_dispatch_id 0
		.amdhsa_user_sgpr_flat_scratch_init 0
		.amdhsa_user_sgpr_kernarg_preload_length 0
		.amdhsa_user_sgpr_kernarg_preload_offset 0
		.amdhsa_user_sgpr_private_segment_size 0
		.amdhsa_uses_dynamic_stack 0
		.amdhsa_system_sgpr_private_segment_wavefront_offset 0
		.amdhsa_system_sgpr_workgroup_id_x 1
		.amdhsa_system_sgpr_workgroup_id_y 1
		.amdhsa_system_sgpr_workgroup_id_z 1
		.amdhsa_system_sgpr_workgroup_info 0
		.amdhsa_system_vgpr_workitem_id 0
		.amdhsa_next_free_vgpr 61
		.amdhsa_next_free_sgpr 63
		.amdhsa_accum_offset 64
		.amdhsa_reserve_vcc 1
		.amdhsa_reserve_flat_scratch 0
		.amdhsa_float_round_mode_32 0
		.amdhsa_float_round_mode_16_64 0
		.amdhsa_float_denorm_mode_32 3
		.amdhsa_float_denorm_mode_16_64 3
		.amdhsa_dx10_clamp 1
		.amdhsa_ieee_mode 1
		.amdhsa_fp16_overflow 0
		.amdhsa_tg_split 0
		.amdhsa_exception_fp_ieee_invalid_op 0
		.amdhsa_exception_fp_denorm_src 0
		.amdhsa_exception_fp_ieee_div_zero 0
		.amdhsa_exception_fp_ieee_overflow 0
		.amdhsa_exception_fp_ieee_underflow 0
		.amdhsa_exception_fp_ieee_inexact 0
		.amdhsa_exception_int_div_zero 0
	.end_amdhsa_kernel
	.section	.text._ZN4vllm25paged_attention_v2_kernelIthLi96ELi16ELi128ELNS_18Fp8KVCacheDataTypeE1ELb1ELi512EEEvPfS2_PT_PKS3_PKT0_S9_ifPKiSB_iPKfiiiSD_SD_iiiii,"axG",@progbits,_ZN4vllm25paged_attention_v2_kernelIthLi96ELi16ELi128ELNS_18Fp8KVCacheDataTypeE1ELb1ELi512EEEvPfS2_PT_PKS3_PKT0_S9_ifPKiSB_iPKfiiiSD_SD_iiiii,comdat
.Lfunc_end278:
	.size	_ZN4vllm25paged_attention_v2_kernelIthLi96ELi16ELi128ELNS_18Fp8KVCacheDataTypeE1ELb1ELi512EEEvPfS2_PT_PKS3_PKT0_S9_ifPKiSB_iPKfiiiSD_SD_iiiii, .Lfunc_end278-_ZN4vllm25paged_attention_v2_kernelIthLi96ELi16ELi128ELNS_18Fp8KVCacheDataTypeE1ELb1ELi512EEEvPfS2_PT_PKS3_PKT0_S9_ifPKiSB_iPKfiiiSD_SD_iiiii
                                        ; -- End function
	.section	.AMDGPU.csdata,"",@progbits
; Kernel info:
; codeLenInByte = 15260
; NumSgprs: 67
; NumVgprs: 61
; NumAgprs: 0
; TotalNumVgprs: 61
; ScratchSize: 0
; MemoryBound: 0
; FloatMode: 240
; IeeeMode: 1
; LDSByteSize: 208 bytes/workgroup (compile time only)
; SGPRBlocks: 8
; VGPRBlocks: 7
; NumSGPRsForWavesPerEU: 67
; NumVGPRsForWavesPerEU: 61
; AccumOffset: 64
; Occupancy: 8
; WaveLimiterHint : 1
; COMPUTE_PGM_RSRC2:SCRATCH_EN: 0
; COMPUTE_PGM_RSRC2:USER_SGPR: 6
; COMPUTE_PGM_RSRC2:TRAP_HANDLER: 0
; COMPUTE_PGM_RSRC2:TGID_X_EN: 1
; COMPUTE_PGM_RSRC2:TGID_Y_EN: 1
; COMPUTE_PGM_RSRC2:TGID_Z_EN: 1
; COMPUTE_PGM_RSRC2:TIDIG_COMP_CNT: 0
; COMPUTE_PGM_RSRC3_GFX90A:ACCUM_OFFSET: 15
; COMPUTE_PGM_RSRC3_GFX90A:TG_SPLIT: 0
	.section	.text._ZN4vllm25paged_attention_v2_kernelIthLi112ELi16ELi128ELNS_18Fp8KVCacheDataTypeE1ELb1ELi512EEEvPfS2_PT_PKS3_PKT0_S9_ifPKiSB_iPKfiiiSD_SD_iiiii,"axG",@progbits,_ZN4vllm25paged_attention_v2_kernelIthLi112ELi16ELi128ELNS_18Fp8KVCacheDataTypeE1ELb1ELi512EEEvPfS2_PT_PKS3_PKT0_S9_ifPKiSB_iPKfiiiSD_SD_iiiii,comdat
	.protected	_ZN4vllm25paged_attention_v2_kernelIthLi112ELi16ELi128ELNS_18Fp8KVCacheDataTypeE1ELb1ELi512EEEvPfS2_PT_PKS3_PKT0_S9_ifPKiSB_iPKfiiiSD_SD_iiiii ; -- Begin function _ZN4vllm25paged_attention_v2_kernelIthLi112ELi16ELi128ELNS_18Fp8KVCacheDataTypeE1ELb1ELi512EEEvPfS2_PT_PKS3_PKT0_S9_ifPKiSB_iPKfiiiSD_SD_iiiii
	.globl	_ZN4vllm25paged_attention_v2_kernelIthLi112ELi16ELi128ELNS_18Fp8KVCacheDataTypeE1ELb1ELi512EEEvPfS2_PT_PKS3_PKT0_S9_ifPKiSB_iPKfiiiSD_SD_iiiii
	.p2align	8
	.type	_ZN4vllm25paged_attention_v2_kernelIthLi112ELi16ELi128ELNS_18Fp8KVCacheDataTypeE1ELb1ELi512EEEvPfS2_PT_PKS3_PKT0_S9_ifPKiSB_iPKfiiiSD_SD_iiiii,@function
_ZN4vllm25paged_attention_v2_kernelIthLi112ELi16ELi128ELNS_18Fp8KVCacheDataTypeE1ELb1ELi512EEEvPfS2_PT_PKS3_PKT0_S9_ifPKiSB_iPKfiiiSD_SD_iiiii: ; @_ZN4vllm25paged_attention_v2_kernelIthLi112ELi16ELi128ELNS_18Fp8KVCacheDataTypeE1ELb1ELi512EEEvPfS2_PT_PKS3_PKT0_S9_ifPKiSB_iPKfiiiSD_SD_iiiii
; %bb.0:
	s_load_dwordx2 s[0:1], s[4:5], 0x40
	s_mov_b32 s34, s7
	s_ashr_i32 s35, s7, 31
	s_lshl_b64 s[2:3], s[34:35], 2
	s_waitcnt lgkmcnt(0)
	s_add_u32 s0, s0, s2
	s_addc_u32 s1, s1, s3
	s_load_dword s33, s[0:1], 0x0
	s_lshl_b32 s55, s8, 9
	s_waitcnt lgkmcnt(0)
	s_cmp_ge_i32 s55, s33
	s_cbranch_scc1 .LBB279_441
; %bb.1:
	s_load_dword s9, s[4:5], 0x90
	s_load_dwordx2 s[42:43], s[4:5], 0x30
	s_mov_b32 s56, 0
	s_waitcnt lgkmcnt(0)
	s_abs_i32 s2, s9
	s_abs_i32 s0, s42
	v_cvt_f32_u32_e32 v1, s0
	s_sub_i32 s3, 0, s0
	s_xor_b32 s1, s9, s42
	s_ashr_i32 s1, s1, 31
	v_rcp_iflag_f32_e32 v1, v1
	v_mul_f32_e32 v1, 0x4f7ffffe, v1
	v_cvt_u32_f32_e32 v1, v1
	v_readfirstlane_b32 s7, v1
	s_mul_i32 s3, s3, s7
	s_mul_hi_u32 s3, s7, s3
	s_add_i32 s7, s7, s3
	s_mul_hi_u32 s3, s2, s7
	s_mul_i32 s7, s3, s0
	s_sub_i32 s2, s2, s7
	s_add_i32 s10, s3, 1
	s_sub_i32 s7, s2, s0
	s_cmp_ge_u32 s2, s0
	s_cselect_b32 s3, s10, s3
	s_cselect_b32 s2, s7, s2
	s_add_i32 s7, s3, 1
	s_cmp_ge_u32 s2, s0
	s_cselect_b32 s0, s7, s3
	s_xor_b32 s0, s0, s1
	s_sub_i32 s11, s0, s1
	s_abs_i32 s2, s11
	v_cvt_f32_u32_e32 v1, s2
	s_load_dwordx2 s[0:1], s[4:5], 0x50
	s_sub_i32 s7, 0, s2
	s_abs_i32 s3, s6
	v_rcp_iflag_f32_e32 v1, v1
	v_mul_f32_e32 v1, 0x4f7ffffe, v1
	v_cvt_u32_f32_e32 v1, v1
	v_readfirstlane_b32 s10, v1
	s_mul_i32 s7, s7, s10
	s_mul_hi_u32 s7, s10, s7
	s_add_i32 s10, s10, s7
	s_waitcnt lgkmcnt(0)
	s_cmp_eq_u64 s[0:1], 0
	s_mul_hi_u32 s10, s3, s10
	s_cbranch_scc1 .LBB279_3
; %bb.2:
	s_ashr_i32 s7, s6, 31
	s_lshl_b64 s[12:13], s[6:7], 2
	s_add_u32 s0, s0, s12
	s_addc_u32 s1, s1, s13
	s_load_dword s56, s[0:1], 0x0
.LBB279_3:
	s_load_dwordx4 s[16:19], s[4:5], 0x58
	s_ashr_i32 s7, s6, 31
	s_ashr_i32 s11, s11, 31
	v_and_b32_e32 v8, 3, v0
	s_mul_i32 s28, s6, 0x70
	v_cmp_gt_u32_e32 vcc, 56, v0
	s_and_saveexec_b64 s[0:1], vcc
	s_cbranch_execz .LBB279_5
; %bb.4:
	s_load_dwordx2 s[12:13], s[4:5], 0x18
	s_waitcnt lgkmcnt(0)
	s_mul_i32 s14, s34, s16
	s_ashr_i32 s15, s14, 31
	s_lshl_b64 s[14:15], s[14:15], 1
	v_lshlrev_b32_e32 v1, 2, v0
	s_add_u32 s14, s12, s14
	s_addc_u32 s15, s13, s15
	s_ashr_i32 s29, s28, 31
	s_lshl_b64 s[12:13], s[28:29], 1
	s_add_u32 s12, s14, s12
	s_addc_u32 s13, s15, s13
	global_load_dword v1, v1, s[12:13]
	v_and_b32_e32 v2, 0x3fc, v0
	v_mad_u32_u24 v2, v8, 56, v2
	s_waitcnt vmcnt(0)
	ds_write_b32 v2, v1
.LBB279_5:
	s_or_b64 exec, exec, s[0:1]
	s_mul_i32 s1, s10, s2
	s_sub_i32 s1, s3, s1
	s_xor_b32 s0, s7, s11
	s_add_i32 s3, s10, 1
	s_sub_i32 s7, s1, s2
	s_load_dwordx4 s[20:23], s[4:5], 0x78
	s_cmp_ge_u32 s1, s2
	s_cselect_b32 s3, s3, s10
	s_load_dword s10, s[4:5], 0x88
	s_cselect_b32 s1, s7, s1
	s_add_i32 s7, s3, 1
	s_cmp_ge_u32 s1, s2
	s_cselect_b32 s1, s7, s3
	s_waitcnt lgkmcnt(0)
	s_abs_i32 s35, s23
	v_cvt_f32_u32_e32 v1, s35
	s_xor_b32 s1, s1, s0
	s_sub_i32 s2, s1, s0
	s_sub_i32 s0, 0, s35
	v_rcp_iflag_f32_e32 v1, v1
	s_add_i32 s11, s33, -1
	s_abs_i32 s3, s11
	v_mul_f32_e32 v1, 0x4f7ffffe, v1
	v_cvt_u32_f32_e32 v1, v1
	s_barrier
	v_readfirstlane_b32 s52, v1
	s_mul_i32 s0, s0, s52
	s_mul_hi_u32 s0, s52, s0
	s_add_i32 s52, s52, s0
	s_cmp_lt_i32 s10, 0
	s_mul_hi_u32 s7, s3, s52
	s_cbranch_scc0 .LBB279_7
; %bb.6:
	s_mul_i32 s0, s20, s42
	s_add_i32 s0, s2, s0
	s_mul_i32 s0, s0, s10
	s_sub_i32 s42, 1, s0
	s_mov_b64 s[0:1], 0
	s_branch .LBB279_8
.LBB279_7:
	s_mov_b64 s[0:1], -1
                                        ; implicit-def: $sgpr42
.LBB279_8:
	s_load_dwordx2 s[36:37], s[4:5], 0x38
	s_ashr_i32 s11, s11, 31
	s_andn2_b64 vcc, exec, s[0:1]
	s_ashr_i32 s53, s23, 31
	s_cbranch_vccnz .LBB279_10
; %bb.9:
	s_mul_i32 s0, s9, s20
	s_add_i32 s0, s0, s6
	s_mul_i32 s0, s0, s10
	s_add_i32 s42, s0, 1
.LBB279_10:
	s_load_dwordx2 s[40:41], s[4:5], 0x28
	s_load_dword s0, s[4:5], 0x48
	s_load_dwordx4 s[24:27], s[4:5], 0x0
	s_load_dwordx2 s[30:31], s[4:5], 0x10
	s_load_dword s29, s[4:5], 0x98
	s_load_dwordx4 s[12:15], s[4:5], 0x68
	s_mul_i32 s1, s7, s35
	s_waitcnt lgkmcnt(0)
	s_mul_i32 s38, s34, s0
	s_sub_i32 s1, s3, s1
	s_ashr_i32 s39, s38, 31
	s_xor_b32 s0, s11, s53
	s_add_i32 s3, s7, 1
	s_sub_i32 s10, s1, s35
	s_cmp_ge_u32 s1, s35
	s_cselect_b32 s3, s3, s7
	s_cselect_b32 s1, s10, s1
	s_add_i32 s7, s3, 1
	s_cmp_ge_u32 s1, s35
	s_cselect_b32 s1, s7, s3
	s_xor_b32 s1, s1, s0
	s_sub_i32 s16, s1, s0
	s_add_i32 s0, s33, 15
	s_ashr_i32 s1, s0, 31
	s_lshr_b32 s1, s1, 28
	s_add_i32 s0, s0, s1
	s_lshl_b32 s23, s8, 5
	s_ashr_i32 s7, s0, 4
	s_add_i32 s0, s23, 32
	v_lshrrev_b32_e32 v13, 6, v0
	s_min_i32 s54, s0, s7
	v_or_b32_e32 v6, s23, v13
	v_cmp_gt_i32_e64 s[0:1], s54, v6
	v_mov_b32_e32 v17, 0xff7fffff
	s_mul_i32 s20, s2, s18
	v_ashrrev_i32_e32 v7, 31, v6
	v_lshl_add_u32 v1, v13, 4, s55
	v_mbcnt_lo_u32_b32 v5, -1, 0
	s_and_saveexec_b64 s[18:19], s[0:1]
	s_cbranch_execz .LBB279_188
; %bb.11:
	s_load_dwordx2 s[2:3], s[4:5], 0x20
	s_sub_i32 s57, s16, s21
	s_ashr_i32 s4, s20, 31
	v_bfe_u32 v14, v0, 2, 4
	v_lshlrev_b32_e32 v3, 4, v14
	s_waitcnt lgkmcnt(0)
	s_add_u32 s2, s2, s20
	s_addc_u32 s3, s3, s4
	s_abs_i32 s59, s22
	v_cvt_f32_u32_e32 v2, s59
	v_mov_b32_e32 v4, s3
	s_sub_i32 s4, 0, s59
	v_cmp_eq_u32_e32 vcc, 0, v8
	v_rcp_iflag_f32_e32 v9, v2
	v_add_co_u32_e64 v2, s[2:3], s2, v3
	v_addc_co_u32_e64 v3, s[2:3], 0, v4, s[2:3]
	v_mul_f32_e32 v9, 0x4f7ffffe, v9
	v_cvt_u32_f32_e32 v9, v9
	v_lshlrev_b32_e32 v4, 1, v8
	v_mul_u32_u24_e32 v16, 56, v8
	s_mov_b32 s58, s17
	v_mul_lo_u32 v8, s4, v9
	s_lshl_b64 s[4:5], s[38:39], 2
	v_mul_hi_u32 v8, v9, v8
	s_add_u32 s4, s36, s4
	v_add_u32_e32 v18, v9, v8
	v_lshlrev_b64 v[8:9], 2, v[6:7]
	s_addc_u32 s5, s37, s5
	v_mov_b32_e32 v10, s5
	v_add_co_u32_e64 v8, s[4:5], s4, v8
	v_addc_co_u32_e64 v9, s[4:5], v10, v9, s[4:5]
	v_lshlrev_b32_e32 v10, 2, v14
	v_lshl_or_b32 v10, v13, 6, v10
	v_add_u32_e32 v20, 0xf0, v10
	v_subrev_u32_e32 v10, s33, v14
	v_mov_b32_e32 v15, 0
	v_cmp_neq_f32_e64 s[2:3], s56, 0
	v_lshl_add_u32 v19, v13, 4, s55
	v_add_u32_e32 v21, 1, v10
	s_mov_b64 s[44:45], 0
	v_mov_b32_e32 v22, 0xff7fffff
	s_movk_i32 s60, 0x80
	s_movk_i32 s61, 0x7f
	s_mov_b32 s62, 0x8000
	v_mov_b32_e32 v23, 0x2000
	v_mbcnt_hi_u32_b32 v24, -1, v5
	v_mov_b32_e32 v17, 0xff7fffff
	v_mov_b32_e32 v25, v6
	s_branch .LBB279_14
.LBB279_12:                             ;   in Loop: Header=BB279_14 Depth=1
	s_or_b64 exec, exec, s[46:47]
.LBB279_13:                             ;   in Loop: Header=BB279_14 Depth=1
	s_or_b64 exec, exec, s[10:11]
	v_add_co_u32_e64 v8, s[4:5], 8, v8
	v_add_u32_e32 v25, 2, v25
	v_addc_co_u32_e64 v9, s[4:5], 0, v9, s[4:5]
	v_cmp_le_i32_e64 s[4:5], s54, v25
	v_add_u32_e32 v19, 32, v19
	s_or_b64 s[44:45], s[4:5], s[44:45]
	v_add_u32_e32 v20, 0x80, v20
	s_andn2_b64 exec, exec, s[44:45]
	s_cbranch_execz .LBB279_187
.LBB279_14:                             ; =>This Inner Loop Header: Depth=1
	s_waitcnt lgkmcnt(0)
	v_sub_u32_e32 v11, 0, v19
	v_max_i32_e32 v11, v19, v11
	v_mul_hi_u32 v12, v11, s52
	v_mul_lo_u32 v26, v12, s35
	v_sub_u32_e32 v11, v11, v26
	v_add_u32_e32 v26, 1, v12
	v_cmp_le_u32_e64 s[4:5], s35, v11
	v_cndmask_b32_e64 v12, v12, v26, s[4:5]
	v_subrev_u32_e32 v26, s35, v11
	v_cndmask_b32_e64 v11, v11, v26, s[4:5]
	v_ashrrev_i32_e32 v10, 31, v19
	v_add_u32_e32 v26, 1, v12
	v_cmp_le_u32_e64 s[4:5], s35, v11
	v_xor_b32_e32 v10, s53, v10
	v_cndmask_b32_e64 v11, v12, v26, s[4:5]
	v_xor_b32_e32 v11, v11, v10
	v_sub_u32_e32 v10, v11, v10
	v_add_u32_e32 v11, s42, v10
	v_sub_u32_e32 v26, 0, v11
	v_ashrrev_i32_e32 v12, 31, v11
	v_max_i32_e32 v11, v11, v26
	v_mul_hi_u32 v26, v11, v18
	v_mul_lo_u32 v26, v26, s59
	v_sub_u32_e32 v11, v11, v26
	v_subrev_u32_e32 v26, s59, v11
	v_cmp_le_u32_e64 s[4:5], s59, v11
	v_cndmask_b32_e64 v11, v11, v26, s[4:5]
	v_subrev_u32_e32 v26, s59, v11
	v_cmp_le_u32_e64 s[4:5], s59, v11
	v_cndmask_b32_e64 v11, v11, v26, s[4:5]
	v_xor_b32_e32 v11, v11, v12
	v_sub_u32_e32 v11, v11, v12
	v_cmp_ne_u32_e64 s[4:5], 0, v11
	v_cmp_ge_i32_e64 s[10:11], s57, v10
	s_and_b64 s[4:5], s[4:5], s[10:11]
	s_and_b64 s[46:47], vcc, s[4:5]
	s_and_saveexec_b64 s[10:11], s[46:47]
	s_cbranch_execz .LBB279_16
; %bb.15:                               ;   in Loop: Header=BB279_14 Depth=1
	ds_write_b32 v20, v22
.LBB279_16:                             ;   in Loop: Header=BB279_14 Depth=1
	s_or_b64 exec, exec, s[10:11]
	s_xor_b64 s[4:5], s[4:5], -1
	s_and_saveexec_b64 s[10:11], s[4:5]
	s_cbranch_execz .LBB279_13
; %bb.17:                               ;   in Loop: Header=BB279_14 Depth=1
	global_load_dword v10, v[8:9], off
	v_mov_b32_e32 v27, 0
	s_waitcnt vmcnt(0)
	v_mad_i64_i32 v[10:11], s[4:5], v10, s58, v[2:3]
	v_add_co_u32_e64 v10, s[4:5], v10, v4
	v_addc_co_u32_e64 v11, s[4:5], 0, v11, s[4:5]
	global_load_ushort v28, v[10:11], off
	global_load_dword v26, v15, s[12:13]
	s_waitcnt vmcnt(1)
	v_and_b32_e32 v12, 0xffff, v28
	v_cmp_ne_u16_sdwa s[4:5], v28, v15 src0_sel:BYTE_0 src1_sel:DWORD
	v_mov_b32_e32 v28, 0
	s_and_saveexec_b64 s[46:47], s[4:5]
	s_cbranch_execz .LBB279_23
; %bb.18:                               ;   in Loop: Header=BB279_14 Depth=1
	v_cmp_ne_u16_sdwa s[4:5], v12, s60 src0_sel:BYTE_0 src1_sel:DWORD
	v_bfrev_b32_e32 v28, 1
	s_and_saveexec_b64 s[48:49], s[4:5]
	s_cbranch_execz .LBB279_22
; %bb.19:                               ;   in Loop: Header=BB279_14 Depth=1
	v_and_b32_e32 v29, 0x7f, v12
	v_cmp_ne_u32_e64 s[4:5], s61, v29
	v_mov_b32_e32 v28, 0x7fc02000
	s_and_saveexec_b64 s[50:51], s[4:5]
	s_cbranch_execz .LBB279_21
; %bb.20:                               ;   in Loop: Header=BB279_14 Depth=1
	v_and_b32_e32 v28, 7, v12
	v_ffbh_u32_e32 v30, v28
	v_min_u32_e32 v33, 32, v30
	v_subrev_u32_e32 v30, 28, v33
	v_lshlrev_b64 v[30:31], v30, v[12:13]
	v_lshrrev_b32_e32 v32, 3, v29
	v_sub_u32_e32 v31, 29, v33
	v_cmp_gt_u32_e64 s[4:5], 8, v29
	v_and_b32_e32 v30, 7, v30
	v_cndmask_b32_e64 v29, v32, v31, s[4:5]
	v_cndmask_b32_e64 v28, v28, v30, s[4:5]
	v_lshlrev_b32_e32 v30, 8, v12
	v_lshl_add_u32 v29, v29, 10, v23
	v_and_or_b32 v29, v30, s62, v29
	v_lshl_or_b32 v28, v28, 7, v29
	v_cvt_f32_f16_e32 v28, v28
.LBB279_21:                             ;   in Loop: Header=BB279_14 Depth=1
	s_or_b64 exec, exec, s[50:51]
.LBB279_22:                             ;   in Loop: Header=BB279_14 Depth=1
	s_or_b64 exec, exec, s[48:49]
.LBB279_23:                             ;   in Loop: Header=BB279_14 Depth=1
	s_or_b64 exec, exec, s[46:47]
	v_lshrrev_b16_e32 v12, 8, v12
	v_cmp_ne_u16_e64 s[4:5], 0, v12
	s_and_saveexec_b64 s[46:47], s[4:5]
	s_cbranch_execz .LBB279_29
; %bb.24:                               ;   in Loop: Header=BB279_14 Depth=1
	v_cmp_ne_u16_e64 s[4:5], s60, v12
	v_bfrev_b32_e32 v27, 1
	s_and_saveexec_b64 s[48:49], s[4:5]
	s_cbranch_execz .LBB279_28
; %bb.25:                               ;   in Loop: Header=BB279_14 Depth=1
	v_and_b32_e32 v29, 0x7f, v12
	v_cmp_ne_u32_e64 s[4:5], s61, v29
	v_mov_b32_e32 v27, 0x7fc02000
	s_and_saveexec_b64 s[50:51], s[4:5]
	s_cbranch_execz .LBB279_27
; %bb.26:                               ;   in Loop: Header=BB279_14 Depth=1
	v_and_b32_e32 v27, 7, v12
	v_ffbh_u32_e32 v30, v27
	v_min_u32_e32 v33, 32, v30
	v_subrev_u32_e32 v30, 28, v33
	v_lshlrev_b64 v[30:31], v30, v[12:13]
	v_lshrrev_b32_e32 v32, 3, v29
	v_sub_u32_e32 v31, 29, v33
	v_cmp_gt_u32_e64 s[4:5], 8, v29
	v_cndmask_b32_e64 v29, v32, v31, s[4:5]
	v_and_b32_e32 v30, 7, v30
	v_lshlrev_b32_e32 v12, 8, v12
	v_lshl_add_u32 v29, v29, 10, v23
	v_cndmask_b32_e64 v27, v27, v30, s[4:5]
	v_and_or_b32 v12, v12, s62, v29
	v_lshl_or_b32 v12, v27, 7, v12
	v_cvt_f32_f16_e32 v27, v12
.LBB279_27:                             ;   in Loop: Header=BB279_14 Depth=1
	s_or_b64 exec, exec, s[50:51]
.LBB279_28:                             ;   in Loop: Header=BB279_14 Depth=1
	s_or_b64 exec, exec, s[48:49]
.LBB279_29:                             ;   in Loop: Header=BB279_14 Depth=1
	s_or_b64 exec, exec, s[46:47]
	global_load_ushort v30, v[10:11], off offset:8
	v_mov_b32_e32 v29, 0
	s_waitcnt vmcnt(0)
	v_and_b32_e32 v12, 0xffff, v30
	v_cmp_ne_u16_sdwa s[4:5], v30, v15 src0_sel:BYTE_0 src1_sel:DWORD
	v_mov_b32_e32 v30, 0
	s_and_saveexec_b64 s[46:47], s[4:5]
	s_cbranch_execz .LBB279_35
; %bb.30:                               ;   in Loop: Header=BB279_14 Depth=1
	v_cmp_ne_u16_sdwa s[4:5], v12, s60 src0_sel:BYTE_0 src1_sel:DWORD
	v_bfrev_b32_e32 v30, 1
	s_and_saveexec_b64 s[48:49], s[4:5]
	s_cbranch_execz .LBB279_34
; %bb.31:                               ;   in Loop: Header=BB279_14 Depth=1
	v_and_b32_e32 v31, 0x7f, v12
	v_cmp_ne_u32_e64 s[4:5], s61, v31
	v_mov_b32_e32 v30, 0x7fc02000
	s_and_saveexec_b64 s[50:51], s[4:5]
	s_cbranch_execz .LBB279_33
; %bb.32:                               ;   in Loop: Header=BB279_14 Depth=1
	v_and_b32_e32 v30, 7, v12
	v_ffbh_u32_e32 v32, v30
	v_min_u32_e32 v35, 32, v32
	v_subrev_u32_e32 v32, 28, v35
	v_lshlrev_b64 v[32:33], v32, v[12:13]
	v_lshrrev_b32_e32 v34, 3, v31
	v_sub_u32_e32 v33, 29, v35
	v_cmp_gt_u32_e64 s[4:5], 8, v31
	v_and_b32_e32 v32, 7, v32
	v_cndmask_b32_e64 v31, v34, v33, s[4:5]
	v_cndmask_b32_e64 v30, v30, v32, s[4:5]
	v_lshlrev_b32_e32 v32, 8, v12
	v_lshl_add_u32 v31, v31, 10, v23
	v_and_or_b32 v31, v32, s62, v31
	v_lshl_or_b32 v30, v30, 7, v31
	v_cvt_f32_f16_e32 v30, v30
.LBB279_33:                             ;   in Loop: Header=BB279_14 Depth=1
	s_or_b64 exec, exec, s[50:51]
.LBB279_34:                             ;   in Loop: Header=BB279_14 Depth=1
	s_or_b64 exec, exec, s[48:49]
.LBB279_35:                             ;   in Loop: Header=BB279_14 Depth=1
	s_or_b64 exec, exec, s[46:47]
	v_lshrrev_b16_e32 v12, 8, v12
	v_cmp_ne_u16_e64 s[4:5], 0, v12
	s_and_saveexec_b64 s[46:47], s[4:5]
	s_cbranch_execz .LBB279_41
; %bb.36:                               ;   in Loop: Header=BB279_14 Depth=1
	v_cmp_ne_u16_e64 s[4:5], s60, v12
	v_bfrev_b32_e32 v29, 1
	s_and_saveexec_b64 s[48:49], s[4:5]
	s_cbranch_execz .LBB279_40
; %bb.37:                               ;   in Loop: Header=BB279_14 Depth=1
	v_and_b32_e32 v31, 0x7f, v12
	v_cmp_ne_u32_e64 s[4:5], s61, v31
	v_mov_b32_e32 v29, 0x7fc02000
	s_and_saveexec_b64 s[50:51], s[4:5]
	s_cbranch_execz .LBB279_39
; %bb.38:                               ;   in Loop: Header=BB279_14 Depth=1
	v_and_b32_e32 v29, 7, v12
	v_ffbh_u32_e32 v32, v29
	v_min_u32_e32 v35, 32, v32
	v_subrev_u32_e32 v32, 28, v35
	v_lshlrev_b64 v[32:33], v32, v[12:13]
	v_lshrrev_b32_e32 v34, 3, v31
	v_sub_u32_e32 v33, 29, v35
	v_cmp_gt_u32_e64 s[4:5], 8, v31
	v_cndmask_b32_e64 v31, v34, v33, s[4:5]
	v_and_b32_e32 v32, 7, v32
	v_lshlrev_b32_e32 v12, 8, v12
	v_lshl_add_u32 v31, v31, 10, v23
	v_cndmask_b32_e64 v29, v29, v32, s[4:5]
	v_and_or_b32 v12, v12, s62, v31
	v_lshl_or_b32 v12, v29, 7, v12
	v_cvt_f32_f16_e32 v29, v12
.LBB279_39:                             ;   in Loop: Header=BB279_14 Depth=1
	s_or_b64 exec, exec, s[50:51]
.LBB279_40:                             ;   in Loop: Header=BB279_14 Depth=1
	s_or_b64 exec, exec, s[48:49]
.LBB279_41:                             ;   in Loop: Header=BB279_14 Depth=1
	s_or_b64 exec, exec, s[46:47]
	global_load_ushort v32, v[10:11], off offset:256
	v_mov_b32_e32 v31, 0
	s_waitcnt vmcnt(0)
	v_and_b32_e32 v12, 0xffff, v32
	v_cmp_ne_u16_sdwa s[4:5], v32, v15 src0_sel:BYTE_0 src1_sel:DWORD
	v_mov_b32_e32 v32, 0
	s_and_saveexec_b64 s[46:47], s[4:5]
	s_cbranch_execz .LBB279_47
; %bb.42:                               ;   in Loop: Header=BB279_14 Depth=1
	v_cmp_ne_u16_sdwa s[4:5], v12, s60 src0_sel:BYTE_0 src1_sel:DWORD
	v_bfrev_b32_e32 v32, 1
	s_and_saveexec_b64 s[48:49], s[4:5]
	s_cbranch_execz .LBB279_46
; %bb.43:                               ;   in Loop: Header=BB279_14 Depth=1
	v_and_b32_e32 v33, 0x7f, v12
	v_cmp_ne_u32_e64 s[4:5], s61, v33
	v_mov_b32_e32 v32, 0x7fc02000
	s_and_saveexec_b64 s[50:51], s[4:5]
	s_cbranch_execz .LBB279_45
; %bb.44:                               ;   in Loop: Header=BB279_14 Depth=1
	v_and_b32_e32 v32, 7, v12
	v_ffbh_u32_e32 v34, v32
	v_min_u32_e32 v37, 32, v34
	v_subrev_u32_e32 v34, 28, v37
	v_lshlrev_b64 v[34:35], v34, v[12:13]
	v_lshrrev_b32_e32 v36, 3, v33
	v_sub_u32_e32 v35, 29, v37
	v_cmp_gt_u32_e64 s[4:5], 8, v33
	v_and_b32_e32 v34, 7, v34
	v_cndmask_b32_e64 v33, v36, v35, s[4:5]
	v_cndmask_b32_e64 v32, v32, v34, s[4:5]
	v_lshlrev_b32_e32 v34, 8, v12
	v_lshl_add_u32 v33, v33, 10, v23
	v_and_or_b32 v33, v34, s62, v33
	v_lshl_or_b32 v32, v32, 7, v33
	v_cvt_f32_f16_e32 v32, v32
.LBB279_45:                             ;   in Loop: Header=BB279_14 Depth=1
	s_or_b64 exec, exec, s[50:51]
.LBB279_46:                             ;   in Loop: Header=BB279_14 Depth=1
	s_or_b64 exec, exec, s[48:49]
.LBB279_47:                             ;   in Loop: Header=BB279_14 Depth=1
	s_or_b64 exec, exec, s[46:47]
	v_lshrrev_b16_e32 v12, 8, v12
	v_cmp_ne_u16_e64 s[4:5], 0, v12
	s_and_saveexec_b64 s[46:47], s[4:5]
	s_cbranch_execz .LBB279_53
; %bb.48:                               ;   in Loop: Header=BB279_14 Depth=1
	v_cmp_ne_u16_e64 s[4:5], s60, v12
	v_bfrev_b32_e32 v31, 1
	s_and_saveexec_b64 s[48:49], s[4:5]
	s_cbranch_execz .LBB279_52
; %bb.49:                               ;   in Loop: Header=BB279_14 Depth=1
	v_and_b32_e32 v33, 0x7f, v12
	v_cmp_ne_u32_e64 s[4:5], s61, v33
	v_mov_b32_e32 v31, 0x7fc02000
	s_and_saveexec_b64 s[50:51], s[4:5]
	s_cbranch_execz .LBB279_51
; %bb.50:                               ;   in Loop: Header=BB279_14 Depth=1
	v_and_b32_e32 v31, 7, v12
	v_ffbh_u32_e32 v34, v31
	v_min_u32_e32 v37, 32, v34
	v_subrev_u32_e32 v34, 28, v37
	v_lshlrev_b64 v[34:35], v34, v[12:13]
	v_lshrrev_b32_e32 v36, 3, v33
	v_sub_u32_e32 v35, 29, v37
	v_cmp_gt_u32_e64 s[4:5], 8, v33
	v_cndmask_b32_e64 v33, v36, v35, s[4:5]
	v_and_b32_e32 v34, 7, v34
	v_lshlrev_b32_e32 v12, 8, v12
	v_lshl_add_u32 v33, v33, 10, v23
	v_cndmask_b32_e64 v31, v31, v34, s[4:5]
	v_and_or_b32 v12, v12, s62, v33
	v_lshl_or_b32 v12, v31, 7, v12
	v_cvt_f32_f16_e32 v31, v12
.LBB279_51:                             ;   in Loop: Header=BB279_14 Depth=1
	s_or_b64 exec, exec, s[50:51]
.LBB279_52:                             ;   in Loop: Header=BB279_14 Depth=1
	s_or_b64 exec, exec, s[48:49]
.LBB279_53:                             ;   in Loop: Header=BB279_14 Depth=1
	s_or_b64 exec, exec, s[46:47]
	global_load_ushort v34, v[10:11], off offset:264
	v_mov_b32_e32 v33, 0
	s_waitcnt vmcnt(0)
	v_and_b32_e32 v12, 0xffff, v34
	v_cmp_ne_u16_sdwa s[4:5], v34, v15 src0_sel:BYTE_0 src1_sel:DWORD
	v_mov_b32_e32 v34, 0
	s_and_saveexec_b64 s[46:47], s[4:5]
	s_cbranch_execz .LBB279_59
; %bb.54:                               ;   in Loop: Header=BB279_14 Depth=1
	v_cmp_ne_u16_sdwa s[4:5], v12, s60 src0_sel:BYTE_0 src1_sel:DWORD
	v_bfrev_b32_e32 v34, 1
	s_and_saveexec_b64 s[48:49], s[4:5]
	s_cbranch_execz .LBB279_58
; %bb.55:                               ;   in Loop: Header=BB279_14 Depth=1
	v_and_b32_e32 v35, 0x7f, v12
	v_cmp_ne_u32_e64 s[4:5], s61, v35
	v_mov_b32_e32 v34, 0x7fc02000
	s_and_saveexec_b64 s[50:51], s[4:5]
	s_cbranch_execz .LBB279_57
; %bb.56:                               ;   in Loop: Header=BB279_14 Depth=1
	v_and_b32_e32 v34, 7, v12
	v_ffbh_u32_e32 v36, v34
	v_min_u32_e32 v39, 32, v36
	v_subrev_u32_e32 v36, 28, v39
	v_lshlrev_b64 v[36:37], v36, v[12:13]
	v_lshrrev_b32_e32 v38, 3, v35
	v_sub_u32_e32 v37, 29, v39
	v_cmp_gt_u32_e64 s[4:5], 8, v35
	v_and_b32_e32 v36, 7, v36
	v_cndmask_b32_e64 v35, v38, v37, s[4:5]
	v_cndmask_b32_e64 v34, v34, v36, s[4:5]
	v_lshlrev_b32_e32 v36, 8, v12
	v_lshl_add_u32 v35, v35, 10, v23
	v_and_or_b32 v35, v36, s62, v35
	v_lshl_or_b32 v34, v34, 7, v35
	v_cvt_f32_f16_e32 v34, v34
.LBB279_57:                             ;   in Loop: Header=BB279_14 Depth=1
	s_or_b64 exec, exec, s[50:51]
.LBB279_58:                             ;   in Loop: Header=BB279_14 Depth=1
	s_or_b64 exec, exec, s[48:49]
.LBB279_59:                             ;   in Loop: Header=BB279_14 Depth=1
	s_or_b64 exec, exec, s[46:47]
	v_lshrrev_b16_e32 v12, 8, v12
	v_cmp_ne_u16_e64 s[4:5], 0, v12
	s_and_saveexec_b64 s[46:47], s[4:5]
	s_cbranch_execz .LBB279_65
; %bb.60:                               ;   in Loop: Header=BB279_14 Depth=1
	v_cmp_ne_u16_e64 s[4:5], s60, v12
	v_bfrev_b32_e32 v33, 1
	s_and_saveexec_b64 s[48:49], s[4:5]
	s_cbranch_execz .LBB279_64
; %bb.61:                               ;   in Loop: Header=BB279_14 Depth=1
	v_and_b32_e32 v35, 0x7f, v12
	v_cmp_ne_u32_e64 s[4:5], s61, v35
	v_mov_b32_e32 v33, 0x7fc02000
	s_and_saveexec_b64 s[50:51], s[4:5]
	s_cbranch_execz .LBB279_63
; %bb.62:                               ;   in Loop: Header=BB279_14 Depth=1
	v_and_b32_e32 v33, 7, v12
	v_ffbh_u32_e32 v36, v33
	v_min_u32_e32 v39, 32, v36
	v_subrev_u32_e32 v36, 28, v39
	v_lshlrev_b64 v[36:37], v36, v[12:13]
	v_lshrrev_b32_e32 v38, 3, v35
	v_sub_u32_e32 v37, 29, v39
	v_cmp_gt_u32_e64 s[4:5], 8, v35
	v_cndmask_b32_e64 v35, v38, v37, s[4:5]
	v_and_b32_e32 v36, 7, v36
	v_lshlrev_b32_e32 v12, 8, v12
	v_lshl_add_u32 v35, v35, 10, v23
	v_cndmask_b32_e64 v33, v33, v36, s[4:5]
	v_and_or_b32 v12, v12, s62, v35
	v_lshl_or_b32 v12, v33, 7, v12
	v_cvt_f32_f16_e32 v33, v12
.LBB279_63:                             ;   in Loop: Header=BB279_14 Depth=1
	s_or_b64 exec, exec, s[50:51]
.LBB279_64:                             ;   in Loop: Header=BB279_14 Depth=1
	s_or_b64 exec, exec, s[48:49]
.LBB279_65:                             ;   in Loop: Header=BB279_14 Depth=1
	s_or_b64 exec, exec, s[46:47]
	global_load_ushort v36, v[10:11], off offset:512
	v_mov_b32_e32 v35, 0
	s_waitcnt vmcnt(0)
	v_and_b32_e32 v12, 0xffff, v36
	v_cmp_ne_u16_sdwa s[4:5], v36, v15 src0_sel:BYTE_0 src1_sel:DWORD
	v_mov_b32_e32 v36, 0
	s_and_saveexec_b64 s[46:47], s[4:5]
	s_cbranch_execz .LBB279_71
; %bb.66:                               ;   in Loop: Header=BB279_14 Depth=1
	v_cmp_ne_u16_sdwa s[4:5], v12, s60 src0_sel:BYTE_0 src1_sel:DWORD
	v_bfrev_b32_e32 v36, 1
	s_and_saveexec_b64 s[48:49], s[4:5]
	s_cbranch_execz .LBB279_70
; %bb.67:                               ;   in Loop: Header=BB279_14 Depth=1
	v_and_b32_e32 v37, 0x7f, v12
	v_cmp_ne_u32_e64 s[4:5], s61, v37
	v_mov_b32_e32 v36, 0x7fc02000
	s_and_saveexec_b64 s[50:51], s[4:5]
	s_cbranch_execz .LBB279_69
; %bb.68:                               ;   in Loop: Header=BB279_14 Depth=1
	v_and_b32_e32 v36, 7, v12
	v_ffbh_u32_e32 v38, v36
	v_min_u32_e32 v41, 32, v38
	v_subrev_u32_e32 v38, 28, v41
	v_lshlrev_b64 v[38:39], v38, v[12:13]
	v_lshrrev_b32_e32 v40, 3, v37
	v_sub_u32_e32 v39, 29, v41
	v_cmp_gt_u32_e64 s[4:5], 8, v37
	v_and_b32_e32 v38, 7, v38
	v_cndmask_b32_e64 v37, v40, v39, s[4:5]
	v_cndmask_b32_e64 v36, v36, v38, s[4:5]
	v_lshlrev_b32_e32 v38, 8, v12
	v_lshl_add_u32 v37, v37, 10, v23
	v_and_or_b32 v37, v38, s62, v37
	v_lshl_or_b32 v36, v36, 7, v37
	v_cvt_f32_f16_e32 v36, v36
.LBB279_69:                             ;   in Loop: Header=BB279_14 Depth=1
	s_or_b64 exec, exec, s[50:51]
.LBB279_70:                             ;   in Loop: Header=BB279_14 Depth=1
	s_or_b64 exec, exec, s[48:49]
.LBB279_71:                             ;   in Loop: Header=BB279_14 Depth=1
	s_or_b64 exec, exec, s[46:47]
	v_lshrrev_b16_e32 v12, 8, v12
	v_cmp_ne_u16_e64 s[4:5], 0, v12
	s_and_saveexec_b64 s[46:47], s[4:5]
	s_cbranch_execz .LBB279_77
; %bb.72:                               ;   in Loop: Header=BB279_14 Depth=1
	v_cmp_ne_u16_e64 s[4:5], s60, v12
	v_bfrev_b32_e32 v35, 1
	s_and_saveexec_b64 s[48:49], s[4:5]
	s_cbranch_execz .LBB279_76
; %bb.73:                               ;   in Loop: Header=BB279_14 Depth=1
	v_and_b32_e32 v37, 0x7f, v12
	v_cmp_ne_u32_e64 s[4:5], s61, v37
	v_mov_b32_e32 v35, 0x7fc02000
	s_and_saveexec_b64 s[50:51], s[4:5]
	s_cbranch_execz .LBB279_75
; %bb.74:                               ;   in Loop: Header=BB279_14 Depth=1
	v_and_b32_e32 v35, 7, v12
	v_ffbh_u32_e32 v38, v35
	v_min_u32_e32 v41, 32, v38
	v_subrev_u32_e32 v38, 28, v41
	v_lshlrev_b64 v[38:39], v38, v[12:13]
	v_lshrrev_b32_e32 v40, 3, v37
	v_sub_u32_e32 v39, 29, v41
	v_cmp_gt_u32_e64 s[4:5], 8, v37
	v_cndmask_b32_e64 v37, v40, v39, s[4:5]
	v_and_b32_e32 v38, 7, v38
	v_lshlrev_b32_e32 v12, 8, v12
	v_lshl_add_u32 v37, v37, 10, v23
	v_cndmask_b32_e64 v35, v35, v38, s[4:5]
	v_and_or_b32 v12, v12, s62, v37
	v_lshl_or_b32 v12, v35, 7, v12
	v_cvt_f32_f16_e32 v35, v12
.LBB279_75:                             ;   in Loop: Header=BB279_14 Depth=1
	s_or_b64 exec, exec, s[50:51]
.LBB279_76:                             ;   in Loop: Header=BB279_14 Depth=1
	s_or_b64 exec, exec, s[48:49]
.LBB279_77:                             ;   in Loop: Header=BB279_14 Depth=1
	s_or_b64 exec, exec, s[46:47]
	global_load_ushort v38, v[10:11], off offset:520
	v_mov_b32_e32 v37, 0
	s_waitcnt vmcnt(0)
	v_and_b32_e32 v12, 0xffff, v38
	v_cmp_ne_u16_sdwa s[4:5], v38, v15 src0_sel:BYTE_0 src1_sel:DWORD
	v_mov_b32_e32 v38, 0
	s_and_saveexec_b64 s[46:47], s[4:5]
	s_cbranch_execz .LBB279_83
; %bb.78:                               ;   in Loop: Header=BB279_14 Depth=1
	v_cmp_ne_u16_sdwa s[4:5], v12, s60 src0_sel:BYTE_0 src1_sel:DWORD
	v_bfrev_b32_e32 v38, 1
	s_and_saveexec_b64 s[48:49], s[4:5]
	s_cbranch_execz .LBB279_82
; %bb.79:                               ;   in Loop: Header=BB279_14 Depth=1
	v_and_b32_e32 v39, 0x7f, v12
	v_cmp_ne_u32_e64 s[4:5], s61, v39
	v_mov_b32_e32 v38, 0x7fc02000
	s_and_saveexec_b64 s[50:51], s[4:5]
	s_cbranch_execz .LBB279_81
; %bb.80:                               ;   in Loop: Header=BB279_14 Depth=1
	v_and_b32_e32 v38, 7, v12
	v_ffbh_u32_e32 v40, v38
	v_min_u32_e32 v43, 32, v40
	v_subrev_u32_e32 v40, 28, v43
	v_lshlrev_b64 v[40:41], v40, v[12:13]
	v_lshrrev_b32_e32 v42, 3, v39
	v_sub_u32_e32 v41, 29, v43
	v_cmp_gt_u32_e64 s[4:5], 8, v39
	v_and_b32_e32 v40, 7, v40
	v_cndmask_b32_e64 v39, v42, v41, s[4:5]
	v_cndmask_b32_e64 v38, v38, v40, s[4:5]
	v_lshlrev_b32_e32 v40, 8, v12
	v_lshl_add_u32 v39, v39, 10, v23
	v_and_or_b32 v39, v40, s62, v39
	v_lshl_or_b32 v38, v38, 7, v39
	v_cvt_f32_f16_e32 v38, v38
.LBB279_81:                             ;   in Loop: Header=BB279_14 Depth=1
	s_or_b64 exec, exec, s[50:51]
.LBB279_82:                             ;   in Loop: Header=BB279_14 Depth=1
	s_or_b64 exec, exec, s[48:49]
.LBB279_83:                             ;   in Loop: Header=BB279_14 Depth=1
	s_or_b64 exec, exec, s[46:47]
	v_lshrrev_b16_e32 v12, 8, v12
	v_cmp_ne_u16_e64 s[4:5], 0, v12
	s_and_saveexec_b64 s[46:47], s[4:5]
	s_cbranch_execz .LBB279_89
; %bb.84:                               ;   in Loop: Header=BB279_14 Depth=1
	v_cmp_ne_u16_e64 s[4:5], s60, v12
	v_bfrev_b32_e32 v37, 1
	s_and_saveexec_b64 s[48:49], s[4:5]
	s_cbranch_execz .LBB279_88
; %bb.85:                               ;   in Loop: Header=BB279_14 Depth=1
	v_and_b32_e32 v39, 0x7f, v12
	v_cmp_ne_u32_e64 s[4:5], s61, v39
	v_mov_b32_e32 v37, 0x7fc02000
	s_and_saveexec_b64 s[50:51], s[4:5]
	s_cbranch_execz .LBB279_87
; %bb.86:                               ;   in Loop: Header=BB279_14 Depth=1
	v_and_b32_e32 v37, 7, v12
	v_ffbh_u32_e32 v40, v37
	v_min_u32_e32 v43, 32, v40
	v_subrev_u32_e32 v40, 28, v43
	v_lshlrev_b64 v[40:41], v40, v[12:13]
	v_lshrrev_b32_e32 v42, 3, v39
	v_sub_u32_e32 v41, 29, v43
	v_cmp_gt_u32_e64 s[4:5], 8, v39
	v_cndmask_b32_e64 v39, v42, v41, s[4:5]
	v_and_b32_e32 v40, 7, v40
	v_lshlrev_b32_e32 v12, 8, v12
	v_lshl_add_u32 v39, v39, 10, v23
	v_cndmask_b32_e64 v37, v37, v40, s[4:5]
	v_and_or_b32 v12, v12, s62, v39
	v_lshl_or_b32 v12, v37, 7, v12
	v_cvt_f32_f16_e32 v37, v12
.LBB279_87:                             ;   in Loop: Header=BB279_14 Depth=1
	s_or_b64 exec, exec, s[50:51]
.LBB279_88:                             ;   in Loop: Header=BB279_14 Depth=1
	s_or_b64 exec, exec, s[48:49]
.LBB279_89:                             ;   in Loop: Header=BB279_14 Depth=1
	s_or_b64 exec, exec, s[46:47]
	global_load_ushort v40, v[10:11], off offset:768
	v_mov_b32_e32 v39, 0
	s_waitcnt vmcnt(0)
	v_and_b32_e32 v12, 0xffff, v40
	v_cmp_ne_u16_sdwa s[4:5], v40, v15 src0_sel:BYTE_0 src1_sel:DWORD
	v_mov_b32_e32 v40, 0
	s_and_saveexec_b64 s[46:47], s[4:5]
	s_cbranch_execz .LBB279_95
; %bb.90:                               ;   in Loop: Header=BB279_14 Depth=1
	v_cmp_ne_u16_sdwa s[4:5], v12, s60 src0_sel:BYTE_0 src1_sel:DWORD
	v_bfrev_b32_e32 v40, 1
	s_and_saveexec_b64 s[48:49], s[4:5]
	s_cbranch_execz .LBB279_94
; %bb.91:                               ;   in Loop: Header=BB279_14 Depth=1
	v_and_b32_e32 v41, 0x7f, v12
	v_cmp_ne_u32_e64 s[4:5], s61, v41
	v_mov_b32_e32 v40, 0x7fc02000
	s_and_saveexec_b64 s[50:51], s[4:5]
	s_cbranch_execz .LBB279_93
; %bb.92:                               ;   in Loop: Header=BB279_14 Depth=1
	v_and_b32_e32 v40, 7, v12
	v_ffbh_u32_e32 v42, v40
	v_min_u32_e32 v45, 32, v42
	v_subrev_u32_e32 v42, 28, v45
	v_lshlrev_b64 v[42:43], v42, v[12:13]
	v_lshrrev_b32_e32 v44, 3, v41
	v_sub_u32_e32 v43, 29, v45
	v_cmp_gt_u32_e64 s[4:5], 8, v41
	v_and_b32_e32 v42, 7, v42
	v_cndmask_b32_e64 v41, v44, v43, s[4:5]
	v_cndmask_b32_e64 v40, v40, v42, s[4:5]
	v_lshlrev_b32_e32 v42, 8, v12
	v_lshl_add_u32 v41, v41, 10, v23
	v_and_or_b32 v41, v42, s62, v41
	v_lshl_or_b32 v40, v40, 7, v41
	v_cvt_f32_f16_e32 v40, v40
.LBB279_93:                             ;   in Loop: Header=BB279_14 Depth=1
	s_or_b64 exec, exec, s[50:51]
.LBB279_94:                             ;   in Loop: Header=BB279_14 Depth=1
	s_or_b64 exec, exec, s[48:49]
.LBB279_95:                             ;   in Loop: Header=BB279_14 Depth=1
	s_or_b64 exec, exec, s[46:47]
	v_lshrrev_b16_e32 v12, 8, v12
	v_cmp_ne_u16_e64 s[4:5], 0, v12
	s_and_saveexec_b64 s[46:47], s[4:5]
	s_cbranch_execz .LBB279_101
; %bb.96:                               ;   in Loop: Header=BB279_14 Depth=1
	v_cmp_ne_u16_e64 s[4:5], s60, v12
	v_bfrev_b32_e32 v39, 1
	s_and_saveexec_b64 s[48:49], s[4:5]
	s_cbranch_execz .LBB279_100
; %bb.97:                               ;   in Loop: Header=BB279_14 Depth=1
	v_and_b32_e32 v41, 0x7f, v12
	v_cmp_ne_u32_e64 s[4:5], s61, v41
	v_mov_b32_e32 v39, 0x7fc02000
	s_and_saveexec_b64 s[50:51], s[4:5]
	s_cbranch_execz .LBB279_99
; %bb.98:                               ;   in Loop: Header=BB279_14 Depth=1
	v_and_b32_e32 v39, 7, v12
	v_ffbh_u32_e32 v42, v39
	v_min_u32_e32 v45, 32, v42
	v_subrev_u32_e32 v42, 28, v45
	v_lshlrev_b64 v[42:43], v42, v[12:13]
	v_lshrrev_b32_e32 v44, 3, v41
	v_sub_u32_e32 v43, 29, v45
	v_cmp_gt_u32_e64 s[4:5], 8, v41
	v_cndmask_b32_e64 v41, v44, v43, s[4:5]
	v_and_b32_e32 v42, 7, v42
	v_lshlrev_b32_e32 v12, 8, v12
	v_lshl_add_u32 v41, v41, 10, v23
	v_cndmask_b32_e64 v39, v39, v42, s[4:5]
	v_and_or_b32 v12, v12, s62, v41
	v_lshl_or_b32 v12, v39, 7, v12
	v_cvt_f32_f16_e32 v39, v12
.LBB279_99:                             ;   in Loop: Header=BB279_14 Depth=1
	s_or_b64 exec, exec, s[50:51]
.LBB279_100:                            ;   in Loop: Header=BB279_14 Depth=1
	s_or_b64 exec, exec, s[48:49]
.LBB279_101:                            ;   in Loop: Header=BB279_14 Depth=1
	s_or_b64 exec, exec, s[46:47]
	global_load_ushort v42, v[10:11], off offset:776
	v_mov_b32_e32 v41, 0
	s_waitcnt vmcnt(0)
	v_and_b32_e32 v12, 0xffff, v42
	v_cmp_ne_u16_sdwa s[4:5], v42, v15 src0_sel:BYTE_0 src1_sel:DWORD
	v_mov_b32_e32 v42, 0
	s_and_saveexec_b64 s[46:47], s[4:5]
	s_cbranch_execz .LBB279_107
; %bb.102:                              ;   in Loop: Header=BB279_14 Depth=1
	v_cmp_ne_u16_sdwa s[4:5], v12, s60 src0_sel:BYTE_0 src1_sel:DWORD
	v_bfrev_b32_e32 v42, 1
	s_and_saveexec_b64 s[48:49], s[4:5]
	s_cbranch_execz .LBB279_106
; %bb.103:                              ;   in Loop: Header=BB279_14 Depth=1
	v_and_b32_e32 v43, 0x7f, v12
	v_cmp_ne_u32_e64 s[4:5], s61, v43
	v_mov_b32_e32 v42, 0x7fc02000
	s_and_saveexec_b64 s[50:51], s[4:5]
	s_cbranch_execz .LBB279_105
; %bb.104:                              ;   in Loop: Header=BB279_14 Depth=1
	v_and_b32_e32 v42, 7, v12
	v_ffbh_u32_e32 v44, v42
	v_min_u32_e32 v47, 32, v44
	v_subrev_u32_e32 v44, 28, v47
	v_lshlrev_b64 v[44:45], v44, v[12:13]
	v_lshrrev_b32_e32 v46, 3, v43
	v_sub_u32_e32 v45, 29, v47
	v_cmp_gt_u32_e64 s[4:5], 8, v43
	v_and_b32_e32 v44, 7, v44
	v_cndmask_b32_e64 v43, v46, v45, s[4:5]
	v_cndmask_b32_e64 v42, v42, v44, s[4:5]
	v_lshlrev_b32_e32 v44, 8, v12
	v_lshl_add_u32 v43, v43, 10, v23
	v_and_or_b32 v43, v44, s62, v43
	v_lshl_or_b32 v42, v42, 7, v43
	v_cvt_f32_f16_e32 v42, v42
.LBB279_105:                            ;   in Loop: Header=BB279_14 Depth=1
	s_or_b64 exec, exec, s[50:51]
.LBB279_106:                            ;   in Loop: Header=BB279_14 Depth=1
	s_or_b64 exec, exec, s[48:49]
.LBB279_107:                            ;   in Loop: Header=BB279_14 Depth=1
	s_or_b64 exec, exec, s[46:47]
	v_lshrrev_b16_e32 v12, 8, v12
	v_cmp_ne_u16_e64 s[4:5], 0, v12
	s_and_saveexec_b64 s[46:47], s[4:5]
	s_cbranch_execz .LBB279_113
; %bb.108:                              ;   in Loop: Header=BB279_14 Depth=1
	v_cmp_ne_u16_e64 s[4:5], s60, v12
	v_bfrev_b32_e32 v41, 1
	s_and_saveexec_b64 s[48:49], s[4:5]
	s_cbranch_execz .LBB279_112
; %bb.109:                              ;   in Loop: Header=BB279_14 Depth=1
	v_and_b32_e32 v43, 0x7f, v12
	v_cmp_ne_u32_e64 s[4:5], s61, v43
	v_mov_b32_e32 v41, 0x7fc02000
	s_and_saveexec_b64 s[50:51], s[4:5]
	s_cbranch_execz .LBB279_111
; %bb.110:                              ;   in Loop: Header=BB279_14 Depth=1
	v_and_b32_e32 v41, 7, v12
	v_ffbh_u32_e32 v44, v41
	v_min_u32_e32 v47, 32, v44
	v_subrev_u32_e32 v44, 28, v47
	v_lshlrev_b64 v[44:45], v44, v[12:13]
	v_lshrrev_b32_e32 v46, 3, v43
	v_sub_u32_e32 v45, 29, v47
	v_cmp_gt_u32_e64 s[4:5], 8, v43
	v_cndmask_b32_e64 v43, v46, v45, s[4:5]
	v_and_b32_e32 v44, 7, v44
	v_lshlrev_b32_e32 v12, 8, v12
	v_lshl_add_u32 v43, v43, 10, v23
	v_cndmask_b32_e64 v41, v41, v44, s[4:5]
	v_and_or_b32 v12, v12, s62, v43
	v_lshl_or_b32 v12, v41, 7, v12
	v_cvt_f32_f16_e32 v41, v12
.LBB279_111:                            ;   in Loop: Header=BB279_14 Depth=1
	s_or_b64 exec, exec, s[50:51]
.LBB279_112:                            ;   in Loop: Header=BB279_14 Depth=1
	s_or_b64 exec, exec, s[48:49]
.LBB279_113:                            ;   in Loop: Header=BB279_14 Depth=1
	s_or_b64 exec, exec, s[46:47]
	global_load_ushort v44, v[10:11], off offset:1024
	v_mov_b32_e32 v43, 0
	s_waitcnt vmcnt(0)
	v_and_b32_e32 v12, 0xffff, v44
	v_cmp_ne_u16_sdwa s[4:5], v44, v15 src0_sel:BYTE_0 src1_sel:DWORD
	v_mov_b32_e32 v44, 0
	s_and_saveexec_b64 s[46:47], s[4:5]
	s_cbranch_execz .LBB279_119
; %bb.114:                              ;   in Loop: Header=BB279_14 Depth=1
	v_cmp_ne_u16_sdwa s[4:5], v12, s60 src0_sel:BYTE_0 src1_sel:DWORD
	v_bfrev_b32_e32 v44, 1
	s_and_saveexec_b64 s[48:49], s[4:5]
	s_cbranch_execz .LBB279_118
; %bb.115:                              ;   in Loop: Header=BB279_14 Depth=1
	v_and_b32_e32 v45, 0x7f, v12
	v_cmp_ne_u32_e64 s[4:5], s61, v45
	v_mov_b32_e32 v44, 0x7fc02000
	s_and_saveexec_b64 s[50:51], s[4:5]
	s_cbranch_execz .LBB279_117
; %bb.116:                              ;   in Loop: Header=BB279_14 Depth=1
	v_and_b32_e32 v44, 7, v12
	v_ffbh_u32_e32 v46, v44
	v_min_u32_e32 v49, 32, v46
	v_subrev_u32_e32 v46, 28, v49
	v_lshlrev_b64 v[46:47], v46, v[12:13]
	v_lshrrev_b32_e32 v48, 3, v45
	v_sub_u32_e32 v47, 29, v49
	v_cmp_gt_u32_e64 s[4:5], 8, v45
	v_and_b32_e32 v46, 7, v46
	v_cndmask_b32_e64 v45, v48, v47, s[4:5]
	v_cndmask_b32_e64 v44, v44, v46, s[4:5]
	v_lshlrev_b32_e32 v46, 8, v12
	v_lshl_add_u32 v45, v45, 10, v23
	v_and_or_b32 v45, v46, s62, v45
	v_lshl_or_b32 v44, v44, 7, v45
	v_cvt_f32_f16_e32 v44, v44
.LBB279_117:                            ;   in Loop: Header=BB279_14 Depth=1
	s_or_b64 exec, exec, s[50:51]
.LBB279_118:                            ;   in Loop: Header=BB279_14 Depth=1
	s_or_b64 exec, exec, s[48:49]
.LBB279_119:                            ;   in Loop: Header=BB279_14 Depth=1
	s_or_b64 exec, exec, s[46:47]
	v_lshrrev_b16_e32 v12, 8, v12
	v_cmp_ne_u16_e64 s[4:5], 0, v12
	s_and_saveexec_b64 s[46:47], s[4:5]
	s_cbranch_execz .LBB279_125
; %bb.120:                              ;   in Loop: Header=BB279_14 Depth=1
	v_cmp_ne_u16_e64 s[4:5], s60, v12
	v_bfrev_b32_e32 v43, 1
	s_and_saveexec_b64 s[48:49], s[4:5]
	s_cbranch_execz .LBB279_124
; %bb.121:                              ;   in Loop: Header=BB279_14 Depth=1
	v_and_b32_e32 v45, 0x7f, v12
	v_cmp_ne_u32_e64 s[4:5], s61, v45
	v_mov_b32_e32 v43, 0x7fc02000
	s_and_saveexec_b64 s[50:51], s[4:5]
	s_cbranch_execz .LBB279_123
; %bb.122:                              ;   in Loop: Header=BB279_14 Depth=1
	v_and_b32_e32 v43, 7, v12
	v_ffbh_u32_e32 v46, v43
	v_min_u32_e32 v49, 32, v46
	v_subrev_u32_e32 v46, 28, v49
	v_lshlrev_b64 v[46:47], v46, v[12:13]
	v_lshrrev_b32_e32 v48, 3, v45
	v_sub_u32_e32 v47, 29, v49
	v_cmp_gt_u32_e64 s[4:5], 8, v45
	v_cndmask_b32_e64 v45, v48, v47, s[4:5]
	v_and_b32_e32 v46, 7, v46
	v_lshlrev_b32_e32 v12, 8, v12
	v_lshl_add_u32 v45, v45, 10, v23
	v_cndmask_b32_e64 v43, v43, v46, s[4:5]
	v_and_or_b32 v12, v12, s62, v45
	v_lshl_or_b32 v12, v43, 7, v12
	v_cvt_f32_f16_e32 v43, v12
.LBB279_123:                            ;   in Loop: Header=BB279_14 Depth=1
	s_or_b64 exec, exec, s[50:51]
.LBB279_124:                            ;   in Loop: Header=BB279_14 Depth=1
	s_or_b64 exec, exec, s[48:49]
.LBB279_125:                            ;   in Loop: Header=BB279_14 Depth=1
	s_or_b64 exec, exec, s[46:47]
	global_load_ushort v46, v[10:11], off offset:1032
	v_mov_b32_e32 v45, 0
	s_waitcnt vmcnt(0)
	v_and_b32_e32 v12, 0xffff, v46
	v_cmp_ne_u16_sdwa s[4:5], v46, v15 src0_sel:BYTE_0 src1_sel:DWORD
	v_mov_b32_e32 v46, 0
	s_and_saveexec_b64 s[46:47], s[4:5]
	s_cbranch_execz .LBB279_131
; %bb.126:                              ;   in Loop: Header=BB279_14 Depth=1
	v_cmp_ne_u16_sdwa s[4:5], v12, s60 src0_sel:BYTE_0 src1_sel:DWORD
	v_bfrev_b32_e32 v46, 1
	s_and_saveexec_b64 s[48:49], s[4:5]
	s_cbranch_execz .LBB279_130
; %bb.127:                              ;   in Loop: Header=BB279_14 Depth=1
	v_and_b32_e32 v47, 0x7f, v12
	v_cmp_ne_u32_e64 s[4:5], s61, v47
	v_mov_b32_e32 v46, 0x7fc02000
	s_and_saveexec_b64 s[50:51], s[4:5]
	s_cbranch_execz .LBB279_129
; %bb.128:                              ;   in Loop: Header=BB279_14 Depth=1
	v_and_b32_e32 v46, 7, v12
	v_ffbh_u32_e32 v48, v46
	v_min_u32_e32 v51, 32, v48
	v_subrev_u32_e32 v48, 28, v51
	v_lshlrev_b64 v[48:49], v48, v[12:13]
	v_lshrrev_b32_e32 v50, 3, v47
	v_sub_u32_e32 v49, 29, v51
	v_cmp_gt_u32_e64 s[4:5], 8, v47
	v_and_b32_e32 v48, 7, v48
	v_cndmask_b32_e64 v47, v50, v49, s[4:5]
	v_cndmask_b32_e64 v46, v46, v48, s[4:5]
	v_lshlrev_b32_e32 v48, 8, v12
	v_lshl_add_u32 v47, v47, 10, v23
	v_and_or_b32 v47, v48, s62, v47
	v_lshl_or_b32 v46, v46, 7, v47
	v_cvt_f32_f16_e32 v46, v46
.LBB279_129:                            ;   in Loop: Header=BB279_14 Depth=1
	s_or_b64 exec, exec, s[50:51]
.LBB279_130:                            ;   in Loop: Header=BB279_14 Depth=1
	s_or_b64 exec, exec, s[48:49]
.LBB279_131:                            ;   in Loop: Header=BB279_14 Depth=1
	s_or_b64 exec, exec, s[46:47]
	v_lshrrev_b16_e32 v12, 8, v12
	v_cmp_ne_u16_e64 s[4:5], 0, v12
	s_and_saveexec_b64 s[46:47], s[4:5]
	s_cbranch_execz .LBB279_137
; %bb.132:                              ;   in Loop: Header=BB279_14 Depth=1
	v_cmp_ne_u16_e64 s[4:5], s60, v12
	v_bfrev_b32_e32 v45, 1
	s_and_saveexec_b64 s[48:49], s[4:5]
	s_cbranch_execz .LBB279_136
; %bb.133:                              ;   in Loop: Header=BB279_14 Depth=1
	v_and_b32_e32 v47, 0x7f, v12
	v_cmp_ne_u32_e64 s[4:5], s61, v47
	v_mov_b32_e32 v45, 0x7fc02000
	s_and_saveexec_b64 s[50:51], s[4:5]
	s_cbranch_execz .LBB279_135
; %bb.134:                              ;   in Loop: Header=BB279_14 Depth=1
	v_and_b32_e32 v45, 7, v12
	v_ffbh_u32_e32 v48, v45
	v_min_u32_e32 v51, 32, v48
	v_subrev_u32_e32 v48, 28, v51
	v_lshlrev_b64 v[48:49], v48, v[12:13]
	v_lshrrev_b32_e32 v50, 3, v47
	v_sub_u32_e32 v49, 29, v51
	v_cmp_gt_u32_e64 s[4:5], 8, v47
	v_cndmask_b32_e64 v47, v50, v49, s[4:5]
	v_and_b32_e32 v48, 7, v48
	v_lshlrev_b32_e32 v12, 8, v12
	v_lshl_add_u32 v47, v47, 10, v23
	v_cndmask_b32_e64 v45, v45, v48, s[4:5]
	v_and_or_b32 v12, v12, s62, v47
	v_lshl_or_b32 v12, v45, 7, v12
	v_cvt_f32_f16_e32 v45, v12
.LBB279_135:                            ;   in Loop: Header=BB279_14 Depth=1
	s_or_b64 exec, exec, s[50:51]
.LBB279_136:                            ;   in Loop: Header=BB279_14 Depth=1
	s_or_b64 exec, exec, s[48:49]
.LBB279_137:                            ;   in Loop: Header=BB279_14 Depth=1
	s_or_b64 exec, exec, s[46:47]
	global_load_ushort v48, v[10:11], off offset:1280
	v_mov_b32_e32 v47, 0
	s_waitcnt vmcnt(0)
	v_and_b32_e32 v12, 0xffff, v48
	v_cmp_ne_u16_sdwa s[4:5], v48, v15 src0_sel:BYTE_0 src1_sel:DWORD
	v_mov_b32_e32 v48, 0
	s_and_saveexec_b64 s[46:47], s[4:5]
	s_cbranch_execz .LBB279_143
; %bb.138:                              ;   in Loop: Header=BB279_14 Depth=1
	v_cmp_ne_u16_sdwa s[4:5], v12, s60 src0_sel:BYTE_0 src1_sel:DWORD
	v_bfrev_b32_e32 v48, 1
	s_and_saveexec_b64 s[48:49], s[4:5]
	s_cbranch_execz .LBB279_142
; %bb.139:                              ;   in Loop: Header=BB279_14 Depth=1
	v_and_b32_e32 v49, 0x7f, v12
	v_cmp_ne_u32_e64 s[4:5], s61, v49
	v_mov_b32_e32 v48, 0x7fc02000
	s_and_saveexec_b64 s[50:51], s[4:5]
	s_cbranch_execz .LBB279_141
; %bb.140:                              ;   in Loop: Header=BB279_14 Depth=1
	v_and_b32_e32 v48, 7, v12
	v_ffbh_u32_e32 v50, v48
	v_min_u32_e32 v53, 32, v50
	v_subrev_u32_e32 v50, 28, v53
	v_lshlrev_b64 v[50:51], v50, v[12:13]
	v_lshrrev_b32_e32 v52, 3, v49
	v_sub_u32_e32 v51, 29, v53
	v_cmp_gt_u32_e64 s[4:5], 8, v49
	v_and_b32_e32 v50, 7, v50
	v_cndmask_b32_e64 v49, v52, v51, s[4:5]
	v_cndmask_b32_e64 v48, v48, v50, s[4:5]
	v_lshlrev_b32_e32 v50, 8, v12
	v_lshl_add_u32 v49, v49, 10, v23
	v_and_or_b32 v49, v50, s62, v49
	v_lshl_or_b32 v48, v48, 7, v49
	v_cvt_f32_f16_e32 v48, v48
.LBB279_141:                            ;   in Loop: Header=BB279_14 Depth=1
	s_or_b64 exec, exec, s[50:51]
.LBB279_142:                            ;   in Loop: Header=BB279_14 Depth=1
	s_or_b64 exec, exec, s[48:49]
.LBB279_143:                            ;   in Loop: Header=BB279_14 Depth=1
	s_or_b64 exec, exec, s[46:47]
	v_lshrrev_b16_e32 v12, 8, v12
	v_cmp_ne_u16_e64 s[4:5], 0, v12
	s_and_saveexec_b64 s[46:47], s[4:5]
	s_cbranch_execz .LBB279_149
; %bb.144:                              ;   in Loop: Header=BB279_14 Depth=1
	v_cmp_ne_u16_e64 s[4:5], s60, v12
	v_bfrev_b32_e32 v47, 1
	s_and_saveexec_b64 s[48:49], s[4:5]
	s_cbranch_execz .LBB279_148
; %bb.145:                              ;   in Loop: Header=BB279_14 Depth=1
	v_and_b32_e32 v49, 0x7f, v12
	v_cmp_ne_u32_e64 s[4:5], s61, v49
	v_mov_b32_e32 v47, 0x7fc02000
	s_and_saveexec_b64 s[50:51], s[4:5]
	s_cbranch_execz .LBB279_147
; %bb.146:                              ;   in Loop: Header=BB279_14 Depth=1
	v_and_b32_e32 v47, 7, v12
	v_ffbh_u32_e32 v50, v47
	v_min_u32_e32 v53, 32, v50
	v_subrev_u32_e32 v50, 28, v53
	v_lshlrev_b64 v[50:51], v50, v[12:13]
	v_lshrrev_b32_e32 v52, 3, v49
	v_sub_u32_e32 v51, 29, v53
	v_cmp_gt_u32_e64 s[4:5], 8, v49
	v_cndmask_b32_e64 v49, v52, v51, s[4:5]
	v_and_b32_e32 v50, 7, v50
	v_lshlrev_b32_e32 v12, 8, v12
	v_lshl_add_u32 v49, v49, 10, v23
	v_cndmask_b32_e64 v47, v47, v50, s[4:5]
	v_and_or_b32 v12, v12, s62, v49
	v_lshl_or_b32 v12, v47, 7, v12
	v_cvt_f32_f16_e32 v47, v12
.LBB279_147:                            ;   in Loop: Header=BB279_14 Depth=1
	s_or_b64 exec, exec, s[50:51]
.LBB279_148:                            ;   in Loop: Header=BB279_14 Depth=1
	s_or_b64 exec, exec, s[48:49]
.LBB279_149:                            ;   in Loop: Header=BB279_14 Depth=1
	s_or_b64 exec, exec, s[46:47]
	global_load_ushort v50, v[10:11], off offset:1288
	v_mov_b32_e32 v49, 0
	s_waitcnt vmcnt(0)
	v_and_b32_e32 v12, 0xffff, v50
	v_cmp_ne_u16_sdwa s[4:5], v50, v15 src0_sel:BYTE_0 src1_sel:DWORD
	v_mov_b32_e32 v50, 0
	s_and_saveexec_b64 s[46:47], s[4:5]
	s_cbranch_execz .LBB279_155
; %bb.150:                              ;   in Loop: Header=BB279_14 Depth=1
	v_cmp_ne_u16_sdwa s[4:5], v12, s60 src0_sel:BYTE_0 src1_sel:DWORD
	v_bfrev_b32_e32 v50, 1
	s_and_saveexec_b64 s[48:49], s[4:5]
	s_cbranch_execz .LBB279_154
; %bb.151:                              ;   in Loop: Header=BB279_14 Depth=1
	v_and_b32_e32 v51, 0x7f, v12
	v_cmp_ne_u32_e64 s[4:5], s61, v51
	v_mov_b32_e32 v50, 0x7fc02000
	s_and_saveexec_b64 s[50:51], s[4:5]
	s_cbranch_execz .LBB279_153
; %bb.152:                              ;   in Loop: Header=BB279_14 Depth=1
	v_and_b32_e32 v50, 7, v12
	v_ffbh_u32_e32 v52, v50
	v_min_u32_e32 v55, 32, v52
	v_subrev_u32_e32 v52, 28, v55
	v_lshlrev_b64 v[52:53], v52, v[12:13]
	v_lshrrev_b32_e32 v54, 3, v51
	v_sub_u32_e32 v53, 29, v55
	v_cmp_gt_u32_e64 s[4:5], 8, v51
	v_and_b32_e32 v52, 7, v52
	v_cndmask_b32_e64 v51, v54, v53, s[4:5]
	v_cndmask_b32_e64 v50, v50, v52, s[4:5]
	v_lshlrev_b32_e32 v52, 8, v12
	v_lshl_add_u32 v51, v51, 10, v23
	v_and_or_b32 v51, v52, s62, v51
	v_lshl_or_b32 v50, v50, 7, v51
	v_cvt_f32_f16_e32 v50, v50
.LBB279_153:                            ;   in Loop: Header=BB279_14 Depth=1
	s_or_b64 exec, exec, s[50:51]
.LBB279_154:                            ;   in Loop: Header=BB279_14 Depth=1
	s_or_b64 exec, exec, s[48:49]
.LBB279_155:                            ;   in Loop: Header=BB279_14 Depth=1
	s_or_b64 exec, exec, s[46:47]
	v_lshrrev_b16_e32 v12, 8, v12
	v_cmp_ne_u16_e64 s[4:5], 0, v12
	s_and_saveexec_b64 s[46:47], s[4:5]
	s_cbranch_execz .LBB279_161
; %bb.156:                              ;   in Loop: Header=BB279_14 Depth=1
	v_cmp_ne_u16_e64 s[4:5], s60, v12
	v_bfrev_b32_e32 v49, 1
	s_and_saveexec_b64 s[48:49], s[4:5]
	s_cbranch_execz .LBB279_160
; %bb.157:                              ;   in Loop: Header=BB279_14 Depth=1
	v_and_b32_e32 v51, 0x7f, v12
	v_cmp_ne_u32_e64 s[4:5], s61, v51
	v_mov_b32_e32 v49, 0x7fc02000
	s_and_saveexec_b64 s[50:51], s[4:5]
	s_cbranch_execz .LBB279_159
; %bb.158:                              ;   in Loop: Header=BB279_14 Depth=1
	v_and_b32_e32 v49, 7, v12
	v_ffbh_u32_e32 v52, v49
	v_min_u32_e32 v55, 32, v52
	v_subrev_u32_e32 v52, 28, v55
	v_lshlrev_b64 v[52:53], v52, v[12:13]
	v_lshrrev_b32_e32 v54, 3, v51
	v_sub_u32_e32 v53, 29, v55
	v_cmp_gt_u32_e64 s[4:5], 8, v51
	v_cndmask_b32_e64 v51, v54, v53, s[4:5]
	v_and_b32_e32 v52, 7, v52
	v_lshlrev_b32_e32 v12, 8, v12
	v_lshl_add_u32 v51, v51, 10, v23
	v_cndmask_b32_e64 v49, v49, v52, s[4:5]
	v_and_or_b32 v12, v12, s62, v51
	v_lshl_or_b32 v12, v49, 7, v12
	v_cvt_f32_f16_e32 v49, v12
.LBB279_159:                            ;   in Loop: Header=BB279_14 Depth=1
	s_or_b64 exec, exec, s[50:51]
.LBB279_160:                            ;   in Loop: Header=BB279_14 Depth=1
	s_or_b64 exec, exec, s[48:49]
.LBB279_161:                            ;   in Loop: Header=BB279_14 Depth=1
	s_or_b64 exec, exec, s[46:47]
	global_load_ushort v52, v[10:11], off offset:1536
	v_mov_b32_e32 v51, 0
	s_waitcnt vmcnt(0)
	v_and_b32_e32 v12, 0xffff, v52
	v_cmp_ne_u16_sdwa s[4:5], v52, v15 src0_sel:BYTE_0 src1_sel:DWORD
	v_mov_b32_e32 v52, 0
	s_and_saveexec_b64 s[46:47], s[4:5]
	s_cbranch_execz .LBB279_167
; %bb.162:                              ;   in Loop: Header=BB279_14 Depth=1
	v_cmp_ne_u16_sdwa s[4:5], v12, s60 src0_sel:BYTE_0 src1_sel:DWORD
	v_bfrev_b32_e32 v52, 1
	s_and_saveexec_b64 s[48:49], s[4:5]
	s_cbranch_execz .LBB279_166
; %bb.163:                              ;   in Loop: Header=BB279_14 Depth=1
	v_and_b32_e32 v53, 0x7f, v12
	v_cmp_ne_u32_e64 s[4:5], s61, v53
	v_mov_b32_e32 v52, 0x7fc02000
	s_and_saveexec_b64 s[50:51], s[4:5]
	s_cbranch_execz .LBB279_165
; %bb.164:                              ;   in Loop: Header=BB279_14 Depth=1
	v_and_b32_e32 v52, 7, v12
	v_ffbh_u32_e32 v54, v52
	v_min_u32_e32 v57, 32, v54
	v_subrev_u32_e32 v54, 28, v57
	v_lshlrev_b64 v[54:55], v54, v[12:13]
	v_lshrrev_b32_e32 v56, 3, v53
	v_sub_u32_e32 v55, 29, v57
	v_cmp_gt_u32_e64 s[4:5], 8, v53
	v_and_b32_e32 v54, 7, v54
	v_cndmask_b32_e64 v53, v56, v55, s[4:5]
	v_cndmask_b32_e64 v52, v52, v54, s[4:5]
	v_lshlrev_b32_e32 v54, 8, v12
	v_lshl_add_u32 v53, v53, 10, v23
	v_and_or_b32 v53, v54, s62, v53
	v_lshl_or_b32 v52, v52, 7, v53
	v_cvt_f32_f16_e32 v52, v52
.LBB279_165:                            ;   in Loop: Header=BB279_14 Depth=1
	s_or_b64 exec, exec, s[50:51]
.LBB279_166:                            ;   in Loop: Header=BB279_14 Depth=1
	s_or_b64 exec, exec, s[48:49]
.LBB279_167:                            ;   in Loop: Header=BB279_14 Depth=1
	s_or_b64 exec, exec, s[46:47]
	v_lshrrev_b16_e32 v12, 8, v12
	v_cmp_ne_u16_e64 s[4:5], 0, v12
	s_and_saveexec_b64 s[46:47], s[4:5]
	s_cbranch_execz .LBB279_173
; %bb.168:                              ;   in Loop: Header=BB279_14 Depth=1
	v_cmp_ne_u16_e64 s[4:5], s60, v12
	v_bfrev_b32_e32 v51, 1
	s_and_saveexec_b64 s[48:49], s[4:5]
	s_cbranch_execz .LBB279_172
; %bb.169:                              ;   in Loop: Header=BB279_14 Depth=1
	v_and_b32_e32 v53, 0x7f, v12
	v_cmp_ne_u32_e64 s[4:5], s61, v53
	v_mov_b32_e32 v51, 0x7fc02000
	s_and_saveexec_b64 s[50:51], s[4:5]
	s_cbranch_execz .LBB279_171
; %bb.170:                              ;   in Loop: Header=BB279_14 Depth=1
	v_and_b32_e32 v51, 7, v12
	v_ffbh_u32_e32 v54, v51
	v_min_u32_e32 v57, 32, v54
	v_subrev_u32_e32 v54, 28, v57
	v_lshlrev_b64 v[54:55], v54, v[12:13]
	v_lshrrev_b32_e32 v56, 3, v53
	v_sub_u32_e32 v55, 29, v57
	v_cmp_gt_u32_e64 s[4:5], 8, v53
	v_cndmask_b32_e64 v53, v56, v55, s[4:5]
	v_and_b32_e32 v54, 7, v54
	v_lshlrev_b32_e32 v12, 8, v12
	v_lshl_add_u32 v53, v53, 10, v23
	v_cndmask_b32_e64 v51, v51, v54, s[4:5]
	v_and_or_b32 v12, v12, s62, v53
	v_lshl_or_b32 v12, v51, 7, v12
	v_cvt_f32_f16_e32 v51, v12
.LBB279_171:                            ;   in Loop: Header=BB279_14 Depth=1
	s_or_b64 exec, exec, s[50:51]
.LBB279_172:                            ;   in Loop: Header=BB279_14 Depth=1
	s_or_b64 exec, exec, s[48:49]
.LBB279_173:                            ;   in Loop: Header=BB279_14 Depth=1
	s_or_b64 exec, exec, s[46:47]
	global_load_ushort v12, v[10:11], off offset:1544
	v_mov_b32_e32 v11, 0
	s_waitcnt vmcnt(0)
	v_and_b32_e32 v10, 0xffff, v12
	v_cmp_ne_u16_sdwa s[4:5], v12, v15 src0_sel:BYTE_0 src1_sel:DWORD
	v_mov_b32_e32 v12, 0
	s_and_saveexec_b64 s[46:47], s[4:5]
	s_cbranch_execz .LBB279_179
; %bb.174:                              ;   in Loop: Header=BB279_14 Depth=1
	v_cmp_ne_u16_sdwa s[4:5], v10, s60 src0_sel:BYTE_0 src1_sel:DWORD
	v_bfrev_b32_e32 v12, 1
	s_and_saveexec_b64 s[48:49], s[4:5]
	s_cbranch_execz .LBB279_178
; %bb.175:                              ;   in Loop: Header=BB279_14 Depth=1
	v_and_b32_e32 v53, 0x7f, v10
	v_cmp_ne_u32_e64 s[4:5], s61, v53
	v_mov_b32_e32 v12, 0x7fc02000
	s_and_saveexec_b64 s[50:51], s[4:5]
	s_cbranch_execz .LBB279_177
; %bb.176:                              ;   in Loop: Header=BB279_14 Depth=1
	v_and_b32_e32 v12, 7, v10
	v_ffbh_u32_e32 v54, v12
	v_min_u32_e32 v57, 32, v54
	v_subrev_u32_e32 v54, 28, v57
	v_lshlrev_b64 v[54:55], v54, v[10:11]
	v_lshrrev_b32_e32 v56, 3, v53
	v_sub_u32_e32 v55, 29, v57
	v_cmp_gt_u32_e64 s[4:5], 8, v53
	v_and_b32_e32 v54, 7, v54
	v_cndmask_b32_e64 v53, v56, v55, s[4:5]
	v_cndmask_b32_e64 v12, v12, v54, s[4:5]
	v_lshlrev_b32_e32 v54, 8, v10
	v_lshl_add_u32 v53, v53, 10, v23
	v_and_or_b32 v53, v54, s62, v53
	v_lshl_or_b32 v12, v12, 7, v53
	v_cvt_f32_f16_e32 v12, v12
.LBB279_177:                            ;   in Loop: Header=BB279_14 Depth=1
	s_or_b64 exec, exec, s[50:51]
.LBB279_178:                            ;   in Loop: Header=BB279_14 Depth=1
	s_or_b64 exec, exec, s[48:49]
.LBB279_179:                            ;   in Loop: Header=BB279_14 Depth=1
	s_or_b64 exec, exec, s[46:47]
	v_lshrrev_b16_e32 v10, 8, v10
	v_cmp_ne_u16_e64 s[4:5], 0, v10
	s_and_saveexec_b64 s[46:47], s[4:5]
	s_cbranch_execz .LBB279_185
; %bb.180:                              ;   in Loop: Header=BB279_14 Depth=1
	v_cmp_ne_u16_e64 s[4:5], s60, v10
	v_bfrev_b32_e32 v11, 1
	s_and_saveexec_b64 s[48:49], s[4:5]
	s_cbranch_execz .LBB279_184
; %bb.181:                              ;   in Loop: Header=BB279_14 Depth=1
	v_and_b32_e32 v53, 0x7f, v10
	v_cmp_ne_u32_e64 s[4:5], s61, v53
	v_mov_b32_e32 v11, 0x7fc02000
	s_and_saveexec_b64 s[50:51], s[4:5]
	s_cbranch_execz .LBB279_183
; %bb.182:                              ;   in Loop: Header=BB279_14 Depth=1
	v_and_b32_e32 v11, 7, v10
	v_ffbh_u32_e32 v54, v11
	v_min_u32_e32 v57, 32, v54
	v_subrev_u32_e32 v54, 28, v57
	v_lshlrev_b64 v[54:55], v54, v[10:11]
	v_lshrrev_b32_e32 v56, 3, v53
	v_sub_u32_e32 v55, 29, v57
	v_cmp_gt_u32_e64 s[4:5], 8, v53
	v_cndmask_b32_e64 v53, v56, v55, s[4:5]
	v_and_b32_e32 v54, 7, v54
	v_lshlrev_b32_e32 v10, 8, v10
	v_lshl_add_u32 v53, v53, 10, v23
	v_cndmask_b32_e64 v11, v11, v54, s[4:5]
	v_and_or_b32 v10, v10, s62, v53
	v_lshl_or_b32 v10, v11, 7, v10
	v_cvt_f32_f16_e32 v11, v10
.LBB279_183:                            ;   in Loop: Header=BB279_14 Depth=1
	s_or_b64 exec, exec, s[50:51]
.LBB279_184:                            ;   in Loop: Header=BB279_14 Depth=1
	s_or_b64 exec, exec, s[48:49]
.LBB279_185:                            ;   in Loop: Header=BB279_14 Depth=1
	s_or_b64 exec, exec, s[46:47]
	ds_read_b32 v10, v16
	v_fma_mixlo_f16 v28, v26, v28, 0
	v_fma_mixlo_f16 v27, v26, v27, 0
	v_and_b32_e32 v28, 0xffff, v28
	v_and_b32_e32 v27, 0xffff, v27
	s_waitcnt lgkmcnt(0)
	v_lshrrev_b32_e32 v53, 16, v10
	v_and_b32_e32 v10, 0xffff, v10
	;;#ASMSTART
	v_cvt_f32_f16 v10, v10;
	;;#ASMEND
	;;#ASMSTART
	v_cvt_f32_f16 v53, v53;
	;;#ASMEND
	;;#ASMSTART
	v_cvt_f32_f16 v28, v28;
	;;#ASMEND
	;;#ASMSTART
	v_cvt_f32_f16 v27, v27;
	;;#ASMEND
	ds_read_b32 v54, v16 offset:4
	v_fma_mixlo_f16 v30, v26, v30, 0
	v_fma_mixlo_f16 v29, v26, v29, 0
	v_and_b32_e32 v30, 0xffff, v30
	v_and_b32_e32 v29, 0xffff, v29
	s_waitcnt lgkmcnt(0)
	v_lshrrev_b32_e32 v55, 16, v54
	v_and_b32_e32 v54, 0xffff, v54
	;;#ASMSTART
	v_cvt_f32_f16 v54, v54;
	;;#ASMEND
	;;#ASMSTART
	v_cvt_f32_f16 v55, v55;
	;;#ASMEND
	;;#ASMSTART
	v_cvt_f32_f16 v30, v30;
	;;#ASMEND
	;;#ASMSTART
	v_cvt_f32_f16 v29, v29;
	;;#ASMEND
	ds_read_b32 v56, v16 offset:8
	;; [unrolled: 20-line block ×7, first 2 shown]
	v_fma_mixlo_f16 v52, v26, v52, 0
	v_fma_mixlo_f16 v51, v26, v51, 0
	;; [unrolled: 1-line block ×14, first 2 shown]
	v_mul_f32_e32 v26, v54, v30
	v_fmac_f32_e32 v26, v10, v28
	s_waitcnt lgkmcnt(0)
	v_lshrrev_b32_e32 v10, 16, v66
	v_and_b32_e32 v28, 0xffff, v66
	v_and_b32_e32 v30, 0xffff, v42
	;; [unrolled: 1-line block ×3, first 2 shown]
	;;#ASMSTART
	v_cvt_f32_f16 v28, v28;
	;;#ASMEND
	;;#ASMSTART
	v_cvt_f32_f16 v10, v10;
	;;#ASMEND
	;;#ASMSTART
	v_cvt_f32_f16 v30, v30;
	;;#ASMEND
	;;#ASMSTART
	v_cvt_f32_f16 v41, v41;
	;;#ASMEND
	ds_read_b32 v42, v16 offset:32
	v_mul_f32_e32 v29, v55, v29
	v_fmac_f32_e32 v29, v53, v27
	v_fmac_f32_e32 v26, v56, v32
	v_fmac_f32_e32 v29, v57, v31
	s_waitcnt lgkmcnt(0)
	v_lshrrev_b32_e32 v27, 16, v42
	v_and_b32_e32 v31, 0xffff, v42
	v_and_b32_e32 v32, 0xffff, v44
	v_and_b32_e32 v42, 0xffff, v43
	;;#ASMSTART
	v_cvt_f32_f16 v31, v31;
	;;#ASMEND
	;;#ASMSTART
	v_cvt_f32_f16 v27, v27;
	;;#ASMEND
	;;#ASMSTART
	v_cvt_f32_f16 v32, v32;
	;;#ASMEND
	;;#ASMSTART
	v_cvt_f32_f16 v42, v42;
	;;#ASMEND
	ds_read_b32 v43, v16 offset:36
	v_fmac_f32_e32 v26, v58, v34
	v_fmac_f32_e32 v29, v59, v33
	v_fmac_f32_e32 v26, v60, v36
	v_fmac_f32_e32 v29, v61, v35
	s_waitcnt lgkmcnt(0)
	v_lshrrev_b32_e32 v33, 16, v43
	v_and_b32_e32 v34, 0xffff, v43
	v_and_b32_e32 v35, 0xffff, v46
	v_and_b32_e32 v36, 0xffff, v45
	;;#ASMSTART
	v_cvt_f32_f16 v34, v34;
	;;#ASMEND
	;;#ASMSTART
	v_cvt_f32_f16 v33, v33;
	;;#ASMEND
	;;#ASMSTART
	v_cvt_f32_f16 v35, v35;
	;;#ASMEND
	;;#ASMSTART
	v_cvt_f32_f16 v36, v36;
	;;#ASMEND
	ds_read_b32 v43, v16 offset:40
	v_fmac_f32_e32 v26, v62, v38
	;; [unrolled: 22-line block ×3, first 2 shown]
	v_fmac_f32_e32 v26, v28, v30
	v_fmac_f32_e32 v29, v27, v42
	v_and_b32_e32 v28, 0xffff, v50
	s_waitcnt lgkmcnt(0)
	v_lshrrev_b32_e32 v10, 16, v43
	v_and_b32_e32 v27, 0xffff, v43
	v_and_b32_e32 v30, 0xffff, v49
	v_fmac_f32_e32 v26, v31, v32
	;;#ASMSTART
	v_cvt_f32_f16 v27, v27;
	;;#ASMEND
	;;#ASMSTART
	v_cvt_f32_f16 v10, v10;
	;;#ASMEND
	;; [unrolled: 3-line block ×4, first 2 shown]
	ds_read_b32 v31, v16 offset:48
	v_fmac_f32_e32 v26, v34, v35
	v_fmac_f32_e32 v29, v33, v36
	v_and_b32_e32 v33, 0xffff, v52
	v_and_b32_e32 v34, 0xffff, v51
	s_waitcnt lgkmcnt(0)
	v_lshrrev_b32_e32 v32, 16, v31
	v_and_b32_e32 v31, 0xffff, v31
	;;#ASMSTART
	v_cvt_f32_f16 v31, v31;
	;;#ASMEND
	;;#ASMSTART
	v_cvt_f32_f16 v32, v32;
	;;#ASMEND
	;; [unrolled: 3-line block ×4, first 2 shown]
	ds_read_b32 v35, v16 offset:52
	v_fmac_f32_e32 v26, v38, v39
	v_fmac_f32_e32 v29, v37, v40
	;; [unrolled: 1-line block ×4, first 2 shown]
	s_waitcnt lgkmcnt(0)
	v_lshrrev_b32_e32 v10, 16, v35
	v_and_b32_e32 v27, 0xffff, v35
	v_and_b32_e32 v12, 0xffff, v12
	;; [unrolled: 1-line block ×3, first 2 shown]
	v_fmac_f32_e32 v29, v32, v34
	;;#ASMSTART
	v_cvt_f32_f16 v27, v27;
	;;#ASMEND
	;;#ASMSTART
	v_cvt_f32_f16 v10, v10;
	;;#ASMEND
	;; [unrolled: 3-line block ×4, first 2 shown]
	v_fmac_f32_e32 v26, v31, v33
	v_fmac_f32_e32 v29, v10, v11
	v_and_b32_e32 v11, 64, v24
	v_fmac_f32_e32 v26, v27, v12
	v_add_u32_e32 v11, 64, v11
	v_xor_b32_e32 v12, 2, v24
	v_cmp_lt_i32_e64 s[4:5], v12, v11
	v_cndmask_b32_e64 v12, v24, v12, s[4:5]
	v_add_f32_e32 v10, v26, v29
	v_lshlrev_b32_e32 v12, 2, v12
	ds_bpermute_b32 v12, v12, v10
	s_waitcnt lgkmcnt(0)
	v_add_f32_e32 v10, v10, v12
	v_xor_b32_e32 v12, 1, v24
	v_cmp_lt_i32_e64 s[4:5], v12, v11
	v_cndmask_b32_e64 v11, v24, v12, s[4:5]
	v_lshlrev_b32_e32 v11, 2, v11
	ds_bpermute_b32 v11, v11, v10
	s_and_saveexec_b64 s[46:47], vcc
	s_cbranch_execz .LBB279_12
; %bb.186:                              ;   in Loop: Header=BB279_14 Depth=1
	v_add_u32_e32 v12, v21, v19
	v_cvt_f32_i32_e32 v12, v12
	s_waitcnt lgkmcnt(0)
	v_add_f32_e32 v10, v10, v11
	v_add_u32_e32 v26, v14, v19
	v_cmp_gt_i32_e64 s[4:5], s33, v26
	v_mul_f32_e32 v11, s56, v12
	v_cndmask_b32_e64 v11, 0, v11, s[2:3]
	v_fmac_f32_e32 v11, s43, v10
	v_cndmask_b32_e64 v10, 0, v11, s[4:5]
	ds_write_b32 v20, v10
	v_max_f32_e32 v10, v17, v17
	v_max_f32_e32 v10, v10, v11
	v_cndmask_b32_e64 v17, v17, v10, s[4:5]
	s_branch .LBB279_12
.LBB279_187:
	s_or_b64 exec, exec, s[44:45]
.LBB279_188:
	s_or_b64 exec, exec, s[18:19]
	v_mbcnt_hi_u32_b32 v2, -1, v5
	v_and_b32_e32 v3, 64, v2
	v_add_u32_e32 v3, 64, v3
	v_xor_b32_e32 v4, 32, v2
	v_cmp_lt_i32_e32 vcc, v4, v3
	v_cndmask_b32_e32 v4, v2, v4, vcc
	v_lshlrev_b32_e32 v8, 2, v4
	ds_bpermute_b32 v4, v8, v17
	v_xor_b32_e32 v9, 16, v2
	v_max_f32_e32 v5, v17, v17
	v_cmp_lt_i32_e32 vcc, v9, v3
	s_waitcnt lgkmcnt(1)
	v_lshlrev_b32_e32 v11, 2, v13
	s_waitcnt lgkmcnt(0)
	v_max_f32_e32 v4, v4, v4
	v_max_f32_e32 v4, v5, v4
	v_cndmask_b32_e32 v5, v2, v9, vcc
	v_lshlrev_b32_e32 v10, 2, v5
	ds_bpermute_b32 v5, v10, v4
	v_xor_b32_e32 v9, 8, v2
	v_cmp_lt_i32_e32 vcc, v9, v3
	s_waitcnt lgkmcnt(0)
	v_max_f32_e32 v5, v5, v5
	v_max_f32_e32 v4, v4, v5
	v_cndmask_b32_e32 v5, v2, v9, vcc
	v_lshlrev_b32_e32 v14, 2, v5
	ds_bpermute_b32 v5, v14, v4
	v_xor_b32_e32 v9, 4, v2
	v_cmp_lt_i32_e32 vcc, v9, v3
	s_waitcnt lgkmcnt(0)
	v_max_f32_e32 v5, v5, v5
	v_max_f32_e32 v5, v4, v5
	v_cndmask_b32_e32 v4, v2, v9, vcc
	v_lshlrev_b32_e32 v15, 2, v4
	ds_bpermute_b32 v9, v15, v5
	v_and_b32_e32 v4, 63, v0
	v_cmp_eq_u32_e32 vcc, 0, v4
	s_and_saveexec_b64 s[2:3], vcc
	s_cbranch_execz .LBB279_190
; %bb.189:
	s_waitcnt lgkmcnt(0)
	v_max_f32_e32 v9, v9, v9
	v_max_f32_e32 v5, v5, v5
	v_max_f32_e32 v5, v5, v9
	ds_write_b32 v11, v5 offset:224
.LBB279_190:
	s_or_b64 exec, exec, s[2:3]
	v_cmp_gt_u32_e64 s[2:3], 2, v4
	v_mov_b32_e32 v5, 0xff7fffff
	v_lshlrev_b32_e32 v12, 2, v4
	s_waitcnt lgkmcnt(0)
	s_barrier
	s_and_saveexec_b64 s[4:5], s[2:3]
	s_cbranch_execz .LBB279_192
; %bb.191:
	ds_read_b32 v5, v12 offset:224
.LBB279_192:
	s_or_b64 exec, exec, s[4:5]
	v_xor_b32_e32 v9, 1, v2
	v_cmp_lt_i32_e64 s[4:5], v9, v3
	v_cndmask_b32_e64 v9, v2, v9, s[4:5]
	v_lshlrev_b32_e32 v9, 2, v9
	s_waitcnt lgkmcnt(0)
	ds_bpermute_b32 v16, v9, v5
	v_max_f32_e32 v5, v5, v5
	s_sub_i32 s4, s54, s23
	s_lshl_b32 s4, s4, 4
	s_add_i32 s4, s4, s55
	s_waitcnt lgkmcnt(0)
	v_max_f32_e32 v16, v16, v16
	v_max_f32_e32 v5, v5, v16
	v_lshlrev_b32_e32 v16, 2, v2
	v_and_b32_e32 v16, 0x100, v16
	ds_bpermute_b32 v5, v16, v5
	s_min_i32 s43, s4, s33
	s_sub_i32 s23, s43, s55
	v_cmp_gt_i32_e64 s[4:5], s23, v0
	v_mov_b32_e32 v17, 0
	s_and_saveexec_b64 s[12:13], s[4:5]
	s_cbranch_execz .LBB279_196
; %bb.193:
	v_mov_b32_e32 v17, 0xf0
	v_lshl_add_u32 v18, v0, 2, v17
	s_mov_b64 s[18:19], 0
	v_mov_b32_e32 v17, 0
	v_mov_b32_e32 v19, v0
.LBB279_194:                            ; =>This Inner Loop Header: Depth=1
	ds_read_b32 v20, v18
	v_add_u32_e32 v19, 0x80, v19
	v_cmp_le_i32_e64 s[10:11], s23, v19
	s_or_b64 s[18:19], s[10:11], s[18:19]
	s_waitcnt lgkmcnt(0)
	v_sub_f32_e32 v20, v20, v5
	v_mul_f32_e32 v20, 0x3fb8aa3b, v20
	v_exp_f32_e32 v20, v20
	ds_write_b32 v18, v20
	v_add_f32_e32 v17, v17, v20
	v_add_u32_e32 v18, 0x200, v18
	s_andn2_b64 exec, exec, s[18:19]
	s_cbranch_execnz .LBB279_194
; %bb.195:
	s_or_b64 exec, exec, s[18:19]
.LBB279_196:
	s_or_b64 exec, exec, s[12:13]
	ds_bpermute_b32 v8, v8, v17
	s_waitcnt lgkmcnt(0)
	v_add_f32_e32 v8, v17, v8
	ds_bpermute_b32 v10, v10, v8
	s_waitcnt lgkmcnt(0)
	v_add_f32_e32 v8, v8, v10
	ds_bpermute_b32 v10, v14, v8
	v_xor_b32_e32 v14, 2, v2
	v_cmp_lt_i32_e64 s[10:11], v14, v3
	v_cndmask_b32_e64 v2, v2, v14, s[10:11]
	v_lshlrev_b32_e32 v2, 2, v2
	s_waitcnt lgkmcnt(0)
	v_add_f32_e32 v8, v8, v10
	ds_bpermute_b32 v10, v15, v8
	s_waitcnt lgkmcnt(0)
	v_add_f32_e32 v3, v8, v10
	ds_bpermute_b32 v2, v2, v3
	;; [unrolled: 3-line block ×3, first 2 shown]
	s_waitcnt lgkmcnt(0)
	v_add_f32_e32 v2, v2, v3
	s_and_saveexec_b64 s[10:11], vcc
	s_cbranch_execz .LBB279_198
; %bb.197:
	ds_write_b32 v11, v2 offset:232
.LBB279_198:
	s_or_b64 exec, exec, s[10:11]
	s_waitcnt lgkmcnt(0)
	s_barrier
	s_and_saveexec_b64 s[10:11], s[2:3]
	s_cbranch_execz .LBB279_200
; %bb.199:
	ds_read_b32 v2, v12 offset:232
.LBB279_200:
	s_or_b64 exec, exec, s[10:11]
	s_waitcnt lgkmcnt(0)
	ds_bpermute_b32 v3, v9, v2
	s_waitcnt lgkmcnt(0)
	v_add_f32_e32 v2, v2, v3
	ds_bpermute_b32 v8, v16, v2
	s_and_saveexec_b64 s[2:3], s[4:5]
	s_cbranch_execz .LBB279_213
; %bb.201:
	s_waitcnt lgkmcnt(0)
	v_add_f32_e32 v2, 0x358637bd, v8
	v_div_scale_f32 v3, s[4:5], v2, v2, 1.0
	v_rcp_f32_e32 v10, v3
	v_div_scale_f32 v11, vcc, 1.0, v2, 1.0
	s_movk_i32 s4, 0x7f
	v_fma_f32 v12, -v3, v10, 1.0
	v_fmac_f32_e32 v10, v12, v10
	v_mul_f32_e32 v12, v11, v10
	v_fma_f32 v14, -v3, v12, v11
	v_fmac_f32_e32 v12, v14, v10
	v_fma_f32 v3, -v3, v12, v11
	v_div_fmas_f32 v3, v3, v10, v12
	v_div_fixup_f32 v2, v3, v2, 1.0
	v_xad_u32 v3, v0, -1, s43
	v_subrev_u32_e32 v10, s55, v3
	v_cmp_lt_u32_e32 vcc, s4, v10
	s_mov_b64 s[10:11], -1
	v_mov_b32_e32 v3, v0
	s_and_saveexec_b64 s[4:5], vcc
	s_cbranch_execz .LBB279_210
; %bb.202:
	v_lshrrev_b32_e32 v10, 7, v10
	v_add_u32_e32 v12, -1, v10
	v_lshrrev_b32_e32 v11, 1, v12
	v_mov_b32_e32 v3, v2
	v_add_u32_e32 v11, 1, v11
	v_cmp_lt_u32_e32 vcc, 13, v12
	v_mov_b32_e32 v15, 0
	s_and_saveexec_b64 s[10:11], vcc
	s_cbranch_execz .LBB279_206
; %bb.203:
	v_mov_b32_e32 v14, 0xf0
	v_and_b32_e32 v12, -8, v11
	v_lshl_add_u32 v14, v0, 2, v14
	s_mov_b32 s18, 0
	s_mov_b64 s[12:13], 0
.LBB279_204:                            ; =>This Inner Loop Header: Depth=1
	ds_read2st64_b32 v[16:17], v14 offset1:2
	ds_read2st64_b32 v[18:19], v14 offset0:4 offset1:6
	ds_read2st64_b32 v[20:21], v14 offset0:8 offset1:10
	;; [unrolled: 1-line block ×3, first 2 shown]
	v_add_u32_e32 v12, -8, v12
	s_waitcnt lgkmcnt(3)
	v_pk_mul_f32 v[16:17], v[2:3], v[16:17]
	s_waitcnt lgkmcnt(2)
	v_pk_mul_f32 v[18:19], v[2:3], v[18:19]
	ds_write2st64_b32 v14, v16, v17 offset1:2
	ds_write2st64_b32 v14, v18, v19 offset0:4 offset1:6
	ds_read2st64_b32 v[18:19], v14 offset0:16 offset1:18
	s_waitcnt lgkmcnt(4)
	v_pk_mul_f32 v[16:17], v[2:3], v[20:21]
	ds_write2st64_b32 v14, v16, v17 offset0:8 offset1:10
	s_waitcnt lgkmcnt(4)
	v_pk_mul_f32 v[16:17], v[2:3], v[22:23]
	ds_write2st64_b32 v14, v16, v17 offset0:12 offset1:14
	ds_read2st64_b32 v[16:17], v14 offset0:20 offset1:22
	s_waitcnt lgkmcnt(3)
	v_pk_mul_f32 v[18:19], v[2:3], v[18:19]
	ds_read2st64_b32 v[20:21], v14 offset0:24 offset1:26
	ds_write2st64_b32 v14, v18, v19 offset0:16 offset1:18
	ds_read2st64_b32 v[18:19], v14 offset0:28 offset1:30
	s_waitcnt lgkmcnt(3)
	v_pk_mul_f32 v[16:17], v[2:3], v[16:17]
	ds_write2st64_b32 v14, v16, v17 offset0:20 offset1:22
	s_waitcnt lgkmcnt(3)
	v_pk_mul_f32 v[16:17], v[2:3], v[20:21]
	ds_write2st64_b32 v14, v16, v17 offset0:24 offset1:26
	s_waitcnt lgkmcnt(2)
	v_pk_mul_f32 v[16:17], v[2:3], v[18:19]
	s_add_i32 s18, s18, 16
	v_cmp_eq_u32_e32 vcc, 0, v12
	ds_write2st64_b32 v14, v16, v17 offset0:28 offset1:30
	v_add_u32_e32 v14, 0x2000, v14
	s_or_b64 s[12:13], vcc, s[12:13]
	v_mov_b32_e32 v15, s18
	s_andn2_b64 exec, exec, s[12:13]
	s_cbranch_execnz .LBB279_204
; %bb.205:
	s_or_b64 exec, exec, s[12:13]
.LBB279_206:
	s_or_b64 exec, exec, s[10:11]
	v_and_b32_e32 v11, 7, v11
	v_cmp_ne_u32_e32 vcc, 0, v11
	s_and_saveexec_b64 s[10:11], vcc
	s_cbranch_execz .LBB279_209
; %bb.207:
	v_lshlrev_b32_e32 v12, 9, v15
	v_lshlrev_b32_e32 v14, 2, v0
	s_movk_i32 s12, 0xf0
	v_add3_u32 v12, v12, v14, s12
	s_mov_b64 s[12:13], 0
.LBB279_208:                            ; =>This Inner Loop Header: Depth=1
	ds_read2st64_b32 v[14:15], v12 offset1:2
	v_add_u32_e32 v11, -1, v11
	v_cmp_eq_u32_e32 vcc, 0, v11
	s_or_b64 s[12:13], vcc, s[12:13]
	s_waitcnt lgkmcnt(0)
	v_pk_mul_f32 v[14:15], v[2:3], v[14:15]
	ds_write2st64_b32 v12, v14, v15 offset1:2
	v_add_u32_e32 v12, 0x400, v12
	s_andn2_b64 exec, exec, s[12:13]
	s_cbranch_execnz .LBB279_208
.LBB279_209:
	s_or_b64 exec, exec, s[10:11]
	v_add_u32_e32 v10, 1, v10
	v_and_b32_e32 v11, 0x3fffffe, v10
	v_cmp_ne_u32_e32 vcc, v10, v11
	v_lshl_add_u32 v3, v11, 7, v0
	s_orn2_b64 s[10:11], vcc, exec
.LBB279_210:
	s_or_b64 exec, exec, s[4:5]
	s_and_b64 exec, exec, s[10:11]
	s_cbranch_execz .LBB279_213
; %bb.211:
	v_mov_b32_e32 v10, 0xf0
	v_lshl_add_u32 v10, v3, 2, v10
	s_mov_b64 s[4:5], 0
.LBB279_212:                            ; =>This Inner Loop Header: Depth=1
	ds_read_b32 v11, v10
	v_add_u32_e32 v3, 0x80, v3
	v_cmp_le_i32_e32 vcc, s23, v3
	s_or_b64 s[4:5], vcc, s[4:5]
	s_waitcnt lgkmcnt(0)
	v_mul_f32_e32 v11, v2, v11
	ds_write_b32 v10, v11
	v_add_u32_e32 v10, 0x200, v10
	s_andn2_b64 exec, exec, s[4:5]
	s_cbranch_execnz .LBB279_212
.LBB279_213:
	s_or_b64 exec, exec, s[2:3]
	s_mul_i32 s2, s29, s34
	v_cmp_eq_u32_e32 vcc, 0, v0
	s_mul_i32 s10, s2, s9
	s_waitcnt lgkmcnt(0)
	s_barrier
	s_and_saveexec_b64 s[2:3], vcc
	s_cbranch_execz .LBB279_215
; %bb.214:
	s_ashr_i32 s11, s10, 31
	s_lshl_b64 s[4:5], s[10:11], 2
	s_add_u32 s9, s26, s4
	s_mul_i32 s12, s29, s6
	s_addc_u32 s11, s27, s5
	s_ashr_i32 s13, s12, 31
	s_lshl_b64 s[12:13], s[12:13], 2
	s_add_u32 s6, s9, s12
	s_addc_u32 s11, s11, s13
	s_ashr_i32 s9, s8, 31
	s_lshl_b64 s[18:19], s[8:9], 2
	s_add_u32 s26, s6, s18
	s_addc_u32 s27, s11, s19
	s_add_u32 s4, s24, s4
	s_addc_u32 s5, s25, s5
	;; [unrolled: 2-line block ×3, first 2 shown]
	s_add_u32 s4, s4, s18
	v_mov_b32_e32 v2, 0
	s_addc_u32 s5, s5, s19
	global_store_dword v2, v5, s[26:27]
	global_store_dword v2, v8, s[4:5]
.LBB279_215:
	s_or_b64 exec, exec, s[2:3]
	s_mov_b32 s4, 0
	v_mov_b32_e32 v5, 0
	v_lshrrev_b32_e32 v29, 1, v4
	v_and_b32_e32 v28, 1, v0
	v_mov_b32_e32 v4, 0
	v_mov_b32_e32 v3, 0
	;; [unrolled: 1-line block ×3, first 2 shown]
	s_and_saveexec_b64 s[12:13], s[0:1]
	s_cbranch_execz .LBB279_423
; %bb.216:
	s_sub_i32 s9, s16, s21
	s_ashr_i32 s0, s20, 31
	s_add_u32 s16, s40, s20
	v_lshlrev_b32_e32 v2, 3, v0
	s_mov_b32 s11, s17
	s_addc_u32 s17, s41, s0
	s_abs_i32 s34, s22
	v_and_b32_e32 v30, 8, v2
	v_cvt_f32_u32_e32 v2, s34
	v_or_b32_e32 v3, 0x60, v29
	s_movk_i32 s0, 0x70
	v_cmp_gt_u32_e32 vcc, s0, v3
	v_rcp_iflag_f32_e32 v2, v2
	s_sub_i32 s0, 0, s34
	s_add_i32 s40, s7, -1
	v_lshl_or_b32 v12, v3, 4, v30
	v_mul_f32_e32 v2, 0x4f7ffffe, v2
	v_cvt_u32_f32_e32 v2, v2
	s_mov_b32 s5, s4
	s_mov_b32 s18, -1
	s_mov_b32 s6, s4
	v_mul_lo_u32 v3, s0, v2
	s_lshl_b64 s[0:1], s[38:39], 2
	v_mul_hi_u32 v3, v2, v3
	s_add_u32 s0, s36, s0
	v_add_u32_e32 v31, v2, v3
	v_lshlrev_b64 v[2:3], 2, v[6:7]
	s_addc_u32 s1, s37, s1
	v_mov_b32_e32 v4, s1
	v_add_co_u32_e64 v14, s[0:1], s0, v2
	v_lshlrev_b32_e32 v2, 5, v28
	v_lshl_or_b32 v2, v13, 6, v2
	v_addc_co_u32_e64 v15, s[0:1], v4, v3, s[0:1]
	v_add_u32_e32 v7, 0xf0, v2
	s_mov_b32 s7, s4
	v_pk_mov_b32 v[2:3], s[4:5], s[4:5] op_sel:[0,1]
	s_mov_b32 s19, 0xffffff
	v_lshl_or_b32 v8, v29, 4, v30
	v_mov_b32_e32 v11, 0
	s_mov_b32 s41, s33
	s_mov_b64 s[20:21], 0
	v_pk_mov_b32 v[4:5], s[6:7], s[6:7] op_sel:[0,1]
	s_movk_i32 s36, 0x80
	s_movk_i32 s37, 0x7f
	s_mov_b32 s38, 0x8000
	s_movk_i32 s39, 0x380
	s_mov_b32 s43, 0x3020706
	s_mov_b32 s44, 0x1000504
	;; [unrolled: 1-line block ×3, first 2 shown]
	v_mov_b32_e32 v13, 0x2000
	s_branch .LBB279_220
.LBB279_217:                            ;   in Loop: Header=BB279_220 Depth=1
	s_or_b64 exec, exec, s[2:3]
	;;#ASMSTART
	v_pk_mul_f16 v18, v36, v18;

	;;#ASMEND
	;;#ASMSTART
	v_pk_mul_f16 v10, v35, v10;

	;;#ASMEND
	;; [unrolled: 4-line block ×4, first 2 shown]
	;;#ASMSTART
	v_pk_add_f16 v10, v18, v10;

	;;#ASMEND
	;;#ASMSTART
	v_pk_add_f16 v10, v10, v17;

	;;#ASMEND
	;; [unrolled: 4-line block ×3, first 2 shown]
	v_lshrrev_b32_e32 v16, 16, v10
	v_and_b32_e32 v10, 0xffff, v10
	;;#ASMSTART
	v_cvt_f32_f16 v10, v10;
	;;#ASMEND
	;;#ASMSTART
	v_cvt_f32_f16 v16, v16;
	;;#ASMEND
	v_add_f32_e32 v10, v10, v16
	v_add_f32_e32 v5, v5, v10
.LBB279_218:                            ;   in Loop: Header=BB279_220 Depth=1
	s_or_b64 exec, exec, s[6:7]
.LBB279_219:                            ;   in Loop: Header=BB279_220 Depth=1
	s_or_b64 exec, exec, s[4:5]
	v_add_co_u32_e64 v14, s[0:1], 8, v14
	v_add_u32_e32 v6, 2, v6
	v_addc_co_u32_e64 v15, s[0:1], 0, v15, s[0:1]
	v_cmp_le_i32_e64 s[0:1], s54, v6
	v_add_u32_e32 v1, 32, v1
	s_or_b64 s[20:21], s[0:1], s[20:21]
	v_add_u32_e32 v7, 0x80, v7
	s_andn2_b64 exec, exec, s[20:21]
	s_cbranch_execz .LBB279_422
.LBB279_220:                            ; =>This Inner Loop Header: Depth=1
	v_sub_u32_e32 v16, 0, v1
	v_max_i32_e32 v16, v1, v16
	v_mul_hi_u32 v17, v16, s52
	v_mul_lo_u32 v18, v17, s35
	v_sub_u32_e32 v16, v16, v18
	v_add_u32_e32 v18, 1, v17
	v_cmp_le_u32_e64 s[0:1], s35, v16
	v_cndmask_b32_e64 v17, v17, v18, s[0:1]
	v_subrev_u32_e32 v18, s35, v16
	v_cndmask_b32_e64 v16, v16, v18, s[0:1]
	v_ashrrev_i32_e32 v10, 31, v1
	v_add_u32_e32 v18, 1, v17
	v_cmp_le_u32_e64 s[0:1], s35, v16
	v_xor_b32_e32 v10, s53, v10
	v_cndmask_b32_e64 v16, v17, v18, s[0:1]
	v_xor_b32_e32 v16, v16, v10
	v_sub_u32_e32 v10, v16, v10
	v_add_u32_e32 v16, s42, v10
	v_sub_u32_e32 v18, 0, v16
	v_ashrrev_i32_e32 v17, 31, v16
	v_max_i32_e32 v16, v16, v18
	v_mul_hi_u32 v18, v16, v31
	v_mul_lo_u32 v18, v18, s34
	v_sub_u32_e32 v16, v16, v18
	v_subrev_u32_e32 v18, s34, v16
	v_cmp_le_u32_e64 s[0:1], s34, v16
	v_cndmask_b32_e64 v16, v16, v18, s[0:1]
	v_subrev_u32_e32 v18, s34, v16
	v_cmp_le_u32_e64 s[0:1], s34, v16
	v_cndmask_b32_e64 v16, v16, v18, s[0:1]
	v_xor_b32_e32 v16, v16, v17
	v_sub_u32_e32 v16, v16, v17
	v_cmp_eq_u32_e64 s[0:1], 0, v16
	v_cmp_lt_i32_e64 s[2:3], s9, v10
	s_or_b64 s[0:1], s[0:1], s[2:3]
	s_and_saveexec_b64 s[4:5], s[0:1]
	s_cbranch_execz .LBB279_219
; %bb.221:                              ;   in Loop: Header=BB279_220 Depth=1
	global_load_dword v10, v[14:15], off
	ds_read2_b64 v[16:19], v7 offset1:1
	ds_read2_b64 v[22:25], v7 offset0:2 offset1:3
	v_pk_mov_b32 v[26:27], s[16:17], s[16:17] op_sel:[0,1]
	s_waitcnt lgkmcnt(1)
	;;#ASMSTART
	v_cvt_f16_f32 v21, v16;

	;;#ASMEND
	;;#ASMSTART
	v_cvt_f16_f32 v33, v17;

	;;#ASMEND
	;; [unrolled: 4-line block ×4, first 2 shown]
	s_waitcnt lgkmcnt(0)
	;;#ASMSTART
	v_cvt_f16_f32 v37, v22;

	;;#ASMEND
	;;#ASMSTART
	v_cvt_f16_f32 v38, v23;

	;;#ASMEND
	;; [unrolled: 4-line block ×4, first 2 shown]
	v_mov_b32_e32 v24, 0
	v_mov_b32_e32 v22, 0
	s_waitcnt vmcnt(0)
	v_mad_i64_i32 v[16:17], s[0:1], v10, s11, v[26:27]
	v_add_co_u32_e64 v18, s[0:1], v16, v8
	v_addc_co_u32_e64 v19, s[0:1], 0, v17, s[0:1]
	global_load_dwordx2 v[26:27], v[18:19], off
	global_load_dword v20, v11, s[14:15]
	s_waitcnt vmcnt(1)
	v_cmp_ne_u16_sdwa s[0:1], v26, v11 src0_sel:BYTE_0 src1_sel:DWORD
	s_and_saveexec_b64 s[2:3], s[0:1]
	s_cbranch_execz .LBB279_227
; %bb.222:                              ;   in Loop: Header=BB279_220 Depth=1
	v_cmp_ne_u16_sdwa s[0:1], v26, s36 src0_sel:BYTE_0 src1_sel:DWORD
	v_bfrev_b32_e32 v22, 1
	s_and_saveexec_b64 s[6:7], s[0:1]
	s_cbranch_execz .LBB279_226
; %bb.223:                              ;   in Loop: Header=BB279_220 Depth=1
	v_and_b32_e32 v10, 0x7f, v26
	v_cmp_ne_u32_e64 s[0:1], s37, v10
	v_mov_b32_e32 v22, 0x7fc02000
	s_and_saveexec_b64 s[22:23], s[0:1]
	s_cbranch_execz .LBB279_225
; %bb.224:                              ;   in Loop: Header=BB279_220 Depth=1
	v_and_b32_e32 v22, 7, v26
	v_ffbh_u32_e32 v22, v22
	v_min_u32_e32 v22, 32, v22
	v_subrev_u32_e32 v23, 28, v22
	v_cmp_gt_u32_e64 s[0:1], 8, v10
	v_lshrrev_b32_e32 v25, 3, v10
	v_sub_u32_e32 v32, 29, v22
	v_cndmask_b32_e64 v10, 0, v23, s[0:1]
	v_lshlrev_b64 v[22:23], v10, v[26:27]
	v_cndmask_b32_e64 v10, v25, v32, s[0:1]
	v_lshlrev_b32_e32 v23, 8, v26
	v_lshl_add_u32 v10, v10, 10, v13
	v_lshlrev_b32_e32 v22, 7, v22
	v_and_or_b32 v10, v23, s38, v10
	v_and_or_b32 v10, v22, s39, v10
	v_cvt_f32_f16_e32 v22, v10
.LBB279_225:                            ;   in Loop: Header=BB279_220 Depth=1
	s_or_b64 exec, exec, s[22:23]
.LBB279_226:                            ;   in Loop: Header=BB279_220 Depth=1
	s_or_b64 exec, exec, s[6:7]
.LBB279_227:                            ;   in Loop: Header=BB279_220 Depth=1
	s_or_b64 exec, exec, s[2:3]
	v_lshrrev_b16_e32 v10, 8, v26
	v_cmp_ne_u16_e64 s[0:1], 0, v10
	s_and_saveexec_b64 s[2:3], s[0:1]
	s_cbranch_execz .LBB279_233
; %bb.228:                              ;   in Loop: Header=BB279_220 Depth=1
	v_cmp_ne_u16_e64 s[0:1], s36, v10
	v_bfrev_b32_e32 v24, 1
	s_and_saveexec_b64 s[6:7], s[0:1]
	s_cbranch_execz .LBB279_232
; %bb.229:                              ;   in Loop: Header=BB279_220 Depth=1
	v_and_b32_e32 v23, 0x7f, v10
	v_cmp_ne_u32_e64 s[0:1], s37, v23
	v_mov_b32_e32 v24, 0x7fc02000
	s_and_saveexec_b64 s[22:23], s[0:1]
	s_cbranch_execz .LBB279_231
; %bb.230:                              ;   in Loop: Header=BB279_220 Depth=1
	v_and_b32_e32 v32, 7, v10
	v_ffbh_u32_e32 v24, v32
	v_min_u32_e32 v41, 32, v24
	v_subrev_u32_e32 v24, 28, v41
	v_lshlrev_b64 v[24:25], v24, v[10:11]
	v_lshrrev_b32_e32 v36, 3, v23
	v_sub_u32_e32 v25, 29, v41
	v_cmp_gt_u32_e64 s[0:1], 8, v23
	v_cndmask_b32_e64 v23, v36, v25, s[0:1]
	v_and_b32_e32 v24, 7, v24
	v_lshlrev_b32_e32 v10, 8, v10
	v_lshl_add_u32 v23, v23, 10, v13
	v_cndmask_b32_e64 v24, v32, v24, s[0:1]
	v_and_or_b32 v10, v10, s38, v23
	v_lshl_or_b32 v10, v24, 7, v10
	v_cvt_f32_f16_e32 v24, v10
.LBB279_231:                            ;   in Loop: Header=BB279_220 Depth=1
	s_or_b64 exec, exec, s[22:23]
.LBB279_232:                            ;   in Loop: Header=BB279_220 Depth=1
	s_or_b64 exec, exec, s[6:7]
.LBB279_233:                            ;   in Loop: Header=BB279_220 Depth=1
	s_or_b64 exec, exec, s[2:3]
	v_lshrrev_b32_e32 v10, 16, v26
	v_cmp_ne_u16_sdwa s[0:1], v10, v11 src0_sel:BYTE_0 src1_sel:DWORD
	v_mov_b32_e32 v25, 0
	v_mov_b32_e32 v23, 0
	s_and_saveexec_b64 s[2:3], s[0:1]
	s_cbranch_execz .LBB279_239
; %bb.234:                              ;   in Loop: Header=BB279_220 Depth=1
	v_cmp_ne_u16_sdwa s[0:1], v10, s36 src0_sel:BYTE_0 src1_sel:DWORD
	v_bfrev_b32_e32 v23, 1
	s_and_saveexec_b64 s[6:7], s[0:1]
	s_cbranch_execz .LBB279_238
; %bb.235:                              ;   in Loop: Header=BB279_220 Depth=1
	v_bfe_u32 v32, v26, 16, 7
	v_cmp_ne_u32_e64 s[0:1], s37, v32
	v_mov_b32_e32 v23, 0x7fc02000
	s_and_saveexec_b64 s[22:23], s[0:1]
	s_cbranch_execz .LBB279_237
; %bb.236:                              ;   in Loop: Header=BB279_220 Depth=1
	v_and_b32_e32 v23, 7, v10
	v_ffbh_u32_e32 v41, v23
	v_min_u32_e32 v41, 32, v41
	v_lshrrev_b32_e32 v36, 3, v32
	v_subrev_u32_e32 v42, 28, v41
	v_sub_u32_e32 v41, 29, v41
	v_cmp_gt_u32_e64 s[0:1], 8, v32
	v_lshlrev_b64 v[42:43], v42, v[10:11]
	v_cndmask_b32_e64 v32, v36, v41, s[0:1]
	v_and_b32_e32 v42, 7, v42
	v_lshlrev_b32_e32 v10, 8, v10
	v_lshl_add_u32 v32, v32, 10, v13
	v_cndmask_b32_e64 v23, v23, v42, s[0:1]
	v_and_or_b32 v10, v10, s38, v32
	v_lshl_or_b32 v10, v23, 7, v10
	v_cvt_f32_f16_e32 v23, v10
.LBB279_237:                            ;   in Loop: Header=BB279_220 Depth=1
	s_or_b64 exec, exec, s[22:23]
.LBB279_238:                            ;   in Loop: Header=BB279_220 Depth=1
	s_or_b64 exec, exec, s[6:7]
.LBB279_239:                            ;   in Loop: Header=BB279_220 Depth=1
	s_or_b64 exec, exec, s[2:3]
	v_cmp_lt_u32_e64 s[0:1], s19, v26
	s_and_saveexec_b64 s[2:3], s[0:1]
	s_cbranch_execz .LBB279_245
; %bb.240:                              ;   in Loop: Header=BB279_220 Depth=1
	v_lshrrev_b32_e32 v10, 24, v26
	v_cmp_ne_u32_e64 s[0:1], s36, v10
	v_bfrev_b32_e32 v25, 1
	s_and_saveexec_b64 s[6:7], s[0:1]
	s_cbranch_execz .LBB279_244
; %bb.241:                              ;   in Loop: Header=BB279_220 Depth=1
	v_and_b32_e32 v32, 0x7f, v10
	v_cmp_ne_u32_e64 s[0:1], s37, v32
	v_mov_b32_e32 v25, 0x7fc02000
	s_and_saveexec_b64 s[22:23], s[0:1]
	s_cbranch_execz .LBB279_243
; %bb.242:                              ;   in Loop: Header=BB279_220 Depth=1
	v_and_b32_e32 v25, 7, v10
	v_ffbh_u32_e32 v41, v25
	v_min_u32_e32 v41, 32, v41
	v_lshrrev_b32_e32 v36, 3, v32
	v_subrev_u32_e32 v42, 28, v41
	v_sub_u32_e32 v41, 29, v41
	v_cmp_gt_u32_e64 s[0:1], 8, v32
	v_lshlrev_b64 v[42:43], v42, v[10:11]
	v_cndmask_b32_e64 v32, v36, v41, s[0:1]
	v_and_b32_e32 v42, 7, v42
	v_lshlrev_b32_e32 v10, 8, v10
	v_lshl_add_u32 v32, v32, 10, v13
	v_cndmask_b32_e64 v25, v25, v42, s[0:1]
	v_and_or_b32 v10, v10, s38, v32
	v_lshl_or_b32 v10, v25, 7, v10
	v_cvt_f32_f16_e32 v25, v10
.LBB279_243:                            ;   in Loop: Header=BB279_220 Depth=1
	s_or_b64 exec, exec, s[22:23]
.LBB279_244:                            ;   in Loop: Header=BB279_220 Depth=1
	s_or_b64 exec, exec, s[6:7]
.LBB279_245:                            ;   in Loop: Header=BB279_220 Depth=1
	s_or_b64 exec, exec, s[2:3]
	v_mov_b32_e32 v10, v27
	v_cmp_ne_u16_sdwa s[0:1], v27, v11 src0_sel:BYTE_0 src1_sel:DWORD
	v_mov_b32_e32 v41, 0
	v_mov_b32_e32 v36, 0
	s_and_saveexec_b64 s[2:3], s[0:1]
	s_cbranch_execz .LBB279_251
; %bb.246:                              ;   in Loop: Header=BB279_220 Depth=1
	v_cmp_ne_u16_sdwa s[0:1], v27, s36 src0_sel:BYTE_0 src1_sel:DWORD
	v_bfrev_b32_e32 v36, 1
	s_and_saveexec_b64 s[6:7], s[0:1]
	s_cbranch_execz .LBB279_250
; %bb.247:                              ;   in Loop: Header=BB279_220 Depth=1
	v_and_b32_e32 v32, 0x7f, v27
	v_cmp_ne_u32_e64 s[0:1], s37, v32
	v_mov_b32_e32 v36, 0x7fc02000
	s_and_saveexec_b64 s[22:23], s[0:1]
	s_cbranch_execz .LBB279_249
; %bb.248:                              ;   in Loop: Header=BB279_220 Depth=1
	v_and_b32_e32 v36, 7, v27
	v_ffbh_u32_e32 v36, v36
	v_min_u32_e32 v36, 32, v36
	v_subrev_u32_e32 v42, 28, v36
	v_cmp_gt_u32_e64 s[0:1], 8, v32
	v_lshrrev_b32_e32 v44, 3, v32
	v_sub_u32_e32 v36, 29, v36
	v_cndmask_b32_e64 v32, 0, v42, s[0:1]
	v_lshlrev_b64 v[42:43], v32, v[10:11]
	v_cndmask_b32_e64 v32, v44, v36, s[0:1]
	v_lshlrev_b32_e32 v36, 7, v42
	v_lshlrev_b32_e32 v42, 8, v27
	v_lshl_add_u32 v32, v32, 10, v13
	v_and_or_b32 v32, v42, s38, v32
	v_and_or_b32 v32, v36, s39, v32
	v_cvt_f32_f16_e32 v36, v32
.LBB279_249:                            ;   in Loop: Header=BB279_220 Depth=1
	s_or_b64 exec, exec, s[22:23]
.LBB279_250:                            ;   in Loop: Header=BB279_220 Depth=1
	s_or_b64 exec, exec, s[6:7]
.LBB279_251:                            ;   in Loop: Header=BB279_220 Depth=1
	s_or_b64 exec, exec, s[2:3]
	v_lshrrev_b16_e32 v10, 8, v10
	v_cmp_ne_u16_e64 s[0:1], 0, v10
	s_and_saveexec_b64 s[2:3], s[0:1]
	s_cbranch_execz .LBB279_257
; %bb.252:                              ;   in Loop: Header=BB279_220 Depth=1
	v_cmp_ne_u16_e64 s[0:1], s36, v10
	v_bfrev_b32_e32 v41, 1
	s_and_saveexec_b64 s[6:7], s[0:1]
	s_cbranch_execz .LBB279_256
; %bb.253:                              ;   in Loop: Header=BB279_220 Depth=1
	v_and_b32_e32 v32, 0x7f, v10
	v_cmp_ne_u32_e64 s[0:1], s37, v32
	v_mov_b32_e32 v41, 0x7fc02000
	s_and_saveexec_b64 s[22:23], s[0:1]
	s_cbranch_execz .LBB279_255
; %bb.254:                              ;   in Loop: Header=BB279_220 Depth=1
	v_and_b32_e32 v41, 7, v10
	v_ffbh_u32_e32 v42, v41
	v_min_u32_e32 v45, 32, v42
	v_subrev_u32_e32 v42, 28, v45
	v_lshlrev_b64 v[42:43], v42, v[10:11]
	v_lshrrev_b32_e32 v44, 3, v32
	v_sub_u32_e32 v43, 29, v45
	v_cmp_gt_u32_e64 s[0:1], 8, v32
	v_cndmask_b32_e64 v32, v44, v43, s[0:1]
	v_and_b32_e32 v42, 7, v42
	v_lshlrev_b32_e32 v10, 8, v10
	v_lshl_add_u32 v32, v32, 10, v13
	v_cndmask_b32_e64 v41, v41, v42, s[0:1]
	v_and_or_b32 v10, v10, s38, v32
	v_lshl_or_b32 v10, v41, 7, v10
	v_cvt_f32_f16_e32 v41, v10
.LBB279_255:                            ;   in Loop: Header=BB279_220 Depth=1
	s_or_b64 exec, exec, s[22:23]
.LBB279_256:                            ;   in Loop: Header=BB279_220 Depth=1
	s_or_b64 exec, exec, s[6:7]
.LBB279_257:                            ;   in Loop: Header=BB279_220 Depth=1
	s_or_b64 exec, exec, s[2:3]
	v_lshrrev_b32_e32 v10, 16, v27
	v_cmp_ne_u16_sdwa s[0:1], v10, v11 src0_sel:BYTE_0 src1_sel:DWORD
	v_mov_b32_e32 v42, 0
	v_mov_b32_e32 v43, 0
	s_and_saveexec_b64 s[2:3], s[0:1]
	s_cbranch_execz .LBB279_263
; %bb.258:                              ;   in Loop: Header=BB279_220 Depth=1
	v_cmp_ne_u16_sdwa s[0:1], v10, s36 src0_sel:BYTE_0 src1_sel:DWORD
	v_bfrev_b32_e32 v43, 1
	s_and_saveexec_b64 s[6:7], s[0:1]
	s_cbranch_execz .LBB279_262
; %bb.259:                              ;   in Loop: Header=BB279_220 Depth=1
	v_bfe_u32 v32, v27, 16, 7
	v_cmp_ne_u32_e64 s[0:1], s37, v32
	v_mov_b32_e32 v43, 0x7fc02000
	s_and_saveexec_b64 s[22:23], s[0:1]
	s_cbranch_execz .LBB279_261
; %bb.260:                              ;   in Loop: Header=BB279_220 Depth=1
	v_and_b32_e32 v43, 7, v10
	v_ffbh_u32_e32 v44, v43
	v_min_u32_e32 v47, 32, v44
	v_subrev_u32_e32 v44, 28, v47
	v_lshlrev_b64 v[44:45], v44, v[10:11]
	v_lshrrev_b32_e32 v46, 3, v32
	v_sub_u32_e32 v45, 29, v47
	v_cmp_gt_u32_e64 s[0:1], 8, v32
	v_cndmask_b32_e64 v32, v46, v45, s[0:1]
	v_and_b32_e32 v44, 7, v44
	v_lshlrev_b32_e32 v10, 8, v10
	v_lshl_add_u32 v32, v32, 10, v13
	v_cndmask_b32_e64 v43, v43, v44, s[0:1]
	v_and_or_b32 v10, v10, s38, v32
	v_lshl_or_b32 v10, v43, 7, v10
	v_cvt_f32_f16_e32 v43, v10
.LBB279_261:                            ;   in Loop: Header=BB279_220 Depth=1
	s_or_b64 exec, exec, s[22:23]
.LBB279_262:                            ;   in Loop: Header=BB279_220 Depth=1
	s_or_b64 exec, exec, s[6:7]
.LBB279_263:                            ;   in Loop: Header=BB279_220 Depth=1
	s_or_b64 exec, exec, s[2:3]
	v_cmp_lt_u64_e64 s[0:1], s[18:19], v[26:27]
	s_and_saveexec_b64 s[2:3], s[0:1]
	s_cbranch_execz .LBB279_269
; %bb.264:                              ;   in Loop: Header=BB279_220 Depth=1
	v_lshrrev_b32_e32 v10, 24, v27
	v_cmp_ne_u32_e64 s[0:1], s36, v10
	v_bfrev_b32_e32 v42, 1
	s_and_saveexec_b64 s[6:7], s[0:1]
	s_cbranch_execz .LBB279_268
; %bb.265:                              ;   in Loop: Header=BB279_220 Depth=1
	v_and_b32_e32 v26, 0x7f, v10
	v_cmp_ne_u32_e64 s[0:1], s37, v26
	v_mov_b32_e32 v42, 0x7fc02000
	s_and_saveexec_b64 s[22:23], s[0:1]
	s_cbranch_execz .LBB279_267
; %bb.266:                              ;   in Loop: Header=BB279_220 Depth=1
	v_and_b32_e32 v27, 7, v10
	v_ffbh_u32_e32 v42, v27
	v_min_u32_e32 v42, 32, v42
	v_lshrrev_b32_e32 v32, 3, v26
	v_subrev_u32_e32 v44, 28, v42
	v_sub_u32_e32 v42, 29, v42
	v_cmp_gt_u32_e64 s[0:1], 8, v26
	v_lshlrev_b64 v[44:45], v44, v[10:11]
	v_cndmask_b32_e64 v26, v32, v42, s[0:1]
	v_and_b32_e32 v44, 7, v44
	v_lshlrev_b32_e32 v10, 8, v10
	v_lshl_add_u32 v26, v26, 10, v13
	v_cndmask_b32_e64 v27, v27, v44, s[0:1]
	v_and_or_b32 v10, v10, s38, v26
	v_lshl_or_b32 v10, v27, 7, v10
	v_cvt_f32_f16_e32 v42, v10
.LBB279_267:                            ;   in Loop: Header=BB279_220 Depth=1
	s_or_b64 exec, exec, s[22:23]
.LBB279_268:                            ;   in Loop: Header=BB279_220 Depth=1
	s_or_b64 exec, exec, s[6:7]
.LBB279_269:                            ;   in Loop: Header=BB279_220 Depth=1
	s_or_b64 exec, exec, s[2:3]
	s_waitcnt vmcnt(0)
	v_pk_mul_f32 v[24:25], v[20:21], v[24:25] op_sel_hi:[0,1]
	v_pk_mul_f32 v[22:23], v[20:21], v[22:23] op_sel_hi:[0,1]
	v_cvt_f16_f32_e32 v10, v25
	v_cvt_f16_f32_e32 v24, v24
	;; [unrolled: 1-line block ×4, first 2 shown]
	v_add_u32_e32 v32, v30, v1
	v_pack_b32_f16 v24, v24, v10
	v_cmp_eq_u32_e64 s[0:1], s40, v6
	v_pack_b32_f16 v22, v22, v23
	v_fma_mixlo_f16 v23, v20, v41, 0
	v_perm_b32 v10, v22, v24, s43
	v_perm_b32 v22, v22, v24, s44
	v_lshlrev_b32_e32 v23, 16, v23
	v_fma_mixlo_f16 v24, v20, v36, 0
	v_or_b32_sdwa v23, v23, v24 dst_sel:DWORD dst_unused:UNUSED_PAD src0_sel:DWORD src1_sel:WORD_0
	v_fma_mixlo_f16 v24, v20, v43, 0
	v_fma_mixlo_f16 v20, v20, v42, 0
	v_lshlrev_b32_e32 v20, 16, v20
	v_or_b32_sdwa v20, v20, v24 dst_sel:DWORD dst_unused:UNUSED_PAD src0_sel:DWORD src1_sel:WORD_0
	s_and_saveexec_b64 s[6:7], s[0:1]
	s_cbranch_execz .LBB279_271
; %bb.270:                              ;   in Loop: Header=BB279_220 Depth=1
	v_add_u32_e32 v25, 1, v32
	v_lshrrev_b32_e32 v26, 16, v22
	v_cmp_gt_i32_e64 s[2:3], s41, v25
	v_cndmask_b32_e64 v25, 0, v26, s[2:3]
	v_cmp_gt_i32_e64 s[2:3], s33, v32
	v_cndmask_b32_e64 v22, 0, v22, s[2:3]
	v_perm_b32 v22, v25, v22, s45
	v_or_b32_e32 v25, 3, v32
	v_or_b32_e32 v26, 2, v32
	v_lshrrev_b32_e32 v27, 16, v10
	v_cmp_gt_i32_e64 s[2:3], s41, v25
	v_cndmask_b32_e64 v25, 0, v27, s[2:3]
	v_cmp_gt_i32_e64 s[2:3], s33, v26
	v_cndmask_b32_e64 v10, 0, v10, s[2:3]
	v_perm_b32 v10, v25, v10, s45
	v_or_b32_e32 v25, 5, v32
	v_or_b32_e32 v26, 4, v32
	;; [unrolled: 8-line block ×3, first 2 shown]
	v_lshrrev_b32_e32 v20, 16, v20
	v_cmp_gt_i32_e64 s[2:3], s41, v25
	v_cndmask_b32_e64 v20, 0, v20, s[2:3]
	v_cmp_gt_i32_e64 s[2:3], s33, v26
	v_cndmask_b32_e64 v24, 0, v24, s[2:3]
	v_perm_b32 v20, v20, v24, s45
.LBB279_271:                            ;   in Loop: Header=BB279_220 Depth=1
	s_or_b64 exec, exec, s[6:7]
	v_and_b32_e32 v21, 0xffff, v21
	v_lshl_or_b32 v36, v33, 16, v21
	v_and_b32_e32 v21, 0xffff, v34
	v_lshl_or_b32 v35, v35, 16, v21
	;; [unrolled: 2-line block ×4, first 2 shown]
	;;#ASMSTART
	v_pk_mul_f16 v21, v36, v22;

	;;#ASMEND
	;;#ASMSTART
	v_pk_mul_f16 v10, v35, v10;

	;;#ASMEND
	;; [unrolled: 4-line block ×4, first 2 shown]
	;;#ASMSTART
	v_pk_add_f16 v10, v21, v10;

	;;#ASMEND
	;;#ASMSTART
	v_pk_add_f16 v10, v10, v22;

	;;#ASMEND
	;; [unrolled: 4-line block ×3, first 2 shown]
	v_lshrrev_b32_e32 v20, 16, v10
	v_and_b32_e32 v10, 0xffff, v10
	;;#ASMSTART
	v_cvt_f32_f16 v21, v10;
	;;#ASMEND
	;;#ASMSTART
	v_cvt_f32_f16 v37, v20;
	;;#ASMEND
	global_load_dwordx2 v[26:27], v[18:19], off offset:512
	global_load_dword v20, v11, s[14:15]
	v_mov_b32_e32 v24, 0
	v_mov_b32_e32 v22, 0
	s_waitcnt vmcnt(1)
	v_cmp_ne_u16_sdwa s[2:3], v26, v11 src0_sel:BYTE_0 src1_sel:DWORD
	s_and_saveexec_b64 s[6:7], s[2:3]
	s_cbranch_execz .LBB279_277
; %bb.272:                              ;   in Loop: Header=BB279_220 Depth=1
	v_cmp_ne_u16_sdwa s[2:3], v26, s36 src0_sel:BYTE_0 src1_sel:DWORD
	v_bfrev_b32_e32 v22, 1
	s_and_saveexec_b64 s[22:23], s[2:3]
	s_cbranch_execz .LBB279_276
; %bb.273:                              ;   in Loop: Header=BB279_220 Depth=1
	v_and_b32_e32 v10, 0x7f, v26
	v_cmp_ne_u32_e64 s[2:3], s37, v10
	v_mov_b32_e32 v22, 0x7fc02000
	s_and_saveexec_b64 s[24:25], s[2:3]
	s_cbranch_execz .LBB279_275
; %bb.274:                              ;   in Loop: Header=BB279_220 Depth=1
	v_and_b32_e32 v22, 7, v26
	v_ffbh_u32_e32 v22, v22
	v_min_u32_e32 v22, 32, v22
	v_subrev_u32_e32 v23, 28, v22
	v_cmp_gt_u32_e64 s[2:3], 8, v10
	v_lshrrev_b32_e32 v25, 3, v10
	v_sub_u32_e32 v38, 29, v22
	v_cndmask_b32_e64 v10, 0, v23, s[2:3]
	v_lshlrev_b64 v[22:23], v10, v[26:27]
	v_cndmask_b32_e64 v10, v25, v38, s[2:3]
	v_lshlrev_b32_e32 v23, 8, v26
	v_lshl_add_u32 v10, v10, 10, v13
	v_lshlrev_b32_e32 v22, 7, v22
	v_and_or_b32 v10, v23, s38, v10
	v_and_or_b32 v10, v22, s39, v10
	v_cvt_f32_f16_e32 v22, v10
.LBB279_275:                            ;   in Loop: Header=BB279_220 Depth=1
	s_or_b64 exec, exec, s[24:25]
.LBB279_276:                            ;   in Loop: Header=BB279_220 Depth=1
	s_or_b64 exec, exec, s[22:23]
.LBB279_277:                            ;   in Loop: Header=BB279_220 Depth=1
	s_or_b64 exec, exec, s[6:7]
	v_lshrrev_b16_e32 v10, 8, v26
	v_cmp_ne_u16_e64 s[2:3], 0, v10
	s_and_saveexec_b64 s[6:7], s[2:3]
	s_cbranch_execz .LBB279_283
; %bb.278:                              ;   in Loop: Header=BB279_220 Depth=1
	v_cmp_ne_u16_e64 s[2:3], s36, v10
	v_bfrev_b32_e32 v24, 1
	s_and_saveexec_b64 s[22:23], s[2:3]
	s_cbranch_execz .LBB279_282
; %bb.279:                              ;   in Loop: Header=BB279_220 Depth=1
	v_and_b32_e32 v23, 0x7f, v10
	v_cmp_ne_u32_e64 s[2:3], s37, v23
	v_mov_b32_e32 v24, 0x7fc02000
	s_and_saveexec_b64 s[24:25], s[2:3]
	s_cbranch_execz .LBB279_281
; %bb.280:                              ;   in Loop: Header=BB279_220 Depth=1
	v_and_b32_e32 v38, 7, v10
	v_ffbh_u32_e32 v24, v38
	v_min_u32_e32 v40, 32, v24
	v_subrev_u32_e32 v24, 28, v40
	v_lshlrev_b64 v[24:25], v24, v[10:11]
	v_lshrrev_b32_e32 v39, 3, v23
	v_sub_u32_e32 v25, 29, v40
	v_cmp_gt_u32_e64 s[2:3], 8, v23
	v_cndmask_b32_e64 v23, v39, v25, s[2:3]
	v_and_b32_e32 v24, 7, v24
	v_lshlrev_b32_e32 v10, 8, v10
	v_lshl_add_u32 v23, v23, 10, v13
	v_cndmask_b32_e64 v24, v38, v24, s[2:3]
	v_and_or_b32 v10, v10, s38, v23
	v_lshl_or_b32 v10, v24, 7, v10
	v_cvt_f32_f16_e32 v24, v10
.LBB279_281:                            ;   in Loop: Header=BB279_220 Depth=1
	s_or_b64 exec, exec, s[24:25]
.LBB279_282:                            ;   in Loop: Header=BB279_220 Depth=1
	s_or_b64 exec, exec, s[22:23]
.LBB279_283:                            ;   in Loop: Header=BB279_220 Depth=1
	s_or_b64 exec, exec, s[6:7]
	v_lshrrev_b32_e32 v10, 16, v26
	v_cmp_ne_u16_sdwa s[2:3], v10, v11 src0_sel:BYTE_0 src1_sel:DWORD
	v_mov_b32_e32 v25, 0
	v_mov_b32_e32 v23, 0
	s_and_saveexec_b64 s[6:7], s[2:3]
	s_cbranch_execz .LBB279_289
; %bb.284:                              ;   in Loop: Header=BB279_220 Depth=1
	v_cmp_ne_u16_sdwa s[2:3], v10, s36 src0_sel:BYTE_0 src1_sel:DWORD
	v_bfrev_b32_e32 v23, 1
	s_and_saveexec_b64 s[22:23], s[2:3]
	s_cbranch_execz .LBB279_288
; %bb.285:                              ;   in Loop: Header=BB279_220 Depth=1
	v_bfe_u32 v38, v26, 16, 7
	v_cmp_ne_u32_e64 s[2:3], s37, v38
	v_mov_b32_e32 v23, 0x7fc02000
	s_and_saveexec_b64 s[24:25], s[2:3]
	s_cbranch_execz .LBB279_287
; %bb.286:                              ;   in Loop: Header=BB279_220 Depth=1
	v_and_b32_e32 v23, 7, v10
	v_ffbh_u32_e32 v40, v23
	v_min_u32_e32 v42, 32, v40
	v_subrev_u32_e32 v40, 28, v42
	v_lshlrev_b64 v[40:41], v40, v[10:11]
	v_lshrrev_b32_e32 v39, 3, v38
	v_sub_u32_e32 v41, 29, v42
	v_cmp_gt_u32_e64 s[2:3], 8, v38
	v_cndmask_b32_e64 v38, v39, v41, s[2:3]
	v_and_b32_e32 v40, 7, v40
	v_lshlrev_b32_e32 v10, 8, v10
	v_lshl_add_u32 v38, v38, 10, v13
	v_cndmask_b32_e64 v23, v23, v40, s[2:3]
	v_and_or_b32 v10, v10, s38, v38
	v_lshl_or_b32 v10, v23, 7, v10
	v_cvt_f32_f16_e32 v23, v10
.LBB279_287:                            ;   in Loop: Header=BB279_220 Depth=1
	s_or_b64 exec, exec, s[24:25]
.LBB279_288:                            ;   in Loop: Header=BB279_220 Depth=1
	s_or_b64 exec, exec, s[22:23]
.LBB279_289:                            ;   in Loop: Header=BB279_220 Depth=1
	s_or_b64 exec, exec, s[6:7]
	v_cmp_lt_u32_e64 s[2:3], s19, v26
	s_and_saveexec_b64 s[6:7], s[2:3]
	s_cbranch_execz .LBB279_295
; %bb.290:                              ;   in Loop: Header=BB279_220 Depth=1
	v_lshrrev_b32_e32 v10, 24, v26
	v_cmp_ne_u32_e64 s[2:3], s36, v10
	v_bfrev_b32_e32 v25, 1
	s_and_saveexec_b64 s[22:23], s[2:3]
	s_cbranch_execz .LBB279_294
; %bb.291:                              ;   in Loop: Header=BB279_220 Depth=1
	v_and_b32_e32 v38, 0x7f, v10
	v_cmp_ne_u32_e64 s[2:3], s37, v38
	v_mov_b32_e32 v25, 0x7fc02000
	s_and_saveexec_b64 s[24:25], s[2:3]
	s_cbranch_execz .LBB279_293
; %bb.292:                              ;   in Loop: Header=BB279_220 Depth=1
	v_and_b32_e32 v25, 7, v10
	v_ffbh_u32_e32 v40, v25
	v_min_u32_e32 v42, 32, v40
	v_subrev_u32_e32 v40, 28, v42
	v_lshlrev_b64 v[40:41], v40, v[10:11]
	v_lshrrev_b32_e32 v39, 3, v38
	v_sub_u32_e32 v41, 29, v42
	v_cmp_gt_u32_e64 s[2:3], 8, v38
	v_cndmask_b32_e64 v38, v39, v41, s[2:3]
	v_and_b32_e32 v40, 7, v40
	v_lshlrev_b32_e32 v10, 8, v10
	v_lshl_add_u32 v38, v38, 10, v13
	v_cndmask_b32_e64 v25, v25, v40, s[2:3]
	v_and_or_b32 v10, v10, s38, v38
	v_lshl_or_b32 v10, v25, 7, v10
	v_cvt_f32_f16_e32 v25, v10
.LBB279_293:                            ;   in Loop: Header=BB279_220 Depth=1
	s_or_b64 exec, exec, s[24:25]
.LBB279_294:                            ;   in Loop: Header=BB279_220 Depth=1
	s_or_b64 exec, exec, s[22:23]
.LBB279_295:                            ;   in Loop: Header=BB279_220 Depth=1
	s_or_b64 exec, exec, s[6:7]
	v_mov_b32_e32 v10, v27
	v_cmp_ne_u16_sdwa s[2:3], v27, v11 src0_sel:BYTE_0 src1_sel:DWORD
	v_mov_b32_e32 v39, 0
	v_mov_b32_e32 v38, 0
	s_and_saveexec_b64 s[6:7], s[2:3]
	s_cbranch_execz .LBB279_301
; %bb.296:                              ;   in Loop: Header=BB279_220 Depth=1
	v_cmp_ne_u16_sdwa s[2:3], v27, s36 src0_sel:BYTE_0 src1_sel:DWORD
	v_bfrev_b32_e32 v38, 1
	s_and_saveexec_b64 s[22:23], s[2:3]
	s_cbranch_execz .LBB279_300
; %bb.297:                              ;   in Loop: Header=BB279_220 Depth=1
	v_and_b32_e32 v40, 0x7f, v27
	v_cmp_ne_u32_e64 s[2:3], s37, v40
	v_mov_b32_e32 v38, 0x7fc02000
	s_and_saveexec_b64 s[24:25], s[2:3]
	s_cbranch_execz .LBB279_299
; %bb.298:                              ;   in Loop: Header=BB279_220 Depth=1
	v_and_b32_e32 v38, 7, v27
	v_ffbh_u32_e32 v38, v38
	v_min_u32_e32 v38, 32, v38
	v_subrev_u32_e32 v41, 28, v38
	v_cmp_gt_u32_e64 s[2:3], 8, v40
	v_lshrrev_b32_e32 v42, 3, v40
	v_sub_u32_e32 v38, 29, v38
	v_cndmask_b32_e64 v40, 0, v41, s[2:3]
	v_lshlrev_b64 v[40:41], v40, v[10:11]
	v_cndmask_b32_e64 v38, v42, v38, s[2:3]
	v_lshlrev_b32_e32 v41, 8, v27
	v_lshl_add_u32 v38, v38, 10, v13
	v_lshlrev_b32_e32 v40, 7, v40
	v_and_or_b32 v38, v41, s38, v38
	v_and_or_b32 v38, v40, s39, v38
	v_cvt_f32_f16_e32 v38, v38
.LBB279_299:                            ;   in Loop: Header=BB279_220 Depth=1
	s_or_b64 exec, exec, s[24:25]
.LBB279_300:                            ;   in Loop: Header=BB279_220 Depth=1
	s_or_b64 exec, exec, s[22:23]
.LBB279_301:                            ;   in Loop: Header=BB279_220 Depth=1
	s_or_b64 exec, exec, s[6:7]
	v_lshrrev_b16_e32 v10, 8, v10
	v_cmp_ne_u16_e64 s[2:3], 0, v10
	s_and_saveexec_b64 s[6:7], s[2:3]
	s_cbranch_execz .LBB279_307
; %bb.302:                              ;   in Loop: Header=BB279_220 Depth=1
	v_cmp_ne_u16_e64 s[2:3], s36, v10
	v_bfrev_b32_e32 v39, 1
	s_and_saveexec_b64 s[22:23], s[2:3]
	s_cbranch_execz .LBB279_306
; %bb.303:                              ;   in Loop: Header=BB279_220 Depth=1
	v_and_b32_e32 v40, 0x7f, v10
	v_cmp_ne_u32_e64 s[2:3], s37, v40
	v_mov_b32_e32 v39, 0x7fc02000
	s_and_saveexec_b64 s[24:25], s[2:3]
	s_cbranch_execz .LBB279_305
; %bb.304:                              ;   in Loop: Header=BB279_220 Depth=1
	v_and_b32_e32 v39, 7, v10
	v_ffbh_u32_e32 v42, v39
	v_min_u32_e32 v44, 32, v42
	v_subrev_u32_e32 v42, 28, v44
	v_lshlrev_b64 v[42:43], v42, v[10:11]
	v_lshrrev_b32_e32 v41, 3, v40
	v_sub_u32_e32 v43, 29, v44
	v_cmp_gt_u32_e64 s[2:3], 8, v40
	v_cndmask_b32_e64 v40, v41, v43, s[2:3]
	v_and_b32_e32 v42, 7, v42
	v_lshlrev_b32_e32 v10, 8, v10
	v_lshl_add_u32 v40, v40, 10, v13
	v_cndmask_b32_e64 v39, v39, v42, s[2:3]
	v_and_or_b32 v10, v10, s38, v40
	v_lshl_or_b32 v10, v39, 7, v10
	v_cvt_f32_f16_e32 v39, v10
.LBB279_305:                            ;   in Loop: Header=BB279_220 Depth=1
	s_or_b64 exec, exec, s[24:25]
.LBB279_306:                            ;   in Loop: Header=BB279_220 Depth=1
	s_or_b64 exec, exec, s[22:23]
.LBB279_307:                            ;   in Loop: Header=BB279_220 Depth=1
	s_or_b64 exec, exec, s[6:7]
	v_lshrrev_b32_e32 v10, 16, v27
	v_cmp_ne_u16_sdwa s[2:3], v10, v11 src0_sel:BYTE_0 src1_sel:DWORD
	v_mov_b32_e32 v40, 0
	v_mov_b32_e32 v41, 0
	s_and_saveexec_b64 s[6:7], s[2:3]
	s_cbranch_execz .LBB279_313
; %bb.308:                              ;   in Loop: Header=BB279_220 Depth=1
	v_cmp_ne_u16_sdwa s[2:3], v10, s36 src0_sel:BYTE_0 src1_sel:DWORD
	v_bfrev_b32_e32 v41, 1
	s_and_saveexec_b64 s[22:23], s[2:3]
	s_cbranch_execz .LBB279_312
; %bb.309:                              ;   in Loop: Header=BB279_220 Depth=1
	v_bfe_u32 v42, v27, 16, 7
	v_cmp_ne_u32_e64 s[2:3], s37, v42
	v_mov_b32_e32 v41, 0x7fc02000
	s_and_saveexec_b64 s[24:25], s[2:3]
	s_cbranch_execz .LBB279_311
; %bb.310:                              ;   in Loop: Header=BB279_220 Depth=1
	v_and_b32_e32 v41, 7, v10
	v_ffbh_u32_e32 v44, v41
	v_min_u32_e32 v46, 32, v44
	v_subrev_u32_e32 v44, 28, v46
	v_lshlrev_b64 v[44:45], v44, v[10:11]
	v_lshrrev_b32_e32 v43, 3, v42
	v_sub_u32_e32 v45, 29, v46
	v_cmp_gt_u32_e64 s[2:3], 8, v42
	v_cndmask_b32_e64 v42, v43, v45, s[2:3]
	v_and_b32_e32 v44, 7, v44
	v_lshlrev_b32_e32 v10, 8, v10
	v_lshl_add_u32 v42, v42, 10, v13
	v_cndmask_b32_e64 v41, v41, v44, s[2:3]
	v_and_or_b32 v10, v10, s38, v42
	v_lshl_or_b32 v10, v41, 7, v10
	v_cvt_f32_f16_e32 v41, v10
.LBB279_311:                            ;   in Loop: Header=BB279_220 Depth=1
	s_or_b64 exec, exec, s[24:25]
.LBB279_312:                            ;   in Loop: Header=BB279_220 Depth=1
	s_or_b64 exec, exec, s[22:23]
.LBB279_313:                            ;   in Loop: Header=BB279_220 Depth=1
	s_or_b64 exec, exec, s[6:7]
	v_cmp_lt_u64_e64 s[2:3], s[18:19], v[26:27]
	s_and_saveexec_b64 s[6:7], s[2:3]
	s_cbranch_execz .LBB279_319
; %bb.314:                              ;   in Loop: Header=BB279_220 Depth=1
	v_lshrrev_b32_e32 v10, 24, v27
	v_cmp_ne_u32_e64 s[2:3], s36, v10
	v_bfrev_b32_e32 v40, 1
	s_and_saveexec_b64 s[22:23], s[2:3]
	s_cbranch_execz .LBB279_318
; %bb.315:                              ;   in Loop: Header=BB279_220 Depth=1
	v_and_b32_e32 v26, 0x7f, v10
	v_cmp_ne_u32_e64 s[2:3], s37, v26
	v_mov_b32_e32 v40, 0x7fc02000
	s_and_saveexec_b64 s[24:25], s[2:3]
	s_cbranch_execz .LBB279_317
; %bb.316:                              ;   in Loop: Header=BB279_220 Depth=1
	v_and_b32_e32 v27, 7, v10
	v_ffbh_u32_e32 v42, v27
	v_min_u32_e32 v44, 32, v42
	v_subrev_u32_e32 v42, 28, v44
	v_lshlrev_b64 v[42:43], v42, v[10:11]
	v_lshrrev_b32_e32 v40, 3, v26
	v_sub_u32_e32 v43, 29, v44
	v_cmp_gt_u32_e64 s[2:3], 8, v26
	v_cndmask_b32_e64 v26, v40, v43, s[2:3]
	v_and_b32_e32 v42, 7, v42
	v_lshlrev_b32_e32 v10, 8, v10
	v_lshl_add_u32 v26, v26, 10, v13
	v_cndmask_b32_e64 v27, v27, v42, s[2:3]
	v_and_or_b32 v10, v10, s38, v26
	v_lshl_or_b32 v10, v27, 7, v10
	v_cvt_f32_f16_e32 v40, v10
.LBB279_317:                            ;   in Loop: Header=BB279_220 Depth=1
	s_or_b64 exec, exec, s[24:25]
.LBB279_318:                            ;   in Loop: Header=BB279_220 Depth=1
	s_or_b64 exec, exec, s[22:23]
.LBB279_319:                            ;   in Loop: Header=BB279_220 Depth=1
	s_or_b64 exec, exec, s[6:7]
	s_waitcnt vmcnt(0)
	v_pk_mul_f32 v[24:25], v[20:21], v[24:25] op_sel_hi:[0,1]
	v_pk_mul_f32 v[22:23], v[20:21], v[22:23] op_sel_hi:[0,1]
	v_cvt_f16_f32_e32 v10, v25
	v_cvt_f16_f32_e32 v24, v24
	v_cvt_f16_f32_e32 v23, v23
	v_cvt_f16_f32_e32 v22, v22
	v_pack_b32_f16 v24, v24, v10
	v_pack_b32_f16 v22, v22, v23
	v_fma_mixlo_f16 v23, v20, v39, 0
	v_perm_b32 v10, v22, v24, s43
	v_perm_b32 v22, v22, v24, s44
	v_lshlrev_b32_e32 v23, 16, v23
	v_fma_mixlo_f16 v24, v20, v38, 0
	v_or_b32_sdwa v23, v23, v24 dst_sel:DWORD dst_unused:UNUSED_PAD src0_sel:DWORD src1_sel:WORD_0
	v_fma_mixlo_f16 v24, v20, v41, 0
	v_fma_mixlo_f16 v20, v20, v40, 0
	v_lshlrev_b32_e32 v20, 16, v20
	v_or_b32_sdwa v20, v20, v24 dst_sel:DWORD dst_unused:UNUSED_PAD src0_sel:DWORD src1_sel:WORD_0
	s_and_saveexec_b64 s[6:7], s[0:1]
	s_cbranch_execz .LBB279_321
; %bb.320:                              ;   in Loop: Header=BB279_220 Depth=1
	v_add_u32_e32 v25, 1, v32
	v_lshrrev_b32_e32 v26, 16, v22
	v_cmp_gt_i32_e64 s[2:3], s41, v25
	v_cndmask_b32_e64 v25, 0, v26, s[2:3]
	v_cmp_gt_i32_e64 s[2:3], s33, v32
	v_cndmask_b32_e64 v22, 0, v22, s[2:3]
	v_perm_b32 v22, v25, v22, s45
	v_or_b32_e32 v25, 3, v32
	v_or_b32_e32 v26, 2, v32
	v_lshrrev_b32_e32 v27, 16, v10
	v_cmp_gt_i32_e64 s[2:3], s41, v25
	v_cndmask_b32_e64 v25, 0, v27, s[2:3]
	v_cmp_gt_i32_e64 s[2:3], s33, v26
	v_cndmask_b32_e64 v10, 0, v10, s[2:3]
	v_perm_b32 v10, v25, v10, s45
	v_or_b32_e32 v25, 5, v32
	v_or_b32_e32 v26, 4, v32
	;; [unrolled: 8-line block ×3, first 2 shown]
	v_lshrrev_b32_e32 v20, 16, v20
	v_cmp_gt_i32_e64 s[2:3], s41, v25
	v_cndmask_b32_e64 v20, 0, v20, s[2:3]
	v_cmp_gt_i32_e64 s[2:3], s33, v26
	v_cndmask_b32_e64 v24, 0, v24, s[2:3]
	v_perm_b32 v20, v20, v24, s45
.LBB279_321:                            ;   in Loop: Header=BB279_220 Depth=1
	s_or_b64 exec, exec, s[6:7]
	;;#ASMSTART
	v_pk_mul_f16 v22, v36, v22;

	;;#ASMEND
	;;#ASMSTART
	v_pk_mul_f16 v10, v35, v10;

	;;#ASMEND
	;; [unrolled: 4-line block ×4, first 2 shown]
	;;#ASMSTART
	v_pk_add_f16 v10, v22, v10;

	;;#ASMEND
	;;#ASMSTART
	v_pk_add_f16 v10, v10, v23;

	;;#ASMEND
	;; [unrolled: 4-line block ×3, first 2 shown]
	v_lshrrev_b32_e32 v20, 16, v10
	v_and_b32_e32 v10, 0xffff, v10
	;;#ASMSTART
	v_cvt_f32_f16 v26, v10;
	;;#ASMEND
	;;#ASMSTART
	v_cvt_f32_f16 v27, v20;
	;;#ASMEND
	global_load_dwordx2 v[24:25], v[18:19], off offset:1024
	global_load_dword v20, v11, s[14:15]
	v_mov_b32_e32 v22, 0
	v_mov_b32_e32 v18, 0
	s_waitcnt vmcnt(1)
	v_cmp_ne_u16_sdwa s[2:3], v24, v11 src0_sel:BYTE_0 src1_sel:DWORD
	s_and_saveexec_b64 s[6:7], s[2:3]
	s_cbranch_execz .LBB279_327
; %bb.322:                              ;   in Loop: Header=BB279_220 Depth=1
	v_cmp_ne_u16_sdwa s[2:3], v24, s36 src0_sel:BYTE_0 src1_sel:DWORD
	v_bfrev_b32_e32 v18, 1
	s_and_saveexec_b64 s[22:23], s[2:3]
	s_cbranch_execz .LBB279_326
; %bb.323:                              ;   in Loop: Header=BB279_220 Depth=1
	v_and_b32_e32 v10, 0x7f, v24
	v_cmp_ne_u32_e64 s[2:3], s37, v10
	v_mov_b32_e32 v18, 0x7fc02000
	s_and_saveexec_b64 s[24:25], s[2:3]
	s_cbranch_execz .LBB279_325
; %bb.324:                              ;   in Loop: Header=BB279_220 Depth=1
	v_and_b32_e32 v18, 7, v24
	v_ffbh_u32_e32 v18, v18
	v_min_u32_e32 v18, 32, v18
	v_subrev_u32_e32 v19, 28, v18
	v_cmp_gt_u32_e64 s[2:3], 8, v10
	v_lshrrev_b32_e32 v23, 3, v10
	v_sub_u32_e32 v38, 29, v18
	v_cndmask_b32_e64 v10, 0, v19, s[2:3]
	v_lshlrev_b64 v[18:19], v10, v[24:25]
	v_cndmask_b32_e64 v10, v23, v38, s[2:3]
	v_lshlrev_b32_e32 v19, 8, v24
	v_lshl_add_u32 v10, v10, 10, v13
	v_lshlrev_b32_e32 v18, 7, v18
	v_and_or_b32 v10, v19, s38, v10
	v_and_or_b32 v10, v18, s39, v10
	v_cvt_f32_f16_e32 v18, v10
.LBB279_325:                            ;   in Loop: Header=BB279_220 Depth=1
	s_or_b64 exec, exec, s[24:25]
.LBB279_326:                            ;   in Loop: Header=BB279_220 Depth=1
	s_or_b64 exec, exec, s[22:23]
.LBB279_327:                            ;   in Loop: Header=BB279_220 Depth=1
	s_or_b64 exec, exec, s[6:7]
	v_lshrrev_b16_e32 v10, 8, v24
	v_cmp_ne_u16_e64 s[2:3], 0, v10
	s_and_saveexec_b64 s[6:7], s[2:3]
	s_cbranch_execz .LBB279_333
; %bb.328:                              ;   in Loop: Header=BB279_220 Depth=1
	v_cmp_ne_u16_e64 s[2:3], s36, v10
	v_bfrev_b32_e32 v22, 1
	s_and_saveexec_b64 s[22:23], s[2:3]
	s_cbranch_execz .LBB279_332
; %bb.329:                              ;   in Loop: Header=BB279_220 Depth=1
	v_and_b32_e32 v19, 0x7f, v10
	v_cmp_ne_u32_e64 s[2:3], s37, v19
	v_mov_b32_e32 v22, 0x7fc02000
	s_and_saveexec_b64 s[24:25], s[2:3]
	s_cbranch_execz .LBB279_331
; %bb.330:                              ;   in Loop: Header=BB279_220 Depth=1
	v_and_b32_e32 v38, 7, v10
	v_ffbh_u32_e32 v22, v38
	v_min_u32_e32 v40, 32, v22
	v_subrev_u32_e32 v22, 28, v40
	v_lshlrev_b64 v[22:23], v22, v[10:11]
	v_lshrrev_b32_e32 v39, 3, v19
	v_sub_u32_e32 v23, 29, v40
	v_cmp_gt_u32_e64 s[2:3], 8, v19
	v_cndmask_b32_e64 v19, v39, v23, s[2:3]
	v_and_b32_e32 v22, 7, v22
	v_lshlrev_b32_e32 v10, 8, v10
	v_lshl_add_u32 v19, v19, 10, v13
	v_cndmask_b32_e64 v22, v38, v22, s[2:3]
	v_and_or_b32 v10, v10, s38, v19
	v_lshl_or_b32 v10, v22, 7, v10
	v_cvt_f32_f16_e32 v22, v10
.LBB279_331:                            ;   in Loop: Header=BB279_220 Depth=1
	s_or_b64 exec, exec, s[24:25]
.LBB279_332:                            ;   in Loop: Header=BB279_220 Depth=1
	s_or_b64 exec, exec, s[22:23]
.LBB279_333:                            ;   in Loop: Header=BB279_220 Depth=1
	s_or_b64 exec, exec, s[6:7]
	v_lshrrev_b32_e32 v10, 16, v24
	v_cmp_ne_u16_sdwa s[2:3], v10, v11 src0_sel:BYTE_0 src1_sel:DWORD
	v_mov_b32_e32 v23, 0
	v_mov_b32_e32 v19, 0
	s_and_saveexec_b64 s[6:7], s[2:3]
	s_cbranch_execz .LBB279_339
; %bb.334:                              ;   in Loop: Header=BB279_220 Depth=1
	v_cmp_ne_u16_sdwa s[2:3], v10, s36 src0_sel:BYTE_0 src1_sel:DWORD
	v_bfrev_b32_e32 v19, 1
	s_and_saveexec_b64 s[22:23], s[2:3]
	s_cbranch_execz .LBB279_338
; %bb.335:                              ;   in Loop: Header=BB279_220 Depth=1
	v_bfe_u32 v38, v24, 16, 7
	v_cmp_ne_u32_e64 s[2:3], s37, v38
	v_mov_b32_e32 v19, 0x7fc02000
	s_and_saveexec_b64 s[24:25], s[2:3]
	s_cbranch_execz .LBB279_337
; %bb.336:                              ;   in Loop: Header=BB279_220 Depth=1
	v_and_b32_e32 v19, 7, v10
	v_ffbh_u32_e32 v40, v19
	v_min_u32_e32 v42, 32, v40
	v_subrev_u32_e32 v40, 28, v42
	v_lshlrev_b64 v[40:41], v40, v[10:11]
	v_lshrrev_b32_e32 v39, 3, v38
	v_sub_u32_e32 v41, 29, v42
	v_cmp_gt_u32_e64 s[2:3], 8, v38
	v_cndmask_b32_e64 v38, v39, v41, s[2:3]
	v_and_b32_e32 v40, 7, v40
	v_lshlrev_b32_e32 v10, 8, v10
	v_lshl_add_u32 v38, v38, 10, v13
	v_cndmask_b32_e64 v19, v19, v40, s[2:3]
	v_and_or_b32 v10, v10, s38, v38
	v_lshl_or_b32 v10, v19, 7, v10
	v_cvt_f32_f16_e32 v19, v10
.LBB279_337:                            ;   in Loop: Header=BB279_220 Depth=1
	s_or_b64 exec, exec, s[24:25]
.LBB279_338:                            ;   in Loop: Header=BB279_220 Depth=1
	s_or_b64 exec, exec, s[22:23]
.LBB279_339:                            ;   in Loop: Header=BB279_220 Depth=1
	s_or_b64 exec, exec, s[6:7]
	v_cmp_lt_u32_e64 s[2:3], s19, v24
	s_and_saveexec_b64 s[6:7], s[2:3]
	s_cbranch_execz .LBB279_345
; %bb.340:                              ;   in Loop: Header=BB279_220 Depth=1
	v_lshrrev_b32_e32 v10, 24, v24
	v_cmp_ne_u32_e64 s[2:3], s36, v10
	v_bfrev_b32_e32 v23, 1
	s_and_saveexec_b64 s[22:23], s[2:3]
	s_cbranch_execz .LBB279_344
; %bb.341:                              ;   in Loop: Header=BB279_220 Depth=1
	v_and_b32_e32 v38, 0x7f, v10
	v_cmp_ne_u32_e64 s[2:3], s37, v38
	v_mov_b32_e32 v23, 0x7fc02000
	s_and_saveexec_b64 s[24:25], s[2:3]
	s_cbranch_execz .LBB279_343
; %bb.342:                              ;   in Loop: Header=BB279_220 Depth=1
	v_and_b32_e32 v23, 7, v10
	v_ffbh_u32_e32 v40, v23
	v_min_u32_e32 v42, 32, v40
	v_subrev_u32_e32 v40, 28, v42
	v_lshlrev_b64 v[40:41], v40, v[10:11]
	v_lshrrev_b32_e32 v39, 3, v38
	v_sub_u32_e32 v41, 29, v42
	v_cmp_gt_u32_e64 s[2:3], 8, v38
	v_cndmask_b32_e64 v38, v39, v41, s[2:3]
	v_and_b32_e32 v40, 7, v40
	v_lshlrev_b32_e32 v10, 8, v10
	v_lshl_add_u32 v38, v38, 10, v13
	v_cndmask_b32_e64 v23, v23, v40, s[2:3]
	v_and_or_b32 v10, v10, s38, v38
	v_lshl_or_b32 v10, v23, 7, v10
	v_cvt_f32_f16_e32 v23, v10
.LBB279_343:                            ;   in Loop: Header=BB279_220 Depth=1
	s_or_b64 exec, exec, s[24:25]
.LBB279_344:                            ;   in Loop: Header=BB279_220 Depth=1
	s_or_b64 exec, exec, s[22:23]
.LBB279_345:                            ;   in Loop: Header=BB279_220 Depth=1
	s_or_b64 exec, exec, s[6:7]
	v_mov_b32_e32 v10, v25
	v_cmp_ne_u16_sdwa s[2:3], v25, v11 src0_sel:BYTE_0 src1_sel:DWORD
	v_mov_b32_e32 v39, 0
	v_mov_b32_e32 v38, 0
	s_and_saveexec_b64 s[6:7], s[2:3]
	s_cbranch_execz .LBB279_351
; %bb.346:                              ;   in Loop: Header=BB279_220 Depth=1
	v_cmp_ne_u16_sdwa s[2:3], v25, s36 src0_sel:BYTE_0 src1_sel:DWORD
	v_bfrev_b32_e32 v38, 1
	s_and_saveexec_b64 s[22:23], s[2:3]
	s_cbranch_execz .LBB279_350
; %bb.347:                              ;   in Loop: Header=BB279_220 Depth=1
	v_and_b32_e32 v40, 0x7f, v25
	v_cmp_ne_u32_e64 s[2:3], s37, v40
	v_mov_b32_e32 v38, 0x7fc02000
	s_and_saveexec_b64 s[24:25], s[2:3]
	s_cbranch_execz .LBB279_349
; %bb.348:                              ;   in Loop: Header=BB279_220 Depth=1
	v_and_b32_e32 v38, 7, v25
	v_ffbh_u32_e32 v38, v38
	v_min_u32_e32 v38, 32, v38
	v_subrev_u32_e32 v41, 28, v38
	v_cmp_gt_u32_e64 s[2:3], 8, v40
	v_lshrrev_b32_e32 v42, 3, v40
	v_sub_u32_e32 v38, 29, v38
	v_cndmask_b32_e64 v40, 0, v41, s[2:3]
	v_lshlrev_b64 v[40:41], v40, v[10:11]
	v_cndmask_b32_e64 v38, v42, v38, s[2:3]
	v_lshlrev_b32_e32 v41, 8, v25
	v_lshl_add_u32 v38, v38, 10, v13
	v_lshlrev_b32_e32 v40, 7, v40
	v_and_or_b32 v38, v41, s38, v38
	v_and_or_b32 v38, v40, s39, v38
	v_cvt_f32_f16_e32 v38, v38
.LBB279_349:                            ;   in Loop: Header=BB279_220 Depth=1
	s_or_b64 exec, exec, s[24:25]
.LBB279_350:                            ;   in Loop: Header=BB279_220 Depth=1
	s_or_b64 exec, exec, s[22:23]
.LBB279_351:                            ;   in Loop: Header=BB279_220 Depth=1
	s_or_b64 exec, exec, s[6:7]
	v_lshrrev_b16_e32 v10, 8, v10
	v_cmp_ne_u16_e64 s[2:3], 0, v10
	s_and_saveexec_b64 s[6:7], s[2:3]
	s_cbranch_execz .LBB279_357
; %bb.352:                              ;   in Loop: Header=BB279_220 Depth=1
	v_cmp_ne_u16_e64 s[2:3], s36, v10
	v_bfrev_b32_e32 v39, 1
	s_and_saveexec_b64 s[22:23], s[2:3]
	s_cbranch_execz .LBB279_356
; %bb.353:                              ;   in Loop: Header=BB279_220 Depth=1
	v_and_b32_e32 v40, 0x7f, v10
	v_cmp_ne_u32_e64 s[2:3], s37, v40
	v_mov_b32_e32 v39, 0x7fc02000
	s_and_saveexec_b64 s[24:25], s[2:3]
	s_cbranch_execz .LBB279_355
; %bb.354:                              ;   in Loop: Header=BB279_220 Depth=1
	v_and_b32_e32 v39, 7, v10
	v_ffbh_u32_e32 v42, v39
	v_min_u32_e32 v44, 32, v42
	v_subrev_u32_e32 v42, 28, v44
	v_lshlrev_b64 v[42:43], v42, v[10:11]
	v_lshrrev_b32_e32 v41, 3, v40
	v_sub_u32_e32 v43, 29, v44
	v_cmp_gt_u32_e64 s[2:3], 8, v40
	v_cndmask_b32_e64 v40, v41, v43, s[2:3]
	v_and_b32_e32 v42, 7, v42
	v_lshlrev_b32_e32 v10, 8, v10
	v_lshl_add_u32 v40, v40, 10, v13
	v_cndmask_b32_e64 v39, v39, v42, s[2:3]
	v_and_or_b32 v10, v10, s38, v40
	v_lshl_or_b32 v10, v39, 7, v10
	v_cvt_f32_f16_e32 v39, v10
.LBB279_355:                            ;   in Loop: Header=BB279_220 Depth=1
	s_or_b64 exec, exec, s[24:25]
.LBB279_356:                            ;   in Loop: Header=BB279_220 Depth=1
	s_or_b64 exec, exec, s[22:23]
.LBB279_357:                            ;   in Loop: Header=BB279_220 Depth=1
	s_or_b64 exec, exec, s[6:7]
	v_lshrrev_b32_e32 v10, 16, v25
	v_cmp_ne_u16_sdwa s[2:3], v10, v11 src0_sel:BYTE_0 src1_sel:DWORD
	v_mov_b32_e32 v40, 0
	v_mov_b32_e32 v41, 0
	s_and_saveexec_b64 s[6:7], s[2:3]
	s_cbranch_execz .LBB279_363
; %bb.358:                              ;   in Loop: Header=BB279_220 Depth=1
	v_cmp_ne_u16_sdwa s[2:3], v10, s36 src0_sel:BYTE_0 src1_sel:DWORD
	v_bfrev_b32_e32 v41, 1
	s_and_saveexec_b64 s[22:23], s[2:3]
	s_cbranch_execz .LBB279_362
; %bb.359:                              ;   in Loop: Header=BB279_220 Depth=1
	v_bfe_u32 v42, v25, 16, 7
	v_cmp_ne_u32_e64 s[2:3], s37, v42
	v_mov_b32_e32 v41, 0x7fc02000
	s_and_saveexec_b64 s[24:25], s[2:3]
	s_cbranch_execz .LBB279_361
; %bb.360:                              ;   in Loop: Header=BB279_220 Depth=1
	v_and_b32_e32 v41, 7, v10
	v_ffbh_u32_e32 v44, v41
	v_min_u32_e32 v46, 32, v44
	v_subrev_u32_e32 v44, 28, v46
	v_lshlrev_b64 v[44:45], v44, v[10:11]
	v_lshrrev_b32_e32 v43, 3, v42
	v_sub_u32_e32 v45, 29, v46
	v_cmp_gt_u32_e64 s[2:3], 8, v42
	v_cndmask_b32_e64 v42, v43, v45, s[2:3]
	v_and_b32_e32 v44, 7, v44
	v_lshlrev_b32_e32 v10, 8, v10
	v_lshl_add_u32 v42, v42, 10, v13
	v_cndmask_b32_e64 v41, v41, v44, s[2:3]
	v_and_or_b32 v10, v10, s38, v42
	v_lshl_or_b32 v10, v41, 7, v10
	v_cvt_f32_f16_e32 v41, v10
.LBB279_361:                            ;   in Loop: Header=BB279_220 Depth=1
	s_or_b64 exec, exec, s[24:25]
.LBB279_362:                            ;   in Loop: Header=BB279_220 Depth=1
	s_or_b64 exec, exec, s[22:23]
.LBB279_363:                            ;   in Loop: Header=BB279_220 Depth=1
	s_or_b64 exec, exec, s[6:7]
	v_cmp_lt_u64_e64 s[2:3], s[18:19], v[24:25]
	s_and_saveexec_b64 s[6:7], s[2:3]
	s_cbranch_execz .LBB279_369
; %bb.364:                              ;   in Loop: Header=BB279_220 Depth=1
	v_lshrrev_b32_e32 v10, 24, v25
	v_cmp_ne_u32_e64 s[2:3], s36, v10
	v_bfrev_b32_e32 v40, 1
	s_and_saveexec_b64 s[22:23], s[2:3]
	s_cbranch_execz .LBB279_368
; %bb.365:                              ;   in Loop: Header=BB279_220 Depth=1
	v_and_b32_e32 v24, 0x7f, v10
	v_cmp_ne_u32_e64 s[2:3], s37, v24
	v_mov_b32_e32 v40, 0x7fc02000
	s_and_saveexec_b64 s[24:25], s[2:3]
	s_cbranch_execz .LBB279_367
; %bb.366:                              ;   in Loop: Header=BB279_220 Depth=1
	v_and_b32_e32 v25, 7, v10
	v_ffbh_u32_e32 v42, v25
	v_min_u32_e32 v44, 32, v42
	v_subrev_u32_e32 v42, 28, v44
	v_lshlrev_b64 v[42:43], v42, v[10:11]
	v_lshrrev_b32_e32 v40, 3, v24
	v_sub_u32_e32 v43, 29, v44
	v_cmp_gt_u32_e64 s[2:3], 8, v24
	v_cndmask_b32_e64 v24, v40, v43, s[2:3]
	v_and_b32_e32 v42, 7, v42
	v_lshlrev_b32_e32 v10, 8, v10
	v_lshl_add_u32 v24, v24, 10, v13
	v_cndmask_b32_e64 v25, v25, v42, s[2:3]
	v_and_or_b32 v10, v10, s38, v24
	v_lshl_or_b32 v10, v25, 7, v10
	v_cvt_f32_f16_e32 v40, v10
.LBB279_367:                            ;   in Loop: Header=BB279_220 Depth=1
	s_or_b64 exec, exec, s[24:25]
.LBB279_368:                            ;   in Loop: Header=BB279_220 Depth=1
	s_or_b64 exec, exec, s[22:23]
.LBB279_369:                            ;   in Loop: Header=BB279_220 Depth=1
	s_or_b64 exec, exec, s[6:7]
	s_waitcnt vmcnt(0)
	v_pk_mul_f32 v[22:23], v[20:21], v[22:23] op_sel_hi:[0,1]
	v_pk_mul_f32 v[18:19], v[20:21], v[18:19] op_sel_hi:[0,1]
	v_cvt_f16_f32_e32 v10, v23
	v_cvt_f16_f32_e32 v22, v22
	;; [unrolled: 1-line block ×4, first 2 shown]
	v_pack_b32_f16 v22, v22, v10
	v_pack_b32_f16 v18, v18, v19
	v_fma_mixlo_f16 v19, v20, v39, 0
	v_perm_b32 v10, v18, v22, s43
	v_perm_b32 v18, v18, v22, s44
	v_lshlrev_b32_e32 v19, 16, v19
	v_fma_mixlo_f16 v22, v20, v38, 0
	v_or_b32_sdwa v19, v19, v22 dst_sel:DWORD dst_unused:UNUSED_PAD src0_sel:DWORD src1_sel:WORD_0
	v_fma_mixlo_f16 v22, v20, v41, 0
	v_fma_mixlo_f16 v20, v20, v40, 0
	v_lshlrev_b32_e32 v20, 16, v20
	v_or_b32_sdwa v20, v20, v22 dst_sel:DWORD dst_unused:UNUSED_PAD src0_sel:DWORD src1_sel:WORD_0
	s_and_saveexec_b64 s[6:7], s[0:1]
	s_cbranch_execz .LBB279_371
; %bb.370:                              ;   in Loop: Header=BB279_220 Depth=1
	v_add_u32_e32 v23, 1, v32
	v_lshrrev_b32_e32 v24, 16, v18
	v_cmp_gt_i32_e64 s[2:3], s41, v23
	v_cndmask_b32_e64 v23, 0, v24, s[2:3]
	v_cmp_gt_i32_e64 s[2:3], s33, v32
	v_cndmask_b32_e64 v18, 0, v18, s[2:3]
	v_perm_b32 v18, v23, v18, s45
	v_or_b32_e32 v23, 3, v32
	v_or_b32_e32 v24, 2, v32
	v_lshrrev_b32_e32 v25, 16, v10
	v_cmp_gt_i32_e64 s[2:3], s41, v23
	v_cndmask_b32_e64 v23, 0, v25, s[2:3]
	v_cmp_gt_i32_e64 s[2:3], s33, v24
	v_cndmask_b32_e64 v10, 0, v10, s[2:3]
	v_perm_b32 v10, v23, v10, s45
	v_or_b32_e32 v23, 5, v32
	v_or_b32_e32 v24, 4, v32
	;; [unrolled: 8-line block ×3, first 2 shown]
	v_lshrrev_b32_e32 v20, 16, v20
	v_cmp_gt_i32_e64 s[2:3], s41, v23
	v_cndmask_b32_e64 v20, 0, v20, s[2:3]
	v_cmp_gt_i32_e64 s[2:3], s33, v24
	v_cndmask_b32_e64 v22, 0, v22, s[2:3]
	v_perm_b32 v20, v20, v22, s45
.LBB279_371:                            ;   in Loop: Header=BB279_220 Depth=1
	s_or_b64 exec, exec, s[6:7]
	;;#ASMSTART
	v_pk_mul_f16 v18, v36, v18;

	;;#ASMEND
	;;#ASMSTART
	v_pk_mul_f16 v10, v35, v10;

	;;#ASMEND
	;; [unrolled: 4-line block ×4, first 2 shown]
	;;#ASMSTART
	v_pk_add_f16 v10, v18, v10;

	;;#ASMEND
	;;#ASMSTART
	v_pk_add_f16 v10, v10, v19;

	;;#ASMEND
	;; [unrolled: 4-line block ×3, first 2 shown]
	v_lshrrev_b32_e32 v18, 16, v10
	v_and_b32_e32 v10, 0xffff, v10
	v_add_f32_e32 v21, v21, v37
	;;#ASMSTART
	v_cvt_f32_f16 v10, v10;
	;;#ASMEND
	v_add_f32_e32 v2, v2, v21
	v_add_f32_e32 v21, v26, v27
	;;#ASMSTART
	v_cvt_f32_f16 v18, v18;
	;;#ASMEND
	v_add_f32_e32 v10, v10, v18
	v_add_f32_e32 v3, v3, v21
	;; [unrolled: 1-line block ×3, first 2 shown]
	s_and_saveexec_b64 s[6:7], vcc
	s_cbranch_execz .LBB279_218
; %bb.372:                              ;   in Loop: Header=BB279_220 Depth=1
	v_add_co_u32_e64 v18, s[2:3], v16, v12
	v_addc_co_u32_e64 v19, s[2:3], 0, v17, s[2:3]
	global_load_dwordx2 v[22:23], v[18:19], off
	global_load_dword v16, v11, s[14:15]
	v_mov_b32_e32 v20, 0
	v_mov_b32_e32 v18, 0
	s_waitcnt vmcnt(1)
	v_cmp_ne_u16_sdwa s[2:3], v22, v11 src0_sel:BYTE_0 src1_sel:DWORD
	s_and_saveexec_b64 s[22:23], s[2:3]
	s_cbranch_execz .LBB279_378
; %bb.373:                              ;   in Loop: Header=BB279_220 Depth=1
	v_cmp_ne_u16_sdwa s[2:3], v22, s36 src0_sel:BYTE_0 src1_sel:DWORD
	v_bfrev_b32_e32 v18, 1
	s_and_saveexec_b64 s[24:25], s[2:3]
	s_cbranch_execz .LBB279_377
; %bb.374:                              ;   in Loop: Header=BB279_220 Depth=1
	v_and_b32_e32 v10, 0x7f, v22
	v_cmp_ne_u32_e64 s[2:3], s37, v10
	v_mov_b32_e32 v18, 0x7fc02000
	s_and_saveexec_b64 s[26:27], s[2:3]
	s_cbranch_execz .LBB279_376
; %bb.375:                              ;   in Loop: Header=BB279_220 Depth=1
	v_and_b32_e32 v17, 7, v22
	v_ffbh_u32_e32 v17, v17
	v_min_u32_e32 v17, 32, v17
	v_subrev_u32_e32 v18, 28, v17
	v_cmp_gt_u32_e64 s[2:3], 8, v10
	v_lshrrev_b32_e32 v21, 3, v10
	v_sub_u32_e32 v17, 29, v17
	v_cndmask_b32_e64 v10, 0, v18, s[2:3]
	v_lshlrev_b64 v[18:19], v10, v[22:23]
	v_cndmask_b32_e64 v10, v21, v17, s[2:3]
	v_lshlrev_b32_e32 v17, 7, v18
	v_lshlrev_b32_e32 v18, 8, v22
	v_lshl_add_u32 v10, v10, 10, v13
	v_and_or_b32 v10, v18, s38, v10
	v_and_or_b32 v10, v17, s39, v10
	v_cvt_f32_f16_e32 v18, v10
.LBB279_376:                            ;   in Loop: Header=BB279_220 Depth=1
	s_or_b64 exec, exec, s[26:27]
.LBB279_377:                            ;   in Loop: Header=BB279_220 Depth=1
	s_or_b64 exec, exec, s[24:25]
.LBB279_378:                            ;   in Loop: Header=BB279_220 Depth=1
	s_or_b64 exec, exec, s[22:23]
	v_lshrrev_b16_e32 v10, 8, v22
	v_cmp_ne_u16_e64 s[2:3], 0, v10
	s_and_saveexec_b64 s[22:23], s[2:3]
	s_cbranch_execz .LBB279_384
; %bb.379:                              ;   in Loop: Header=BB279_220 Depth=1
	v_cmp_ne_u16_e64 s[2:3], s36, v10
	v_bfrev_b32_e32 v20, 1
	s_and_saveexec_b64 s[24:25], s[2:3]
	s_cbranch_execz .LBB279_383
; %bb.380:                              ;   in Loop: Header=BB279_220 Depth=1
	v_and_b32_e32 v17, 0x7f, v10
	v_cmp_ne_u32_e64 s[2:3], s37, v17
	v_mov_b32_e32 v20, 0x7fc02000
	s_and_saveexec_b64 s[26:27], s[2:3]
	s_cbranch_execz .LBB279_382
; %bb.381:                              ;   in Loop: Header=BB279_220 Depth=1
	v_and_b32_e32 v19, 7, v10
	v_ffbh_u32_e32 v20, v19
	v_min_u32_e32 v25, 32, v20
	v_subrev_u32_e32 v20, 28, v25
	v_lshlrev_b64 v[20:21], v20, v[10:11]
	v_lshrrev_b32_e32 v24, 3, v17
	v_sub_u32_e32 v21, 29, v25
	v_cmp_gt_u32_e64 s[2:3], 8, v17
	v_cndmask_b32_e64 v17, v24, v21, s[2:3]
	v_and_b32_e32 v20, 7, v20
	v_lshlrev_b32_e32 v10, 8, v10
	v_lshl_add_u32 v17, v17, 10, v13
	v_cndmask_b32_e64 v19, v19, v20, s[2:3]
	v_and_or_b32 v10, v10, s38, v17
	v_lshl_or_b32 v10, v19, 7, v10
	v_cvt_f32_f16_e32 v20, v10
.LBB279_382:                            ;   in Loop: Header=BB279_220 Depth=1
	s_or_b64 exec, exec, s[26:27]
.LBB279_383:                            ;   in Loop: Header=BB279_220 Depth=1
	s_or_b64 exec, exec, s[24:25]
.LBB279_384:                            ;   in Loop: Header=BB279_220 Depth=1
	s_or_b64 exec, exec, s[22:23]
	v_lshrrev_b32_e32 v10, 16, v22
	v_cmp_ne_u16_sdwa s[2:3], v10, v11 src0_sel:BYTE_0 src1_sel:DWORD
	v_mov_b32_e32 v21, 0
	v_mov_b32_e32 v19, 0
	s_and_saveexec_b64 s[22:23], s[2:3]
	s_cbranch_execz .LBB279_390
; %bb.385:                              ;   in Loop: Header=BB279_220 Depth=1
	v_cmp_ne_u16_sdwa s[2:3], v10, s36 src0_sel:BYTE_0 src1_sel:DWORD
	v_bfrev_b32_e32 v19, 1
	s_and_saveexec_b64 s[24:25], s[2:3]
	s_cbranch_execz .LBB279_389
; %bb.386:                              ;   in Loop: Header=BB279_220 Depth=1
	v_bfe_u32 v17, v22, 16, 7
	v_cmp_ne_u32_e64 s[2:3], s37, v17
	v_mov_b32_e32 v19, 0x7fc02000
	s_and_saveexec_b64 s[26:27], s[2:3]
	s_cbranch_execz .LBB279_388
; %bb.387:                              ;   in Loop: Header=BB279_220 Depth=1
	v_and_b32_e32 v19, 7, v10
	v_ffbh_u32_e32 v24, v19
	v_min_u32_e32 v27, 32, v24
	v_subrev_u32_e32 v24, 28, v27
	v_lshlrev_b64 v[24:25], v24, v[10:11]
	v_lshrrev_b32_e32 v26, 3, v17
	v_sub_u32_e32 v25, 29, v27
	v_cmp_gt_u32_e64 s[2:3], 8, v17
	v_cndmask_b32_e64 v17, v26, v25, s[2:3]
	v_and_b32_e32 v24, 7, v24
	v_lshlrev_b32_e32 v10, 8, v10
	v_lshl_add_u32 v17, v17, 10, v13
	v_cndmask_b32_e64 v19, v19, v24, s[2:3]
	v_and_or_b32 v10, v10, s38, v17
	v_lshl_or_b32 v10, v19, 7, v10
	v_cvt_f32_f16_e32 v19, v10
.LBB279_388:                            ;   in Loop: Header=BB279_220 Depth=1
	s_or_b64 exec, exec, s[26:27]
.LBB279_389:                            ;   in Loop: Header=BB279_220 Depth=1
	s_or_b64 exec, exec, s[24:25]
.LBB279_390:                            ;   in Loop: Header=BB279_220 Depth=1
	s_or_b64 exec, exec, s[22:23]
	v_cmp_lt_u32_e64 s[2:3], s19, v22
	s_and_saveexec_b64 s[22:23], s[2:3]
	s_cbranch_execz .LBB279_396
; %bb.391:                              ;   in Loop: Header=BB279_220 Depth=1
	v_lshrrev_b32_e32 v10, 24, v22
	v_cmp_ne_u32_e64 s[2:3], s36, v10
	v_bfrev_b32_e32 v21, 1
	s_and_saveexec_b64 s[24:25], s[2:3]
	s_cbranch_execz .LBB279_395
; %bb.392:                              ;   in Loop: Header=BB279_220 Depth=1
	v_and_b32_e32 v17, 0x7f, v10
	v_cmp_ne_u32_e64 s[2:3], s37, v17
	v_mov_b32_e32 v21, 0x7fc02000
	s_and_saveexec_b64 s[26:27], s[2:3]
	s_cbranch_execz .LBB279_394
; %bb.393:                              ;   in Loop: Header=BB279_220 Depth=1
	v_and_b32_e32 v21, 7, v10
	v_ffbh_u32_e32 v24, v21
	v_min_u32_e32 v27, 32, v24
	v_subrev_u32_e32 v24, 28, v27
	v_lshlrev_b64 v[24:25], v24, v[10:11]
	v_lshrrev_b32_e32 v26, 3, v17
	v_sub_u32_e32 v25, 29, v27
	v_cmp_gt_u32_e64 s[2:3], 8, v17
	v_cndmask_b32_e64 v17, v26, v25, s[2:3]
	v_and_b32_e32 v24, 7, v24
	v_lshlrev_b32_e32 v10, 8, v10
	v_lshl_add_u32 v17, v17, 10, v13
	v_cndmask_b32_e64 v21, v21, v24, s[2:3]
	v_and_or_b32 v10, v10, s38, v17
	v_lshl_or_b32 v10, v21, 7, v10
	v_cvt_f32_f16_e32 v21, v10
.LBB279_394:                            ;   in Loop: Header=BB279_220 Depth=1
	s_or_b64 exec, exec, s[26:27]
.LBB279_395:                            ;   in Loop: Header=BB279_220 Depth=1
	s_or_b64 exec, exec, s[24:25]
.LBB279_396:                            ;   in Loop: Header=BB279_220 Depth=1
	s_or_b64 exec, exec, s[22:23]
	v_mov_b32_e32 v10, v23
	v_cmp_ne_u16_sdwa s[2:3], v23, v11 src0_sel:BYTE_0 src1_sel:DWORD
	v_mov_b32_e32 v24, 0
	v_mov_b32_e32 v17, 0
	s_and_saveexec_b64 s[22:23], s[2:3]
	s_cbranch_execz .LBB279_402
; %bb.397:                              ;   in Loop: Header=BB279_220 Depth=1
	v_cmp_ne_u16_sdwa s[2:3], v23, s36 src0_sel:BYTE_0 src1_sel:DWORD
	v_bfrev_b32_e32 v17, 1
	s_and_saveexec_b64 s[24:25], s[2:3]
	s_cbranch_execz .LBB279_401
; %bb.398:                              ;   in Loop: Header=BB279_220 Depth=1
	v_and_b32_e32 v25, 0x7f, v23
	v_cmp_ne_u32_e64 s[2:3], s37, v25
	v_mov_b32_e32 v17, 0x7fc02000
	s_and_saveexec_b64 s[26:27], s[2:3]
	s_cbranch_execz .LBB279_400
; %bb.399:                              ;   in Loop: Header=BB279_220 Depth=1
	v_and_b32_e32 v17, 7, v23
	v_ffbh_u32_e32 v17, v17
	v_min_u32_e32 v17, 32, v17
	v_subrev_u32_e32 v26, 28, v17
	v_cmp_gt_u32_e64 s[2:3], 8, v25
	v_lshrrev_b32_e32 v37, 3, v25
	v_sub_u32_e32 v17, 29, v17
	v_cndmask_b32_e64 v25, 0, v26, s[2:3]
	v_lshlrev_b64 v[26:27], v25, v[10:11]
	v_cndmask_b32_e64 v17, v37, v17, s[2:3]
	v_lshlrev_b32_e32 v25, 7, v26
	v_lshlrev_b32_e32 v26, 8, v23
	v_lshl_add_u32 v17, v17, 10, v13
	v_and_or_b32 v17, v26, s38, v17
	v_and_or_b32 v17, v25, s39, v17
	v_cvt_f32_f16_e32 v17, v17
.LBB279_400:                            ;   in Loop: Header=BB279_220 Depth=1
	s_or_b64 exec, exec, s[26:27]
.LBB279_401:                            ;   in Loop: Header=BB279_220 Depth=1
	s_or_b64 exec, exec, s[24:25]
.LBB279_402:                            ;   in Loop: Header=BB279_220 Depth=1
	s_or_b64 exec, exec, s[22:23]
	v_lshrrev_b16_e32 v10, 8, v10
	v_cmp_ne_u16_e64 s[2:3], 0, v10
	s_and_saveexec_b64 s[22:23], s[2:3]
	s_cbranch_execz .LBB279_408
; %bb.403:                              ;   in Loop: Header=BB279_220 Depth=1
	v_cmp_ne_u16_e64 s[2:3], s36, v10
	v_bfrev_b32_e32 v24, 1
	s_and_saveexec_b64 s[24:25], s[2:3]
	s_cbranch_execz .LBB279_407
; %bb.404:                              ;   in Loop: Header=BB279_220 Depth=1
	v_and_b32_e32 v25, 0x7f, v10
	v_cmp_ne_u32_e64 s[2:3], s37, v25
	v_mov_b32_e32 v24, 0x7fc02000
	s_and_saveexec_b64 s[26:27], s[2:3]
	s_cbranch_execz .LBB279_406
; %bb.405:                              ;   in Loop: Header=BB279_220 Depth=1
	v_and_b32_e32 v24, 7, v10
	v_ffbh_u32_e32 v26, v24
	v_min_u32_e32 v38, 32, v26
	v_subrev_u32_e32 v26, 28, v38
	v_lshlrev_b64 v[26:27], v26, v[10:11]
	v_lshrrev_b32_e32 v37, 3, v25
	v_sub_u32_e32 v27, 29, v38
	v_cmp_gt_u32_e64 s[2:3], 8, v25
	v_cndmask_b32_e64 v25, v37, v27, s[2:3]
	v_and_b32_e32 v26, 7, v26
	v_lshlrev_b32_e32 v10, 8, v10
	v_lshl_add_u32 v25, v25, 10, v13
	v_cndmask_b32_e64 v24, v24, v26, s[2:3]
	v_and_or_b32 v10, v10, s38, v25
	v_lshl_or_b32 v10, v24, 7, v10
	v_cvt_f32_f16_e32 v24, v10
.LBB279_406:                            ;   in Loop: Header=BB279_220 Depth=1
	s_or_b64 exec, exec, s[26:27]
.LBB279_407:                            ;   in Loop: Header=BB279_220 Depth=1
	s_or_b64 exec, exec, s[24:25]
.LBB279_408:                            ;   in Loop: Header=BB279_220 Depth=1
	s_or_b64 exec, exec, s[22:23]
	v_lshrrev_b32_e32 v10, 16, v23
	v_cmp_ne_u16_sdwa s[2:3], v10, v11 src0_sel:BYTE_0 src1_sel:DWORD
	v_mov_b32_e32 v25, 0
	v_mov_b32_e32 v26, 0
	s_and_saveexec_b64 s[22:23], s[2:3]
	s_cbranch_execz .LBB279_414
; %bb.409:                              ;   in Loop: Header=BB279_220 Depth=1
	v_cmp_ne_u16_sdwa s[2:3], v10, s36 src0_sel:BYTE_0 src1_sel:DWORD
	v_bfrev_b32_e32 v26, 1
	s_and_saveexec_b64 s[24:25], s[2:3]
	s_cbranch_execz .LBB279_413
; %bb.410:                              ;   in Loop: Header=BB279_220 Depth=1
	v_bfe_u32 v27, v23, 16, 7
	v_cmp_ne_u32_e64 s[2:3], s37, v27
	v_mov_b32_e32 v26, 0x7fc02000
	s_and_saveexec_b64 s[26:27], s[2:3]
	s_cbranch_execz .LBB279_412
; %bb.411:                              ;   in Loop: Header=BB279_220 Depth=1
	v_and_b32_e32 v26, 7, v10
	v_ffbh_u32_e32 v38, v26
	v_min_u32_e32 v40, 32, v38
	v_subrev_u32_e32 v38, 28, v40
	v_lshlrev_b64 v[38:39], v38, v[10:11]
	v_lshrrev_b32_e32 v37, 3, v27
	v_sub_u32_e32 v39, 29, v40
	v_cmp_gt_u32_e64 s[2:3], 8, v27
	v_cndmask_b32_e64 v27, v37, v39, s[2:3]
	v_and_b32_e32 v38, 7, v38
	v_lshlrev_b32_e32 v10, 8, v10
	v_lshl_add_u32 v27, v27, 10, v13
	v_cndmask_b32_e64 v26, v26, v38, s[2:3]
	v_and_or_b32 v10, v10, s38, v27
	v_lshl_or_b32 v10, v26, 7, v10
	v_cvt_f32_f16_e32 v26, v10
.LBB279_412:                            ;   in Loop: Header=BB279_220 Depth=1
	s_or_b64 exec, exec, s[26:27]
.LBB279_413:                            ;   in Loop: Header=BB279_220 Depth=1
	s_or_b64 exec, exec, s[24:25]
.LBB279_414:                            ;   in Loop: Header=BB279_220 Depth=1
	s_or_b64 exec, exec, s[22:23]
	v_cmp_lt_u64_e64 s[2:3], s[18:19], v[22:23]
	s_and_saveexec_b64 s[22:23], s[2:3]
	s_cbranch_execz .LBB279_420
; %bb.415:                              ;   in Loop: Header=BB279_220 Depth=1
	v_lshrrev_b32_e32 v10, 24, v23
	v_cmp_ne_u32_e64 s[2:3], s36, v10
	v_bfrev_b32_e32 v25, 1
	s_and_saveexec_b64 s[24:25], s[2:3]
	s_cbranch_execz .LBB279_419
; %bb.416:                              ;   in Loop: Header=BB279_220 Depth=1
	v_and_b32_e32 v22, 0x7f, v10
	v_cmp_ne_u32_e64 s[2:3], s37, v22
	v_mov_b32_e32 v25, 0x7fc02000
	s_and_saveexec_b64 s[26:27], s[2:3]
	s_cbranch_execz .LBB279_418
; %bb.417:                              ;   in Loop: Header=BB279_220 Depth=1
	v_and_b32_e32 v23, 7, v10
	v_ffbh_u32_e32 v27, v23
	v_min_u32_e32 v27, 32, v27
	v_lshrrev_b32_e32 v25, 3, v22
	v_subrev_u32_e32 v37, 28, v27
	v_sub_u32_e32 v27, 29, v27
	v_cmp_gt_u32_e64 s[2:3], 8, v22
	v_lshlrev_b64 v[38:39], v37, v[10:11]
	v_cndmask_b32_e64 v22, v25, v27, s[2:3]
	v_and_b32_e32 v37, 7, v38
	v_lshlrev_b32_e32 v10, 8, v10
	v_lshl_add_u32 v22, v22, 10, v13
	v_cndmask_b32_e64 v23, v23, v37, s[2:3]
	v_and_or_b32 v10, v10, s38, v22
	v_lshl_or_b32 v10, v23, 7, v10
	v_cvt_f32_f16_e32 v25, v10
.LBB279_418:                            ;   in Loop: Header=BB279_220 Depth=1
	s_or_b64 exec, exec, s[26:27]
.LBB279_419:                            ;   in Loop: Header=BB279_220 Depth=1
	s_or_b64 exec, exec, s[24:25]
.LBB279_420:                            ;   in Loop: Header=BB279_220 Depth=1
	s_or_b64 exec, exec, s[22:23]
	s_waitcnt vmcnt(0)
	v_pk_mul_f32 v[18:19], v[16:17], v[18:19] op_sel_hi:[0,1]
	v_cvt_f16_f32_e32 v19, v19
	v_cvt_f16_f32_e32 v18, v18
	v_pk_mul_f32 v[20:21], v[16:17], v[20:21] op_sel_hi:[0,1]
	v_cvt_f16_f32_e32 v10, v21
	v_cvt_f16_f32_e32 v20, v20
	v_pack_b32_f16 v18, v18, v19
	v_fma_mixlo_f16 v19, v16, v24, 0
	v_lshlrev_b32_e32 v19, 16, v19
	v_fma_mixlo_f16 v17, v16, v17, 0
	v_or_b32_sdwa v17, v19, v17 dst_sel:DWORD dst_unused:UNUSED_PAD src0_sel:DWORD src1_sel:WORD_0
	v_fma_mixlo_f16 v19, v16, v26, 0
	v_fma_mixlo_f16 v16, v16, v25, 0
	v_pack_b32_f16 v20, v20, v10
	v_lshlrev_b32_e32 v16, 16, v16
	v_perm_b32 v10, v18, v20, s43
	v_perm_b32 v18, v18, v20, s44
	v_or_b32_sdwa v16, v16, v19 dst_sel:DWORD dst_unused:UNUSED_PAD src0_sel:DWORD src1_sel:WORD_0
	s_and_saveexec_b64 s[2:3], s[0:1]
	s_cbranch_execz .LBB279_217
; %bb.421:                              ;   in Loop: Header=BB279_220 Depth=1
	v_add_u32_e32 v20, 1, v32
	v_lshrrev_b32_e32 v21, 16, v18
	v_cmp_gt_i32_e64 s[0:1], s41, v20
	v_cndmask_b32_e64 v20, 0, v21, s[0:1]
	v_cmp_gt_i32_e64 s[0:1], s33, v32
	v_cndmask_b32_e64 v18, 0, v18, s[0:1]
	v_perm_b32 v18, v20, v18, s45
	v_or_b32_e32 v20, 3, v32
	v_or_b32_e32 v21, 2, v32
	v_lshrrev_b32_e32 v22, 16, v10
	v_cmp_gt_i32_e64 s[0:1], s41, v20
	v_cndmask_b32_e64 v20, 0, v22, s[0:1]
	v_cmp_gt_i32_e64 s[0:1], s33, v21
	v_cndmask_b32_e64 v10, 0, v10, s[0:1]
	v_perm_b32 v10, v20, v10, s45
	v_or_b32_e32 v20, 5, v32
	v_or_b32_e32 v21, 4, v32
	;; [unrolled: 8-line block ×3, first 2 shown]
	v_lshrrev_b32_e32 v16, 16, v16
	v_cmp_gt_i32_e64 s[0:1], s41, v20
	v_cndmask_b32_e64 v16, 0, v16, s[0:1]
	v_cmp_gt_i32_e64 s[0:1], s33, v21
	v_cndmask_b32_e64 v19, 0, v19, s[0:1]
	v_perm_b32 v16, v16, v19, s45
	s_branch .LBB279_217
.LBB279_422:
	s_or_b64 exec, exec, s[20:21]
.LBB279_423:
	s_or_b64 exec, exec, s[12:13]
	ds_bpermute_b32 v6, v9, v2
	ds_bpermute_b32 v7, v9, v3
	;; [unrolled: 1-line block ×4, first 2 shown]
	v_and_b32_e32 v1, 0x3c0, v0
	v_cmp_eq_u32_e32 vcc, 64, v1
	s_waitcnt lgkmcnt(2)
	v_pk_add_f32 v[6:7], v[2:3], v[6:7]
	s_waitcnt lgkmcnt(0)
	v_pk_add_f32 v[2:3], v[4:5], v[8:9]
	s_barrier
	s_and_saveexec_b64 s[2:3], vcc
	s_cbranch_execz .LBB279_428
; %bb.424:
	v_cmp_eq_u32_e32 vcc, 0, v28
	s_and_saveexec_b64 s[0:1], vcc
	s_cbranch_execz .LBB279_426
; %bb.425:
	v_mov_b32_e32 v1, 0xf0
	v_lshl_add_u32 v1, v29, 2, v1
	ds_write2_b32 v1, v6, v7 offset1:32
	ds_write_b32 v1, v2 offset:256
.LBB279_426:
	s_or_b64 exec, exec, s[0:1]
	v_or_b32_e32 v1, 0x60, v29
	s_movk_i32 s0, 0x70
	v_cmp_gt_u32_e64 s[0:1], s0, v1
	s_and_b64 s[0:1], vcc, s[0:1]
	s_and_b64 exec, exec, s[0:1]
	s_cbranch_execz .LBB279_428
; %bb.427:
	v_mov_b32_e32 v1, 0xf0
	v_lshl_add_u32 v1, v29, 2, v1
	ds_write_b32 v1, v3 offset:384
.LBB279_428:
	s_or_b64 exec, exec, s[2:3]
	v_cmp_gt_u32_e32 vcc, 64, v0
	v_lshrrev_b32_e32 v0, 1, v0
	s_waitcnt lgkmcnt(0)
	s_barrier
	s_and_saveexec_b64 s[4:5], vcc
	s_cbranch_execz .LBB279_436
; %bb.429:
	v_cmp_eq_u32_e64 s[0:1], 0, v28
	s_and_saveexec_b64 s[2:3], s[0:1]
	s_cbranch_execnz .LBB279_442
; %bb.430:
	s_or_b64 exec, exec, s[2:3]
	s_and_saveexec_b64 s[2:3], s[0:1]
	s_cbranch_execnz .LBB279_443
.LBB279_431:
	s_or_b64 exec, exec, s[2:3]
	s_and_saveexec_b64 s[2:3], s[0:1]
	s_cbranch_execz .LBB279_433
.LBB279_432:
	v_mov_b32_e32 v1, 0xf0
	v_lshl_add_u32 v1, v0, 2, v1
	ds_read_b32 v1, v1 offset:256
	s_waitcnt lgkmcnt(0)
	v_add_f32_e32 v2, v2, v1
.LBB279_433:
	s_or_b64 exec, exec, s[2:3]
	v_or_b32_e32 v1, 0x60, v0
	s_movk_i32 s2, 0x70
	v_cmp_gt_u32_e64 s[2:3], s2, v1
	s_and_b64 s[2:3], s[0:1], s[2:3]
	s_and_saveexec_b64 s[0:1], s[2:3]
	s_cbranch_execz .LBB279_435
; %bb.434:
	v_mov_b32_e32 v1, 0xf0
	v_lshl_add_u32 v1, v0, 2, v1
	ds_read_b32 v1, v1 offset:384
	s_waitcnt lgkmcnt(0)
	v_add_f32_e32 v3, v3, v1
.LBB279_435:
	s_or_b64 exec, exec, s[0:1]
.LBB279_436:
	s_or_b64 exec, exec, s[4:5]
	s_barrier
	s_and_saveexec_b64 s[0:1], vcc
	s_cbranch_execz .LBB279_441
; %bb.437:
	s_mul_i32 s0, s10, 0x70
	s_ashr_i32 s1, s0, 31
	s_lshl_b64 s[0:1], s[0:1], 1
	s_add_u32 s2, s30, s0
	s_mul_i32 s0, s29, s28
	s_addc_u32 s3, s31, s1
	s_ashr_i32 s1, s0, 31
	s_lshl_b64 s[0:1], s[0:1], 1
	s_add_u32 s2, s2, s0
	s_mul_i32 s0, s8, 0x70
	s_addc_u32 s3, s3, s1
	s_ashr_i32 s1, s0, 31
	s_lshl_b64 s[0:1], s[0:1], 1
	s_add_u32 s2, s2, s0
	s_movk_i32 s4, 0x70
	s_addc_u32 s3, s3, s1
	v_cmp_eq_u32_e32 vcc, 0, v28
	v_lshlrev_b32_e32 v1, 1, v0
	s_and_saveexec_b64 s[0:1], vcc
	s_cbranch_execz .LBB279_439
; %bb.438:
	;;#ASMSTART
	v_cvt_f16_f32 v4, v6;

	;;#ASMEND
	global_store_short v1, v4, s[2:3]
	;;#ASMSTART
	v_cvt_f16_f32 v4, v7;

	;;#ASMEND
	global_store_short v1, v4, s[2:3] offset:64
	;;#ASMSTART
	v_cvt_f16_f32 v2, v2;

	;;#ASMEND
	global_store_short v1, v2, s[2:3] offset:128
.LBB279_439:
	s_or_b64 exec, exec, s[0:1]
	v_or_b32_e32 v0, 0x60, v0
	v_cmp_gt_u32_e64 s[0:1], s4, v0
	s_and_b64 s[0:1], vcc, s[0:1]
	s_and_b64 exec, exec, s[0:1]
	s_cbranch_execz .LBB279_441
; %bb.440:
	;;#ASMSTART
	v_cvt_f16_f32 v0, v3;

	;;#ASMEND
	global_store_short v1, v0, s[2:3] offset:192
.LBB279_441:
	s_endpgm
.LBB279_442:
	v_mov_b32_e32 v1, 0xf0
	v_lshl_add_u32 v1, v0, 2, v1
	ds_read_b32 v1, v1
	s_waitcnt lgkmcnt(0)
	v_add_f32_e32 v6, v6, v1
	s_or_b64 exec, exec, s[2:3]
	s_and_saveexec_b64 s[2:3], s[0:1]
	s_cbranch_execz .LBB279_431
.LBB279_443:
	v_mov_b32_e32 v1, 0xf0
	v_lshl_add_u32 v1, v0, 2, v1
	ds_read_b32 v1, v1 offset:128
	s_waitcnt lgkmcnt(0)
	v_add_f32_e32 v7, v7, v1
	s_or_b64 exec, exec, s[2:3]
	s_and_saveexec_b64 s[2:3], s[0:1]
	s_cbranch_execnz .LBB279_432
	s_branch .LBB279_433
	.section	.rodata,"a",@progbits
	.p2align	6, 0x0
	.amdhsa_kernel _ZN4vllm25paged_attention_v2_kernelIthLi112ELi16ELi128ELNS_18Fp8KVCacheDataTypeE1ELb1ELi512EEEvPfS2_PT_PKS3_PKT0_S9_ifPKiSB_iPKfiiiSD_SD_iiiii
		.amdhsa_group_segment_fixed_size 240
		.amdhsa_private_segment_fixed_size 0
		.amdhsa_kernarg_size 400
		.amdhsa_user_sgpr_count 6
		.amdhsa_user_sgpr_private_segment_buffer 1
		.amdhsa_user_sgpr_dispatch_ptr 0
		.amdhsa_user_sgpr_queue_ptr 0
		.amdhsa_user_sgpr_kernarg_segment_ptr 1
		.amdhsa_user_sgpr_dispatch_id 0
		.amdhsa_user_sgpr_flat_scratch_init 0
		.amdhsa_user_sgpr_kernarg_preload_length 0
		.amdhsa_user_sgpr_kernarg_preload_offset 0
		.amdhsa_user_sgpr_private_segment_size 0
		.amdhsa_uses_dynamic_stack 0
		.amdhsa_system_sgpr_private_segment_wavefront_offset 0
		.amdhsa_system_sgpr_workgroup_id_x 1
		.amdhsa_system_sgpr_workgroup_id_y 1
		.amdhsa_system_sgpr_workgroup_id_z 1
		.amdhsa_system_sgpr_workgroup_info 0
		.amdhsa_system_vgpr_workitem_id 0
		.amdhsa_next_free_vgpr 67
		.amdhsa_next_free_sgpr 63
		.amdhsa_accum_offset 68
		.amdhsa_reserve_vcc 1
		.amdhsa_reserve_flat_scratch 0
		.amdhsa_float_round_mode_32 0
		.amdhsa_float_round_mode_16_64 0
		.amdhsa_float_denorm_mode_32 3
		.amdhsa_float_denorm_mode_16_64 3
		.amdhsa_dx10_clamp 1
		.amdhsa_ieee_mode 1
		.amdhsa_fp16_overflow 0
		.amdhsa_tg_split 0
		.amdhsa_exception_fp_ieee_invalid_op 0
		.amdhsa_exception_fp_denorm_src 0
		.amdhsa_exception_fp_ieee_div_zero 0
		.amdhsa_exception_fp_ieee_overflow 0
		.amdhsa_exception_fp_ieee_underflow 0
		.amdhsa_exception_fp_ieee_inexact 0
		.amdhsa_exception_int_div_zero 0
	.end_amdhsa_kernel
	.section	.text._ZN4vllm25paged_attention_v2_kernelIthLi112ELi16ELi128ELNS_18Fp8KVCacheDataTypeE1ELb1ELi512EEEvPfS2_PT_PKS3_PKT0_S9_ifPKiSB_iPKfiiiSD_SD_iiiii,"axG",@progbits,_ZN4vllm25paged_attention_v2_kernelIthLi112ELi16ELi128ELNS_18Fp8KVCacheDataTypeE1ELb1ELi512EEEvPfS2_PT_PKS3_PKT0_S9_ifPKiSB_iPKfiiiSD_SD_iiiii,comdat
.Lfunc_end279:
	.size	_ZN4vllm25paged_attention_v2_kernelIthLi112ELi16ELi128ELNS_18Fp8KVCacheDataTypeE1ELb1ELi512EEEvPfS2_PT_PKS3_PKT0_S9_ifPKiSB_iPKfiiiSD_SD_iiiii, .Lfunc_end279-_ZN4vllm25paged_attention_v2_kernelIthLi112ELi16ELi128ELNS_18Fp8KVCacheDataTypeE1ELb1ELi512EEEvPfS2_PT_PKS3_PKT0_S9_ifPKiSB_iPKfiiiSD_SD_iiiii
                                        ; -- End function
	.section	.AMDGPU.csdata,"",@progbits
; Kernel info:
; codeLenInByte = 18740
; NumSgprs: 67
; NumVgprs: 67
; NumAgprs: 0
; TotalNumVgprs: 67
; ScratchSize: 0
; MemoryBound: 0
; FloatMode: 240
; IeeeMode: 1
; LDSByteSize: 240 bytes/workgroup (compile time only)
; SGPRBlocks: 8
; VGPRBlocks: 8
; NumSGPRsForWavesPerEU: 67
; NumVGPRsForWavesPerEU: 67
; AccumOffset: 68
; Occupancy: 7
; WaveLimiterHint : 1
; COMPUTE_PGM_RSRC2:SCRATCH_EN: 0
; COMPUTE_PGM_RSRC2:USER_SGPR: 6
; COMPUTE_PGM_RSRC2:TRAP_HANDLER: 0
; COMPUTE_PGM_RSRC2:TGID_X_EN: 1
; COMPUTE_PGM_RSRC2:TGID_Y_EN: 1
; COMPUTE_PGM_RSRC2:TGID_Z_EN: 1
; COMPUTE_PGM_RSRC2:TIDIG_COMP_CNT: 0
; COMPUTE_PGM_RSRC3_GFX90A:ACCUM_OFFSET: 16
; COMPUTE_PGM_RSRC3_GFX90A:TG_SPLIT: 0
	.section	.text._ZN4vllm25paged_attention_v2_kernelIthLi120ELi16ELi128ELNS_18Fp8KVCacheDataTypeE1ELb1ELi512EEEvPfS2_PT_PKS3_PKT0_S9_ifPKiSB_iPKfiiiSD_SD_iiiii,"axG",@progbits,_ZN4vllm25paged_attention_v2_kernelIthLi120ELi16ELi128ELNS_18Fp8KVCacheDataTypeE1ELb1ELi512EEEvPfS2_PT_PKS3_PKT0_S9_ifPKiSB_iPKfiiiSD_SD_iiiii,comdat
	.protected	_ZN4vllm25paged_attention_v2_kernelIthLi120ELi16ELi128ELNS_18Fp8KVCacheDataTypeE1ELb1ELi512EEEvPfS2_PT_PKS3_PKT0_S9_ifPKiSB_iPKfiiiSD_SD_iiiii ; -- Begin function _ZN4vllm25paged_attention_v2_kernelIthLi120ELi16ELi128ELNS_18Fp8KVCacheDataTypeE1ELb1ELi512EEEvPfS2_PT_PKS3_PKT0_S9_ifPKiSB_iPKfiiiSD_SD_iiiii
	.globl	_ZN4vllm25paged_attention_v2_kernelIthLi120ELi16ELi128ELNS_18Fp8KVCacheDataTypeE1ELb1ELi512EEEvPfS2_PT_PKS3_PKT0_S9_ifPKiSB_iPKfiiiSD_SD_iiiii
	.p2align	8
	.type	_ZN4vllm25paged_attention_v2_kernelIthLi120ELi16ELi128ELNS_18Fp8KVCacheDataTypeE1ELb1ELi512EEEvPfS2_PT_PKS3_PKT0_S9_ifPKiSB_iPKfiiiSD_SD_iiiii,@function
_ZN4vllm25paged_attention_v2_kernelIthLi120ELi16ELi128ELNS_18Fp8KVCacheDataTypeE1ELb1ELi512EEEvPfS2_PT_PKS3_PKT0_S9_ifPKiSB_iPKfiiiSD_SD_iiiii: ; @_ZN4vllm25paged_attention_v2_kernelIthLi120ELi16ELi128ELNS_18Fp8KVCacheDataTypeE1ELb1ELi512EEEvPfS2_PT_PKS3_PKT0_S9_ifPKiSB_iPKfiiiSD_SD_iiiii
; %bb.0:
	s_load_dwordx2 s[0:1], s[4:5], 0x40
	s_mov_b32 s34, s7
	s_ashr_i32 s35, s7, 31
	s_lshl_b64 s[2:3], s[34:35], 2
	s_waitcnt lgkmcnt(0)
	s_add_u32 s0, s0, s2
	s_addc_u32 s1, s1, s3
	s_load_dword s33, s[0:1], 0x0
	s_lshl_b32 s55, s8, 9
	s_waitcnt lgkmcnt(0)
	s_cmp_ge_i32 s55, s33
	s_cbranch_scc1 .LBB280_453
; %bb.1:
	s_load_dword s9, s[4:5], 0x90
	s_load_dwordx2 s[42:43], s[4:5], 0x30
	s_mov_b32 s56, 0
	s_waitcnt lgkmcnt(0)
	s_abs_i32 s2, s9
	s_abs_i32 s0, s42
	v_cvt_f32_u32_e32 v1, s0
	s_sub_i32 s3, 0, s0
	s_xor_b32 s1, s9, s42
	s_ashr_i32 s1, s1, 31
	v_rcp_iflag_f32_e32 v1, v1
	v_mul_f32_e32 v1, 0x4f7ffffe, v1
	v_cvt_u32_f32_e32 v1, v1
	v_readfirstlane_b32 s7, v1
	s_mul_i32 s3, s3, s7
	s_mul_hi_u32 s3, s7, s3
	s_add_i32 s7, s7, s3
	s_mul_hi_u32 s3, s2, s7
	s_mul_i32 s7, s3, s0
	s_sub_i32 s2, s2, s7
	s_add_i32 s10, s3, 1
	s_sub_i32 s7, s2, s0
	s_cmp_ge_u32 s2, s0
	s_cselect_b32 s3, s10, s3
	s_cselect_b32 s2, s7, s2
	s_add_i32 s7, s3, 1
	s_cmp_ge_u32 s2, s0
	s_cselect_b32 s0, s7, s3
	s_xor_b32 s0, s0, s1
	s_sub_i32 s11, s0, s1
	s_abs_i32 s2, s11
	v_cvt_f32_u32_e32 v1, s2
	s_load_dwordx2 s[0:1], s[4:5], 0x50
	s_sub_i32 s7, 0, s2
	s_abs_i32 s3, s6
	v_rcp_iflag_f32_e32 v1, v1
	v_mul_f32_e32 v1, 0x4f7ffffe, v1
	v_cvt_u32_f32_e32 v1, v1
	v_readfirstlane_b32 s10, v1
	s_mul_i32 s7, s7, s10
	s_mul_hi_u32 s7, s10, s7
	s_add_i32 s10, s10, s7
	s_waitcnt lgkmcnt(0)
	s_cmp_eq_u64 s[0:1], 0
	s_mul_hi_u32 s10, s3, s10
	s_cbranch_scc1 .LBB280_3
; %bb.2:
	s_ashr_i32 s7, s6, 31
	s_lshl_b64 s[12:13], s[6:7], 2
	s_add_u32 s0, s0, s12
	s_addc_u32 s1, s1, s13
	s_load_dword s56, s[0:1], 0x0
.LBB280_3:
	s_load_dwordx4 s[16:19], s[4:5], 0x58
	s_ashr_i32 s7, s6, 31
	s_ashr_i32 s11, s11, 31
	v_and_b32_e32 v8, 3, v0
	s_mul_i32 s28, s6, 0x78
	v_cmp_gt_u32_e32 vcc, 60, v0
	s_and_saveexec_b64 s[0:1], vcc
	s_cbranch_execz .LBB280_5
; %bb.4:
	s_load_dwordx2 s[12:13], s[4:5], 0x18
	s_waitcnt lgkmcnt(0)
	s_mul_i32 s14, s34, s16
	s_ashr_i32 s15, s14, 31
	s_lshl_b64 s[14:15], s[14:15], 1
	v_lshlrev_b32_e32 v1, 2, v0
	s_add_u32 s14, s12, s14
	s_addc_u32 s15, s13, s15
	s_ashr_i32 s29, s28, 31
	s_lshl_b64 s[12:13], s[28:29], 1
	s_add_u32 s12, s14, s12
	s_addc_u32 s13, s15, s13
	global_load_dword v1, v1, s[12:13]
	v_and_b32_e32 v2, 0x3fc, v0
	v_mad_u32_u24 v2, v8, 60, v2
	s_waitcnt vmcnt(0)
	ds_write_b32 v2, v1
.LBB280_5:
	s_or_b64 exec, exec, s[0:1]
	s_mul_i32 s1, s10, s2
	s_sub_i32 s1, s3, s1
	s_xor_b32 s0, s7, s11
	s_add_i32 s3, s10, 1
	s_sub_i32 s7, s1, s2
	s_load_dwordx4 s[20:23], s[4:5], 0x78
	s_cmp_ge_u32 s1, s2
	s_cselect_b32 s3, s3, s10
	s_load_dword s10, s[4:5], 0x88
	s_cselect_b32 s1, s7, s1
	s_add_i32 s7, s3, 1
	s_cmp_ge_u32 s1, s2
	s_cselect_b32 s1, s7, s3
	s_waitcnt lgkmcnt(0)
	s_abs_i32 s35, s23
	v_cvt_f32_u32_e32 v1, s35
	s_xor_b32 s1, s1, s0
	s_sub_i32 s2, s1, s0
	s_sub_i32 s0, 0, s35
	v_rcp_iflag_f32_e32 v1, v1
	s_add_i32 s11, s33, -1
	s_abs_i32 s3, s11
	v_mul_f32_e32 v1, 0x4f7ffffe, v1
	v_cvt_u32_f32_e32 v1, v1
	s_barrier
	v_readfirstlane_b32 s52, v1
	s_mul_i32 s0, s0, s52
	s_mul_hi_u32 s0, s52, s0
	s_add_i32 s52, s52, s0
	s_cmp_lt_i32 s10, 0
	s_mul_hi_u32 s7, s3, s52
	s_cbranch_scc0 .LBB280_7
; %bb.6:
	s_mul_i32 s0, s20, s42
	s_add_i32 s0, s2, s0
	s_mul_i32 s0, s0, s10
	s_sub_i32 s42, 1, s0
	s_mov_b64 s[0:1], 0
	s_branch .LBB280_8
.LBB280_7:
	s_mov_b64 s[0:1], -1
                                        ; implicit-def: $sgpr42
.LBB280_8:
	s_load_dwordx2 s[36:37], s[4:5], 0x38
	s_ashr_i32 s11, s11, 31
	s_andn2_b64 vcc, exec, s[0:1]
	s_ashr_i32 s53, s23, 31
	s_cbranch_vccnz .LBB280_10
; %bb.9:
	s_mul_i32 s0, s9, s20
	s_add_i32 s0, s0, s6
	s_mul_i32 s0, s0, s10
	s_add_i32 s42, s0, 1
.LBB280_10:
	s_load_dwordx2 s[40:41], s[4:5], 0x28
	s_load_dword s0, s[4:5], 0x48
	s_load_dwordx4 s[24:27], s[4:5], 0x0
	s_load_dwordx2 s[30:31], s[4:5], 0x10
	s_load_dword s29, s[4:5], 0x98
	s_load_dwordx4 s[12:15], s[4:5], 0x68
	s_mul_i32 s1, s7, s35
	s_waitcnt lgkmcnt(0)
	s_mul_i32 s38, s34, s0
	s_sub_i32 s1, s3, s1
	s_ashr_i32 s39, s38, 31
	s_xor_b32 s0, s11, s53
	s_add_i32 s3, s7, 1
	s_sub_i32 s10, s1, s35
	s_cmp_ge_u32 s1, s35
	s_cselect_b32 s3, s3, s7
	s_cselect_b32 s1, s10, s1
	s_add_i32 s7, s3, 1
	s_cmp_ge_u32 s1, s35
	s_cselect_b32 s1, s7, s3
	s_xor_b32 s1, s1, s0
	s_sub_i32 s16, s1, s0
	s_add_i32 s0, s33, 15
	s_ashr_i32 s1, s0, 31
	s_lshr_b32 s1, s1, 28
	s_add_i32 s0, s0, s1
	s_lshl_b32 s23, s8, 5
	s_ashr_i32 s7, s0, 4
	s_add_i32 s0, s23, 32
	v_lshrrev_b32_e32 v13, 6, v0
	s_min_i32 s54, s0, s7
	v_or_b32_e32 v6, s23, v13
	v_cmp_gt_i32_e64 s[0:1], s54, v6
	v_mov_b32_e32 v17, 0xff7fffff
	s_mul_i32 s20, s2, s18
	v_ashrrev_i32_e32 v7, 31, v6
	v_lshl_add_u32 v1, v13, 4, s55
	v_mbcnt_lo_u32_b32 v5, -1, 0
	s_and_saveexec_b64 s[18:19], s[0:1]
	s_cbranch_execz .LBB280_200
; %bb.11:
	s_load_dwordx2 s[2:3], s[4:5], 0x20
	s_sub_i32 s57, s16, s21
	s_ashr_i32 s4, s20, 31
	v_bfe_u32 v14, v0, 2, 4
	v_lshlrev_b32_e32 v3, 4, v14
	s_waitcnt lgkmcnt(0)
	s_add_u32 s2, s2, s20
	s_addc_u32 s3, s3, s4
	s_abs_i32 s59, s22
	v_cvt_f32_u32_e32 v2, s59
	v_mov_b32_e32 v4, s3
	s_sub_i32 s4, 0, s59
	v_cmp_eq_u32_e32 vcc, 0, v8
	v_rcp_iflag_f32_e32 v9, v2
	v_add_co_u32_e64 v2, s[2:3], s2, v3
	v_addc_co_u32_e64 v3, s[2:3], 0, v4, s[2:3]
	v_mul_f32_e32 v9, 0x4f7ffffe, v9
	v_cvt_u32_f32_e32 v9, v9
	v_lshlrev_b32_e32 v4, 1, v8
	v_mul_u32_u24_e32 v16, 60, v8
	s_mov_b32 s58, s17
	v_mul_lo_u32 v8, s4, v9
	s_lshl_b64 s[4:5], s[38:39], 2
	v_mul_hi_u32 v8, v9, v8
	s_add_u32 s4, s36, s4
	v_add_u32_e32 v18, v9, v8
	v_lshlrev_b64 v[8:9], 2, v[6:7]
	s_addc_u32 s5, s37, s5
	v_mov_b32_e32 v10, s5
	v_add_co_u32_e64 v8, s[4:5], s4, v8
	v_addc_co_u32_e64 v9, s[4:5], v10, v9, s[4:5]
	v_lshlrev_b32_e32 v10, 2, v14
	v_lshl_or_b32 v10, v13, 6, v10
	v_add_u32_e32 v20, 0x100, v10
	v_subrev_u32_e32 v10, s33, v14
	v_mov_b32_e32 v15, 0
	v_cmp_neq_f32_e64 s[2:3], s56, 0
	v_lshl_add_u32 v19, v13, 4, s55
	v_add_u32_e32 v21, 1, v10
	s_mov_b64 s[44:45], 0
	v_mov_b32_e32 v22, 0xff7fffff
	s_movk_i32 s60, 0x80
	s_movk_i32 s61, 0x7f
	s_mov_b32 s62, 0x8000
	v_mov_b32_e32 v23, 0x2000
	v_mbcnt_hi_u32_b32 v24, -1, v5
	v_mov_b32_e32 v17, 0xff7fffff
	v_mov_b32_e32 v25, v6
	s_branch .LBB280_14
.LBB280_12:                             ;   in Loop: Header=BB280_14 Depth=1
	s_or_b64 exec, exec, s[46:47]
.LBB280_13:                             ;   in Loop: Header=BB280_14 Depth=1
	s_or_b64 exec, exec, s[10:11]
	v_add_co_u32_e64 v8, s[4:5], 8, v8
	v_add_u32_e32 v25, 2, v25
	v_addc_co_u32_e64 v9, s[4:5], 0, v9, s[4:5]
	v_cmp_le_i32_e64 s[4:5], s54, v25
	v_add_u32_e32 v19, 32, v19
	s_or_b64 s[44:45], s[4:5], s[44:45]
	v_add_u32_e32 v20, 0x80, v20
	s_andn2_b64 exec, exec, s[44:45]
	s_cbranch_execz .LBB280_199
.LBB280_14:                             ; =>This Inner Loop Header: Depth=1
	s_waitcnt lgkmcnt(0)
	v_sub_u32_e32 v11, 0, v19
	v_max_i32_e32 v11, v19, v11
	v_mul_hi_u32 v12, v11, s52
	v_mul_lo_u32 v26, v12, s35
	v_sub_u32_e32 v11, v11, v26
	v_add_u32_e32 v26, 1, v12
	v_cmp_le_u32_e64 s[4:5], s35, v11
	v_cndmask_b32_e64 v12, v12, v26, s[4:5]
	v_subrev_u32_e32 v26, s35, v11
	v_cndmask_b32_e64 v11, v11, v26, s[4:5]
	v_ashrrev_i32_e32 v10, 31, v19
	v_add_u32_e32 v26, 1, v12
	v_cmp_le_u32_e64 s[4:5], s35, v11
	v_xor_b32_e32 v10, s53, v10
	v_cndmask_b32_e64 v11, v12, v26, s[4:5]
	v_xor_b32_e32 v11, v11, v10
	v_sub_u32_e32 v10, v11, v10
	v_add_u32_e32 v11, s42, v10
	v_sub_u32_e32 v26, 0, v11
	v_ashrrev_i32_e32 v12, 31, v11
	v_max_i32_e32 v11, v11, v26
	v_mul_hi_u32 v26, v11, v18
	v_mul_lo_u32 v26, v26, s59
	v_sub_u32_e32 v11, v11, v26
	v_subrev_u32_e32 v26, s59, v11
	v_cmp_le_u32_e64 s[4:5], s59, v11
	v_cndmask_b32_e64 v11, v11, v26, s[4:5]
	v_subrev_u32_e32 v26, s59, v11
	v_cmp_le_u32_e64 s[4:5], s59, v11
	v_cndmask_b32_e64 v11, v11, v26, s[4:5]
	v_xor_b32_e32 v11, v11, v12
	v_sub_u32_e32 v11, v11, v12
	v_cmp_ne_u32_e64 s[4:5], 0, v11
	v_cmp_ge_i32_e64 s[10:11], s57, v10
	s_and_b64 s[4:5], s[4:5], s[10:11]
	s_and_b64 s[46:47], vcc, s[4:5]
	s_and_saveexec_b64 s[10:11], s[46:47]
	s_cbranch_execz .LBB280_16
; %bb.15:                               ;   in Loop: Header=BB280_14 Depth=1
	ds_write_b32 v20, v22
.LBB280_16:                             ;   in Loop: Header=BB280_14 Depth=1
	s_or_b64 exec, exec, s[10:11]
	s_xor_b64 s[4:5], s[4:5], -1
	s_and_saveexec_b64 s[10:11], s[4:5]
	s_cbranch_execz .LBB280_13
; %bb.17:                               ;   in Loop: Header=BB280_14 Depth=1
	global_load_dword v10, v[8:9], off
	v_mov_b32_e32 v27, 0
	s_waitcnt vmcnt(0)
	v_mad_i64_i32 v[10:11], s[4:5], v10, s58, v[2:3]
	v_add_co_u32_e64 v10, s[4:5], v10, v4
	v_addc_co_u32_e64 v11, s[4:5], 0, v11, s[4:5]
	global_load_ushort v28, v[10:11], off
	global_load_dword v26, v15, s[12:13]
	s_waitcnt vmcnt(1)
	v_and_b32_e32 v12, 0xffff, v28
	v_cmp_ne_u16_sdwa s[4:5], v28, v15 src0_sel:BYTE_0 src1_sel:DWORD
	v_mov_b32_e32 v28, 0
	s_and_saveexec_b64 s[46:47], s[4:5]
	s_cbranch_execz .LBB280_23
; %bb.18:                               ;   in Loop: Header=BB280_14 Depth=1
	v_cmp_ne_u16_sdwa s[4:5], v12, s60 src0_sel:BYTE_0 src1_sel:DWORD
	v_bfrev_b32_e32 v28, 1
	s_and_saveexec_b64 s[48:49], s[4:5]
	s_cbranch_execz .LBB280_22
; %bb.19:                               ;   in Loop: Header=BB280_14 Depth=1
	v_and_b32_e32 v29, 0x7f, v12
	v_cmp_ne_u32_e64 s[4:5], s61, v29
	v_mov_b32_e32 v28, 0x7fc02000
	s_and_saveexec_b64 s[50:51], s[4:5]
	s_cbranch_execz .LBB280_21
; %bb.20:                               ;   in Loop: Header=BB280_14 Depth=1
	v_and_b32_e32 v28, 7, v12
	v_ffbh_u32_e32 v30, v28
	v_min_u32_e32 v33, 32, v30
	v_subrev_u32_e32 v30, 28, v33
	v_lshlrev_b64 v[30:31], v30, v[12:13]
	v_lshrrev_b32_e32 v32, 3, v29
	v_sub_u32_e32 v31, 29, v33
	v_cmp_gt_u32_e64 s[4:5], 8, v29
	v_and_b32_e32 v30, 7, v30
	v_cndmask_b32_e64 v29, v32, v31, s[4:5]
	v_cndmask_b32_e64 v28, v28, v30, s[4:5]
	v_lshlrev_b32_e32 v30, 8, v12
	v_lshl_add_u32 v29, v29, 10, v23
	v_and_or_b32 v29, v30, s62, v29
	v_lshl_or_b32 v28, v28, 7, v29
	v_cvt_f32_f16_e32 v28, v28
.LBB280_21:                             ;   in Loop: Header=BB280_14 Depth=1
	s_or_b64 exec, exec, s[50:51]
.LBB280_22:                             ;   in Loop: Header=BB280_14 Depth=1
	s_or_b64 exec, exec, s[48:49]
.LBB280_23:                             ;   in Loop: Header=BB280_14 Depth=1
	s_or_b64 exec, exec, s[46:47]
	v_lshrrev_b16_e32 v12, 8, v12
	v_cmp_ne_u16_e64 s[4:5], 0, v12
	s_and_saveexec_b64 s[46:47], s[4:5]
	s_cbranch_execz .LBB280_29
; %bb.24:                               ;   in Loop: Header=BB280_14 Depth=1
	v_cmp_ne_u16_e64 s[4:5], s60, v12
	v_bfrev_b32_e32 v27, 1
	s_and_saveexec_b64 s[48:49], s[4:5]
	s_cbranch_execz .LBB280_28
; %bb.25:                               ;   in Loop: Header=BB280_14 Depth=1
	v_and_b32_e32 v29, 0x7f, v12
	v_cmp_ne_u32_e64 s[4:5], s61, v29
	v_mov_b32_e32 v27, 0x7fc02000
	s_and_saveexec_b64 s[50:51], s[4:5]
	s_cbranch_execz .LBB280_27
; %bb.26:                               ;   in Loop: Header=BB280_14 Depth=1
	v_and_b32_e32 v27, 7, v12
	v_ffbh_u32_e32 v30, v27
	v_min_u32_e32 v33, 32, v30
	v_subrev_u32_e32 v30, 28, v33
	v_lshlrev_b64 v[30:31], v30, v[12:13]
	v_lshrrev_b32_e32 v32, 3, v29
	v_sub_u32_e32 v31, 29, v33
	v_cmp_gt_u32_e64 s[4:5], 8, v29
	v_cndmask_b32_e64 v29, v32, v31, s[4:5]
	v_and_b32_e32 v30, 7, v30
	v_lshlrev_b32_e32 v12, 8, v12
	v_lshl_add_u32 v29, v29, 10, v23
	v_cndmask_b32_e64 v27, v27, v30, s[4:5]
	v_and_or_b32 v12, v12, s62, v29
	v_lshl_or_b32 v12, v27, 7, v12
	v_cvt_f32_f16_e32 v27, v12
.LBB280_27:                             ;   in Loop: Header=BB280_14 Depth=1
	s_or_b64 exec, exec, s[50:51]
.LBB280_28:                             ;   in Loop: Header=BB280_14 Depth=1
	s_or_b64 exec, exec, s[48:49]
.LBB280_29:                             ;   in Loop: Header=BB280_14 Depth=1
	s_or_b64 exec, exec, s[46:47]
	global_load_ushort v30, v[10:11], off offset:8
	v_mov_b32_e32 v29, 0
	s_waitcnt vmcnt(0)
	v_and_b32_e32 v12, 0xffff, v30
	v_cmp_ne_u16_sdwa s[4:5], v30, v15 src0_sel:BYTE_0 src1_sel:DWORD
	v_mov_b32_e32 v30, 0
	s_and_saveexec_b64 s[46:47], s[4:5]
	s_cbranch_execz .LBB280_35
; %bb.30:                               ;   in Loop: Header=BB280_14 Depth=1
	v_cmp_ne_u16_sdwa s[4:5], v12, s60 src0_sel:BYTE_0 src1_sel:DWORD
	v_bfrev_b32_e32 v30, 1
	s_and_saveexec_b64 s[48:49], s[4:5]
	s_cbranch_execz .LBB280_34
; %bb.31:                               ;   in Loop: Header=BB280_14 Depth=1
	v_and_b32_e32 v31, 0x7f, v12
	v_cmp_ne_u32_e64 s[4:5], s61, v31
	v_mov_b32_e32 v30, 0x7fc02000
	s_and_saveexec_b64 s[50:51], s[4:5]
	s_cbranch_execz .LBB280_33
; %bb.32:                               ;   in Loop: Header=BB280_14 Depth=1
	v_and_b32_e32 v30, 7, v12
	v_ffbh_u32_e32 v32, v30
	v_min_u32_e32 v35, 32, v32
	v_subrev_u32_e32 v32, 28, v35
	v_lshlrev_b64 v[32:33], v32, v[12:13]
	v_lshrrev_b32_e32 v34, 3, v31
	v_sub_u32_e32 v33, 29, v35
	v_cmp_gt_u32_e64 s[4:5], 8, v31
	v_and_b32_e32 v32, 7, v32
	v_cndmask_b32_e64 v31, v34, v33, s[4:5]
	v_cndmask_b32_e64 v30, v30, v32, s[4:5]
	v_lshlrev_b32_e32 v32, 8, v12
	v_lshl_add_u32 v31, v31, 10, v23
	v_and_or_b32 v31, v32, s62, v31
	v_lshl_or_b32 v30, v30, 7, v31
	v_cvt_f32_f16_e32 v30, v30
.LBB280_33:                             ;   in Loop: Header=BB280_14 Depth=1
	s_or_b64 exec, exec, s[50:51]
.LBB280_34:                             ;   in Loop: Header=BB280_14 Depth=1
	s_or_b64 exec, exec, s[48:49]
.LBB280_35:                             ;   in Loop: Header=BB280_14 Depth=1
	s_or_b64 exec, exec, s[46:47]
	v_lshrrev_b16_e32 v12, 8, v12
	v_cmp_ne_u16_e64 s[4:5], 0, v12
	s_and_saveexec_b64 s[46:47], s[4:5]
	s_cbranch_execz .LBB280_41
; %bb.36:                               ;   in Loop: Header=BB280_14 Depth=1
	v_cmp_ne_u16_e64 s[4:5], s60, v12
	v_bfrev_b32_e32 v29, 1
	s_and_saveexec_b64 s[48:49], s[4:5]
	s_cbranch_execz .LBB280_40
; %bb.37:                               ;   in Loop: Header=BB280_14 Depth=1
	v_and_b32_e32 v31, 0x7f, v12
	v_cmp_ne_u32_e64 s[4:5], s61, v31
	v_mov_b32_e32 v29, 0x7fc02000
	s_and_saveexec_b64 s[50:51], s[4:5]
	s_cbranch_execz .LBB280_39
; %bb.38:                               ;   in Loop: Header=BB280_14 Depth=1
	v_and_b32_e32 v29, 7, v12
	v_ffbh_u32_e32 v32, v29
	v_min_u32_e32 v35, 32, v32
	v_subrev_u32_e32 v32, 28, v35
	v_lshlrev_b64 v[32:33], v32, v[12:13]
	v_lshrrev_b32_e32 v34, 3, v31
	v_sub_u32_e32 v33, 29, v35
	v_cmp_gt_u32_e64 s[4:5], 8, v31
	v_cndmask_b32_e64 v31, v34, v33, s[4:5]
	v_and_b32_e32 v32, 7, v32
	v_lshlrev_b32_e32 v12, 8, v12
	v_lshl_add_u32 v31, v31, 10, v23
	v_cndmask_b32_e64 v29, v29, v32, s[4:5]
	v_and_or_b32 v12, v12, s62, v31
	v_lshl_or_b32 v12, v29, 7, v12
	v_cvt_f32_f16_e32 v29, v12
.LBB280_39:                             ;   in Loop: Header=BB280_14 Depth=1
	s_or_b64 exec, exec, s[50:51]
.LBB280_40:                             ;   in Loop: Header=BB280_14 Depth=1
	s_or_b64 exec, exec, s[48:49]
.LBB280_41:                             ;   in Loop: Header=BB280_14 Depth=1
	s_or_b64 exec, exec, s[46:47]
	global_load_ushort v32, v[10:11], off offset:256
	v_mov_b32_e32 v31, 0
	s_waitcnt vmcnt(0)
	v_and_b32_e32 v12, 0xffff, v32
	v_cmp_ne_u16_sdwa s[4:5], v32, v15 src0_sel:BYTE_0 src1_sel:DWORD
	v_mov_b32_e32 v32, 0
	s_and_saveexec_b64 s[46:47], s[4:5]
	s_cbranch_execz .LBB280_47
; %bb.42:                               ;   in Loop: Header=BB280_14 Depth=1
	v_cmp_ne_u16_sdwa s[4:5], v12, s60 src0_sel:BYTE_0 src1_sel:DWORD
	v_bfrev_b32_e32 v32, 1
	s_and_saveexec_b64 s[48:49], s[4:5]
	s_cbranch_execz .LBB280_46
; %bb.43:                               ;   in Loop: Header=BB280_14 Depth=1
	v_and_b32_e32 v33, 0x7f, v12
	v_cmp_ne_u32_e64 s[4:5], s61, v33
	v_mov_b32_e32 v32, 0x7fc02000
	s_and_saveexec_b64 s[50:51], s[4:5]
	s_cbranch_execz .LBB280_45
; %bb.44:                               ;   in Loop: Header=BB280_14 Depth=1
	v_and_b32_e32 v32, 7, v12
	v_ffbh_u32_e32 v34, v32
	v_min_u32_e32 v37, 32, v34
	v_subrev_u32_e32 v34, 28, v37
	v_lshlrev_b64 v[34:35], v34, v[12:13]
	v_lshrrev_b32_e32 v36, 3, v33
	v_sub_u32_e32 v35, 29, v37
	v_cmp_gt_u32_e64 s[4:5], 8, v33
	v_and_b32_e32 v34, 7, v34
	v_cndmask_b32_e64 v33, v36, v35, s[4:5]
	v_cndmask_b32_e64 v32, v32, v34, s[4:5]
	v_lshlrev_b32_e32 v34, 8, v12
	v_lshl_add_u32 v33, v33, 10, v23
	v_and_or_b32 v33, v34, s62, v33
	v_lshl_or_b32 v32, v32, 7, v33
	v_cvt_f32_f16_e32 v32, v32
.LBB280_45:                             ;   in Loop: Header=BB280_14 Depth=1
	s_or_b64 exec, exec, s[50:51]
.LBB280_46:                             ;   in Loop: Header=BB280_14 Depth=1
	s_or_b64 exec, exec, s[48:49]
.LBB280_47:                             ;   in Loop: Header=BB280_14 Depth=1
	s_or_b64 exec, exec, s[46:47]
	v_lshrrev_b16_e32 v12, 8, v12
	v_cmp_ne_u16_e64 s[4:5], 0, v12
	s_and_saveexec_b64 s[46:47], s[4:5]
	s_cbranch_execz .LBB280_53
; %bb.48:                               ;   in Loop: Header=BB280_14 Depth=1
	v_cmp_ne_u16_e64 s[4:5], s60, v12
	v_bfrev_b32_e32 v31, 1
	s_and_saveexec_b64 s[48:49], s[4:5]
	s_cbranch_execz .LBB280_52
; %bb.49:                               ;   in Loop: Header=BB280_14 Depth=1
	v_and_b32_e32 v33, 0x7f, v12
	v_cmp_ne_u32_e64 s[4:5], s61, v33
	v_mov_b32_e32 v31, 0x7fc02000
	s_and_saveexec_b64 s[50:51], s[4:5]
	s_cbranch_execz .LBB280_51
; %bb.50:                               ;   in Loop: Header=BB280_14 Depth=1
	v_and_b32_e32 v31, 7, v12
	v_ffbh_u32_e32 v34, v31
	v_min_u32_e32 v37, 32, v34
	v_subrev_u32_e32 v34, 28, v37
	v_lshlrev_b64 v[34:35], v34, v[12:13]
	v_lshrrev_b32_e32 v36, 3, v33
	v_sub_u32_e32 v35, 29, v37
	v_cmp_gt_u32_e64 s[4:5], 8, v33
	v_cndmask_b32_e64 v33, v36, v35, s[4:5]
	v_and_b32_e32 v34, 7, v34
	v_lshlrev_b32_e32 v12, 8, v12
	v_lshl_add_u32 v33, v33, 10, v23
	v_cndmask_b32_e64 v31, v31, v34, s[4:5]
	v_and_or_b32 v12, v12, s62, v33
	v_lshl_or_b32 v12, v31, 7, v12
	v_cvt_f32_f16_e32 v31, v12
.LBB280_51:                             ;   in Loop: Header=BB280_14 Depth=1
	s_or_b64 exec, exec, s[50:51]
.LBB280_52:                             ;   in Loop: Header=BB280_14 Depth=1
	s_or_b64 exec, exec, s[48:49]
.LBB280_53:                             ;   in Loop: Header=BB280_14 Depth=1
	s_or_b64 exec, exec, s[46:47]
	global_load_ushort v34, v[10:11], off offset:264
	v_mov_b32_e32 v33, 0
	s_waitcnt vmcnt(0)
	v_and_b32_e32 v12, 0xffff, v34
	v_cmp_ne_u16_sdwa s[4:5], v34, v15 src0_sel:BYTE_0 src1_sel:DWORD
	v_mov_b32_e32 v34, 0
	s_and_saveexec_b64 s[46:47], s[4:5]
	s_cbranch_execz .LBB280_59
; %bb.54:                               ;   in Loop: Header=BB280_14 Depth=1
	v_cmp_ne_u16_sdwa s[4:5], v12, s60 src0_sel:BYTE_0 src1_sel:DWORD
	v_bfrev_b32_e32 v34, 1
	s_and_saveexec_b64 s[48:49], s[4:5]
	s_cbranch_execz .LBB280_58
; %bb.55:                               ;   in Loop: Header=BB280_14 Depth=1
	v_and_b32_e32 v35, 0x7f, v12
	v_cmp_ne_u32_e64 s[4:5], s61, v35
	v_mov_b32_e32 v34, 0x7fc02000
	s_and_saveexec_b64 s[50:51], s[4:5]
	s_cbranch_execz .LBB280_57
; %bb.56:                               ;   in Loop: Header=BB280_14 Depth=1
	v_and_b32_e32 v34, 7, v12
	v_ffbh_u32_e32 v36, v34
	v_min_u32_e32 v39, 32, v36
	v_subrev_u32_e32 v36, 28, v39
	v_lshlrev_b64 v[36:37], v36, v[12:13]
	v_lshrrev_b32_e32 v38, 3, v35
	v_sub_u32_e32 v37, 29, v39
	v_cmp_gt_u32_e64 s[4:5], 8, v35
	v_and_b32_e32 v36, 7, v36
	v_cndmask_b32_e64 v35, v38, v37, s[4:5]
	v_cndmask_b32_e64 v34, v34, v36, s[4:5]
	v_lshlrev_b32_e32 v36, 8, v12
	v_lshl_add_u32 v35, v35, 10, v23
	v_and_or_b32 v35, v36, s62, v35
	v_lshl_or_b32 v34, v34, 7, v35
	v_cvt_f32_f16_e32 v34, v34
.LBB280_57:                             ;   in Loop: Header=BB280_14 Depth=1
	s_or_b64 exec, exec, s[50:51]
.LBB280_58:                             ;   in Loop: Header=BB280_14 Depth=1
	s_or_b64 exec, exec, s[48:49]
.LBB280_59:                             ;   in Loop: Header=BB280_14 Depth=1
	s_or_b64 exec, exec, s[46:47]
	v_lshrrev_b16_e32 v12, 8, v12
	v_cmp_ne_u16_e64 s[4:5], 0, v12
	s_and_saveexec_b64 s[46:47], s[4:5]
	s_cbranch_execz .LBB280_65
; %bb.60:                               ;   in Loop: Header=BB280_14 Depth=1
	v_cmp_ne_u16_e64 s[4:5], s60, v12
	v_bfrev_b32_e32 v33, 1
	s_and_saveexec_b64 s[48:49], s[4:5]
	s_cbranch_execz .LBB280_64
; %bb.61:                               ;   in Loop: Header=BB280_14 Depth=1
	v_and_b32_e32 v35, 0x7f, v12
	v_cmp_ne_u32_e64 s[4:5], s61, v35
	v_mov_b32_e32 v33, 0x7fc02000
	s_and_saveexec_b64 s[50:51], s[4:5]
	s_cbranch_execz .LBB280_63
; %bb.62:                               ;   in Loop: Header=BB280_14 Depth=1
	v_and_b32_e32 v33, 7, v12
	v_ffbh_u32_e32 v36, v33
	v_min_u32_e32 v39, 32, v36
	v_subrev_u32_e32 v36, 28, v39
	v_lshlrev_b64 v[36:37], v36, v[12:13]
	v_lshrrev_b32_e32 v38, 3, v35
	v_sub_u32_e32 v37, 29, v39
	v_cmp_gt_u32_e64 s[4:5], 8, v35
	v_cndmask_b32_e64 v35, v38, v37, s[4:5]
	v_and_b32_e32 v36, 7, v36
	v_lshlrev_b32_e32 v12, 8, v12
	v_lshl_add_u32 v35, v35, 10, v23
	v_cndmask_b32_e64 v33, v33, v36, s[4:5]
	v_and_or_b32 v12, v12, s62, v35
	v_lshl_or_b32 v12, v33, 7, v12
	v_cvt_f32_f16_e32 v33, v12
.LBB280_63:                             ;   in Loop: Header=BB280_14 Depth=1
	s_or_b64 exec, exec, s[50:51]
.LBB280_64:                             ;   in Loop: Header=BB280_14 Depth=1
	s_or_b64 exec, exec, s[48:49]
.LBB280_65:                             ;   in Loop: Header=BB280_14 Depth=1
	s_or_b64 exec, exec, s[46:47]
	global_load_ushort v36, v[10:11], off offset:512
	v_mov_b32_e32 v35, 0
	s_waitcnt vmcnt(0)
	v_and_b32_e32 v12, 0xffff, v36
	v_cmp_ne_u16_sdwa s[4:5], v36, v15 src0_sel:BYTE_0 src1_sel:DWORD
	v_mov_b32_e32 v36, 0
	s_and_saveexec_b64 s[46:47], s[4:5]
	s_cbranch_execz .LBB280_71
; %bb.66:                               ;   in Loop: Header=BB280_14 Depth=1
	v_cmp_ne_u16_sdwa s[4:5], v12, s60 src0_sel:BYTE_0 src1_sel:DWORD
	v_bfrev_b32_e32 v36, 1
	s_and_saveexec_b64 s[48:49], s[4:5]
	s_cbranch_execz .LBB280_70
; %bb.67:                               ;   in Loop: Header=BB280_14 Depth=1
	v_and_b32_e32 v37, 0x7f, v12
	v_cmp_ne_u32_e64 s[4:5], s61, v37
	v_mov_b32_e32 v36, 0x7fc02000
	s_and_saveexec_b64 s[50:51], s[4:5]
	s_cbranch_execz .LBB280_69
; %bb.68:                               ;   in Loop: Header=BB280_14 Depth=1
	v_and_b32_e32 v36, 7, v12
	v_ffbh_u32_e32 v38, v36
	v_min_u32_e32 v41, 32, v38
	v_subrev_u32_e32 v38, 28, v41
	v_lshlrev_b64 v[38:39], v38, v[12:13]
	v_lshrrev_b32_e32 v40, 3, v37
	v_sub_u32_e32 v39, 29, v41
	v_cmp_gt_u32_e64 s[4:5], 8, v37
	v_and_b32_e32 v38, 7, v38
	v_cndmask_b32_e64 v37, v40, v39, s[4:5]
	v_cndmask_b32_e64 v36, v36, v38, s[4:5]
	v_lshlrev_b32_e32 v38, 8, v12
	v_lshl_add_u32 v37, v37, 10, v23
	v_and_or_b32 v37, v38, s62, v37
	v_lshl_or_b32 v36, v36, 7, v37
	v_cvt_f32_f16_e32 v36, v36
.LBB280_69:                             ;   in Loop: Header=BB280_14 Depth=1
	s_or_b64 exec, exec, s[50:51]
.LBB280_70:                             ;   in Loop: Header=BB280_14 Depth=1
	s_or_b64 exec, exec, s[48:49]
.LBB280_71:                             ;   in Loop: Header=BB280_14 Depth=1
	s_or_b64 exec, exec, s[46:47]
	v_lshrrev_b16_e32 v12, 8, v12
	v_cmp_ne_u16_e64 s[4:5], 0, v12
	s_and_saveexec_b64 s[46:47], s[4:5]
	s_cbranch_execz .LBB280_77
; %bb.72:                               ;   in Loop: Header=BB280_14 Depth=1
	v_cmp_ne_u16_e64 s[4:5], s60, v12
	v_bfrev_b32_e32 v35, 1
	s_and_saveexec_b64 s[48:49], s[4:5]
	s_cbranch_execz .LBB280_76
; %bb.73:                               ;   in Loop: Header=BB280_14 Depth=1
	v_and_b32_e32 v37, 0x7f, v12
	v_cmp_ne_u32_e64 s[4:5], s61, v37
	v_mov_b32_e32 v35, 0x7fc02000
	s_and_saveexec_b64 s[50:51], s[4:5]
	s_cbranch_execz .LBB280_75
; %bb.74:                               ;   in Loop: Header=BB280_14 Depth=1
	v_and_b32_e32 v35, 7, v12
	v_ffbh_u32_e32 v38, v35
	v_min_u32_e32 v41, 32, v38
	v_subrev_u32_e32 v38, 28, v41
	v_lshlrev_b64 v[38:39], v38, v[12:13]
	v_lshrrev_b32_e32 v40, 3, v37
	v_sub_u32_e32 v39, 29, v41
	v_cmp_gt_u32_e64 s[4:5], 8, v37
	v_cndmask_b32_e64 v37, v40, v39, s[4:5]
	v_and_b32_e32 v38, 7, v38
	v_lshlrev_b32_e32 v12, 8, v12
	v_lshl_add_u32 v37, v37, 10, v23
	v_cndmask_b32_e64 v35, v35, v38, s[4:5]
	v_and_or_b32 v12, v12, s62, v37
	v_lshl_or_b32 v12, v35, 7, v12
	v_cvt_f32_f16_e32 v35, v12
.LBB280_75:                             ;   in Loop: Header=BB280_14 Depth=1
	s_or_b64 exec, exec, s[50:51]
.LBB280_76:                             ;   in Loop: Header=BB280_14 Depth=1
	s_or_b64 exec, exec, s[48:49]
.LBB280_77:                             ;   in Loop: Header=BB280_14 Depth=1
	s_or_b64 exec, exec, s[46:47]
	global_load_ushort v38, v[10:11], off offset:520
	v_mov_b32_e32 v37, 0
	s_waitcnt vmcnt(0)
	v_and_b32_e32 v12, 0xffff, v38
	v_cmp_ne_u16_sdwa s[4:5], v38, v15 src0_sel:BYTE_0 src1_sel:DWORD
	v_mov_b32_e32 v38, 0
	s_and_saveexec_b64 s[46:47], s[4:5]
	s_cbranch_execz .LBB280_83
; %bb.78:                               ;   in Loop: Header=BB280_14 Depth=1
	v_cmp_ne_u16_sdwa s[4:5], v12, s60 src0_sel:BYTE_0 src1_sel:DWORD
	v_bfrev_b32_e32 v38, 1
	s_and_saveexec_b64 s[48:49], s[4:5]
	s_cbranch_execz .LBB280_82
; %bb.79:                               ;   in Loop: Header=BB280_14 Depth=1
	v_and_b32_e32 v39, 0x7f, v12
	v_cmp_ne_u32_e64 s[4:5], s61, v39
	v_mov_b32_e32 v38, 0x7fc02000
	s_and_saveexec_b64 s[50:51], s[4:5]
	s_cbranch_execz .LBB280_81
; %bb.80:                               ;   in Loop: Header=BB280_14 Depth=1
	v_and_b32_e32 v38, 7, v12
	v_ffbh_u32_e32 v40, v38
	v_min_u32_e32 v43, 32, v40
	v_subrev_u32_e32 v40, 28, v43
	v_lshlrev_b64 v[40:41], v40, v[12:13]
	v_lshrrev_b32_e32 v42, 3, v39
	v_sub_u32_e32 v41, 29, v43
	v_cmp_gt_u32_e64 s[4:5], 8, v39
	v_and_b32_e32 v40, 7, v40
	v_cndmask_b32_e64 v39, v42, v41, s[4:5]
	v_cndmask_b32_e64 v38, v38, v40, s[4:5]
	v_lshlrev_b32_e32 v40, 8, v12
	v_lshl_add_u32 v39, v39, 10, v23
	v_and_or_b32 v39, v40, s62, v39
	v_lshl_or_b32 v38, v38, 7, v39
	v_cvt_f32_f16_e32 v38, v38
.LBB280_81:                             ;   in Loop: Header=BB280_14 Depth=1
	s_or_b64 exec, exec, s[50:51]
.LBB280_82:                             ;   in Loop: Header=BB280_14 Depth=1
	s_or_b64 exec, exec, s[48:49]
.LBB280_83:                             ;   in Loop: Header=BB280_14 Depth=1
	s_or_b64 exec, exec, s[46:47]
	v_lshrrev_b16_e32 v12, 8, v12
	v_cmp_ne_u16_e64 s[4:5], 0, v12
	s_and_saveexec_b64 s[46:47], s[4:5]
	s_cbranch_execz .LBB280_89
; %bb.84:                               ;   in Loop: Header=BB280_14 Depth=1
	v_cmp_ne_u16_e64 s[4:5], s60, v12
	v_bfrev_b32_e32 v37, 1
	s_and_saveexec_b64 s[48:49], s[4:5]
	s_cbranch_execz .LBB280_88
; %bb.85:                               ;   in Loop: Header=BB280_14 Depth=1
	v_and_b32_e32 v39, 0x7f, v12
	v_cmp_ne_u32_e64 s[4:5], s61, v39
	v_mov_b32_e32 v37, 0x7fc02000
	s_and_saveexec_b64 s[50:51], s[4:5]
	s_cbranch_execz .LBB280_87
; %bb.86:                               ;   in Loop: Header=BB280_14 Depth=1
	v_and_b32_e32 v37, 7, v12
	v_ffbh_u32_e32 v40, v37
	v_min_u32_e32 v43, 32, v40
	v_subrev_u32_e32 v40, 28, v43
	v_lshlrev_b64 v[40:41], v40, v[12:13]
	v_lshrrev_b32_e32 v42, 3, v39
	v_sub_u32_e32 v41, 29, v43
	v_cmp_gt_u32_e64 s[4:5], 8, v39
	v_cndmask_b32_e64 v39, v42, v41, s[4:5]
	v_and_b32_e32 v40, 7, v40
	v_lshlrev_b32_e32 v12, 8, v12
	v_lshl_add_u32 v39, v39, 10, v23
	v_cndmask_b32_e64 v37, v37, v40, s[4:5]
	v_and_or_b32 v12, v12, s62, v39
	v_lshl_or_b32 v12, v37, 7, v12
	v_cvt_f32_f16_e32 v37, v12
.LBB280_87:                             ;   in Loop: Header=BB280_14 Depth=1
	s_or_b64 exec, exec, s[50:51]
.LBB280_88:                             ;   in Loop: Header=BB280_14 Depth=1
	s_or_b64 exec, exec, s[48:49]
.LBB280_89:                             ;   in Loop: Header=BB280_14 Depth=1
	s_or_b64 exec, exec, s[46:47]
	global_load_ushort v40, v[10:11], off offset:768
	v_mov_b32_e32 v39, 0
	s_waitcnt vmcnt(0)
	v_and_b32_e32 v12, 0xffff, v40
	v_cmp_ne_u16_sdwa s[4:5], v40, v15 src0_sel:BYTE_0 src1_sel:DWORD
	v_mov_b32_e32 v40, 0
	s_and_saveexec_b64 s[46:47], s[4:5]
	s_cbranch_execz .LBB280_95
; %bb.90:                               ;   in Loop: Header=BB280_14 Depth=1
	v_cmp_ne_u16_sdwa s[4:5], v12, s60 src0_sel:BYTE_0 src1_sel:DWORD
	v_bfrev_b32_e32 v40, 1
	s_and_saveexec_b64 s[48:49], s[4:5]
	s_cbranch_execz .LBB280_94
; %bb.91:                               ;   in Loop: Header=BB280_14 Depth=1
	v_and_b32_e32 v41, 0x7f, v12
	v_cmp_ne_u32_e64 s[4:5], s61, v41
	v_mov_b32_e32 v40, 0x7fc02000
	s_and_saveexec_b64 s[50:51], s[4:5]
	s_cbranch_execz .LBB280_93
; %bb.92:                               ;   in Loop: Header=BB280_14 Depth=1
	v_and_b32_e32 v40, 7, v12
	v_ffbh_u32_e32 v42, v40
	v_min_u32_e32 v45, 32, v42
	v_subrev_u32_e32 v42, 28, v45
	v_lshlrev_b64 v[42:43], v42, v[12:13]
	v_lshrrev_b32_e32 v44, 3, v41
	v_sub_u32_e32 v43, 29, v45
	v_cmp_gt_u32_e64 s[4:5], 8, v41
	v_and_b32_e32 v42, 7, v42
	v_cndmask_b32_e64 v41, v44, v43, s[4:5]
	v_cndmask_b32_e64 v40, v40, v42, s[4:5]
	v_lshlrev_b32_e32 v42, 8, v12
	v_lshl_add_u32 v41, v41, 10, v23
	v_and_or_b32 v41, v42, s62, v41
	v_lshl_or_b32 v40, v40, 7, v41
	v_cvt_f32_f16_e32 v40, v40
.LBB280_93:                             ;   in Loop: Header=BB280_14 Depth=1
	s_or_b64 exec, exec, s[50:51]
.LBB280_94:                             ;   in Loop: Header=BB280_14 Depth=1
	s_or_b64 exec, exec, s[48:49]
.LBB280_95:                             ;   in Loop: Header=BB280_14 Depth=1
	s_or_b64 exec, exec, s[46:47]
	v_lshrrev_b16_e32 v12, 8, v12
	v_cmp_ne_u16_e64 s[4:5], 0, v12
	s_and_saveexec_b64 s[46:47], s[4:5]
	s_cbranch_execz .LBB280_101
; %bb.96:                               ;   in Loop: Header=BB280_14 Depth=1
	v_cmp_ne_u16_e64 s[4:5], s60, v12
	v_bfrev_b32_e32 v39, 1
	s_and_saveexec_b64 s[48:49], s[4:5]
	s_cbranch_execz .LBB280_100
; %bb.97:                               ;   in Loop: Header=BB280_14 Depth=1
	v_and_b32_e32 v41, 0x7f, v12
	v_cmp_ne_u32_e64 s[4:5], s61, v41
	v_mov_b32_e32 v39, 0x7fc02000
	s_and_saveexec_b64 s[50:51], s[4:5]
	s_cbranch_execz .LBB280_99
; %bb.98:                               ;   in Loop: Header=BB280_14 Depth=1
	v_and_b32_e32 v39, 7, v12
	v_ffbh_u32_e32 v42, v39
	v_min_u32_e32 v45, 32, v42
	v_subrev_u32_e32 v42, 28, v45
	v_lshlrev_b64 v[42:43], v42, v[12:13]
	v_lshrrev_b32_e32 v44, 3, v41
	v_sub_u32_e32 v43, 29, v45
	v_cmp_gt_u32_e64 s[4:5], 8, v41
	v_cndmask_b32_e64 v41, v44, v43, s[4:5]
	v_and_b32_e32 v42, 7, v42
	v_lshlrev_b32_e32 v12, 8, v12
	v_lshl_add_u32 v41, v41, 10, v23
	v_cndmask_b32_e64 v39, v39, v42, s[4:5]
	v_and_or_b32 v12, v12, s62, v41
	v_lshl_or_b32 v12, v39, 7, v12
	v_cvt_f32_f16_e32 v39, v12
.LBB280_99:                             ;   in Loop: Header=BB280_14 Depth=1
	s_or_b64 exec, exec, s[50:51]
.LBB280_100:                            ;   in Loop: Header=BB280_14 Depth=1
	s_or_b64 exec, exec, s[48:49]
.LBB280_101:                            ;   in Loop: Header=BB280_14 Depth=1
	s_or_b64 exec, exec, s[46:47]
	global_load_ushort v42, v[10:11], off offset:776
	v_mov_b32_e32 v41, 0
	s_waitcnt vmcnt(0)
	v_and_b32_e32 v12, 0xffff, v42
	v_cmp_ne_u16_sdwa s[4:5], v42, v15 src0_sel:BYTE_0 src1_sel:DWORD
	v_mov_b32_e32 v42, 0
	s_and_saveexec_b64 s[46:47], s[4:5]
	s_cbranch_execz .LBB280_107
; %bb.102:                              ;   in Loop: Header=BB280_14 Depth=1
	v_cmp_ne_u16_sdwa s[4:5], v12, s60 src0_sel:BYTE_0 src1_sel:DWORD
	v_bfrev_b32_e32 v42, 1
	s_and_saveexec_b64 s[48:49], s[4:5]
	s_cbranch_execz .LBB280_106
; %bb.103:                              ;   in Loop: Header=BB280_14 Depth=1
	v_and_b32_e32 v43, 0x7f, v12
	v_cmp_ne_u32_e64 s[4:5], s61, v43
	v_mov_b32_e32 v42, 0x7fc02000
	s_and_saveexec_b64 s[50:51], s[4:5]
	s_cbranch_execz .LBB280_105
; %bb.104:                              ;   in Loop: Header=BB280_14 Depth=1
	v_and_b32_e32 v42, 7, v12
	v_ffbh_u32_e32 v44, v42
	v_min_u32_e32 v47, 32, v44
	v_subrev_u32_e32 v44, 28, v47
	v_lshlrev_b64 v[44:45], v44, v[12:13]
	v_lshrrev_b32_e32 v46, 3, v43
	v_sub_u32_e32 v45, 29, v47
	v_cmp_gt_u32_e64 s[4:5], 8, v43
	v_and_b32_e32 v44, 7, v44
	v_cndmask_b32_e64 v43, v46, v45, s[4:5]
	v_cndmask_b32_e64 v42, v42, v44, s[4:5]
	v_lshlrev_b32_e32 v44, 8, v12
	v_lshl_add_u32 v43, v43, 10, v23
	v_and_or_b32 v43, v44, s62, v43
	v_lshl_or_b32 v42, v42, 7, v43
	v_cvt_f32_f16_e32 v42, v42
.LBB280_105:                            ;   in Loop: Header=BB280_14 Depth=1
	s_or_b64 exec, exec, s[50:51]
.LBB280_106:                            ;   in Loop: Header=BB280_14 Depth=1
	s_or_b64 exec, exec, s[48:49]
.LBB280_107:                            ;   in Loop: Header=BB280_14 Depth=1
	s_or_b64 exec, exec, s[46:47]
	v_lshrrev_b16_e32 v12, 8, v12
	v_cmp_ne_u16_e64 s[4:5], 0, v12
	s_and_saveexec_b64 s[46:47], s[4:5]
	s_cbranch_execz .LBB280_113
; %bb.108:                              ;   in Loop: Header=BB280_14 Depth=1
	v_cmp_ne_u16_e64 s[4:5], s60, v12
	v_bfrev_b32_e32 v41, 1
	s_and_saveexec_b64 s[48:49], s[4:5]
	s_cbranch_execz .LBB280_112
; %bb.109:                              ;   in Loop: Header=BB280_14 Depth=1
	v_and_b32_e32 v43, 0x7f, v12
	v_cmp_ne_u32_e64 s[4:5], s61, v43
	v_mov_b32_e32 v41, 0x7fc02000
	s_and_saveexec_b64 s[50:51], s[4:5]
	s_cbranch_execz .LBB280_111
; %bb.110:                              ;   in Loop: Header=BB280_14 Depth=1
	v_and_b32_e32 v41, 7, v12
	v_ffbh_u32_e32 v44, v41
	v_min_u32_e32 v47, 32, v44
	v_subrev_u32_e32 v44, 28, v47
	v_lshlrev_b64 v[44:45], v44, v[12:13]
	v_lshrrev_b32_e32 v46, 3, v43
	v_sub_u32_e32 v45, 29, v47
	v_cmp_gt_u32_e64 s[4:5], 8, v43
	v_cndmask_b32_e64 v43, v46, v45, s[4:5]
	v_and_b32_e32 v44, 7, v44
	v_lshlrev_b32_e32 v12, 8, v12
	v_lshl_add_u32 v43, v43, 10, v23
	v_cndmask_b32_e64 v41, v41, v44, s[4:5]
	v_and_or_b32 v12, v12, s62, v43
	v_lshl_or_b32 v12, v41, 7, v12
	v_cvt_f32_f16_e32 v41, v12
.LBB280_111:                            ;   in Loop: Header=BB280_14 Depth=1
	s_or_b64 exec, exec, s[50:51]
.LBB280_112:                            ;   in Loop: Header=BB280_14 Depth=1
	s_or_b64 exec, exec, s[48:49]
.LBB280_113:                            ;   in Loop: Header=BB280_14 Depth=1
	s_or_b64 exec, exec, s[46:47]
	global_load_ushort v44, v[10:11], off offset:1024
	v_mov_b32_e32 v43, 0
	s_waitcnt vmcnt(0)
	v_and_b32_e32 v12, 0xffff, v44
	v_cmp_ne_u16_sdwa s[4:5], v44, v15 src0_sel:BYTE_0 src1_sel:DWORD
	v_mov_b32_e32 v44, 0
	s_and_saveexec_b64 s[46:47], s[4:5]
	s_cbranch_execz .LBB280_119
; %bb.114:                              ;   in Loop: Header=BB280_14 Depth=1
	v_cmp_ne_u16_sdwa s[4:5], v12, s60 src0_sel:BYTE_0 src1_sel:DWORD
	v_bfrev_b32_e32 v44, 1
	s_and_saveexec_b64 s[48:49], s[4:5]
	s_cbranch_execz .LBB280_118
; %bb.115:                              ;   in Loop: Header=BB280_14 Depth=1
	v_and_b32_e32 v45, 0x7f, v12
	v_cmp_ne_u32_e64 s[4:5], s61, v45
	v_mov_b32_e32 v44, 0x7fc02000
	s_and_saveexec_b64 s[50:51], s[4:5]
	s_cbranch_execz .LBB280_117
; %bb.116:                              ;   in Loop: Header=BB280_14 Depth=1
	v_and_b32_e32 v44, 7, v12
	v_ffbh_u32_e32 v46, v44
	v_min_u32_e32 v49, 32, v46
	v_subrev_u32_e32 v46, 28, v49
	v_lshlrev_b64 v[46:47], v46, v[12:13]
	v_lshrrev_b32_e32 v48, 3, v45
	v_sub_u32_e32 v47, 29, v49
	v_cmp_gt_u32_e64 s[4:5], 8, v45
	v_and_b32_e32 v46, 7, v46
	v_cndmask_b32_e64 v45, v48, v47, s[4:5]
	v_cndmask_b32_e64 v44, v44, v46, s[4:5]
	v_lshlrev_b32_e32 v46, 8, v12
	v_lshl_add_u32 v45, v45, 10, v23
	v_and_or_b32 v45, v46, s62, v45
	v_lshl_or_b32 v44, v44, 7, v45
	v_cvt_f32_f16_e32 v44, v44
.LBB280_117:                            ;   in Loop: Header=BB280_14 Depth=1
	s_or_b64 exec, exec, s[50:51]
.LBB280_118:                            ;   in Loop: Header=BB280_14 Depth=1
	s_or_b64 exec, exec, s[48:49]
.LBB280_119:                            ;   in Loop: Header=BB280_14 Depth=1
	s_or_b64 exec, exec, s[46:47]
	v_lshrrev_b16_e32 v12, 8, v12
	v_cmp_ne_u16_e64 s[4:5], 0, v12
	s_and_saveexec_b64 s[46:47], s[4:5]
	s_cbranch_execz .LBB280_125
; %bb.120:                              ;   in Loop: Header=BB280_14 Depth=1
	v_cmp_ne_u16_e64 s[4:5], s60, v12
	v_bfrev_b32_e32 v43, 1
	s_and_saveexec_b64 s[48:49], s[4:5]
	s_cbranch_execz .LBB280_124
; %bb.121:                              ;   in Loop: Header=BB280_14 Depth=1
	v_and_b32_e32 v45, 0x7f, v12
	v_cmp_ne_u32_e64 s[4:5], s61, v45
	v_mov_b32_e32 v43, 0x7fc02000
	s_and_saveexec_b64 s[50:51], s[4:5]
	s_cbranch_execz .LBB280_123
; %bb.122:                              ;   in Loop: Header=BB280_14 Depth=1
	v_and_b32_e32 v43, 7, v12
	v_ffbh_u32_e32 v46, v43
	v_min_u32_e32 v49, 32, v46
	v_subrev_u32_e32 v46, 28, v49
	v_lshlrev_b64 v[46:47], v46, v[12:13]
	v_lshrrev_b32_e32 v48, 3, v45
	v_sub_u32_e32 v47, 29, v49
	v_cmp_gt_u32_e64 s[4:5], 8, v45
	v_cndmask_b32_e64 v45, v48, v47, s[4:5]
	v_and_b32_e32 v46, 7, v46
	v_lshlrev_b32_e32 v12, 8, v12
	v_lshl_add_u32 v45, v45, 10, v23
	v_cndmask_b32_e64 v43, v43, v46, s[4:5]
	v_and_or_b32 v12, v12, s62, v45
	v_lshl_or_b32 v12, v43, 7, v12
	v_cvt_f32_f16_e32 v43, v12
.LBB280_123:                            ;   in Loop: Header=BB280_14 Depth=1
	s_or_b64 exec, exec, s[50:51]
.LBB280_124:                            ;   in Loop: Header=BB280_14 Depth=1
	s_or_b64 exec, exec, s[48:49]
.LBB280_125:                            ;   in Loop: Header=BB280_14 Depth=1
	s_or_b64 exec, exec, s[46:47]
	global_load_ushort v46, v[10:11], off offset:1032
	v_mov_b32_e32 v45, 0
	s_waitcnt vmcnt(0)
	v_and_b32_e32 v12, 0xffff, v46
	v_cmp_ne_u16_sdwa s[4:5], v46, v15 src0_sel:BYTE_0 src1_sel:DWORD
	v_mov_b32_e32 v46, 0
	s_and_saveexec_b64 s[46:47], s[4:5]
	s_cbranch_execz .LBB280_131
; %bb.126:                              ;   in Loop: Header=BB280_14 Depth=1
	v_cmp_ne_u16_sdwa s[4:5], v12, s60 src0_sel:BYTE_0 src1_sel:DWORD
	v_bfrev_b32_e32 v46, 1
	s_and_saveexec_b64 s[48:49], s[4:5]
	s_cbranch_execz .LBB280_130
; %bb.127:                              ;   in Loop: Header=BB280_14 Depth=1
	v_and_b32_e32 v47, 0x7f, v12
	v_cmp_ne_u32_e64 s[4:5], s61, v47
	v_mov_b32_e32 v46, 0x7fc02000
	s_and_saveexec_b64 s[50:51], s[4:5]
	s_cbranch_execz .LBB280_129
; %bb.128:                              ;   in Loop: Header=BB280_14 Depth=1
	v_and_b32_e32 v46, 7, v12
	v_ffbh_u32_e32 v48, v46
	v_min_u32_e32 v51, 32, v48
	v_subrev_u32_e32 v48, 28, v51
	v_lshlrev_b64 v[48:49], v48, v[12:13]
	v_lshrrev_b32_e32 v50, 3, v47
	v_sub_u32_e32 v49, 29, v51
	v_cmp_gt_u32_e64 s[4:5], 8, v47
	v_and_b32_e32 v48, 7, v48
	v_cndmask_b32_e64 v47, v50, v49, s[4:5]
	v_cndmask_b32_e64 v46, v46, v48, s[4:5]
	v_lshlrev_b32_e32 v48, 8, v12
	v_lshl_add_u32 v47, v47, 10, v23
	v_and_or_b32 v47, v48, s62, v47
	v_lshl_or_b32 v46, v46, 7, v47
	v_cvt_f32_f16_e32 v46, v46
.LBB280_129:                            ;   in Loop: Header=BB280_14 Depth=1
	s_or_b64 exec, exec, s[50:51]
.LBB280_130:                            ;   in Loop: Header=BB280_14 Depth=1
	s_or_b64 exec, exec, s[48:49]
.LBB280_131:                            ;   in Loop: Header=BB280_14 Depth=1
	s_or_b64 exec, exec, s[46:47]
	v_lshrrev_b16_e32 v12, 8, v12
	v_cmp_ne_u16_e64 s[4:5], 0, v12
	s_and_saveexec_b64 s[46:47], s[4:5]
	s_cbranch_execz .LBB280_137
; %bb.132:                              ;   in Loop: Header=BB280_14 Depth=1
	v_cmp_ne_u16_e64 s[4:5], s60, v12
	v_bfrev_b32_e32 v45, 1
	s_and_saveexec_b64 s[48:49], s[4:5]
	s_cbranch_execz .LBB280_136
; %bb.133:                              ;   in Loop: Header=BB280_14 Depth=1
	v_and_b32_e32 v47, 0x7f, v12
	v_cmp_ne_u32_e64 s[4:5], s61, v47
	v_mov_b32_e32 v45, 0x7fc02000
	s_and_saveexec_b64 s[50:51], s[4:5]
	s_cbranch_execz .LBB280_135
; %bb.134:                              ;   in Loop: Header=BB280_14 Depth=1
	v_and_b32_e32 v45, 7, v12
	v_ffbh_u32_e32 v48, v45
	v_min_u32_e32 v51, 32, v48
	v_subrev_u32_e32 v48, 28, v51
	v_lshlrev_b64 v[48:49], v48, v[12:13]
	v_lshrrev_b32_e32 v50, 3, v47
	v_sub_u32_e32 v49, 29, v51
	v_cmp_gt_u32_e64 s[4:5], 8, v47
	v_cndmask_b32_e64 v47, v50, v49, s[4:5]
	v_and_b32_e32 v48, 7, v48
	v_lshlrev_b32_e32 v12, 8, v12
	v_lshl_add_u32 v47, v47, 10, v23
	v_cndmask_b32_e64 v45, v45, v48, s[4:5]
	v_and_or_b32 v12, v12, s62, v47
	v_lshl_or_b32 v12, v45, 7, v12
	v_cvt_f32_f16_e32 v45, v12
.LBB280_135:                            ;   in Loop: Header=BB280_14 Depth=1
	s_or_b64 exec, exec, s[50:51]
.LBB280_136:                            ;   in Loop: Header=BB280_14 Depth=1
	s_or_b64 exec, exec, s[48:49]
.LBB280_137:                            ;   in Loop: Header=BB280_14 Depth=1
	s_or_b64 exec, exec, s[46:47]
	global_load_ushort v48, v[10:11], off offset:1280
	v_mov_b32_e32 v47, 0
	s_waitcnt vmcnt(0)
	v_and_b32_e32 v12, 0xffff, v48
	v_cmp_ne_u16_sdwa s[4:5], v48, v15 src0_sel:BYTE_0 src1_sel:DWORD
	v_mov_b32_e32 v48, 0
	s_and_saveexec_b64 s[46:47], s[4:5]
	s_cbranch_execz .LBB280_143
; %bb.138:                              ;   in Loop: Header=BB280_14 Depth=1
	v_cmp_ne_u16_sdwa s[4:5], v12, s60 src0_sel:BYTE_0 src1_sel:DWORD
	v_bfrev_b32_e32 v48, 1
	s_and_saveexec_b64 s[48:49], s[4:5]
	s_cbranch_execz .LBB280_142
; %bb.139:                              ;   in Loop: Header=BB280_14 Depth=1
	v_and_b32_e32 v49, 0x7f, v12
	v_cmp_ne_u32_e64 s[4:5], s61, v49
	v_mov_b32_e32 v48, 0x7fc02000
	s_and_saveexec_b64 s[50:51], s[4:5]
	s_cbranch_execz .LBB280_141
; %bb.140:                              ;   in Loop: Header=BB280_14 Depth=1
	v_and_b32_e32 v48, 7, v12
	v_ffbh_u32_e32 v50, v48
	v_min_u32_e32 v53, 32, v50
	v_subrev_u32_e32 v50, 28, v53
	v_lshlrev_b64 v[50:51], v50, v[12:13]
	v_lshrrev_b32_e32 v52, 3, v49
	v_sub_u32_e32 v51, 29, v53
	v_cmp_gt_u32_e64 s[4:5], 8, v49
	v_and_b32_e32 v50, 7, v50
	v_cndmask_b32_e64 v49, v52, v51, s[4:5]
	v_cndmask_b32_e64 v48, v48, v50, s[4:5]
	v_lshlrev_b32_e32 v50, 8, v12
	v_lshl_add_u32 v49, v49, 10, v23
	v_and_or_b32 v49, v50, s62, v49
	v_lshl_or_b32 v48, v48, 7, v49
	v_cvt_f32_f16_e32 v48, v48
.LBB280_141:                            ;   in Loop: Header=BB280_14 Depth=1
	s_or_b64 exec, exec, s[50:51]
.LBB280_142:                            ;   in Loop: Header=BB280_14 Depth=1
	s_or_b64 exec, exec, s[48:49]
.LBB280_143:                            ;   in Loop: Header=BB280_14 Depth=1
	s_or_b64 exec, exec, s[46:47]
	v_lshrrev_b16_e32 v12, 8, v12
	v_cmp_ne_u16_e64 s[4:5], 0, v12
	s_and_saveexec_b64 s[46:47], s[4:5]
	s_cbranch_execz .LBB280_149
; %bb.144:                              ;   in Loop: Header=BB280_14 Depth=1
	v_cmp_ne_u16_e64 s[4:5], s60, v12
	v_bfrev_b32_e32 v47, 1
	s_and_saveexec_b64 s[48:49], s[4:5]
	s_cbranch_execz .LBB280_148
; %bb.145:                              ;   in Loop: Header=BB280_14 Depth=1
	v_and_b32_e32 v49, 0x7f, v12
	v_cmp_ne_u32_e64 s[4:5], s61, v49
	v_mov_b32_e32 v47, 0x7fc02000
	s_and_saveexec_b64 s[50:51], s[4:5]
	s_cbranch_execz .LBB280_147
; %bb.146:                              ;   in Loop: Header=BB280_14 Depth=1
	v_and_b32_e32 v47, 7, v12
	v_ffbh_u32_e32 v50, v47
	v_min_u32_e32 v53, 32, v50
	v_subrev_u32_e32 v50, 28, v53
	v_lshlrev_b64 v[50:51], v50, v[12:13]
	v_lshrrev_b32_e32 v52, 3, v49
	v_sub_u32_e32 v51, 29, v53
	v_cmp_gt_u32_e64 s[4:5], 8, v49
	v_cndmask_b32_e64 v49, v52, v51, s[4:5]
	v_and_b32_e32 v50, 7, v50
	v_lshlrev_b32_e32 v12, 8, v12
	v_lshl_add_u32 v49, v49, 10, v23
	v_cndmask_b32_e64 v47, v47, v50, s[4:5]
	v_and_or_b32 v12, v12, s62, v49
	v_lshl_or_b32 v12, v47, 7, v12
	v_cvt_f32_f16_e32 v47, v12
.LBB280_147:                            ;   in Loop: Header=BB280_14 Depth=1
	s_or_b64 exec, exec, s[50:51]
.LBB280_148:                            ;   in Loop: Header=BB280_14 Depth=1
	s_or_b64 exec, exec, s[48:49]
.LBB280_149:                            ;   in Loop: Header=BB280_14 Depth=1
	s_or_b64 exec, exec, s[46:47]
	global_load_ushort v50, v[10:11], off offset:1288
	v_mov_b32_e32 v49, 0
	s_waitcnt vmcnt(0)
	v_and_b32_e32 v12, 0xffff, v50
	v_cmp_ne_u16_sdwa s[4:5], v50, v15 src0_sel:BYTE_0 src1_sel:DWORD
	v_mov_b32_e32 v50, 0
	s_and_saveexec_b64 s[46:47], s[4:5]
	s_cbranch_execz .LBB280_155
; %bb.150:                              ;   in Loop: Header=BB280_14 Depth=1
	v_cmp_ne_u16_sdwa s[4:5], v12, s60 src0_sel:BYTE_0 src1_sel:DWORD
	v_bfrev_b32_e32 v50, 1
	s_and_saveexec_b64 s[48:49], s[4:5]
	s_cbranch_execz .LBB280_154
; %bb.151:                              ;   in Loop: Header=BB280_14 Depth=1
	v_and_b32_e32 v51, 0x7f, v12
	v_cmp_ne_u32_e64 s[4:5], s61, v51
	v_mov_b32_e32 v50, 0x7fc02000
	s_and_saveexec_b64 s[50:51], s[4:5]
	s_cbranch_execz .LBB280_153
; %bb.152:                              ;   in Loop: Header=BB280_14 Depth=1
	v_and_b32_e32 v50, 7, v12
	v_ffbh_u32_e32 v52, v50
	v_min_u32_e32 v55, 32, v52
	v_subrev_u32_e32 v52, 28, v55
	v_lshlrev_b64 v[52:53], v52, v[12:13]
	v_lshrrev_b32_e32 v54, 3, v51
	v_sub_u32_e32 v53, 29, v55
	v_cmp_gt_u32_e64 s[4:5], 8, v51
	v_and_b32_e32 v52, 7, v52
	v_cndmask_b32_e64 v51, v54, v53, s[4:5]
	v_cndmask_b32_e64 v50, v50, v52, s[4:5]
	v_lshlrev_b32_e32 v52, 8, v12
	v_lshl_add_u32 v51, v51, 10, v23
	v_and_or_b32 v51, v52, s62, v51
	v_lshl_or_b32 v50, v50, 7, v51
	v_cvt_f32_f16_e32 v50, v50
.LBB280_153:                            ;   in Loop: Header=BB280_14 Depth=1
	s_or_b64 exec, exec, s[50:51]
.LBB280_154:                            ;   in Loop: Header=BB280_14 Depth=1
	s_or_b64 exec, exec, s[48:49]
.LBB280_155:                            ;   in Loop: Header=BB280_14 Depth=1
	s_or_b64 exec, exec, s[46:47]
	v_lshrrev_b16_e32 v12, 8, v12
	v_cmp_ne_u16_e64 s[4:5], 0, v12
	s_and_saveexec_b64 s[46:47], s[4:5]
	s_cbranch_execz .LBB280_161
; %bb.156:                              ;   in Loop: Header=BB280_14 Depth=1
	v_cmp_ne_u16_e64 s[4:5], s60, v12
	v_bfrev_b32_e32 v49, 1
	s_and_saveexec_b64 s[48:49], s[4:5]
	s_cbranch_execz .LBB280_160
; %bb.157:                              ;   in Loop: Header=BB280_14 Depth=1
	v_and_b32_e32 v51, 0x7f, v12
	v_cmp_ne_u32_e64 s[4:5], s61, v51
	v_mov_b32_e32 v49, 0x7fc02000
	s_and_saveexec_b64 s[50:51], s[4:5]
	s_cbranch_execz .LBB280_159
; %bb.158:                              ;   in Loop: Header=BB280_14 Depth=1
	v_and_b32_e32 v49, 7, v12
	v_ffbh_u32_e32 v52, v49
	v_min_u32_e32 v55, 32, v52
	v_subrev_u32_e32 v52, 28, v55
	v_lshlrev_b64 v[52:53], v52, v[12:13]
	v_lshrrev_b32_e32 v54, 3, v51
	v_sub_u32_e32 v53, 29, v55
	v_cmp_gt_u32_e64 s[4:5], 8, v51
	v_cndmask_b32_e64 v51, v54, v53, s[4:5]
	v_and_b32_e32 v52, 7, v52
	v_lshlrev_b32_e32 v12, 8, v12
	v_lshl_add_u32 v51, v51, 10, v23
	v_cndmask_b32_e64 v49, v49, v52, s[4:5]
	v_and_or_b32 v12, v12, s62, v51
	v_lshl_or_b32 v12, v49, 7, v12
	v_cvt_f32_f16_e32 v49, v12
.LBB280_159:                            ;   in Loop: Header=BB280_14 Depth=1
	s_or_b64 exec, exec, s[50:51]
.LBB280_160:                            ;   in Loop: Header=BB280_14 Depth=1
	s_or_b64 exec, exec, s[48:49]
.LBB280_161:                            ;   in Loop: Header=BB280_14 Depth=1
	s_or_b64 exec, exec, s[46:47]
	global_load_ushort v52, v[10:11], off offset:1536
	v_mov_b32_e32 v51, 0
	s_waitcnt vmcnt(0)
	v_and_b32_e32 v12, 0xffff, v52
	v_cmp_ne_u16_sdwa s[4:5], v52, v15 src0_sel:BYTE_0 src1_sel:DWORD
	v_mov_b32_e32 v52, 0
	s_and_saveexec_b64 s[46:47], s[4:5]
	s_cbranch_execz .LBB280_167
; %bb.162:                              ;   in Loop: Header=BB280_14 Depth=1
	v_cmp_ne_u16_sdwa s[4:5], v12, s60 src0_sel:BYTE_0 src1_sel:DWORD
	v_bfrev_b32_e32 v52, 1
	s_and_saveexec_b64 s[48:49], s[4:5]
	s_cbranch_execz .LBB280_166
; %bb.163:                              ;   in Loop: Header=BB280_14 Depth=1
	v_and_b32_e32 v53, 0x7f, v12
	v_cmp_ne_u32_e64 s[4:5], s61, v53
	v_mov_b32_e32 v52, 0x7fc02000
	s_and_saveexec_b64 s[50:51], s[4:5]
	s_cbranch_execz .LBB280_165
; %bb.164:                              ;   in Loop: Header=BB280_14 Depth=1
	v_and_b32_e32 v52, 7, v12
	v_ffbh_u32_e32 v54, v52
	v_min_u32_e32 v57, 32, v54
	v_subrev_u32_e32 v54, 28, v57
	v_lshlrev_b64 v[54:55], v54, v[12:13]
	v_lshrrev_b32_e32 v56, 3, v53
	v_sub_u32_e32 v55, 29, v57
	v_cmp_gt_u32_e64 s[4:5], 8, v53
	v_and_b32_e32 v54, 7, v54
	v_cndmask_b32_e64 v53, v56, v55, s[4:5]
	v_cndmask_b32_e64 v52, v52, v54, s[4:5]
	v_lshlrev_b32_e32 v54, 8, v12
	v_lshl_add_u32 v53, v53, 10, v23
	v_and_or_b32 v53, v54, s62, v53
	v_lshl_or_b32 v52, v52, 7, v53
	v_cvt_f32_f16_e32 v52, v52
.LBB280_165:                            ;   in Loop: Header=BB280_14 Depth=1
	s_or_b64 exec, exec, s[50:51]
.LBB280_166:                            ;   in Loop: Header=BB280_14 Depth=1
	s_or_b64 exec, exec, s[48:49]
.LBB280_167:                            ;   in Loop: Header=BB280_14 Depth=1
	s_or_b64 exec, exec, s[46:47]
	v_lshrrev_b16_e32 v12, 8, v12
	v_cmp_ne_u16_e64 s[4:5], 0, v12
	s_and_saveexec_b64 s[46:47], s[4:5]
	s_cbranch_execz .LBB280_173
; %bb.168:                              ;   in Loop: Header=BB280_14 Depth=1
	v_cmp_ne_u16_e64 s[4:5], s60, v12
	v_bfrev_b32_e32 v51, 1
	s_and_saveexec_b64 s[48:49], s[4:5]
	s_cbranch_execz .LBB280_172
; %bb.169:                              ;   in Loop: Header=BB280_14 Depth=1
	v_and_b32_e32 v53, 0x7f, v12
	v_cmp_ne_u32_e64 s[4:5], s61, v53
	v_mov_b32_e32 v51, 0x7fc02000
	s_and_saveexec_b64 s[50:51], s[4:5]
	s_cbranch_execz .LBB280_171
; %bb.170:                              ;   in Loop: Header=BB280_14 Depth=1
	v_and_b32_e32 v51, 7, v12
	v_ffbh_u32_e32 v54, v51
	v_min_u32_e32 v57, 32, v54
	v_subrev_u32_e32 v54, 28, v57
	v_lshlrev_b64 v[54:55], v54, v[12:13]
	v_lshrrev_b32_e32 v56, 3, v53
	v_sub_u32_e32 v55, 29, v57
	v_cmp_gt_u32_e64 s[4:5], 8, v53
	v_cndmask_b32_e64 v53, v56, v55, s[4:5]
	v_and_b32_e32 v54, 7, v54
	v_lshlrev_b32_e32 v12, 8, v12
	v_lshl_add_u32 v53, v53, 10, v23
	v_cndmask_b32_e64 v51, v51, v54, s[4:5]
	v_and_or_b32 v12, v12, s62, v53
	v_lshl_or_b32 v12, v51, 7, v12
	v_cvt_f32_f16_e32 v51, v12
.LBB280_171:                            ;   in Loop: Header=BB280_14 Depth=1
	s_or_b64 exec, exec, s[50:51]
.LBB280_172:                            ;   in Loop: Header=BB280_14 Depth=1
	s_or_b64 exec, exec, s[48:49]
.LBB280_173:                            ;   in Loop: Header=BB280_14 Depth=1
	s_or_b64 exec, exec, s[46:47]
	global_load_ushort v54, v[10:11], off offset:1544
	v_mov_b32_e32 v53, 0
	s_waitcnt vmcnt(0)
	v_and_b32_e32 v12, 0xffff, v54
	v_cmp_ne_u16_sdwa s[4:5], v54, v15 src0_sel:BYTE_0 src1_sel:DWORD
	v_mov_b32_e32 v54, 0
	s_and_saveexec_b64 s[46:47], s[4:5]
	s_cbranch_execz .LBB280_179
; %bb.174:                              ;   in Loop: Header=BB280_14 Depth=1
	v_cmp_ne_u16_sdwa s[4:5], v12, s60 src0_sel:BYTE_0 src1_sel:DWORD
	v_bfrev_b32_e32 v54, 1
	s_and_saveexec_b64 s[48:49], s[4:5]
	s_cbranch_execz .LBB280_178
; %bb.175:                              ;   in Loop: Header=BB280_14 Depth=1
	v_and_b32_e32 v55, 0x7f, v12
	v_cmp_ne_u32_e64 s[4:5], s61, v55
	v_mov_b32_e32 v54, 0x7fc02000
	s_and_saveexec_b64 s[50:51], s[4:5]
	s_cbranch_execz .LBB280_177
; %bb.176:                              ;   in Loop: Header=BB280_14 Depth=1
	v_and_b32_e32 v54, 7, v12
	v_ffbh_u32_e32 v56, v54
	v_min_u32_e32 v59, 32, v56
	v_subrev_u32_e32 v56, 28, v59
	v_lshlrev_b64 v[56:57], v56, v[12:13]
	v_lshrrev_b32_e32 v58, 3, v55
	v_sub_u32_e32 v57, 29, v59
	v_cmp_gt_u32_e64 s[4:5], 8, v55
	v_and_b32_e32 v56, 7, v56
	v_cndmask_b32_e64 v55, v58, v57, s[4:5]
	v_cndmask_b32_e64 v54, v54, v56, s[4:5]
	v_lshlrev_b32_e32 v56, 8, v12
	v_lshl_add_u32 v55, v55, 10, v23
	v_and_or_b32 v55, v56, s62, v55
	v_lshl_or_b32 v54, v54, 7, v55
	v_cvt_f32_f16_e32 v54, v54
.LBB280_177:                            ;   in Loop: Header=BB280_14 Depth=1
	s_or_b64 exec, exec, s[50:51]
.LBB280_178:                            ;   in Loop: Header=BB280_14 Depth=1
	s_or_b64 exec, exec, s[48:49]
.LBB280_179:                            ;   in Loop: Header=BB280_14 Depth=1
	s_or_b64 exec, exec, s[46:47]
	v_lshrrev_b16_e32 v12, 8, v12
	v_cmp_ne_u16_e64 s[4:5], 0, v12
	s_and_saveexec_b64 s[46:47], s[4:5]
	s_cbranch_execz .LBB280_185
; %bb.180:                              ;   in Loop: Header=BB280_14 Depth=1
	v_cmp_ne_u16_e64 s[4:5], s60, v12
	v_bfrev_b32_e32 v53, 1
	s_and_saveexec_b64 s[48:49], s[4:5]
	s_cbranch_execz .LBB280_184
; %bb.181:                              ;   in Loop: Header=BB280_14 Depth=1
	v_and_b32_e32 v55, 0x7f, v12
	v_cmp_ne_u32_e64 s[4:5], s61, v55
	v_mov_b32_e32 v53, 0x7fc02000
	s_and_saveexec_b64 s[50:51], s[4:5]
	s_cbranch_execz .LBB280_183
; %bb.182:                              ;   in Loop: Header=BB280_14 Depth=1
	v_and_b32_e32 v53, 7, v12
	v_ffbh_u32_e32 v56, v53
	v_min_u32_e32 v59, 32, v56
	v_subrev_u32_e32 v56, 28, v59
	v_lshlrev_b64 v[56:57], v56, v[12:13]
	v_lshrrev_b32_e32 v58, 3, v55
	v_sub_u32_e32 v57, 29, v59
	v_cmp_gt_u32_e64 s[4:5], 8, v55
	v_cndmask_b32_e64 v55, v58, v57, s[4:5]
	v_and_b32_e32 v56, 7, v56
	v_lshlrev_b32_e32 v12, 8, v12
	v_lshl_add_u32 v55, v55, 10, v23
	v_cndmask_b32_e64 v53, v53, v56, s[4:5]
	v_and_or_b32 v12, v12, s62, v55
	v_lshl_or_b32 v12, v53, 7, v12
	v_cvt_f32_f16_e32 v53, v12
.LBB280_183:                            ;   in Loop: Header=BB280_14 Depth=1
	s_or_b64 exec, exec, s[50:51]
.LBB280_184:                            ;   in Loop: Header=BB280_14 Depth=1
	s_or_b64 exec, exec, s[48:49]
.LBB280_185:                            ;   in Loop: Header=BB280_14 Depth=1
	s_or_b64 exec, exec, s[46:47]
	global_load_ushort v12, v[10:11], off offset:1792
	v_mov_b32_e32 v11, 0
	s_waitcnt vmcnt(0)
	v_and_b32_e32 v10, 0xffff, v12
	v_cmp_ne_u16_sdwa s[4:5], v12, v15 src0_sel:BYTE_0 src1_sel:DWORD
	v_mov_b32_e32 v12, 0
	s_and_saveexec_b64 s[46:47], s[4:5]
	s_cbranch_execz .LBB280_191
; %bb.186:                              ;   in Loop: Header=BB280_14 Depth=1
	v_cmp_ne_u16_sdwa s[4:5], v10, s60 src0_sel:BYTE_0 src1_sel:DWORD
	v_bfrev_b32_e32 v12, 1
	s_and_saveexec_b64 s[48:49], s[4:5]
	s_cbranch_execz .LBB280_190
; %bb.187:                              ;   in Loop: Header=BB280_14 Depth=1
	v_and_b32_e32 v55, 0x7f, v10
	v_cmp_ne_u32_e64 s[4:5], s61, v55
	v_mov_b32_e32 v12, 0x7fc02000
	s_and_saveexec_b64 s[50:51], s[4:5]
	s_cbranch_execz .LBB280_189
; %bb.188:                              ;   in Loop: Header=BB280_14 Depth=1
	v_and_b32_e32 v12, 7, v10
	v_ffbh_u32_e32 v56, v12
	v_min_u32_e32 v59, 32, v56
	v_subrev_u32_e32 v56, 28, v59
	v_lshlrev_b64 v[56:57], v56, v[10:11]
	v_lshrrev_b32_e32 v58, 3, v55
	v_sub_u32_e32 v57, 29, v59
	v_cmp_gt_u32_e64 s[4:5], 8, v55
	v_and_b32_e32 v56, 7, v56
	v_cndmask_b32_e64 v55, v58, v57, s[4:5]
	v_cndmask_b32_e64 v12, v12, v56, s[4:5]
	v_lshlrev_b32_e32 v56, 8, v10
	v_lshl_add_u32 v55, v55, 10, v23
	v_and_or_b32 v55, v56, s62, v55
	v_lshl_or_b32 v12, v12, 7, v55
	v_cvt_f32_f16_e32 v12, v12
.LBB280_189:                            ;   in Loop: Header=BB280_14 Depth=1
	s_or_b64 exec, exec, s[50:51]
.LBB280_190:                            ;   in Loop: Header=BB280_14 Depth=1
	s_or_b64 exec, exec, s[48:49]
.LBB280_191:                            ;   in Loop: Header=BB280_14 Depth=1
	s_or_b64 exec, exec, s[46:47]
	v_lshrrev_b16_e32 v10, 8, v10
	v_cmp_ne_u16_e64 s[4:5], 0, v10
	s_and_saveexec_b64 s[46:47], s[4:5]
	s_cbranch_execz .LBB280_197
; %bb.192:                              ;   in Loop: Header=BB280_14 Depth=1
	v_cmp_ne_u16_e64 s[4:5], s60, v10
	v_bfrev_b32_e32 v11, 1
	s_and_saveexec_b64 s[48:49], s[4:5]
	s_cbranch_execz .LBB280_196
; %bb.193:                              ;   in Loop: Header=BB280_14 Depth=1
	v_and_b32_e32 v55, 0x7f, v10
	v_cmp_ne_u32_e64 s[4:5], s61, v55
	v_mov_b32_e32 v11, 0x7fc02000
	s_and_saveexec_b64 s[50:51], s[4:5]
	s_cbranch_execz .LBB280_195
; %bb.194:                              ;   in Loop: Header=BB280_14 Depth=1
	v_and_b32_e32 v11, 7, v10
	v_ffbh_u32_e32 v56, v11
	v_min_u32_e32 v59, 32, v56
	v_subrev_u32_e32 v56, 28, v59
	v_lshlrev_b64 v[56:57], v56, v[10:11]
	v_lshrrev_b32_e32 v58, 3, v55
	v_sub_u32_e32 v57, 29, v59
	v_cmp_gt_u32_e64 s[4:5], 8, v55
	v_cndmask_b32_e64 v55, v58, v57, s[4:5]
	v_and_b32_e32 v56, 7, v56
	v_lshlrev_b32_e32 v10, 8, v10
	v_lshl_add_u32 v55, v55, 10, v23
	v_cndmask_b32_e64 v11, v11, v56, s[4:5]
	v_and_or_b32 v10, v10, s62, v55
	v_lshl_or_b32 v10, v11, 7, v10
	v_cvt_f32_f16_e32 v11, v10
.LBB280_195:                            ;   in Loop: Header=BB280_14 Depth=1
	s_or_b64 exec, exec, s[50:51]
.LBB280_196:                            ;   in Loop: Header=BB280_14 Depth=1
	s_or_b64 exec, exec, s[48:49]
.LBB280_197:                            ;   in Loop: Header=BB280_14 Depth=1
	s_or_b64 exec, exec, s[46:47]
	ds_read_b32 v10, v16
	v_fma_mixlo_f16 v28, v26, v28, 0
	v_fma_mixlo_f16 v27, v26, v27, 0
	v_and_b32_e32 v28, 0xffff, v28
	v_and_b32_e32 v27, 0xffff, v27
	s_waitcnt lgkmcnt(0)
	v_lshrrev_b32_e32 v55, 16, v10
	v_and_b32_e32 v10, 0xffff, v10
	;;#ASMSTART
	v_cvt_f32_f16 v10, v10;
	;;#ASMEND
	;;#ASMSTART
	v_cvt_f32_f16 v55, v55;
	;;#ASMEND
	;;#ASMSTART
	v_cvt_f32_f16 v28, v28;
	;;#ASMEND
	;;#ASMSTART
	v_cvt_f32_f16 v27, v27;
	;;#ASMEND
	ds_read_b32 v56, v16 offset:4
	v_fma_mixlo_f16 v30, v26, v30, 0
	v_fma_mixlo_f16 v29, v26, v29, 0
	v_and_b32_e32 v30, 0xffff, v30
	v_and_b32_e32 v29, 0xffff, v29
	s_waitcnt lgkmcnt(0)
	v_lshrrev_b32_e32 v57, 16, v56
	v_and_b32_e32 v56, 0xffff, v56
	;;#ASMSTART
	v_cvt_f32_f16 v56, v56;
	;;#ASMEND
	;;#ASMSTART
	v_cvt_f32_f16 v57, v57;
	;;#ASMEND
	;;#ASMSTART
	v_cvt_f32_f16 v30, v30;
	;;#ASMEND
	;;#ASMSTART
	v_cvt_f32_f16 v29, v29;
	;;#ASMEND
	ds_read_b32 v58, v16 offset:8
	;; [unrolled: 20-line block ×7, first 2 shown]
	v_fma_mixlo_f16 v42, v26, v42, 0
	v_fma_mixlo_f16 v41, v26, v41, 0
	;; [unrolled: 1-line block ×16, first 2 shown]
	s_waitcnt lgkmcnt(0)
	v_lshrrev_b32_e32 v26, 16, v68
	v_and_b32_e32 v68, 0xffff, v68
	v_and_b32_e32 v42, 0xffff, v42
	;; [unrolled: 1-line block ×3, first 2 shown]
	;;#ASMSTART
	v_cvt_f32_f16 v68, v68;
	;;#ASMEND
	;;#ASMSTART
	v_cvt_f32_f16 v26, v26;
	;;#ASMEND
	;; [unrolled: 3-line block ×4, first 2 shown]
	ds_read_b32 v69, v16 offset:32
	v_mul_f32_e32 v30, v56, v30
	v_fmac_f32_e32 v30, v10, v28
	v_mul_f32_e32 v10, v57, v29
	v_fmac_f32_e32 v10, v55, v27
	s_waitcnt lgkmcnt(0)
	v_lshrrev_b32_e32 v27, 16, v69
	v_and_b32_e32 v28, 0xffff, v69
	v_and_b32_e32 v29, 0xffff, v44
	v_and_b32_e32 v43, 0xffff, v43
	;;#ASMSTART
	v_cvt_f32_f16 v28, v28;
	;;#ASMEND
	;;#ASMSTART
	v_cvt_f32_f16 v27, v27;
	;;#ASMEND
	;;#ASMSTART
	v_cvt_f32_f16 v29, v29;
	;;#ASMEND
	;;#ASMSTART
	v_cvt_f32_f16 v43, v43;
	;;#ASMEND
	ds_read_b32 v44, v16 offset:36
	v_fmac_f32_e32 v30, v58, v32
	v_fmac_f32_e32 v10, v59, v31
	v_fmac_f32_e32 v30, v60, v34
	v_fmac_f32_e32 v10, v61, v33
	s_waitcnt lgkmcnt(0)
	v_lshrrev_b32_e32 v31, 16, v44
	v_and_b32_e32 v32, 0xffff, v44
	v_and_b32_e32 v33, 0xffff, v46
	v_and_b32_e32 v34, 0xffff, v45
	;;#ASMSTART
	v_cvt_f32_f16 v32, v32;
	;;#ASMEND
	;;#ASMSTART
	v_cvt_f32_f16 v31, v31;
	;;#ASMEND
	;;#ASMSTART
	v_cvt_f32_f16 v33, v33;
	;;#ASMEND
	;;#ASMSTART
	v_cvt_f32_f16 v34, v34;
	;;#ASMEND
	ds_read_b32 v44, v16 offset:40
	v_fmac_f32_e32 v30, v62, v36
	v_fmac_f32_e32 v10, v63, v35
	v_fmac_f32_e32 v30, v64, v38
	;; [unrolled: 22-line block ×3, first 2 shown]
	v_and_b32_e32 v40, 0xffff, v50
	s_waitcnt lgkmcnt(0)
	v_lshrrev_b32_e32 v26, 16, v44
	v_and_b32_e32 v39, 0xffff, v44
	v_and_b32_e32 v41, 0xffff, v49
	v_fmac_f32_e32 v30, v68, v42
	;;#ASMSTART
	v_cvt_f32_f16 v39, v39;
	;;#ASMEND
	;;#ASMSTART
	v_cvt_f32_f16 v26, v26;
	;;#ASMEND
	;; [unrolled: 3-line block ×4, first 2 shown]
	ds_read_b32 v42, v16 offset:48
	v_fmac_f32_e32 v10, v27, v43
	v_fmac_f32_e32 v30, v28, v29
	;; [unrolled: 1-line block ×3, first 2 shown]
	v_and_b32_e32 v29, 0xffff, v52
	s_waitcnt lgkmcnt(0)
	v_lshrrev_b32_e32 v27, 16, v42
	v_and_b32_e32 v28, 0xffff, v42
	v_and_b32_e32 v31, 0xffff, v51
	v_fmac_f32_e32 v30, v32, v33
	;;#ASMSTART
	v_cvt_f32_f16 v28, v28;
	;;#ASMEND
	;;#ASMSTART
	v_cvt_f32_f16 v27, v27;
	;;#ASMEND
	;;#ASMSTART
	v_cvt_f32_f16 v29, v29;
	;;#ASMEND
	;;#ASMSTART
	v_cvt_f32_f16 v31, v31;
	;;#ASMEND
	ds_read_b32 v32, v16 offset:52
	v_fmac_f32_e32 v10, v35, v38
	v_fmac_f32_e32 v10, v26, v41
	v_and_b32_e32 v33, 0xffff, v54
	v_and_b32_e32 v34, 0xffff, v53
	s_waitcnt lgkmcnt(0)
	v_lshrrev_b32_e32 v26, 16, v32
	v_and_b32_e32 v32, 0xffff, v32
	;;#ASMSTART
	v_cvt_f32_f16 v32, v32;
	;;#ASMEND
	;;#ASMSTART
	v_cvt_f32_f16 v26, v26;
	;;#ASMEND
	;; [unrolled: 3-line block ×4, first 2 shown]
	ds_read_b32 v35, v16 offset:56
	v_fmac_f32_e32 v30, v36, v37
	v_fmac_f32_e32 v10, v27, v31
	;; [unrolled: 1-line block ×4, first 2 shown]
	s_waitcnt lgkmcnt(0)
	v_lshrrev_b32_e32 v26, 16, v35
	v_and_b32_e32 v27, 0xffff, v35
	v_and_b32_e32 v12, 0xffff, v12
	;; [unrolled: 1-line block ×3, first 2 shown]
	v_fmac_f32_e32 v30, v28, v29
	;;#ASMSTART
	v_cvt_f32_f16 v27, v27;
	;;#ASMEND
	;;#ASMSTART
	v_cvt_f32_f16 v26, v26;
	;;#ASMEND
	;; [unrolled: 3-line block ×4, first 2 shown]
	v_fmac_f32_e32 v30, v32, v33
	v_fmac_f32_e32 v10, v26, v11
	v_and_b32_e32 v11, 64, v24
	v_fmac_f32_e32 v30, v27, v12
	v_add_u32_e32 v11, 64, v11
	v_xor_b32_e32 v12, 2, v24
	v_cmp_lt_i32_e64 s[4:5], v12, v11
	v_cndmask_b32_e64 v12, v24, v12, s[4:5]
	v_add_f32_e32 v10, v30, v10
	v_lshlrev_b32_e32 v12, 2, v12
	ds_bpermute_b32 v12, v12, v10
	s_waitcnt lgkmcnt(0)
	v_add_f32_e32 v10, v10, v12
	v_xor_b32_e32 v12, 1, v24
	v_cmp_lt_i32_e64 s[4:5], v12, v11
	v_cndmask_b32_e64 v11, v24, v12, s[4:5]
	v_lshlrev_b32_e32 v11, 2, v11
	ds_bpermute_b32 v11, v11, v10
	s_and_saveexec_b64 s[46:47], vcc
	s_cbranch_execz .LBB280_12
; %bb.198:                              ;   in Loop: Header=BB280_14 Depth=1
	v_add_u32_e32 v12, v21, v19
	v_cvt_f32_i32_e32 v12, v12
	s_waitcnt lgkmcnt(0)
	v_add_f32_e32 v10, v10, v11
	v_add_u32_e32 v26, v14, v19
	v_cmp_gt_i32_e64 s[4:5], s33, v26
	v_mul_f32_e32 v11, s56, v12
	v_cndmask_b32_e64 v11, 0, v11, s[2:3]
	v_fmac_f32_e32 v11, s43, v10
	v_cndmask_b32_e64 v10, 0, v11, s[4:5]
	ds_write_b32 v20, v10
	v_max_f32_e32 v10, v17, v17
	v_max_f32_e32 v10, v10, v11
	v_cndmask_b32_e64 v17, v17, v10, s[4:5]
	s_branch .LBB280_12
.LBB280_199:
	s_or_b64 exec, exec, s[44:45]
.LBB280_200:
	s_or_b64 exec, exec, s[18:19]
	v_mbcnt_hi_u32_b32 v2, -1, v5
	v_and_b32_e32 v3, 64, v2
	v_add_u32_e32 v3, 64, v3
	v_xor_b32_e32 v4, 32, v2
	v_cmp_lt_i32_e32 vcc, v4, v3
	v_cndmask_b32_e32 v4, v2, v4, vcc
	v_lshlrev_b32_e32 v8, 2, v4
	ds_bpermute_b32 v4, v8, v17
	v_xor_b32_e32 v9, 16, v2
	v_max_f32_e32 v5, v17, v17
	v_cmp_lt_i32_e32 vcc, v9, v3
	s_waitcnt lgkmcnt(1)
	v_lshlrev_b32_e32 v11, 2, v13
	s_waitcnt lgkmcnt(0)
	v_max_f32_e32 v4, v4, v4
	v_max_f32_e32 v4, v5, v4
	v_cndmask_b32_e32 v5, v2, v9, vcc
	v_lshlrev_b32_e32 v10, 2, v5
	ds_bpermute_b32 v5, v10, v4
	v_xor_b32_e32 v9, 8, v2
	v_cmp_lt_i32_e32 vcc, v9, v3
	s_waitcnt lgkmcnt(0)
	v_max_f32_e32 v5, v5, v5
	v_max_f32_e32 v4, v4, v5
	v_cndmask_b32_e32 v5, v2, v9, vcc
	v_lshlrev_b32_e32 v14, 2, v5
	ds_bpermute_b32 v5, v14, v4
	v_xor_b32_e32 v9, 4, v2
	v_cmp_lt_i32_e32 vcc, v9, v3
	s_waitcnt lgkmcnt(0)
	v_max_f32_e32 v5, v5, v5
	v_max_f32_e32 v5, v4, v5
	v_cndmask_b32_e32 v4, v2, v9, vcc
	v_lshlrev_b32_e32 v15, 2, v4
	ds_bpermute_b32 v9, v15, v5
	v_and_b32_e32 v4, 63, v0
	v_cmp_eq_u32_e32 vcc, 0, v4
	s_and_saveexec_b64 s[2:3], vcc
	s_cbranch_execz .LBB280_202
; %bb.201:
	s_waitcnt lgkmcnt(0)
	v_max_f32_e32 v9, v9, v9
	v_max_f32_e32 v5, v5, v5
	;; [unrolled: 1-line block ×3, first 2 shown]
	ds_write_b32 v11, v5 offset:240
.LBB280_202:
	s_or_b64 exec, exec, s[2:3]
	v_cmp_gt_u32_e64 s[2:3], 2, v4
	v_mov_b32_e32 v5, 0xff7fffff
	v_lshlrev_b32_e32 v12, 2, v4
	s_waitcnt lgkmcnt(0)
	s_barrier
	s_and_saveexec_b64 s[4:5], s[2:3]
	s_cbranch_execz .LBB280_204
; %bb.203:
	ds_read_b32 v5, v12 offset:240
.LBB280_204:
	s_or_b64 exec, exec, s[4:5]
	v_xor_b32_e32 v9, 1, v2
	v_cmp_lt_i32_e64 s[4:5], v9, v3
	v_cndmask_b32_e64 v9, v2, v9, s[4:5]
	v_lshlrev_b32_e32 v9, 2, v9
	s_waitcnt lgkmcnt(0)
	ds_bpermute_b32 v16, v9, v5
	v_max_f32_e32 v5, v5, v5
	s_sub_i32 s4, s54, s23
	s_lshl_b32 s4, s4, 4
	s_add_i32 s4, s4, s55
	s_waitcnt lgkmcnt(0)
	v_max_f32_e32 v16, v16, v16
	v_max_f32_e32 v5, v5, v16
	v_lshlrev_b32_e32 v16, 2, v2
	v_and_b32_e32 v16, 0x100, v16
	ds_bpermute_b32 v5, v16, v5
	s_min_i32 s43, s4, s33
	s_sub_i32 s23, s43, s55
	v_cmp_gt_i32_e64 s[4:5], s23, v0
	v_mov_b32_e32 v17, 0
	s_and_saveexec_b64 s[12:13], s[4:5]
	s_cbranch_execz .LBB280_208
; %bb.205:
	v_mov_b32_e32 v17, 0x100
	v_lshl_add_u32 v18, v0, 2, v17
	s_mov_b64 s[18:19], 0
	v_mov_b32_e32 v17, 0
	v_mov_b32_e32 v19, v0
.LBB280_206:                            ; =>This Inner Loop Header: Depth=1
	ds_read_b32 v20, v18
	v_add_u32_e32 v19, 0x80, v19
	v_cmp_le_i32_e64 s[10:11], s23, v19
	s_or_b64 s[18:19], s[10:11], s[18:19]
	s_waitcnt lgkmcnt(0)
	v_sub_f32_e32 v20, v20, v5
	v_mul_f32_e32 v20, 0x3fb8aa3b, v20
	v_exp_f32_e32 v20, v20
	ds_write_b32 v18, v20
	v_add_f32_e32 v17, v17, v20
	v_add_u32_e32 v18, 0x200, v18
	s_andn2_b64 exec, exec, s[18:19]
	s_cbranch_execnz .LBB280_206
; %bb.207:
	s_or_b64 exec, exec, s[18:19]
.LBB280_208:
	s_or_b64 exec, exec, s[12:13]
	ds_bpermute_b32 v8, v8, v17
	s_waitcnt lgkmcnt(0)
	v_add_f32_e32 v8, v17, v8
	ds_bpermute_b32 v10, v10, v8
	s_waitcnt lgkmcnt(0)
	v_add_f32_e32 v8, v8, v10
	ds_bpermute_b32 v10, v14, v8
	v_xor_b32_e32 v14, 2, v2
	v_cmp_lt_i32_e64 s[10:11], v14, v3
	v_cndmask_b32_e64 v2, v2, v14, s[10:11]
	v_lshlrev_b32_e32 v2, 2, v2
	s_waitcnt lgkmcnt(0)
	v_add_f32_e32 v8, v8, v10
	ds_bpermute_b32 v10, v15, v8
	s_waitcnt lgkmcnt(0)
	v_add_f32_e32 v3, v8, v10
	ds_bpermute_b32 v2, v2, v3
	;; [unrolled: 3-line block ×3, first 2 shown]
	s_waitcnt lgkmcnt(0)
	v_add_f32_e32 v2, v2, v3
	s_and_saveexec_b64 s[10:11], vcc
	s_cbranch_execz .LBB280_210
; %bb.209:
	ds_write_b32 v11, v2 offset:248
.LBB280_210:
	s_or_b64 exec, exec, s[10:11]
	s_waitcnt lgkmcnt(0)
	s_barrier
	s_and_saveexec_b64 s[10:11], s[2:3]
	s_cbranch_execz .LBB280_212
; %bb.211:
	ds_read_b32 v2, v12 offset:248
.LBB280_212:
	s_or_b64 exec, exec, s[10:11]
	s_waitcnt lgkmcnt(0)
	ds_bpermute_b32 v3, v9, v2
	s_waitcnt lgkmcnt(0)
	v_add_f32_e32 v2, v2, v3
	ds_bpermute_b32 v8, v16, v2
	s_and_saveexec_b64 s[2:3], s[4:5]
	s_cbranch_execz .LBB280_225
; %bb.213:
	s_waitcnt lgkmcnt(0)
	v_add_f32_e32 v2, 0x358637bd, v8
	v_div_scale_f32 v3, s[4:5], v2, v2, 1.0
	v_rcp_f32_e32 v10, v3
	v_div_scale_f32 v11, vcc, 1.0, v2, 1.0
	s_movk_i32 s4, 0x7f
	v_fma_f32 v12, -v3, v10, 1.0
	v_fmac_f32_e32 v10, v12, v10
	v_mul_f32_e32 v12, v11, v10
	v_fma_f32 v14, -v3, v12, v11
	v_fmac_f32_e32 v12, v14, v10
	v_fma_f32 v3, -v3, v12, v11
	v_div_fmas_f32 v3, v3, v10, v12
	v_div_fixup_f32 v2, v3, v2, 1.0
	v_xad_u32 v3, v0, -1, s43
	v_subrev_u32_e32 v10, s55, v3
	v_cmp_lt_u32_e32 vcc, s4, v10
	s_mov_b64 s[10:11], -1
	v_mov_b32_e32 v3, v0
	s_and_saveexec_b64 s[4:5], vcc
	s_cbranch_execz .LBB280_222
; %bb.214:
	v_lshrrev_b32_e32 v10, 7, v10
	v_add_u32_e32 v12, -1, v10
	v_lshrrev_b32_e32 v11, 1, v12
	v_mov_b32_e32 v3, v2
	v_add_u32_e32 v11, 1, v11
	v_cmp_lt_u32_e32 vcc, 13, v12
	v_mov_b32_e32 v15, 0
	s_and_saveexec_b64 s[10:11], vcc
	s_cbranch_execz .LBB280_218
; %bb.215:
	v_mov_b32_e32 v14, 0x100
	v_and_b32_e32 v12, -8, v11
	v_lshl_add_u32 v14, v0, 2, v14
	s_mov_b32 s18, 0
	s_mov_b64 s[12:13], 0
.LBB280_216:                            ; =>This Inner Loop Header: Depth=1
	ds_read2st64_b32 v[16:17], v14 offset1:2
	ds_read2st64_b32 v[18:19], v14 offset0:4 offset1:6
	ds_read2st64_b32 v[20:21], v14 offset0:8 offset1:10
	;; [unrolled: 1-line block ×3, first 2 shown]
	v_add_u32_e32 v12, -8, v12
	s_waitcnt lgkmcnt(3)
	v_pk_mul_f32 v[16:17], v[2:3], v[16:17]
	s_waitcnt lgkmcnt(2)
	v_pk_mul_f32 v[18:19], v[2:3], v[18:19]
	ds_write2st64_b32 v14, v16, v17 offset1:2
	ds_write2st64_b32 v14, v18, v19 offset0:4 offset1:6
	ds_read2st64_b32 v[18:19], v14 offset0:16 offset1:18
	s_waitcnt lgkmcnt(4)
	v_pk_mul_f32 v[16:17], v[2:3], v[20:21]
	ds_write2st64_b32 v14, v16, v17 offset0:8 offset1:10
	s_waitcnt lgkmcnt(4)
	v_pk_mul_f32 v[16:17], v[2:3], v[22:23]
	ds_write2st64_b32 v14, v16, v17 offset0:12 offset1:14
	ds_read2st64_b32 v[16:17], v14 offset0:20 offset1:22
	s_waitcnt lgkmcnt(3)
	v_pk_mul_f32 v[18:19], v[2:3], v[18:19]
	ds_read2st64_b32 v[20:21], v14 offset0:24 offset1:26
	ds_write2st64_b32 v14, v18, v19 offset0:16 offset1:18
	ds_read2st64_b32 v[18:19], v14 offset0:28 offset1:30
	s_waitcnt lgkmcnt(3)
	v_pk_mul_f32 v[16:17], v[2:3], v[16:17]
	ds_write2st64_b32 v14, v16, v17 offset0:20 offset1:22
	s_waitcnt lgkmcnt(3)
	v_pk_mul_f32 v[16:17], v[2:3], v[20:21]
	ds_write2st64_b32 v14, v16, v17 offset0:24 offset1:26
	s_waitcnt lgkmcnt(2)
	v_pk_mul_f32 v[16:17], v[2:3], v[18:19]
	s_add_i32 s18, s18, 16
	v_cmp_eq_u32_e32 vcc, 0, v12
	ds_write2st64_b32 v14, v16, v17 offset0:28 offset1:30
	v_add_u32_e32 v14, 0x2000, v14
	s_or_b64 s[12:13], vcc, s[12:13]
	v_mov_b32_e32 v15, s18
	s_andn2_b64 exec, exec, s[12:13]
	s_cbranch_execnz .LBB280_216
; %bb.217:
	s_or_b64 exec, exec, s[12:13]
.LBB280_218:
	s_or_b64 exec, exec, s[10:11]
	v_and_b32_e32 v11, 7, v11
	v_cmp_ne_u32_e32 vcc, 0, v11
	s_and_saveexec_b64 s[10:11], vcc
	s_cbranch_execz .LBB280_221
; %bb.219:
	v_lshlrev_b32_e32 v12, 9, v15
	v_lshlrev_b32_e32 v14, 2, v0
	s_movk_i32 s12, 0x100
	v_add3_u32 v12, v12, v14, s12
	s_mov_b64 s[12:13], 0
.LBB280_220:                            ; =>This Inner Loop Header: Depth=1
	ds_read2st64_b32 v[14:15], v12 offset1:2
	v_add_u32_e32 v11, -1, v11
	v_cmp_eq_u32_e32 vcc, 0, v11
	s_or_b64 s[12:13], vcc, s[12:13]
	s_waitcnt lgkmcnt(0)
	v_pk_mul_f32 v[14:15], v[2:3], v[14:15]
	ds_write2st64_b32 v12, v14, v15 offset1:2
	v_add_u32_e32 v12, 0x400, v12
	s_andn2_b64 exec, exec, s[12:13]
	s_cbranch_execnz .LBB280_220
.LBB280_221:
	s_or_b64 exec, exec, s[10:11]
	v_add_u32_e32 v10, 1, v10
	v_and_b32_e32 v11, 0x3fffffe, v10
	v_cmp_ne_u32_e32 vcc, v10, v11
	v_lshl_add_u32 v3, v11, 7, v0
	s_orn2_b64 s[10:11], vcc, exec
.LBB280_222:
	s_or_b64 exec, exec, s[4:5]
	s_and_b64 exec, exec, s[10:11]
	s_cbranch_execz .LBB280_225
; %bb.223:
	v_mov_b32_e32 v10, 0x100
	v_lshl_add_u32 v10, v3, 2, v10
	s_mov_b64 s[4:5], 0
.LBB280_224:                            ; =>This Inner Loop Header: Depth=1
	ds_read_b32 v11, v10
	v_add_u32_e32 v3, 0x80, v3
	v_cmp_le_i32_e32 vcc, s23, v3
	s_or_b64 s[4:5], vcc, s[4:5]
	s_waitcnt lgkmcnt(0)
	v_mul_f32_e32 v11, v2, v11
	ds_write_b32 v10, v11
	v_add_u32_e32 v10, 0x200, v10
	s_andn2_b64 exec, exec, s[4:5]
	s_cbranch_execnz .LBB280_224
.LBB280_225:
	s_or_b64 exec, exec, s[2:3]
	s_mul_i32 s2, s29, s34
	v_cmp_eq_u32_e32 vcc, 0, v0
	s_mul_i32 s10, s2, s9
	s_waitcnt lgkmcnt(0)
	s_barrier
	s_and_saveexec_b64 s[2:3], vcc
	s_cbranch_execz .LBB280_227
; %bb.226:
	s_ashr_i32 s11, s10, 31
	s_lshl_b64 s[4:5], s[10:11], 2
	s_add_u32 s9, s26, s4
	s_mul_i32 s12, s29, s6
	s_addc_u32 s11, s27, s5
	s_ashr_i32 s13, s12, 31
	s_lshl_b64 s[12:13], s[12:13], 2
	s_add_u32 s6, s9, s12
	s_addc_u32 s11, s11, s13
	s_ashr_i32 s9, s8, 31
	s_lshl_b64 s[18:19], s[8:9], 2
	s_add_u32 s26, s6, s18
	s_addc_u32 s27, s11, s19
	s_add_u32 s4, s24, s4
	s_addc_u32 s5, s25, s5
	;; [unrolled: 2-line block ×3, first 2 shown]
	s_add_u32 s4, s4, s18
	v_mov_b32_e32 v2, 0
	s_addc_u32 s5, s5, s19
	global_store_dword v2, v5, s[26:27]
	global_store_dword v2, v8, s[4:5]
.LBB280_227:
	s_or_b64 exec, exec, s[2:3]
	s_mov_b32 s4, 0
	v_mov_b32_e32 v5, 0
	v_lshrrev_b32_e32 v29, 1, v4
	v_and_b32_e32 v28, 1, v0
	v_mov_b32_e32 v4, 0
	v_mov_b32_e32 v3, 0
	;; [unrolled: 1-line block ×3, first 2 shown]
	s_and_saveexec_b64 s[12:13], s[0:1]
	s_cbranch_execz .LBB280_435
; %bb.228:
	s_sub_i32 s9, s16, s21
	s_ashr_i32 s0, s20, 31
	s_add_u32 s16, s40, s20
	v_lshlrev_b32_e32 v2, 3, v0
	s_mov_b32 s11, s17
	s_addc_u32 s17, s41, s0
	s_abs_i32 s34, s22
	v_and_b32_e32 v30, 8, v2
	v_cvt_f32_u32_e32 v2, s34
	v_or_b32_e32 v3, 0x60, v29
	s_movk_i32 s0, 0x78
	v_cmp_gt_u32_e32 vcc, s0, v3
	v_rcp_iflag_f32_e32 v2, v2
	s_sub_i32 s0, 0, s34
	s_add_i32 s40, s7, -1
	v_lshl_or_b32 v12, v3, 4, v30
	v_mul_f32_e32 v2, 0x4f7ffffe, v2
	v_cvt_u32_f32_e32 v2, v2
	s_mov_b32 s5, s4
	s_mov_b32 s18, -1
	s_mov_b32 s6, s4
	v_mul_lo_u32 v3, s0, v2
	s_lshl_b64 s[0:1], s[38:39], 2
	v_mul_hi_u32 v3, v2, v3
	s_add_u32 s0, s36, s0
	v_add_u32_e32 v31, v2, v3
	v_lshlrev_b64 v[2:3], 2, v[6:7]
	s_addc_u32 s1, s37, s1
	v_mov_b32_e32 v4, s1
	v_add_co_u32_e64 v14, s[0:1], s0, v2
	v_lshlrev_b32_e32 v2, 5, v28
	v_lshl_or_b32 v2, v13, 6, v2
	v_addc_co_u32_e64 v15, s[0:1], v4, v3, s[0:1]
	v_add_u32_e32 v7, 0x100, v2
	s_mov_b32 s7, s4
	v_pk_mov_b32 v[2:3], s[4:5], s[4:5] op_sel:[0,1]
	s_mov_b32 s19, 0xffffff
	v_lshl_or_b32 v8, v29, 4, v30
	v_mov_b32_e32 v11, 0
	s_mov_b32 s41, s33
	s_mov_b64 s[20:21], 0
	v_pk_mov_b32 v[4:5], s[6:7], s[6:7] op_sel:[0,1]
	s_movk_i32 s36, 0x80
	s_movk_i32 s37, 0x7f
	s_mov_b32 s38, 0x8000
	s_movk_i32 s39, 0x380
	s_mov_b32 s43, 0x3020706
	s_mov_b32 s44, 0x1000504
	s_mov_b32 s45, 0x5040100
	v_mov_b32_e32 v13, 0x2000
	s_branch .LBB280_232
.LBB280_229:                            ;   in Loop: Header=BB280_232 Depth=1
	s_or_b64 exec, exec, s[2:3]
	;;#ASMSTART
	v_pk_mul_f16 v18, v36, v18;

	;;#ASMEND
	;;#ASMSTART
	v_pk_mul_f16 v10, v35, v10;

	;;#ASMEND
	;; [unrolled: 4-line block ×4, first 2 shown]
	;;#ASMSTART
	v_pk_add_f16 v10, v18, v10;

	;;#ASMEND
	;;#ASMSTART
	v_pk_add_f16 v10, v10, v17;

	;;#ASMEND
	;; [unrolled: 4-line block ×3, first 2 shown]
	v_lshrrev_b32_e32 v16, 16, v10
	v_and_b32_e32 v10, 0xffff, v10
	;;#ASMSTART
	v_cvt_f32_f16 v10, v10;
	;;#ASMEND
	;;#ASMSTART
	v_cvt_f32_f16 v16, v16;
	;;#ASMEND
	v_add_f32_e32 v10, v10, v16
	v_add_f32_e32 v5, v5, v10
.LBB280_230:                            ;   in Loop: Header=BB280_232 Depth=1
	s_or_b64 exec, exec, s[6:7]
.LBB280_231:                            ;   in Loop: Header=BB280_232 Depth=1
	s_or_b64 exec, exec, s[4:5]
	v_add_co_u32_e64 v14, s[0:1], 8, v14
	v_add_u32_e32 v6, 2, v6
	v_addc_co_u32_e64 v15, s[0:1], 0, v15, s[0:1]
	v_cmp_le_i32_e64 s[0:1], s54, v6
	v_add_u32_e32 v1, 32, v1
	s_or_b64 s[20:21], s[0:1], s[20:21]
	v_add_u32_e32 v7, 0x80, v7
	s_andn2_b64 exec, exec, s[20:21]
	s_cbranch_execz .LBB280_434
.LBB280_232:                            ; =>This Inner Loop Header: Depth=1
	v_sub_u32_e32 v16, 0, v1
	v_max_i32_e32 v16, v1, v16
	v_mul_hi_u32 v17, v16, s52
	v_mul_lo_u32 v18, v17, s35
	v_sub_u32_e32 v16, v16, v18
	v_add_u32_e32 v18, 1, v17
	v_cmp_le_u32_e64 s[0:1], s35, v16
	v_cndmask_b32_e64 v17, v17, v18, s[0:1]
	v_subrev_u32_e32 v18, s35, v16
	v_cndmask_b32_e64 v16, v16, v18, s[0:1]
	v_ashrrev_i32_e32 v10, 31, v1
	v_add_u32_e32 v18, 1, v17
	v_cmp_le_u32_e64 s[0:1], s35, v16
	v_xor_b32_e32 v10, s53, v10
	v_cndmask_b32_e64 v16, v17, v18, s[0:1]
	v_xor_b32_e32 v16, v16, v10
	v_sub_u32_e32 v10, v16, v10
	v_add_u32_e32 v16, s42, v10
	v_sub_u32_e32 v18, 0, v16
	v_ashrrev_i32_e32 v17, 31, v16
	v_max_i32_e32 v16, v16, v18
	v_mul_hi_u32 v18, v16, v31
	v_mul_lo_u32 v18, v18, s34
	v_sub_u32_e32 v16, v16, v18
	v_subrev_u32_e32 v18, s34, v16
	v_cmp_le_u32_e64 s[0:1], s34, v16
	v_cndmask_b32_e64 v16, v16, v18, s[0:1]
	v_subrev_u32_e32 v18, s34, v16
	v_cmp_le_u32_e64 s[0:1], s34, v16
	v_cndmask_b32_e64 v16, v16, v18, s[0:1]
	v_xor_b32_e32 v16, v16, v17
	v_sub_u32_e32 v16, v16, v17
	v_cmp_eq_u32_e64 s[0:1], 0, v16
	v_cmp_lt_i32_e64 s[2:3], s9, v10
	s_or_b64 s[0:1], s[0:1], s[2:3]
	s_and_saveexec_b64 s[4:5], s[0:1]
	s_cbranch_execz .LBB280_231
; %bb.233:                              ;   in Loop: Header=BB280_232 Depth=1
	global_load_dword v10, v[14:15], off
	ds_read2_b64 v[16:19], v7 offset1:1
	ds_read2_b64 v[22:25], v7 offset0:2 offset1:3
	v_pk_mov_b32 v[26:27], s[16:17], s[16:17] op_sel:[0,1]
	s_waitcnt lgkmcnt(1)
	;;#ASMSTART
	v_cvt_f16_f32 v21, v16;

	;;#ASMEND
	;;#ASMSTART
	v_cvt_f16_f32 v33, v17;

	;;#ASMEND
	;; [unrolled: 4-line block ×4, first 2 shown]
	s_waitcnt lgkmcnt(0)
	;;#ASMSTART
	v_cvt_f16_f32 v37, v22;

	;;#ASMEND
	;;#ASMSTART
	v_cvt_f16_f32 v38, v23;

	;;#ASMEND
	;; [unrolled: 4-line block ×4, first 2 shown]
	v_mov_b32_e32 v24, 0
	v_mov_b32_e32 v22, 0
	s_waitcnt vmcnt(0)
	v_mad_i64_i32 v[16:17], s[0:1], v10, s11, v[26:27]
	v_add_co_u32_e64 v18, s[0:1], v16, v8
	v_addc_co_u32_e64 v19, s[0:1], 0, v17, s[0:1]
	global_load_dwordx2 v[26:27], v[18:19], off
	global_load_dword v20, v11, s[14:15]
	s_waitcnt vmcnt(1)
	v_cmp_ne_u16_sdwa s[0:1], v26, v11 src0_sel:BYTE_0 src1_sel:DWORD
	s_and_saveexec_b64 s[2:3], s[0:1]
	s_cbranch_execz .LBB280_239
; %bb.234:                              ;   in Loop: Header=BB280_232 Depth=1
	v_cmp_ne_u16_sdwa s[0:1], v26, s36 src0_sel:BYTE_0 src1_sel:DWORD
	v_bfrev_b32_e32 v22, 1
	s_and_saveexec_b64 s[6:7], s[0:1]
	s_cbranch_execz .LBB280_238
; %bb.235:                              ;   in Loop: Header=BB280_232 Depth=1
	v_and_b32_e32 v10, 0x7f, v26
	v_cmp_ne_u32_e64 s[0:1], s37, v10
	v_mov_b32_e32 v22, 0x7fc02000
	s_and_saveexec_b64 s[22:23], s[0:1]
	s_cbranch_execz .LBB280_237
; %bb.236:                              ;   in Loop: Header=BB280_232 Depth=1
	v_and_b32_e32 v22, 7, v26
	v_ffbh_u32_e32 v22, v22
	v_min_u32_e32 v22, 32, v22
	v_subrev_u32_e32 v23, 28, v22
	v_cmp_gt_u32_e64 s[0:1], 8, v10
	v_lshrrev_b32_e32 v25, 3, v10
	v_sub_u32_e32 v32, 29, v22
	v_cndmask_b32_e64 v10, 0, v23, s[0:1]
	v_lshlrev_b64 v[22:23], v10, v[26:27]
	v_cndmask_b32_e64 v10, v25, v32, s[0:1]
	v_lshlrev_b32_e32 v23, 8, v26
	v_lshl_add_u32 v10, v10, 10, v13
	v_lshlrev_b32_e32 v22, 7, v22
	v_and_or_b32 v10, v23, s38, v10
	v_and_or_b32 v10, v22, s39, v10
	v_cvt_f32_f16_e32 v22, v10
.LBB280_237:                            ;   in Loop: Header=BB280_232 Depth=1
	s_or_b64 exec, exec, s[22:23]
.LBB280_238:                            ;   in Loop: Header=BB280_232 Depth=1
	s_or_b64 exec, exec, s[6:7]
.LBB280_239:                            ;   in Loop: Header=BB280_232 Depth=1
	s_or_b64 exec, exec, s[2:3]
	v_lshrrev_b16_e32 v10, 8, v26
	v_cmp_ne_u16_e64 s[0:1], 0, v10
	s_and_saveexec_b64 s[2:3], s[0:1]
	s_cbranch_execz .LBB280_245
; %bb.240:                              ;   in Loop: Header=BB280_232 Depth=1
	v_cmp_ne_u16_e64 s[0:1], s36, v10
	v_bfrev_b32_e32 v24, 1
	s_and_saveexec_b64 s[6:7], s[0:1]
	s_cbranch_execz .LBB280_244
; %bb.241:                              ;   in Loop: Header=BB280_232 Depth=1
	v_and_b32_e32 v23, 0x7f, v10
	v_cmp_ne_u32_e64 s[0:1], s37, v23
	v_mov_b32_e32 v24, 0x7fc02000
	s_and_saveexec_b64 s[22:23], s[0:1]
	s_cbranch_execz .LBB280_243
; %bb.242:                              ;   in Loop: Header=BB280_232 Depth=1
	v_and_b32_e32 v32, 7, v10
	v_ffbh_u32_e32 v24, v32
	v_min_u32_e32 v41, 32, v24
	v_subrev_u32_e32 v24, 28, v41
	v_lshlrev_b64 v[24:25], v24, v[10:11]
	v_lshrrev_b32_e32 v36, 3, v23
	v_sub_u32_e32 v25, 29, v41
	v_cmp_gt_u32_e64 s[0:1], 8, v23
	v_cndmask_b32_e64 v23, v36, v25, s[0:1]
	v_and_b32_e32 v24, 7, v24
	v_lshlrev_b32_e32 v10, 8, v10
	v_lshl_add_u32 v23, v23, 10, v13
	v_cndmask_b32_e64 v24, v32, v24, s[0:1]
	v_and_or_b32 v10, v10, s38, v23
	v_lshl_or_b32 v10, v24, 7, v10
	v_cvt_f32_f16_e32 v24, v10
.LBB280_243:                            ;   in Loop: Header=BB280_232 Depth=1
	s_or_b64 exec, exec, s[22:23]
.LBB280_244:                            ;   in Loop: Header=BB280_232 Depth=1
	s_or_b64 exec, exec, s[6:7]
.LBB280_245:                            ;   in Loop: Header=BB280_232 Depth=1
	s_or_b64 exec, exec, s[2:3]
	v_lshrrev_b32_e32 v10, 16, v26
	v_cmp_ne_u16_sdwa s[0:1], v10, v11 src0_sel:BYTE_0 src1_sel:DWORD
	v_mov_b32_e32 v25, 0
	v_mov_b32_e32 v23, 0
	s_and_saveexec_b64 s[2:3], s[0:1]
	s_cbranch_execz .LBB280_251
; %bb.246:                              ;   in Loop: Header=BB280_232 Depth=1
	v_cmp_ne_u16_sdwa s[0:1], v10, s36 src0_sel:BYTE_0 src1_sel:DWORD
	v_bfrev_b32_e32 v23, 1
	s_and_saveexec_b64 s[6:7], s[0:1]
	s_cbranch_execz .LBB280_250
; %bb.247:                              ;   in Loop: Header=BB280_232 Depth=1
	v_bfe_u32 v32, v26, 16, 7
	v_cmp_ne_u32_e64 s[0:1], s37, v32
	v_mov_b32_e32 v23, 0x7fc02000
	s_and_saveexec_b64 s[22:23], s[0:1]
	s_cbranch_execz .LBB280_249
; %bb.248:                              ;   in Loop: Header=BB280_232 Depth=1
	v_and_b32_e32 v23, 7, v10
	v_ffbh_u32_e32 v41, v23
	v_min_u32_e32 v41, 32, v41
	v_lshrrev_b32_e32 v36, 3, v32
	v_subrev_u32_e32 v42, 28, v41
	v_sub_u32_e32 v41, 29, v41
	v_cmp_gt_u32_e64 s[0:1], 8, v32
	v_lshlrev_b64 v[42:43], v42, v[10:11]
	v_cndmask_b32_e64 v32, v36, v41, s[0:1]
	v_and_b32_e32 v42, 7, v42
	v_lshlrev_b32_e32 v10, 8, v10
	v_lshl_add_u32 v32, v32, 10, v13
	v_cndmask_b32_e64 v23, v23, v42, s[0:1]
	v_and_or_b32 v10, v10, s38, v32
	v_lshl_or_b32 v10, v23, 7, v10
	v_cvt_f32_f16_e32 v23, v10
.LBB280_249:                            ;   in Loop: Header=BB280_232 Depth=1
	s_or_b64 exec, exec, s[22:23]
.LBB280_250:                            ;   in Loop: Header=BB280_232 Depth=1
	s_or_b64 exec, exec, s[6:7]
.LBB280_251:                            ;   in Loop: Header=BB280_232 Depth=1
	s_or_b64 exec, exec, s[2:3]
	v_cmp_lt_u32_e64 s[0:1], s19, v26
	s_and_saveexec_b64 s[2:3], s[0:1]
	s_cbranch_execz .LBB280_257
; %bb.252:                              ;   in Loop: Header=BB280_232 Depth=1
	v_lshrrev_b32_e32 v10, 24, v26
	v_cmp_ne_u32_e64 s[0:1], s36, v10
	v_bfrev_b32_e32 v25, 1
	s_and_saveexec_b64 s[6:7], s[0:1]
	s_cbranch_execz .LBB280_256
; %bb.253:                              ;   in Loop: Header=BB280_232 Depth=1
	v_and_b32_e32 v32, 0x7f, v10
	v_cmp_ne_u32_e64 s[0:1], s37, v32
	v_mov_b32_e32 v25, 0x7fc02000
	s_and_saveexec_b64 s[22:23], s[0:1]
	s_cbranch_execz .LBB280_255
; %bb.254:                              ;   in Loop: Header=BB280_232 Depth=1
	v_and_b32_e32 v25, 7, v10
	v_ffbh_u32_e32 v41, v25
	v_min_u32_e32 v41, 32, v41
	v_lshrrev_b32_e32 v36, 3, v32
	v_subrev_u32_e32 v42, 28, v41
	v_sub_u32_e32 v41, 29, v41
	v_cmp_gt_u32_e64 s[0:1], 8, v32
	v_lshlrev_b64 v[42:43], v42, v[10:11]
	v_cndmask_b32_e64 v32, v36, v41, s[0:1]
	v_and_b32_e32 v42, 7, v42
	v_lshlrev_b32_e32 v10, 8, v10
	v_lshl_add_u32 v32, v32, 10, v13
	v_cndmask_b32_e64 v25, v25, v42, s[0:1]
	v_and_or_b32 v10, v10, s38, v32
	v_lshl_or_b32 v10, v25, 7, v10
	v_cvt_f32_f16_e32 v25, v10
.LBB280_255:                            ;   in Loop: Header=BB280_232 Depth=1
	s_or_b64 exec, exec, s[22:23]
.LBB280_256:                            ;   in Loop: Header=BB280_232 Depth=1
	s_or_b64 exec, exec, s[6:7]
.LBB280_257:                            ;   in Loop: Header=BB280_232 Depth=1
	s_or_b64 exec, exec, s[2:3]
	v_mov_b32_e32 v10, v27
	v_cmp_ne_u16_sdwa s[0:1], v27, v11 src0_sel:BYTE_0 src1_sel:DWORD
	v_mov_b32_e32 v41, 0
	v_mov_b32_e32 v36, 0
	s_and_saveexec_b64 s[2:3], s[0:1]
	s_cbranch_execz .LBB280_263
; %bb.258:                              ;   in Loop: Header=BB280_232 Depth=1
	v_cmp_ne_u16_sdwa s[0:1], v27, s36 src0_sel:BYTE_0 src1_sel:DWORD
	v_bfrev_b32_e32 v36, 1
	s_and_saveexec_b64 s[6:7], s[0:1]
	s_cbranch_execz .LBB280_262
; %bb.259:                              ;   in Loop: Header=BB280_232 Depth=1
	v_and_b32_e32 v32, 0x7f, v27
	v_cmp_ne_u32_e64 s[0:1], s37, v32
	v_mov_b32_e32 v36, 0x7fc02000
	s_and_saveexec_b64 s[22:23], s[0:1]
	s_cbranch_execz .LBB280_261
; %bb.260:                              ;   in Loop: Header=BB280_232 Depth=1
	v_and_b32_e32 v36, 7, v27
	v_ffbh_u32_e32 v36, v36
	v_min_u32_e32 v36, 32, v36
	v_subrev_u32_e32 v42, 28, v36
	v_cmp_gt_u32_e64 s[0:1], 8, v32
	v_lshrrev_b32_e32 v44, 3, v32
	v_sub_u32_e32 v36, 29, v36
	v_cndmask_b32_e64 v32, 0, v42, s[0:1]
	v_lshlrev_b64 v[42:43], v32, v[10:11]
	v_cndmask_b32_e64 v32, v44, v36, s[0:1]
	v_lshlrev_b32_e32 v36, 7, v42
	v_lshlrev_b32_e32 v42, 8, v27
	v_lshl_add_u32 v32, v32, 10, v13
	v_and_or_b32 v32, v42, s38, v32
	v_and_or_b32 v32, v36, s39, v32
	v_cvt_f32_f16_e32 v36, v32
.LBB280_261:                            ;   in Loop: Header=BB280_232 Depth=1
	s_or_b64 exec, exec, s[22:23]
.LBB280_262:                            ;   in Loop: Header=BB280_232 Depth=1
	s_or_b64 exec, exec, s[6:7]
.LBB280_263:                            ;   in Loop: Header=BB280_232 Depth=1
	s_or_b64 exec, exec, s[2:3]
	v_lshrrev_b16_e32 v10, 8, v10
	v_cmp_ne_u16_e64 s[0:1], 0, v10
	s_and_saveexec_b64 s[2:3], s[0:1]
	s_cbranch_execz .LBB280_269
; %bb.264:                              ;   in Loop: Header=BB280_232 Depth=1
	v_cmp_ne_u16_e64 s[0:1], s36, v10
	v_bfrev_b32_e32 v41, 1
	s_and_saveexec_b64 s[6:7], s[0:1]
	s_cbranch_execz .LBB280_268
; %bb.265:                              ;   in Loop: Header=BB280_232 Depth=1
	v_and_b32_e32 v32, 0x7f, v10
	v_cmp_ne_u32_e64 s[0:1], s37, v32
	v_mov_b32_e32 v41, 0x7fc02000
	s_and_saveexec_b64 s[22:23], s[0:1]
	s_cbranch_execz .LBB280_267
; %bb.266:                              ;   in Loop: Header=BB280_232 Depth=1
	v_and_b32_e32 v41, 7, v10
	v_ffbh_u32_e32 v42, v41
	v_min_u32_e32 v45, 32, v42
	v_subrev_u32_e32 v42, 28, v45
	v_lshlrev_b64 v[42:43], v42, v[10:11]
	v_lshrrev_b32_e32 v44, 3, v32
	v_sub_u32_e32 v43, 29, v45
	v_cmp_gt_u32_e64 s[0:1], 8, v32
	v_cndmask_b32_e64 v32, v44, v43, s[0:1]
	v_and_b32_e32 v42, 7, v42
	v_lshlrev_b32_e32 v10, 8, v10
	v_lshl_add_u32 v32, v32, 10, v13
	v_cndmask_b32_e64 v41, v41, v42, s[0:1]
	v_and_or_b32 v10, v10, s38, v32
	v_lshl_or_b32 v10, v41, 7, v10
	v_cvt_f32_f16_e32 v41, v10
.LBB280_267:                            ;   in Loop: Header=BB280_232 Depth=1
	s_or_b64 exec, exec, s[22:23]
.LBB280_268:                            ;   in Loop: Header=BB280_232 Depth=1
	s_or_b64 exec, exec, s[6:7]
.LBB280_269:                            ;   in Loop: Header=BB280_232 Depth=1
	s_or_b64 exec, exec, s[2:3]
	v_lshrrev_b32_e32 v10, 16, v27
	v_cmp_ne_u16_sdwa s[0:1], v10, v11 src0_sel:BYTE_0 src1_sel:DWORD
	v_mov_b32_e32 v42, 0
	v_mov_b32_e32 v43, 0
	s_and_saveexec_b64 s[2:3], s[0:1]
	s_cbranch_execz .LBB280_275
; %bb.270:                              ;   in Loop: Header=BB280_232 Depth=1
	v_cmp_ne_u16_sdwa s[0:1], v10, s36 src0_sel:BYTE_0 src1_sel:DWORD
	v_bfrev_b32_e32 v43, 1
	s_and_saveexec_b64 s[6:7], s[0:1]
	s_cbranch_execz .LBB280_274
; %bb.271:                              ;   in Loop: Header=BB280_232 Depth=1
	v_bfe_u32 v32, v27, 16, 7
	v_cmp_ne_u32_e64 s[0:1], s37, v32
	v_mov_b32_e32 v43, 0x7fc02000
	s_and_saveexec_b64 s[22:23], s[0:1]
	s_cbranch_execz .LBB280_273
; %bb.272:                              ;   in Loop: Header=BB280_232 Depth=1
	v_and_b32_e32 v43, 7, v10
	v_ffbh_u32_e32 v44, v43
	v_min_u32_e32 v47, 32, v44
	v_subrev_u32_e32 v44, 28, v47
	v_lshlrev_b64 v[44:45], v44, v[10:11]
	v_lshrrev_b32_e32 v46, 3, v32
	v_sub_u32_e32 v45, 29, v47
	v_cmp_gt_u32_e64 s[0:1], 8, v32
	v_cndmask_b32_e64 v32, v46, v45, s[0:1]
	v_and_b32_e32 v44, 7, v44
	v_lshlrev_b32_e32 v10, 8, v10
	v_lshl_add_u32 v32, v32, 10, v13
	v_cndmask_b32_e64 v43, v43, v44, s[0:1]
	v_and_or_b32 v10, v10, s38, v32
	v_lshl_or_b32 v10, v43, 7, v10
	v_cvt_f32_f16_e32 v43, v10
.LBB280_273:                            ;   in Loop: Header=BB280_232 Depth=1
	s_or_b64 exec, exec, s[22:23]
.LBB280_274:                            ;   in Loop: Header=BB280_232 Depth=1
	s_or_b64 exec, exec, s[6:7]
.LBB280_275:                            ;   in Loop: Header=BB280_232 Depth=1
	s_or_b64 exec, exec, s[2:3]
	v_cmp_lt_u64_e64 s[0:1], s[18:19], v[26:27]
	s_and_saveexec_b64 s[2:3], s[0:1]
	s_cbranch_execz .LBB280_281
; %bb.276:                              ;   in Loop: Header=BB280_232 Depth=1
	v_lshrrev_b32_e32 v10, 24, v27
	v_cmp_ne_u32_e64 s[0:1], s36, v10
	v_bfrev_b32_e32 v42, 1
	s_and_saveexec_b64 s[6:7], s[0:1]
	s_cbranch_execz .LBB280_280
; %bb.277:                              ;   in Loop: Header=BB280_232 Depth=1
	v_and_b32_e32 v26, 0x7f, v10
	v_cmp_ne_u32_e64 s[0:1], s37, v26
	v_mov_b32_e32 v42, 0x7fc02000
	s_and_saveexec_b64 s[22:23], s[0:1]
	s_cbranch_execz .LBB280_279
; %bb.278:                              ;   in Loop: Header=BB280_232 Depth=1
	v_and_b32_e32 v27, 7, v10
	v_ffbh_u32_e32 v42, v27
	v_min_u32_e32 v42, 32, v42
	v_lshrrev_b32_e32 v32, 3, v26
	v_subrev_u32_e32 v44, 28, v42
	v_sub_u32_e32 v42, 29, v42
	v_cmp_gt_u32_e64 s[0:1], 8, v26
	v_lshlrev_b64 v[44:45], v44, v[10:11]
	v_cndmask_b32_e64 v26, v32, v42, s[0:1]
	v_and_b32_e32 v44, 7, v44
	v_lshlrev_b32_e32 v10, 8, v10
	v_lshl_add_u32 v26, v26, 10, v13
	v_cndmask_b32_e64 v27, v27, v44, s[0:1]
	v_and_or_b32 v10, v10, s38, v26
	v_lshl_or_b32 v10, v27, 7, v10
	v_cvt_f32_f16_e32 v42, v10
.LBB280_279:                            ;   in Loop: Header=BB280_232 Depth=1
	s_or_b64 exec, exec, s[22:23]
.LBB280_280:                            ;   in Loop: Header=BB280_232 Depth=1
	s_or_b64 exec, exec, s[6:7]
.LBB280_281:                            ;   in Loop: Header=BB280_232 Depth=1
	s_or_b64 exec, exec, s[2:3]
	s_waitcnt vmcnt(0)
	v_pk_mul_f32 v[24:25], v[20:21], v[24:25] op_sel_hi:[0,1]
	v_pk_mul_f32 v[22:23], v[20:21], v[22:23] op_sel_hi:[0,1]
	v_cvt_f16_f32_e32 v10, v25
	v_cvt_f16_f32_e32 v24, v24
	;; [unrolled: 1-line block ×4, first 2 shown]
	v_add_u32_e32 v32, v30, v1
	v_pack_b32_f16 v24, v24, v10
	v_cmp_eq_u32_e64 s[0:1], s40, v6
	v_pack_b32_f16 v22, v22, v23
	v_fma_mixlo_f16 v23, v20, v41, 0
	v_perm_b32 v10, v22, v24, s43
	v_perm_b32 v22, v22, v24, s44
	v_lshlrev_b32_e32 v23, 16, v23
	v_fma_mixlo_f16 v24, v20, v36, 0
	v_or_b32_sdwa v23, v23, v24 dst_sel:DWORD dst_unused:UNUSED_PAD src0_sel:DWORD src1_sel:WORD_0
	v_fma_mixlo_f16 v24, v20, v43, 0
	v_fma_mixlo_f16 v20, v20, v42, 0
	v_lshlrev_b32_e32 v20, 16, v20
	v_or_b32_sdwa v20, v20, v24 dst_sel:DWORD dst_unused:UNUSED_PAD src0_sel:DWORD src1_sel:WORD_0
	s_and_saveexec_b64 s[6:7], s[0:1]
	s_cbranch_execz .LBB280_283
; %bb.282:                              ;   in Loop: Header=BB280_232 Depth=1
	v_add_u32_e32 v25, 1, v32
	v_lshrrev_b32_e32 v26, 16, v22
	v_cmp_gt_i32_e64 s[2:3], s41, v25
	v_cndmask_b32_e64 v25, 0, v26, s[2:3]
	v_cmp_gt_i32_e64 s[2:3], s33, v32
	v_cndmask_b32_e64 v22, 0, v22, s[2:3]
	v_perm_b32 v22, v25, v22, s45
	v_or_b32_e32 v25, 3, v32
	v_or_b32_e32 v26, 2, v32
	v_lshrrev_b32_e32 v27, 16, v10
	v_cmp_gt_i32_e64 s[2:3], s41, v25
	v_cndmask_b32_e64 v25, 0, v27, s[2:3]
	v_cmp_gt_i32_e64 s[2:3], s33, v26
	v_cndmask_b32_e64 v10, 0, v10, s[2:3]
	v_perm_b32 v10, v25, v10, s45
	v_or_b32_e32 v25, 5, v32
	v_or_b32_e32 v26, 4, v32
	;; [unrolled: 8-line block ×3, first 2 shown]
	v_lshrrev_b32_e32 v20, 16, v20
	v_cmp_gt_i32_e64 s[2:3], s41, v25
	v_cndmask_b32_e64 v20, 0, v20, s[2:3]
	v_cmp_gt_i32_e64 s[2:3], s33, v26
	v_cndmask_b32_e64 v24, 0, v24, s[2:3]
	v_perm_b32 v20, v20, v24, s45
.LBB280_283:                            ;   in Loop: Header=BB280_232 Depth=1
	s_or_b64 exec, exec, s[6:7]
	v_and_b32_e32 v21, 0xffff, v21
	v_lshl_or_b32 v36, v33, 16, v21
	v_and_b32_e32 v21, 0xffff, v34
	v_lshl_or_b32 v35, v35, 16, v21
	;; [unrolled: 2-line block ×4, first 2 shown]
	;;#ASMSTART
	v_pk_mul_f16 v21, v36, v22;

	;;#ASMEND
	;;#ASMSTART
	v_pk_mul_f16 v10, v35, v10;

	;;#ASMEND
	;; [unrolled: 4-line block ×4, first 2 shown]
	;;#ASMSTART
	v_pk_add_f16 v10, v21, v10;

	;;#ASMEND
	;;#ASMSTART
	v_pk_add_f16 v10, v10, v22;

	;;#ASMEND
	;; [unrolled: 4-line block ×3, first 2 shown]
	v_lshrrev_b32_e32 v20, 16, v10
	v_and_b32_e32 v10, 0xffff, v10
	;;#ASMSTART
	v_cvt_f32_f16 v21, v10;
	;;#ASMEND
	;;#ASMSTART
	v_cvt_f32_f16 v37, v20;
	;;#ASMEND
	global_load_dwordx2 v[26:27], v[18:19], off offset:512
	global_load_dword v20, v11, s[14:15]
	v_mov_b32_e32 v24, 0
	v_mov_b32_e32 v22, 0
	s_waitcnt vmcnt(1)
	v_cmp_ne_u16_sdwa s[2:3], v26, v11 src0_sel:BYTE_0 src1_sel:DWORD
	s_and_saveexec_b64 s[6:7], s[2:3]
	s_cbranch_execz .LBB280_289
; %bb.284:                              ;   in Loop: Header=BB280_232 Depth=1
	v_cmp_ne_u16_sdwa s[2:3], v26, s36 src0_sel:BYTE_0 src1_sel:DWORD
	v_bfrev_b32_e32 v22, 1
	s_and_saveexec_b64 s[22:23], s[2:3]
	s_cbranch_execz .LBB280_288
; %bb.285:                              ;   in Loop: Header=BB280_232 Depth=1
	v_and_b32_e32 v10, 0x7f, v26
	v_cmp_ne_u32_e64 s[2:3], s37, v10
	v_mov_b32_e32 v22, 0x7fc02000
	s_and_saveexec_b64 s[24:25], s[2:3]
	s_cbranch_execz .LBB280_287
; %bb.286:                              ;   in Loop: Header=BB280_232 Depth=1
	v_and_b32_e32 v22, 7, v26
	v_ffbh_u32_e32 v22, v22
	v_min_u32_e32 v22, 32, v22
	v_subrev_u32_e32 v23, 28, v22
	v_cmp_gt_u32_e64 s[2:3], 8, v10
	v_lshrrev_b32_e32 v25, 3, v10
	v_sub_u32_e32 v38, 29, v22
	v_cndmask_b32_e64 v10, 0, v23, s[2:3]
	v_lshlrev_b64 v[22:23], v10, v[26:27]
	v_cndmask_b32_e64 v10, v25, v38, s[2:3]
	v_lshlrev_b32_e32 v23, 8, v26
	v_lshl_add_u32 v10, v10, 10, v13
	v_lshlrev_b32_e32 v22, 7, v22
	v_and_or_b32 v10, v23, s38, v10
	v_and_or_b32 v10, v22, s39, v10
	v_cvt_f32_f16_e32 v22, v10
.LBB280_287:                            ;   in Loop: Header=BB280_232 Depth=1
	s_or_b64 exec, exec, s[24:25]
.LBB280_288:                            ;   in Loop: Header=BB280_232 Depth=1
	s_or_b64 exec, exec, s[22:23]
.LBB280_289:                            ;   in Loop: Header=BB280_232 Depth=1
	s_or_b64 exec, exec, s[6:7]
	v_lshrrev_b16_e32 v10, 8, v26
	v_cmp_ne_u16_e64 s[2:3], 0, v10
	s_and_saveexec_b64 s[6:7], s[2:3]
	s_cbranch_execz .LBB280_295
; %bb.290:                              ;   in Loop: Header=BB280_232 Depth=1
	v_cmp_ne_u16_e64 s[2:3], s36, v10
	v_bfrev_b32_e32 v24, 1
	s_and_saveexec_b64 s[22:23], s[2:3]
	s_cbranch_execz .LBB280_294
; %bb.291:                              ;   in Loop: Header=BB280_232 Depth=1
	v_and_b32_e32 v23, 0x7f, v10
	v_cmp_ne_u32_e64 s[2:3], s37, v23
	v_mov_b32_e32 v24, 0x7fc02000
	s_and_saveexec_b64 s[24:25], s[2:3]
	s_cbranch_execz .LBB280_293
; %bb.292:                              ;   in Loop: Header=BB280_232 Depth=1
	v_and_b32_e32 v38, 7, v10
	v_ffbh_u32_e32 v24, v38
	v_min_u32_e32 v40, 32, v24
	v_subrev_u32_e32 v24, 28, v40
	v_lshlrev_b64 v[24:25], v24, v[10:11]
	v_lshrrev_b32_e32 v39, 3, v23
	v_sub_u32_e32 v25, 29, v40
	v_cmp_gt_u32_e64 s[2:3], 8, v23
	v_cndmask_b32_e64 v23, v39, v25, s[2:3]
	v_and_b32_e32 v24, 7, v24
	v_lshlrev_b32_e32 v10, 8, v10
	v_lshl_add_u32 v23, v23, 10, v13
	v_cndmask_b32_e64 v24, v38, v24, s[2:3]
	v_and_or_b32 v10, v10, s38, v23
	v_lshl_or_b32 v10, v24, 7, v10
	v_cvt_f32_f16_e32 v24, v10
.LBB280_293:                            ;   in Loop: Header=BB280_232 Depth=1
	s_or_b64 exec, exec, s[24:25]
.LBB280_294:                            ;   in Loop: Header=BB280_232 Depth=1
	s_or_b64 exec, exec, s[22:23]
.LBB280_295:                            ;   in Loop: Header=BB280_232 Depth=1
	s_or_b64 exec, exec, s[6:7]
	v_lshrrev_b32_e32 v10, 16, v26
	v_cmp_ne_u16_sdwa s[2:3], v10, v11 src0_sel:BYTE_0 src1_sel:DWORD
	v_mov_b32_e32 v25, 0
	v_mov_b32_e32 v23, 0
	s_and_saveexec_b64 s[6:7], s[2:3]
	s_cbranch_execz .LBB280_301
; %bb.296:                              ;   in Loop: Header=BB280_232 Depth=1
	v_cmp_ne_u16_sdwa s[2:3], v10, s36 src0_sel:BYTE_0 src1_sel:DWORD
	v_bfrev_b32_e32 v23, 1
	s_and_saveexec_b64 s[22:23], s[2:3]
	s_cbranch_execz .LBB280_300
; %bb.297:                              ;   in Loop: Header=BB280_232 Depth=1
	v_bfe_u32 v38, v26, 16, 7
	v_cmp_ne_u32_e64 s[2:3], s37, v38
	v_mov_b32_e32 v23, 0x7fc02000
	s_and_saveexec_b64 s[24:25], s[2:3]
	s_cbranch_execz .LBB280_299
; %bb.298:                              ;   in Loop: Header=BB280_232 Depth=1
	v_and_b32_e32 v23, 7, v10
	v_ffbh_u32_e32 v40, v23
	v_min_u32_e32 v42, 32, v40
	v_subrev_u32_e32 v40, 28, v42
	v_lshlrev_b64 v[40:41], v40, v[10:11]
	v_lshrrev_b32_e32 v39, 3, v38
	v_sub_u32_e32 v41, 29, v42
	v_cmp_gt_u32_e64 s[2:3], 8, v38
	v_cndmask_b32_e64 v38, v39, v41, s[2:3]
	v_and_b32_e32 v40, 7, v40
	v_lshlrev_b32_e32 v10, 8, v10
	v_lshl_add_u32 v38, v38, 10, v13
	v_cndmask_b32_e64 v23, v23, v40, s[2:3]
	v_and_or_b32 v10, v10, s38, v38
	v_lshl_or_b32 v10, v23, 7, v10
	v_cvt_f32_f16_e32 v23, v10
.LBB280_299:                            ;   in Loop: Header=BB280_232 Depth=1
	s_or_b64 exec, exec, s[24:25]
.LBB280_300:                            ;   in Loop: Header=BB280_232 Depth=1
	s_or_b64 exec, exec, s[22:23]
.LBB280_301:                            ;   in Loop: Header=BB280_232 Depth=1
	s_or_b64 exec, exec, s[6:7]
	v_cmp_lt_u32_e64 s[2:3], s19, v26
	s_and_saveexec_b64 s[6:7], s[2:3]
	s_cbranch_execz .LBB280_307
; %bb.302:                              ;   in Loop: Header=BB280_232 Depth=1
	v_lshrrev_b32_e32 v10, 24, v26
	v_cmp_ne_u32_e64 s[2:3], s36, v10
	v_bfrev_b32_e32 v25, 1
	s_and_saveexec_b64 s[22:23], s[2:3]
	s_cbranch_execz .LBB280_306
; %bb.303:                              ;   in Loop: Header=BB280_232 Depth=1
	v_and_b32_e32 v38, 0x7f, v10
	v_cmp_ne_u32_e64 s[2:3], s37, v38
	v_mov_b32_e32 v25, 0x7fc02000
	s_and_saveexec_b64 s[24:25], s[2:3]
	s_cbranch_execz .LBB280_305
; %bb.304:                              ;   in Loop: Header=BB280_232 Depth=1
	v_and_b32_e32 v25, 7, v10
	v_ffbh_u32_e32 v40, v25
	v_min_u32_e32 v42, 32, v40
	v_subrev_u32_e32 v40, 28, v42
	v_lshlrev_b64 v[40:41], v40, v[10:11]
	v_lshrrev_b32_e32 v39, 3, v38
	v_sub_u32_e32 v41, 29, v42
	v_cmp_gt_u32_e64 s[2:3], 8, v38
	v_cndmask_b32_e64 v38, v39, v41, s[2:3]
	v_and_b32_e32 v40, 7, v40
	v_lshlrev_b32_e32 v10, 8, v10
	v_lshl_add_u32 v38, v38, 10, v13
	v_cndmask_b32_e64 v25, v25, v40, s[2:3]
	v_and_or_b32 v10, v10, s38, v38
	v_lshl_or_b32 v10, v25, 7, v10
	v_cvt_f32_f16_e32 v25, v10
.LBB280_305:                            ;   in Loop: Header=BB280_232 Depth=1
	s_or_b64 exec, exec, s[24:25]
.LBB280_306:                            ;   in Loop: Header=BB280_232 Depth=1
	s_or_b64 exec, exec, s[22:23]
.LBB280_307:                            ;   in Loop: Header=BB280_232 Depth=1
	s_or_b64 exec, exec, s[6:7]
	v_mov_b32_e32 v10, v27
	v_cmp_ne_u16_sdwa s[2:3], v27, v11 src0_sel:BYTE_0 src1_sel:DWORD
	v_mov_b32_e32 v39, 0
	v_mov_b32_e32 v38, 0
	s_and_saveexec_b64 s[6:7], s[2:3]
	s_cbranch_execz .LBB280_313
; %bb.308:                              ;   in Loop: Header=BB280_232 Depth=1
	v_cmp_ne_u16_sdwa s[2:3], v27, s36 src0_sel:BYTE_0 src1_sel:DWORD
	v_bfrev_b32_e32 v38, 1
	s_and_saveexec_b64 s[22:23], s[2:3]
	s_cbranch_execz .LBB280_312
; %bb.309:                              ;   in Loop: Header=BB280_232 Depth=1
	v_and_b32_e32 v40, 0x7f, v27
	v_cmp_ne_u32_e64 s[2:3], s37, v40
	v_mov_b32_e32 v38, 0x7fc02000
	s_and_saveexec_b64 s[24:25], s[2:3]
	s_cbranch_execz .LBB280_311
; %bb.310:                              ;   in Loop: Header=BB280_232 Depth=1
	v_and_b32_e32 v38, 7, v27
	v_ffbh_u32_e32 v38, v38
	v_min_u32_e32 v38, 32, v38
	v_subrev_u32_e32 v41, 28, v38
	v_cmp_gt_u32_e64 s[2:3], 8, v40
	v_lshrrev_b32_e32 v42, 3, v40
	v_sub_u32_e32 v38, 29, v38
	v_cndmask_b32_e64 v40, 0, v41, s[2:3]
	v_lshlrev_b64 v[40:41], v40, v[10:11]
	v_cndmask_b32_e64 v38, v42, v38, s[2:3]
	v_lshlrev_b32_e32 v41, 8, v27
	v_lshl_add_u32 v38, v38, 10, v13
	v_lshlrev_b32_e32 v40, 7, v40
	v_and_or_b32 v38, v41, s38, v38
	v_and_or_b32 v38, v40, s39, v38
	v_cvt_f32_f16_e32 v38, v38
.LBB280_311:                            ;   in Loop: Header=BB280_232 Depth=1
	s_or_b64 exec, exec, s[24:25]
.LBB280_312:                            ;   in Loop: Header=BB280_232 Depth=1
	s_or_b64 exec, exec, s[22:23]
.LBB280_313:                            ;   in Loop: Header=BB280_232 Depth=1
	s_or_b64 exec, exec, s[6:7]
	v_lshrrev_b16_e32 v10, 8, v10
	v_cmp_ne_u16_e64 s[2:3], 0, v10
	s_and_saveexec_b64 s[6:7], s[2:3]
	s_cbranch_execz .LBB280_319
; %bb.314:                              ;   in Loop: Header=BB280_232 Depth=1
	v_cmp_ne_u16_e64 s[2:3], s36, v10
	v_bfrev_b32_e32 v39, 1
	s_and_saveexec_b64 s[22:23], s[2:3]
	s_cbranch_execz .LBB280_318
; %bb.315:                              ;   in Loop: Header=BB280_232 Depth=1
	v_and_b32_e32 v40, 0x7f, v10
	v_cmp_ne_u32_e64 s[2:3], s37, v40
	v_mov_b32_e32 v39, 0x7fc02000
	s_and_saveexec_b64 s[24:25], s[2:3]
	s_cbranch_execz .LBB280_317
; %bb.316:                              ;   in Loop: Header=BB280_232 Depth=1
	v_and_b32_e32 v39, 7, v10
	v_ffbh_u32_e32 v42, v39
	v_min_u32_e32 v44, 32, v42
	v_subrev_u32_e32 v42, 28, v44
	v_lshlrev_b64 v[42:43], v42, v[10:11]
	v_lshrrev_b32_e32 v41, 3, v40
	v_sub_u32_e32 v43, 29, v44
	v_cmp_gt_u32_e64 s[2:3], 8, v40
	v_cndmask_b32_e64 v40, v41, v43, s[2:3]
	v_and_b32_e32 v42, 7, v42
	v_lshlrev_b32_e32 v10, 8, v10
	v_lshl_add_u32 v40, v40, 10, v13
	v_cndmask_b32_e64 v39, v39, v42, s[2:3]
	v_and_or_b32 v10, v10, s38, v40
	v_lshl_or_b32 v10, v39, 7, v10
	v_cvt_f32_f16_e32 v39, v10
.LBB280_317:                            ;   in Loop: Header=BB280_232 Depth=1
	s_or_b64 exec, exec, s[24:25]
.LBB280_318:                            ;   in Loop: Header=BB280_232 Depth=1
	s_or_b64 exec, exec, s[22:23]
.LBB280_319:                            ;   in Loop: Header=BB280_232 Depth=1
	s_or_b64 exec, exec, s[6:7]
	v_lshrrev_b32_e32 v10, 16, v27
	v_cmp_ne_u16_sdwa s[2:3], v10, v11 src0_sel:BYTE_0 src1_sel:DWORD
	v_mov_b32_e32 v40, 0
	v_mov_b32_e32 v41, 0
	s_and_saveexec_b64 s[6:7], s[2:3]
	s_cbranch_execz .LBB280_325
; %bb.320:                              ;   in Loop: Header=BB280_232 Depth=1
	v_cmp_ne_u16_sdwa s[2:3], v10, s36 src0_sel:BYTE_0 src1_sel:DWORD
	v_bfrev_b32_e32 v41, 1
	s_and_saveexec_b64 s[22:23], s[2:3]
	s_cbranch_execz .LBB280_324
; %bb.321:                              ;   in Loop: Header=BB280_232 Depth=1
	v_bfe_u32 v42, v27, 16, 7
	v_cmp_ne_u32_e64 s[2:3], s37, v42
	v_mov_b32_e32 v41, 0x7fc02000
	s_and_saveexec_b64 s[24:25], s[2:3]
	s_cbranch_execz .LBB280_323
; %bb.322:                              ;   in Loop: Header=BB280_232 Depth=1
	v_and_b32_e32 v41, 7, v10
	v_ffbh_u32_e32 v44, v41
	v_min_u32_e32 v46, 32, v44
	v_subrev_u32_e32 v44, 28, v46
	v_lshlrev_b64 v[44:45], v44, v[10:11]
	v_lshrrev_b32_e32 v43, 3, v42
	v_sub_u32_e32 v45, 29, v46
	v_cmp_gt_u32_e64 s[2:3], 8, v42
	v_cndmask_b32_e64 v42, v43, v45, s[2:3]
	v_and_b32_e32 v44, 7, v44
	v_lshlrev_b32_e32 v10, 8, v10
	v_lshl_add_u32 v42, v42, 10, v13
	v_cndmask_b32_e64 v41, v41, v44, s[2:3]
	v_and_or_b32 v10, v10, s38, v42
	v_lshl_or_b32 v10, v41, 7, v10
	v_cvt_f32_f16_e32 v41, v10
.LBB280_323:                            ;   in Loop: Header=BB280_232 Depth=1
	s_or_b64 exec, exec, s[24:25]
.LBB280_324:                            ;   in Loop: Header=BB280_232 Depth=1
	s_or_b64 exec, exec, s[22:23]
.LBB280_325:                            ;   in Loop: Header=BB280_232 Depth=1
	s_or_b64 exec, exec, s[6:7]
	v_cmp_lt_u64_e64 s[2:3], s[18:19], v[26:27]
	s_and_saveexec_b64 s[6:7], s[2:3]
	s_cbranch_execz .LBB280_331
; %bb.326:                              ;   in Loop: Header=BB280_232 Depth=1
	v_lshrrev_b32_e32 v10, 24, v27
	v_cmp_ne_u32_e64 s[2:3], s36, v10
	v_bfrev_b32_e32 v40, 1
	s_and_saveexec_b64 s[22:23], s[2:3]
	s_cbranch_execz .LBB280_330
; %bb.327:                              ;   in Loop: Header=BB280_232 Depth=1
	v_and_b32_e32 v26, 0x7f, v10
	v_cmp_ne_u32_e64 s[2:3], s37, v26
	v_mov_b32_e32 v40, 0x7fc02000
	s_and_saveexec_b64 s[24:25], s[2:3]
	s_cbranch_execz .LBB280_329
; %bb.328:                              ;   in Loop: Header=BB280_232 Depth=1
	v_and_b32_e32 v27, 7, v10
	v_ffbh_u32_e32 v42, v27
	v_min_u32_e32 v44, 32, v42
	v_subrev_u32_e32 v42, 28, v44
	v_lshlrev_b64 v[42:43], v42, v[10:11]
	v_lshrrev_b32_e32 v40, 3, v26
	v_sub_u32_e32 v43, 29, v44
	v_cmp_gt_u32_e64 s[2:3], 8, v26
	v_cndmask_b32_e64 v26, v40, v43, s[2:3]
	v_and_b32_e32 v42, 7, v42
	v_lshlrev_b32_e32 v10, 8, v10
	v_lshl_add_u32 v26, v26, 10, v13
	v_cndmask_b32_e64 v27, v27, v42, s[2:3]
	v_and_or_b32 v10, v10, s38, v26
	v_lshl_or_b32 v10, v27, 7, v10
	v_cvt_f32_f16_e32 v40, v10
.LBB280_329:                            ;   in Loop: Header=BB280_232 Depth=1
	s_or_b64 exec, exec, s[24:25]
.LBB280_330:                            ;   in Loop: Header=BB280_232 Depth=1
	s_or_b64 exec, exec, s[22:23]
.LBB280_331:                            ;   in Loop: Header=BB280_232 Depth=1
	s_or_b64 exec, exec, s[6:7]
	s_waitcnt vmcnt(0)
	v_pk_mul_f32 v[24:25], v[20:21], v[24:25] op_sel_hi:[0,1]
	v_pk_mul_f32 v[22:23], v[20:21], v[22:23] op_sel_hi:[0,1]
	v_cvt_f16_f32_e32 v10, v25
	v_cvt_f16_f32_e32 v24, v24
	v_cvt_f16_f32_e32 v23, v23
	v_cvt_f16_f32_e32 v22, v22
	v_pack_b32_f16 v24, v24, v10
	v_pack_b32_f16 v22, v22, v23
	v_fma_mixlo_f16 v23, v20, v39, 0
	v_perm_b32 v10, v22, v24, s43
	v_perm_b32 v22, v22, v24, s44
	v_lshlrev_b32_e32 v23, 16, v23
	v_fma_mixlo_f16 v24, v20, v38, 0
	v_or_b32_sdwa v23, v23, v24 dst_sel:DWORD dst_unused:UNUSED_PAD src0_sel:DWORD src1_sel:WORD_0
	v_fma_mixlo_f16 v24, v20, v41, 0
	v_fma_mixlo_f16 v20, v20, v40, 0
	v_lshlrev_b32_e32 v20, 16, v20
	v_or_b32_sdwa v20, v20, v24 dst_sel:DWORD dst_unused:UNUSED_PAD src0_sel:DWORD src1_sel:WORD_0
	s_and_saveexec_b64 s[6:7], s[0:1]
	s_cbranch_execz .LBB280_333
; %bb.332:                              ;   in Loop: Header=BB280_232 Depth=1
	v_add_u32_e32 v25, 1, v32
	v_lshrrev_b32_e32 v26, 16, v22
	v_cmp_gt_i32_e64 s[2:3], s41, v25
	v_cndmask_b32_e64 v25, 0, v26, s[2:3]
	v_cmp_gt_i32_e64 s[2:3], s33, v32
	v_cndmask_b32_e64 v22, 0, v22, s[2:3]
	v_perm_b32 v22, v25, v22, s45
	v_or_b32_e32 v25, 3, v32
	v_or_b32_e32 v26, 2, v32
	v_lshrrev_b32_e32 v27, 16, v10
	v_cmp_gt_i32_e64 s[2:3], s41, v25
	v_cndmask_b32_e64 v25, 0, v27, s[2:3]
	v_cmp_gt_i32_e64 s[2:3], s33, v26
	v_cndmask_b32_e64 v10, 0, v10, s[2:3]
	v_perm_b32 v10, v25, v10, s45
	v_or_b32_e32 v25, 5, v32
	v_or_b32_e32 v26, 4, v32
	;; [unrolled: 8-line block ×3, first 2 shown]
	v_lshrrev_b32_e32 v20, 16, v20
	v_cmp_gt_i32_e64 s[2:3], s41, v25
	v_cndmask_b32_e64 v20, 0, v20, s[2:3]
	v_cmp_gt_i32_e64 s[2:3], s33, v26
	v_cndmask_b32_e64 v24, 0, v24, s[2:3]
	v_perm_b32 v20, v20, v24, s45
.LBB280_333:                            ;   in Loop: Header=BB280_232 Depth=1
	s_or_b64 exec, exec, s[6:7]
	;;#ASMSTART
	v_pk_mul_f16 v22, v36, v22;

	;;#ASMEND
	;;#ASMSTART
	v_pk_mul_f16 v10, v35, v10;

	;;#ASMEND
	;; [unrolled: 4-line block ×4, first 2 shown]
	;;#ASMSTART
	v_pk_add_f16 v10, v22, v10;

	;;#ASMEND
	;;#ASMSTART
	v_pk_add_f16 v10, v10, v23;

	;;#ASMEND
	;;#ASMSTART
	v_pk_add_f16 v10, v10, v20;

	;;#ASMEND
	v_lshrrev_b32_e32 v20, 16, v10
	v_and_b32_e32 v10, 0xffff, v10
	;;#ASMSTART
	v_cvt_f32_f16 v26, v10;
	;;#ASMEND
	;;#ASMSTART
	v_cvt_f32_f16 v27, v20;
	;;#ASMEND
	global_load_dwordx2 v[24:25], v[18:19], off offset:1024
	global_load_dword v20, v11, s[14:15]
	v_mov_b32_e32 v22, 0
	v_mov_b32_e32 v18, 0
	s_waitcnt vmcnt(1)
	v_cmp_ne_u16_sdwa s[2:3], v24, v11 src0_sel:BYTE_0 src1_sel:DWORD
	s_and_saveexec_b64 s[6:7], s[2:3]
	s_cbranch_execz .LBB280_339
; %bb.334:                              ;   in Loop: Header=BB280_232 Depth=1
	v_cmp_ne_u16_sdwa s[2:3], v24, s36 src0_sel:BYTE_0 src1_sel:DWORD
	v_bfrev_b32_e32 v18, 1
	s_and_saveexec_b64 s[22:23], s[2:3]
	s_cbranch_execz .LBB280_338
; %bb.335:                              ;   in Loop: Header=BB280_232 Depth=1
	v_and_b32_e32 v10, 0x7f, v24
	v_cmp_ne_u32_e64 s[2:3], s37, v10
	v_mov_b32_e32 v18, 0x7fc02000
	s_and_saveexec_b64 s[24:25], s[2:3]
	s_cbranch_execz .LBB280_337
; %bb.336:                              ;   in Loop: Header=BB280_232 Depth=1
	v_and_b32_e32 v18, 7, v24
	v_ffbh_u32_e32 v18, v18
	v_min_u32_e32 v18, 32, v18
	v_subrev_u32_e32 v19, 28, v18
	v_cmp_gt_u32_e64 s[2:3], 8, v10
	v_lshrrev_b32_e32 v23, 3, v10
	v_sub_u32_e32 v38, 29, v18
	v_cndmask_b32_e64 v10, 0, v19, s[2:3]
	v_lshlrev_b64 v[18:19], v10, v[24:25]
	v_cndmask_b32_e64 v10, v23, v38, s[2:3]
	v_lshlrev_b32_e32 v19, 8, v24
	v_lshl_add_u32 v10, v10, 10, v13
	v_lshlrev_b32_e32 v18, 7, v18
	v_and_or_b32 v10, v19, s38, v10
	v_and_or_b32 v10, v18, s39, v10
	v_cvt_f32_f16_e32 v18, v10
.LBB280_337:                            ;   in Loop: Header=BB280_232 Depth=1
	s_or_b64 exec, exec, s[24:25]
.LBB280_338:                            ;   in Loop: Header=BB280_232 Depth=1
	s_or_b64 exec, exec, s[22:23]
.LBB280_339:                            ;   in Loop: Header=BB280_232 Depth=1
	s_or_b64 exec, exec, s[6:7]
	v_lshrrev_b16_e32 v10, 8, v24
	v_cmp_ne_u16_e64 s[2:3], 0, v10
	s_and_saveexec_b64 s[6:7], s[2:3]
	s_cbranch_execz .LBB280_345
; %bb.340:                              ;   in Loop: Header=BB280_232 Depth=1
	v_cmp_ne_u16_e64 s[2:3], s36, v10
	v_bfrev_b32_e32 v22, 1
	s_and_saveexec_b64 s[22:23], s[2:3]
	s_cbranch_execz .LBB280_344
; %bb.341:                              ;   in Loop: Header=BB280_232 Depth=1
	v_and_b32_e32 v19, 0x7f, v10
	v_cmp_ne_u32_e64 s[2:3], s37, v19
	v_mov_b32_e32 v22, 0x7fc02000
	s_and_saveexec_b64 s[24:25], s[2:3]
	s_cbranch_execz .LBB280_343
; %bb.342:                              ;   in Loop: Header=BB280_232 Depth=1
	v_and_b32_e32 v38, 7, v10
	v_ffbh_u32_e32 v22, v38
	v_min_u32_e32 v40, 32, v22
	v_subrev_u32_e32 v22, 28, v40
	v_lshlrev_b64 v[22:23], v22, v[10:11]
	v_lshrrev_b32_e32 v39, 3, v19
	v_sub_u32_e32 v23, 29, v40
	v_cmp_gt_u32_e64 s[2:3], 8, v19
	v_cndmask_b32_e64 v19, v39, v23, s[2:3]
	v_and_b32_e32 v22, 7, v22
	v_lshlrev_b32_e32 v10, 8, v10
	v_lshl_add_u32 v19, v19, 10, v13
	v_cndmask_b32_e64 v22, v38, v22, s[2:3]
	v_and_or_b32 v10, v10, s38, v19
	v_lshl_or_b32 v10, v22, 7, v10
	v_cvt_f32_f16_e32 v22, v10
.LBB280_343:                            ;   in Loop: Header=BB280_232 Depth=1
	s_or_b64 exec, exec, s[24:25]
.LBB280_344:                            ;   in Loop: Header=BB280_232 Depth=1
	s_or_b64 exec, exec, s[22:23]
.LBB280_345:                            ;   in Loop: Header=BB280_232 Depth=1
	s_or_b64 exec, exec, s[6:7]
	v_lshrrev_b32_e32 v10, 16, v24
	v_cmp_ne_u16_sdwa s[2:3], v10, v11 src0_sel:BYTE_0 src1_sel:DWORD
	v_mov_b32_e32 v23, 0
	v_mov_b32_e32 v19, 0
	s_and_saveexec_b64 s[6:7], s[2:3]
	s_cbranch_execz .LBB280_351
; %bb.346:                              ;   in Loop: Header=BB280_232 Depth=1
	v_cmp_ne_u16_sdwa s[2:3], v10, s36 src0_sel:BYTE_0 src1_sel:DWORD
	v_bfrev_b32_e32 v19, 1
	s_and_saveexec_b64 s[22:23], s[2:3]
	s_cbranch_execz .LBB280_350
; %bb.347:                              ;   in Loop: Header=BB280_232 Depth=1
	v_bfe_u32 v38, v24, 16, 7
	v_cmp_ne_u32_e64 s[2:3], s37, v38
	v_mov_b32_e32 v19, 0x7fc02000
	s_and_saveexec_b64 s[24:25], s[2:3]
	s_cbranch_execz .LBB280_349
; %bb.348:                              ;   in Loop: Header=BB280_232 Depth=1
	v_and_b32_e32 v19, 7, v10
	v_ffbh_u32_e32 v40, v19
	v_min_u32_e32 v42, 32, v40
	v_subrev_u32_e32 v40, 28, v42
	v_lshlrev_b64 v[40:41], v40, v[10:11]
	v_lshrrev_b32_e32 v39, 3, v38
	v_sub_u32_e32 v41, 29, v42
	v_cmp_gt_u32_e64 s[2:3], 8, v38
	v_cndmask_b32_e64 v38, v39, v41, s[2:3]
	v_and_b32_e32 v40, 7, v40
	v_lshlrev_b32_e32 v10, 8, v10
	v_lshl_add_u32 v38, v38, 10, v13
	v_cndmask_b32_e64 v19, v19, v40, s[2:3]
	v_and_or_b32 v10, v10, s38, v38
	v_lshl_or_b32 v10, v19, 7, v10
	v_cvt_f32_f16_e32 v19, v10
.LBB280_349:                            ;   in Loop: Header=BB280_232 Depth=1
	s_or_b64 exec, exec, s[24:25]
.LBB280_350:                            ;   in Loop: Header=BB280_232 Depth=1
	s_or_b64 exec, exec, s[22:23]
.LBB280_351:                            ;   in Loop: Header=BB280_232 Depth=1
	s_or_b64 exec, exec, s[6:7]
	v_cmp_lt_u32_e64 s[2:3], s19, v24
	s_and_saveexec_b64 s[6:7], s[2:3]
	s_cbranch_execz .LBB280_357
; %bb.352:                              ;   in Loop: Header=BB280_232 Depth=1
	v_lshrrev_b32_e32 v10, 24, v24
	v_cmp_ne_u32_e64 s[2:3], s36, v10
	v_bfrev_b32_e32 v23, 1
	s_and_saveexec_b64 s[22:23], s[2:3]
	s_cbranch_execz .LBB280_356
; %bb.353:                              ;   in Loop: Header=BB280_232 Depth=1
	v_and_b32_e32 v38, 0x7f, v10
	v_cmp_ne_u32_e64 s[2:3], s37, v38
	v_mov_b32_e32 v23, 0x7fc02000
	s_and_saveexec_b64 s[24:25], s[2:3]
	s_cbranch_execz .LBB280_355
; %bb.354:                              ;   in Loop: Header=BB280_232 Depth=1
	v_and_b32_e32 v23, 7, v10
	v_ffbh_u32_e32 v40, v23
	v_min_u32_e32 v42, 32, v40
	v_subrev_u32_e32 v40, 28, v42
	v_lshlrev_b64 v[40:41], v40, v[10:11]
	v_lshrrev_b32_e32 v39, 3, v38
	v_sub_u32_e32 v41, 29, v42
	v_cmp_gt_u32_e64 s[2:3], 8, v38
	v_cndmask_b32_e64 v38, v39, v41, s[2:3]
	v_and_b32_e32 v40, 7, v40
	v_lshlrev_b32_e32 v10, 8, v10
	v_lshl_add_u32 v38, v38, 10, v13
	v_cndmask_b32_e64 v23, v23, v40, s[2:3]
	v_and_or_b32 v10, v10, s38, v38
	v_lshl_or_b32 v10, v23, 7, v10
	v_cvt_f32_f16_e32 v23, v10
.LBB280_355:                            ;   in Loop: Header=BB280_232 Depth=1
	s_or_b64 exec, exec, s[24:25]
.LBB280_356:                            ;   in Loop: Header=BB280_232 Depth=1
	s_or_b64 exec, exec, s[22:23]
.LBB280_357:                            ;   in Loop: Header=BB280_232 Depth=1
	s_or_b64 exec, exec, s[6:7]
	v_mov_b32_e32 v10, v25
	v_cmp_ne_u16_sdwa s[2:3], v25, v11 src0_sel:BYTE_0 src1_sel:DWORD
	v_mov_b32_e32 v39, 0
	v_mov_b32_e32 v38, 0
	s_and_saveexec_b64 s[6:7], s[2:3]
	s_cbranch_execz .LBB280_363
; %bb.358:                              ;   in Loop: Header=BB280_232 Depth=1
	v_cmp_ne_u16_sdwa s[2:3], v25, s36 src0_sel:BYTE_0 src1_sel:DWORD
	v_bfrev_b32_e32 v38, 1
	s_and_saveexec_b64 s[22:23], s[2:3]
	s_cbranch_execz .LBB280_362
; %bb.359:                              ;   in Loop: Header=BB280_232 Depth=1
	v_and_b32_e32 v40, 0x7f, v25
	v_cmp_ne_u32_e64 s[2:3], s37, v40
	v_mov_b32_e32 v38, 0x7fc02000
	s_and_saveexec_b64 s[24:25], s[2:3]
	s_cbranch_execz .LBB280_361
; %bb.360:                              ;   in Loop: Header=BB280_232 Depth=1
	v_and_b32_e32 v38, 7, v25
	v_ffbh_u32_e32 v38, v38
	v_min_u32_e32 v38, 32, v38
	v_subrev_u32_e32 v41, 28, v38
	v_cmp_gt_u32_e64 s[2:3], 8, v40
	v_lshrrev_b32_e32 v42, 3, v40
	v_sub_u32_e32 v38, 29, v38
	v_cndmask_b32_e64 v40, 0, v41, s[2:3]
	v_lshlrev_b64 v[40:41], v40, v[10:11]
	v_cndmask_b32_e64 v38, v42, v38, s[2:3]
	v_lshlrev_b32_e32 v41, 8, v25
	v_lshl_add_u32 v38, v38, 10, v13
	v_lshlrev_b32_e32 v40, 7, v40
	v_and_or_b32 v38, v41, s38, v38
	v_and_or_b32 v38, v40, s39, v38
	v_cvt_f32_f16_e32 v38, v38
.LBB280_361:                            ;   in Loop: Header=BB280_232 Depth=1
	s_or_b64 exec, exec, s[24:25]
.LBB280_362:                            ;   in Loop: Header=BB280_232 Depth=1
	s_or_b64 exec, exec, s[22:23]
.LBB280_363:                            ;   in Loop: Header=BB280_232 Depth=1
	s_or_b64 exec, exec, s[6:7]
	v_lshrrev_b16_e32 v10, 8, v10
	v_cmp_ne_u16_e64 s[2:3], 0, v10
	s_and_saveexec_b64 s[6:7], s[2:3]
	s_cbranch_execz .LBB280_369
; %bb.364:                              ;   in Loop: Header=BB280_232 Depth=1
	v_cmp_ne_u16_e64 s[2:3], s36, v10
	v_bfrev_b32_e32 v39, 1
	s_and_saveexec_b64 s[22:23], s[2:3]
	s_cbranch_execz .LBB280_368
; %bb.365:                              ;   in Loop: Header=BB280_232 Depth=1
	v_and_b32_e32 v40, 0x7f, v10
	v_cmp_ne_u32_e64 s[2:3], s37, v40
	v_mov_b32_e32 v39, 0x7fc02000
	s_and_saveexec_b64 s[24:25], s[2:3]
	s_cbranch_execz .LBB280_367
; %bb.366:                              ;   in Loop: Header=BB280_232 Depth=1
	v_and_b32_e32 v39, 7, v10
	v_ffbh_u32_e32 v42, v39
	v_min_u32_e32 v44, 32, v42
	v_subrev_u32_e32 v42, 28, v44
	v_lshlrev_b64 v[42:43], v42, v[10:11]
	v_lshrrev_b32_e32 v41, 3, v40
	v_sub_u32_e32 v43, 29, v44
	v_cmp_gt_u32_e64 s[2:3], 8, v40
	v_cndmask_b32_e64 v40, v41, v43, s[2:3]
	v_and_b32_e32 v42, 7, v42
	v_lshlrev_b32_e32 v10, 8, v10
	v_lshl_add_u32 v40, v40, 10, v13
	v_cndmask_b32_e64 v39, v39, v42, s[2:3]
	v_and_or_b32 v10, v10, s38, v40
	v_lshl_or_b32 v10, v39, 7, v10
	v_cvt_f32_f16_e32 v39, v10
.LBB280_367:                            ;   in Loop: Header=BB280_232 Depth=1
	s_or_b64 exec, exec, s[24:25]
.LBB280_368:                            ;   in Loop: Header=BB280_232 Depth=1
	s_or_b64 exec, exec, s[22:23]
.LBB280_369:                            ;   in Loop: Header=BB280_232 Depth=1
	s_or_b64 exec, exec, s[6:7]
	v_lshrrev_b32_e32 v10, 16, v25
	v_cmp_ne_u16_sdwa s[2:3], v10, v11 src0_sel:BYTE_0 src1_sel:DWORD
	v_mov_b32_e32 v40, 0
	v_mov_b32_e32 v41, 0
	s_and_saveexec_b64 s[6:7], s[2:3]
	s_cbranch_execz .LBB280_375
; %bb.370:                              ;   in Loop: Header=BB280_232 Depth=1
	v_cmp_ne_u16_sdwa s[2:3], v10, s36 src0_sel:BYTE_0 src1_sel:DWORD
	v_bfrev_b32_e32 v41, 1
	s_and_saveexec_b64 s[22:23], s[2:3]
	s_cbranch_execz .LBB280_374
; %bb.371:                              ;   in Loop: Header=BB280_232 Depth=1
	v_bfe_u32 v42, v25, 16, 7
	v_cmp_ne_u32_e64 s[2:3], s37, v42
	v_mov_b32_e32 v41, 0x7fc02000
	s_and_saveexec_b64 s[24:25], s[2:3]
	s_cbranch_execz .LBB280_373
; %bb.372:                              ;   in Loop: Header=BB280_232 Depth=1
	v_and_b32_e32 v41, 7, v10
	v_ffbh_u32_e32 v44, v41
	v_min_u32_e32 v46, 32, v44
	v_subrev_u32_e32 v44, 28, v46
	v_lshlrev_b64 v[44:45], v44, v[10:11]
	v_lshrrev_b32_e32 v43, 3, v42
	v_sub_u32_e32 v45, 29, v46
	v_cmp_gt_u32_e64 s[2:3], 8, v42
	v_cndmask_b32_e64 v42, v43, v45, s[2:3]
	v_and_b32_e32 v44, 7, v44
	v_lshlrev_b32_e32 v10, 8, v10
	v_lshl_add_u32 v42, v42, 10, v13
	v_cndmask_b32_e64 v41, v41, v44, s[2:3]
	v_and_or_b32 v10, v10, s38, v42
	v_lshl_or_b32 v10, v41, 7, v10
	v_cvt_f32_f16_e32 v41, v10
.LBB280_373:                            ;   in Loop: Header=BB280_232 Depth=1
	s_or_b64 exec, exec, s[24:25]
.LBB280_374:                            ;   in Loop: Header=BB280_232 Depth=1
	s_or_b64 exec, exec, s[22:23]
.LBB280_375:                            ;   in Loop: Header=BB280_232 Depth=1
	s_or_b64 exec, exec, s[6:7]
	v_cmp_lt_u64_e64 s[2:3], s[18:19], v[24:25]
	s_and_saveexec_b64 s[6:7], s[2:3]
	s_cbranch_execz .LBB280_381
; %bb.376:                              ;   in Loop: Header=BB280_232 Depth=1
	v_lshrrev_b32_e32 v10, 24, v25
	v_cmp_ne_u32_e64 s[2:3], s36, v10
	v_bfrev_b32_e32 v40, 1
	s_and_saveexec_b64 s[22:23], s[2:3]
	s_cbranch_execz .LBB280_380
; %bb.377:                              ;   in Loop: Header=BB280_232 Depth=1
	v_and_b32_e32 v24, 0x7f, v10
	v_cmp_ne_u32_e64 s[2:3], s37, v24
	v_mov_b32_e32 v40, 0x7fc02000
	s_and_saveexec_b64 s[24:25], s[2:3]
	s_cbranch_execz .LBB280_379
; %bb.378:                              ;   in Loop: Header=BB280_232 Depth=1
	v_and_b32_e32 v25, 7, v10
	v_ffbh_u32_e32 v42, v25
	v_min_u32_e32 v44, 32, v42
	v_subrev_u32_e32 v42, 28, v44
	v_lshlrev_b64 v[42:43], v42, v[10:11]
	v_lshrrev_b32_e32 v40, 3, v24
	v_sub_u32_e32 v43, 29, v44
	v_cmp_gt_u32_e64 s[2:3], 8, v24
	v_cndmask_b32_e64 v24, v40, v43, s[2:3]
	v_and_b32_e32 v42, 7, v42
	v_lshlrev_b32_e32 v10, 8, v10
	v_lshl_add_u32 v24, v24, 10, v13
	v_cndmask_b32_e64 v25, v25, v42, s[2:3]
	v_and_or_b32 v10, v10, s38, v24
	v_lshl_or_b32 v10, v25, 7, v10
	v_cvt_f32_f16_e32 v40, v10
.LBB280_379:                            ;   in Loop: Header=BB280_232 Depth=1
	s_or_b64 exec, exec, s[24:25]
.LBB280_380:                            ;   in Loop: Header=BB280_232 Depth=1
	s_or_b64 exec, exec, s[22:23]
.LBB280_381:                            ;   in Loop: Header=BB280_232 Depth=1
	s_or_b64 exec, exec, s[6:7]
	s_waitcnt vmcnt(0)
	v_pk_mul_f32 v[22:23], v[20:21], v[22:23] op_sel_hi:[0,1]
	v_pk_mul_f32 v[18:19], v[20:21], v[18:19] op_sel_hi:[0,1]
	v_cvt_f16_f32_e32 v10, v23
	v_cvt_f16_f32_e32 v22, v22
	;; [unrolled: 1-line block ×4, first 2 shown]
	v_pack_b32_f16 v22, v22, v10
	v_pack_b32_f16 v18, v18, v19
	v_fma_mixlo_f16 v19, v20, v39, 0
	v_perm_b32 v10, v18, v22, s43
	v_perm_b32 v18, v18, v22, s44
	v_lshlrev_b32_e32 v19, 16, v19
	v_fma_mixlo_f16 v22, v20, v38, 0
	v_or_b32_sdwa v19, v19, v22 dst_sel:DWORD dst_unused:UNUSED_PAD src0_sel:DWORD src1_sel:WORD_0
	v_fma_mixlo_f16 v22, v20, v41, 0
	v_fma_mixlo_f16 v20, v20, v40, 0
	v_lshlrev_b32_e32 v20, 16, v20
	v_or_b32_sdwa v20, v20, v22 dst_sel:DWORD dst_unused:UNUSED_PAD src0_sel:DWORD src1_sel:WORD_0
	s_and_saveexec_b64 s[6:7], s[0:1]
	s_cbranch_execz .LBB280_383
; %bb.382:                              ;   in Loop: Header=BB280_232 Depth=1
	v_add_u32_e32 v23, 1, v32
	v_lshrrev_b32_e32 v24, 16, v18
	v_cmp_gt_i32_e64 s[2:3], s41, v23
	v_cndmask_b32_e64 v23, 0, v24, s[2:3]
	v_cmp_gt_i32_e64 s[2:3], s33, v32
	v_cndmask_b32_e64 v18, 0, v18, s[2:3]
	v_perm_b32 v18, v23, v18, s45
	v_or_b32_e32 v23, 3, v32
	v_or_b32_e32 v24, 2, v32
	v_lshrrev_b32_e32 v25, 16, v10
	v_cmp_gt_i32_e64 s[2:3], s41, v23
	v_cndmask_b32_e64 v23, 0, v25, s[2:3]
	v_cmp_gt_i32_e64 s[2:3], s33, v24
	v_cndmask_b32_e64 v10, 0, v10, s[2:3]
	v_perm_b32 v10, v23, v10, s45
	v_or_b32_e32 v23, 5, v32
	v_or_b32_e32 v24, 4, v32
	;; [unrolled: 8-line block ×3, first 2 shown]
	v_lshrrev_b32_e32 v20, 16, v20
	v_cmp_gt_i32_e64 s[2:3], s41, v23
	v_cndmask_b32_e64 v20, 0, v20, s[2:3]
	v_cmp_gt_i32_e64 s[2:3], s33, v24
	v_cndmask_b32_e64 v22, 0, v22, s[2:3]
	v_perm_b32 v20, v20, v22, s45
.LBB280_383:                            ;   in Loop: Header=BB280_232 Depth=1
	s_or_b64 exec, exec, s[6:7]
	;;#ASMSTART
	v_pk_mul_f16 v18, v36, v18;

	;;#ASMEND
	;;#ASMSTART
	v_pk_mul_f16 v10, v35, v10;

	;;#ASMEND
	;; [unrolled: 4-line block ×4, first 2 shown]
	;;#ASMSTART
	v_pk_add_f16 v10, v18, v10;

	;;#ASMEND
	;;#ASMSTART
	v_pk_add_f16 v10, v10, v19;

	;;#ASMEND
	;; [unrolled: 4-line block ×3, first 2 shown]
	v_lshrrev_b32_e32 v18, 16, v10
	v_and_b32_e32 v10, 0xffff, v10
	v_add_f32_e32 v21, v21, v37
	;;#ASMSTART
	v_cvt_f32_f16 v10, v10;
	;;#ASMEND
	v_add_f32_e32 v2, v2, v21
	v_add_f32_e32 v21, v26, v27
	;;#ASMSTART
	v_cvt_f32_f16 v18, v18;
	;;#ASMEND
	v_add_f32_e32 v10, v10, v18
	v_add_f32_e32 v3, v3, v21
	;; [unrolled: 1-line block ×3, first 2 shown]
	s_and_saveexec_b64 s[6:7], vcc
	s_cbranch_execz .LBB280_230
; %bb.384:                              ;   in Loop: Header=BB280_232 Depth=1
	v_add_co_u32_e64 v18, s[2:3], v16, v12
	v_addc_co_u32_e64 v19, s[2:3], 0, v17, s[2:3]
	global_load_dwordx2 v[22:23], v[18:19], off
	global_load_dword v16, v11, s[14:15]
	v_mov_b32_e32 v20, 0
	v_mov_b32_e32 v18, 0
	s_waitcnt vmcnt(1)
	v_cmp_ne_u16_sdwa s[2:3], v22, v11 src0_sel:BYTE_0 src1_sel:DWORD
	s_and_saveexec_b64 s[22:23], s[2:3]
	s_cbranch_execz .LBB280_390
; %bb.385:                              ;   in Loop: Header=BB280_232 Depth=1
	v_cmp_ne_u16_sdwa s[2:3], v22, s36 src0_sel:BYTE_0 src1_sel:DWORD
	v_bfrev_b32_e32 v18, 1
	s_and_saveexec_b64 s[24:25], s[2:3]
	s_cbranch_execz .LBB280_389
; %bb.386:                              ;   in Loop: Header=BB280_232 Depth=1
	v_and_b32_e32 v10, 0x7f, v22
	v_cmp_ne_u32_e64 s[2:3], s37, v10
	v_mov_b32_e32 v18, 0x7fc02000
	s_and_saveexec_b64 s[26:27], s[2:3]
	s_cbranch_execz .LBB280_388
; %bb.387:                              ;   in Loop: Header=BB280_232 Depth=1
	v_and_b32_e32 v17, 7, v22
	v_ffbh_u32_e32 v17, v17
	v_min_u32_e32 v17, 32, v17
	v_subrev_u32_e32 v18, 28, v17
	v_cmp_gt_u32_e64 s[2:3], 8, v10
	v_lshrrev_b32_e32 v21, 3, v10
	v_sub_u32_e32 v17, 29, v17
	v_cndmask_b32_e64 v10, 0, v18, s[2:3]
	v_lshlrev_b64 v[18:19], v10, v[22:23]
	v_cndmask_b32_e64 v10, v21, v17, s[2:3]
	v_lshlrev_b32_e32 v17, 7, v18
	v_lshlrev_b32_e32 v18, 8, v22
	v_lshl_add_u32 v10, v10, 10, v13
	v_and_or_b32 v10, v18, s38, v10
	v_and_or_b32 v10, v17, s39, v10
	v_cvt_f32_f16_e32 v18, v10
.LBB280_388:                            ;   in Loop: Header=BB280_232 Depth=1
	s_or_b64 exec, exec, s[26:27]
.LBB280_389:                            ;   in Loop: Header=BB280_232 Depth=1
	s_or_b64 exec, exec, s[24:25]
.LBB280_390:                            ;   in Loop: Header=BB280_232 Depth=1
	s_or_b64 exec, exec, s[22:23]
	v_lshrrev_b16_e32 v10, 8, v22
	v_cmp_ne_u16_e64 s[2:3], 0, v10
	s_and_saveexec_b64 s[22:23], s[2:3]
	s_cbranch_execz .LBB280_396
; %bb.391:                              ;   in Loop: Header=BB280_232 Depth=1
	v_cmp_ne_u16_e64 s[2:3], s36, v10
	v_bfrev_b32_e32 v20, 1
	s_and_saveexec_b64 s[24:25], s[2:3]
	s_cbranch_execz .LBB280_395
; %bb.392:                              ;   in Loop: Header=BB280_232 Depth=1
	v_and_b32_e32 v17, 0x7f, v10
	v_cmp_ne_u32_e64 s[2:3], s37, v17
	v_mov_b32_e32 v20, 0x7fc02000
	s_and_saveexec_b64 s[26:27], s[2:3]
	s_cbranch_execz .LBB280_394
; %bb.393:                              ;   in Loop: Header=BB280_232 Depth=1
	v_and_b32_e32 v19, 7, v10
	v_ffbh_u32_e32 v20, v19
	v_min_u32_e32 v25, 32, v20
	v_subrev_u32_e32 v20, 28, v25
	v_lshlrev_b64 v[20:21], v20, v[10:11]
	v_lshrrev_b32_e32 v24, 3, v17
	v_sub_u32_e32 v21, 29, v25
	v_cmp_gt_u32_e64 s[2:3], 8, v17
	v_cndmask_b32_e64 v17, v24, v21, s[2:3]
	v_and_b32_e32 v20, 7, v20
	v_lshlrev_b32_e32 v10, 8, v10
	v_lshl_add_u32 v17, v17, 10, v13
	v_cndmask_b32_e64 v19, v19, v20, s[2:3]
	v_and_or_b32 v10, v10, s38, v17
	v_lshl_or_b32 v10, v19, 7, v10
	v_cvt_f32_f16_e32 v20, v10
.LBB280_394:                            ;   in Loop: Header=BB280_232 Depth=1
	s_or_b64 exec, exec, s[26:27]
.LBB280_395:                            ;   in Loop: Header=BB280_232 Depth=1
	s_or_b64 exec, exec, s[24:25]
.LBB280_396:                            ;   in Loop: Header=BB280_232 Depth=1
	s_or_b64 exec, exec, s[22:23]
	v_lshrrev_b32_e32 v10, 16, v22
	v_cmp_ne_u16_sdwa s[2:3], v10, v11 src0_sel:BYTE_0 src1_sel:DWORD
	v_mov_b32_e32 v21, 0
	v_mov_b32_e32 v19, 0
	s_and_saveexec_b64 s[22:23], s[2:3]
	s_cbranch_execz .LBB280_402
; %bb.397:                              ;   in Loop: Header=BB280_232 Depth=1
	v_cmp_ne_u16_sdwa s[2:3], v10, s36 src0_sel:BYTE_0 src1_sel:DWORD
	v_bfrev_b32_e32 v19, 1
	s_and_saveexec_b64 s[24:25], s[2:3]
	s_cbranch_execz .LBB280_401
; %bb.398:                              ;   in Loop: Header=BB280_232 Depth=1
	v_bfe_u32 v17, v22, 16, 7
	v_cmp_ne_u32_e64 s[2:3], s37, v17
	v_mov_b32_e32 v19, 0x7fc02000
	s_and_saveexec_b64 s[26:27], s[2:3]
	s_cbranch_execz .LBB280_400
; %bb.399:                              ;   in Loop: Header=BB280_232 Depth=1
	v_and_b32_e32 v19, 7, v10
	v_ffbh_u32_e32 v24, v19
	v_min_u32_e32 v27, 32, v24
	v_subrev_u32_e32 v24, 28, v27
	v_lshlrev_b64 v[24:25], v24, v[10:11]
	v_lshrrev_b32_e32 v26, 3, v17
	v_sub_u32_e32 v25, 29, v27
	v_cmp_gt_u32_e64 s[2:3], 8, v17
	v_cndmask_b32_e64 v17, v26, v25, s[2:3]
	v_and_b32_e32 v24, 7, v24
	v_lshlrev_b32_e32 v10, 8, v10
	v_lshl_add_u32 v17, v17, 10, v13
	v_cndmask_b32_e64 v19, v19, v24, s[2:3]
	v_and_or_b32 v10, v10, s38, v17
	v_lshl_or_b32 v10, v19, 7, v10
	v_cvt_f32_f16_e32 v19, v10
.LBB280_400:                            ;   in Loop: Header=BB280_232 Depth=1
	s_or_b64 exec, exec, s[26:27]
.LBB280_401:                            ;   in Loop: Header=BB280_232 Depth=1
	s_or_b64 exec, exec, s[24:25]
.LBB280_402:                            ;   in Loop: Header=BB280_232 Depth=1
	s_or_b64 exec, exec, s[22:23]
	v_cmp_lt_u32_e64 s[2:3], s19, v22
	s_and_saveexec_b64 s[22:23], s[2:3]
	s_cbranch_execz .LBB280_408
; %bb.403:                              ;   in Loop: Header=BB280_232 Depth=1
	v_lshrrev_b32_e32 v10, 24, v22
	v_cmp_ne_u32_e64 s[2:3], s36, v10
	v_bfrev_b32_e32 v21, 1
	s_and_saveexec_b64 s[24:25], s[2:3]
	s_cbranch_execz .LBB280_407
; %bb.404:                              ;   in Loop: Header=BB280_232 Depth=1
	v_and_b32_e32 v17, 0x7f, v10
	v_cmp_ne_u32_e64 s[2:3], s37, v17
	v_mov_b32_e32 v21, 0x7fc02000
	s_and_saveexec_b64 s[26:27], s[2:3]
	s_cbranch_execz .LBB280_406
; %bb.405:                              ;   in Loop: Header=BB280_232 Depth=1
	v_and_b32_e32 v21, 7, v10
	v_ffbh_u32_e32 v24, v21
	v_min_u32_e32 v27, 32, v24
	v_subrev_u32_e32 v24, 28, v27
	v_lshlrev_b64 v[24:25], v24, v[10:11]
	v_lshrrev_b32_e32 v26, 3, v17
	v_sub_u32_e32 v25, 29, v27
	v_cmp_gt_u32_e64 s[2:3], 8, v17
	v_cndmask_b32_e64 v17, v26, v25, s[2:3]
	v_and_b32_e32 v24, 7, v24
	v_lshlrev_b32_e32 v10, 8, v10
	v_lshl_add_u32 v17, v17, 10, v13
	v_cndmask_b32_e64 v21, v21, v24, s[2:3]
	v_and_or_b32 v10, v10, s38, v17
	v_lshl_or_b32 v10, v21, 7, v10
	v_cvt_f32_f16_e32 v21, v10
.LBB280_406:                            ;   in Loop: Header=BB280_232 Depth=1
	s_or_b64 exec, exec, s[26:27]
.LBB280_407:                            ;   in Loop: Header=BB280_232 Depth=1
	s_or_b64 exec, exec, s[24:25]
.LBB280_408:                            ;   in Loop: Header=BB280_232 Depth=1
	s_or_b64 exec, exec, s[22:23]
	v_mov_b32_e32 v10, v23
	v_cmp_ne_u16_sdwa s[2:3], v23, v11 src0_sel:BYTE_0 src1_sel:DWORD
	v_mov_b32_e32 v24, 0
	v_mov_b32_e32 v17, 0
	s_and_saveexec_b64 s[22:23], s[2:3]
	s_cbranch_execz .LBB280_414
; %bb.409:                              ;   in Loop: Header=BB280_232 Depth=1
	v_cmp_ne_u16_sdwa s[2:3], v23, s36 src0_sel:BYTE_0 src1_sel:DWORD
	v_bfrev_b32_e32 v17, 1
	s_and_saveexec_b64 s[24:25], s[2:3]
	s_cbranch_execz .LBB280_413
; %bb.410:                              ;   in Loop: Header=BB280_232 Depth=1
	v_and_b32_e32 v25, 0x7f, v23
	v_cmp_ne_u32_e64 s[2:3], s37, v25
	v_mov_b32_e32 v17, 0x7fc02000
	s_and_saveexec_b64 s[26:27], s[2:3]
	s_cbranch_execz .LBB280_412
; %bb.411:                              ;   in Loop: Header=BB280_232 Depth=1
	v_and_b32_e32 v17, 7, v23
	v_ffbh_u32_e32 v17, v17
	v_min_u32_e32 v17, 32, v17
	v_subrev_u32_e32 v26, 28, v17
	v_cmp_gt_u32_e64 s[2:3], 8, v25
	v_lshrrev_b32_e32 v37, 3, v25
	v_sub_u32_e32 v17, 29, v17
	v_cndmask_b32_e64 v25, 0, v26, s[2:3]
	v_lshlrev_b64 v[26:27], v25, v[10:11]
	v_cndmask_b32_e64 v17, v37, v17, s[2:3]
	v_lshlrev_b32_e32 v25, 7, v26
	v_lshlrev_b32_e32 v26, 8, v23
	v_lshl_add_u32 v17, v17, 10, v13
	v_and_or_b32 v17, v26, s38, v17
	v_and_or_b32 v17, v25, s39, v17
	v_cvt_f32_f16_e32 v17, v17
.LBB280_412:                            ;   in Loop: Header=BB280_232 Depth=1
	s_or_b64 exec, exec, s[26:27]
.LBB280_413:                            ;   in Loop: Header=BB280_232 Depth=1
	s_or_b64 exec, exec, s[24:25]
.LBB280_414:                            ;   in Loop: Header=BB280_232 Depth=1
	s_or_b64 exec, exec, s[22:23]
	v_lshrrev_b16_e32 v10, 8, v10
	v_cmp_ne_u16_e64 s[2:3], 0, v10
	s_and_saveexec_b64 s[22:23], s[2:3]
	s_cbranch_execz .LBB280_420
; %bb.415:                              ;   in Loop: Header=BB280_232 Depth=1
	v_cmp_ne_u16_e64 s[2:3], s36, v10
	v_bfrev_b32_e32 v24, 1
	s_and_saveexec_b64 s[24:25], s[2:3]
	s_cbranch_execz .LBB280_419
; %bb.416:                              ;   in Loop: Header=BB280_232 Depth=1
	v_and_b32_e32 v25, 0x7f, v10
	v_cmp_ne_u32_e64 s[2:3], s37, v25
	v_mov_b32_e32 v24, 0x7fc02000
	s_and_saveexec_b64 s[26:27], s[2:3]
	s_cbranch_execz .LBB280_418
; %bb.417:                              ;   in Loop: Header=BB280_232 Depth=1
	v_and_b32_e32 v24, 7, v10
	v_ffbh_u32_e32 v26, v24
	v_min_u32_e32 v38, 32, v26
	v_subrev_u32_e32 v26, 28, v38
	v_lshlrev_b64 v[26:27], v26, v[10:11]
	v_lshrrev_b32_e32 v37, 3, v25
	v_sub_u32_e32 v27, 29, v38
	v_cmp_gt_u32_e64 s[2:3], 8, v25
	v_cndmask_b32_e64 v25, v37, v27, s[2:3]
	v_and_b32_e32 v26, 7, v26
	v_lshlrev_b32_e32 v10, 8, v10
	v_lshl_add_u32 v25, v25, 10, v13
	v_cndmask_b32_e64 v24, v24, v26, s[2:3]
	v_and_or_b32 v10, v10, s38, v25
	v_lshl_or_b32 v10, v24, 7, v10
	v_cvt_f32_f16_e32 v24, v10
.LBB280_418:                            ;   in Loop: Header=BB280_232 Depth=1
	s_or_b64 exec, exec, s[26:27]
.LBB280_419:                            ;   in Loop: Header=BB280_232 Depth=1
	s_or_b64 exec, exec, s[24:25]
.LBB280_420:                            ;   in Loop: Header=BB280_232 Depth=1
	s_or_b64 exec, exec, s[22:23]
	v_lshrrev_b32_e32 v10, 16, v23
	v_cmp_ne_u16_sdwa s[2:3], v10, v11 src0_sel:BYTE_0 src1_sel:DWORD
	v_mov_b32_e32 v25, 0
	v_mov_b32_e32 v26, 0
	s_and_saveexec_b64 s[22:23], s[2:3]
	s_cbranch_execz .LBB280_426
; %bb.421:                              ;   in Loop: Header=BB280_232 Depth=1
	v_cmp_ne_u16_sdwa s[2:3], v10, s36 src0_sel:BYTE_0 src1_sel:DWORD
	v_bfrev_b32_e32 v26, 1
	s_and_saveexec_b64 s[24:25], s[2:3]
	s_cbranch_execz .LBB280_425
; %bb.422:                              ;   in Loop: Header=BB280_232 Depth=1
	v_bfe_u32 v27, v23, 16, 7
	v_cmp_ne_u32_e64 s[2:3], s37, v27
	v_mov_b32_e32 v26, 0x7fc02000
	s_and_saveexec_b64 s[26:27], s[2:3]
	s_cbranch_execz .LBB280_424
; %bb.423:                              ;   in Loop: Header=BB280_232 Depth=1
	v_and_b32_e32 v26, 7, v10
	v_ffbh_u32_e32 v38, v26
	v_min_u32_e32 v40, 32, v38
	v_subrev_u32_e32 v38, 28, v40
	v_lshlrev_b64 v[38:39], v38, v[10:11]
	v_lshrrev_b32_e32 v37, 3, v27
	v_sub_u32_e32 v39, 29, v40
	v_cmp_gt_u32_e64 s[2:3], 8, v27
	v_cndmask_b32_e64 v27, v37, v39, s[2:3]
	v_and_b32_e32 v38, 7, v38
	v_lshlrev_b32_e32 v10, 8, v10
	v_lshl_add_u32 v27, v27, 10, v13
	v_cndmask_b32_e64 v26, v26, v38, s[2:3]
	v_and_or_b32 v10, v10, s38, v27
	v_lshl_or_b32 v10, v26, 7, v10
	v_cvt_f32_f16_e32 v26, v10
.LBB280_424:                            ;   in Loop: Header=BB280_232 Depth=1
	s_or_b64 exec, exec, s[26:27]
.LBB280_425:                            ;   in Loop: Header=BB280_232 Depth=1
	s_or_b64 exec, exec, s[24:25]
.LBB280_426:                            ;   in Loop: Header=BB280_232 Depth=1
	s_or_b64 exec, exec, s[22:23]
	v_cmp_lt_u64_e64 s[2:3], s[18:19], v[22:23]
	s_and_saveexec_b64 s[22:23], s[2:3]
	s_cbranch_execz .LBB280_432
; %bb.427:                              ;   in Loop: Header=BB280_232 Depth=1
	v_lshrrev_b32_e32 v10, 24, v23
	v_cmp_ne_u32_e64 s[2:3], s36, v10
	v_bfrev_b32_e32 v25, 1
	s_and_saveexec_b64 s[24:25], s[2:3]
	s_cbranch_execz .LBB280_431
; %bb.428:                              ;   in Loop: Header=BB280_232 Depth=1
	v_and_b32_e32 v22, 0x7f, v10
	v_cmp_ne_u32_e64 s[2:3], s37, v22
	v_mov_b32_e32 v25, 0x7fc02000
	s_and_saveexec_b64 s[26:27], s[2:3]
	s_cbranch_execz .LBB280_430
; %bb.429:                              ;   in Loop: Header=BB280_232 Depth=1
	v_and_b32_e32 v23, 7, v10
	v_ffbh_u32_e32 v27, v23
	v_min_u32_e32 v27, 32, v27
	v_lshrrev_b32_e32 v25, 3, v22
	v_subrev_u32_e32 v37, 28, v27
	v_sub_u32_e32 v27, 29, v27
	v_cmp_gt_u32_e64 s[2:3], 8, v22
	v_lshlrev_b64 v[38:39], v37, v[10:11]
	v_cndmask_b32_e64 v22, v25, v27, s[2:3]
	v_and_b32_e32 v37, 7, v38
	v_lshlrev_b32_e32 v10, 8, v10
	v_lshl_add_u32 v22, v22, 10, v13
	v_cndmask_b32_e64 v23, v23, v37, s[2:3]
	v_and_or_b32 v10, v10, s38, v22
	v_lshl_or_b32 v10, v23, 7, v10
	v_cvt_f32_f16_e32 v25, v10
.LBB280_430:                            ;   in Loop: Header=BB280_232 Depth=1
	s_or_b64 exec, exec, s[26:27]
.LBB280_431:                            ;   in Loop: Header=BB280_232 Depth=1
	s_or_b64 exec, exec, s[24:25]
.LBB280_432:                            ;   in Loop: Header=BB280_232 Depth=1
	s_or_b64 exec, exec, s[22:23]
	s_waitcnt vmcnt(0)
	v_pk_mul_f32 v[18:19], v[16:17], v[18:19] op_sel_hi:[0,1]
	v_cvt_f16_f32_e32 v19, v19
	v_cvt_f16_f32_e32 v18, v18
	v_pk_mul_f32 v[20:21], v[16:17], v[20:21] op_sel_hi:[0,1]
	v_cvt_f16_f32_e32 v10, v21
	v_cvt_f16_f32_e32 v20, v20
	v_pack_b32_f16 v18, v18, v19
	v_fma_mixlo_f16 v19, v16, v24, 0
	v_lshlrev_b32_e32 v19, 16, v19
	v_fma_mixlo_f16 v17, v16, v17, 0
	v_or_b32_sdwa v17, v19, v17 dst_sel:DWORD dst_unused:UNUSED_PAD src0_sel:DWORD src1_sel:WORD_0
	v_fma_mixlo_f16 v19, v16, v26, 0
	v_fma_mixlo_f16 v16, v16, v25, 0
	v_pack_b32_f16 v20, v20, v10
	v_lshlrev_b32_e32 v16, 16, v16
	v_perm_b32 v10, v18, v20, s43
	v_perm_b32 v18, v18, v20, s44
	v_or_b32_sdwa v16, v16, v19 dst_sel:DWORD dst_unused:UNUSED_PAD src0_sel:DWORD src1_sel:WORD_0
	s_and_saveexec_b64 s[2:3], s[0:1]
	s_cbranch_execz .LBB280_229
; %bb.433:                              ;   in Loop: Header=BB280_232 Depth=1
	v_add_u32_e32 v20, 1, v32
	v_lshrrev_b32_e32 v21, 16, v18
	v_cmp_gt_i32_e64 s[0:1], s41, v20
	v_cndmask_b32_e64 v20, 0, v21, s[0:1]
	v_cmp_gt_i32_e64 s[0:1], s33, v32
	v_cndmask_b32_e64 v18, 0, v18, s[0:1]
	v_perm_b32 v18, v20, v18, s45
	v_or_b32_e32 v20, 3, v32
	v_or_b32_e32 v21, 2, v32
	v_lshrrev_b32_e32 v22, 16, v10
	v_cmp_gt_i32_e64 s[0:1], s41, v20
	v_cndmask_b32_e64 v20, 0, v22, s[0:1]
	v_cmp_gt_i32_e64 s[0:1], s33, v21
	v_cndmask_b32_e64 v10, 0, v10, s[0:1]
	v_perm_b32 v10, v20, v10, s45
	v_or_b32_e32 v20, 5, v32
	v_or_b32_e32 v21, 4, v32
	;; [unrolled: 8-line block ×3, first 2 shown]
	v_lshrrev_b32_e32 v16, 16, v16
	v_cmp_gt_i32_e64 s[0:1], s41, v20
	v_cndmask_b32_e64 v16, 0, v16, s[0:1]
	v_cmp_gt_i32_e64 s[0:1], s33, v21
	v_cndmask_b32_e64 v19, 0, v19, s[0:1]
	v_perm_b32 v16, v16, v19, s45
	s_branch .LBB280_229
.LBB280_434:
	s_or_b64 exec, exec, s[20:21]
.LBB280_435:
	s_or_b64 exec, exec, s[12:13]
	ds_bpermute_b32 v6, v9, v2
	ds_bpermute_b32 v7, v9, v3
	;; [unrolled: 1-line block ×4, first 2 shown]
	v_and_b32_e32 v1, 0x3c0, v0
	v_cmp_eq_u32_e32 vcc, 64, v1
	s_waitcnt lgkmcnt(2)
	v_pk_add_f32 v[6:7], v[2:3], v[6:7]
	s_waitcnt lgkmcnt(0)
	v_pk_add_f32 v[2:3], v[4:5], v[8:9]
	s_barrier
	s_and_saveexec_b64 s[2:3], vcc
	s_cbranch_execz .LBB280_440
; %bb.436:
	v_cmp_eq_u32_e32 vcc, 0, v28
	s_and_saveexec_b64 s[0:1], vcc
	s_cbranch_execz .LBB280_438
; %bb.437:
	v_mov_b32_e32 v1, 0x100
	v_lshl_add_u32 v1, v29, 2, v1
	ds_write2_b32 v1, v6, v7 offset1:32
	ds_write_b32 v1, v2 offset:256
.LBB280_438:
	s_or_b64 exec, exec, s[0:1]
	v_or_b32_e32 v1, 0x60, v29
	s_movk_i32 s0, 0x78
	v_cmp_gt_u32_e64 s[0:1], s0, v1
	s_and_b64 s[0:1], vcc, s[0:1]
	s_and_b64 exec, exec, s[0:1]
	s_cbranch_execz .LBB280_440
; %bb.439:
	v_mov_b32_e32 v1, 0x100
	v_lshl_add_u32 v1, v29, 2, v1
	ds_write_b32 v1, v3 offset:384
.LBB280_440:
	s_or_b64 exec, exec, s[2:3]
	v_cmp_gt_u32_e32 vcc, 64, v0
	v_lshrrev_b32_e32 v0, 1, v0
	s_waitcnt lgkmcnt(0)
	s_barrier
	s_and_saveexec_b64 s[4:5], vcc
	s_cbranch_execz .LBB280_448
; %bb.441:
	v_cmp_eq_u32_e64 s[0:1], 0, v28
	s_and_saveexec_b64 s[2:3], s[0:1]
	s_cbranch_execnz .LBB280_454
; %bb.442:
	s_or_b64 exec, exec, s[2:3]
	s_and_saveexec_b64 s[2:3], s[0:1]
	s_cbranch_execnz .LBB280_455
.LBB280_443:
	s_or_b64 exec, exec, s[2:3]
	s_and_saveexec_b64 s[2:3], s[0:1]
	s_cbranch_execz .LBB280_445
.LBB280_444:
	v_mov_b32_e32 v1, 0x100
	v_lshl_add_u32 v1, v0, 2, v1
	ds_read_b32 v1, v1 offset:256
	s_waitcnt lgkmcnt(0)
	v_add_f32_e32 v2, v2, v1
.LBB280_445:
	s_or_b64 exec, exec, s[2:3]
	v_or_b32_e32 v1, 0x60, v0
	s_movk_i32 s2, 0x78
	v_cmp_gt_u32_e64 s[2:3], s2, v1
	s_and_b64 s[2:3], s[0:1], s[2:3]
	s_and_saveexec_b64 s[0:1], s[2:3]
	s_cbranch_execz .LBB280_447
; %bb.446:
	v_mov_b32_e32 v1, 0x100
	v_lshl_add_u32 v1, v0, 2, v1
	ds_read_b32 v1, v1 offset:384
	s_waitcnt lgkmcnt(0)
	v_add_f32_e32 v3, v3, v1
.LBB280_447:
	s_or_b64 exec, exec, s[0:1]
.LBB280_448:
	s_or_b64 exec, exec, s[4:5]
	s_barrier
	s_and_saveexec_b64 s[0:1], vcc
	s_cbranch_execz .LBB280_453
; %bb.449:
	s_mul_i32 s0, s10, 0x78
	s_ashr_i32 s1, s0, 31
	s_lshl_b64 s[0:1], s[0:1], 1
	s_add_u32 s2, s30, s0
	s_mul_i32 s0, s29, s28
	s_addc_u32 s3, s31, s1
	s_ashr_i32 s1, s0, 31
	s_lshl_b64 s[0:1], s[0:1], 1
	s_add_u32 s2, s2, s0
	s_mul_i32 s0, s8, 0x78
	s_addc_u32 s3, s3, s1
	s_ashr_i32 s1, s0, 31
	s_lshl_b64 s[0:1], s[0:1], 1
	s_add_u32 s2, s2, s0
	s_movk_i32 s4, 0x78
	s_addc_u32 s3, s3, s1
	v_cmp_eq_u32_e32 vcc, 0, v28
	v_lshlrev_b32_e32 v1, 1, v0
	s_and_saveexec_b64 s[0:1], vcc
	s_cbranch_execz .LBB280_451
; %bb.450:
	;;#ASMSTART
	v_cvt_f16_f32 v4, v6;

	;;#ASMEND
	global_store_short v1, v4, s[2:3]
	;;#ASMSTART
	v_cvt_f16_f32 v4, v7;

	;;#ASMEND
	global_store_short v1, v4, s[2:3] offset:64
	;;#ASMSTART
	v_cvt_f16_f32 v2, v2;

	;;#ASMEND
	global_store_short v1, v2, s[2:3] offset:128
.LBB280_451:
	s_or_b64 exec, exec, s[0:1]
	v_or_b32_e32 v0, 0x60, v0
	v_cmp_gt_u32_e64 s[0:1], s4, v0
	s_and_b64 s[0:1], vcc, s[0:1]
	s_and_b64 exec, exec, s[0:1]
	s_cbranch_execz .LBB280_453
; %bb.452:
	;;#ASMSTART
	v_cvt_f16_f32 v0, v3;

	;;#ASMEND
	global_store_short v1, v0, s[2:3] offset:192
.LBB280_453:
	s_endpgm
.LBB280_454:
	v_mov_b32_e32 v1, 0x100
	v_lshl_add_u32 v1, v0, 2, v1
	ds_read_b32 v1, v1
	s_waitcnt lgkmcnt(0)
	v_add_f32_e32 v6, v6, v1
	s_or_b64 exec, exec, s[2:3]
	s_and_saveexec_b64 s[2:3], s[0:1]
	s_cbranch_execz .LBB280_443
.LBB280_455:
	v_mov_b32_e32 v1, 0x100
	v_lshl_add_u32 v1, v0, 2, v1
	ds_read_b32 v1, v1 offset:128
	s_waitcnt lgkmcnt(0)
	v_add_f32_e32 v7, v7, v1
	s_or_b64 exec, exec, s[2:3]
	s_and_saveexec_b64 s[2:3], s[0:1]
	s_cbranch_execnz .LBB280_444
	s_branch .LBB280_445
	.section	.rodata,"a",@progbits
	.p2align	6, 0x0
	.amdhsa_kernel _ZN4vllm25paged_attention_v2_kernelIthLi120ELi16ELi128ELNS_18Fp8KVCacheDataTypeE1ELb1ELi512EEEvPfS2_PT_PKS3_PKT0_S9_ifPKiSB_iPKfiiiSD_SD_iiiii
		.amdhsa_group_segment_fixed_size 256
		.amdhsa_private_segment_fixed_size 0
		.amdhsa_kernarg_size 400
		.amdhsa_user_sgpr_count 6
		.amdhsa_user_sgpr_private_segment_buffer 1
		.amdhsa_user_sgpr_dispatch_ptr 0
		.amdhsa_user_sgpr_queue_ptr 0
		.amdhsa_user_sgpr_kernarg_segment_ptr 1
		.amdhsa_user_sgpr_dispatch_id 0
		.amdhsa_user_sgpr_flat_scratch_init 0
		.amdhsa_user_sgpr_kernarg_preload_length 0
		.amdhsa_user_sgpr_kernarg_preload_offset 0
		.amdhsa_user_sgpr_private_segment_size 0
		.amdhsa_uses_dynamic_stack 0
		.amdhsa_system_sgpr_private_segment_wavefront_offset 0
		.amdhsa_system_sgpr_workgroup_id_x 1
		.amdhsa_system_sgpr_workgroup_id_y 1
		.amdhsa_system_sgpr_workgroup_id_z 1
		.amdhsa_system_sgpr_workgroup_info 0
		.amdhsa_system_vgpr_workitem_id 0
		.amdhsa_next_free_vgpr 70
		.amdhsa_next_free_sgpr 63
		.amdhsa_accum_offset 72
		.amdhsa_reserve_vcc 1
		.amdhsa_reserve_flat_scratch 0
		.amdhsa_float_round_mode_32 0
		.amdhsa_float_round_mode_16_64 0
		.amdhsa_float_denorm_mode_32 3
		.amdhsa_float_denorm_mode_16_64 3
		.amdhsa_dx10_clamp 1
		.amdhsa_ieee_mode 1
		.amdhsa_fp16_overflow 0
		.amdhsa_tg_split 0
		.amdhsa_exception_fp_ieee_invalid_op 0
		.amdhsa_exception_fp_denorm_src 0
		.amdhsa_exception_fp_ieee_div_zero 0
		.amdhsa_exception_fp_ieee_overflow 0
		.amdhsa_exception_fp_ieee_underflow 0
		.amdhsa_exception_fp_ieee_inexact 0
		.amdhsa_exception_int_div_zero 0
	.end_amdhsa_kernel
	.section	.text._ZN4vllm25paged_attention_v2_kernelIthLi120ELi16ELi128ELNS_18Fp8KVCacheDataTypeE1ELb1ELi512EEEvPfS2_PT_PKS3_PKT0_S9_ifPKiSB_iPKfiiiSD_SD_iiiii,"axG",@progbits,_ZN4vllm25paged_attention_v2_kernelIthLi120ELi16ELi128ELNS_18Fp8KVCacheDataTypeE1ELb1ELi512EEEvPfS2_PT_PKS3_PKT0_S9_ifPKiSB_iPKfiiiSD_SD_iiiii,comdat
.Lfunc_end280:
	.size	_ZN4vllm25paged_attention_v2_kernelIthLi120ELi16ELi128ELNS_18Fp8KVCacheDataTypeE1ELb1ELi512EEEvPfS2_PT_PKS3_PKT0_S9_ifPKiSB_iPKfiiiSD_SD_iiiii, .Lfunc_end280-_ZN4vllm25paged_attention_v2_kernelIthLi120ELi16ELi128ELNS_18Fp8KVCacheDataTypeE1ELb1ELi512EEEvPfS2_PT_PKS3_PKT0_S9_ifPKiSB_iPKfiiiSD_SD_iiiii
                                        ; -- End function
	.section	.AMDGPU.csdata,"",@progbits
; Kernel info:
; codeLenInByte = 19212
; NumSgprs: 67
; NumVgprs: 70
; NumAgprs: 0
; TotalNumVgprs: 70
; ScratchSize: 0
; MemoryBound: 0
; FloatMode: 240
; IeeeMode: 1
; LDSByteSize: 256 bytes/workgroup (compile time only)
; SGPRBlocks: 8
; VGPRBlocks: 8
; NumSGPRsForWavesPerEU: 67
; NumVGPRsForWavesPerEU: 70
; AccumOffset: 72
; Occupancy: 7
; WaveLimiterHint : 1
; COMPUTE_PGM_RSRC2:SCRATCH_EN: 0
; COMPUTE_PGM_RSRC2:USER_SGPR: 6
; COMPUTE_PGM_RSRC2:TRAP_HANDLER: 0
; COMPUTE_PGM_RSRC2:TGID_X_EN: 1
; COMPUTE_PGM_RSRC2:TGID_Y_EN: 1
; COMPUTE_PGM_RSRC2:TGID_Z_EN: 1
; COMPUTE_PGM_RSRC2:TIDIG_COMP_CNT: 0
; COMPUTE_PGM_RSRC3_GFX90A:ACCUM_OFFSET: 17
; COMPUTE_PGM_RSRC3_GFX90A:TG_SPLIT: 0
	.section	.text._ZN4vllm25paged_attention_v2_kernelIthLi128ELi16ELi128ELNS_18Fp8KVCacheDataTypeE1ELb1ELi512EEEvPfS2_PT_PKS3_PKT0_S9_ifPKiSB_iPKfiiiSD_SD_iiiii,"axG",@progbits,_ZN4vllm25paged_attention_v2_kernelIthLi128ELi16ELi128ELNS_18Fp8KVCacheDataTypeE1ELb1ELi512EEEvPfS2_PT_PKS3_PKT0_S9_ifPKiSB_iPKfiiiSD_SD_iiiii,comdat
	.protected	_ZN4vllm25paged_attention_v2_kernelIthLi128ELi16ELi128ELNS_18Fp8KVCacheDataTypeE1ELb1ELi512EEEvPfS2_PT_PKS3_PKT0_S9_ifPKiSB_iPKfiiiSD_SD_iiiii ; -- Begin function _ZN4vllm25paged_attention_v2_kernelIthLi128ELi16ELi128ELNS_18Fp8KVCacheDataTypeE1ELb1ELi512EEEvPfS2_PT_PKS3_PKT0_S9_ifPKiSB_iPKfiiiSD_SD_iiiii
	.globl	_ZN4vllm25paged_attention_v2_kernelIthLi128ELi16ELi128ELNS_18Fp8KVCacheDataTypeE1ELb1ELi512EEEvPfS2_PT_PKS3_PKT0_S9_ifPKiSB_iPKfiiiSD_SD_iiiii
	.p2align	8
	.type	_ZN4vllm25paged_attention_v2_kernelIthLi128ELi16ELi128ELNS_18Fp8KVCacheDataTypeE1ELb1ELi512EEEvPfS2_PT_PKS3_PKT0_S9_ifPKiSB_iPKfiiiSD_SD_iiiii,@function
_ZN4vllm25paged_attention_v2_kernelIthLi128ELi16ELi128ELNS_18Fp8KVCacheDataTypeE1ELb1ELi512EEEvPfS2_PT_PKS3_PKT0_S9_ifPKiSB_iPKfiiiSD_SD_iiiii: ; @_ZN4vllm25paged_attention_v2_kernelIthLi128ELi16ELi128ELNS_18Fp8KVCacheDataTypeE1ELb1ELi512EEEvPfS2_PT_PKS3_PKT0_S9_ifPKiSB_iPKfiiiSD_SD_iiiii
; %bb.0:
	s_load_dwordx2 s[0:1], s[4:5], 0x40
	s_mov_b32 s36, s7
	s_ashr_i32 s37, s7, 31
	s_lshl_b64 s[2:3], s[36:37], 2
	s_waitcnt lgkmcnt(0)
	s_add_u32 s0, s0, s2
	s_addc_u32 s1, s1, s3
	s_load_dword s33, s[0:1], 0x0
	s_lshl_b32 s56, s8, 9
	s_waitcnt lgkmcnt(0)
	s_cmp_ge_i32 s56, s33
	s_cbranch_scc1 .LBB281_456
; %bb.1:
	s_load_dword s9, s[4:5], 0x90
	s_load_dwordx2 s[44:45], s[4:5], 0x30
	s_mov_b32 s57, 0
	s_waitcnt lgkmcnt(0)
	s_abs_i32 s2, s9
	s_abs_i32 s0, s44
	v_cvt_f32_u32_e32 v1, s0
	s_sub_i32 s3, 0, s0
	s_xor_b32 s1, s9, s44
	s_ashr_i32 s1, s1, 31
	v_rcp_iflag_f32_e32 v1, v1
	v_mul_f32_e32 v1, 0x4f7ffffe, v1
	v_cvt_u32_f32_e32 v1, v1
	v_readfirstlane_b32 s7, v1
	s_mul_i32 s3, s3, s7
	s_mul_hi_u32 s3, s7, s3
	s_add_i32 s7, s7, s3
	s_mul_hi_u32 s3, s2, s7
	s_mul_i32 s7, s3, s0
	s_sub_i32 s2, s2, s7
	s_add_i32 s10, s3, 1
	s_sub_i32 s7, s2, s0
	s_cmp_ge_u32 s2, s0
	s_cselect_b32 s3, s10, s3
	s_cselect_b32 s2, s7, s2
	s_add_i32 s7, s3, 1
	s_cmp_ge_u32 s2, s0
	s_cselect_b32 s0, s7, s3
	s_xor_b32 s0, s0, s1
	s_sub_i32 s2, s0, s1
	s_abs_i32 s10, s2
	v_cvt_f32_u32_e32 v1, s10
	s_load_dwordx2 s[0:1], s[4:5], 0x50
	s_sub_i32 s3, 0, s10
	s_abs_i32 s11, s6
	v_rcp_iflag_f32_e32 v1, v1
	v_mul_f32_e32 v1, 0x4f7ffffe, v1
	v_cvt_u32_f32_e32 v1, v1
	v_readfirstlane_b32 s7, v1
	s_mul_i32 s3, s3, s7
	s_mul_hi_u32 s3, s7, s3
	s_add_i32 s7, s7, s3
	s_waitcnt lgkmcnt(0)
	s_cmp_eq_u64 s[0:1], 0
	s_mul_hi_u32 s12, s11, s7
	s_cbranch_scc1 .LBB281_3
; %bb.2:
	s_ashr_i32 s7, s6, 31
	s_lshl_b64 s[14:15], s[6:7], 2
	s_add_u32 s0, s0, s14
	s_addc_u32 s1, s1, s15
	s_load_dword s57, s[0:1], 0x0
.LBB281_3:
	s_load_dwordx4 s[20:23], s[4:5], 0x58
	s_ashr_i32 s7, s6, 31
	s_ashr_i32 s13, s2, 31
	v_and_b32_e32 v8, 3, v0
	s_lshl_b32 s14, s6, 7
	v_cmp_gt_u32_e64 s[0:1], 64, v0
	s_and_saveexec_b64 s[2:3], s[0:1]
	s_cbranch_execz .LBB281_5
; %bb.4:
	s_load_dwordx2 s[16:17], s[4:5], 0x18
	s_waitcnt lgkmcnt(0)
	s_mul_i32 s18, s36, s20
	s_ashr_i32 s19, s18, 31
	s_lshl_b64 s[18:19], s[18:19], 1
	v_lshlrev_b32_e32 v1, 2, v0
	s_add_u32 s18, s16, s18
	s_addc_u32 s19, s17, s19
	s_ashr_i32 s15, s14, 31
	s_lshl_b64 s[16:17], s[14:15], 1
	s_add_u32 s16, s18, s16
	s_addc_u32 s17, s19, s17
	global_load_dword v1, v1, s[16:17]
	v_and_b32_e32 v2, 0x3fc, v0
	v_lshl_add_u32 v2, v8, 6, v2
	s_waitcnt vmcnt(0)
	ds_write_b32 v2, v1
.LBB281_5:
	s_or_b64 exec, exec, s[2:3]
	s_mul_i32 s3, s12, s10
	s_sub_i32 s3, s11, s3
	s_xor_b32 s2, s7, s13
	s_add_i32 s7, s12, 1
	s_sub_i32 s11, s3, s10
	s_load_dwordx4 s[24:27], s[4:5], 0x78
	s_cmp_ge_u32 s3, s10
	s_cselect_b32 s7, s7, s12
	s_load_dword s12, s[4:5], 0x88
	s_cselect_b32 s3, s11, s3
	s_add_i32 s11, s7, 1
	s_cmp_ge_u32 s3, s10
	s_cselect_b32 s3, s11, s7
	s_waitcnt lgkmcnt(0)
	s_abs_i32 s37, s27
	v_cvt_f32_u32_e32 v1, s37
	s_xor_b32 s3, s3, s2
	s_sub_i32 s10, s3, s2
	s_sub_i32 s2, 0, s37
	v_rcp_iflag_f32_e32 v1, v1
	s_add_i32 s13, s33, -1
	s_abs_i32 s7, s13
	v_mul_f32_e32 v1, 0x4f7ffffe, v1
	v_cvt_u32_f32_e32 v1, v1
	s_barrier
	v_readfirstlane_b32 s54, v1
	s_mul_i32 s2, s2, s54
	s_mul_hi_u32 s2, s54, s2
	s_add_i32 s54, s54, s2
	s_cmp_lt_i32 s12, 0
	s_mul_hi_u32 s11, s7, s54
	s_cbranch_scc0 .LBB281_7
; %bb.6:
	s_mul_i32 s2, s24, s44
	s_add_i32 s2, s10, s2
	s_mul_i32 s2, s2, s12
	s_sub_i32 s44, 1, s2
	s_mov_b64 s[2:3], 0
	s_branch .LBB281_8
.LBB281_7:
	s_mov_b64 s[2:3], -1
                                        ; implicit-def: $sgpr44
.LBB281_8:
	s_load_dwordx2 s[38:39], s[4:5], 0x38
	s_ashr_i32 s13, s13, 31
	s_andn2_b64 vcc, exec, s[2:3]
	s_ashr_i32 s27, s27, 31
	s_cbranch_vccnz .LBB281_10
; %bb.9:
	s_mul_i32 s2, s9, s24
	s_add_i32 s2, s2, s6
	s_mul_i32 s2, s2, s12
	s_add_i32 s44, s2, 1
.LBB281_10:
	s_load_dwordx2 s[42:43], s[4:5], 0x28
	s_load_dword s2, s[4:5], 0x48
	s_load_dwordx4 s[28:31], s[4:5], 0x0
	s_load_dwordx2 s[34:35], s[4:5], 0x10
	s_load_dword s15, s[4:5], 0x98
	s_load_dwordx4 s[16:19], s[4:5], 0x68
	s_mul_i32 s3, s11, s37
	s_waitcnt lgkmcnt(0)
	s_mul_i32 s40, s36, s2
	s_sub_i32 s3, s7, s3
	s_ashr_i32 s41, s40, 31
	s_xor_b32 s2, s13, s27
	s_add_i32 s7, s11, 1
	s_sub_i32 s12, s3, s37
	s_cmp_ge_u32 s3, s37
	s_cselect_b32 s7, s7, s11
	s_cselect_b32 s3, s12, s3
	s_add_i32 s11, s7, 1
	s_cmp_ge_u32 s3, s37
	s_cselect_b32 s3, s11, s7
	s_xor_b32 s3, s3, s2
	s_sub_i32 s20, s3, s2
	s_add_i32 s2, s33, 15
	s_ashr_i32 s3, s2, 31
	s_lshr_b32 s3, s3, 28
	s_add_i32 s2, s2, s3
	s_lshl_b32 s58, s8, 5
	s_ashr_i32 s7, s2, 4
	s_add_i32 s2, s58, 32
	v_lshrrev_b32_e32 v13, 6, v0
	s_min_i32 s55, s2, s7
	v_or_b32_e32 v6, s58, v13
	v_cmp_gt_i32_e64 s[2:3], s55, v6
	v_mov_b32_e32 v17, 0xff7fffff
	s_mul_i32 s24, s10, s22
	v_ashrrev_i32_e32 v7, 31, v6
	v_lshl_add_u32 v1, v13, 4, s56
	v_mbcnt_lo_u32_b32 v5, -1, 0
	s_and_saveexec_b64 s[22:23], s[2:3]
	s_cbranch_execz .LBB281_212
; %bb.11:
	s_load_dwordx2 s[4:5], s[4:5], 0x20
	s_sub_i32 s59, s20, s25
	s_ashr_i32 s10, s24, 31
	v_bfe_u32 v14, v0, 2, 4
	v_lshlrev_b32_e32 v3, 4, v14
	s_waitcnt lgkmcnt(0)
	s_add_u32 s4, s4, s24
	s_addc_u32 s5, s5, s10
	s_abs_i32 s61, s26
	v_cvt_f32_u32_e32 v2, s61
	v_mov_b32_e32 v4, s5
	s_sub_i32 s10, 0, s61
	v_cmp_eq_u32_e32 vcc, 0, v8
	v_rcp_iflag_f32_e32 v9, v2
	v_add_co_u32_e64 v2, s[4:5], s4, v3
	v_addc_co_u32_e64 v3, s[4:5], 0, v4, s[4:5]
	v_mul_f32_e32 v9, 0x4f7ffffe, v9
	v_cvt_u32_f32_e32 v9, v9
	v_lshlrev_b32_e32 v4, 1, v8
	v_lshlrev_b32_e32 v16, 6, v8
	s_mov_b32 s60, s21
	v_mul_lo_u32 v8, s10, v9
	s_lshl_b64 s[10:11], s[40:41], 2
	v_mul_hi_u32 v8, v9, v8
	s_add_u32 s10, s38, s10
	v_add_u32_e32 v18, v9, v8
	v_lshlrev_b64 v[8:9], 2, v[6:7]
	s_addc_u32 s11, s39, s11
	v_mov_b32_e32 v10, s11
	v_add_co_u32_e64 v8, s[10:11], s10, v8
	v_addc_co_u32_e64 v9, s[10:11], v10, v9, s[10:11]
	v_lshlrev_b32_e32 v10, 2, v14
	v_lshl_or_b32 v10, v13, 6, v10
	v_add_u32_e32 v20, 0x110, v10
	v_subrev_u32_e32 v10, s33, v14
	v_mov_b32_e32 v15, 0
	v_cmp_neq_f32_e64 s[4:5], s57, 0
	v_lshl_add_u32 v19, v13, 4, s56
	v_add_u32_e32 v21, 1, v10
	s_mov_b64 s[46:47], 0
	v_mov_b32_e32 v22, 0xff7fffff
	s_movk_i32 s62, 0x80
	s_movk_i32 s63, 0x7f
	s_mov_b32 s64, 0x8000
	v_mov_b32_e32 v23, 0x2000
	v_mbcnt_hi_u32_b32 v24, -1, v5
	v_mov_b32_e32 v17, 0xff7fffff
	v_mov_b32_e32 v25, v6
	s_branch .LBB281_14
.LBB281_12:                             ;   in Loop: Header=BB281_14 Depth=1
	s_or_b64 exec, exec, s[48:49]
.LBB281_13:                             ;   in Loop: Header=BB281_14 Depth=1
	s_or_b64 exec, exec, s[12:13]
	v_add_co_u32_e64 v8, s[10:11], 8, v8
	v_add_u32_e32 v25, 2, v25
	v_addc_co_u32_e64 v9, s[10:11], 0, v9, s[10:11]
	v_cmp_le_i32_e64 s[10:11], s55, v25
	v_add_u32_e32 v19, 32, v19
	s_or_b64 s[46:47], s[10:11], s[46:47]
	v_add_u32_e32 v20, 0x80, v20
	s_andn2_b64 exec, exec, s[46:47]
	s_cbranch_execz .LBB281_211
.LBB281_14:                             ; =>This Inner Loop Header: Depth=1
	s_waitcnt lgkmcnt(0)
	v_sub_u32_e32 v11, 0, v19
	v_max_i32_e32 v11, v19, v11
	v_mul_hi_u32 v12, v11, s54
	v_mul_lo_u32 v26, v12, s37
	v_sub_u32_e32 v11, v11, v26
	v_add_u32_e32 v26, 1, v12
	v_cmp_le_u32_e64 s[10:11], s37, v11
	v_cndmask_b32_e64 v12, v12, v26, s[10:11]
	v_subrev_u32_e32 v26, s37, v11
	v_cndmask_b32_e64 v11, v11, v26, s[10:11]
	v_ashrrev_i32_e32 v10, 31, v19
	v_add_u32_e32 v26, 1, v12
	v_cmp_le_u32_e64 s[10:11], s37, v11
	v_xor_b32_e32 v10, s27, v10
	v_cndmask_b32_e64 v11, v12, v26, s[10:11]
	v_xor_b32_e32 v11, v11, v10
	v_sub_u32_e32 v10, v11, v10
	v_add_u32_e32 v11, s44, v10
	v_sub_u32_e32 v26, 0, v11
	v_ashrrev_i32_e32 v12, 31, v11
	v_max_i32_e32 v11, v11, v26
	v_mul_hi_u32 v26, v11, v18
	v_mul_lo_u32 v26, v26, s61
	v_sub_u32_e32 v11, v11, v26
	v_subrev_u32_e32 v26, s61, v11
	v_cmp_le_u32_e64 s[10:11], s61, v11
	v_cndmask_b32_e64 v11, v11, v26, s[10:11]
	v_subrev_u32_e32 v26, s61, v11
	v_cmp_le_u32_e64 s[10:11], s61, v11
	v_cndmask_b32_e64 v11, v11, v26, s[10:11]
	v_xor_b32_e32 v11, v11, v12
	v_sub_u32_e32 v11, v11, v12
	v_cmp_ne_u32_e64 s[10:11], 0, v11
	v_cmp_ge_i32_e64 s[12:13], s59, v10
	s_and_b64 s[10:11], s[10:11], s[12:13]
	s_and_b64 s[48:49], vcc, s[10:11]
	s_and_saveexec_b64 s[12:13], s[48:49]
	s_cbranch_execz .LBB281_16
; %bb.15:                               ;   in Loop: Header=BB281_14 Depth=1
	ds_write_b32 v20, v22
.LBB281_16:                             ;   in Loop: Header=BB281_14 Depth=1
	s_or_b64 exec, exec, s[12:13]
	s_xor_b64 s[10:11], s[10:11], -1
	s_and_saveexec_b64 s[12:13], s[10:11]
	s_cbranch_execz .LBB281_13
; %bb.17:                               ;   in Loop: Header=BB281_14 Depth=1
	global_load_dword v10, v[8:9], off
	v_mov_b32_e32 v27, 0
	s_waitcnt vmcnt(0)
	v_mad_i64_i32 v[10:11], s[10:11], v10, s60, v[2:3]
	v_add_co_u32_e64 v10, s[10:11], v10, v4
	v_addc_co_u32_e64 v11, s[10:11], 0, v11, s[10:11]
	global_load_ushort v28, v[10:11], off
	global_load_dword v26, v15, s[16:17]
	s_waitcnt vmcnt(1)
	v_and_b32_e32 v12, 0xffff, v28
	v_cmp_ne_u16_sdwa s[10:11], v28, v15 src0_sel:BYTE_0 src1_sel:DWORD
	v_mov_b32_e32 v28, 0
	s_and_saveexec_b64 s[48:49], s[10:11]
	s_cbranch_execz .LBB281_23
; %bb.18:                               ;   in Loop: Header=BB281_14 Depth=1
	v_cmp_ne_u16_sdwa s[10:11], v12, s62 src0_sel:BYTE_0 src1_sel:DWORD
	v_bfrev_b32_e32 v28, 1
	s_and_saveexec_b64 s[50:51], s[10:11]
	s_cbranch_execz .LBB281_22
; %bb.19:                               ;   in Loop: Header=BB281_14 Depth=1
	v_and_b32_e32 v29, 0x7f, v12
	v_cmp_ne_u32_e64 s[10:11], s63, v29
	v_mov_b32_e32 v28, 0x7fc02000
	s_and_saveexec_b64 s[52:53], s[10:11]
	s_cbranch_execz .LBB281_21
; %bb.20:                               ;   in Loop: Header=BB281_14 Depth=1
	v_and_b32_e32 v28, 7, v12
	v_ffbh_u32_e32 v30, v28
	v_min_u32_e32 v33, 32, v30
	v_subrev_u32_e32 v30, 28, v33
	v_lshlrev_b64 v[30:31], v30, v[12:13]
	v_lshrrev_b32_e32 v32, 3, v29
	v_sub_u32_e32 v31, 29, v33
	v_cmp_gt_u32_e64 s[10:11], 8, v29
	v_and_b32_e32 v30, 7, v30
	v_cndmask_b32_e64 v29, v32, v31, s[10:11]
	v_cndmask_b32_e64 v28, v28, v30, s[10:11]
	v_lshlrev_b32_e32 v30, 8, v12
	v_lshl_add_u32 v29, v29, 10, v23
	v_and_or_b32 v29, v30, s64, v29
	v_lshl_or_b32 v28, v28, 7, v29
	v_cvt_f32_f16_e32 v28, v28
.LBB281_21:                             ;   in Loop: Header=BB281_14 Depth=1
	s_or_b64 exec, exec, s[52:53]
.LBB281_22:                             ;   in Loop: Header=BB281_14 Depth=1
	s_or_b64 exec, exec, s[50:51]
.LBB281_23:                             ;   in Loop: Header=BB281_14 Depth=1
	s_or_b64 exec, exec, s[48:49]
	v_lshrrev_b16_e32 v12, 8, v12
	v_cmp_ne_u16_e64 s[10:11], 0, v12
	s_and_saveexec_b64 s[48:49], s[10:11]
	s_cbranch_execz .LBB281_29
; %bb.24:                               ;   in Loop: Header=BB281_14 Depth=1
	v_cmp_ne_u16_e64 s[10:11], s62, v12
	v_bfrev_b32_e32 v27, 1
	s_and_saveexec_b64 s[50:51], s[10:11]
	s_cbranch_execz .LBB281_28
; %bb.25:                               ;   in Loop: Header=BB281_14 Depth=1
	v_and_b32_e32 v29, 0x7f, v12
	v_cmp_ne_u32_e64 s[10:11], s63, v29
	v_mov_b32_e32 v27, 0x7fc02000
	s_and_saveexec_b64 s[52:53], s[10:11]
	s_cbranch_execz .LBB281_27
; %bb.26:                               ;   in Loop: Header=BB281_14 Depth=1
	v_and_b32_e32 v27, 7, v12
	v_ffbh_u32_e32 v30, v27
	v_min_u32_e32 v33, 32, v30
	v_subrev_u32_e32 v30, 28, v33
	v_lshlrev_b64 v[30:31], v30, v[12:13]
	v_lshrrev_b32_e32 v32, 3, v29
	v_sub_u32_e32 v31, 29, v33
	v_cmp_gt_u32_e64 s[10:11], 8, v29
	v_cndmask_b32_e64 v29, v32, v31, s[10:11]
	v_and_b32_e32 v30, 7, v30
	v_lshlrev_b32_e32 v12, 8, v12
	v_lshl_add_u32 v29, v29, 10, v23
	v_cndmask_b32_e64 v27, v27, v30, s[10:11]
	v_and_or_b32 v12, v12, s64, v29
	v_lshl_or_b32 v12, v27, 7, v12
	v_cvt_f32_f16_e32 v27, v12
.LBB281_27:                             ;   in Loop: Header=BB281_14 Depth=1
	s_or_b64 exec, exec, s[52:53]
.LBB281_28:                             ;   in Loop: Header=BB281_14 Depth=1
	s_or_b64 exec, exec, s[50:51]
.LBB281_29:                             ;   in Loop: Header=BB281_14 Depth=1
	s_or_b64 exec, exec, s[48:49]
	global_load_ushort v30, v[10:11], off offset:8
	v_mov_b32_e32 v29, 0
	s_waitcnt vmcnt(0)
	v_and_b32_e32 v12, 0xffff, v30
	v_cmp_ne_u16_sdwa s[10:11], v30, v15 src0_sel:BYTE_0 src1_sel:DWORD
	v_mov_b32_e32 v30, 0
	s_and_saveexec_b64 s[48:49], s[10:11]
	s_cbranch_execz .LBB281_35
; %bb.30:                               ;   in Loop: Header=BB281_14 Depth=1
	v_cmp_ne_u16_sdwa s[10:11], v12, s62 src0_sel:BYTE_0 src1_sel:DWORD
	v_bfrev_b32_e32 v30, 1
	s_and_saveexec_b64 s[50:51], s[10:11]
	s_cbranch_execz .LBB281_34
; %bb.31:                               ;   in Loop: Header=BB281_14 Depth=1
	v_and_b32_e32 v31, 0x7f, v12
	v_cmp_ne_u32_e64 s[10:11], s63, v31
	v_mov_b32_e32 v30, 0x7fc02000
	s_and_saveexec_b64 s[52:53], s[10:11]
	s_cbranch_execz .LBB281_33
; %bb.32:                               ;   in Loop: Header=BB281_14 Depth=1
	v_and_b32_e32 v30, 7, v12
	v_ffbh_u32_e32 v32, v30
	v_min_u32_e32 v35, 32, v32
	v_subrev_u32_e32 v32, 28, v35
	v_lshlrev_b64 v[32:33], v32, v[12:13]
	v_lshrrev_b32_e32 v34, 3, v31
	v_sub_u32_e32 v33, 29, v35
	v_cmp_gt_u32_e64 s[10:11], 8, v31
	v_and_b32_e32 v32, 7, v32
	v_cndmask_b32_e64 v31, v34, v33, s[10:11]
	v_cndmask_b32_e64 v30, v30, v32, s[10:11]
	v_lshlrev_b32_e32 v32, 8, v12
	v_lshl_add_u32 v31, v31, 10, v23
	v_and_or_b32 v31, v32, s64, v31
	v_lshl_or_b32 v30, v30, 7, v31
	v_cvt_f32_f16_e32 v30, v30
.LBB281_33:                             ;   in Loop: Header=BB281_14 Depth=1
	s_or_b64 exec, exec, s[52:53]
.LBB281_34:                             ;   in Loop: Header=BB281_14 Depth=1
	s_or_b64 exec, exec, s[50:51]
.LBB281_35:                             ;   in Loop: Header=BB281_14 Depth=1
	s_or_b64 exec, exec, s[48:49]
	v_lshrrev_b16_e32 v12, 8, v12
	v_cmp_ne_u16_e64 s[10:11], 0, v12
	s_and_saveexec_b64 s[48:49], s[10:11]
	s_cbranch_execz .LBB281_41
; %bb.36:                               ;   in Loop: Header=BB281_14 Depth=1
	v_cmp_ne_u16_e64 s[10:11], s62, v12
	v_bfrev_b32_e32 v29, 1
	s_and_saveexec_b64 s[50:51], s[10:11]
	s_cbranch_execz .LBB281_40
; %bb.37:                               ;   in Loop: Header=BB281_14 Depth=1
	v_and_b32_e32 v31, 0x7f, v12
	v_cmp_ne_u32_e64 s[10:11], s63, v31
	v_mov_b32_e32 v29, 0x7fc02000
	s_and_saveexec_b64 s[52:53], s[10:11]
	s_cbranch_execz .LBB281_39
; %bb.38:                               ;   in Loop: Header=BB281_14 Depth=1
	v_and_b32_e32 v29, 7, v12
	v_ffbh_u32_e32 v32, v29
	v_min_u32_e32 v35, 32, v32
	v_subrev_u32_e32 v32, 28, v35
	v_lshlrev_b64 v[32:33], v32, v[12:13]
	v_lshrrev_b32_e32 v34, 3, v31
	v_sub_u32_e32 v33, 29, v35
	v_cmp_gt_u32_e64 s[10:11], 8, v31
	v_cndmask_b32_e64 v31, v34, v33, s[10:11]
	v_and_b32_e32 v32, 7, v32
	v_lshlrev_b32_e32 v12, 8, v12
	v_lshl_add_u32 v31, v31, 10, v23
	v_cndmask_b32_e64 v29, v29, v32, s[10:11]
	v_and_or_b32 v12, v12, s64, v31
	v_lshl_or_b32 v12, v29, 7, v12
	v_cvt_f32_f16_e32 v29, v12
.LBB281_39:                             ;   in Loop: Header=BB281_14 Depth=1
	s_or_b64 exec, exec, s[52:53]
.LBB281_40:                             ;   in Loop: Header=BB281_14 Depth=1
	s_or_b64 exec, exec, s[50:51]
.LBB281_41:                             ;   in Loop: Header=BB281_14 Depth=1
	s_or_b64 exec, exec, s[48:49]
	global_load_ushort v32, v[10:11], off offset:256
	v_mov_b32_e32 v31, 0
	s_waitcnt vmcnt(0)
	v_and_b32_e32 v12, 0xffff, v32
	v_cmp_ne_u16_sdwa s[10:11], v32, v15 src0_sel:BYTE_0 src1_sel:DWORD
	v_mov_b32_e32 v32, 0
	s_and_saveexec_b64 s[48:49], s[10:11]
	s_cbranch_execz .LBB281_47
; %bb.42:                               ;   in Loop: Header=BB281_14 Depth=1
	v_cmp_ne_u16_sdwa s[10:11], v12, s62 src0_sel:BYTE_0 src1_sel:DWORD
	v_bfrev_b32_e32 v32, 1
	s_and_saveexec_b64 s[50:51], s[10:11]
	s_cbranch_execz .LBB281_46
; %bb.43:                               ;   in Loop: Header=BB281_14 Depth=1
	v_and_b32_e32 v33, 0x7f, v12
	v_cmp_ne_u32_e64 s[10:11], s63, v33
	v_mov_b32_e32 v32, 0x7fc02000
	s_and_saveexec_b64 s[52:53], s[10:11]
	s_cbranch_execz .LBB281_45
; %bb.44:                               ;   in Loop: Header=BB281_14 Depth=1
	v_and_b32_e32 v32, 7, v12
	v_ffbh_u32_e32 v34, v32
	v_min_u32_e32 v37, 32, v34
	v_subrev_u32_e32 v34, 28, v37
	v_lshlrev_b64 v[34:35], v34, v[12:13]
	v_lshrrev_b32_e32 v36, 3, v33
	v_sub_u32_e32 v35, 29, v37
	v_cmp_gt_u32_e64 s[10:11], 8, v33
	v_and_b32_e32 v34, 7, v34
	v_cndmask_b32_e64 v33, v36, v35, s[10:11]
	v_cndmask_b32_e64 v32, v32, v34, s[10:11]
	v_lshlrev_b32_e32 v34, 8, v12
	v_lshl_add_u32 v33, v33, 10, v23
	v_and_or_b32 v33, v34, s64, v33
	v_lshl_or_b32 v32, v32, 7, v33
	v_cvt_f32_f16_e32 v32, v32
.LBB281_45:                             ;   in Loop: Header=BB281_14 Depth=1
	s_or_b64 exec, exec, s[52:53]
.LBB281_46:                             ;   in Loop: Header=BB281_14 Depth=1
	s_or_b64 exec, exec, s[50:51]
.LBB281_47:                             ;   in Loop: Header=BB281_14 Depth=1
	s_or_b64 exec, exec, s[48:49]
	v_lshrrev_b16_e32 v12, 8, v12
	v_cmp_ne_u16_e64 s[10:11], 0, v12
	s_and_saveexec_b64 s[48:49], s[10:11]
	s_cbranch_execz .LBB281_53
; %bb.48:                               ;   in Loop: Header=BB281_14 Depth=1
	v_cmp_ne_u16_e64 s[10:11], s62, v12
	v_bfrev_b32_e32 v31, 1
	s_and_saveexec_b64 s[50:51], s[10:11]
	s_cbranch_execz .LBB281_52
; %bb.49:                               ;   in Loop: Header=BB281_14 Depth=1
	v_and_b32_e32 v33, 0x7f, v12
	v_cmp_ne_u32_e64 s[10:11], s63, v33
	v_mov_b32_e32 v31, 0x7fc02000
	s_and_saveexec_b64 s[52:53], s[10:11]
	s_cbranch_execz .LBB281_51
; %bb.50:                               ;   in Loop: Header=BB281_14 Depth=1
	v_and_b32_e32 v31, 7, v12
	v_ffbh_u32_e32 v34, v31
	v_min_u32_e32 v37, 32, v34
	v_subrev_u32_e32 v34, 28, v37
	v_lshlrev_b64 v[34:35], v34, v[12:13]
	v_lshrrev_b32_e32 v36, 3, v33
	v_sub_u32_e32 v35, 29, v37
	v_cmp_gt_u32_e64 s[10:11], 8, v33
	v_cndmask_b32_e64 v33, v36, v35, s[10:11]
	v_and_b32_e32 v34, 7, v34
	v_lshlrev_b32_e32 v12, 8, v12
	v_lshl_add_u32 v33, v33, 10, v23
	v_cndmask_b32_e64 v31, v31, v34, s[10:11]
	v_and_or_b32 v12, v12, s64, v33
	v_lshl_or_b32 v12, v31, 7, v12
	v_cvt_f32_f16_e32 v31, v12
.LBB281_51:                             ;   in Loop: Header=BB281_14 Depth=1
	s_or_b64 exec, exec, s[52:53]
.LBB281_52:                             ;   in Loop: Header=BB281_14 Depth=1
	s_or_b64 exec, exec, s[50:51]
.LBB281_53:                             ;   in Loop: Header=BB281_14 Depth=1
	s_or_b64 exec, exec, s[48:49]
	global_load_ushort v34, v[10:11], off offset:264
	v_mov_b32_e32 v33, 0
	s_waitcnt vmcnt(0)
	v_and_b32_e32 v12, 0xffff, v34
	v_cmp_ne_u16_sdwa s[10:11], v34, v15 src0_sel:BYTE_0 src1_sel:DWORD
	v_mov_b32_e32 v34, 0
	s_and_saveexec_b64 s[48:49], s[10:11]
	s_cbranch_execz .LBB281_59
; %bb.54:                               ;   in Loop: Header=BB281_14 Depth=1
	v_cmp_ne_u16_sdwa s[10:11], v12, s62 src0_sel:BYTE_0 src1_sel:DWORD
	v_bfrev_b32_e32 v34, 1
	s_and_saveexec_b64 s[50:51], s[10:11]
	s_cbranch_execz .LBB281_58
; %bb.55:                               ;   in Loop: Header=BB281_14 Depth=1
	v_and_b32_e32 v35, 0x7f, v12
	v_cmp_ne_u32_e64 s[10:11], s63, v35
	v_mov_b32_e32 v34, 0x7fc02000
	s_and_saveexec_b64 s[52:53], s[10:11]
	s_cbranch_execz .LBB281_57
; %bb.56:                               ;   in Loop: Header=BB281_14 Depth=1
	v_and_b32_e32 v34, 7, v12
	v_ffbh_u32_e32 v36, v34
	v_min_u32_e32 v39, 32, v36
	v_subrev_u32_e32 v36, 28, v39
	v_lshlrev_b64 v[36:37], v36, v[12:13]
	v_lshrrev_b32_e32 v38, 3, v35
	v_sub_u32_e32 v37, 29, v39
	v_cmp_gt_u32_e64 s[10:11], 8, v35
	v_and_b32_e32 v36, 7, v36
	v_cndmask_b32_e64 v35, v38, v37, s[10:11]
	v_cndmask_b32_e64 v34, v34, v36, s[10:11]
	v_lshlrev_b32_e32 v36, 8, v12
	v_lshl_add_u32 v35, v35, 10, v23
	v_and_or_b32 v35, v36, s64, v35
	v_lshl_or_b32 v34, v34, 7, v35
	v_cvt_f32_f16_e32 v34, v34
.LBB281_57:                             ;   in Loop: Header=BB281_14 Depth=1
	s_or_b64 exec, exec, s[52:53]
.LBB281_58:                             ;   in Loop: Header=BB281_14 Depth=1
	s_or_b64 exec, exec, s[50:51]
.LBB281_59:                             ;   in Loop: Header=BB281_14 Depth=1
	s_or_b64 exec, exec, s[48:49]
	v_lshrrev_b16_e32 v12, 8, v12
	v_cmp_ne_u16_e64 s[10:11], 0, v12
	s_and_saveexec_b64 s[48:49], s[10:11]
	s_cbranch_execz .LBB281_65
; %bb.60:                               ;   in Loop: Header=BB281_14 Depth=1
	v_cmp_ne_u16_e64 s[10:11], s62, v12
	v_bfrev_b32_e32 v33, 1
	s_and_saveexec_b64 s[50:51], s[10:11]
	s_cbranch_execz .LBB281_64
; %bb.61:                               ;   in Loop: Header=BB281_14 Depth=1
	v_and_b32_e32 v35, 0x7f, v12
	v_cmp_ne_u32_e64 s[10:11], s63, v35
	v_mov_b32_e32 v33, 0x7fc02000
	s_and_saveexec_b64 s[52:53], s[10:11]
	s_cbranch_execz .LBB281_63
; %bb.62:                               ;   in Loop: Header=BB281_14 Depth=1
	v_and_b32_e32 v33, 7, v12
	v_ffbh_u32_e32 v36, v33
	v_min_u32_e32 v39, 32, v36
	v_subrev_u32_e32 v36, 28, v39
	v_lshlrev_b64 v[36:37], v36, v[12:13]
	v_lshrrev_b32_e32 v38, 3, v35
	v_sub_u32_e32 v37, 29, v39
	v_cmp_gt_u32_e64 s[10:11], 8, v35
	v_cndmask_b32_e64 v35, v38, v37, s[10:11]
	v_and_b32_e32 v36, 7, v36
	v_lshlrev_b32_e32 v12, 8, v12
	v_lshl_add_u32 v35, v35, 10, v23
	v_cndmask_b32_e64 v33, v33, v36, s[10:11]
	v_and_or_b32 v12, v12, s64, v35
	v_lshl_or_b32 v12, v33, 7, v12
	v_cvt_f32_f16_e32 v33, v12
.LBB281_63:                             ;   in Loop: Header=BB281_14 Depth=1
	s_or_b64 exec, exec, s[52:53]
.LBB281_64:                             ;   in Loop: Header=BB281_14 Depth=1
	s_or_b64 exec, exec, s[50:51]
.LBB281_65:                             ;   in Loop: Header=BB281_14 Depth=1
	s_or_b64 exec, exec, s[48:49]
	global_load_ushort v36, v[10:11], off offset:512
	v_mov_b32_e32 v35, 0
	s_waitcnt vmcnt(0)
	v_and_b32_e32 v12, 0xffff, v36
	v_cmp_ne_u16_sdwa s[10:11], v36, v15 src0_sel:BYTE_0 src1_sel:DWORD
	v_mov_b32_e32 v36, 0
	s_and_saveexec_b64 s[48:49], s[10:11]
	s_cbranch_execz .LBB281_71
; %bb.66:                               ;   in Loop: Header=BB281_14 Depth=1
	v_cmp_ne_u16_sdwa s[10:11], v12, s62 src0_sel:BYTE_0 src1_sel:DWORD
	v_bfrev_b32_e32 v36, 1
	s_and_saveexec_b64 s[50:51], s[10:11]
	s_cbranch_execz .LBB281_70
; %bb.67:                               ;   in Loop: Header=BB281_14 Depth=1
	v_and_b32_e32 v37, 0x7f, v12
	v_cmp_ne_u32_e64 s[10:11], s63, v37
	v_mov_b32_e32 v36, 0x7fc02000
	s_and_saveexec_b64 s[52:53], s[10:11]
	s_cbranch_execz .LBB281_69
; %bb.68:                               ;   in Loop: Header=BB281_14 Depth=1
	v_and_b32_e32 v36, 7, v12
	v_ffbh_u32_e32 v38, v36
	v_min_u32_e32 v41, 32, v38
	v_subrev_u32_e32 v38, 28, v41
	v_lshlrev_b64 v[38:39], v38, v[12:13]
	v_lshrrev_b32_e32 v40, 3, v37
	v_sub_u32_e32 v39, 29, v41
	v_cmp_gt_u32_e64 s[10:11], 8, v37
	v_and_b32_e32 v38, 7, v38
	v_cndmask_b32_e64 v37, v40, v39, s[10:11]
	v_cndmask_b32_e64 v36, v36, v38, s[10:11]
	v_lshlrev_b32_e32 v38, 8, v12
	v_lshl_add_u32 v37, v37, 10, v23
	v_and_or_b32 v37, v38, s64, v37
	v_lshl_or_b32 v36, v36, 7, v37
	v_cvt_f32_f16_e32 v36, v36
.LBB281_69:                             ;   in Loop: Header=BB281_14 Depth=1
	s_or_b64 exec, exec, s[52:53]
.LBB281_70:                             ;   in Loop: Header=BB281_14 Depth=1
	s_or_b64 exec, exec, s[50:51]
.LBB281_71:                             ;   in Loop: Header=BB281_14 Depth=1
	s_or_b64 exec, exec, s[48:49]
	v_lshrrev_b16_e32 v12, 8, v12
	v_cmp_ne_u16_e64 s[10:11], 0, v12
	s_and_saveexec_b64 s[48:49], s[10:11]
	s_cbranch_execz .LBB281_77
; %bb.72:                               ;   in Loop: Header=BB281_14 Depth=1
	v_cmp_ne_u16_e64 s[10:11], s62, v12
	v_bfrev_b32_e32 v35, 1
	s_and_saveexec_b64 s[50:51], s[10:11]
	s_cbranch_execz .LBB281_76
; %bb.73:                               ;   in Loop: Header=BB281_14 Depth=1
	v_and_b32_e32 v37, 0x7f, v12
	v_cmp_ne_u32_e64 s[10:11], s63, v37
	v_mov_b32_e32 v35, 0x7fc02000
	s_and_saveexec_b64 s[52:53], s[10:11]
	s_cbranch_execz .LBB281_75
; %bb.74:                               ;   in Loop: Header=BB281_14 Depth=1
	v_and_b32_e32 v35, 7, v12
	v_ffbh_u32_e32 v38, v35
	v_min_u32_e32 v41, 32, v38
	v_subrev_u32_e32 v38, 28, v41
	v_lshlrev_b64 v[38:39], v38, v[12:13]
	v_lshrrev_b32_e32 v40, 3, v37
	v_sub_u32_e32 v39, 29, v41
	v_cmp_gt_u32_e64 s[10:11], 8, v37
	v_cndmask_b32_e64 v37, v40, v39, s[10:11]
	v_and_b32_e32 v38, 7, v38
	v_lshlrev_b32_e32 v12, 8, v12
	v_lshl_add_u32 v37, v37, 10, v23
	v_cndmask_b32_e64 v35, v35, v38, s[10:11]
	v_and_or_b32 v12, v12, s64, v37
	v_lshl_or_b32 v12, v35, 7, v12
	v_cvt_f32_f16_e32 v35, v12
.LBB281_75:                             ;   in Loop: Header=BB281_14 Depth=1
	s_or_b64 exec, exec, s[52:53]
.LBB281_76:                             ;   in Loop: Header=BB281_14 Depth=1
	s_or_b64 exec, exec, s[50:51]
.LBB281_77:                             ;   in Loop: Header=BB281_14 Depth=1
	s_or_b64 exec, exec, s[48:49]
	global_load_ushort v38, v[10:11], off offset:520
	v_mov_b32_e32 v37, 0
	s_waitcnt vmcnt(0)
	v_and_b32_e32 v12, 0xffff, v38
	v_cmp_ne_u16_sdwa s[10:11], v38, v15 src0_sel:BYTE_0 src1_sel:DWORD
	v_mov_b32_e32 v38, 0
	s_and_saveexec_b64 s[48:49], s[10:11]
	s_cbranch_execz .LBB281_83
; %bb.78:                               ;   in Loop: Header=BB281_14 Depth=1
	v_cmp_ne_u16_sdwa s[10:11], v12, s62 src0_sel:BYTE_0 src1_sel:DWORD
	v_bfrev_b32_e32 v38, 1
	s_and_saveexec_b64 s[50:51], s[10:11]
	s_cbranch_execz .LBB281_82
; %bb.79:                               ;   in Loop: Header=BB281_14 Depth=1
	v_and_b32_e32 v39, 0x7f, v12
	v_cmp_ne_u32_e64 s[10:11], s63, v39
	v_mov_b32_e32 v38, 0x7fc02000
	s_and_saveexec_b64 s[52:53], s[10:11]
	s_cbranch_execz .LBB281_81
; %bb.80:                               ;   in Loop: Header=BB281_14 Depth=1
	v_and_b32_e32 v38, 7, v12
	v_ffbh_u32_e32 v40, v38
	v_min_u32_e32 v43, 32, v40
	v_subrev_u32_e32 v40, 28, v43
	v_lshlrev_b64 v[40:41], v40, v[12:13]
	v_lshrrev_b32_e32 v42, 3, v39
	v_sub_u32_e32 v41, 29, v43
	v_cmp_gt_u32_e64 s[10:11], 8, v39
	v_and_b32_e32 v40, 7, v40
	v_cndmask_b32_e64 v39, v42, v41, s[10:11]
	v_cndmask_b32_e64 v38, v38, v40, s[10:11]
	v_lshlrev_b32_e32 v40, 8, v12
	v_lshl_add_u32 v39, v39, 10, v23
	v_and_or_b32 v39, v40, s64, v39
	v_lshl_or_b32 v38, v38, 7, v39
	v_cvt_f32_f16_e32 v38, v38
.LBB281_81:                             ;   in Loop: Header=BB281_14 Depth=1
	s_or_b64 exec, exec, s[52:53]
.LBB281_82:                             ;   in Loop: Header=BB281_14 Depth=1
	s_or_b64 exec, exec, s[50:51]
.LBB281_83:                             ;   in Loop: Header=BB281_14 Depth=1
	s_or_b64 exec, exec, s[48:49]
	v_lshrrev_b16_e32 v12, 8, v12
	v_cmp_ne_u16_e64 s[10:11], 0, v12
	s_and_saveexec_b64 s[48:49], s[10:11]
	s_cbranch_execz .LBB281_89
; %bb.84:                               ;   in Loop: Header=BB281_14 Depth=1
	v_cmp_ne_u16_e64 s[10:11], s62, v12
	v_bfrev_b32_e32 v37, 1
	s_and_saveexec_b64 s[50:51], s[10:11]
	s_cbranch_execz .LBB281_88
; %bb.85:                               ;   in Loop: Header=BB281_14 Depth=1
	v_and_b32_e32 v39, 0x7f, v12
	v_cmp_ne_u32_e64 s[10:11], s63, v39
	v_mov_b32_e32 v37, 0x7fc02000
	s_and_saveexec_b64 s[52:53], s[10:11]
	s_cbranch_execz .LBB281_87
; %bb.86:                               ;   in Loop: Header=BB281_14 Depth=1
	v_and_b32_e32 v37, 7, v12
	v_ffbh_u32_e32 v40, v37
	v_min_u32_e32 v43, 32, v40
	v_subrev_u32_e32 v40, 28, v43
	v_lshlrev_b64 v[40:41], v40, v[12:13]
	v_lshrrev_b32_e32 v42, 3, v39
	v_sub_u32_e32 v41, 29, v43
	v_cmp_gt_u32_e64 s[10:11], 8, v39
	v_cndmask_b32_e64 v39, v42, v41, s[10:11]
	v_and_b32_e32 v40, 7, v40
	v_lshlrev_b32_e32 v12, 8, v12
	v_lshl_add_u32 v39, v39, 10, v23
	v_cndmask_b32_e64 v37, v37, v40, s[10:11]
	v_and_or_b32 v12, v12, s64, v39
	v_lshl_or_b32 v12, v37, 7, v12
	v_cvt_f32_f16_e32 v37, v12
.LBB281_87:                             ;   in Loop: Header=BB281_14 Depth=1
	s_or_b64 exec, exec, s[52:53]
.LBB281_88:                             ;   in Loop: Header=BB281_14 Depth=1
	s_or_b64 exec, exec, s[50:51]
.LBB281_89:                             ;   in Loop: Header=BB281_14 Depth=1
	s_or_b64 exec, exec, s[48:49]
	global_load_ushort v40, v[10:11], off offset:768
	v_mov_b32_e32 v39, 0
	s_waitcnt vmcnt(0)
	v_and_b32_e32 v12, 0xffff, v40
	v_cmp_ne_u16_sdwa s[10:11], v40, v15 src0_sel:BYTE_0 src1_sel:DWORD
	v_mov_b32_e32 v40, 0
	s_and_saveexec_b64 s[48:49], s[10:11]
	s_cbranch_execz .LBB281_95
; %bb.90:                               ;   in Loop: Header=BB281_14 Depth=1
	v_cmp_ne_u16_sdwa s[10:11], v12, s62 src0_sel:BYTE_0 src1_sel:DWORD
	v_bfrev_b32_e32 v40, 1
	s_and_saveexec_b64 s[50:51], s[10:11]
	s_cbranch_execz .LBB281_94
; %bb.91:                               ;   in Loop: Header=BB281_14 Depth=1
	v_and_b32_e32 v41, 0x7f, v12
	v_cmp_ne_u32_e64 s[10:11], s63, v41
	v_mov_b32_e32 v40, 0x7fc02000
	s_and_saveexec_b64 s[52:53], s[10:11]
	s_cbranch_execz .LBB281_93
; %bb.92:                               ;   in Loop: Header=BB281_14 Depth=1
	v_and_b32_e32 v40, 7, v12
	v_ffbh_u32_e32 v42, v40
	v_min_u32_e32 v45, 32, v42
	v_subrev_u32_e32 v42, 28, v45
	v_lshlrev_b64 v[42:43], v42, v[12:13]
	v_lshrrev_b32_e32 v44, 3, v41
	v_sub_u32_e32 v43, 29, v45
	v_cmp_gt_u32_e64 s[10:11], 8, v41
	v_and_b32_e32 v42, 7, v42
	v_cndmask_b32_e64 v41, v44, v43, s[10:11]
	v_cndmask_b32_e64 v40, v40, v42, s[10:11]
	v_lshlrev_b32_e32 v42, 8, v12
	v_lshl_add_u32 v41, v41, 10, v23
	v_and_or_b32 v41, v42, s64, v41
	v_lshl_or_b32 v40, v40, 7, v41
	v_cvt_f32_f16_e32 v40, v40
.LBB281_93:                             ;   in Loop: Header=BB281_14 Depth=1
	s_or_b64 exec, exec, s[52:53]
.LBB281_94:                             ;   in Loop: Header=BB281_14 Depth=1
	s_or_b64 exec, exec, s[50:51]
.LBB281_95:                             ;   in Loop: Header=BB281_14 Depth=1
	s_or_b64 exec, exec, s[48:49]
	v_lshrrev_b16_e32 v12, 8, v12
	v_cmp_ne_u16_e64 s[10:11], 0, v12
	s_and_saveexec_b64 s[48:49], s[10:11]
	s_cbranch_execz .LBB281_101
; %bb.96:                               ;   in Loop: Header=BB281_14 Depth=1
	v_cmp_ne_u16_e64 s[10:11], s62, v12
	v_bfrev_b32_e32 v39, 1
	s_and_saveexec_b64 s[50:51], s[10:11]
	s_cbranch_execz .LBB281_100
; %bb.97:                               ;   in Loop: Header=BB281_14 Depth=1
	v_and_b32_e32 v41, 0x7f, v12
	v_cmp_ne_u32_e64 s[10:11], s63, v41
	v_mov_b32_e32 v39, 0x7fc02000
	s_and_saveexec_b64 s[52:53], s[10:11]
	s_cbranch_execz .LBB281_99
; %bb.98:                               ;   in Loop: Header=BB281_14 Depth=1
	v_and_b32_e32 v39, 7, v12
	v_ffbh_u32_e32 v42, v39
	v_min_u32_e32 v45, 32, v42
	v_subrev_u32_e32 v42, 28, v45
	v_lshlrev_b64 v[42:43], v42, v[12:13]
	v_lshrrev_b32_e32 v44, 3, v41
	v_sub_u32_e32 v43, 29, v45
	v_cmp_gt_u32_e64 s[10:11], 8, v41
	v_cndmask_b32_e64 v41, v44, v43, s[10:11]
	v_and_b32_e32 v42, 7, v42
	v_lshlrev_b32_e32 v12, 8, v12
	v_lshl_add_u32 v41, v41, 10, v23
	v_cndmask_b32_e64 v39, v39, v42, s[10:11]
	v_and_or_b32 v12, v12, s64, v41
	v_lshl_or_b32 v12, v39, 7, v12
	v_cvt_f32_f16_e32 v39, v12
.LBB281_99:                             ;   in Loop: Header=BB281_14 Depth=1
	s_or_b64 exec, exec, s[52:53]
.LBB281_100:                            ;   in Loop: Header=BB281_14 Depth=1
	s_or_b64 exec, exec, s[50:51]
.LBB281_101:                            ;   in Loop: Header=BB281_14 Depth=1
	s_or_b64 exec, exec, s[48:49]
	global_load_ushort v42, v[10:11], off offset:776
	v_mov_b32_e32 v41, 0
	s_waitcnt vmcnt(0)
	v_and_b32_e32 v12, 0xffff, v42
	v_cmp_ne_u16_sdwa s[10:11], v42, v15 src0_sel:BYTE_0 src1_sel:DWORD
	v_mov_b32_e32 v42, 0
	s_and_saveexec_b64 s[48:49], s[10:11]
	s_cbranch_execz .LBB281_107
; %bb.102:                              ;   in Loop: Header=BB281_14 Depth=1
	v_cmp_ne_u16_sdwa s[10:11], v12, s62 src0_sel:BYTE_0 src1_sel:DWORD
	v_bfrev_b32_e32 v42, 1
	s_and_saveexec_b64 s[50:51], s[10:11]
	s_cbranch_execz .LBB281_106
; %bb.103:                              ;   in Loop: Header=BB281_14 Depth=1
	v_and_b32_e32 v43, 0x7f, v12
	v_cmp_ne_u32_e64 s[10:11], s63, v43
	v_mov_b32_e32 v42, 0x7fc02000
	s_and_saveexec_b64 s[52:53], s[10:11]
	s_cbranch_execz .LBB281_105
; %bb.104:                              ;   in Loop: Header=BB281_14 Depth=1
	v_and_b32_e32 v42, 7, v12
	v_ffbh_u32_e32 v44, v42
	v_min_u32_e32 v47, 32, v44
	v_subrev_u32_e32 v44, 28, v47
	v_lshlrev_b64 v[44:45], v44, v[12:13]
	v_lshrrev_b32_e32 v46, 3, v43
	v_sub_u32_e32 v45, 29, v47
	v_cmp_gt_u32_e64 s[10:11], 8, v43
	v_and_b32_e32 v44, 7, v44
	v_cndmask_b32_e64 v43, v46, v45, s[10:11]
	v_cndmask_b32_e64 v42, v42, v44, s[10:11]
	v_lshlrev_b32_e32 v44, 8, v12
	v_lshl_add_u32 v43, v43, 10, v23
	v_and_or_b32 v43, v44, s64, v43
	v_lshl_or_b32 v42, v42, 7, v43
	v_cvt_f32_f16_e32 v42, v42
.LBB281_105:                            ;   in Loop: Header=BB281_14 Depth=1
	s_or_b64 exec, exec, s[52:53]
.LBB281_106:                            ;   in Loop: Header=BB281_14 Depth=1
	s_or_b64 exec, exec, s[50:51]
.LBB281_107:                            ;   in Loop: Header=BB281_14 Depth=1
	s_or_b64 exec, exec, s[48:49]
	v_lshrrev_b16_e32 v12, 8, v12
	v_cmp_ne_u16_e64 s[10:11], 0, v12
	s_and_saveexec_b64 s[48:49], s[10:11]
	s_cbranch_execz .LBB281_113
; %bb.108:                              ;   in Loop: Header=BB281_14 Depth=1
	v_cmp_ne_u16_e64 s[10:11], s62, v12
	v_bfrev_b32_e32 v41, 1
	s_and_saveexec_b64 s[50:51], s[10:11]
	s_cbranch_execz .LBB281_112
; %bb.109:                              ;   in Loop: Header=BB281_14 Depth=1
	v_and_b32_e32 v43, 0x7f, v12
	v_cmp_ne_u32_e64 s[10:11], s63, v43
	v_mov_b32_e32 v41, 0x7fc02000
	s_and_saveexec_b64 s[52:53], s[10:11]
	s_cbranch_execz .LBB281_111
; %bb.110:                              ;   in Loop: Header=BB281_14 Depth=1
	v_and_b32_e32 v41, 7, v12
	v_ffbh_u32_e32 v44, v41
	v_min_u32_e32 v47, 32, v44
	v_subrev_u32_e32 v44, 28, v47
	v_lshlrev_b64 v[44:45], v44, v[12:13]
	v_lshrrev_b32_e32 v46, 3, v43
	v_sub_u32_e32 v45, 29, v47
	v_cmp_gt_u32_e64 s[10:11], 8, v43
	v_cndmask_b32_e64 v43, v46, v45, s[10:11]
	v_and_b32_e32 v44, 7, v44
	v_lshlrev_b32_e32 v12, 8, v12
	v_lshl_add_u32 v43, v43, 10, v23
	v_cndmask_b32_e64 v41, v41, v44, s[10:11]
	v_and_or_b32 v12, v12, s64, v43
	v_lshl_or_b32 v12, v41, 7, v12
	v_cvt_f32_f16_e32 v41, v12
.LBB281_111:                            ;   in Loop: Header=BB281_14 Depth=1
	s_or_b64 exec, exec, s[52:53]
.LBB281_112:                            ;   in Loop: Header=BB281_14 Depth=1
	s_or_b64 exec, exec, s[50:51]
.LBB281_113:                            ;   in Loop: Header=BB281_14 Depth=1
	s_or_b64 exec, exec, s[48:49]
	global_load_ushort v44, v[10:11], off offset:1024
	v_mov_b32_e32 v43, 0
	s_waitcnt vmcnt(0)
	v_and_b32_e32 v12, 0xffff, v44
	v_cmp_ne_u16_sdwa s[10:11], v44, v15 src0_sel:BYTE_0 src1_sel:DWORD
	v_mov_b32_e32 v44, 0
	s_and_saveexec_b64 s[48:49], s[10:11]
	s_cbranch_execz .LBB281_119
; %bb.114:                              ;   in Loop: Header=BB281_14 Depth=1
	v_cmp_ne_u16_sdwa s[10:11], v12, s62 src0_sel:BYTE_0 src1_sel:DWORD
	v_bfrev_b32_e32 v44, 1
	s_and_saveexec_b64 s[50:51], s[10:11]
	s_cbranch_execz .LBB281_118
; %bb.115:                              ;   in Loop: Header=BB281_14 Depth=1
	v_and_b32_e32 v45, 0x7f, v12
	v_cmp_ne_u32_e64 s[10:11], s63, v45
	v_mov_b32_e32 v44, 0x7fc02000
	s_and_saveexec_b64 s[52:53], s[10:11]
	s_cbranch_execz .LBB281_117
; %bb.116:                              ;   in Loop: Header=BB281_14 Depth=1
	v_and_b32_e32 v44, 7, v12
	v_ffbh_u32_e32 v46, v44
	v_min_u32_e32 v49, 32, v46
	v_subrev_u32_e32 v46, 28, v49
	v_lshlrev_b64 v[46:47], v46, v[12:13]
	v_lshrrev_b32_e32 v48, 3, v45
	v_sub_u32_e32 v47, 29, v49
	v_cmp_gt_u32_e64 s[10:11], 8, v45
	v_and_b32_e32 v46, 7, v46
	v_cndmask_b32_e64 v45, v48, v47, s[10:11]
	v_cndmask_b32_e64 v44, v44, v46, s[10:11]
	v_lshlrev_b32_e32 v46, 8, v12
	v_lshl_add_u32 v45, v45, 10, v23
	v_and_or_b32 v45, v46, s64, v45
	v_lshl_or_b32 v44, v44, 7, v45
	v_cvt_f32_f16_e32 v44, v44
.LBB281_117:                            ;   in Loop: Header=BB281_14 Depth=1
	s_or_b64 exec, exec, s[52:53]
.LBB281_118:                            ;   in Loop: Header=BB281_14 Depth=1
	s_or_b64 exec, exec, s[50:51]
.LBB281_119:                            ;   in Loop: Header=BB281_14 Depth=1
	s_or_b64 exec, exec, s[48:49]
	v_lshrrev_b16_e32 v12, 8, v12
	v_cmp_ne_u16_e64 s[10:11], 0, v12
	s_and_saveexec_b64 s[48:49], s[10:11]
	s_cbranch_execz .LBB281_125
; %bb.120:                              ;   in Loop: Header=BB281_14 Depth=1
	v_cmp_ne_u16_e64 s[10:11], s62, v12
	v_bfrev_b32_e32 v43, 1
	s_and_saveexec_b64 s[50:51], s[10:11]
	s_cbranch_execz .LBB281_124
; %bb.121:                              ;   in Loop: Header=BB281_14 Depth=1
	v_and_b32_e32 v45, 0x7f, v12
	v_cmp_ne_u32_e64 s[10:11], s63, v45
	v_mov_b32_e32 v43, 0x7fc02000
	s_and_saveexec_b64 s[52:53], s[10:11]
	s_cbranch_execz .LBB281_123
; %bb.122:                              ;   in Loop: Header=BB281_14 Depth=1
	v_and_b32_e32 v43, 7, v12
	v_ffbh_u32_e32 v46, v43
	v_min_u32_e32 v49, 32, v46
	v_subrev_u32_e32 v46, 28, v49
	v_lshlrev_b64 v[46:47], v46, v[12:13]
	v_lshrrev_b32_e32 v48, 3, v45
	v_sub_u32_e32 v47, 29, v49
	v_cmp_gt_u32_e64 s[10:11], 8, v45
	v_cndmask_b32_e64 v45, v48, v47, s[10:11]
	v_and_b32_e32 v46, 7, v46
	v_lshlrev_b32_e32 v12, 8, v12
	v_lshl_add_u32 v45, v45, 10, v23
	v_cndmask_b32_e64 v43, v43, v46, s[10:11]
	v_and_or_b32 v12, v12, s64, v45
	v_lshl_or_b32 v12, v43, 7, v12
	v_cvt_f32_f16_e32 v43, v12
.LBB281_123:                            ;   in Loop: Header=BB281_14 Depth=1
	s_or_b64 exec, exec, s[52:53]
.LBB281_124:                            ;   in Loop: Header=BB281_14 Depth=1
	s_or_b64 exec, exec, s[50:51]
.LBB281_125:                            ;   in Loop: Header=BB281_14 Depth=1
	s_or_b64 exec, exec, s[48:49]
	global_load_ushort v46, v[10:11], off offset:1032
	v_mov_b32_e32 v45, 0
	s_waitcnt vmcnt(0)
	v_and_b32_e32 v12, 0xffff, v46
	v_cmp_ne_u16_sdwa s[10:11], v46, v15 src0_sel:BYTE_0 src1_sel:DWORD
	v_mov_b32_e32 v46, 0
	s_and_saveexec_b64 s[48:49], s[10:11]
	s_cbranch_execz .LBB281_131
; %bb.126:                              ;   in Loop: Header=BB281_14 Depth=1
	v_cmp_ne_u16_sdwa s[10:11], v12, s62 src0_sel:BYTE_0 src1_sel:DWORD
	v_bfrev_b32_e32 v46, 1
	s_and_saveexec_b64 s[50:51], s[10:11]
	s_cbranch_execz .LBB281_130
; %bb.127:                              ;   in Loop: Header=BB281_14 Depth=1
	v_and_b32_e32 v47, 0x7f, v12
	v_cmp_ne_u32_e64 s[10:11], s63, v47
	v_mov_b32_e32 v46, 0x7fc02000
	s_and_saveexec_b64 s[52:53], s[10:11]
	s_cbranch_execz .LBB281_129
; %bb.128:                              ;   in Loop: Header=BB281_14 Depth=1
	v_and_b32_e32 v46, 7, v12
	v_ffbh_u32_e32 v48, v46
	v_min_u32_e32 v51, 32, v48
	v_subrev_u32_e32 v48, 28, v51
	v_lshlrev_b64 v[48:49], v48, v[12:13]
	v_lshrrev_b32_e32 v50, 3, v47
	v_sub_u32_e32 v49, 29, v51
	v_cmp_gt_u32_e64 s[10:11], 8, v47
	v_and_b32_e32 v48, 7, v48
	v_cndmask_b32_e64 v47, v50, v49, s[10:11]
	v_cndmask_b32_e64 v46, v46, v48, s[10:11]
	v_lshlrev_b32_e32 v48, 8, v12
	v_lshl_add_u32 v47, v47, 10, v23
	v_and_or_b32 v47, v48, s64, v47
	v_lshl_or_b32 v46, v46, 7, v47
	v_cvt_f32_f16_e32 v46, v46
.LBB281_129:                            ;   in Loop: Header=BB281_14 Depth=1
	s_or_b64 exec, exec, s[52:53]
.LBB281_130:                            ;   in Loop: Header=BB281_14 Depth=1
	s_or_b64 exec, exec, s[50:51]
.LBB281_131:                            ;   in Loop: Header=BB281_14 Depth=1
	s_or_b64 exec, exec, s[48:49]
	v_lshrrev_b16_e32 v12, 8, v12
	v_cmp_ne_u16_e64 s[10:11], 0, v12
	s_and_saveexec_b64 s[48:49], s[10:11]
	s_cbranch_execz .LBB281_137
; %bb.132:                              ;   in Loop: Header=BB281_14 Depth=1
	v_cmp_ne_u16_e64 s[10:11], s62, v12
	v_bfrev_b32_e32 v45, 1
	s_and_saveexec_b64 s[50:51], s[10:11]
	s_cbranch_execz .LBB281_136
; %bb.133:                              ;   in Loop: Header=BB281_14 Depth=1
	v_and_b32_e32 v47, 0x7f, v12
	v_cmp_ne_u32_e64 s[10:11], s63, v47
	v_mov_b32_e32 v45, 0x7fc02000
	s_and_saveexec_b64 s[52:53], s[10:11]
	s_cbranch_execz .LBB281_135
; %bb.134:                              ;   in Loop: Header=BB281_14 Depth=1
	v_and_b32_e32 v45, 7, v12
	v_ffbh_u32_e32 v48, v45
	v_min_u32_e32 v51, 32, v48
	v_subrev_u32_e32 v48, 28, v51
	v_lshlrev_b64 v[48:49], v48, v[12:13]
	v_lshrrev_b32_e32 v50, 3, v47
	v_sub_u32_e32 v49, 29, v51
	v_cmp_gt_u32_e64 s[10:11], 8, v47
	v_cndmask_b32_e64 v47, v50, v49, s[10:11]
	v_and_b32_e32 v48, 7, v48
	v_lshlrev_b32_e32 v12, 8, v12
	v_lshl_add_u32 v47, v47, 10, v23
	v_cndmask_b32_e64 v45, v45, v48, s[10:11]
	v_and_or_b32 v12, v12, s64, v47
	v_lshl_or_b32 v12, v45, 7, v12
	v_cvt_f32_f16_e32 v45, v12
.LBB281_135:                            ;   in Loop: Header=BB281_14 Depth=1
	s_or_b64 exec, exec, s[52:53]
.LBB281_136:                            ;   in Loop: Header=BB281_14 Depth=1
	s_or_b64 exec, exec, s[50:51]
.LBB281_137:                            ;   in Loop: Header=BB281_14 Depth=1
	s_or_b64 exec, exec, s[48:49]
	global_load_ushort v48, v[10:11], off offset:1280
	v_mov_b32_e32 v47, 0
	s_waitcnt vmcnt(0)
	v_and_b32_e32 v12, 0xffff, v48
	v_cmp_ne_u16_sdwa s[10:11], v48, v15 src0_sel:BYTE_0 src1_sel:DWORD
	v_mov_b32_e32 v48, 0
	s_and_saveexec_b64 s[48:49], s[10:11]
	s_cbranch_execz .LBB281_143
; %bb.138:                              ;   in Loop: Header=BB281_14 Depth=1
	v_cmp_ne_u16_sdwa s[10:11], v12, s62 src0_sel:BYTE_0 src1_sel:DWORD
	v_bfrev_b32_e32 v48, 1
	s_and_saveexec_b64 s[50:51], s[10:11]
	s_cbranch_execz .LBB281_142
; %bb.139:                              ;   in Loop: Header=BB281_14 Depth=1
	v_and_b32_e32 v49, 0x7f, v12
	v_cmp_ne_u32_e64 s[10:11], s63, v49
	v_mov_b32_e32 v48, 0x7fc02000
	s_and_saveexec_b64 s[52:53], s[10:11]
	s_cbranch_execz .LBB281_141
; %bb.140:                              ;   in Loop: Header=BB281_14 Depth=1
	v_and_b32_e32 v48, 7, v12
	v_ffbh_u32_e32 v50, v48
	v_min_u32_e32 v53, 32, v50
	v_subrev_u32_e32 v50, 28, v53
	v_lshlrev_b64 v[50:51], v50, v[12:13]
	v_lshrrev_b32_e32 v52, 3, v49
	v_sub_u32_e32 v51, 29, v53
	v_cmp_gt_u32_e64 s[10:11], 8, v49
	v_and_b32_e32 v50, 7, v50
	v_cndmask_b32_e64 v49, v52, v51, s[10:11]
	v_cndmask_b32_e64 v48, v48, v50, s[10:11]
	v_lshlrev_b32_e32 v50, 8, v12
	v_lshl_add_u32 v49, v49, 10, v23
	v_and_or_b32 v49, v50, s64, v49
	v_lshl_or_b32 v48, v48, 7, v49
	v_cvt_f32_f16_e32 v48, v48
.LBB281_141:                            ;   in Loop: Header=BB281_14 Depth=1
	s_or_b64 exec, exec, s[52:53]
.LBB281_142:                            ;   in Loop: Header=BB281_14 Depth=1
	s_or_b64 exec, exec, s[50:51]
.LBB281_143:                            ;   in Loop: Header=BB281_14 Depth=1
	s_or_b64 exec, exec, s[48:49]
	v_lshrrev_b16_e32 v12, 8, v12
	v_cmp_ne_u16_e64 s[10:11], 0, v12
	s_and_saveexec_b64 s[48:49], s[10:11]
	s_cbranch_execz .LBB281_149
; %bb.144:                              ;   in Loop: Header=BB281_14 Depth=1
	v_cmp_ne_u16_e64 s[10:11], s62, v12
	v_bfrev_b32_e32 v47, 1
	s_and_saveexec_b64 s[50:51], s[10:11]
	s_cbranch_execz .LBB281_148
; %bb.145:                              ;   in Loop: Header=BB281_14 Depth=1
	v_and_b32_e32 v49, 0x7f, v12
	v_cmp_ne_u32_e64 s[10:11], s63, v49
	v_mov_b32_e32 v47, 0x7fc02000
	s_and_saveexec_b64 s[52:53], s[10:11]
	s_cbranch_execz .LBB281_147
; %bb.146:                              ;   in Loop: Header=BB281_14 Depth=1
	v_and_b32_e32 v47, 7, v12
	v_ffbh_u32_e32 v50, v47
	v_min_u32_e32 v53, 32, v50
	v_subrev_u32_e32 v50, 28, v53
	v_lshlrev_b64 v[50:51], v50, v[12:13]
	v_lshrrev_b32_e32 v52, 3, v49
	v_sub_u32_e32 v51, 29, v53
	v_cmp_gt_u32_e64 s[10:11], 8, v49
	v_cndmask_b32_e64 v49, v52, v51, s[10:11]
	v_and_b32_e32 v50, 7, v50
	v_lshlrev_b32_e32 v12, 8, v12
	v_lshl_add_u32 v49, v49, 10, v23
	v_cndmask_b32_e64 v47, v47, v50, s[10:11]
	v_and_or_b32 v12, v12, s64, v49
	v_lshl_or_b32 v12, v47, 7, v12
	v_cvt_f32_f16_e32 v47, v12
.LBB281_147:                            ;   in Loop: Header=BB281_14 Depth=1
	s_or_b64 exec, exec, s[52:53]
.LBB281_148:                            ;   in Loop: Header=BB281_14 Depth=1
	s_or_b64 exec, exec, s[50:51]
.LBB281_149:                            ;   in Loop: Header=BB281_14 Depth=1
	s_or_b64 exec, exec, s[48:49]
	global_load_ushort v50, v[10:11], off offset:1288
	v_mov_b32_e32 v49, 0
	s_waitcnt vmcnt(0)
	v_and_b32_e32 v12, 0xffff, v50
	v_cmp_ne_u16_sdwa s[10:11], v50, v15 src0_sel:BYTE_0 src1_sel:DWORD
	v_mov_b32_e32 v50, 0
	s_and_saveexec_b64 s[48:49], s[10:11]
	s_cbranch_execz .LBB281_155
; %bb.150:                              ;   in Loop: Header=BB281_14 Depth=1
	v_cmp_ne_u16_sdwa s[10:11], v12, s62 src0_sel:BYTE_0 src1_sel:DWORD
	v_bfrev_b32_e32 v50, 1
	s_and_saveexec_b64 s[50:51], s[10:11]
	s_cbranch_execz .LBB281_154
; %bb.151:                              ;   in Loop: Header=BB281_14 Depth=1
	v_and_b32_e32 v51, 0x7f, v12
	v_cmp_ne_u32_e64 s[10:11], s63, v51
	v_mov_b32_e32 v50, 0x7fc02000
	s_and_saveexec_b64 s[52:53], s[10:11]
	s_cbranch_execz .LBB281_153
; %bb.152:                              ;   in Loop: Header=BB281_14 Depth=1
	v_and_b32_e32 v50, 7, v12
	v_ffbh_u32_e32 v52, v50
	v_min_u32_e32 v55, 32, v52
	v_subrev_u32_e32 v52, 28, v55
	v_lshlrev_b64 v[52:53], v52, v[12:13]
	v_lshrrev_b32_e32 v54, 3, v51
	v_sub_u32_e32 v53, 29, v55
	v_cmp_gt_u32_e64 s[10:11], 8, v51
	v_and_b32_e32 v52, 7, v52
	v_cndmask_b32_e64 v51, v54, v53, s[10:11]
	v_cndmask_b32_e64 v50, v50, v52, s[10:11]
	v_lshlrev_b32_e32 v52, 8, v12
	v_lshl_add_u32 v51, v51, 10, v23
	v_and_or_b32 v51, v52, s64, v51
	v_lshl_or_b32 v50, v50, 7, v51
	v_cvt_f32_f16_e32 v50, v50
.LBB281_153:                            ;   in Loop: Header=BB281_14 Depth=1
	s_or_b64 exec, exec, s[52:53]
.LBB281_154:                            ;   in Loop: Header=BB281_14 Depth=1
	s_or_b64 exec, exec, s[50:51]
.LBB281_155:                            ;   in Loop: Header=BB281_14 Depth=1
	s_or_b64 exec, exec, s[48:49]
	v_lshrrev_b16_e32 v12, 8, v12
	v_cmp_ne_u16_e64 s[10:11], 0, v12
	s_and_saveexec_b64 s[48:49], s[10:11]
	s_cbranch_execz .LBB281_161
; %bb.156:                              ;   in Loop: Header=BB281_14 Depth=1
	v_cmp_ne_u16_e64 s[10:11], s62, v12
	v_bfrev_b32_e32 v49, 1
	s_and_saveexec_b64 s[50:51], s[10:11]
	s_cbranch_execz .LBB281_160
; %bb.157:                              ;   in Loop: Header=BB281_14 Depth=1
	v_and_b32_e32 v51, 0x7f, v12
	v_cmp_ne_u32_e64 s[10:11], s63, v51
	v_mov_b32_e32 v49, 0x7fc02000
	s_and_saveexec_b64 s[52:53], s[10:11]
	s_cbranch_execz .LBB281_159
; %bb.158:                              ;   in Loop: Header=BB281_14 Depth=1
	v_and_b32_e32 v49, 7, v12
	v_ffbh_u32_e32 v52, v49
	v_min_u32_e32 v55, 32, v52
	v_subrev_u32_e32 v52, 28, v55
	v_lshlrev_b64 v[52:53], v52, v[12:13]
	v_lshrrev_b32_e32 v54, 3, v51
	v_sub_u32_e32 v53, 29, v55
	v_cmp_gt_u32_e64 s[10:11], 8, v51
	v_cndmask_b32_e64 v51, v54, v53, s[10:11]
	v_and_b32_e32 v52, 7, v52
	v_lshlrev_b32_e32 v12, 8, v12
	v_lshl_add_u32 v51, v51, 10, v23
	v_cndmask_b32_e64 v49, v49, v52, s[10:11]
	v_and_or_b32 v12, v12, s64, v51
	v_lshl_or_b32 v12, v49, 7, v12
	v_cvt_f32_f16_e32 v49, v12
.LBB281_159:                            ;   in Loop: Header=BB281_14 Depth=1
	s_or_b64 exec, exec, s[52:53]
.LBB281_160:                            ;   in Loop: Header=BB281_14 Depth=1
	s_or_b64 exec, exec, s[50:51]
.LBB281_161:                            ;   in Loop: Header=BB281_14 Depth=1
	s_or_b64 exec, exec, s[48:49]
	global_load_ushort v52, v[10:11], off offset:1536
	v_mov_b32_e32 v51, 0
	s_waitcnt vmcnt(0)
	v_and_b32_e32 v12, 0xffff, v52
	v_cmp_ne_u16_sdwa s[10:11], v52, v15 src0_sel:BYTE_0 src1_sel:DWORD
	v_mov_b32_e32 v52, 0
	s_and_saveexec_b64 s[48:49], s[10:11]
	s_cbranch_execz .LBB281_167
; %bb.162:                              ;   in Loop: Header=BB281_14 Depth=1
	v_cmp_ne_u16_sdwa s[10:11], v12, s62 src0_sel:BYTE_0 src1_sel:DWORD
	v_bfrev_b32_e32 v52, 1
	s_and_saveexec_b64 s[50:51], s[10:11]
	s_cbranch_execz .LBB281_166
; %bb.163:                              ;   in Loop: Header=BB281_14 Depth=1
	v_and_b32_e32 v53, 0x7f, v12
	v_cmp_ne_u32_e64 s[10:11], s63, v53
	v_mov_b32_e32 v52, 0x7fc02000
	s_and_saveexec_b64 s[52:53], s[10:11]
	s_cbranch_execz .LBB281_165
; %bb.164:                              ;   in Loop: Header=BB281_14 Depth=1
	v_and_b32_e32 v52, 7, v12
	v_ffbh_u32_e32 v54, v52
	v_min_u32_e32 v57, 32, v54
	v_subrev_u32_e32 v54, 28, v57
	v_lshlrev_b64 v[54:55], v54, v[12:13]
	v_lshrrev_b32_e32 v56, 3, v53
	v_sub_u32_e32 v55, 29, v57
	v_cmp_gt_u32_e64 s[10:11], 8, v53
	v_and_b32_e32 v54, 7, v54
	v_cndmask_b32_e64 v53, v56, v55, s[10:11]
	v_cndmask_b32_e64 v52, v52, v54, s[10:11]
	v_lshlrev_b32_e32 v54, 8, v12
	v_lshl_add_u32 v53, v53, 10, v23
	v_and_or_b32 v53, v54, s64, v53
	v_lshl_or_b32 v52, v52, 7, v53
	v_cvt_f32_f16_e32 v52, v52
.LBB281_165:                            ;   in Loop: Header=BB281_14 Depth=1
	s_or_b64 exec, exec, s[52:53]
.LBB281_166:                            ;   in Loop: Header=BB281_14 Depth=1
	s_or_b64 exec, exec, s[50:51]
.LBB281_167:                            ;   in Loop: Header=BB281_14 Depth=1
	s_or_b64 exec, exec, s[48:49]
	v_lshrrev_b16_e32 v12, 8, v12
	v_cmp_ne_u16_e64 s[10:11], 0, v12
	s_and_saveexec_b64 s[48:49], s[10:11]
	s_cbranch_execz .LBB281_173
; %bb.168:                              ;   in Loop: Header=BB281_14 Depth=1
	v_cmp_ne_u16_e64 s[10:11], s62, v12
	v_bfrev_b32_e32 v51, 1
	s_and_saveexec_b64 s[50:51], s[10:11]
	s_cbranch_execz .LBB281_172
; %bb.169:                              ;   in Loop: Header=BB281_14 Depth=1
	v_and_b32_e32 v53, 0x7f, v12
	v_cmp_ne_u32_e64 s[10:11], s63, v53
	v_mov_b32_e32 v51, 0x7fc02000
	s_and_saveexec_b64 s[52:53], s[10:11]
	s_cbranch_execz .LBB281_171
; %bb.170:                              ;   in Loop: Header=BB281_14 Depth=1
	v_and_b32_e32 v51, 7, v12
	v_ffbh_u32_e32 v54, v51
	v_min_u32_e32 v57, 32, v54
	v_subrev_u32_e32 v54, 28, v57
	v_lshlrev_b64 v[54:55], v54, v[12:13]
	v_lshrrev_b32_e32 v56, 3, v53
	v_sub_u32_e32 v55, 29, v57
	v_cmp_gt_u32_e64 s[10:11], 8, v53
	v_cndmask_b32_e64 v53, v56, v55, s[10:11]
	v_and_b32_e32 v54, 7, v54
	v_lshlrev_b32_e32 v12, 8, v12
	v_lshl_add_u32 v53, v53, 10, v23
	v_cndmask_b32_e64 v51, v51, v54, s[10:11]
	v_and_or_b32 v12, v12, s64, v53
	v_lshl_or_b32 v12, v51, 7, v12
	v_cvt_f32_f16_e32 v51, v12
.LBB281_171:                            ;   in Loop: Header=BB281_14 Depth=1
	s_or_b64 exec, exec, s[52:53]
.LBB281_172:                            ;   in Loop: Header=BB281_14 Depth=1
	s_or_b64 exec, exec, s[50:51]
.LBB281_173:                            ;   in Loop: Header=BB281_14 Depth=1
	s_or_b64 exec, exec, s[48:49]
	global_load_ushort v54, v[10:11], off offset:1544
	v_mov_b32_e32 v53, 0
	s_waitcnt vmcnt(0)
	v_and_b32_e32 v12, 0xffff, v54
	v_cmp_ne_u16_sdwa s[10:11], v54, v15 src0_sel:BYTE_0 src1_sel:DWORD
	v_mov_b32_e32 v54, 0
	s_and_saveexec_b64 s[48:49], s[10:11]
	s_cbranch_execz .LBB281_179
; %bb.174:                              ;   in Loop: Header=BB281_14 Depth=1
	v_cmp_ne_u16_sdwa s[10:11], v12, s62 src0_sel:BYTE_0 src1_sel:DWORD
	v_bfrev_b32_e32 v54, 1
	s_and_saveexec_b64 s[50:51], s[10:11]
	s_cbranch_execz .LBB281_178
; %bb.175:                              ;   in Loop: Header=BB281_14 Depth=1
	v_and_b32_e32 v55, 0x7f, v12
	v_cmp_ne_u32_e64 s[10:11], s63, v55
	v_mov_b32_e32 v54, 0x7fc02000
	s_and_saveexec_b64 s[52:53], s[10:11]
	s_cbranch_execz .LBB281_177
; %bb.176:                              ;   in Loop: Header=BB281_14 Depth=1
	v_and_b32_e32 v54, 7, v12
	v_ffbh_u32_e32 v56, v54
	v_min_u32_e32 v59, 32, v56
	v_subrev_u32_e32 v56, 28, v59
	v_lshlrev_b64 v[56:57], v56, v[12:13]
	v_lshrrev_b32_e32 v58, 3, v55
	v_sub_u32_e32 v57, 29, v59
	v_cmp_gt_u32_e64 s[10:11], 8, v55
	v_and_b32_e32 v56, 7, v56
	v_cndmask_b32_e64 v55, v58, v57, s[10:11]
	v_cndmask_b32_e64 v54, v54, v56, s[10:11]
	v_lshlrev_b32_e32 v56, 8, v12
	v_lshl_add_u32 v55, v55, 10, v23
	v_and_or_b32 v55, v56, s64, v55
	v_lshl_or_b32 v54, v54, 7, v55
	v_cvt_f32_f16_e32 v54, v54
.LBB281_177:                            ;   in Loop: Header=BB281_14 Depth=1
	s_or_b64 exec, exec, s[52:53]
.LBB281_178:                            ;   in Loop: Header=BB281_14 Depth=1
	s_or_b64 exec, exec, s[50:51]
.LBB281_179:                            ;   in Loop: Header=BB281_14 Depth=1
	s_or_b64 exec, exec, s[48:49]
	v_lshrrev_b16_e32 v12, 8, v12
	v_cmp_ne_u16_e64 s[10:11], 0, v12
	s_and_saveexec_b64 s[48:49], s[10:11]
	s_cbranch_execz .LBB281_185
; %bb.180:                              ;   in Loop: Header=BB281_14 Depth=1
	v_cmp_ne_u16_e64 s[10:11], s62, v12
	v_bfrev_b32_e32 v53, 1
	s_and_saveexec_b64 s[50:51], s[10:11]
	s_cbranch_execz .LBB281_184
; %bb.181:                              ;   in Loop: Header=BB281_14 Depth=1
	v_and_b32_e32 v55, 0x7f, v12
	v_cmp_ne_u32_e64 s[10:11], s63, v55
	v_mov_b32_e32 v53, 0x7fc02000
	s_and_saveexec_b64 s[52:53], s[10:11]
	s_cbranch_execz .LBB281_183
; %bb.182:                              ;   in Loop: Header=BB281_14 Depth=1
	v_and_b32_e32 v53, 7, v12
	v_ffbh_u32_e32 v56, v53
	v_min_u32_e32 v59, 32, v56
	v_subrev_u32_e32 v56, 28, v59
	v_lshlrev_b64 v[56:57], v56, v[12:13]
	v_lshrrev_b32_e32 v58, 3, v55
	v_sub_u32_e32 v57, 29, v59
	v_cmp_gt_u32_e64 s[10:11], 8, v55
	v_cndmask_b32_e64 v55, v58, v57, s[10:11]
	v_and_b32_e32 v56, 7, v56
	v_lshlrev_b32_e32 v12, 8, v12
	v_lshl_add_u32 v55, v55, 10, v23
	v_cndmask_b32_e64 v53, v53, v56, s[10:11]
	v_and_or_b32 v12, v12, s64, v55
	v_lshl_or_b32 v12, v53, 7, v12
	v_cvt_f32_f16_e32 v53, v12
.LBB281_183:                            ;   in Loop: Header=BB281_14 Depth=1
	s_or_b64 exec, exec, s[52:53]
.LBB281_184:                            ;   in Loop: Header=BB281_14 Depth=1
	s_or_b64 exec, exec, s[50:51]
.LBB281_185:                            ;   in Loop: Header=BB281_14 Depth=1
	s_or_b64 exec, exec, s[48:49]
	global_load_ushort v56, v[10:11], off offset:1792
	v_mov_b32_e32 v55, 0
	s_waitcnt vmcnt(0)
	v_and_b32_e32 v12, 0xffff, v56
	v_cmp_ne_u16_sdwa s[10:11], v56, v15 src0_sel:BYTE_0 src1_sel:DWORD
	v_mov_b32_e32 v56, 0
	s_and_saveexec_b64 s[48:49], s[10:11]
	s_cbranch_execz .LBB281_191
; %bb.186:                              ;   in Loop: Header=BB281_14 Depth=1
	v_cmp_ne_u16_sdwa s[10:11], v12, s62 src0_sel:BYTE_0 src1_sel:DWORD
	v_bfrev_b32_e32 v56, 1
	s_and_saveexec_b64 s[50:51], s[10:11]
	s_cbranch_execz .LBB281_190
; %bb.187:                              ;   in Loop: Header=BB281_14 Depth=1
	v_and_b32_e32 v57, 0x7f, v12
	v_cmp_ne_u32_e64 s[10:11], s63, v57
	v_mov_b32_e32 v56, 0x7fc02000
	s_and_saveexec_b64 s[52:53], s[10:11]
	s_cbranch_execz .LBB281_189
; %bb.188:                              ;   in Loop: Header=BB281_14 Depth=1
	v_and_b32_e32 v56, 7, v12
	v_ffbh_u32_e32 v58, v56
	v_min_u32_e32 v61, 32, v58
	v_subrev_u32_e32 v58, 28, v61
	v_lshlrev_b64 v[58:59], v58, v[12:13]
	v_lshrrev_b32_e32 v60, 3, v57
	v_sub_u32_e32 v59, 29, v61
	v_cmp_gt_u32_e64 s[10:11], 8, v57
	v_and_b32_e32 v58, 7, v58
	v_cndmask_b32_e64 v57, v60, v59, s[10:11]
	v_cndmask_b32_e64 v56, v56, v58, s[10:11]
	v_lshlrev_b32_e32 v58, 8, v12
	v_lshl_add_u32 v57, v57, 10, v23
	v_and_or_b32 v57, v58, s64, v57
	v_lshl_or_b32 v56, v56, 7, v57
	v_cvt_f32_f16_e32 v56, v56
.LBB281_189:                            ;   in Loop: Header=BB281_14 Depth=1
	s_or_b64 exec, exec, s[52:53]
.LBB281_190:                            ;   in Loop: Header=BB281_14 Depth=1
	s_or_b64 exec, exec, s[50:51]
.LBB281_191:                            ;   in Loop: Header=BB281_14 Depth=1
	s_or_b64 exec, exec, s[48:49]
	v_lshrrev_b16_e32 v12, 8, v12
	v_cmp_ne_u16_e64 s[10:11], 0, v12
	s_and_saveexec_b64 s[48:49], s[10:11]
	s_cbranch_execz .LBB281_197
; %bb.192:                              ;   in Loop: Header=BB281_14 Depth=1
	v_cmp_ne_u16_e64 s[10:11], s62, v12
	v_bfrev_b32_e32 v55, 1
	s_and_saveexec_b64 s[50:51], s[10:11]
	s_cbranch_execz .LBB281_196
; %bb.193:                              ;   in Loop: Header=BB281_14 Depth=1
	v_and_b32_e32 v57, 0x7f, v12
	v_cmp_ne_u32_e64 s[10:11], s63, v57
	v_mov_b32_e32 v55, 0x7fc02000
	s_and_saveexec_b64 s[52:53], s[10:11]
	s_cbranch_execz .LBB281_195
; %bb.194:                              ;   in Loop: Header=BB281_14 Depth=1
	v_and_b32_e32 v55, 7, v12
	v_ffbh_u32_e32 v58, v55
	v_min_u32_e32 v61, 32, v58
	v_subrev_u32_e32 v58, 28, v61
	v_lshlrev_b64 v[58:59], v58, v[12:13]
	v_lshrrev_b32_e32 v60, 3, v57
	v_sub_u32_e32 v59, 29, v61
	v_cmp_gt_u32_e64 s[10:11], 8, v57
	v_cndmask_b32_e64 v57, v60, v59, s[10:11]
	v_and_b32_e32 v58, 7, v58
	v_lshlrev_b32_e32 v12, 8, v12
	v_lshl_add_u32 v57, v57, 10, v23
	v_cndmask_b32_e64 v55, v55, v58, s[10:11]
	v_and_or_b32 v12, v12, s64, v57
	v_lshl_or_b32 v12, v55, 7, v12
	v_cvt_f32_f16_e32 v55, v12
.LBB281_195:                            ;   in Loop: Header=BB281_14 Depth=1
	s_or_b64 exec, exec, s[52:53]
.LBB281_196:                            ;   in Loop: Header=BB281_14 Depth=1
	s_or_b64 exec, exec, s[50:51]
.LBB281_197:                            ;   in Loop: Header=BB281_14 Depth=1
	s_or_b64 exec, exec, s[48:49]
	global_load_ushort v12, v[10:11], off offset:1800
	v_mov_b32_e32 v11, 0
	s_waitcnt vmcnt(0)
	v_and_b32_e32 v10, 0xffff, v12
	v_cmp_ne_u16_sdwa s[10:11], v12, v15 src0_sel:BYTE_0 src1_sel:DWORD
	v_mov_b32_e32 v12, 0
	s_and_saveexec_b64 s[48:49], s[10:11]
	s_cbranch_execz .LBB281_203
; %bb.198:                              ;   in Loop: Header=BB281_14 Depth=1
	v_cmp_ne_u16_sdwa s[10:11], v10, s62 src0_sel:BYTE_0 src1_sel:DWORD
	v_bfrev_b32_e32 v12, 1
	s_and_saveexec_b64 s[50:51], s[10:11]
	s_cbranch_execz .LBB281_202
; %bb.199:                              ;   in Loop: Header=BB281_14 Depth=1
	v_and_b32_e32 v57, 0x7f, v10
	v_cmp_ne_u32_e64 s[10:11], s63, v57
	v_mov_b32_e32 v12, 0x7fc02000
	s_and_saveexec_b64 s[52:53], s[10:11]
	s_cbranch_execz .LBB281_201
; %bb.200:                              ;   in Loop: Header=BB281_14 Depth=1
	v_and_b32_e32 v12, 7, v10
	v_ffbh_u32_e32 v58, v12
	v_min_u32_e32 v61, 32, v58
	v_subrev_u32_e32 v58, 28, v61
	v_lshlrev_b64 v[58:59], v58, v[10:11]
	v_lshrrev_b32_e32 v60, 3, v57
	v_sub_u32_e32 v59, 29, v61
	v_cmp_gt_u32_e64 s[10:11], 8, v57
	v_and_b32_e32 v58, 7, v58
	v_cndmask_b32_e64 v57, v60, v59, s[10:11]
	v_cndmask_b32_e64 v12, v12, v58, s[10:11]
	v_lshlrev_b32_e32 v58, 8, v10
	v_lshl_add_u32 v57, v57, 10, v23
	v_and_or_b32 v57, v58, s64, v57
	v_lshl_or_b32 v12, v12, 7, v57
	v_cvt_f32_f16_e32 v12, v12
.LBB281_201:                            ;   in Loop: Header=BB281_14 Depth=1
	s_or_b64 exec, exec, s[52:53]
.LBB281_202:                            ;   in Loop: Header=BB281_14 Depth=1
	s_or_b64 exec, exec, s[50:51]
.LBB281_203:                            ;   in Loop: Header=BB281_14 Depth=1
	s_or_b64 exec, exec, s[48:49]
	v_lshrrev_b16_e32 v10, 8, v10
	v_cmp_ne_u16_e64 s[10:11], 0, v10
	s_and_saveexec_b64 s[48:49], s[10:11]
	s_cbranch_execz .LBB281_209
; %bb.204:                              ;   in Loop: Header=BB281_14 Depth=1
	v_cmp_ne_u16_e64 s[10:11], s62, v10
	v_bfrev_b32_e32 v11, 1
	s_and_saveexec_b64 s[50:51], s[10:11]
	s_cbranch_execz .LBB281_208
; %bb.205:                              ;   in Loop: Header=BB281_14 Depth=1
	v_and_b32_e32 v57, 0x7f, v10
	v_cmp_ne_u32_e64 s[10:11], s63, v57
	v_mov_b32_e32 v11, 0x7fc02000
	s_and_saveexec_b64 s[52:53], s[10:11]
	s_cbranch_execz .LBB281_207
; %bb.206:                              ;   in Loop: Header=BB281_14 Depth=1
	v_and_b32_e32 v11, 7, v10
	v_ffbh_u32_e32 v58, v11
	v_min_u32_e32 v61, 32, v58
	v_subrev_u32_e32 v58, 28, v61
	v_lshlrev_b64 v[58:59], v58, v[10:11]
	v_lshrrev_b32_e32 v60, 3, v57
	v_sub_u32_e32 v59, 29, v61
	v_cmp_gt_u32_e64 s[10:11], 8, v57
	v_cndmask_b32_e64 v57, v60, v59, s[10:11]
	v_and_b32_e32 v58, 7, v58
	v_lshlrev_b32_e32 v10, 8, v10
	v_lshl_add_u32 v57, v57, 10, v23
	v_cndmask_b32_e64 v11, v11, v58, s[10:11]
	v_and_or_b32 v10, v10, s64, v57
	v_lshl_or_b32 v10, v11, 7, v10
	v_cvt_f32_f16_e32 v11, v10
.LBB281_207:                            ;   in Loop: Header=BB281_14 Depth=1
	s_or_b64 exec, exec, s[52:53]
.LBB281_208:                            ;   in Loop: Header=BB281_14 Depth=1
	s_or_b64 exec, exec, s[50:51]
.LBB281_209:                            ;   in Loop: Header=BB281_14 Depth=1
	s_or_b64 exec, exec, s[48:49]
	ds_read_b32 v10, v16
	v_fma_mixlo_f16 v28, v26, v28, 0
	v_fma_mixlo_f16 v27, v26, v27, 0
	v_and_b32_e32 v28, 0xffff, v28
	v_and_b32_e32 v27, 0xffff, v27
	s_waitcnt lgkmcnt(0)
	v_lshrrev_b32_e32 v57, 16, v10
	v_and_b32_e32 v10, 0xffff, v10
	;;#ASMSTART
	v_cvt_f32_f16 v10, v10;
	;;#ASMEND
	;;#ASMSTART
	v_cvt_f32_f16 v57, v57;
	;;#ASMEND
	;;#ASMSTART
	v_cvt_f32_f16 v28, v28;
	;;#ASMEND
	;;#ASMSTART
	v_cvt_f32_f16 v27, v27;
	;;#ASMEND
	ds_read_b32 v58, v16 offset:4
	v_fma_mixlo_f16 v30, v26, v30, 0
	v_fma_mixlo_f16 v29, v26, v29, 0
	v_and_b32_e32 v30, 0xffff, v30
	v_and_b32_e32 v29, 0xffff, v29
	s_waitcnt lgkmcnt(0)
	v_lshrrev_b32_e32 v59, 16, v58
	v_and_b32_e32 v58, 0xffff, v58
	;;#ASMSTART
	v_cvt_f32_f16 v58, v58;
	;;#ASMEND
	;;#ASMSTART
	v_cvt_f32_f16 v59, v59;
	;;#ASMEND
	;;#ASMSTART
	v_cvt_f32_f16 v30, v30;
	;;#ASMEND
	;;#ASMSTART
	v_cvt_f32_f16 v29, v29;
	;;#ASMEND
	ds_read_b32 v60, v16 offset:8
	;; [unrolled: 20-line block ×8, first 2 shown]
	v_fma_mixlo_f16 v56, v26, v56, 0
	v_fma_mixlo_f16 v55, v26, v55, 0
	v_fma_mixlo_f16 v54, v26, v54, 0
	v_fma_mixlo_f16 v53, v26, v53, 0
	v_fma_mixlo_f16 v52, v26, v52, 0
	v_fma_mixlo_f16 v51, v26, v51, 0
	v_fma_mixlo_f16 v50, v26, v50, 0
	v_fma_mixlo_f16 v49, v26, v49, 0
	v_fma_mixlo_f16 v48, v26, v48, 0
	v_fma_mixlo_f16 v47, v26, v47, 0
	v_fma_mixlo_f16 v46, v26, v46, 0
	v_fma_mixlo_f16 v45, v26, v45, 0
	v_fma_mixlo_f16 v44, v26, v44, 0
	v_fma_mixlo_f16 v43, v26, v43, 0
	v_fma_mixlo_f16 v12, v26, v12, 0
	v_fma_mixlo_f16 v11, v26, v11, 0
	v_mul_f32_e32 v26, v58, v30
	v_fmac_f32_e32 v26, v10, v28
	s_waitcnt lgkmcnt(0)
	v_lshrrev_b32_e32 v10, 16, v72
	v_and_b32_e32 v28, 0xffff, v72
	v_and_b32_e32 v30, 0xffff, v44
	;; [unrolled: 1-line block ×3, first 2 shown]
	;;#ASMSTART
	v_cvt_f32_f16 v28, v28;
	;;#ASMEND
	;;#ASMSTART
	v_cvt_f32_f16 v10, v10;
	;;#ASMEND
	;; [unrolled: 3-line block ×4, first 2 shown]
	ds_read_b32 v44, v16 offset:36
	v_mul_f32_e32 v29, v59, v29
	v_fmac_f32_e32 v29, v57, v27
	v_fmac_f32_e32 v26, v60, v32
	v_fmac_f32_e32 v29, v61, v31
	s_waitcnt lgkmcnt(0)
	v_lshrrev_b32_e32 v27, 16, v44
	v_and_b32_e32 v31, 0xffff, v44
	v_and_b32_e32 v32, 0xffff, v46
	v_and_b32_e32 v44, 0xffff, v45
	;;#ASMSTART
	v_cvt_f32_f16 v31, v31;
	;;#ASMEND
	;;#ASMSTART
	v_cvt_f32_f16 v27, v27;
	;;#ASMEND
	;;#ASMSTART
	v_cvt_f32_f16 v32, v32;
	;;#ASMEND
	;;#ASMSTART
	v_cvt_f32_f16 v44, v44;
	;;#ASMEND
	ds_read_b32 v45, v16 offset:40
	v_fmac_f32_e32 v26, v62, v34
	v_fmac_f32_e32 v29, v63, v33
	v_fmac_f32_e32 v26, v64, v36
	v_fmac_f32_e32 v29, v65, v35
	s_waitcnt lgkmcnt(0)
	v_lshrrev_b32_e32 v33, 16, v45
	v_and_b32_e32 v34, 0xffff, v45
	v_and_b32_e32 v35, 0xffff, v48
	v_and_b32_e32 v36, 0xffff, v47
	;;#ASMSTART
	v_cvt_f32_f16 v34, v34;
	;;#ASMEND
	;;#ASMSTART
	v_cvt_f32_f16 v33, v33;
	;;#ASMEND
	;;#ASMSTART
	v_cvt_f32_f16 v35, v35;
	;;#ASMEND
	;;#ASMSTART
	v_cvt_f32_f16 v36, v36;
	;;#ASMEND
	ds_read_b32 v45, v16 offset:44
	v_fmac_f32_e32 v26, v66, v38
	;; [unrolled: 22-line block ×4, first 2 shown]
	v_fmac_f32_e32 v26, v31, v32
	v_fmac_f32_e32 v29, v33, v36
	v_and_b32_e32 v32, 0xffff, v54
	s_waitcnt lgkmcnt(0)
	v_lshrrev_b32_e32 v27, 16, v42
	v_and_b32_e32 v31, 0xffff, v42
	v_and_b32_e32 v33, 0xffff, v53
	v_fmac_f32_e32 v26, v34, v35
	;;#ASMSTART
	v_cvt_f32_f16 v31, v31;
	;;#ASMEND
	;;#ASMSTART
	v_cvt_f32_f16 v27, v27;
	;;#ASMEND
	;;#ASMSTART
	v_cvt_f32_f16 v32, v32;
	;;#ASMEND
	;;#ASMSTART
	v_cvt_f32_f16 v33, v33;
	;;#ASMEND
	ds_read_b32 v34, v16 offset:56
	v_fmac_f32_e32 v26, v38, v39
	v_fmac_f32_e32 v29, v37, v40
	v_fmac_f32_e32 v26, v28, v30
	v_fmac_f32_e32 v29, v10, v41
	s_waitcnt lgkmcnt(0)
	v_lshrrev_b32_e32 v10, 16, v34
	v_and_b32_e32 v28, 0xffff, v34
	v_and_b32_e32 v30, 0xffff, v56
	;; [unrolled: 1-line block ×3, first 2 shown]
	;;#ASMSTART
	v_cvt_f32_f16 v28, v28;
	;;#ASMEND
	;;#ASMSTART
	v_cvt_f32_f16 v10, v10;
	;;#ASMEND
	;; [unrolled: 3-line block ×4, first 2 shown]
	ds_read_b32 v35, v16 offset:60
	v_fmac_f32_e32 v29, v27, v33
	v_fmac_f32_e32 v29, v10, v34
	v_and_b32_e32 v12, 0xffff, v12
	v_and_b32_e32 v11, 0xffff, v11
	s_waitcnt lgkmcnt(0)
	v_lshrrev_b32_e32 v10, 16, v35
	v_and_b32_e32 v27, 0xffff, v35
	v_fmac_f32_e32 v26, v31, v32
	;;#ASMSTART
	v_cvt_f32_f16 v27, v27;
	;;#ASMEND
	;;#ASMSTART
	v_cvt_f32_f16 v10, v10;
	;;#ASMEND
	;; [unrolled: 3-line block ×4, first 2 shown]
	v_fmac_f32_e32 v26, v28, v30
	v_fmac_f32_e32 v29, v10, v11
	v_and_b32_e32 v11, 64, v24
	v_fmac_f32_e32 v26, v27, v12
	v_add_u32_e32 v11, 64, v11
	v_xor_b32_e32 v12, 2, v24
	v_cmp_lt_i32_e64 s[10:11], v12, v11
	v_cndmask_b32_e64 v12, v24, v12, s[10:11]
	v_add_f32_e32 v10, v26, v29
	v_lshlrev_b32_e32 v12, 2, v12
	ds_bpermute_b32 v12, v12, v10
	s_waitcnt lgkmcnt(0)
	v_add_f32_e32 v10, v10, v12
	v_xor_b32_e32 v12, 1, v24
	v_cmp_lt_i32_e64 s[10:11], v12, v11
	v_cndmask_b32_e64 v11, v24, v12, s[10:11]
	v_lshlrev_b32_e32 v11, 2, v11
	ds_bpermute_b32 v11, v11, v10
	s_and_saveexec_b64 s[48:49], vcc
	s_cbranch_execz .LBB281_12
; %bb.210:                              ;   in Loop: Header=BB281_14 Depth=1
	v_add_u32_e32 v12, v21, v19
	v_cvt_f32_i32_e32 v12, v12
	s_waitcnt lgkmcnt(0)
	v_add_f32_e32 v10, v10, v11
	v_add_u32_e32 v26, v14, v19
	v_cmp_gt_i32_e64 s[10:11], s33, v26
	v_mul_f32_e32 v11, s57, v12
	v_cndmask_b32_e64 v11, 0, v11, s[4:5]
	v_fmac_f32_e32 v11, s45, v10
	v_cndmask_b32_e64 v10, 0, v11, s[10:11]
	ds_write_b32 v20, v10
	v_max_f32_e32 v10, v17, v17
	v_max_f32_e32 v10, v10, v11
	v_cndmask_b32_e64 v17, v17, v10, s[10:11]
	s_branch .LBB281_12
.LBB281_211:
	s_or_b64 exec, exec, s[46:47]
.LBB281_212:
	s_or_b64 exec, exec, s[22:23]
	v_mbcnt_hi_u32_b32 v2, -1, v5
	v_and_b32_e32 v3, 64, v2
	v_add_u32_e32 v3, 64, v3
	v_xor_b32_e32 v4, 32, v2
	v_cmp_lt_i32_e32 vcc, v4, v3
	v_cndmask_b32_e32 v4, v2, v4, vcc
	v_lshlrev_b32_e32 v5, 2, v4
	ds_bpermute_b32 v4, v5, v17
	v_xor_b32_e32 v9, 16, v2
	v_max_f32_e32 v8, v17, v17
	v_cmp_lt_i32_e32 vcc, v9, v3
	v_xor_b32_e32 v10, 8, v2
	s_waitcnt lgkmcnt(0)
	v_max_f32_e32 v4, v4, v4
	v_max_f32_e32 v4, v8, v4
	v_cndmask_b32_e32 v8, v2, v9, vcc
	v_lshlrev_b32_e32 v8, 2, v8
	ds_bpermute_b32 v9, v8, v4
	v_cmp_lt_i32_e32 vcc, v10, v3
	v_and_b32_e32 v17, 63, v0
	s_waitcnt lgkmcnt(0)
	v_max_f32_e32 v9, v9, v9
	v_max_f32_e32 v4, v4, v9
	v_cndmask_b32_e32 v9, v2, v10, vcc
	v_lshlrev_b32_e32 v11, 2, v9
	ds_bpermute_b32 v9, v11, v4
	v_xor_b32_e32 v10, 4, v2
	v_cmp_lt_i32_e32 vcc, v10, v3
	s_waitcnt lgkmcnt(0)
	v_max_f32_e32 v9, v9, v9
	v_max_f32_e32 v4, v4, v9
	v_cndmask_b32_e32 v9, v2, v10, vcc
	v_lshlrev_b32_e32 v12, 2, v9
	ds_bpermute_b32 v10, v12, v4
	v_cmp_eq_u32_e32 vcc, 0, v17
	v_lshlrev_b32_e32 v9, 2, v13
	s_and_saveexec_b64 s[4:5], vcc
	s_cbranch_execz .LBB281_214
; %bb.213:
	s_waitcnt lgkmcnt(0)
	v_max_f32_e32 v10, v10, v10
	v_max_f32_e32 v4, v4, v4
	;; [unrolled: 1-line block ×3, first 2 shown]
	ds_write_b32 v9, v4 offset:256
.LBB281_214:
	s_or_b64 exec, exec, s[4:5]
	v_cmp_gt_u32_e64 s[4:5], 2, v17
	v_mov_b32_e32 v4, 0xff7fffff
	s_waitcnt lgkmcnt(0)
	v_lshlrev_b32_e32 v10, 2, v17
	s_barrier
	s_and_saveexec_b64 s[10:11], s[4:5]
	s_cbranch_execz .LBB281_216
; %bb.215:
	ds_read_b32 v4, v10 offset:256
.LBB281_216:
	s_or_b64 exec, exec, s[10:11]
	v_xor_b32_e32 v14, 1, v2
	v_cmp_lt_i32_e64 s[10:11], v14, v3
	v_cndmask_b32_e64 v14, v2, v14, s[10:11]
	v_lshlrev_b32_e32 v24, 2, v14
	s_waitcnt lgkmcnt(0)
	ds_bpermute_b32 v14, v24, v4
	v_max_f32_e32 v4, v4, v4
	s_sub_i32 s10, s55, s58
	s_lshl_b32 s10, s10, 4
	s_add_i32 s10, s10, s56
	s_waitcnt lgkmcnt(0)
	v_max_f32_e32 v14, v14, v14
	v_max_f32_e32 v4, v4, v14
	v_lshlrev_b32_e32 v14, 2, v2
	v_and_b32_e32 v14, 0x100, v14
	ds_bpermute_b32 v4, v14, v4
	s_min_i32 s46, s10, s33
	s_sub_i32 s45, s46, s56
	v_cmp_gt_i32_e64 s[10:11], s45, v0
	v_mov_b32_e32 v15, 0
	s_and_saveexec_b64 s[16:17], s[10:11]
	s_cbranch_execz .LBB281_220
; %bb.217:
	v_mov_b32_e32 v15, 0x110
	v_lshl_add_u32 v16, v0, 2, v15
	s_mov_b64 s[22:23], 0
	v_mov_b32_e32 v15, 0
	v_mov_b32_e32 v18, v0
.LBB281_218:                            ; =>This Inner Loop Header: Depth=1
	ds_read_b32 v19, v16
	v_add_u32_e32 v18, 0x80, v18
	v_cmp_le_i32_e64 s[12:13], s45, v18
	s_or_b64 s[22:23], s[12:13], s[22:23]
	s_waitcnt lgkmcnt(0)
	v_sub_f32_e32 v19, v19, v4
	v_mul_f32_e32 v19, 0x3fb8aa3b, v19
	v_exp_f32_e32 v19, v19
	ds_write_b32 v16, v19
	v_add_f32_e32 v15, v15, v19
	v_add_u32_e32 v16, 0x200, v16
	s_andn2_b64 exec, exec, s[22:23]
	s_cbranch_execnz .LBB281_218
; %bb.219:
	s_or_b64 exec, exec, s[22:23]
.LBB281_220:
	s_or_b64 exec, exec, s[16:17]
	ds_bpermute_b32 v5, v5, v15
	s_waitcnt lgkmcnt(0)
	v_add_f32_e32 v5, v15, v5
	ds_bpermute_b32 v8, v8, v5
	s_waitcnt lgkmcnt(0)
	v_add_f32_e32 v5, v5, v8
	ds_bpermute_b32 v8, v11, v5
	v_xor_b32_e32 v11, 2, v2
	v_cmp_lt_i32_e64 s[12:13], v11, v3
	v_cndmask_b32_e64 v2, v2, v11, s[12:13]
	v_lshlrev_b32_e32 v2, 2, v2
	s_waitcnt lgkmcnt(0)
	v_add_f32_e32 v5, v5, v8
	ds_bpermute_b32 v8, v12, v5
	s_waitcnt lgkmcnt(0)
	v_add_f32_e32 v3, v5, v8
	ds_bpermute_b32 v2, v2, v3
	;; [unrolled: 3-line block ×3, first 2 shown]
	s_waitcnt lgkmcnt(0)
	v_add_f32_e32 v2, v2, v3
	s_and_saveexec_b64 s[12:13], vcc
	s_cbranch_execz .LBB281_222
; %bb.221:
	ds_write_b32 v9, v2 offset:264
.LBB281_222:
	s_or_b64 exec, exec, s[12:13]
	s_waitcnt lgkmcnt(0)
	s_barrier
	s_and_saveexec_b64 s[12:13], s[4:5]
	s_cbranch_execz .LBB281_224
; %bb.223:
	ds_read_b32 v2, v10 offset:264
.LBB281_224:
	s_or_b64 exec, exec, s[12:13]
	s_waitcnt lgkmcnt(0)
	ds_bpermute_b32 v3, v24, v2
	s_waitcnt lgkmcnt(0)
	v_add_f32_e32 v2, v2, v3
	ds_bpermute_b32 v5, v14, v2
	s_and_saveexec_b64 s[4:5], s[10:11]
	s_cbranch_execz .LBB281_237
; %bb.225:
	s_waitcnt lgkmcnt(0)
	v_add_f32_e32 v2, 0x358637bd, v5
	v_div_scale_f32 v3, s[10:11], v2, v2, 1.0
	v_rcp_f32_e32 v8, v3
	v_div_scale_f32 v9, vcc, 1.0, v2, 1.0
	s_movk_i32 s10, 0x7f
	v_fma_f32 v10, -v3, v8, 1.0
	v_fmac_f32_e32 v8, v10, v8
	v_mul_f32_e32 v10, v9, v8
	v_fma_f32 v11, -v3, v10, v9
	v_fmac_f32_e32 v10, v11, v8
	v_fma_f32 v3, -v3, v10, v9
	v_div_fmas_f32 v3, v3, v8, v10
	v_div_fixup_f32 v2, v3, v2, 1.0
	v_xad_u32 v3, v0, -1, s46
	v_subrev_u32_e32 v8, s56, v3
	v_cmp_lt_u32_e32 vcc, s10, v8
	s_mov_b64 s[12:13], -1
	v_mov_b32_e32 v3, v0
	s_and_saveexec_b64 s[10:11], vcc
	s_cbranch_execz .LBB281_234
; %bb.226:
	v_lshrrev_b32_e32 v8, 7, v8
	v_add_u32_e32 v10, -1, v8
	v_lshrrev_b32_e32 v9, 1, v10
	v_mov_b32_e32 v3, v2
	v_add_u32_e32 v9, 1, v9
	v_cmp_lt_u32_e32 vcc, 13, v10
	v_mov_b32_e32 v12, 0
	s_and_saveexec_b64 s[12:13], vcc
	s_cbranch_execz .LBB281_230
; %bb.227:
	v_mov_b32_e32 v11, 0x110
	v_and_b32_e32 v10, -8, v9
	v_lshl_add_u32 v11, v0, 2, v11
	s_mov_b32 s22, 0
	s_mov_b64 s[16:17], 0
.LBB281_228:                            ; =>This Inner Loop Header: Depth=1
	ds_read2st64_b32 v[14:15], v11 offset1:2
	ds_read2st64_b32 v[18:19], v11 offset0:4 offset1:6
	ds_read2st64_b32 v[20:21], v11 offset0:8 offset1:10
	;; [unrolled: 1-line block ×3, first 2 shown]
	v_add_u32_e32 v10, -8, v10
	s_waitcnt lgkmcnt(3)
	v_pk_mul_f32 v[14:15], v[2:3], v[14:15]
	s_waitcnt lgkmcnt(2)
	v_pk_mul_f32 v[18:19], v[2:3], v[18:19]
	ds_write2st64_b32 v11, v14, v15 offset1:2
	ds_write2st64_b32 v11, v18, v19 offset0:4 offset1:6
	ds_read2st64_b32 v[18:19], v11 offset0:16 offset1:18
	s_waitcnt lgkmcnt(4)
	v_pk_mul_f32 v[14:15], v[2:3], v[20:21]
	ds_write2st64_b32 v11, v14, v15 offset0:8 offset1:10
	s_waitcnt lgkmcnt(4)
	v_pk_mul_f32 v[14:15], v[2:3], v[22:23]
	ds_write2st64_b32 v11, v14, v15 offset0:12 offset1:14
	ds_read2st64_b32 v[14:15], v11 offset0:20 offset1:22
	s_waitcnt lgkmcnt(3)
	v_pk_mul_f32 v[18:19], v[2:3], v[18:19]
	ds_read2st64_b32 v[20:21], v11 offset0:24 offset1:26
	ds_write2st64_b32 v11, v18, v19 offset0:16 offset1:18
	ds_read2st64_b32 v[18:19], v11 offset0:28 offset1:30
	s_waitcnt lgkmcnt(3)
	v_pk_mul_f32 v[14:15], v[2:3], v[14:15]
	ds_write2st64_b32 v11, v14, v15 offset0:20 offset1:22
	s_waitcnt lgkmcnt(3)
	v_pk_mul_f32 v[14:15], v[2:3], v[20:21]
	ds_write2st64_b32 v11, v14, v15 offset0:24 offset1:26
	s_waitcnt lgkmcnt(2)
	v_pk_mul_f32 v[14:15], v[2:3], v[18:19]
	s_add_i32 s22, s22, 16
	v_cmp_eq_u32_e32 vcc, 0, v10
	ds_write2st64_b32 v11, v14, v15 offset0:28 offset1:30
	v_add_u32_e32 v11, 0x2000, v11
	s_or_b64 s[16:17], vcc, s[16:17]
	v_mov_b32_e32 v12, s22
	s_andn2_b64 exec, exec, s[16:17]
	s_cbranch_execnz .LBB281_228
; %bb.229:
	s_or_b64 exec, exec, s[16:17]
.LBB281_230:
	s_or_b64 exec, exec, s[12:13]
	v_and_b32_e32 v9, 7, v9
	v_cmp_ne_u32_e32 vcc, 0, v9
	s_and_saveexec_b64 s[12:13], vcc
	s_cbranch_execz .LBB281_233
; %bb.231:
	v_lshlrev_b32_e32 v10, 9, v12
	v_lshlrev_b32_e32 v11, 2, v0
	s_movk_i32 s16, 0x110
	v_add3_u32 v10, v10, v11, s16
	s_mov_b64 s[16:17], 0
.LBB281_232:                            ; =>This Inner Loop Header: Depth=1
	ds_read2st64_b32 v[14:15], v10 offset1:2
	v_add_u32_e32 v9, -1, v9
	v_cmp_eq_u32_e32 vcc, 0, v9
	s_or_b64 s[16:17], vcc, s[16:17]
	s_waitcnt lgkmcnt(0)
	v_pk_mul_f32 v[14:15], v[2:3], v[14:15]
	ds_write2st64_b32 v10, v14, v15 offset1:2
	v_add_u32_e32 v10, 0x400, v10
	s_andn2_b64 exec, exec, s[16:17]
	s_cbranch_execnz .LBB281_232
.LBB281_233:
	s_or_b64 exec, exec, s[12:13]
	v_add_u32_e32 v8, 1, v8
	v_and_b32_e32 v9, 0x3fffffe, v8
	v_cmp_ne_u32_e32 vcc, v8, v9
	v_lshl_add_u32 v3, v9, 7, v0
	s_orn2_b64 s[12:13], vcc, exec
.LBB281_234:
	s_or_b64 exec, exec, s[10:11]
	s_and_b64 exec, exec, s[12:13]
	s_cbranch_execz .LBB281_237
; %bb.235:
	v_mov_b32_e32 v8, 0x110
	v_lshl_add_u32 v8, v3, 2, v8
	s_mov_b64 s[10:11], 0
.LBB281_236:                            ; =>This Inner Loop Header: Depth=1
	ds_read_b32 v9, v8
	v_add_u32_e32 v3, 0x80, v3
	v_cmp_le_i32_e32 vcc, s45, v3
	s_or_b64 s[10:11], vcc, s[10:11]
	s_waitcnt lgkmcnt(0)
	v_mul_f32_e32 v9, v2, v9
	ds_write_b32 v8, v9
	v_add_u32_e32 v8, 0x200, v8
	s_andn2_b64 exec, exec, s[10:11]
	s_cbranch_execnz .LBB281_236
.LBB281_237:
	s_or_b64 exec, exec, s[4:5]
	s_mul_i32 s4, s15, s36
	v_cmp_eq_u32_e32 vcc, 0, v0
	s_mul_i32 s10, s4, s9
	s_waitcnt lgkmcnt(0)
	s_barrier
	s_and_saveexec_b64 s[4:5], vcc
	s_cbranch_execz .LBB281_239
; %bb.238:
	s_ashr_i32 s11, s10, 31
	s_lshl_b64 s[12:13], s[10:11], 2
	s_add_u32 s9, s30, s12
	s_mul_i32 s16, s15, s6
	s_addc_u32 s11, s31, s13
	s_ashr_i32 s17, s16, 31
	s_lshl_b64 s[16:17], s[16:17], 2
	s_add_u32 s6, s9, s16
	s_addc_u32 s11, s11, s17
	s_ashr_i32 s9, s8, 31
	s_lshl_b64 s[22:23], s[8:9], 2
	s_add_u32 s30, s6, s22
	s_addc_u32 s31, s11, s23
	s_add_u32 s6, s28, s12
	s_addc_u32 s9, s29, s13
	;; [unrolled: 2-line block ×3, first 2 shown]
	s_add_u32 s12, s6, s22
	v_mov_b32_e32 v2, 0
	s_addc_u32 s13, s9, s23
	global_store_dword v2, v4, s[30:31]
	global_store_dword v2, v5, s[12:13]
.LBB281_239:
	s_or_b64 exec, exec, s[4:5]
	s_mov_b32 s4, 0
	v_mov_b32_e32 v5, 0
	v_and_b32_e32 v25, 1, v0
	v_mov_b32_e32 v4, 0
	v_mov_b32_e32 v3, 0
	;; [unrolled: 1-line block ×3, first 2 shown]
	s_and_saveexec_b64 s[12:13], s[2:3]
	s_cbranch_execz .LBB281_445
; %bb.240:
	s_sub_i32 s9, s20, s25
	s_ashr_i32 s2, s24, 31
	s_add_u32 s3, s42, s24
	s_addc_u32 s2, s43, s2
	s_abs_i32 s11, s26
	v_cvt_f32_u32_e32 v2, s11
	s_sub_i32 s5, 0, s11
	v_lshlrev_b32_e32 v3, 3, v0
	v_and_b32_e32 v26, 8, v3
	v_rcp_iflag_f32_e32 v2, v2
	v_and_b32_e32 v3, 0x1f8, v3
	s_add_i32 s28, s7, -1
	v_add_co_u32_e32 v8, vcc, s3, v3
	v_mul_f32_e32 v2, 0x4f7ffffe, v2
	v_cvt_u32_f32_e32 v2, v2
	s_mov_b32 s16, -1
	s_mov_b32 s6, s4
	s_mov_b32 s7, s4
	v_mul_lo_u32 v4, s5, v2
	v_mul_hi_u32 v4, v2, v4
	v_add_u32_e32 v27, v2, v4
	v_mov_b32_e32 v2, s2
	s_lshl_b64 s[2:3], s[40:41], 2
	v_addc_co_u32_e32 v9, vcc, 0, v2, vcc
	v_lshlrev_b64 v[2:3], 2, v[6:7]
	s_add_u32 s2, s38, s2
	s_addc_u32 s3, s39, s3
	v_add_co_u32_e32 v10, vcc, s2, v2
	v_lshlrev_b32_e32 v2, 5, v25
	v_mov_b32_e32 v4, s3
	v_lshl_or_b32 v2, v13, 6, v2
	s_mov_b32 s5, s4
	v_addc_co_u32_e32 v11, vcc, v4, v3, vcc
	v_add_u32_e32 v7, 0x110, v2
	v_pk_mov_b32 v[2:3], s[4:5], s[4:5] op_sel:[0,1]
	s_mov_b32 s26, s21
	s_mov_b32 s17, 0xffffff
	;; [unrolled: 1-line block ×3, first 2 shown]
	s_mov_b64 s[20:21], 0
	v_pk_mov_b32 v[4:5], s[6:7], s[6:7] op_sel:[0,1]
	v_mov_b32_e32 v13, 0
	s_movk_i32 s30, 0x80
	s_movk_i32 s31, 0x7f
	s_mov_b32 s36, 0x8000
	s_movk_i32 s38, 0x380
	s_mov_b32 s39, 0x3020706
	s_mov_b32 s40, 0x1000504
	s_mov_b32 s41, 0x5040100
	v_mov_b32_e32 v28, 0x2000
	s_branch .LBB281_243
.LBB281_241:                            ;   in Loop: Header=BB281_243 Depth=1
	s_or_b64 exec, exec, s[2:3]
	;;#ASMSTART
	v_pk_mul_f16 v15, v40, v15;

	;;#ASMEND
	;;#ASMSTART
	v_pk_mul_f16 v12, v39, v12;

	;;#ASMEND
	;; [unrolled: 4-line block ×4, first 2 shown]
	;;#ASMSTART
	v_pk_add_f16 v12, v15, v12;

	;;#ASMEND
	;;#ASMSTART
	v_pk_add_f16 v12, v12, v14;

	;;#ASMEND
	;;#ASMSTART
	v_pk_add_f16 v12, v12, v16;

	;;#ASMEND
	v_add_f32_e32 v18, v41, v42
	v_lshrrev_b32_e32 v14, 16, v12
	v_and_b32_e32 v12, 0xffff, v12
	v_add_f32_e32 v2, v2, v18
	v_add_f32_e32 v18, v43, v44
	;;#ASMSTART
	v_cvt_f32_f16 v12, v12;
	;;#ASMEND
	v_add_f32_e32 v3, v3, v18
	v_add_f32_e32 v18, v22, v23
	;;#ASMSTART
	v_cvt_f32_f16 v14, v14;
	;;#ASMEND
	v_add_f32_e32 v12, v12, v14
	v_add_f32_e32 v4, v4, v18
	;; [unrolled: 1-line block ×3, first 2 shown]
.LBB281_242:                            ;   in Loop: Header=BB281_243 Depth=1
	s_or_b64 exec, exec, s[4:5]
	v_add_co_u32_e32 v10, vcc, 8, v10
	v_add_u32_e32 v6, 2, v6
	v_addc_co_u32_e32 v11, vcc, 0, v11, vcc
	v_cmp_le_i32_e32 vcc, s55, v6
	v_add_u32_e32 v1, 32, v1
	s_or_b64 s[20:21], vcc, s[20:21]
	v_add_u32_e32 v7, 0x80, v7
	s_andn2_b64 exec, exec, s[20:21]
	s_cbranch_execz .LBB281_444
.LBB281_243:                            ; =>This Inner Loop Header: Depth=1
	v_sub_u32_e32 v14, 0, v1
	v_max_i32_e32 v14, v1, v14
	v_mul_hi_u32 v15, v14, s54
	v_mul_lo_u32 v16, v15, s37
	v_sub_u32_e32 v14, v14, v16
	v_add_u32_e32 v16, 1, v15
	v_cmp_le_u32_e32 vcc, s37, v14
	v_cndmask_b32_e32 v15, v15, v16, vcc
	v_subrev_u32_e32 v16, s37, v14
	v_cndmask_b32_e32 v14, v14, v16, vcc
	v_ashrrev_i32_e32 v12, 31, v1
	v_add_u32_e32 v16, 1, v15
	v_cmp_le_u32_e32 vcc, s37, v14
	v_xor_b32_e32 v12, s27, v12
	v_cndmask_b32_e32 v14, v15, v16, vcc
	v_xor_b32_e32 v14, v14, v12
	v_sub_u32_e32 v12, v14, v12
	v_add_u32_e32 v14, s44, v12
	v_sub_u32_e32 v16, 0, v14
	v_ashrrev_i32_e32 v15, 31, v14
	v_max_i32_e32 v14, v14, v16
	v_mul_hi_u32 v16, v14, v27
	v_mul_lo_u32 v16, v16, s11
	v_sub_u32_e32 v14, v14, v16
	v_subrev_u32_e32 v16, s11, v14
	v_cmp_le_u32_e32 vcc, s11, v14
	v_cndmask_b32_e32 v14, v14, v16, vcc
	v_subrev_u32_e32 v16, s11, v14
	v_cmp_le_u32_e32 vcc, s11, v14
	v_cndmask_b32_e32 v14, v14, v16, vcc
	v_xor_b32_e32 v14, v14, v15
	v_sub_u32_e32 v14, v14, v15
	v_cmp_eq_u32_e32 vcc, 0, v14
	v_cmp_lt_i32_e64 s[2:3], s9, v12
	s_or_b64 s[2:3], vcc, s[2:3]
	s_and_saveexec_b64 s[4:5], s[2:3]
	s_cbranch_execz .LBB281_242
; %bb.244:                              ;   in Loop: Header=BB281_243 Depth=1
	global_load_dword v12, v[10:11], off
	ds_read2_b64 v[18:21], v7 offset1:1
	ds_read2_b64 v[30:33], v7 offset0:2 offset1:3
	s_waitcnt lgkmcnt(1)
	;;#ASMSTART
	v_cvt_f16_f32 v37, v18;

	;;#ASMEND
	;;#ASMSTART
	v_cvt_f16_f32 v38, v19;

	;;#ASMEND
	;; [unrolled: 4-line block ×4, first 2 shown]
	s_waitcnt lgkmcnt(0)
	;;#ASMSTART
	v_cvt_f16_f32 v42, v30;

	;;#ASMEND
	;;#ASMSTART
	v_cvt_f16_f32 v43, v31;

	;;#ASMEND
	;; [unrolled: 4-line block ×4, first 2 shown]
	v_mov_b32_e32 v20, 0
	v_mov_b32_e32 v18, 0
	s_waitcnt vmcnt(0)
	v_mad_i64_i32 v[14:15], s[2:3], v12, s26, v[8:9]
	global_load_dwordx2 v[22:23], v[14:15], off
	global_load_dword v16, v13, s[18:19]
	s_waitcnt vmcnt(1)
	v_cmp_ne_u16_sdwa s[6:7], v22, v13 src0_sel:BYTE_0 src1_sel:DWORD
	s_and_saveexec_b64 s[2:3], s[6:7]
	s_cbranch_execz .LBB281_250
; %bb.245:                              ;   in Loop: Header=BB281_243 Depth=1
	v_cmp_ne_u16_sdwa s[22:23], v22, s30 src0_sel:BYTE_0 src1_sel:DWORD
	v_bfrev_b32_e32 v18, 1
	s_and_saveexec_b64 s[6:7], s[22:23]
	s_cbranch_execz .LBB281_249
; %bb.246:                              ;   in Loop: Header=BB281_243 Depth=1
	v_and_b32_e32 v12, 0x7f, v22
	v_cmp_ne_u32_e32 vcc, s31, v12
	v_mov_b32_e32 v18, 0x7fc02000
	s_and_saveexec_b64 s[22:23], vcc
	s_cbranch_execz .LBB281_248
; %bb.247:                              ;   in Loop: Header=BB281_243 Depth=1
	v_and_b32_e32 v18, 7, v22
	v_ffbh_u32_e32 v18, v18
	v_min_u32_e32 v18, 32, v18
	v_subrev_u32_e32 v19, 28, v18
	v_cmp_gt_u32_e32 vcc, 8, v12
	v_lshrrev_b32_e32 v21, 3, v12
	v_sub_u32_e32 v29, 29, v18
	v_cndmask_b32_e32 v12, 0, v19, vcc
	v_lshlrev_b64 v[18:19], v12, v[22:23]
	v_cndmask_b32_e32 v12, v21, v29, vcc
	v_lshlrev_b32_e32 v19, 8, v22
	v_lshl_add_u32 v12, v12, 10, v28
	v_lshlrev_b32_e32 v18, 7, v18
	v_and_or_b32 v12, v19, s36, v12
	v_and_or_b32 v12, v18, s38, v12
	v_cvt_f32_f16_e32 v18, v12
.LBB281_248:                            ;   in Loop: Header=BB281_243 Depth=1
	s_or_b64 exec, exec, s[22:23]
.LBB281_249:                            ;   in Loop: Header=BB281_243 Depth=1
	s_or_b64 exec, exec, s[6:7]
.LBB281_250:                            ;   in Loop: Header=BB281_243 Depth=1
	s_or_b64 exec, exec, s[2:3]
	v_lshrrev_b16_e32 v12, 8, v22
	v_cmp_ne_u16_e32 vcc, 0, v12
	s_and_saveexec_b64 s[2:3], vcc
	s_cbranch_execz .LBB281_256
; %bb.251:                              ;   in Loop: Header=BB281_243 Depth=1
	v_cmp_ne_u16_e32 vcc, s30, v12
	v_bfrev_b32_e32 v20, 1
	s_and_saveexec_b64 s[6:7], vcc
	s_cbranch_execz .LBB281_255
; %bb.252:                              ;   in Loop: Header=BB281_243 Depth=1
	v_and_b32_e32 v19, 0x7f, v12
	v_cmp_ne_u32_e32 vcc, s31, v19
	v_mov_b32_e32 v20, 0x7fc02000
	s_and_saveexec_b64 s[22:23], vcc
	s_cbranch_execz .LBB281_254
; %bb.253:                              ;   in Loop: Header=BB281_243 Depth=1
	v_and_b32_e32 v29, 7, v12
	v_ffbh_u32_e32 v20, v29
	v_min_u32_e32 v31, 32, v20
	v_subrev_u32_e32 v20, 28, v31
	v_lshlrev_b64 v[20:21], v20, v[12:13]
	v_lshrrev_b32_e32 v30, 3, v19
	v_sub_u32_e32 v21, 29, v31
	v_cmp_gt_u32_e32 vcc, 8, v19
	v_cndmask_b32_e32 v19, v30, v21, vcc
	v_and_b32_e32 v20, 7, v20
	v_lshlrev_b32_e32 v12, 8, v12
	v_lshl_add_u32 v19, v19, 10, v28
	v_cndmask_b32_e32 v20, v29, v20, vcc
	v_and_or_b32 v12, v12, s36, v19
	v_lshl_or_b32 v12, v20, 7, v12
	v_cvt_f32_f16_e32 v20, v12
.LBB281_254:                            ;   in Loop: Header=BB281_243 Depth=1
	s_or_b64 exec, exec, s[22:23]
.LBB281_255:                            ;   in Loop: Header=BB281_243 Depth=1
	s_or_b64 exec, exec, s[6:7]
.LBB281_256:                            ;   in Loop: Header=BB281_243 Depth=1
	s_or_b64 exec, exec, s[2:3]
	v_lshrrev_b32_e32 v12, 16, v22
	v_cmp_ne_u16_sdwa s[6:7], v12, v13 src0_sel:BYTE_0 src1_sel:DWORD
	v_mov_b32_e32 v21, 0
	v_mov_b32_e32 v19, 0
	s_and_saveexec_b64 s[2:3], s[6:7]
	s_cbranch_execz .LBB281_262
; %bb.257:                              ;   in Loop: Header=BB281_243 Depth=1
	v_cmp_ne_u16_sdwa s[22:23], v12, s30 src0_sel:BYTE_0 src1_sel:DWORD
	v_bfrev_b32_e32 v19, 1
	s_and_saveexec_b64 s[6:7], s[22:23]
	s_cbranch_execz .LBB281_261
; %bb.258:                              ;   in Loop: Header=BB281_243 Depth=1
	v_bfe_u32 v29, v22, 16, 7
	v_cmp_ne_u32_e32 vcc, s31, v29
	v_mov_b32_e32 v19, 0x7fc02000
	s_and_saveexec_b64 s[22:23], vcc
	s_cbranch_execz .LBB281_260
; %bb.259:                              ;   in Loop: Header=BB281_243 Depth=1
	v_and_b32_e32 v19, 7, v12
	v_ffbh_u32_e32 v30, v19
	v_min_u32_e32 v33, 32, v30
	v_subrev_u32_e32 v30, 28, v33
	v_lshlrev_b64 v[30:31], v30, v[12:13]
	v_lshrrev_b32_e32 v32, 3, v29
	v_sub_u32_e32 v31, 29, v33
	v_cmp_gt_u32_e32 vcc, 8, v29
	v_cndmask_b32_e32 v29, v32, v31, vcc
	v_and_b32_e32 v30, 7, v30
	v_lshlrev_b32_e32 v12, 8, v12
	v_lshl_add_u32 v29, v29, 10, v28
	v_cndmask_b32_e32 v19, v19, v30, vcc
	v_and_or_b32 v12, v12, s36, v29
	v_lshl_or_b32 v12, v19, 7, v12
	v_cvt_f32_f16_e32 v19, v12
.LBB281_260:                            ;   in Loop: Header=BB281_243 Depth=1
	s_or_b64 exec, exec, s[22:23]
.LBB281_261:                            ;   in Loop: Header=BB281_243 Depth=1
	s_or_b64 exec, exec, s[6:7]
.LBB281_262:                            ;   in Loop: Header=BB281_243 Depth=1
	s_or_b64 exec, exec, s[2:3]
	v_cmp_lt_u32_e32 vcc, s17, v22
	s_and_saveexec_b64 s[2:3], vcc
	s_cbranch_execz .LBB281_268
; %bb.263:                              ;   in Loop: Header=BB281_243 Depth=1
	v_lshrrev_b32_e32 v12, 24, v22
	v_cmp_ne_u32_e32 vcc, s30, v12
	v_bfrev_b32_e32 v21, 1
	s_and_saveexec_b64 s[6:7], vcc
	s_cbranch_execz .LBB281_267
; %bb.264:                              ;   in Loop: Header=BB281_243 Depth=1
	v_and_b32_e32 v29, 0x7f, v12
	v_cmp_ne_u32_e32 vcc, s31, v29
	v_mov_b32_e32 v21, 0x7fc02000
	s_and_saveexec_b64 s[22:23], vcc
	s_cbranch_execz .LBB281_266
; %bb.265:                              ;   in Loop: Header=BB281_243 Depth=1
	v_and_b32_e32 v21, 7, v12
	v_ffbh_u32_e32 v30, v21
	v_min_u32_e32 v33, 32, v30
	v_subrev_u32_e32 v30, 28, v33
	v_lshlrev_b64 v[30:31], v30, v[12:13]
	v_lshrrev_b32_e32 v32, 3, v29
	v_sub_u32_e32 v31, 29, v33
	v_cmp_gt_u32_e32 vcc, 8, v29
	v_cndmask_b32_e32 v29, v32, v31, vcc
	v_and_b32_e32 v30, 7, v30
	v_lshlrev_b32_e32 v12, 8, v12
	v_lshl_add_u32 v29, v29, 10, v28
	v_cndmask_b32_e32 v21, v21, v30, vcc
	v_and_or_b32 v12, v12, s36, v29
	v_lshl_or_b32 v12, v21, 7, v12
	v_cvt_f32_f16_e32 v21, v12
.LBB281_266:                            ;   in Loop: Header=BB281_243 Depth=1
	s_or_b64 exec, exec, s[22:23]
.LBB281_267:                            ;   in Loop: Header=BB281_243 Depth=1
	s_or_b64 exec, exec, s[6:7]
.LBB281_268:                            ;   in Loop: Header=BB281_243 Depth=1
	s_or_b64 exec, exec, s[2:3]
	v_mov_b32_e32 v12, v23
	v_cmp_ne_u16_sdwa s[6:7], v23, v13 src0_sel:BYTE_0 src1_sel:DWORD
	v_mov_b32_e32 v30, 0
	v_mov_b32_e32 v29, 0
	s_and_saveexec_b64 s[2:3], s[6:7]
	s_cbranch_execz .LBB281_274
; %bb.269:                              ;   in Loop: Header=BB281_243 Depth=1
	v_cmp_ne_u16_sdwa s[22:23], v23, s30 src0_sel:BYTE_0 src1_sel:DWORD
	v_bfrev_b32_e32 v29, 1
	s_and_saveexec_b64 s[6:7], s[22:23]
	s_cbranch_execz .LBB281_273
; %bb.270:                              ;   in Loop: Header=BB281_243 Depth=1
	v_and_b32_e32 v31, 0x7f, v23
	v_cmp_ne_u32_e32 vcc, s31, v31
	v_mov_b32_e32 v29, 0x7fc02000
	s_and_saveexec_b64 s[22:23], vcc
	s_cbranch_execz .LBB281_272
; %bb.271:                              ;   in Loop: Header=BB281_243 Depth=1
	v_and_b32_e32 v29, 7, v23
	v_ffbh_u32_e32 v29, v29
	v_min_u32_e32 v29, 32, v29
	v_subrev_u32_e32 v32, 28, v29
	v_cmp_gt_u32_e32 vcc, 8, v31
	v_lshrrev_b32_e32 v34, 3, v31
	v_sub_u32_e32 v29, 29, v29
	v_cndmask_b32_e32 v31, 0, v32, vcc
	v_lshlrev_b64 v[32:33], v31, v[12:13]
	v_cndmask_b32_e32 v29, v34, v29, vcc
	v_lshlrev_b32_e32 v31, 7, v32
	v_lshlrev_b32_e32 v32, 8, v23
	v_lshl_add_u32 v29, v29, 10, v28
	v_and_or_b32 v29, v32, s36, v29
	v_and_or_b32 v29, v31, s38, v29
	v_cvt_f32_f16_e32 v29, v29
.LBB281_272:                            ;   in Loop: Header=BB281_243 Depth=1
	s_or_b64 exec, exec, s[22:23]
.LBB281_273:                            ;   in Loop: Header=BB281_243 Depth=1
	s_or_b64 exec, exec, s[6:7]
.LBB281_274:                            ;   in Loop: Header=BB281_243 Depth=1
	s_or_b64 exec, exec, s[2:3]
	v_lshrrev_b16_e32 v12, 8, v12
	v_cmp_ne_u16_e32 vcc, 0, v12
	s_and_saveexec_b64 s[2:3], vcc
	s_cbranch_execz .LBB281_280
; %bb.275:                              ;   in Loop: Header=BB281_243 Depth=1
	v_cmp_ne_u16_e32 vcc, s30, v12
	v_bfrev_b32_e32 v30, 1
	s_and_saveexec_b64 s[6:7], vcc
	s_cbranch_execz .LBB281_279
; %bb.276:                              ;   in Loop: Header=BB281_243 Depth=1
	v_and_b32_e32 v31, 0x7f, v12
	v_cmp_ne_u32_e32 vcc, s31, v31
	v_mov_b32_e32 v30, 0x7fc02000
	s_and_saveexec_b64 s[22:23], vcc
	s_cbranch_execz .LBB281_278
; %bb.277:                              ;   in Loop: Header=BB281_243 Depth=1
	v_and_b32_e32 v30, 7, v12
	v_ffbh_u32_e32 v32, v30
	v_min_u32_e32 v35, 32, v32
	v_subrev_u32_e32 v32, 28, v35
	v_lshlrev_b64 v[32:33], v32, v[12:13]
	v_lshrrev_b32_e32 v34, 3, v31
	v_sub_u32_e32 v33, 29, v35
	v_cmp_gt_u32_e32 vcc, 8, v31
	v_cndmask_b32_e32 v31, v34, v33, vcc
	v_and_b32_e32 v32, 7, v32
	v_lshlrev_b32_e32 v12, 8, v12
	v_lshl_add_u32 v31, v31, 10, v28
	v_cndmask_b32_e32 v30, v30, v32, vcc
	v_and_or_b32 v12, v12, s36, v31
	v_lshl_or_b32 v12, v30, 7, v12
	v_cvt_f32_f16_e32 v30, v12
.LBB281_278:                            ;   in Loop: Header=BB281_243 Depth=1
	s_or_b64 exec, exec, s[22:23]
.LBB281_279:                            ;   in Loop: Header=BB281_243 Depth=1
	s_or_b64 exec, exec, s[6:7]
.LBB281_280:                            ;   in Loop: Header=BB281_243 Depth=1
	s_or_b64 exec, exec, s[2:3]
	v_lshrrev_b32_e32 v12, 16, v23
	v_cmp_ne_u16_sdwa s[6:7], v12, v13 src0_sel:BYTE_0 src1_sel:DWORD
	v_mov_b32_e32 v32, 0
	v_mov_b32_e32 v33, 0
	s_and_saveexec_b64 s[2:3], s[6:7]
	s_cbranch_execz .LBB281_286
; %bb.281:                              ;   in Loop: Header=BB281_243 Depth=1
	v_cmp_ne_u16_sdwa s[22:23], v12, s30 src0_sel:BYTE_0 src1_sel:DWORD
	v_bfrev_b32_e32 v33, 1
	s_and_saveexec_b64 s[6:7], s[22:23]
	s_cbranch_execz .LBB281_285
; %bb.282:                              ;   in Loop: Header=BB281_243 Depth=1
	v_bfe_u32 v31, v23, 16, 7
	v_cmp_ne_u32_e32 vcc, s31, v31
	v_mov_b32_e32 v33, 0x7fc02000
	s_and_saveexec_b64 s[22:23], vcc
	s_cbranch_execz .LBB281_284
; %bb.283:                              ;   in Loop: Header=BB281_243 Depth=1
	v_and_b32_e32 v33, 7, v12
	v_ffbh_u32_e32 v34, v33
	v_min_u32_e32 v40, 32, v34
	v_subrev_u32_e32 v34, 28, v40
	v_lshlrev_b64 v[34:35], v34, v[12:13]
	v_lshrrev_b32_e32 v36, 3, v31
	v_sub_u32_e32 v35, 29, v40
	v_cmp_gt_u32_e32 vcc, 8, v31
	v_cndmask_b32_e32 v31, v36, v35, vcc
	v_and_b32_e32 v34, 7, v34
	v_lshlrev_b32_e32 v12, 8, v12
	v_lshl_add_u32 v31, v31, 10, v28
	v_cndmask_b32_e32 v33, v33, v34, vcc
	v_and_or_b32 v12, v12, s36, v31
	v_lshl_or_b32 v12, v33, 7, v12
	v_cvt_f32_f16_e32 v33, v12
.LBB281_284:                            ;   in Loop: Header=BB281_243 Depth=1
	s_or_b64 exec, exec, s[22:23]
.LBB281_285:                            ;   in Loop: Header=BB281_243 Depth=1
	s_or_b64 exec, exec, s[6:7]
.LBB281_286:                            ;   in Loop: Header=BB281_243 Depth=1
	s_or_b64 exec, exec, s[2:3]
	v_cmp_lt_u64_e32 vcc, s[16:17], v[22:23]
	s_and_saveexec_b64 s[2:3], vcc
	s_cbranch_execz .LBB281_292
; %bb.287:                              ;   in Loop: Header=BB281_243 Depth=1
	v_lshrrev_b32_e32 v12, 24, v23
	v_cmp_ne_u32_e32 vcc, s30, v12
	v_bfrev_b32_e32 v32, 1
	s_and_saveexec_b64 s[6:7], vcc
	s_cbranch_execz .LBB281_291
; %bb.288:                              ;   in Loop: Header=BB281_243 Depth=1
	v_and_b32_e32 v22, 0x7f, v12
	v_cmp_ne_u32_e32 vcc, s31, v22
	v_mov_b32_e32 v32, 0x7fc02000
	s_and_saveexec_b64 s[22:23], vcc
	s_cbranch_execz .LBB281_290
; %bb.289:                              ;   in Loop: Header=BB281_243 Depth=1
	v_and_b32_e32 v23, 7, v12
	v_ffbh_u32_e32 v32, v23
	v_min_u32_e32 v32, 32, v32
	v_lshrrev_b32_e32 v31, 3, v22
	v_subrev_u32_e32 v34, 28, v32
	v_sub_u32_e32 v32, 29, v32
	v_cmp_gt_u32_e32 vcc, 8, v22
	v_lshlrev_b64 v[34:35], v34, v[12:13]
	v_cndmask_b32_e32 v22, v31, v32, vcc
	v_and_b32_e32 v34, 7, v34
	v_lshlrev_b32_e32 v12, 8, v12
	v_lshl_add_u32 v22, v22, 10, v28
	v_cndmask_b32_e32 v23, v23, v34, vcc
	v_and_or_b32 v12, v12, s36, v22
	v_lshl_or_b32 v12, v23, 7, v12
	v_cvt_f32_f16_e32 v32, v12
.LBB281_290:                            ;   in Loop: Header=BB281_243 Depth=1
	s_or_b64 exec, exec, s[22:23]
.LBB281_291:                            ;   in Loop: Header=BB281_243 Depth=1
	s_or_b64 exec, exec, s[6:7]
.LBB281_292:                            ;   in Loop: Header=BB281_243 Depth=1
	s_or_b64 exec, exec, s[2:3]
	s_waitcnt vmcnt(0)
	v_pk_mul_f32 v[20:21], v[16:17], v[20:21] op_sel_hi:[0,1]
	v_pk_mul_f32 v[18:19], v[16:17], v[18:19] op_sel_hi:[0,1]
	v_cvt_f16_f32_e32 v12, v21
	v_cvt_f16_f32_e32 v20, v20
	v_cvt_f16_f32_e32 v19, v19
	v_cvt_f16_f32_e32 v18, v18
	v_add_u32_e32 v31, v26, v1
	v_pack_b32_f16 v20, v20, v12
	v_cmp_eq_u32_e32 vcc, s28, v6
	v_pack_b32_f16 v18, v18, v19
	v_fma_mixlo_f16 v19, v16, v30, 0
	v_perm_b32 v12, v18, v20, s39
	v_perm_b32 v18, v18, v20, s40
	v_lshlrev_b32_e32 v19, 16, v19
	v_fma_mixlo_f16 v20, v16, v29, 0
	v_or_b32_sdwa v19, v19, v20 dst_sel:DWORD dst_unused:UNUSED_PAD src0_sel:DWORD src1_sel:WORD_0
	v_fma_mixlo_f16 v20, v16, v33, 0
	v_fma_mixlo_f16 v16, v16, v32, 0
	v_lshlrev_b32_e32 v16, 16, v16
	v_or_b32_sdwa v16, v16, v20 dst_sel:DWORD dst_unused:UNUSED_PAD src0_sel:DWORD src1_sel:WORD_0
	v_add_u32_e32 v36, 1, v31
	v_or_b32_e32 v35, 3, v31
	v_or_b32_e32 v34, 2, v31
	;; [unrolled: 1-line block ×6, first 2 shown]
	s_and_saveexec_b64 s[6:7], vcc
	s_cbranch_execz .LBB281_294
; %bb.293:                              ;   in Loop: Header=BB281_243 Depth=1
	v_lshrrev_b32_e32 v21, 16, v18
	v_cmp_gt_i32_e64 s[2:3], s29, v36
	v_cndmask_b32_e64 v21, 0, v21, s[2:3]
	v_cmp_gt_i32_e64 s[2:3], s33, v31
	v_cndmask_b32_e64 v18, 0, v18, s[2:3]
	v_perm_b32 v18, v21, v18, s41
	v_lshrrev_b32_e32 v21, 16, v12
	v_cmp_gt_i32_e64 s[2:3], s29, v35
	v_cndmask_b32_e64 v21, 0, v21, s[2:3]
	v_cmp_gt_i32_e64 s[2:3], s33, v34
	v_cndmask_b32_e64 v12, 0, v12, s[2:3]
	v_perm_b32 v12, v21, v12, s41
	v_lshrrev_b32_e32 v21, 16, v19
	v_cmp_gt_i32_e64 s[2:3], s29, v33
	v_cndmask_b32_e64 v21, 0, v21, s[2:3]
	v_cmp_gt_i32_e64 s[2:3], s33, v32
	v_cndmask_b32_e64 v19, 0, v19, s[2:3]
	v_lshrrev_b32_e32 v16, 16, v16
	v_cmp_gt_i32_e64 s[2:3], s29, v30
	v_cndmask_b32_e64 v16, 0, v16, s[2:3]
	v_cmp_gt_i32_e64 s[2:3], s33, v29
	v_cndmask_b32_e64 v20, 0, v20, s[2:3]
	v_perm_b32 v19, v21, v19, s41
	v_perm_b32 v16, v16, v20, s41
.LBB281_294:                            ;   in Loop: Header=BB281_243 Depth=1
	s_or_b64 exec, exec, s[6:7]
	v_and_b32_e32 v20, 0xffff, v37
	v_lshl_or_b32 v40, v38, 16, v20
	v_and_b32_e32 v20, 0xffff, v39
	v_lshl_or_b32 v39, v41, 16, v20
	;; [unrolled: 2-line block ×3, first 2 shown]
	v_and_b32_e32 v20, 0xffff, v44
	;;#ASMSTART
	v_pk_mul_f16 v18, v40, v18;

	;;#ASMEND
	;;#ASMSTART
	v_pk_mul_f16 v12, v39, v12;

	;;#ASMEND
	v_lshl_or_b32 v37, v45, 16, v20
	;;#ASMSTART
	v_pk_mul_f16 v19, v38, v19;

	;;#ASMEND
	;;#ASMSTART
	v_pk_mul_f16 v16, v37, v16;

	;;#ASMEND
	;;#ASMSTART
	v_pk_add_f16 v12, v18, v12;

	;;#ASMEND
	;;#ASMSTART
	v_pk_add_f16 v12, v12, v19;

	;;#ASMEND
	;;#ASMSTART
	v_pk_add_f16 v12, v12, v16;

	;;#ASMEND
	v_lshrrev_b32_e32 v16, 16, v12
	v_and_b32_e32 v12, 0xffff, v12
	;;#ASMSTART
	v_cvt_f32_f16 v41, v12;
	;;#ASMEND
	;;#ASMSTART
	v_cvt_f32_f16 v42, v16;
	;;#ASMEND
	global_load_dwordx2 v[22:23], v[14:15], off offset:512
	global_load_dword v16, v13, s[18:19]
	v_mov_b32_e32 v20, 0
	v_mov_b32_e32 v18, 0
	s_waitcnt vmcnt(1)
	v_cmp_ne_u16_sdwa s[2:3], v22, v13 src0_sel:BYTE_0 src1_sel:DWORD
	s_and_saveexec_b64 s[6:7], s[2:3]
	s_cbranch_execz .LBB281_300
; %bb.295:                              ;   in Loop: Header=BB281_243 Depth=1
	v_cmp_ne_u16_sdwa s[2:3], v22, s30 src0_sel:BYTE_0 src1_sel:DWORD
	v_bfrev_b32_e32 v18, 1
	s_and_saveexec_b64 s[22:23], s[2:3]
	s_cbranch_execz .LBB281_299
; %bb.296:                              ;   in Loop: Header=BB281_243 Depth=1
	v_and_b32_e32 v12, 0x7f, v22
	v_cmp_ne_u32_e64 s[2:3], s31, v12
	v_mov_b32_e32 v18, 0x7fc02000
	s_and_saveexec_b64 s[24:25], s[2:3]
	s_cbranch_execz .LBB281_298
; %bb.297:                              ;   in Loop: Header=BB281_243 Depth=1
	v_and_b32_e32 v18, 7, v22
	v_ffbh_u32_e32 v18, v18
	v_min_u32_e32 v18, 32, v18
	v_subrev_u32_e32 v19, 28, v18
	v_cmp_gt_u32_e64 s[2:3], 8, v12
	v_lshrrev_b32_e32 v21, 3, v12
	v_sub_u32_e32 v43, 29, v18
	v_cndmask_b32_e64 v12, 0, v19, s[2:3]
	v_lshlrev_b64 v[18:19], v12, v[22:23]
	v_cndmask_b32_e64 v12, v21, v43, s[2:3]
	v_lshlrev_b32_e32 v19, 8, v22
	v_lshl_add_u32 v12, v12, 10, v28
	v_lshlrev_b32_e32 v18, 7, v18
	v_and_or_b32 v12, v19, s36, v12
	v_and_or_b32 v12, v18, s38, v12
	v_cvt_f32_f16_e32 v18, v12
.LBB281_298:                            ;   in Loop: Header=BB281_243 Depth=1
	s_or_b64 exec, exec, s[24:25]
.LBB281_299:                            ;   in Loop: Header=BB281_243 Depth=1
	s_or_b64 exec, exec, s[22:23]
.LBB281_300:                            ;   in Loop: Header=BB281_243 Depth=1
	s_or_b64 exec, exec, s[6:7]
	v_lshrrev_b16_e32 v12, 8, v22
	v_cmp_ne_u16_e64 s[2:3], 0, v12
	s_and_saveexec_b64 s[6:7], s[2:3]
	s_cbranch_execz .LBB281_306
; %bb.301:                              ;   in Loop: Header=BB281_243 Depth=1
	v_cmp_ne_u16_e64 s[2:3], s30, v12
	v_bfrev_b32_e32 v20, 1
	s_and_saveexec_b64 s[22:23], s[2:3]
	s_cbranch_execz .LBB281_305
; %bb.302:                              ;   in Loop: Header=BB281_243 Depth=1
	v_and_b32_e32 v19, 0x7f, v12
	v_cmp_ne_u32_e64 s[2:3], s31, v19
	v_mov_b32_e32 v20, 0x7fc02000
	s_and_saveexec_b64 s[24:25], s[2:3]
	s_cbranch_execz .LBB281_304
; %bb.303:                              ;   in Loop: Header=BB281_243 Depth=1
	v_and_b32_e32 v43, 7, v12
	v_ffbh_u32_e32 v20, v43
	v_min_u32_e32 v45, 32, v20
	v_subrev_u32_e32 v20, 28, v45
	v_lshlrev_b64 v[20:21], v20, v[12:13]
	v_lshrrev_b32_e32 v44, 3, v19
	v_sub_u32_e32 v21, 29, v45
	v_cmp_gt_u32_e64 s[2:3], 8, v19
	v_cndmask_b32_e64 v19, v44, v21, s[2:3]
	v_and_b32_e32 v20, 7, v20
	v_lshlrev_b32_e32 v12, 8, v12
	v_lshl_add_u32 v19, v19, 10, v28
	v_cndmask_b32_e64 v20, v43, v20, s[2:3]
	v_and_or_b32 v12, v12, s36, v19
	v_lshl_or_b32 v12, v20, 7, v12
	v_cvt_f32_f16_e32 v20, v12
.LBB281_304:                            ;   in Loop: Header=BB281_243 Depth=1
	s_or_b64 exec, exec, s[24:25]
.LBB281_305:                            ;   in Loop: Header=BB281_243 Depth=1
	s_or_b64 exec, exec, s[22:23]
.LBB281_306:                            ;   in Loop: Header=BB281_243 Depth=1
	s_or_b64 exec, exec, s[6:7]
	v_lshrrev_b32_e32 v12, 16, v22
	v_cmp_ne_u16_sdwa s[2:3], v12, v13 src0_sel:BYTE_0 src1_sel:DWORD
	v_mov_b32_e32 v21, 0
	v_mov_b32_e32 v19, 0
	s_and_saveexec_b64 s[6:7], s[2:3]
	s_cbranch_execz .LBB281_312
; %bb.307:                              ;   in Loop: Header=BB281_243 Depth=1
	v_cmp_ne_u16_sdwa s[2:3], v12, s30 src0_sel:BYTE_0 src1_sel:DWORD
	v_bfrev_b32_e32 v19, 1
	s_and_saveexec_b64 s[22:23], s[2:3]
	s_cbranch_execz .LBB281_311
; %bb.308:                              ;   in Loop: Header=BB281_243 Depth=1
	v_bfe_u32 v43, v22, 16, 7
	v_cmp_ne_u32_e64 s[2:3], s31, v43
	v_mov_b32_e32 v19, 0x7fc02000
	s_and_saveexec_b64 s[24:25], s[2:3]
	s_cbranch_execz .LBB281_310
; %bb.309:                              ;   in Loop: Header=BB281_243 Depth=1
	v_and_b32_e32 v19, 7, v12
	v_ffbh_u32_e32 v44, v19
	v_min_u32_e32 v47, 32, v44
	v_subrev_u32_e32 v44, 28, v47
	v_lshlrev_b64 v[44:45], v44, v[12:13]
	v_lshrrev_b32_e32 v46, 3, v43
	v_sub_u32_e32 v45, 29, v47
	v_cmp_gt_u32_e64 s[2:3], 8, v43
	v_cndmask_b32_e64 v43, v46, v45, s[2:3]
	v_and_b32_e32 v44, 7, v44
	v_lshlrev_b32_e32 v12, 8, v12
	v_lshl_add_u32 v43, v43, 10, v28
	v_cndmask_b32_e64 v19, v19, v44, s[2:3]
	v_and_or_b32 v12, v12, s36, v43
	v_lshl_or_b32 v12, v19, 7, v12
	v_cvt_f32_f16_e32 v19, v12
.LBB281_310:                            ;   in Loop: Header=BB281_243 Depth=1
	s_or_b64 exec, exec, s[24:25]
.LBB281_311:                            ;   in Loop: Header=BB281_243 Depth=1
	s_or_b64 exec, exec, s[22:23]
.LBB281_312:                            ;   in Loop: Header=BB281_243 Depth=1
	s_or_b64 exec, exec, s[6:7]
	v_cmp_lt_u32_e64 s[2:3], s17, v22
	s_and_saveexec_b64 s[6:7], s[2:3]
	s_cbranch_execz .LBB281_318
; %bb.313:                              ;   in Loop: Header=BB281_243 Depth=1
	v_lshrrev_b32_e32 v12, 24, v22
	v_cmp_ne_u32_e64 s[2:3], s30, v12
	v_bfrev_b32_e32 v21, 1
	s_and_saveexec_b64 s[22:23], s[2:3]
	s_cbranch_execz .LBB281_317
; %bb.314:                              ;   in Loop: Header=BB281_243 Depth=1
	v_and_b32_e32 v43, 0x7f, v12
	v_cmp_ne_u32_e64 s[2:3], s31, v43
	v_mov_b32_e32 v21, 0x7fc02000
	s_and_saveexec_b64 s[24:25], s[2:3]
	s_cbranch_execz .LBB281_316
; %bb.315:                              ;   in Loop: Header=BB281_243 Depth=1
	v_and_b32_e32 v21, 7, v12
	v_ffbh_u32_e32 v44, v21
	v_min_u32_e32 v47, 32, v44
	v_subrev_u32_e32 v44, 28, v47
	v_lshlrev_b64 v[44:45], v44, v[12:13]
	v_lshrrev_b32_e32 v46, 3, v43
	v_sub_u32_e32 v45, 29, v47
	v_cmp_gt_u32_e64 s[2:3], 8, v43
	v_cndmask_b32_e64 v43, v46, v45, s[2:3]
	v_and_b32_e32 v44, 7, v44
	v_lshlrev_b32_e32 v12, 8, v12
	v_lshl_add_u32 v43, v43, 10, v28
	v_cndmask_b32_e64 v21, v21, v44, s[2:3]
	v_and_or_b32 v12, v12, s36, v43
	v_lshl_or_b32 v12, v21, 7, v12
	v_cvt_f32_f16_e32 v21, v12
.LBB281_316:                            ;   in Loop: Header=BB281_243 Depth=1
	s_or_b64 exec, exec, s[24:25]
.LBB281_317:                            ;   in Loop: Header=BB281_243 Depth=1
	s_or_b64 exec, exec, s[22:23]
.LBB281_318:                            ;   in Loop: Header=BB281_243 Depth=1
	s_or_b64 exec, exec, s[6:7]
	v_mov_b32_e32 v12, v23
	v_cmp_ne_u16_sdwa s[2:3], v23, v13 src0_sel:BYTE_0 src1_sel:DWORD
	v_mov_b32_e32 v44, 0
	v_mov_b32_e32 v43, 0
	s_and_saveexec_b64 s[6:7], s[2:3]
	s_cbranch_execz .LBB281_324
; %bb.319:                              ;   in Loop: Header=BB281_243 Depth=1
	v_cmp_ne_u16_sdwa s[2:3], v23, s30 src0_sel:BYTE_0 src1_sel:DWORD
	v_bfrev_b32_e32 v43, 1
	s_and_saveexec_b64 s[22:23], s[2:3]
	s_cbranch_execz .LBB281_323
; %bb.320:                              ;   in Loop: Header=BB281_243 Depth=1
	v_and_b32_e32 v45, 0x7f, v23
	v_cmp_ne_u32_e64 s[2:3], s31, v45
	v_mov_b32_e32 v43, 0x7fc02000
	s_and_saveexec_b64 s[24:25], s[2:3]
	s_cbranch_execz .LBB281_322
; %bb.321:                              ;   in Loop: Header=BB281_243 Depth=1
	v_and_b32_e32 v43, 7, v23
	v_ffbh_u32_e32 v43, v43
	v_min_u32_e32 v43, 32, v43
	v_subrev_u32_e32 v46, 28, v43
	v_cmp_gt_u32_e64 s[2:3], 8, v45
	v_lshrrev_b32_e32 v48, 3, v45
	v_sub_u32_e32 v43, 29, v43
	v_cndmask_b32_e64 v45, 0, v46, s[2:3]
	v_lshlrev_b64 v[46:47], v45, v[12:13]
	v_cndmask_b32_e64 v43, v48, v43, s[2:3]
	v_lshlrev_b32_e32 v45, 7, v46
	v_lshlrev_b32_e32 v46, 8, v23
	v_lshl_add_u32 v43, v43, 10, v28
	v_and_or_b32 v43, v46, s36, v43
	v_and_or_b32 v43, v45, s38, v43
	v_cvt_f32_f16_e32 v43, v43
.LBB281_322:                            ;   in Loop: Header=BB281_243 Depth=1
	s_or_b64 exec, exec, s[24:25]
.LBB281_323:                            ;   in Loop: Header=BB281_243 Depth=1
	s_or_b64 exec, exec, s[22:23]
.LBB281_324:                            ;   in Loop: Header=BB281_243 Depth=1
	s_or_b64 exec, exec, s[6:7]
	v_lshrrev_b16_e32 v12, 8, v12
	v_cmp_ne_u16_e64 s[2:3], 0, v12
	s_and_saveexec_b64 s[6:7], s[2:3]
	s_cbranch_execz .LBB281_330
; %bb.325:                              ;   in Loop: Header=BB281_243 Depth=1
	v_cmp_ne_u16_e64 s[2:3], s30, v12
	v_bfrev_b32_e32 v44, 1
	s_and_saveexec_b64 s[22:23], s[2:3]
	s_cbranch_execz .LBB281_329
; %bb.326:                              ;   in Loop: Header=BB281_243 Depth=1
	v_and_b32_e32 v45, 0x7f, v12
	v_cmp_ne_u32_e64 s[2:3], s31, v45
	v_mov_b32_e32 v44, 0x7fc02000
	s_and_saveexec_b64 s[24:25], s[2:3]
	s_cbranch_execz .LBB281_328
; %bb.327:                              ;   in Loop: Header=BB281_243 Depth=1
	v_and_b32_e32 v44, 7, v12
	v_ffbh_u32_e32 v46, v44
	v_min_u32_e32 v49, 32, v46
	v_subrev_u32_e32 v46, 28, v49
	v_lshlrev_b64 v[46:47], v46, v[12:13]
	v_lshrrev_b32_e32 v48, 3, v45
	v_sub_u32_e32 v47, 29, v49
	v_cmp_gt_u32_e64 s[2:3], 8, v45
	v_cndmask_b32_e64 v45, v48, v47, s[2:3]
	v_and_b32_e32 v46, 7, v46
	v_lshlrev_b32_e32 v12, 8, v12
	v_lshl_add_u32 v45, v45, 10, v28
	v_cndmask_b32_e64 v44, v44, v46, s[2:3]
	v_and_or_b32 v12, v12, s36, v45
	v_lshl_or_b32 v12, v44, 7, v12
	v_cvt_f32_f16_e32 v44, v12
.LBB281_328:                            ;   in Loop: Header=BB281_243 Depth=1
	s_or_b64 exec, exec, s[24:25]
.LBB281_329:                            ;   in Loop: Header=BB281_243 Depth=1
	s_or_b64 exec, exec, s[22:23]
.LBB281_330:                            ;   in Loop: Header=BB281_243 Depth=1
	s_or_b64 exec, exec, s[6:7]
	v_lshrrev_b32_e32 v12, 16, v23
	v_cmp_ne_u16_sdwa s[2:3], v12, v13 src0_sel:BYTE_0 src1_sel:DWORD
	v_mov_b32_e32 v45, 0
	v_mov_b32_e32 v46, 0
	s_and_saveexec_b64 s[6:7], s[2:3]
	s_cbranch_execz .LBB281_336
; %bb.331:                              ;   in Loop: Header=BB281_243 Depth=1
	v_cmp_ne_u16_sdwa s[2:3], v12, s30 src0_sel:BYTE_0 src1_sel:DWORD
	v_bfrev_b32_e32 v46, 1
	s_and_saveexec_b64 s[22:23], s[2:3]
	s_cbranch_execz .LBB281_335
; %bb.332:                              ;   in Loop: Header=BB281_243 Depth=1
	v_bfe_u32 v47, v23, 16, 7
	v_cmp_ne_u32_e64 s[2:3], s31, v47
	v_mov_b32_e32 v46, 0x7fc02000
	s_and_saveexec_b64 s[24:25], s[2:3]
	s_cbranch_execz .LBB281_334
; %bb.333:                              ;   in Loop: Header=BB281_243 Depth=1
	v_and_b32_e32 v46, 7, v12
	v_ffbh_u32_e32 v48, v46
	v_min_u32_e32 v51, 32, v48
	v_subrev_u32_e32 v48, 28, v51
	v_lshlrev_b64 v[48:49], v48, v[12:13]
	v_lshrrev_b32_e32 v50, 3, v47
	v_sub_u32_e32 v49, 29, v51
	v_cmp_gt_u32_e64 s[2:3], 8, v47
	v_cndmask_b32_e64 v47, v50, v49, s[2:3]
	v_and_b32_e32 v48, 7, v48
	v_lshlrev_b32_e32 v12, 8, v12
	v_lshl_add_u32 v47, v47, 10, v28
	v_cndmask_b32_e64 v46, v46, v48, s[2:3]
	v_and_or_b32 v12, v12, s36, v47
	v_lshl_or_b32 v12, v46, 7, v12
	v_cvt_f32_f16_e32 v46, v12
.LBB281_334:                            ;   in Loop: Header=BB281_243 Depth=1
	s_or_b64 exec, exec, s[24:25]
.LBB281_335:                            ;   in Loop: Header=BB281_243 Depth=1
	s_or_b64 exec, exec, s[22:23]
.LBB281_336:                            ;   in Loop: Header=BB281_243 Depth=1
	s_or_b64 exec, exec, s[6:7]
	v_cmp_lt_u64_e64 s[2:3], s[16:17], v[22:23]
	s_and_saveexec_b64 s[6:7], s[2:3]
	s_cbranch_execz .LBB281_342
; %bb.337:                              ;   in Loop: Header=BB281_243 Depth=1
	v_lshrrev_b32_e32 v12, 24, v23
	v_cmp_ne_u32_e64 s[2:3], s30, v12
	v_bfrev_b32_e32 v45, 1
	s_and_saveexec_b64 s[22:23], s[2:3]
	s_cbranch_execz .LBB281_341
; %bb.338:                              ;   in Loop: Header=BB281_243 Depth=1
	v_and_b32_e32 v22, 0x7f, v12
	v_cmp_ne_u32_e64 s[2:3], s31, v22
	v_mov_b32_e32 v45, 0x7fc02000
	s_and_saveexec_b64 s[24:25], s[2:3]
	s_cbranch_execz .LBB281_340
; %bb.339:                              ;   in Loop: Header=BB281_243 Depth=1
	v_and_b32_e32 v23, 7, v12
	v_ffbh_u32_e32 v47, v23
	v_min_u32_e32 v47, 32, v47
	v_lshrrev_b32_e32 v45, 3, v22
	v_subrev_u32_e32 v48, 28, v47
	v_sub_u32_e32 v47, 29, v47
	v_cmp_gt_u32_e64 s[2:3], 8, v22
	v_lshlrev_b64 v[48:49], v48, v[12:13]
	v_cndmask_b32_e64 v22, v45, v47, s[2:3]
	v_and_b32_e32 v48, 7, v48
	v_lshlrev_b32_e32 v12, 8, v12
	v_lshl_add_u32 v22, v22, 10, v28
	v_cndmask_b32_e64 v23, v23, v48, s[2:3]
	v_and_or_b32 v12, v12, s36, v22
	v_lshl_or_b32 v12, v23, 7, v12
	v_cvt_f32_f16_e32 v45, v12
.LBB281_340:                            ;   in Loop: Header=BB281_243 Depth=1
	s_or_b64 exec, exec, s[24:25]
.LBB281_341:                            ;   in Loop: Header=BB281_243 Depth=1
	s_or_b64 exec, exec, s[22:23]
.LBB281_342:                            ;   in Loop: Header=BB281_243 Depth=1
	s_or_b64 exec, exec, s[6:7]
	s_waitcnt vmcnt(0)
	v_pk_mul_f32 v[20:21], v[16:17], v[20:21] op_sel_hi:[0,1]
	v_pk_mul_f32 v[18:19], v[16:17], v[18:19] op_sel_hi:[0,1]
	v_cvt_f16_f32_e32 v12, v21
	v_cvt_f16_f32_e32 v20, v20
	v_cvt_f16_f32_e32 v19, v19
	v_cvt_f16_f32_e32 v18, v18
	v_pack_b32_f16 v20, v20, v12
	v_pack_b32_f16 v18, v18, v19
	v_fma_mixlo_f16 v19, v16, v44, 0
	v_perm_b32 v12, v18, v20, s39
	v_perm_b32 v18, v18, v20, s40
	v_lshlrev_b32_e32 v19, 16, v19
	v_fma_mixlo_f16 v20, v16, v43, 0
	v_or_b32_sdwa v19, v19, v20 dst_sel:DWORD dst_unused:UNUSED_PAD src0_sel:DWORD src1_sel:WORD_0
	v_fma_mixlo_f16 v20, v16, v46, 0
	v_fma_mixlo_f16 v16, v16, v45, 0
	v_lshlrev_b32_e32 v16, 16, v16
	v_or_b32_sdwa v16, v16, v20 dst_sel:DWORD dst_unused:UNUSED_PAD src0_sel:DWORD src1_sel:WORD_0
	s_and_saveexec_b64 s[6:7], vcc
	s_cbranch_execz .LBB281_344
; %bb.343:                              ;   in Loop: Header=BB281_243 Depth=1
	v_lshrrev_b32_e32 v21, 16, v18
	v_cmp_gt_i32_e64 s[2:3], s29, v36
	v_cndmask_b32_e64 v21, 0, v21, s[2:3]
	v_cmp_gt_i32_e64 s[2:3], s33, v31
	v_cndmask_b32_e64 v18, 0, v18, s[2:3]
	v_perm_b32 v18, v21, v18, s41
	v_lshrrev_b32_e32 v21, 16, v12
	v_cmp_gt_i32_e64 s[2:3], s29, v35
	v_cndmask_b32_e64 v21, 0, v21, s[2:3]
	v_cmp_gt_i32_e64 s[2:3], s33, v34
	v_cndmask_b32_e64 v12, 0, v12, s[2:3]
	v_perm_b32 v12, v21, v12, s41
	v_lshrrev_b32_e32 v21, 16, v19
	v_cmp_gt_i32_e64 s[2:3], s29, v33
	v_cndmask_b32_e64 v21, 0, v21, s[2:3]
	v_cmp_gt_i32_e64 s[2:3], s33, v32
	v_cndmask_b32_e64 v19, 0, v19, s[2:3]
	v_lshrrev_b32_e32 v16, 16, v16
	v_cmp_gt_i32_e64 s[2:3], s29, v30
	v_cndmask_b32_e64 v16, 0, v16, s[2:3]
	v_cmp_gt_i32_e64 s[2:3], s33, v29
	v_cndmask_b32_e64 v20, 0, v20, s[2:3]
	v_perm_b32 v19, v21, v19, s41
	v_perm_b32 v16, v16, v20, s41
.LBB281_344:                            ;   in Loop: Header=BB281_243 Depth=1
	s_or_b64 exec, exec, s[6:7]
	;;#ASMSTART
	v_pk_mul_f16 v18, v40, v18;

	;;#ASMEND
	;;#ASMSTART
	v_pk_mul_f16 v12, v39, v12;

	;;#ASMEND
	;; [unrolled: 4-line block ×4, first 2 shown]
	;;#ASMSTART
	v_pk_add_f16 v12, v18, v12;

	;;#ASMEND
	;;#ASMSTART
	v_pk_add_f16 v12, v12, v19;

	;;#ASMEND
	;; [unrolled: 4-line block ×3, first 2 shown]
	v_lshrrev_b32_e32 v16, 16, v12
	v_and_b32_e32 v12, 0xffff, v12
	;;#ASMSTART
	v_cvt_f32_f16 v43, v12;
	;;#ASMEND
	;;#ASMSTART
	v_cvt_f32_f16 v44, v16;
	;;#ASMEND
	global_load_dwordx2 v[22:23], v[14:15], off offset:1024
	global_load_dword v16, v13, s[18:19]
	v_mov_b32_e32 v20, 0
	v_mov_b32_e32 v18, 0
	s_waitcnt vmcnt(1)
	v_cmp_ne_u16_sdwa s[2:3], v22, v13 src0_sel:BYTE_0 src1_sel:DWORD
	s_and_saveexec_b64 s[6:7], s[2:3]
	s_cbranch_execz .LBB281_350
; %bb.345:                              ;   in Loop: Header=BB281_243 Depth=1
	v_cmp_ne_u16_sdwa s[2:3], v22, s30 src0_sel:BYTE_0 src1_sel:DWORD
	v_bfrev_b32_e32 v18, 1
	s_and_saveexec_b64 s[22:23], s[2:3]
	s_cbranch_execz .LBB281_349
; %bb.346:                              ;   in Loop: Header=BB281_243 Depth=1
	v_and_b32_e32 v12, 0x7f, v22
	v_cmp_ne_u32_e64 s[2:3], s31, v12
	v_mov_b32_e32 v18, 0x7fc02000
	s_and_saveexec_b64 s[24:25], s[2:3]
	s_cbranch_execz .LBB281_348
; %bb.347:                              ;   in Loop: Header=BB281_243 Depth=1
	v_and_b32_e32 v18, 7, v22
	v_ffbh_u32_e32 v18, v18
	v_min_u32_e32 v18, 32, v18
	v_subrev_u32_e32 v19, 28, v18
	v_cmp_gt_u32_e64 s[2:3], 8, v12
	v_lshrrev_b32_e32 v21, 3, v12
	v_sub_u32_e32 v45, 29, v18
	v_cndmask_b32_e64 v12, 0, v19, s[2:3]
	v_lshlrev_b64 v[18:19], v12, v[22:23]
	v_cndmask_b32_e64 v12, v21, v45, s[2:3]
	v_lshlrev_b32_e32 v19, 8, v22
	v_lshl_add_u32 v12, v12, 10, v28
	v_lshlrev_b32_e32 v18, 7, v18
	v_and_or_b32 v12, v19, s36, v12
	v_and_or_b32 v12, v18, s38, v12
	v_cvt_f32_f16_e32 v18, v12
.LBB281_348:                            ;   in Loop: Header=BB281_243 Depth=1
	s_or_b64 exec, exec, s[24:25]
.LBB281_349:                            ;   in Loop: Header=BB281_243 Depth=1
	s_or_b64 exec, exec, s[22:23]
.LBB281_350:                            ;   in Loop: Header=BB281_243 Depth=1
	s_or_b64 exec, exec, s[6:7]
	v_lshrrev_b16_e32 v12, 8, v22
	v_cmp_ne_u16_e64 s[2:3], 0, v12
	s_and_saveexec_b64 s[6:7], s[2:3]
	s_cbranch_execz .LBB281_356
; %bb.351:                              ;   in Loop: Header=BB281_243 Depth=1
	v_cmp_ne_u16_e64 s[2:3], s30, v12
	v_bfrev_b32_e32 v20, 1
	s_and_saveexec_b64 s[22:23], s[2:3]
	s_cbranch_execz .LBB281_355
; %bb.352:                              ;   in Loop: Header=BB281_243 Depth=1
	v_and_b32_e32 v19, 0x7f, v12
	v_cmp_ne_u32_e64 s[2:3], s31, v19
	v_mov_b32_e32 v20, 0x7fc02000
	s_and_saveexec_b64 s[24:25], s[2:3]
	s_cbranch_execz .LBB281_354
; %bb.353:                              ;   in Loop: Header=BB281_243 Depth=1
	v_and_b32_e32 v45, 7, v12
	v_ffbh_u32_e32 v20, v45
	v_min_u32_e32 v47, 32, v20
	v_subrev_u32_e32 v20, 28, v47
	v_lshlrev_b64 v[20:21], v20, v[12:13]
	v_lshrrev_b32_e32 v46, 3, v19
	v_sub_u32_e32 v21, 29, v47
	v_cmp_gt_u32_e64 s[2:3], 8, v19
	v_cndmask_b32_e64 v19, v46, v21, s[2:3]
	v_and_b32_e32 v20, 7, v20
	v_lshlrev_b32_e32 v12, 8, v12
	v_lshl_add_u32 v19, v19, 10, v28
	v_cndmask_b32_e64 v20, v45, v20, s[2:3]
	v_and_or_b32 v12, v12, s36, v19
	v_lshl_or_b32 v12, v20, 7, v12
	v_cvt_f32_f16_e32 v20, v12
.LBB281_354:                            ;   in Loop: Header=BB281_243 Depth=1
	s_or_b64 exec, exec, s[24:25]
.LBB281_355:                            ;   in Loop: Header=BB281_243 Depth=1
	s_or_b64 exec, exec, s[22:23]
.LBB281_356:                            ;   in Loop: Header=BB281_243 Depth=1
	s_or_b64 exec, exec, s[6:7]
	v_lshrrev_b32_e32 v12, 16, v22
	v_cmp_ne_u16_sdwa s[2:3], v12, v13 src0_sel:BYTE_0 src1_sel:DWORD
	v_mov_b32_e32 v21, 0
	v_mov_b32_e32 v19, 0
	s_and_saveexec_b64 s[6:7], s[2:3]
	s_cbranch_execz .LBB281_362
; %bb.357:                              ;   in Loop: Header=BB281_243 Depth=1
	v_cmp_ne_u16_sdwa s[2:3], v12, s30 src0_sel:BYTE_0 src1_sel:DWORD
	v_bfrev_b32_e32 v19, 1
	s_and_saveexec_b64 s[22:23], s[2:3]
	s_cbranch_execz .LBB281_361
; %bb.358:                              ;   in Loop: Header=BB281_243 Depth=1
	v_bfe_u32 v45, v22, 16, 7
	v_cmp_ne_u32_e64 s[2:3], s31, v45
	v_mov_b32_e32 v19, 0x7fc02000
	s_and_saveexec_b64 s[24:25], s[2:3]
	s_cbranch_execz .LBB281_360
; %bb.359:                              ;   in Loop: Header=BB281_243 Depth=1
	v_and_b32_e32 v19, 7, v12
	v_ffbh_u32_e32 v46, v19
	v_min_u32_e32 v49, 32, v46
	v_subrev_u32_e32 v46, 28, v49
	v_lshlrev_b64 v[46:47], v46, v[12:13]
	v_lshrrev_b32_e32 v48, 3, v45
	v_sub_u32_e32 v47, 29, v49
	v_cmp_gt_u32_e64 s[2:3], 8, v45
	v_cndmask_b32_e64 v45, v48, v47, s[2:3]
	v_and_b32_e32 v46, 7, v46
	v_lshlrev_b32_e32 v12, 8, v12
	v_lshl_add_u32 v45, v45, 10, v28
	v_cndmask_b32_e64 v19, v19, v46, s[2:3]
	v_and_or_b32 v12, v12, s36, v45
	v_lshl_or_b32 v12, v19, 7, v12
	v_cvt_f32_f16_e32 v19, v12
.LBB281_360:                            ;   in Loop: Header=BB281_243 Depth=1
	s_or_b64 exec, exec, s[24:25]
.LBB281_361:                            ;   in Loop: Header=BB281_243 Depth=1
	s_or_b64 exec, exec, s[22:23]
.LBB281_362:                            ;   in Loop: Header=BB281_243 Depth=1
	s_or_b64 exec, exec, s[6:7]
	v_cmp_lt_u32_e64 s[2:3], s17, v22
	s_and_saveexec_b64 s[6:7], s[2:3]
	s_cbranch_execz .LBB281_368
; %bb.363:                              ;   in Loop: Header=BB281_243 Depth=1
	v_lshrrev_b32_e32 v12, 24, v22
	v_cmp_ne_u32_e64 s[2:3], s30, v12
	v_bfrev_b32_e32 v21, 1
	s_and_saveexec_b64 s[22:23], s[2:3]
	s_cbranch_execz .LBB281_367
; %bb.364:                              ;   in Loop: Header=BB281_243 Depth=1
	v_and_b32_e32 v45, 0x7f, v12
	v_cmp_ne_u32_e64 s[2:3], s31, v45
	v_mov_b32_e32 v21, 0x7fc02000
	s_and_saveexec_b64 s[24:25], s[2:3]
	s_cbranch_execz .LBB281_366
; %bb.365:                              ;   in Loop: Header=BB281_243 Depth=1
	v_and_b32_e32 v21, 7, v12
	v_ffbh_u32_e32 v46, v21
	v_min_u32_e32 v49, 32, v46
	v_subrev_u32_e32 v46, 28, v49
	v_lshlrev_b64 v[46:47], v46, v[12:13]
	v_lshrrev_b32_e32 v48, 3, v45
	v_sub_u32_e32 v47, 29, v49
	v_cmp_gt_u32_e64 s[2:3], 8, v45
	v_cndmask_b32_e64 v45, v48, v47, s[2:3]
	v_and_b32_e32 v46, 7, v46
	v_lshlrev_b32_e32 v12, 8, v12
	v_lshl_add_u32 v45, v45, 10, v28
	v_cndmask_b32_e64 v21, v21, v46, s[2:3]
	v_and_or_b32 v12, v12, s36, v45
	v_lshl_or_b32 v12, v21, 7, v12
	v_cvt_f32_f16_e32 v21, v12
.LBB281_366:                            ;   in Loop: Header=BB281_243 Depth=1
	s_or_b64 exec, exec, s[24:25]
.LBB281_367:                            ;   in Loop: Header=BB281_243 Depth=1
	s_or_b64 exec, exec, s[22:23]
.LBB281_368:                            ;   in Loop: Header=BB281_243 Depth=1
	s_or_b64 exec, exec, s[6:7]
	v_mov_b32_e32 v12, v23
	v_cmp_ne_u16_sdwa s[2:3], v23, v13 src0_sel:BYTE_0 src1_sel:DWORD
	v_mov_b32_e32 v46, 0
	v_mov_b32_e32 v45, 0
	s_and_saveexec_b64 s[6:7], s[2:3]
	s_cbranch_execz .LBB281_374
; %bb.369:                              ;   in Loop: Header=BB281_243 Depth=1
	v_cmp_ne_u16_sdwa s[2:3], v23, s30 src0_sel:BYTE_0 src1_sel:DWORD
	v_bfrev_b32_e32 v45, 1
	s_and_saveexec_b64 s[22:23], s[2:3]
	s_cbranch_execz .LBB281_373
; %bb.370:                              ;   in Loop: Header=BB281_243 Depth=1
	v_and_b32_e32 v47, 0x7f, v23
	v_cmp_ne_u32_e64 s[2:3], s31, v47
	v_mov_b32_e32 v45, 0x7fc02000
	s_and_saveexec_b64 s[24:25], s[2:3]
	s_cbranch_execz .LBB281_372
; %bb.371:                              ;   in Loop: Header=BB281_243 Depth=1
	v_and_b32_e32 v45, 7, v23
	v_ffbh_u32_e32 v45, v45
	v_min_u32_e32 v45, 32, v45
	v_subrev_u32_e32 v48, 28, v45
	v_cmp_gt_u32_e64 s[2:3], 8, v47
	v_lshrrev_b32_e32 v50, 3, v47
	v_sub_u32_e32 v45, 29, v45
	v_cndmask_b32_e64 v47, 0, v48, s[2:3]
	v_lshlrev_b64 v[48:49], v47, v[12:13]
	v_cndmask_b32_e64 v45, v50, v45, s[2:3]
	v_lshlrev_b32_e32 v47, 7, v48
	v_lshlrev_b32_e32 v48, 8, v23
	v_lshl_add_u32 v45, v45, 10, v28
	v_and_or_b32 v45, v48, s36, v45
	v_and_or_b32 v45, v47, s38, v45
	v_cvt_f32_f16_e32 v45, v45
.LBB281_372:                            ;   in Loop: Header=BB281_243 Depth=1
	s_or_b64 exec, exec, s[24:25]
.LBB281_373:                            ;   in Loop: Header=BB281_243 Depth=1
	s_or_b64 exec, exec, s[22:23]
.LBB281_374:                            ;   in Loop: Header=BB281_243 Depth=1
	s_or_b64 exec, exec, s[6:7]
	v_lshrrev_b16_e32 v12, 8, v12
	v_cmp_ne_u16_e64 s[2:3], 0, v12
	s_and_saveexec_b64 s[6:7], s[2:3]
	s_cbranch_execz .LBB281_380
; %bb.375:                              ;   in Loop: Header=BB281_243 Depth=1
	v_cmp_ne_u16_e64 s[2:3], s30, v12
	v_bfrev_b32_e32 v46, 1
	s_and_saveexec_b64 s[22:23], s[2:3]
	s_cbranch_execz .LBB281_379
; %bb.376:                              ;   in Loop: Header=BB281_243 Depth=1
	v_and_b32_e32 v47, 0x7f, v12
	v_cmp_ne_u32_e64 s[2:3], s31, v47
	v_mov_b32_e32 v46, 0x7fc02000
	s_and_saveexec_b64 s[24:25], s[2:3]
	s_cbranch_execz .LBB281_378
; %bb.377:                              ;   in Loop: Header=BB281_243 Depth=1
	v_and_b32_e32 v46, 7, v12
	v_ffbh_u32_e32 v48, v46
	v_min_u32_e32 v51, 32, v48
	v_subrev_u32_e32 v48, 28, v51
	v_lshlrev_b64 v[48:49], v48, v[12:13]
	v_lshrrev_b32_e32 v50, 3, v47
	v_sub_u32_e32 v49, 29, v51
	v_cmp_gt_u32_e64 s[2:3], 8, v47
	v_cndmask_b32_e64 v47, v50, v49, s[2:3]
	v_and_b32_e32 v48, 7, v48
	v_lshlrev_b32_e32 v12, 8, v12
	v_lshl_add_u32 v47, v47, 10, v28
	v_cndmask_b32_e64 v46, v46, v48, s[2:3]
	v_and_or_b32 v12, v12, s36, v47
	v_lshl_or_b32 v12, v46, 7, v12
	v_cvt_f32_f16_e32 v46, v12
.LBB281_378:                            ;   in Loop: Header=BB281_243 Depth=1
	s_or_b64 exec, exec, s[24:25]
.LBB281_379:                            ;   in Loop: Header=BB281_243 Depth=1
	s_or_b64 exec, exec, s[22:23]
.LBB281_380:                            ;   in Loop: Header=BB281_243 Depth=1
	s_or_b64 exec, exec, s[6:7]
	v_lshrrev_b32_e32 v12, 16, v23
	v_cmp_ne_u16_sdwa s[2:3], v12, v13 src0_sel:BYTE_0 src1_sel:DWORD
	v_mov_b32_e32 v47, 0
	v_mov_b32_e32 v48, 0
	s_and_saveexec_b64 s[6:7], s[2:3]
	s_cbranch_execz .LBB281_386
; %bb.381:                              ;   in Loop: Header=BB281_243 Depth=1
	v_cmp_ne_u16_sdwa s[2:3], v12, s30 src0_sel:BYTE_0 src1_sel:DWORD
	v_bfrev_b32_e32 v48, 1
	s_and_saveexec_b64 s[22:23], s[2:3]
	s_cbranch_execz .LBB281_385
; %bb.382:                              ;   in Loop: Header=BB281_243 Depth=1
	v_bfe_u32 v49, v23, 16, 7
	v_cmp_ne_u32_e64 s[2:3], s31, v49
	v_mov_b32_e32 v48, 0x7fc02000
	s_and_saveexec_b64 s[24:25], s[2:3]
	s_cbranch_execz .LBB281_384
; %bb.383:                              ;   in Loop: Header=BB281_243 Depth=1
	v_and_b32_e32 v48, 7, v12
	v_ffbh_u32_e32 v50, v48
	v_min_u32_e32 v53, 32, v50
	v_subrev_u32_e32 v50, 28, v53
	v_lshlrev_b64 v[50:51], v50, v[12:13]
	v_lshrrev_b32_e32 v52, 3, v49
	v_sub_u32_e32 v51, 29, v53
	v_cmp_gt_u32_e64 s[2:3], 8, v49
	v_cndmask_b32_e64 v49, v52, v51, s[2:3]
	v_and_b32_e32 v50, 7, v50
	v_lshlrev_b32_e32 v12, 8, v12
	v_lshl_add_u32 v49, v49, 10, v28
	v_cndmask_b32_e64 v48, v48, v50, s[2:3]
	v_and_or_b32 v12, v12, s36, v49
	v_lshl_or_b32 v12, v48, 7, v12
	v_cvt_f32_f16_e32 v48, v12
.LBB281_384:                            ;   in Loop: Header=BB281_243 Depth=1
	s_or_b64 exec, exec, s[24:25]
.LBB281_385:                            ;   in Loop: Header=BB281_243 Depth=1
	s_or_b64 exec, exec, s[22:23]
.LBB281_386:                            ;   in Loop: Header=BB281_243 Depth=1
	s_or_b64 exec, exec, s[6:7]
	v_cmp_lt_u64_e64 s[2:3], s[16:17], v[22:23]
	s_and_saveexec_b64 s[6:7], s[2:3]
	s_cbranch_execz .LBB281_392
; %bb.387:                              ;   in Loop: Header=BB281_243 Depth=1
	v_lshrrev_b32_e32 v12, 24, v23
	v_cmp_ne_u32_e64 s[2:3], s30, v12
	v_bfrev_b32_e32 v47, 1
	s_and_saveexec_b64 s[22:23], s[2:3]
	s_cbranch_execz .LBB281_391
; %bb.388:                              ;   in Loop: Header=BB281_243 Depth=1
	v_and_b32_e32 v22, 0x7f, v12
	v_cmp_ne_u32_e64 s[2:3], s31, v22
	v_mov_b32_e32 v47, 0x7fc02000
	s_and_saveexec_b64 s[24:25], s[2:3]
	s_cbranch_execz .LBB281_390
; %bb.389:                              ;   in Loop: Header=BB281_243 Depth=1
	v_and_b32_e32 v23, 7, v12
	v_ffbh_u32_e32 v49, v23
	v_min_u32_e32 v49, 32, v49
	v_lshrrev_b32_e32 v47, 3, v22
	v_subrev_u32_e32 v50, 28, v49
	v_sub_u32_e32 v49, 29, v49
	v_cmp_gt_u32_e64 s[2:3], 8, v22
	v_lshlrev_b64 v[50:51], v50, v[12:13]
	v_cndmask_b32_e64 v22, v47, v49, s[2:3]
	v_and_b32_e32 v50, 7, v50
	v_lshlrev_b32_e32 v12, 8, v12
	v_lshl_add_u32 v22, v22, 10, v28
	v_cndmask_b32_e64 v23, v23, v50, s[2:3]
	v_and_or_b32 v12, v12, s36, v22
	v_lshl_or_b32 v12, v23, 7, v12
	v_cvt_f32_f16_e32 v47, v12
.LBB281_390:                            ;   in Loop: Header=BB281_243 Depth=1
	s_or_b64 exec, exec, s[24:25]
.LBB281_391:                            ;   in Loop: Header=BB281_243 Depth=1
	s_or_b64 exec, exec, s[22:23]
.LBB281_392:                            ;   in Loop: Header=BB281_243 Depth=1
	s_or_b64 exec, exec, s[6:7]
	s_waitcnt vmcnt(0)
	v_pk_mul_f32 v[20:21], v[16:17], v[20:21] op_sel_hi:[0,1]
	v_pk_mul_f32 v[18:19], v[16:17], v[18:19] op_sel_hi:[0,1]
	v_cvt_f16_f32_e32 v12, v21
	v_cvt_f16_f32_e32 v20, v20
	;; [unrolled: 1-line block ×4, first 2 shown]
	v_pack_b32_f16 v20, v20, v12
	v_pack_b32_f16 v18, v18, v19
	v_fma_mixlo_f16 v19, v16, v46, 0
	v_perm_b32 v12, v18, v20, s39
	v_perm_b32 v18, v18, v20, s40
	v_lshlrev_b32_e32 v19, 16, v19
	v_fma_mixlo_f16 v20, v16, v45, 0
	v_or_b32_sdwa v19, v19, v20 dst_sel:DWORD dst_unused:UNUSED_PAD src0_sel:DWORD src1_sel:WORD_0
	v_fma_mixlo_f16 v20, v16, v48, 0
	v_fma_mixlo_f16 v16, v16, v47, 0
	v_lshlrev_b32_e32 v16, 16, v16
	v_or_b32_sdwa v16, v16, v20 dst_sel:DWORD dst_unused:UNUSED_PAD src0_sel:DWORD src1_sel:WORD_0
	s_and_saveexec_b64 s[6:7], vcc
	s_cbranch_execz .LBB281_394
; %bb.393:                              ;   in Loop: Header=BB281_243 Depth=1
	v_lshrrev_b32_e32 v21, 16, v18
	v_cmp_gt_i32_e64 s[2:3], s29, v36
	v_cndmask_b32_e64 v21, 0, v21, s[2:3]
	v_cmp_gt_i32_e64 s[2:3], s33, v31
	v_cndmask_b32_e64 v18, 0, v18, s[2:3]
	v_perm_b32 v18, v21, v18, s41
	v_lshrrev_b32_e32 v21, 16, v12
	v_cmp_gt_i32_e64 s[2:3], s29, v35
	v_cndmask_b32_e64 v21, 0, v21, s[2:3]
	v_cmp_gt_i32_e64 s[2:3], s33, v34
	v_cndmask_b32_e64 v12, 0, v12, s[2:3]
	v_perm_b32 v12, v21, v12, s41
	v_lshrrev_b32_e32 v21, 16, v19
	v_cmp_gt_i32_e64 s[2:3], s29, v33
	v_cndmask_b32_e64 v21, 0, v21, s[2:3]
	v_cmp_gt_i32_e64 s[2:3], s33, v32
	v_cndmask_b32_e64 v19, 0, v19, s[2:3]
	v_lshrrev_b32_e32 v16, 16, v16
	v_cmp_gt_i32_e64 s[2:3], s29, v30
	v_cndmask_b32_e64 v16, 0, v16, s[2:3]
	v_cmp_gt_i32_e64 s[2:3], s33, v29
	v_cndmask_b32_e64 v20, 0, v20, s[2:3]
	v_perm_b32 v19, v21, v19, s41
	v_perm_b32 v16, v16, v20, s41
.LBB281_394:                            ;   in Loop: Header=BB281_243 Depth=1
	s_or_b64 exec, exec, s[6:7]
	;;#ASMSTART
	v_pk_mul_f16 v18, v40, v18;

	;;#ASMEND
	;;#ASMSTART
	v_pk_mul_f16 v12, v39, v12;

	;;#ASMEND
	;; [unrolled: 4-line block ×4, first 2 shown]
	;;#ASMSTART
	v_pk_add_f16 v12, v18, v12;

	;;#ASMEND
	;;#ASMSTART
	v_pk_add_f16 v12, v12, v19;

	;;#ASMEND
	;; [unrolled: 4-line block ×3, first 2 shown]
	v_lshrrev_b32_e32 v16, 16, v12
	v_and_b32_e32 v12, 0xffff, v12
	;;#ASMSTART
	v_cvt_f32_f16 v22, v12;
	;;#ASMEND
	;;#ASMSTART
	v_cvt_f32_f16 v23, v16;
	;;#ASMEND
	global_load_dwordx2 v[20:21], v[14:15], off offset:1536
	global_load_dword v16, v13, s[18:19]
	v_mov_b32_e32 v18, 0
	v_mov_b32_e32 v14, 0
	s_waitcnt vmcnt(1)
	v_cmp_ne_u16_sdwa s[2:3], v20, v13 src0_sel:BYTE_0 src1_sel:DWORD
	s_and_saveexec_b64 s[6:7], s[2:3]
	s_cbranch_execz .LBB281_400
; %bb.395:                              ;   in Loop: Header=BB281_243 Depth=1
	v_cmp_ne_u16_sdwa s[2:3], v20, s30 src0_sel:BYTE_0 src1_sel:DWORD
	v_bfrev_b32_e32 v14, 1
	s_and_saveexec_b64 s[22:23], s[2:3]
	s_cbranch_execz .LBB281_399
; %bb.396:                              ;   in Loop: Header=BB281_243 Depth=1
	v_and_b32_e32 v12, 0x7f, v20
	v_cmp_ne_u32_e64 s[2:3], s31, v12
	v_mov_b32_e32 v14, 0x7fc02000
	s_and_saveexec_b64 s[24:25], s[2:3]
	s_cbranch_execz .LBB281_398
; %bb.397:                              ;   in Loop: Header=BB281_243 Depth=1
	v_and_b32_e32 v14, 7, v20
	v_ffbh_u32_e32 v14, v14
	v_min_u32_e32 v14, 32, v14
	v_subrev_u32_e32 v15, 28, v14
	v_cmp_gt_u32_e64 s[2:3], 8, v12
	v_lshrrev_b32_e32 v19, 3, v12
	v_sub_u32_e32 v45, 29, v14
	v_cndmask_b32_e64 v12, 0, v15, s[2:3]
	v_lshlrev_b64 v[14:15], v12, v[20:21]
	v_cndmask_b32_e64 v12, v19, v45, s[2:3]
	v_lshlrev_b32_e32 v15, 8, v20
	v_lshl_add_u32 v12, v12, 10, v28
	v_lshlrev_b32_e32 v14, 7, v14
	v_and_or_b32 v12, v15, s36, v12
	v_and_or_b32 v12, v14, s38, v12
	v_cvt_f32_f16_e32 v14, v12
.LBB281_398:                            ;   in Loop: Header=BB281_243 Depth=1
	s_or_b64 exec, exec, s[24:25]
.LBB281_399:                            ;   in Loop: Header=BB281_243 Depth=1
	s_or_b64 exec, exec, s[22:23]
.LBB281_400:                            ;   in Loop: Header=BB281_243 Depth=1
	s_or_b64 exec, exec, s[6:7]
	v_lshrrev_b16_e32 v12, 8, v20
	v_cmp_ne_u16_e64 s[2:3], 0, v12
	s_and_saveexec_b64 s[6:7], s[2:3]
	s_cbranch_execz .LBB281_406
; %bb.401:                              ;   in Loop: Header=BB281_243 Depth=1
	v_cmp_ne_u16_e64 s[2:3], s30, v12
	v_bfrev_b32_e32 v18, 1
	s_and_saveexec_b64 s[22:23], s[2:3]
	s_cbranch_execz .LBB281_405
; %bb.402:                              ;   in Loop: Header=BB281_243 Depth=1
	v_and_b32_e32 v15, 0x7f, v12
	v_cmp_ne_u32_e64 s[2:3], s31, v15
	v_mov_b32_e32 v18, 0x7fc02000
	s_and_saveexec_b64 s[24:25], s[2:3]
	s_cbranch_execz .LBB281_404
; %bb.403:                              ;   in Loop: Header=BB281_243 Depth=1
	v_and_b32_e32 v45, 7, v12
	v_ffbh_u32_e32 v18, v45
	v_min_u32_e32 v47, 32, v18
	v_subrev_u32_e32 v18, 28, v47
	v_lshlrev_b64 v[18:19], v18, v[12:13]
	v_lshrrev_b32_e32 v46, 3, v15
	v_sub_u32_e32 v19, 29, v47
	v_cmp_gt_u32_e64 s[2:3], 8, v15
	v_cndmask_b32_e64 v15, v46, v19, s[2:3]
	v_and_b32_e32 v18, 7, v18
	v_lshlrev_b32_e32 v12, 8, v12
	v_lshl_add_u32 v15, v15, 10, v28
	v_cndmask_b32_e64 v18, v45, v18, s[2:3]
	v_and_or_b32 v12, v12, s36, v15
	v_lshl_or_b32 v12, v18, 7, v12
	v_cvt_f32_f16_e32 v18, v12
.LBB281_404:                            ;   in Loop: Header=BB281_243 Depth=1
	s_or_b64 exec, exec, s[24:25]
.LBB281_405:                            ;   in Loop: Header=BB281_243 Depth=1
	s_or_b64 exec, exec, s[22:23]
.LBB281_406:                            ;   in Loop: Header=BB281_243 Depth=1
	s_or_b64 exec, exec, s[6:7]
	v_lshrrev_b32_e32 v12, 16, v20
	v_cmp_ne_u16_sdwa s[2:3], v12, v13 src0_sel:BYTE_0 src1_sel:DWORD
	v_mov_b32_e32 v19, 0
	v_mov_b32_e32 v15, 0
	s_and_saveexec_b64 s[6:7], s[2:3]
	s_cbranch_execz .LBB281_412
; %bb.407:                              ;   in Loop: Header=BB281_243 Depth=1
	v_cmp_ne_u16_sdwa s[2:3], v12, s30 src0_sel:BYTE_0 src1_sel:DWORD
	v_bfrev_b32_e32 v15, 1
	s_and_saveexec_b64 s[22:23], s[2:3]
	s_cbranch_execz .LBB281_411
; %bb.408:                              ;   in Loop: Header=BB281_243 Depth=1
	v_bfe_u32 v45, v20, 16, 7
	v_cmp_ne_u32_e64 s[2:3], s31, v45
	v_mov_b32_e32 v15, 0x7fc02000
	s_and_saveexec_b64 s[24:25], s[2:3]
	s_cbranch_execz .LBB281_410
; %bb.409:                              ;   in Loop: Header=BB281_243 Depth=1
	v_and_b32_e32 v15, 7, v12
	v_ffbh_u32_e32 v46, v15
	v_min_u32_e32 v49, 32, v46
	v_subrev_u32_e32 v46, 28, v49
	v_lshlrev_b64 v[46:47], v46, v[12:13]
	v_lshrrev_b32_e32 v48, 3, v45
	v_sub_u32_e32 v47, 29, v49
	v_cmp_gt_u32_e64 s[2:3], 8, v45
	v_cndmask_b32_e64 v45, v48, v47, s[2:3]
	v_and_b32_e32 v46, 7, v46
	v_lshlrev_b32_e32 v12, 8, v12
	v_lshl_add_u32 v45, v45, 10, v28
	v_cndmask_b32_e64 v15, v15, v46, s[2:3]
	v_and_or_b32 v12, v12, s36, v45
	v_lshl_or_b32 v12, v15, 7, v12
	v_cvt_f32_f16_e32 v15, v12
.LBB281_410:                            ;   in Loop: Header=BB281_243 Depth=1
	s_or_b64 exec, exec, s[24:25]
.LBB281_411:                            ;   in Loop: Header=BB281_243 Depth=1
	s_or_b64 exec, exec, s[22:23]
.LBB281_412:                            ;   in Loop: Header=BB281_243 Depth=1
	s_or_b64 exec, exec, s[6:7]
	v_cmp_lt_u32_e64 s[2:3], s17, v20
	s_and_saveexec_b64 s[6:7], s[2:3]
	s_cbranch_execz .LBB281_418
; %bb.413:                              ;   in Loop: Header=BB281_243 Depth=1
	v_lshrrev_b32_e32 v12, 24, v20
	v_cmp_ne_u32_e64 s[2:3], s30, v12
	v_bfrev_b32_e32 v19, 1
	s_and_saveexec_b64 s[22:23], s[2:3]
	s_cbranch_execz .LBB281_417
; %bb.414:                              ;   in Loop: Header=BB281_243 Depth=1
	v_and_b32_e32 v45, 0x7f, v12
	v_cmp_ne_u32_e64 s[2:3], s31, v45
	v_mov_b32_e32 v19, 0x7fc02000
	s_and_saveexec_b64 s[24:25], s[2:3]
	s_cbranch_execz .LBB281_416
; %bb.415:                              ;   in Loop: Header=BB281_243 Depth=1
	v_and_b32_e32 v19, 7, v12
	v_ffbh_u32_e32 v46, v19
	v_min_u32_e32 v49, 32, v46
	v_subrev_u32_e32 v46, 28, v49
	v_lshlrev_b64 v[46:47], v46, v[12:13]
	v_lshrrev_b32_e32 v48, 3, v45
	v_sub_u32_e32 v47, 29, v49
	v_cmp_gt_u32_e64 s[2:3], 8, v45
	v_cndmask_b32_e64 v45, v48, v47, s[2:3]
	v_and_b32_e32 v46, 7, v46
	v_lshlrev_b32_e32 v12, 8, v12
	v_lshl_add_u32 v45, v45, 10, v28
	v_cndmask_b32_e64 v19, v19, v46, s[2:3]
	v_and_or_b32 v12, v12, s36, v45
	v_lshl_or_b32 v12, v19, 7, v12
	v_cvt_f32_f16_e32 v19, v12
.LBB281_416:                            ;   in Loop: Header=BB281_243 Depth=1
	s_or_b64 exec, exec, s[24:25]
.LBB281_417:                            ;   in Loop: Header=BB281_243 Depth=1
	s_or_b64 exec, exec, s[22:23]
.LBB281_418:                            ;   in Loop: Header=BB281_243 Depth=1
	s_or_b64 exec, exec, s[6:7]
	v_mov_b32_e32 v12, v21
	v_cmp_ne_u16_sdwa s[2:3], v21, v13 src0_sel:BYTE_0 src1_sel:DWORD
	v_mov_b32_e32 v46, 0
	v_mov_b32_e32 v45, 0
	s_and_saveexec_b64 s[6:7], s[2:3]
	s_cbranch_execz .LBB281_424
; %bb.419:                              ;   in Loop: Header=BB281_243 Depth=1
	v_cmp_ne_u16_sdwa s[2:3], v21, s30 src0_sel:BYTE_0 src1_sel:DWORD
	v_bfrev_b32_e32 v45, 1
	s_and_saveexec_b64 s[22:23], s[2:3]
	s_cbranch_execz .LBB281_423
; %bb.420:                              ;   in Loop: Header=BB281_243 Depth=1
	v_and_b32_e32 v47, 0x7f, v21
	v_cmp_ne_u32_e64 s[2:3], s31, v47
	v_mov_b32_e32 v45, 0x7fc02000
	s_and_saveexec_b64 s[24:25], s[2:3]
	s_cbranch_execz .LBB281_422
; %bb.421:                              ;   in Loop: Header=BB281_243 Depth=1
	v_and_b32_e32 v45, 7, v21
	v_ffbh_u32_e32 v45, v45
	v_min_u32_e32 v45, 32, v45
	v_subrev_u32_e32 v48, 28, v45
	v_cmp_gt_u32_e64 s[2:3], 8, v47
	v_lshrrev_b32_e32 v50, 3, v47
	v_sub_u32_e32 v45, 29, v45
	v_cndmask_b32_e64 v47, 0, v48, s[2:3]
	v_lshlrev_b64 v[48:49], v47, v[12:13]
	v_cndmask_b32_e64 v45, v50, v45, s[2:3]
	v_lshlrev_b32_e32 v47, 7, v48
	v_lshlrev_b32_e32 v48, 8, v21
	v_lshl_add_u32 v45, v45, 10, v28
	v_and_or_b32 v45, v48, s36, v45
	v_and_or_b32 v45, v47, s38, v45
	v_cvt_f32_f16_e32 v45, v45
.LBB281_422:                            ;   in Loop: Header=BB281_243 Depth=1
	s_or_b64 exec, exec, s[24:25]
.LBB281_423:                            ;   in Loop: Header=BB281_243 Depth=1
	s_or_b64 exec, exec, s[22:23]
.LBB281_424:                            ;   in Loop: Header=BB281_243 Depth=1
	s_or_b64 exec, exec, s[6:7]
	v_lshrrev_b16_e32 v12, 8, v12
	v_cmp_ne_u16_e64 s[2:3], 0, v12
	s_and_saveexec_b64 s[6:7], s[2:3]
	s_cbranch_execz .LBB281_430
; %bb.425:                              ;   in Loop: Header=BB281_243 Depth=1
	v_cmp_ne_u16_e64 s[2:3], s30, v12
	v_bfrev_b32_e32 v46, 1
	s_and_saveexec_b64 s[22:23], s[2:3]
	s_cbranch_execz .LBB281_429
; %bb.426:                              ;   in Loop: Header=BB281_243 Depth=1
	v_and_b32_e32 v47, 0x7f, v12
	v_cmp_ne_u32_e64 s[2:3], s31, v47
	v_mov_b32_e32 v46, 0x7fc02000
	s_and_saveexec_b64 s[24:25], s[2:3]
	s_cbranch_execz .LBB281_428
; %bb.427:                              ;   in Loop: Header=BB281_243 Depth=1
	v_and_b32_e32 v46, 7, v12
	v_ffbh_u32_e32 v48, v46
	v_min_u32_e32 v51, 32, v48
	v_subrev_u32_e32 v48, 28, v51
	v_lshlrev_b64 v[48:49], v48, v[12:13]
	v_lshrrev_b32_e32 v50, 3, v47
	v_sub_u32_e32 v49, 29, v51
	v_cmp_gt_u32_e64 s[2:3], 8, v47
	v_cndmask_b32_e64 v47, v50, v49, s[2:3]
	v_and_b32_e32 v48, 7, v48
	v_lshlrev_b32_e32 v12, 8, v12
	v_lshl_add_u32 v47, v47, 10, v28
	v_cndmask_b32_e64 v46, v46, v48, s[2:3]
	v_and_or_b32 v12, v12, s36, v47
	v_lshl_or_b32 v12, v46, 7, v12
	v_cvt_f32_f16_e32 v46, v12
.LBB281_428:                            ;   in Loop: Header=BB281_243 Depth=1
	s_or_b64 exec, exec, s[24:25]
.LBB281_429:                            ;   in Loop: Header=BB281_243 Depth=1
	s_or_b64 exec, exec, s[22:23]
.LBB281_430:                            ;   in Loop: Header=BB281_243 Depth=1
	s_or_b64 exec, exec, s[6:7]
	v_lshrrev_b32_e32 v12, 16, v21
	v_cmp_ne_u16_sdwa s[2:3], v12, v13 src0_sel:BYTE_0 src1_sel:DWORD
	v_mov_b32_e32 v47, 0
	v_mov_b32_e32 v48, 0
	s_and_saveexec_b64 s[6:7], s[2:3]
	s_cbranch_execz .LBB281_436
; %bb.431:                              ;   in Loop: Header=BB281_243 Depth=1
	v_cmp_ne_u16_sdwa s[2:3], v12, s30 src0_sel:BYTE_0 src1_sel:DWORD
	v_bfrev_b32_e32 v48, 1
	s_and_saveexec_b64 s[22:23], s[2:3]
	s_cbranch_execz .LBB281_435
; %bb.432:                              ;   in Loop: Header=BB281_243 Depth=1
	v_bfe_u32 v49, v21, 16, 7
	v_cmp_ne_u32_e64 s[2:3], s31, v49
	v_mov_b32_e32 v48, 0x7fc02000
	s_and_saveexec_b64 s[24:25], s[2:3]
	s_cbranch_execz .LBB281_434
; %bb.433:                              ;   in Loop: Header=BB281_243 Depth=1
	v_and_b32_e32 v48, 7, v12
	v_ffbh_u32_e32 v50, v48
	v_min_u32_e32 v53, 32, v50
	v_subrev_u32_e32 v50, 28, v53
	v_lshlrev_b64 v[50:51], v50, v[12:13]
	v_lshrrev_b32_e32 v52, 3, v49
	v_sub_u32_e32 v51, 29, v53
	v_cmp_gt_u32_e64 s[2:3], 8, v49
	v_cndmask_b32_e64 v49, v52, v51, s[2:3]
	v_and_b32_e32 v50, 7, v50
	v_lshlrev_b32_e32 v12, 8, v12
	v_lshl_add_u32 v49, v49, 10, v28
	v_cndmask_b32_e64 v48, v48, v50, s[2:3]
	v_and_or_b32 v12, v12, s36, v49
	v_lshl_or_b32 v12, v48, 7, v12
	v_cvt_f32_f16_e32 v48, v12
.LBB281_434:                            ;   in Loop: Header=BB281_243 Depth=1
	s_or_b64 exec, exec, s[24:25]
.LBB281_435:                            ;   in Loop: Header=BB281_243 Depth=1
	s_or_b64 exec, exec, s[22:23]
.LBB281_436:                            ;   in Loop: Header=BB281_243 Depth=1
	s_or_b64 exec, exec, s[6:7]
	v_cmp_lt_u64_e64 s[2:3], s[16:17], v[20:21]
	s_and_saveexec_b64 s[6:7], s[2:3]
	s_cbranch_execz .LBB281_442
; %bb.437:                              ;   in Loop: Header=BB281_243 Depth=1
	v_lshrrev_b32_e32 v12, 24, v21
	v_cmp_ne_u32_e64 s[2:3], s30, v12
	v_bfrev_b32_e32 v47, 1
	s_and_saveexec_b64 s[22:23], s[2:3]
	s_cbranch_execz .LBB281_441
; %bb.438:                              ;   in Loop: Header=BB281_243 Depth=1
	v_and_b32_e32 v20, 0x7f, v12
	v_cmp_ne_u32_e64 s[2:3], s31, v20
	v_mov_b32_e32 v47, 0x7fc02000
	s_and_saveexec_b64 s[24:25], s[2:3]
	s_cbranch_execz .LBB281_440
; %bb.439:                              ;   in Loop: Header=BB281_243 Depth=1
	v_and_b32_e32 v21, 7, v12
	v_ffbh_u32_e32 v49, v21
	v_min_u32_e32 v49, 32, v49
	v_lshrrev_b32_e32 v47, 3, v20
	v_subrev_u32_e32 v50, 28, v49
	v_sub_u32_e32 v49, 29, v49
	v_cmp_gt_u32_e64 s[2:3], 8, v20
	v_lshlrev_b64 v[50:51], v50, v[12:13]
	v_cndmask_b32_e64 v20, v47, v49, s[2:3]
	v_and_b32_e32 v50, 7, v50
	v_lshlrev_b32_e32 v12, 8, v12
	v_lshl_add_u32 v20, v20, 10, v28
	v_cndmask_b32_e64 v21, v21, v50, s[2:3]
	v_and_or_b32 v12, v12, s36, v20
	v_lshl_or_b32 v12, v21, 7, v12
	v_cvt_f32_f16_e32 v47, v12
.LBB281_440:                            ;   in Loop: Header=BB281_243 Depth=1
	s_or_b64 exec, exec, s[24:25]
.LBB281_441:                            ;   in Loop: Header=BB281_243 Depth=1
	s_or_b64 exec, exec, s[22:23]
.LBB281_442:                            ;   in Loop: Header=BB281_243 Depth=1
	s_or_b64 exec, exec, s[6:7]
	s_waitcnt vmcnt(0)
	v_pk_mul_f32 v[18:19], v[16:17], v[18:19] op_sel_hi:[0,1]
	v_pk_mul_f32 v[14:15], v[16:17], v[14:15] op_sel_hi:[0,1]
	v_cvt_f16_f32_e32 v12, v19
	v_cvt_f16_f32_e32 v18, v18
	v_cvt_f16_f32_e32 v15, v15
	v_cvt_f16_f32_e32 v14, v14
	v_pack_b32_f16 v18, v18, v12
	v_pack_b32_f16 v14, v14, v15
	v_perm_b32 v12, v14, v18, s39
	v_perm_b32 v15, v14, v18, s40
	v_fma_mixlo_f16 v14, v16, v46, 0
	v_lshlrev_b32_e32 v14, 16, v14
	v_fma_mixlo_f16 v18, v16, v45, 0
	v_or_b32_sdwa v14, v14, v18 dst_sel:DWORD dst_unused:UNUSED_PAD src0_sel:DWORD src1_sel:WORD_0
	v_fma_mixlo_f16 v18, v16, v48, 0
	v_fma_mixlo_f16 v16, v16, v47, 0
	v_lshlrev_b32_e32 v16, 16, v16
	v_or_b32_sdwa v16, v16, v18 dst_sel:DWORD dst_unused:UNUSED_PAD src0_sel:DWORD src1_sel:WORD_0
	s_and_saveexec_b64 s[2:3], vcc
	s_cbranch_execz .LBB281_241
; %bb.443:                              ;   in Loop: Header=BB281_243 Depth=1
	v_lshrrev_b32_e32 v19, 16, v15
	v_cmp_gt_i32_e32 vcc, s29, v36
	v_cndmask_b32_e32 v19, 0, v19, vcc
	v_cmp_gt_i32_e32 vcc, s33, v31
	v_cndmask_b32_e32 v15, 0, v15, vcc
	v_perm_b32 v15, v19, v15, s41
	v_lshrrev_b32_e32 v19, 16, v12
	v_cmp_gt_i32_e32 vcc, s29, v35
	v_cndmask_b32_e32 v19, 0, v19, vcc
	v_cmp_gt_i32_e32 vcc, s33, v34
	v_cndmask_b32_e32 v12, 0, v12, vcc
	v_perm_b32 v12, v19, v12, s41
	v_lshrrev_b32_e32 v19, 16, v14
	v_cmp_gt_i32_e32 vcc, s29, v33
	v_cndmask_b32_e32 v19, 0, v19, vcc
	v_cmp_gt_i32_e32 vcc, s33, v32
	v_cndmask_b32_e32 v14, 0, v14, vcc
	v_lshrrev_b32_e32 v16, 16, v16
	v_cmp_gt_i32_e32 vcc, s29, v30
	v_cndmask_b32_e32 v16, 0, v16, vcc
	v_cmp_gt_i32_e32 vcc, s33, v29
	v_cndmask_b32_e32 v18, 0, v18, vcc
	v_perm_b32 v14, v19, v14, s41
	v_perm_b32 v16, v16, v18, s41
	s_branch .LBB281_241
.LBB281_444:
	s_or_b64 exec, exec, s[20:21]
.LBB281_445:
	s_or_b64 exec, exec, s[12:13]
	ds_bpermute_b32 v6, v24, v2
	ds_bpermute_b32 v7, v24, v3
	;; [unrolled: 1-line block ×4, first 2 shown]
	v_and_b32_e32 v1, 0x3c1, v0
	v_cmp_eq_u32_e32 vcc, 64, v1
	s_waitcnt lgkmcnt(2)
	v_pk_add_f32 v[6:7], v[2:3], v[6:7]
	s_waitcnt lgkmcnt(0)
	v_pk_add_f32 v[2:3], v[4:5], v[8:9]
	s_barrier
	s_and_saveexec_b64 s[2:3], vcc
	s_cbranch_execz .LBB281_447
; %bb.446:
	v_mov_b32_e32 v4, 0x110
	v_lshl_add_u32 v4, v17, 1, v4
	ds_write2_b32 v4, v6, v7 offset1:32
	ds_write2_b32 v4, v2, v3 offset0:64 offset1:96
.LBB281_447:
	s_or_b64 exec, exec, s[2:3]
	s_waitcnt lgkmcnt(0)
	s_barrier
	s_and_saveexec_b64 s[2:3], s[0:1]
	s_cbranch_execz .LBB281_454
; %bb.448:
	v_cmp_eq_u32_e32 vcc, 0, v25
	v_lshrrev_b32_e32 v4, 1, v0
	s_and_saveexec_b64 s[0:1], vcc
	s_cbranch_execnz .LBB281_457
; %bb.449:
	s_or_b64 exec, exec, s[0:1]
	s_and_saveexec_b64 s[0:1], vcc
	s_cbranch_execnz .LBB281_458
.LBB281_450:
	s_or_b64 exec, exec, s[0:1]
	s_and_saveexec_b64 s[0:1], vcc
	s_cbranch_execnz .LBB281_459
.LBB281_451:
	s_or_b64 exec, exec, s[0:1]
	s_and_saveexec_b64 s[0:1], vcc
	s_cbranch_execz .LBB281_453
.LBB281_452:
	v_mov_b32_e32 v5, 0x110
	v_lshl_add_u32 v4, v4, 2, v5
	ds_read_b32 v4, v4 offset:384
	s_waitcnt lgkmcnt(0)
	v_add_f32_e32 v3, v3, v4
.LBB281_453:
	s_or_b64 exec, exec, s[0:1]
.LBB281_454:
	s_or_b64 exec, exec, s[2:3]
	v_cmp_eq_u32_e32 vcc, 0, v1
	s_barrier
	s_and_saveexec_b64 s[0:1], vcc
	s_cbranch_execz .LBB281_456
; %bb.455:
	s_lshl_b32 s0, s10, 7
	s_ashr_i32 s1, s0, 31
	s_lshl_b64 s[0:1], s[0:1], 1
	s_add_u32 s2, s34, s0
	s_mul_i32 s0, s15, s14
	s_addc_u32 s3, s35, s1
	s_ashr_i32 s1, s0, 31
	s_lshl_b64 s[0:1], s[0:1], 1
	s_add_u32 s2, s2, s0
	s_addc_u32 s3, s3, s1
	s_lshl_b32 s0, s8, 7
	s_ashr_i32 s1, s0, 31
	s_lshl_b64 s[0:1], s[0:1], 1
	s_add_u32 s0, s2, s0
	s_addc_u32 s1, s3, s1
	;;#ASMSTART
	v_cvt_f16_f32 v1, v6;

	;;#ASMEND
	global_store_short v0, v1, s[0:1]
	;;#ASMSTART
	v_cvt_f16_f32 v1, v7;

	;;#ASMEND
	global_store_short v0, v1, s[0:1] offset:64
	;;#ASMSTART
	v_cvt_f16_f32 v1, v2;

	;;#ASMEND
	global_store_short v0, v1, s[0:1] offset:128
	;; [unrolled: 5-line block ×3, first 2 shown]
.LBB281_456:
	s_endpgm
.LBB281_457:
	v_mov_b32_e32 v5, 0x110
	v_lshl_add_u32 v5, v4, 2, v5
	ds_read_b32 v5, v5
	s_waitcnt lgkmcnt(0)
	v_add_f32_e32 v6, v6, v5
	s_or_b64 exec, exec, s[0:1]
	s_and_saveexec_b64 s[0:1], vcc
	s_cbranch_execz .LBB281_450
.LBB281_458:
	v_mov_b32_e32 v5, 0x110
	v_lshl_add_u32 v5, v4, 2, v5
	ds_read_b32 v5, v5 offset:128
	s_waitcnt lgkmcnt(0)
	v_add_f32_e32 v7, v7, v5
	s_or_b64 exec, exec, s[0:1]
	s_and_saveexec_b64 s[0:1], vcc
	s_cbranch_execz .LBB281_451
.LBB281_459:
	v_mov_b32_e32 v5, 0x110
	v_lshl_add_u32 v5, v4, 2, v5
	ds_read_b32 v5, v5 offset:256
	s_waitcnt lgkmcnt(0)
	v_add_f32_e32 v2, v2, v5
	s_or_b64 exec, exec, s[0:1]
	s_and_saveexec_b64 s[0:1], vcc
	s_cbranch_execnz .LBB281_452
	s_branch .LBB281_453
	.section	.rodata,"a",@progbits
	.p2align	6, 0x0
	.amdhsa_kernel _ZN4vllm25paged_attention_v2_kernelIthLi128ELi16ELi128ELNS_18Fp8KVCacheDataTypeE1ELb1ELi512EEEvPfS2_PT_PKS3_PKT0_S9_ifPKiSB_iPKfiiiSD_SD_iiiii
		.amdhsa_group_segment_fixed_size 272
		.amdhsa_private_segment_fixed_size 0
		.amdhsa_kernarg_size 400
		.amdhsa_user_sgpr_count 6
		.amdhsa_user_sgpr_private_segment_buffer 1
		.amdhsa_user_sgpr_dispatch_ptr 0
		.amdhsa_user_sgpr_queue_ptr 0
		.amdhsa_user_sgpr_kernarg_segment_ptr 1
		.amdhsa_user_sgpr_dispatch_id 0
		.amdhsa_user_sgpr_flat_scratch_init 0
		.amdhsa_user_sgpr_kernarg_preload_length 0
		.amdhsa_user_sgpr_kernarg_preload_offset 0
		.amdhsa_user_sgpr_private_segment_size 0
		.amdhsa_uses_dynamic_stack 0
		.amdhsa_system_sgpr_private_segment_wavefront_offset 0
		.amdhsa_system_sgpr_workgroup_id_x 1
		.amdhsa_system_sgpr_workgroup_id_y 1
		.amdhsa_system_sgpr_workgroup_id_z 1
		.amdhsa_system_sgpr_workgroup_info 0
		.amdhsa_system_vgpr_workitem_id 0
		.amdhsa_next_free_vgpr 73
		.amdhsa_next_free_sgpr 65
		.amdhsa_accum_offset 76
		.amdhsa_reserve_vcc 1
		.amdhsa_reserve_flat_scratch 0
		.amdhsa_float_round_mode_32 0
		.amdhsa_float_round_mode_16_64 0
		.amdhsa_float_denorm_mode_32 3
		.amdhsa_float_denorm_mode_16_64 3
		.amdhsa_dx10_clamp 1
		.amdhsa_ieee_mode 1
		.amdhsa_fp16_overflow 0
		.amdhsa_tg_split 0
		.amdhsa_exception_fp_ieee_invalid_op 0
		.amdhsa_exception_fp_denorm_src 0
		.amdhsa_exception_fp_ieee_div_zero 0
		.amdhsa_exception_fp_ieee_overflow 0
		.amdhsa_exception_fp_ieee_underflow 0
		.amdhsa_exception_fp_ieee_inexact 0
		.amdhsa_exception_int_div_zero 0
	.end_amdhsa_kernel
	.section	.text._ZN4vllm25paged_attention_v2_kernelIthLi128ELi16ELi128ELNS_18Fp8KVCacheDataTypeE1ELb1ELi512EEEvPfS2_PT_PKS3_PKT0_S9_ifPKiSB_iPKfiiiSD_SD_iiiii,"axG",@progbits,_ZN4vllm25paged_attention_v2_kernelIthLi128ELi16ELi128ELNS_18Fp8KVCacheDataTypeE1ELb1ELi512EEEvPfS2_PT_PKS3_PKT0_S9_ifPKiSB_iPKfiiiSD_SD_iiiii,comdat
.Lfunc_end281:
	.size	_ZN4vllm25paged_attention_v2_kernelIthLi128ELi16ELi128ELNS_18Fp8KVCacheDataTypeE1ELb1ELi512EEEvPfS2_PT_PKS3_PKT0_S9_ifPKiSB_iPKfiiiSD_SD_iiiii, .Lfunc_end281-_ZN4vllm25paged_attention_v2_kernelIthLi128ELi16ELi128ELNS_18Fp8KVCacheDataTypeE1ELb1ELi512EEEvPfS2_PT_PKS3_PKT0_S9_ifPKiSB_iPKfiiiSD_SD_iiiii
                                        ; -- End function
	.section	.AMDGPU.csdata,"",@progbits
; Kernel info:
; codeLenInByte = 19092
; NumSgprs: 69
; NumVgprs: 73
; NumAgprs: 0
; TotalNumVgprs: 73
; ScratchSize: 0
; MemoryBound: 0
; FloatMode: 240
; IeeeMode: 1
; LDSByteSize: 272 bytes/workgroup (compile time only)
; SGPRBlocks: 8
; VGPRBlocks: 9
; NumSGPRsForWavesPerEU: 69
; NumVGPRsForWavesPerEU: 73
; AccumOffset: 76
; Occupancy: 6
; WaveLimiterHint : 1
; COMPUTE_PGM_RSRC2:SCRATCH_EN: 0
; COMPUTE_PGM_RSRC2:USER_SGPR: 6
; COMPUTE_PGM_RSRC2:TRAP_HANDLER: 0
; COMPUTE_PGM_RSRC2:TGID_X_EN: 1
; COMPUTE_PGM_RSRC2:TGID_Y_EN: 1
; COMPUTE_PGM_RSRC2:TGID_Z_EN: 1
; COMPUTE_PGM_RSRC2:TIDIG_COMP_CNT: 0
; COMPUTE_PGM_RSRC3_GFX90A:ACCUM_OFFSET: 18
; COMPUTE_PGM_RSRC3_GFX90A:TG_SPLIT: 0
	.text
	.p2align	2                               ; -- Begin function _ZN4vllm22paged_attention_kernelIthLi192ELi16ELi128ELNS_18Fp8KVCacheDataTypeE1ELb1ELi512EEEvPfS2_PT_PKS3_PKT0_S9_ifPKiSB_iPKfiiiSD_SD_iiiii
	.type	_ZN4vllm22paged_attention_kernelIthLi192ELi16ELi128ELNS_18Fp8KVCacheDataTypeE1ELb1ELi512EEEvPfS2_PT_PKS3_PKT0_S9_ifPKiSB_iPKfiiiSD_SD_iiiii,@function
_ZN4vllm22paged_attention_kernelIthLi192ELi16ELi128ELNS_18Fp8KVCacheDataTypeE1ELb1ELi512EEEvPfS2_PT_PKS3_PKT0_S9_ifPKiSB_iPKfiiiSD_SD_iiiii: ; @_ZN4vllm22paged_attention_kernelIthLi192ELi16ELi128ELNS_18Fp8KVCacheDataTypeE1ELb1ELi512EEEvPfS2_PT_PKS3_PKT0_S9_ifPKiSB_iPKfiiiSD_SD_iiiii
; %bb.0:
	s_waitcnt vmcnt(0) expcnt(0) lgkmcnt(0)
	s_or_saveexec_b64 s[4:5], -1
	buffer_store_dword v63, off, s[0:3], s32 offset:172 ; 4-byte Folded Spill
	s_mov_b64 exec, s[4:5]
	buffer_store_dword v40, off, s[0:3], s32 offset:160 ; 4-byte Folded Spill
	buffer_store_dword v41, off, s[0:3], s32 offset:156 ; 4-byte Folded Spill
	;; [unrolled: 1-line block ×39, first 2 shown]
	v_writelane_b32 v63, s34, 0
	v_writelane_b32 v63, s35, 1
	;; [unrolled: 1-line block ×10, first 2 shown]
	s_mov_b32 s22, s13
	s_ashr_i32 s23, s13, 31
	v_accvgpr_write_b32 a4, v26
	v_accvgpr_write_b32 a33, v25
	s_lshl_b64 s[4:5], s[22:23], 2
	v_accvgpr_write_b32 a5, v27
	v_accvgpr_write_b32 a32, v24
	v_mov_b32_e32 v25, v1
	v_mov_b32_e32 v26, v0
	;; [unrolled: 1-line block ×3, first 2 shown]
	v_add_co_u32_e32 v0, vcc, s4, v16
	v_addc_co_u32_e32 v1, vcc, v17, v1, vcc
	v_mov_b32_e32 v32, v2
	flat_load_dword v2, v[0:1]
	s_nop 0
	buffer_load_dword v0, off, s[0:3], s32 offset:4
	buffer_load_dword v1, off, s[0:3], s32
	s_lshl_b32 s23, s14, 9
	v_accvgpr_write_b32 a6, v22
	v_mov_b32_e32 v35, v20
	v_mov_b32_e32 v34, v19
	v_accvgpr_write_b32 a34, v13
	v_mov_b32_e32 v22, v11
	v_mov_b32_e32 v24, v10
	v_accvgpr_write_b32 a0, v5
	v_accvgpr_write_b32 a1, v4
	v_mov_b32_e32 v27, v3
	s_waitcnt vmcnt(0) lgkmcnt(0)
	v_accvgpr_write_b32 a8, v2
	v_cmp_lt_i32_e32 vcc, s23, v2
	s_and_saveexec_b64 s[16:17], vcc
	s_cbranch_execz .LBB282_653
; %bb.1:
	v_sub_u32_e32 v2, 0, v12
	v_max_i32_e32 v2, v12, v2
	v_cvt_f32_u32_e32 v3, v2
	s_load_dword s4, s[8:9], 0x10
	s_load_dword s6, s[8:9], 0x0
	v_sub_u32_e32 v5, 0, v2
	s_mov_b32 s20, s15
	v_rcp_iflag_f32_e32 v3, v3
	s_waitcnt lgkmcnt(0)
	s_lshr_b32 s4, s4, 16
	s_cmp_lg_u32 s4, 0
	s_cselect_b64 s[4:5], -1, 0
	v_mul_f32_e32 v3, 0x4f7ffffe, v3
	v_cvt_u32_f32_e32 v3, v3
	s_cmp_lg_u64 s[4:5], 0
	s_addc_u32 s15, s6, 0
	s_abs_i32 s4, s15
	v_mul_lo_u32 v5, v5, v3
	v_mul_hi_u32 v5, v3, v5
	v_add_u32_e32 v3, v3, v5
	v_mul_hi_u32 v3, s4, v3
	v_mul_lo_u32 v5, v3, v2
	v_sub_u32_e32 v5, s4, v5
	v_add_u32_e32 v10, 1, v3
	v_cmp_ge_u32_e32 vcc, v5, v2
	v_cndmask_b32_e32 v3, v3, v10, vcc
	v_sub_u32_e32 v10, v5, v2
	v_cndmask_b32_e32 v5, v5, v10, vcc
	v_xor_b32_e32 v4, s15, v12
	v_add_u32_e32 v10, 1, v3
	v_cmp_ge_u32_e32 vcc, v5, v2
	v_ashrrev_i32_e32 v4, 31, v4
	v_cndmask_b32_e32 v2, v3, v10, vcc
	v_xor_b32_e32 v2, v2, v4
	v_sub_u32_e32 v2, v2, v4
	v_sub_u32_e32 v3, 0, v2
	v_max_i32_e32 v3, v2, v3
	v_cvt_f32_u32_e32 v4, v3
	v_sub_u32_e32 v5, 0, v3
	s_abs_i32 s6, s12
	v_cmp_ne_u64_e32 vcc, 0, v[34:35]
	v_rcp_iflag_f32_e32 v4, v4
	v_mul_f32_e32 v4, 0x4f7ffffe, v4
	v_cvt_u32_f32_e32 v4, v4
	v_mul_lo_u32 v5, v5, v4
	v_mul_hi_u32 v5, v4, v5
	v_add_u32_e32 v4, v4, v5
	v_mad_u64_u32 v[16:17], s[4:5], s6, v4, 0
	v_mov_b32_e32 v4, 0
	buffer_store_dword v4, off, s[0:3], s32 offset:168 ; 4-byte Folded Spill
	s_and_saveexec_b64 s[4:5], vcc
	s_cbranch_execz .LBB282_3
; %bb.2:
	s_ashr_i32 s13, s12, 31
	s_lshl_b64 s[10:11], s[12:13], 2
	v_mov_b32_e32 v5, s11
	v_add_co_u32_e32 v4, vcc, s10, v34
	v_addc_co_u32_e32 v5, vcc, v35, v5, vcc
	flat_load_dword v4, v[4:5]
	s_waitcnt vmcnt(0) lgkmcnt(0)
	buffer_store_dword v4, off, s[0:3], s32 offset:168 ; 4-byte Folded Spill
.LBB282_3:
	s_or_b64 exec, exec, s[4:5]
	v_and_b32_e32 v19, 0x3ff, v31
	s_movk_i32 s10, 0x60
	s_ashr_i32 s7, s12, 31
	v_ashrrev_i32_e32 v4, 31, v2
	v_and_b32_e32 v2, 3, v19
	s_mul_i32 s18, s12, 0xc0
	v_cmp_gt_u32_e32 vcc, s10, v19
	s_and_saveexec_b64 s[4:5], vcc
	s_cbranch_execz .LBB282_5
; %bb.4:
	v_mul_lo_u32 v10, s22, v21
	v_ashrrev_i32_e32 v11, 31, v10
	v_lshlrev_b64 v[10:11], 1, v[10:11]
	v_add_co_u32_e32 v5, vcc, v6, v10
	s_ashr_i32 s19, s18, 31
	v_addc_co_u32_e32 v6, vcc, v7, v11, vcc
	s_lshl_b64 s[24:25], s[18:19], 1
	v_mov_b32_e32 v7, s25
	v_add_co_u32_e32 v5, vcc, s24, v5
	v_addc_co_u32_e32 v7, vcc, v6, v7, vcc
	v_lshlrev_b32_e32 v6, 2, v19
	v_add_co_u32_e32 v6, vcc, v5, v6
	v_addc_co_u32_e32 v7, vcc, 0, v7, vcc
	flat_load_dword v5, v[6:7]
	v_and_b32_e32 v6, 0x3fc, v19
	v_mad_u32_u24 v6, v2, s10, v6
	s_waitcnt vmcnt(0) lgkmcnt(0)
	ds_write_b32 v6, v5
.LBB282_5:
	s_or_b64 exec, exec, s[4:5]
	v_mul_lo_u32 v5, v17, v3
	v_sub_u32_e32 v5, s6, v5
	v_add_u32_e32 v6, 1, v17
	v_cmp_ge_u32_e32 vcc, v5, v3
	v_sub_u32_e32 v7, v5, v3
	v_cndmask_b32_e32 v6, v17, v6, vcc
	v_cndmask_b32_e32 v5, v5, v7, vcc
	v_add_u32_e32 v7, 1, v6
	v_cmp_ge_u32_e32 vcc, v5, v3
	v_sub_u32_e32 v5, 0, v1
	v_cndmask_b32_e32 v3, v6, v7, vcc
	v_max_i32_e32 v6, v1, v5
	v_cvt_f32_u32_e32 v5, v6
	v_xor_b32_e32 v4, s7, v4
	v_xor_b32_e32 v3, v3, v4
	v_sub_u32_e32 v16, v3, v4
	v_rcp_iflag_f32_e32 v3, v5
	v_accvgpr_read_b32 v4, a8
	v_accvgpr_write_b32 a3, v6
	v_sub_u32_e32 v6, 0, v6
	v_mul_f32_e32 v3, 0x4f7ffffe, v3
	v_cvt_u32_f32_e32 v5, v3
	v_add_u32_e32 v4, -1, v4
	v_sub_u32_e32 v3, 0, v4
	v_max_i32_e32 v3, v4, v3
	v_mul_lo_u32 v6, v6, v5
	v_mul_hi_u32 v6, v5, v6
	v_add_u32_e32 v5, v5, v6
	v_accvgpr_write_b32 a7, v5
	v_mad_u64_u32 v[20:21], s[4:5], v3, v5, 0
	v_cmp_gt_i32_e32 vcc, 0, v0
	s_waitcnt lgkmcnt(0)
	s_barrier
	s_waitcnt lgkmcnt(0)
                                        ; implicit-def: $agpr10
	s_and_saveexec_b64 s[4:5], vcc
	s_xor_b64 s[4:5], exec, s[4:5]
; %bb.6:
	v_mad_u64_u32 v[6:7], s[6:7], v28, v12, v[16:17]
	v_mul_lo_u32 v0, v6, v0
	v_sub_u32_e32 v0, 1, v0
	v_accvgpr_write_b32 a10, v0
                                        ; implicit-def: $vgpr28
                                        ; implicit-def: $vgpr0
; %bb.7:
	s_or_saveexec_b64 s[4:5], s[4:5]
	v_ashrrev_i32_e32 v1, 31, v1
	v_ashrrev_i32_e32 v4, 31, v4
	v_accvgpr_write_b32 a9, v1
	s_xor_b64 exec, exec, s[4:5]
; %bb.8:
	v_mul_lo_u32 v1, s15, v28
	v_add_u32_e32 v1, s12, v1
	v_mad_u64_u32 v[0:1], s[6:7], v1, v0, 1
	v_accvgpr_write_b32 a10, v0
; %bb.9:
	s_or_b64 exec, exec, s[4:5]
	v_accvgpr_read_b32 v5, a9
	v_accvgpr_read_b32 v7, a3
	v_xor_b32_e32 v4, v4, v5
	v_mul_lo_u32 v5, v21, v7
	v_sub_u32_e32 v3, v3, v5
	v_add_u32_e32 v5, 1, v21
	v_cmp_ge_u32_e32 vcc, v3, v7
	v_sub_u32_e32 v6, v3, v7
	v_cndmask_b32_e32 v5, v21, v5, vcc
	v_cndmask_b32_e32 v3, v3, v6, vcc
	v_add_u32_e32 v6, 1, v5
	v_cmp_ge_u32_e32 vcc, v3, v7
	v_cndmask_b32_e32 v3, v5, v6, vcc
	v_xor_b32_e32 v3, v3, v4
	v_sub_u32_e32 v3, v3, v4
	v_accvgpr_read_b32 v4, a8
	v_add_u32_e32 v4, 15, v4
	v_ashrrev_i32_e32 v5, 31, v4
	s_load_dword s38, s[8:9], 0x14
	s_load_dword s13, s[8:9], 0x8
	v_lshrrev_b32_e32 v5, 28, v5
	s_lshl_b32 s19, s14, 5
	v_lshrrev_b32_e32 v28, 6, v19
	v_add_u32_e32 v4, v4, v5
	v_or_b32_e32 v6, s19, v28
	v_mul_lo_u32 v0, s22, v18
	v_ashrrev_i32_e32 v31, 4, v4
	s_add_i32 s4, s19, 32
	v_ashrrev_i32_e32 v7, 31, v6
	v_ashrrev_i32_e32 v1, 31, v0
	v_min_i32_e32 v4, s4, v31
	v_sub_u32_e32 v3, v3, v29
	v_mul_lo_u32 v23, v16, v23
	v_accvgpr_write_b32 a13, v7
	v_accvgpr_write_b32 a11, v4
	v_cmp_lt_i32_e64 s[4:5], v6, v4
	v_mov_b32_e32 v5, 0xff7fffff
	v_accvgpr_write_b32 a14, v3
	v_accvgpr_write_b32 a12, v6
	v_ashrrev_i32_e32 v29, 31, v23
	v_sub_u32_e32 v33, 0, v30
	v_lshlrev_b64 v[34:35], 2, v[0:1]
	v_mbcnt_lo_u32_b32 v4, -1, 0
	v_lshl_add_u32 v0, v28, 4, s23
	s_mov_b64 s[24:25], exec
	s_and_b64 s[6:7], s[24:25], s[4:5]
	v_accvgpr_write_b32 a2, v19
	v_accvgpr_write_b32 a15, v0
	s_mov_b64 exec, s[6:7]
	s_cbranch_execz .LBB282_307
; %bb.10:
	v_bfe_u32 v5, v19, 2, 4
	v_add_co_u32_e64 v0, s[6:7], v8, v23
	v_addc_co_u32_e64 v1, s[6:7], v9, v29, s[6:7]
	v_lshlrev_b32_e32 v3, 4, v5
	v_add_co_u32_e64 v0, s[6:7], v0, v3
	v_addc_co_u32_e64 v1, s[6:7], 0, v1, s[6:7]
	v_accvgpr_write_b32 a39, v1
	v_accvgpr_write_b32 a38, v0
	v_mul_u32_u24_e32 v1, 0x60, v2
	v_accvgpr_write_b32 a41, v1
	buffer_load_dword v1, off, s[0:3], s32 offset:168 ; 4-byte Folded Reload
	v_lshlrev_b32_e32 v0, 1, v2
	v_max_i32_e32 v3, v30, v33
	v_accvgpr_write_b32 a40, v0
	v_cvt_f32_u32_e32 v0, v3
	s_ashr_i32 s21, s20, 31
	v_cmp_eq_u32_e32 vcc, 0, v2
	s_lshl_b64 s[8:9], s[20:21], 2
	v_rcp_iflag_f32_e32 v0, v0
	v_accvgpr_write_b32 a37, v3
	s_getpc_b64 s[10:11]
	s_add_u32 s10, s10, llvm.amdgcn.dynlds.offset.table@rel32@lo+4
	s_addc_u32 s11, s11, llvm.amdgcn.dynlds.offset.table@rel32@hi+12
	s_add_u32 s26, s8, s10
	v_mul_f32_e32 v0, 0x4f7ffffe, v0
	v_cvt_u32_f32_e32 v0, v0
	s_addc_u32 s27, s9, s11
	s_load_dword s21, s[26:27], 0x0
	v_accvgpr_write_b32 a26, v34
	v_accvgpr_write_b32 a28, v31
	;; [unrolled: 1-line block ×17, first 2 shown]
	s_mov_b64 s[28:29], 0
	s_movk_i32 s39, 0x80
	s_movk_i32 s40, 0x7f
	s_mov_b32 s41, 0x8000
	v_accvgpr_write_b32 a35, v4
	s_waitcnt vmcnt(0)
	v_cmp_neq_f32_e64 s[6:7], 0, v1
	v_sub_u32_e32 v1, 0, v3
	v_mul_lo_u32 v1, v1, v0
	v_mul_hi_u32 v1, v0, v1
	v_accvgpr_read_b32 v2, a12
	v_add_u32_e32 v0, v0, v1
	v_accvgpr_read_b32 v3, a13
	v_accvgpr_write_b32 a42, v0
	v_lshlrev_b64 v[0:1], 2, v[2:3]
	v_add_co_u32_e64 v0, s[8:9], v34, v0
	v_addc_co_u32_e64 v1, s[8:9], v35, v1, s[8:9]
	v_add_co_u32_e64 v18, s[8:9], v14, v0
	v_lshlrev_b32_e32 v0, 2, v5
	v_lshl_or_b32 v0, v28, 6, v0
	v_accvgpr_write_b32 a44, v0
	v_accvgpr_read_b32 v0, a8
	v_sub_u32_e32 v0, v5, v0
	v_add_u32_e32 v0, 1, v0
	v_accvgpr_write_b32 a45, v0
	v_mbcnt_hi_u32_b32 v0, -1, v4
	v_addc_co_u32_e64 v19, s[8:9], v15, v1, s[8:9]
	v_lshl_add_u32 v1, v28, 4, s23
	v_accvgpr_write_b32 a46, v0
	v_mov_b32_e32 v0, 0xff7fffff
	buffer_store_dword v0, off, s[0:3], s32 offset:164 ; 4-byte Folded Spill
	s_branch .LBB282_13
.LBB282_11:                             ;   in Loop: Header=BB282_13 Depth=1
	s_or_b64 exec, exec, s[30:31]
.LBB282_12:                             ;   in Loop: Header=BB282_13 Depth=1
	s_or_b64 exec, exec, s[10:11]
	v_accvgpr_read_b32 v2, a47
	v_add_co_u32_e64 v18, s[8:9], 8, v18
	v_add_u32_e32 v2, 2, v2
	v_addc_co_u32_e64 v19, s[8:9], 0, v19, s[8:9]
	v_accvgpr_read_b32 v0, a11
	v_cmp_ge_i32_e64 s[8:9], v2, v0
	v_accvgpr_read_b32 v0, a44
	s_waitcnt lgkmcnt(0)
	v_accvgpr_read_b32 v1, a43
	v_add_u32_e32 v0, 0x80, v0
	v_add_u32_e32 v1, 32, v1
	s_or_b64 s[28:29], s[8:9], s[28:29]
	v_accvgpr_write_b32 a44, v0
	s_andn2_b64 exec, exec, s[28:29]
	s_cbranch_execz .LBB282_306
.LBB282_13:                             ; =>This Inner Loop Header: Depth=1
	v_accvgpr_write_b32 a47, v2
	v_ashrrev_i32_e32 v0, 31, v1
	v_mov_b32_e32 v2, v1
	v_accvgpr_read_b32 v1, a9
	v_xor_b32_e32 v0, v0, v1
	v_sub_u32_e32 v1, 0, v2
	v_accvgpr_write_b32 a43, v2
	v_max_i32_e32 v1, v2, v1
	v_accvgpr_read_b32 v2, a7
	v_mul_hi_u32 v2, v1, v2
	v_accvgpr_read_b32 v4, a3
	v_mul_lo_u32 v3, v2, v4
	v_sub_u32_e32 v1, v1, v3
	v_add_u32_e32 v3, 1, v2
	v_cmp_ge_u32_e64 s[8:9], v1, v4
	v_cndmask_b32_e64 v2, v2, v3, s[8:9]
	v_sub_u32_e32 v3, v1, v4
	v_cndmask_b32_e64 v1, v1, v3, s[8:9]
	v_add_u32_e32 v3, 1, v2
	v_cmp_ge_u32_e64 s[8:9], v1, v4
	v_cndmask_b32_e64 v1, v2, v3, s[8:9]
	v_xor_b32_e32 v1, v1, v0
	v_sub_u32_e32 v0, v1, v0
	v_accvgpr_read_b32 v2, a10
	v_add_u32_e32 v1, v0, v2
	v_sub_u32_e32 v3, 0, v1
	v_ashrrev_i32_e32 v2, 31, v1
	v_max_i32_e32 v1, v1, v3
	v_accvgpr_read_b32 v4, a42
	v_mul_hi_u32 v3, v1, v4
	v_accvgpr_read_b32 v4, a37
	v_mul_lo_u32 v3, v3, v4
	v_sub_u32_e32 v1, v1, v3
	v_sub_u32_e32 v3, v1, v4
	v_cmp_ge_u32_e64 s[8:9], v1, v4
	v_cndmask_b32_e64 v1, v1, v3, s[8:9]
	v_sub_u32_e32 v3, v1, v4
	v_cmp_ge_u32_e64 s[8:9], v1, v4
	v_cndmask_b32_e64 v1, v1, v3, s[8:9]
	v_xor_b32_e32 v1, v1, v2
	v_sub_u32_e32 v1, v1, v2
	v_cmp_ne_u32_e64 s[8:9], 0, v1
	v_accvgpr_read_b32 v1, a14
	v_cmp_le_i32_e64 s[10:11], v0, v1
	s_and_b64 s[8:9], s[8:9], s[10:11]
	s_and_b64 s[30:31], vcc, s[8:9]
	s_and_saveexec_b64 s[10:11], s[30:31]
	s_cbranch_execz .LBB282_15
; %bb.14:                               ;   in Loop: Header=BB282_13 Depth=1
	v_accvgpr_read_b32 v0, a44
	s_waitcnt lgkmcnt(0)
	v_add_u32_e32 v0, s21, v0
	v_mov_b32_e32 v1, 0xff7fffff
	ds_write_b32 v0, v1
.LBB282_15:                             ;   in Loop: Header=BB282_13 Depth=1
	s_or_b64 exec, exec, s[10:11]
	s_xor_b64 s[8:9], s[8:9], -1
	s_and_saveexec_b64 s[10:11], s[8:9]
	s_cbranch_execz .LBB282_12
; %bb.16:                               ;   in Loop: Header=BB282_13 Depth=1
	flat_load_dword v0, v[18:19]
	v_accvgpr_read_b32 v4, a38
	v_accvgpr_read_b32 v2, a6
	;; [unrolled: 1-line block ×3, first 2 shown]
	v_mov_b32_e32 v11, 0
	v_mov_b32_e32 v14, 0
	s_waitcnt vmcnt(0) lgkmcnt(0)
	v_mad_i64_i32 v[0:1], s[8:9], v0, v2, v[4:5]
	v_accvgpr_read_b32 v2, a40
	v_add_co_u32_e64 v20, s[8:9], v0, v2
	v_addc_co_u32_e64 v21, s[8:9], 0, v1, s[8:9]
	v_accvgpr_read_b32 v2, a32
	flat_load_ushort v0, v[20:21]
	v_accvgpr_read_b32 v3, a33
	flat_load_dword v58, v[2:3]
	v_mov_b32_e32 v1, 0
	s_waitcnt vmcnt(0) lgkmcnt(0)
	v_and_b32_e32 v36, 0xffff, v0
	v_cmp_ne_u16_sdwa s[8:9], v0, v1 src0_sel:BYTE_0 src1_sel:DWORD
	s_and_saveexec_b64 s[30:31], s[8:9]
	s_cbranch_execz .LBB282_22
; %bb.17:                               ;   in Loop: Header=BB282_13 Depth=1
	v_cmp_ne_u16_sdwa s[8:9], v36, s39 src0_sel:BYTE_0 src1_sel:DWORD
	v_bfrev_b32_e32 v14, 1
	s_and_saveexec_b64 s[34:35], s[8:9]
	s_cbranch_execz .LBB282_21
; %bb.18:                               ;   in Loop: Header=BB282_13 Depth=1
	v_and_b32_e32 v0, 0x7f, v36
	v_cmp_ne_u32_e64 s[8:9], s40, v0
	v_mov_b32_e32 v14, 0x7fc02000
	s_and_saveexec_b64 s[36:37], s[8:9]
	s_cbranch_execz .LBB282_20
; %bb.19:                               ;   in Loop: Header=BB282_13 Depth=1
	v_and_b32_e32 v1, 7, v36
	v_ffbh_u32_e32 v2, v1
	v_min_u32_e32 v5, 32, v2
	v_subrev_u32_e32 v2, 28, v5
	v_lshlrev_b64 v[2:3], v2, v[36:37]
	v_lshrrev_b32_e32 v4, 3, v0
	v_sub_u32_e32 v3, 29, v5
	v_cmp_gt_u32_e64 s[8:9], 8, v0
	v_and_b32_e32 v2, 7, v2
	v_cndmask_b32_e64 v0, v4, v3, s[8:9]
	v_mov_b32_e32 v3, 0x2000
	v_cndmask_b32_e64 v1, v1, v2, s[8:9]
	v_lshlrev_b32_e32 v2, 8, v36
	v_lshl_add_u32 v0, v0, 10, v3
	v_and_or_b32 v0, v2, s41, v0
	v_lshl_or_b32 v0, v1, 7, v0
	v_cvt_f32_f16_e32 v14, v0
.LBB282_20:                             ;   in Loop: Header=BB282_13 Depth=1
	s_or_b64 exec, exec, s[36:37]
.LBB282_21:                             ;   in Loop: Header=BB282_13 Depth=1
	s_or_b64 exec, exec, s[34:35]
.LBB282_22:                             ;   in Loop: Header=BB282_13 Depth=1
	s_or_b64 exec, exec, s[30:31]
	v_lshrrev_b16_e32 v36, 8, v36
	v_cmp_ne_u16_e64 s[8:9], 0, v36
	s_and_saveexec_b64 s[30:31], s[8:9]
	s_cbranch_execz .LBB282_28
; %bb.23:                               ;   in Loop: Header=BB282_13 Depth=1
	v_cmp_ne_u16_e64 s[8:9], s39, v36
	v_bfrev_b32_e32 v11, 1
	s_and_saveexec_b64 s[34:35], s[8:9]
	s_cbranch_execz .LBB282_27
; %bb.24:                               ;   in Loop: Header=BB282_13 Depth=1
	v_and_b32_e32 v0, 0x7f, v36
	v_cmp_ne_u32_e64 s[8:9], s40, v0
	v_mov_b32_e32 v11, 0x7fc02000
	s_and_saveexec_b64 s[36:37], s[8:9]
	s_cbranch_execz .LBB282_26
; %bb.25:                               ;   in Loop: Header=BB282_13 Depth=1
	v_and_b32_e32 v1, 7, v36
	v_ffbh_u32_e32 v2, v1
	v_min_u32_e32 v5, 32, v2
	v_subrev_u32_e32 v2, 28, v5
	v_lshlrev_b64 v[2:3], v2, v[36:37]
	v_lshrrev_b32_e32 v4, 3, v0
	v_sub_u32_e32 v3, 29, v5
	v_cmp_gt_u32_e64 s[8:9], 8, v0
	v_and_b32_e32 v2, 7, v2
	v_cndmask_b32_e64 v0, v4, v3, s[8:9]
	v_mov_b32_e32 v3, 0x2000
	v_cndmask_b32_e64 v1, v1, v2, s[8:9]
	v_lshlrev_b32_e32 v2, 8, v36
	v_lshl_add_u32 v0, v0, 10, v3
	v_and_or_b32 v0, v2, s41, v0
	v_lshl_or_b32 v0, v1, 7, v0
	v_cvt_f32_f16_e32 v11, v0
.LBB282_26:                             ;   in Loop: Header=BB282_13 Depth=1
	s_or_b64 exec, exec, s[36:37]
.LBB282_27:                             ;   in Loop: Header=BB282_13 Depth=1
	s_or_b64 exec, exec, s[34:35]
.LBB282_28:                             ;   in Loop: Header=BB282_13 Depth=1
	s_or_b64 exec, exec, s[30:31]
	flat_load_ushort v0, v[20:21] offset:8
	v_mov_b32_e32 v1, 0
	v_mov_b32_e32 v15, 0
	;; [unrolled: 1-line block ×3, first 2 shown]
	s_waitcnt vmcnt(0) lgkmcnt(0)
	v_and_b32_e32 v36, 0xffff, v0
	v_cmp_ne_u16_sdwa s[8:9], v0, v1 src0_sel:BYTE_0 src1_sel:DWORD
	s_and_saveexec_b64 s[30:31], s[8:9]
	s_cbranch_execz .LBB282_34
; %bb.29:                               ;   in Loop: Header=BB282_13 Depth=1
	v_cmp_ne_u16_sdwa s[8:9], v36, s39 src0_sel:BYTE_0 src1_sel:DWORD
	v_bfrev_b32_e32 v17, 1
	s_and_saveexec_b64 s[34:35], s[8:9]
	s_cbranch_execz .LBB282_33
; %bb.30:                               ;   in Loop: Header=BB282_13 Depth=1
	v_and_b32_e32 v0, 0x7f, v36
	v_cmp_ne_u32_e64 s[8:9], s40, v0
	v_mov_b32_e32 v17, 0x7fc02000
	s_and_saveexec_b64 s[36:37], s[8:9]
	s_cbranch_execz .LBB282_32
; %bb.31:                               ;   in Loop: Header=BB282_13 Depth=1
	v_and_b32_e32 v1, 7, v36
	v_ffbh_u32_e32 v2, v1
	v_min_u32_e32 v5, 32, v2
	v_subrev_u32_e32 v2, 28, v5
	v_lshlrev_b64 v[2:3], v2, v[36:37]
	v_lshrrev_b32_e32 v4, 3, v0
	v_sub_u32_e32 v3, 29, v5
	v_cmp_gt_u32_e64 s[8:9], 8, v0
	v_and_b32_e32 v2, 7, v2
	v_cndmask_b32_e64 v0, v4, v3, s[8:9]
	v_mov_b32_e32 v3, 0x2000
	v_cndmask_b32_e64 v1, v1, v2, s[8:9]
	v_lshlrev_b32_e32 v2, 8, v36
	v_lshl_add_u32 v0, v0, 10, v3
	v_and_or_b32 v0, v2, s41, v0
	v_lshl_or_b32 v0, v1, 7, v0
	v_cvt_f32_f16_e32 v17, v0
.LBB282_32:                             ;   in Loop: Header=BB282_13 Depth=1
	s_or_b64 exec, exec, s[36:37]
.LBB282_33:                             ;   in Loop: Header=BB282_13 Depth=1
	s_or_b64 exec, exec, s[34:35]
.LBB282_34:                             ;   in Loop: Header=BB282_13 Depth=1
	s_or_b64 exec, exec, s[30:31]
	v_lshrrev_b16_e32 v36, 8, v36
	v_cmp_ne_u16_e64 s[8:9], 0, v36
	s_and_saveexec_b64 s[30:31], s[8:9]
	s_cbranch_execz .LBB282_40
; %bb.35:                               ;   in Loop: Header=BB282_13 Depth=1
	v_cmp_ne_u16_e64 s[8:9], s39, v36
	v_bfrev_b32_e32 v15, 1
	s_and_saveexec_b64 s[34:35], s[8:9]
	s_cbranch_execz .LBB282_39
; %bb.36:                               ;   in Loop: Header=BB282_13 Depth=1
	v_and_b32_e32 v0, 0x7f, v36
	v_cmp_ne_u32_e64 s[8:9], s40, v0
	v_mov_b32_e32 v15, 0x7fc02000
	s_and_saveexec_b64 s[36:37], s[8:9]
	s_cbranch_execz .LBB282_38
; %bb.37:                               ;   in Loop: Header=BB282_13 Depth=1
	v_and_b32_e32 v1, 7, v36
	v_ffbh_u32_e32 v2, v1
	v_min_u32_e32 v5, 32, v2
	v_subrev_u32_e32 v2, 28, v5
	v_lshlrev_b64 v[2:3], v2, v[36:37]
	v_lshrrev_b32_e32 v4, 3, v0
	v_sub_u32_e32 v3, 29, v5
	v_cmp_gt_u32_e64 s[8:9], 8, v0
	v_and_b32_e32 v2, 7, v2
	v_cndmask_b32_e64 v0, v4, v3, s[8:9]
	v_mov_b32_e32 v3, 0x2000
	v_cndmask_b32_e64 v1, v1, v2, s[8:9]
	v_lshlrev_b32_e32 v2, 8, v36
	v_lshl_add_u32 v0, v0, 10, v3
	v_and_or_b32 v0, v2, s41, v0
	v_lshl_or_b32 v0, v1, 7, v0
	v_cvt_f32_f16_e32 v15, v0
.LBB282_38:                             ;   in Loop: Header=BB282_13 Depth=1
	s_or_b64 exec, exec, s[36:37]
.LBB282_39:                             ;   in Loop: Header=BB282_13 Depth=1
	s_or_b64 exec, exec, s[34:35]
.LBB282_40:                             ;   in Loop: Header=BB282_13 Depth=1
	s_or_b64 exec, exec, s[30:31]
	flat_load_ushort v0, v[20:21] offset:256
	v_mov_b32_e32 v1, 0
	v_mov_b32_e32 v23, 0
	;; [unrolled: 1-line block ×3, first 2 shown]
	s_waitcnt vmcnt(0) lgkmcnt(0)
	v_and_b32_e32 v36, 0xffff, v0
	v_cmp_ne_u16_sdwa s[8:9], v0, v1 src0_sel:BYTE_0 src1_sel:DWORD
	s_and_saveexec_b64 s[30:31], s[8:9]
	s_cbranch_execz .LBB282_46
; %bb.41:                               ;   in Loop: Header=BB282_13 Depth=1
	v_cmp_ne_u16_sdwa s[8:9], v36, s39 src0_sel:BYTE_0 src1_sel:DWORD
	v_bfrev_b32_e32 v28, 1
	s_and_saveexec_b64 s[34:35], s[8:9]
	s_cbranch_execz .LBB282_45
; %bb.42:                               ;   in Loop: Header=BB282_13 Depth=1
	v_and_b32_e32 v0, 0x7f, v36
	v_cmp_ne_u32_e64 s[8:9], s40, v0
	v_mov_b32_e32 v28, 0x7fc02000
	s_and_saveexec_b64 s[36:37], s[8:9]
	s_cbranch_execz .LBB282_44
; %bb.43:                               ;   in Loop: Header=BB282_13 Depth=1
	v_and_b32_e32 v1, 7, v36
	v_ffbh_u32_e32 v2, v1
	v_min_u32_e32 v5, 32, v2
	v_subrev_u32_e32 v2, 28, v5
	v_lshlrev_b64 v[2:3], v2, v[36:37]
	v_lshrrev_b32_e32 v4, 3, v0
	v_sub_u32_e32 v3, 29, v5
	v_cmp_gt_u32_e64 s[8:9], 8, v0
	v_and_b32_e32 v2, 7, v2
	v_cndmask_b32_e64 v0, v4, v3, s[8:9]
	v_mov_b32_e32 v3, 0x2000
	v_cndmask_b32_e64 v1, v1, v2, s[8:9]
	v_lshlrev_b32_e32 v2, 8, v36
	v_lshl_add_u32 v0, v0, 10, v3
	v_and_or_b32 v0, v2, s41, v0
	v_lshl_or_b32 v0, v1, 7, v0
	v_cvt_f32_f16_e32 v28, v0
.LBB282_44:                             ;   in Loop: Header=BB282_13 Depth=1
	s_or_b64 exec, exec, s[36:37]
.LBB282_45:                             ;   in Loop: Header=BB282_13 Depth=1
	s_or_b64 exec, exec, s[34:35]
.LBB282_46:                             ;   in Loop: Header=BB282_13 Depth=1
	s_or_b64 exec, exec, s[30:31]
	v_lshrrev_b16_e32 v36, 8, v36
	v_cmp_ne_u16_e64 s[8:9], 0, v36
	s_and_saveexec_b64 s[30:31], s[8:9]
	s_cbranch_execz .LBB282_52
; %bb.47:                               ;   in Loop: Header=BB282_13 Depth=1
	v_cmp_ne_u16_e64 s[8:9], s39, v36
	v_bfrev_b32_e32 v23, 1
	s_and_saveexec_b64 s[34:35], s[8:9]
	s_cbranch_execz .LBB282_51
; %bb.48:                               ;   in Loop: Header=BB282_13 Depth=1
	v_and_b32_e32 v0, 0x7f, v36
	v_cmp_ne_u32_e64 s[8:9], s40, v0
	v_mov_b32_e32 v23, 0x7fc02000
	s_and_saveexec_b64 s[36:37], s[8:9]
	s_cbranch_execz .LBB282_50
; %bb.49:                               ;   in Loop: Header=BB282_13 Depth=1
	v_and_b32_e32 v1, 7, v36
	v_ffbh_u32_e32 v2, v1
	v_min_u32_e32 v5, 32, v2
	v_subrev_u32_e32 v2, 28, v5
	v_lshlrev_b64 v[2:3], v2, v[36:37]
	v_lshrrev_b32_e32 v4, 3, v0
	v_sub_u32_e32 v3, 29, v5
	v_cmp_gt_u32_e64 s[8:9], 8, v0
	v_and_b32_e32 v2, 7, v2
	v_cndmask_b32_e64 v0, v4, v3, s[8:9]
	v_mov_b32_e32 v3, 0x2000
	v_cndmask_b32_e64 v1, v1, v2, s[8:9]
	v_lshlrev_b32_e32 v2, 8, v36
	v_lshl_add_u32 v0, v0, 10, v3
	v_and_or_b32 v0, v2, s41, v0
	v_lshl_or_b32 v0, v1, 7, v0
	v_cvt_f32_f16_e32 v23, v0
.LBB282_50:                             ;   in Loop: Header=BB282_13 Depth=1
	s_or_b64 exec, exec, s[36:37]
.LBB282_51:                             ;   in Loop: Header=BB282_13 Depth=1
	s_or_b64 exec, exec, s[34:35]
.LBB282_52:                             ;   in Loop: Header=BB282_13 Depth=1
	s_or_b64 exec, exec, s[30:31]
	flat_load_ushort v0, v[20:21] offset:264
	v_mov_b32_e32 v1, 0
	v_mov_b32_e32 v29, 0
	;; [unrolled: 1-line block ×3, first 2 shown]
	s_waitcnt vmcnt(0) lgkmcnt(0)
	v_and_b32_e32 v36, 0xffff, v0
	v_cmp_ne_u16_sdwa s[8:9], v0, v1 src0_sel:BYTE_0 src1_sel:DWORD
	s_and_saveexec_b64 s[30:31], s[8:9]
	s_cbranch_execz .LBB282_58
; %bb.53:                               ;   in Loop: Header=BB282_13 Depth=1
	v_cmp_ne_u16_sdwa s[8:9], v36, s39 src0_sel:BYTE_0 src1_sel:DWORD
	v_bfrev_b32_e32 v30, 1
	s_and_saveexec_b64 s[34:35], s[8:9]
	s_cbranch_execz .LBB282_57
; %bb.54:                               ;   in Loop: Header=BB282_13 Depth=1
	v_and_b32_e32 v0, 0x7f, v36
	v_cmp_ne_u32_e64 s[8:9], s40, v0
	v_mov_b32_e32 v30, 0x7fc02000
	s_and_saveexec_b64 s[36:37], s[8:9]
	s_cbranch_execz .LBB282_56
; %bb.55:                               ;   in Loop: Header=BB282_13 Depth=1
	v_and_b32_e32 v2, 7, v36
	v_lshrrev_b32_e32 v3, 3, v0
	v_cmp_gt_u32_e64 s[8:9], 8, v0
	v_ffbh_u32_e32 v0, v2
	v_min_u32_e32 v4, 32, v0
	v_subrev_u32_e32 v0, 28, v4
	v_lshlrev_b64 v[0:1], v0, v[36:37]
	v_sub_u32_e32 v1, 29, v4
	v_and_b32_e32 v0, 7, v0
	v_cndmask_b32_e64 v1, v3, v1, s[8:9]
	v_mov_b32_e32 v3, 0x2000
	v_cndmask_b32_e64 v0, v2, v0, s[8:9]
	v_lshlrev_b32_e32 v2, 8, v36
	v_lshl_add_u32 v1, v1, 10, v3
	v_and_or_b32 v1, v2, s41, v1
	v_lshl_or_b32 v0, v0, 7, v1
	v_cvt_f32_f16_e32 v30, v0
.LBB282_56:                             ;   in Loop: Header=BB282_13 Depth=1
	s_or_b64 exec, exec, s[36:37]
.LBB282_57:                             ;   in Loop: Header=BB282_13 Depth=1
	s_or_b64 exec, exec, s[34:35]
.LBB282_58:                             ;   in Loop: Header=BB282_13 Depth=1
	s_or_b64 exec, exec, s[30:31]
	v_lshrrev_b16_e32 v36, 8, v36
	v_cmp_ne_u16_e64 s[8:9], 0, v36
	s_and_saveexec_b64 s[30:31], s[8:9]
	s_cbranch_execz .LBB282_64
; %bb.59:                               ;   in Loop: Header=BB282_13 Depth=1
	v_cmp_ne_u16_e64 s[8:9], s39, v36
	v_bfrev_b32_e32 v29, 1
	s_and_saveexec_b64 s[34:35], s[8:9]
	s_cbranch_execz .LBB282_63
; %bb.60:                               ;   in Loop: Header=BB282_13 Depth=1
	v_and_b32_e32 v0, 0x7f, v36
	v_cmp_ne_u32_e64 s[8:9], s40, v0
	v_mov_b32_e32 v29, 0x7fc02000
	s_and_saveexec_b64 s[36:37], s[8:9]
	s_cbranch_execz .LBB282_62
; %bb.61:                               ;   in Loop: Header=BB282_13 Depth=1
	v_and_b32_e32 v2, 7, v36
	v_lshrrev_b32_e32 v3, 3, v0
	v_cmp_gt_u32_e64 s[8:9], 8, v0
	v_ffbh_u32_e32 v0, v2
	v_min_u32_e32 v4, 32, v0
	v_subrev_u32_e32 v0, 28, v4
	v_lshlrev_b64 v[0:1], v0, v[36:37]
	v_sub_u32_e32 v1, 29, v4
	v_and_b32_e32 v0, 7, v0
	v_cndmask_b32_e64 v1, v3, v1, s[8:9]
	v_mov_b32_e32 v3, 0x2000
	v_cndmask_b32_e64 v0, v2, v0, s[8:9]
	v_lshlrev_b32_e32 v2, 8, v36
	v_lshl_add_u32 v1, v1, 10, v3
	v_and_or_b32 v1, v2, s41, v1
	v_lshl_or_b32 v0, v0, 7, v1
	v_cvt_f32_f16_e32 v29, v0
.LBB282_62:                             ;   in Loop: Header=BB282_13 Depth=1
	s_or_b64 exec, exec, s[36:37]
.LBB282_63:                             ;   in Loop: Header=BB282_13 Depth=1
	s_or_b64 exec, exec, s[34:35]
.LBB282_64:                             ;   in Loop: Header=BB282_13 Depth=1
	s_or_b64 exec, exec, s[30:31]
	flat_load_ushort v0, v[20:21] offset:512
	v_mov_b32_e32 v1, 0
	v_mov_b32_e32 v32, 0
	;; [unrolled: 1-line block ×3, first 2 shown]
	s_waitcnt vmcnt(0) lgkmcnt(0)
	v_and_b32_e32 v36, 0xffff, v0
	v_cmp_ne_u16_sdwa s[8:9], v0, v1 src0_sel:BYTE_0 src1_sel:DWORD
	s_and_saveexec_b64 s[30:31], s[8:9]
	s_cbranch_execz .LBB282_70
; %bb.65:                               ;   in Loop: Header=BB282_13 Depth=1
	v_cmp_ne_u16_sdwa s[8:9], v36, s39 src0_sel:BYTE_0 src1_sel:DWORD
	v_bfrev_b32_e32 v4, 1
	s_and_saveexec_b64 s[34:35], s[8:9]
	s_cbranch_execz .LBB282_69
; %bb.66:                               ;   in Loop: Header=BB282_13 Depth=1
	v_and_b32_e32 v0, 0x7f, v36
	v_cmp_ne_u32_e64 s[8:9], s40, v0
	v_mov_b32_e32 v4, 0x7fc02000
	s_and_saveexec_b64 s[36:37], s[8:9]
	s_cbranch_execz .LBB282_68
; %bb.67:                               ;   in Loop: Header=BB282_13 Depth=1
	v_and_b32_e32 v1, 7, v36
	v_ffbh_u32_e32 v2, v1
	v_min_u32_e32 v6, 32, v2
	v_subrev_u32_e32 v2, 28, v6
	v_lshlrev_b64 v[2:3], v2, v[36:37]
	v_lshrrev_b32_e32 v4, 3, v0
	v_sub_u32_e32 v3, 29, v6
	v_cmp_gt_u32_e64 s[8:9], 8, v0
	v_and_b32_e32 v2, 7, v2
	v_cndmask_b32_e64 v0, v4, v3, s[8:9]
	v_mov_b32_e32 v3, 0x2000
	v_cndmask_b32_e64 v1, v1, v2, s[8:9]
	v_lshlrev_b32_e32 v2, 8, v36
	v_lshl_add_u32 v0, v0, 10, v3
	v_and_or_b32 v0, v2, s41, v0
	v_lshl_or_b32 v0, v1, 7, v0
	v_cvt_f32_f16_e32 v4, v0
.LBB282_68:                             ;   in Loop: Header=BB282_13 Depth=1
	s_or_b64 exec, exec, s[36:37]
.LBB282_69:                             ;   in Loop: Header=BB282_13 Depth=1
	s_or_b64 exec, exec, s[34:35]
.LBB282_70:                             ;   in Loop: Header=BB282_13 Depth=1
	s_or_b64 exec, exec, s[30:31]
	v_lshrrev_b16_e32 v36, 8, v36
	v_cmp_ne_u16_e64 s[8:9], 0, v36
	s_and_saveexec_b64 s[30:31], s[8:9]
	s_cbranch_execz .LBB282_76
; %bb.71:                               ;   in Loop: Header=BB282_13 Depth=1
	v_cmp_ne_u16_e64 s[8:9], s39, v36
	v_bfrev_b32_e32 v32, 1
	s_and_saveexec_b64 s[34:35], s[8:9]
	s_cbranch_execz .LBB282_75
; %bb.72:                               ;   in Loop: Header=BB282_13 Depth=1
	v_and_b32_e32 v0, 0x7f, v36
	v_cmp_ne_u32_e64 s[8:9], s40, v0
	v_mov_b32_e32 v32, 0x7fc02000
	s_and_saveexec_b64 s[36:37], s[8:9]
	s_cbranch_execz .LBB282_74
; %bb.73:                               ;   in Loop: Header=BB282_13 Depth=1
	v_and_b32_e32 v1, 7, v36
	v_ffbh_u32_e32 v2, v1
	v_min_u32_e32 v6, 32, v2
	v_subrev_u32_e32 v2, 28, v6
	v_lshlrev_b64 v[2:3], v2, v[36:37]
	v_lshrrev_b32_e32 v5, 3, v0
	v_sub_u32_e32 v3, 29, v6
	v_cmp_gt_u32_e64 s[8:9], 8, v0
	v_and_b32_e32 v2, 7, v2
	v_cndmask_b32_e64 v0, v5, v3, s[8:9]
	v_mov_b32_e32 v3, 0x2000
	v_cndmask_b32_e64 v1, v1, v2, s[8:9]
	v_lshlrev_b32_e32 v2, 8, v36
	v_lshl_add_u32 v0, v0, 10, v3
	v_and_or_b32 v0, v2, s41, v0
	v_lshl_or_b32 v0, v1, 7, v0
	v_cvt_f32_f16_e32 v32, v0
.LBB282_74:                             ;   in Loop: Header=BB282_13 Depth=1
	s_or_b64 exec, exec, s[36:37]
.LBB282_75:                             ;   in Loop: Header=BB282_13 Depth=1
	s_or_b64 exec, exec, s[34:35]
.LBB282_76:                             ;   in Loop: Header=BB282_13 Depth=1
	s_or_b64 exec, exec, s[30:31]
	flat_load_ushort v0, v[20:21] offset:520
	v_mov_b32_e32 v1, 0
	v_mov_b32_e32 v33, 0
	;; [unrolled: 1-line block ×3, first 2 shown]
	s_waitcnt vmcnt(0) lgkmcnt(0)
	v_and_b32_e32 v36, 0xffff, v0
	v_cmp_ne_u16_sdwa s[8:9], v0, v1 src0_sel:BYTE_0 src1_sel:DWORD
	s_and_saveexec_b64 s[30:31], s[8:9]
	s_cbranch_execz .LBB282_82
; %bb.77:                               ;   in Loop: Header=BB282_13 Depth=1
	v_cmp_ne_u16_sdwa s[8:9], v36, s39 src0_sel:BYTE_0 src1_sel:DWORD
	v_bfrev_b32_e32 v35, 1
	s_and_saveexec_b64 s[34:35], s[8:9]
	s_cbranch_execz .LBB282_81
; %bb.78:                               ;   in Loop: Header=BB282_13 Depth=1
	v_and_b32_e32 v0, 0x7f, v36
	v_cmp_ne_u32_e64 s[8:9], s40, v0
	v_mov_b32_e32 v35, 0x7fc02000
	s_and_saveexec_b64 s[36:37], s[8:9]
	s_cbranch_execz .LBB282_80
; %bb.79:                               ;   in Loop: Header=BB282_13 Depth=1
	v_and_b32_e32 v1, 7, v36
	v_ffbh_u32_e32 v2, v1
	v_min_u32_e32 v7, 32, v2
	v_subrev_u32_e32 v2, 28, v7
	v_lshlrev_b64 v[2:3], v2, v[36:37]
	v_lshrrev_b32_e32 v6, 3, v0
	v_sub_u32_e32 v3, 29, v7
	v_cmp_gt_u32_e64 s[8:9], 8, v0
	v_and_b32_e32 v2, 7, v2
	v_cndmask_b32_e64 v0, v6, v3, s[8:9]
	v_mov_b32_e32 v3, 0x2000
	v_cndmask_b32_e64 v1, v1, v2, s[8:9]
	v_lshlrev_b32_e32 v2, 8, v36
	v_lshl_add_u32 v0, v0, 10, v3
	v_and_or_b32 v0, v2, s41, v0
	v_lshl_or_b32 v0, v1, 7, v0
	v_cvt_f32_f16_e32 v35, v0
.LBB282_80:                             ;   in Loop: Header=BB282_13 Depth=1
	s_or_b64 exec, exec, s[36:37]
.LBB282_81:                             ;   in Loop: Header=BB282_13 Depth=1
	s_or_b64 exec, exec, s[34:35]
.LBB282_82:                             ;   in Loop: Header=BB282_13 Depth=1
	s_or_b64 exec, exec, s[30:31]
	v_lshrrev_b16_e32 v36, 8, v36
	v_cmp_ne_u16_e64 s[8:9], 0, v36
	s_and_saveexec_b64 s[30:31], s[8:9]
	s_cbranch_execz .LBB282_88
; %bb.83:                               ;   in Loop: Header=BB282_13 Depth=1
	v_cmp_ne_u16_e64 s[8:9], s39, v36
	v_bfrev_b32_e32 v33, 1
	s_and_saveexec_b64 s[34:35], s[8:9]
	s_cbranch_execz .LBB282_87
; %bb.84:                               ;   in Loop: Header=BB282_13 Depth=1
	v_and_b32_e32 v0, 0x7f, v36
	v_cmp_ne_u32_e64 s[8:9], s40, v0
	v_mov_b32_e32 v33, 0x7fc02000
	s_and_saveexec_b64 s[36:37], s[8:9]
	s_cbranch_execz .LBB282_86
; %bb.85:                               ;   in Loop: Header=BB282_13 Depth=1
	v_and_b32_e32 v1, 7, v36
	v_ffbh_u32_e32 v2, v1
	v_min_u32_e32 v7, 32, v2
	v_subrev_u32_e32 v2, 28, v7
	v_lshlrev_b64 v[2:3], v2, v[36:37]
	v_lshrrev_b32_e32 v6, 3, v0
	v_sub_u32_e32 v3, 29, v7
	v_cmp_gt_u32_e64 s[8:9], 8, v0
	v_and_b32_e32 v2, 7, v2
	v_cndmask_b32_e64 v0, v6, v3, s[8:9]
	v_mov_b32_e32 v3, 0x2000
	v_cndmask_b32_e64 v1, v1, v2, s[8:9]
	v_lshlrev_b32_e32 v2, 8, v36
	v_lshl_add_u32 v0, v0, 10, v3
	v_and_or_b32 v0, v2, s41, v0
	v_lshl_or_b32 v0, v1, 7, v0
	v_cvt_f32_f16_e32 v33, v0
.LBB282_86:                             ;   in Loop: Header=BB282_13 Depth=1
	s_or_b64 exec, exec, s[36:37]
.LBB282_87:                             ;   in Loop: Header=BB282_13 Depth=1
	s_or_b64 exec, exec, s[34:35]
.LBB282_88:                             ;   in Loop: Header=BB282_13 Depth=1
	s_or_b64 exec, exec, s[30:31]
	flat_load_ushort v0, v[20:21] offset:768
	v_mov_b32_e32 v1, 0
	v_mov_b32_e32 v50, 0
	;; [unrolled: 1-line block ×3, first 2 shown]
	s_waitcnt vmcnt(0) lgkmcnt(0)
	v_and_b32_e32 v36, 0xffff, v0
	v_cmp_ne_u16_sdwa s[8:9], v0, v1 src0_sel:BYTE_0 src1_sel:DWORD
	s_and_saveexec_b64 s[30:31], s[8:9]
	s_cbranch_execz .LBB282_94
; %bb.89:                               ;   in Loop: Header=BB282_13 Depth=1
	v_cmp_ne_u16_sdwa s[8:9], v36, s39 src0_sel:BYTE_0 src1_sel:DWORD
	v_bfrev_b32_e32 v34, 1
	s_and_saveexec_b64 s[34:35], s[8:9]
	s_cbranch_execz .LBB282_93
; %bb.90:                               ;   in Loop: Header=BB282_13 Depth=1
	v_and_b32_e32 v0, 0x7f, v36
	v_cmp_ne_u32_e64 s[8:9], s40, v0
	v_mov_b32_e32 v34, 0x7fc02000
	s_and_saveexec_b64 s[36:37], s[8:9]
	s_cbranch_execz .LBB282_92
; %bb.91:                               ;   in Loop: Header=BB282_13 Depth=1
	v_and_b32_e32 v1, 7, v36
	v_ffbh_u32_e32 v2, v1
	v_min_u32_e32 v7, 32, v2
	v_subrev_u32_e32 v2, 28, v7
	v_lshlrev_b64 v[2:3], v2, v[36:37]
	v_lshrrev_b32_e32 v6, 3, v0
	v_sub_u32_e32 v3, 29, v7
	v_cmp_gt_u32_e64 s[8:9], 8, v0
	v_and_b32_e32 v2, 7, v2
	v_cndmask_b32_e64 v0, v6, v3, s[8:9]
	v_mov_b32_e32 v3, 0x2000
	v_cndmask_b32_e64 v1, v1, v2, s[8:9]
	v_lshlrev_b32_e32 v2, 8, v36
	v_lshl_add_u32 v0, v0, 10, v3
	v_and_or_b32 v0, v2, s41, v0
	v_lshl_or_b32 v0, v1, 7, v0
	v_cvt_f32_f16_e32 v34, v0
.LBB282_92:                             ;   in Loop: Header=BB282_13 Depth=1
	s_or_b64 exec, exec, s[36:37]
.LBB282_93:                             ;   in Loop: Header=BB282_13 Depth=1
	s_or_b64 exec, exec, s[34:35]
.LBB282_94:                             ;   in Loop: Header=BB282_13 Depth=1
	s_or_b64 exec, exec, s[30:31]
	v_lshrrev_b16_e32 v36, 8, v36
	v_cmp_ne_u16_e64 s[8:9], 0, v36
	s_and_saveexec_b64 s[30:31], s[8:9]
	s_cbranch_execz .LBB282_100
; %bb.95:                               ;   in Loop: Header=BB282_13 Depth=1
	v_cmp_ne_u16_e64 s[8:9], s39, v36
	v_bfrev_b32_e32 v50, 1
	s_and_saveexec_b64 s[34:35], s[8:9]
	s_cbranch_execz .LBB282_99
; %bb.96:                               ;   in Loop: Header=BB282_13 Depth=1
	v_and_b32_e32 v0, 0x7f, v36
	v_cmp_ne_u32_e64 s[8:9], s40, v0
	v_mov_b32_e32 v50, 0x7fc02000
	s_and_saveexec_b64 s[36:37], s[8:9]
	s_cbranch_execz .LBB282_98
; %bb.97:                               ;   in Loop: Header=BB282_13 Depth=1
	v_and_b32_e32 v1, 7, v36
	v_ffbh_u32_e32 v2, v1
	v_min_u32_e32 v7, 32, v2
	v_subrev_u32_e32 v2, 28, v7
	v_lshlrev_b64 v[2:3], v2, v[36:37]
	v_lshrrev_b32_e32 v6, 3, v0
	v_sub_u32_e32 v3, 29, v7
	v_cmp_gt_u32_e64 s[8:9], 8, v0
	v_and_b32_e32 v2, 7, v2
	v_cndmask_b32_e64 v0, v6, v3, s[8:9]
	v_mov_b32_e32 v3, 0x2000
	v_cndmask_b32_e64 v1, v1, v2, s[8:9]
	v_lshlrev_b32_e32 v2, 8, v36
	v_lshl_add_u32 v0, v0, 10, v3
	v_and_or_b32 v0, v2, s41, v0
	v_lshl_or_b32 v0, v1, 7, v0
	v_cvt_f32_f16_e32 v50, v0
.LBB282_98:                             ;   in Loop: Header=BB282_13 Depth=1
	s_or_b64 exec, exec, s[36:37]
.LBB282_99:                             ;   in Loop: Header=BB282_13 Depth=1
	s_or_b64 exec, exec, s[34:35]
.LBB282_100:                            ;   in Loop: Header=BB282_13 Depth=1
	s_or_b64 exec, exec, s[30:31]
	flat_load_ushort v0, v[20:21] offset:776
	v_mov_b32_e32 v1, 0
	v_mov_b32_e32 v48, 0
	;; [unrolled: 1-line block ×3, first 2 shown]
	s_waitcnt vmcnt(0) lgkmcnt(0)
	v_and_b32_e32 v36, 0xffff, v0
	v_cmp_ne_u16_sdwa s[8:9], v0, v1 src0_sel:BYTE_0 src1_sel:DWORD
	s_and_saveexec_b64 s[30:31], s[8:9]
	s_cbranch_execz .LBB282_106
; %bb.101:                              ;   in Loop: Header=BB282_13 Depth=1
	v_cmp_ne_u16_sdwa s[8:9], v36, s39 src0_sel:BYTE_0 src1_sel:DWORD
	v_bfrev_b32_e32 v10, 1
	s_and_saveexec_b64 s[34:35], s[8:9]
	s_cbranch_execz .LBB282_105
; %bb.102:                              ;   in Loop: Header=BB282_13 Depth=1
	v_and_b32_e32 v0, 0x7f, v36
	v_cmp_ne_u32_e64 s[8:9], s40, v0
	v_mov_b32_e32 v10, 0x7fc02000
	s_and_saveexec_b64 s[36:37], s[8:9]
	s_cbranch_execz .LBB282_104
; %bb.103:                              ;   in Loop: Header=BB282_13 Depth=1
	v_and_b32_e32 v2, 7, v36
	v_lshrrev_b32_e32 v3, 3, v0
	v_cmp_gt_u32_e64 s[8:9], 8, v0
	v_ffbh_u32_e32 v0, v2
	v_min_u32_e32 v6, 32, v0
	v_subrev_u32_e32 v0, 28, v6
	v_lshlrev_b64 v[0:1], v0, v[36:37]
	v_sub_u32_e32 v1, 29, v6
	v_and_b32_e32 v0, 7, v0
	v_cndmask_b32_e64 v1, v3, v1, s[8:9]
	v_mov_b32_e32 v3, 0x2000
	v_cndmask_b32_e64 v0, v2, v0, s[8:9]
	v_lshlrev_b32_e32 v2, 8, v36
	v_lshl_add_u32 v1, v1, 10, v3
	v_and_or_b32 v1, v2, s41, v1
	v_lshl_or_b32 v0, v0, 7, v1
	v_cvt_f32_f16_e32 v10, v0
.LBB282_104:                            ;   in Loop: Header=BB282_13 Depth=1
	s_or_b64 exec, exec, s[36:37]
.LBB282_105:                            ;   in Loop: Header=BB282_13 Depth=1
	s_or_b64 exec, exec, s[34:35]
.LBB282_106:                            ;   in Loop: Header=BB282_13 Depth=1
	s_or_b64 exec, exec, s[30:31]
	v_lshrrev_b16_e32 v36, 8, v36
	v_cmp_ne_u16_e64 s[8:9], 0, v36
	s_and_saveexec_b64 s[30:31], s[8:9]
	s_cbranch_execz .LBB282_112
; %bb.107:                              ;   in Loop: Header=BB282_13 Depth=1
	v_cmp_ne_u16_e64 s[8:9], s39, v36
	v_bfrev_b32_e32 v48, 1
	s_and_saveexec_b64 s[34:35], s[8:9]
	s_cbranch_execz .LBB282_111
; %bb.108:                              ;   in Loop: Header=BB282_13 Depth=1
	v_and_b32_e32 v0, 0x7f, v36
	v_cmp_ne_u32_e64 s[8:9], s40, v0
	v_mov_b32_e32 v48, 0x7fc02000
	s_and_saveexec_b64 s[36:37], s[8:9]
	s_cbranch_execz .LBB282_110
; %bb.109:                              ;   in Loop: Header=BB282_13 Depth=1
	v_and_b32_e32 v2, 7, v36
	v_lshrrev_b32_e32 v3, 3, v0
	v_cmp_gt_u32_e64 s[8:9], 8, v0
	v_ffbh_u32_e32 v0, v2
	v_min_u32_e32 v6, 32, v0
	v_subrev_u32_e32 v0, 28, v6
	v_lshlrev_b64 v[0:1], v0, v[36:37]
	v_sub_u32_e32 v1, 29, v6
	v_and_b32_e32 v0, 7, v0
	v_cndmask_b32_e64 v1, v3, v1, s[8:9]
	v_mov_b32_e32 v3, 0x2000
	v_cndmask_b32_e64 v0, v2, v0, s[8:9]
	v_lshlrev_b32_e32 v2, 8, v36
	v_lshl_add_u32 v1, v1, 10, v3
	v_and_or_b32 v1, v2, s41, v1
	v_lshl_or_b32 v0, v0, 7, v1
	v_cvt_f32_f16_e32 v48, v0
.LBB282_110:                            ;   in Loop: Header=BB282_13 Depth=1
	s_or_b64 exec, exec, s[36:37]
.LBB282_111:                            ;   in Loop: Header=BB282_13 Depth=1
	s_or_b64 exec, exec, s[34:35]
.LBB282_112:                            ;   in Loop: Header=BB282_13 Depth=1
	s_or_b64 exec, exec, s[30:31]
	flat_load_ushort v0, v[20:21] offset:1024
	v_mov_b32_e32 v1, 0
	v_mov_b32_e32 v53, 0
	;; [unrolled: 1-line block ×3, first 2 shown]
	s_waitcnt vmcnt(0) lgkmcnt(0)
	v_and_b32_e32 v36, 0xffff, v0
	v_cmp_ne_u16_sdwa s[8:9], v0, v1 src0_sel:BYTE_0 src1_sel:DWORD
	s_and_saveexec_b64 s[30:31], s[8:9]
	s_cbranch_execz .LBB282_118
; %bb.113:                              ;   in Loop: Header=BB282_13 Depth=1
	v_cmp_ne_u16_sdwa s[8:9], v36, s39 src0_sel:BYTE_0 src1_sel:DWORD
	v_bfrev_b32_e32 v55, 1
	s_and_saveexec_b64 s[34:35], s[8:9]
	s_cbranch_execz .LBB282_117
; %bb.114:                              ;   in Loop: Header=BB282_13 Depth=1
	v_and_b32_e32 v0, 0x7f, v36
	v_cmp_ne_u32_e64 s[8:9], s40, v0
	v_mov_b32_e32 v55, 0x7fc02000
	s_and_saveexec_b64 s[36:37], s[8:9]
	s_cbranch_execz .LBB282_116
; %bb.115:                              ;   in Loop: Header=BB282_13 Depth=1
	v_and_b32_e32 v6, 7, v36
	v_ffbh_u32_e32 v2, v6
	v_min_u32_e32 v8, 32, v2
	v_subrev_u32_e32 v2, 28, v8
	v_lshlrev_b64 v[2:3], v2, v[36:37]
	v_lshrrev_b32_e32 v7, 3, v0
	v_sub_u32_e32 v3, 29, v8
	v_cmp_gt_u32_e64 s[8:9], 8, v0
	v_cndmask_b32_e64 v0, v7, v3, s[8:9]
	v_mov_b32_e32 v1, 0x2000
	v_and_b32_e32 v2, 7, v2
	v_lshlrev_b32_e32 v3, 8, v36
	v_lshl_add_u32 v0, v0, 10, v1
	v_cndmask_b32_e64 v2, v6, v2, s[8:9]
	v_and_or_b32 v0, v3, s41, v0
	v_lshl_or_b32 v0, v2, 7, v0
	v_cvt_f32_f16_e32 v55, v0
.LBB282_116:                            ;   in Loop: Header=BB282_13 Depth=1
	s_or_b64 exec, exec, s[36:37]
.LBB282_117:                            ;   in Loop: Header=BB282_13 Depth=1
	s_or_b64 exec, exec, s[34:35]
.LBB282_118:                            ;   in Loop: Header=BB282_13 Depth=1
	s_or_b64 exec, exec, s[30:31]
	v_lshrrev_b16_e32 v36, 8, v36
	v_cmp_ne_u16_e64 s[8:9], 0, v36
	s_and_saveexec_b64 s[30:31], s[8:9]
	s_cbranch_execz .LBB282_124
; %bb.119:                              ;   in Loop: Header=BB282_13 Depth=1
	v_cmp_ne_u16_e64 s[8:9], s39, v36
	v_bfrev_b32_e32 v53, 1
	s_and_saveexec_b64 s[34:35], s[8:9]
	s_cbranch_execz .LBB282_123
; %bb.120:                              ;   in Loop: Header=BB282_13 Depth=1
	v_and_b32_e32 v0, 0x7f, v36
	v_cmp_ne_u32_e64 s[8:9], s40, v0
	v_mov_b32_e32 v53, 0x7fc02000
	s_and_saveexec_b64 s[36:37], s[8:9]
	s_cbranch_execz .LBB282_122
; %bb.121:                              ;   in Loop: Header=BB282_13 Depth=1
	v_and_b32_e32 v1, 7, v36
	v_ffbh_u32_e32 v2, v1
	v_min_u32_e32 v7, 32, v2
	v_subrev_u32_e32 v2, 28, v7
	v_lshlrev_b64 v[2:3], v2, v[36:37]
	v_lshrrev_b32_e32 v6, 3, v0
	v_sub_u32_e32 v3, 29, v7
	v_cmp_gt_u32_e64 s[8:9], 8, v0
	v_and_b32_e32 v2, 7, v2
	v_cndmask_b32_e64 v0, v6, v3, s[8:9]
	v_mov_b32_e32 v3, 0x2000
	v_cndmask_b32_e64 v1, v1, v2, s[8:9]
	v_lshlrev_b32_e32 v2, 8, v36
	v_lshl_add_u32 v0, v0, 10, v3
	v_and_or_b32 v0, v2, s41, v0
	v_lshl_or_b32 v0, v1, 7, v0
	v_cvt_f32_f16_e32 v53, v0
.LBB282_122:                            ;   in Loop: Header=BB282_13 Depth=1
	s_or_b64 exec, exec, s[36:37]
.LBB282_123:                            ;   in Loop: Header=BB282_13 Depth=1
	s_or_b64 exec, exec, s[34:35]
.LBB282_124:                            ;   in Loop: Header=BB282_13 Depth=1
	s_or_b64 exec, exec, s[30:31]
	flat_load_ushort v0, v[20:21] offset:1032
	v_mov_b32_e32 v1, 0
	v_mov_b32_e32 v41, 0
	;; [unrolled: 1-line block ×3, first 2 shown]
	s_waitcnt vmcnt(0) lgkmcnt(0)
	v_and_b32_e32 v36, 0xffff, v0
	v_cmp_ne_u16_sdwa s[8:9], v0, v1 src0_sel:BYTE_0 src1_sel:DWORD
	s_and_saveexec_b64 s[30:31], s[8:9]
	s_cbranch_execz .LBB282_130
; %bb.125:                              ;   in Loop: Header=BB282_13 Depth=1
	v_cmp_ne_u16_sdwa s[8:9], v36, s39 src0_sel:BYTE_0 src1_sel:DWORD
	v_bfrev_b32_e32 v43, 1
	s_and_saveexec_b64 s[34:35], s[8:9]
	s_cbranch_execz .LBB282_129
; %bb.126:                              ;   in Loop: Header=BB282_13 Depth=1
	v_and_b32_e32 v0, 0x7f, v36
	v_cmp_ne_u32_e64 s[8:9], s40, v0
	v_mov_b32_e32 v43, 0x7fc02000
	s_and_saveexec_b64 s[36:37], s[8:9]
	s_cbranch_execz .LBB282_128
; %bb.127:                              ;   in Loop: Header=BB282_13 Depth=1
	v_and_b32_e32 v2, 7, v36
	v_ffbh_u32_e32 v6, v2
	v_min_u32_e32 v9, 32, v6
	v_subrev_u32_e32 v6, 28, v9
	v_lshlrev_b64 v[6:7], v6, v[36:37]
	v_lshrrev_b32_e32 v8, 3, v0
	v_sub_u32_e32 v7, 29, v9
	v_cmp_gt_u32_e64 s[8:9], 8, v0
	v_and_b32_e32 v6, 7, v6
	v_cndmask_b32_e64 v0, v8, v7, s[8:9]
	v_mov_b32_e32 v1, 0x2000
	v_cndmask_b32_e64 v2, v2, v6, s[8:9]
	v_lshlrev_b32_e32 v6, 8, v36
	v_lshl_add_u32 v0, v0, 10, v1
	v_and_or_b32 v0, v6, s41, v0
	v_lshl_or_b32 v0, v2, 7, v0
	v_cvt_f32_f16_e32 v43, v0
.LBB282_128:                            ;   in Loop: Header=BB282_13 Depth=1
	s_or_b64 exec, exec, s[36:37]
.LBB282_129:                            ;   in Loop: Header=BB282_13 Depth=1
	s_or_b64 exec, exec, s[34:35]
.LBB282_130:                            ;   in Loop: Header=BB282_13 Depth=1
	s_or_b64 exec, exec, s[30:31]
	v_lshrrev_b16_e32 v36, 8, v36
	v_cmp_ne_u16_e64 s[8:9], 0, v36
	s_and_saveexec_b64 s[30:31], s[8:9]
	s_cbranch_execz .LBB282_136
; %bb.131:                              ;   in Loop: Header=BB282_13 Depth=1
	v_cmp_ne_u16_e64 s[8:9], s39, v36
	v_bfrev_b32_e32 v41, 1
	s_and_saveexec_b64 s[34:35], s[8:9]
	s_cbranch_execz .LBB282_135
; %bb.132:                              ;   in Loop: Header=BB282_13 Depth=1
	v_and_b32_e32 v0, 0x7f, v36
	v_cmp_ne_u32_e64 s[8:9], s40, v0
	v_mov_b32_e32 v41, 0x7fc02000
	s_and_saveexec_b64 s[36:37], s[8:9]
	s_cbranch_execz .LBB282_134
; %bb.133:                              ;   in Loop: Header=BB282_13 Depth=1
	v_and_b32_e32 v6, 7, v36
	v_ffbh_u32_e32 v2, v6
	v_min_u32_e32 v8, 32, v2
	v_subrev_u32_e32 v2, 28, v8
	v_lshlrev_b64 v[2:3], v2, v[36:37]
	v_lshrrev_b32_e32 v7, 3, v0
	v_sub_u32_e32 v3, 29, v8
	v_cmp_gt_u32_e64 s[8:9], 8, v0
	v_cndmask_b32_e64 v0, v7, v3, s[8:9]
	v_mov_b32_e32 v1, 0x2000
	v_and_b32_e32 v2, 7, v2
	v_lshlrev_b32_e32 v3, 8, v36
	v_lshl_add_u32 v0, v0, 10, v1
	v_cndmask_b32_e64 v2, v6, v2, s[8:9]
	v_and_or_b32 v0, v3, s41, v0
	v_lshl_or_b32 v0, v2, 7, v0
	v_cvt_f32_f16_e32 v41, v0
.LBB282_134:                            ;   in Loop: Header=BB282_13 Depth=1
	s_or_b64 exec, exec, s[36:37]
.LBB282_135:                            ;   in Loop: Header=BB282_13 Depth=1
	s_or_b64 exec, exec, s[34:35]
.LBB282_136:                            ;   in Loop: Header=BB282_13 Depth=1
	s_or_b64 exec, exec, s[30:31]
	flat_load_ushort v0, v[20:21] offset:1280
	v_mov_b32_e32 v1, 0
	v_mov_b32_e32 v44, 0
	;; [unrolled: 1-line block ×3, first 2 shown]
	s_waitcnt vmcnt(0) lgkmcnt(0)
	v_and_b32_e32 v36, 0xffff, v0
	v_cmp_ne_u16_sdwa s[8:9], v0, v1 src0_sel:BYTE_0 src1_sel:DWORD
	s_and_saveexec_b64 s[30:31], s[8:9]
	s_cbranch_execz .LBB282_142
; %bb.137:                              ;   in Loop: Header=BB282_13 Depth=1
	v_cmp_ne_u16_sdwa s[8:9], v36, s39 src0_sel:BYTE_0 src1_sel:DWORD
	v_bfrev_b32_e32 v46, 1
	s_and_saveexec_b64 s[34:35], s[8:9]
	s_cbranch_execz .LBB282_141
; %bb.138:                              ;   in Loop: Header=BB282_13 Depth=1
	v_and_b32_e32 v0, 0x7f, v36
	v_cmp_ne_u32_e64 s[8:9], s40, v0
	v_mov_b32_e32 v46, 0x7fc02000
	s_and_saveexec_b64 s[36:37], s[8:9]
	s_cbranch_execz .LBB282_140
; %bb.139:                              ;   in Loop: Header=BB282_13 Depth=1
	v_and_b32_e32 v8, 7, v36
	v_ffbh_u32_e32 v6, v8
	v_min_u32_e32 v12, 32, v6
	v_subrev_u32_e32 v6, 28, v12
	v_lshlrev_b64 v[6:7], v6, v[36:37]
	v_lshrrev_b32_e32 v9, 3, v0
	v_sub_u32_e32 v7, 29, v12
	v_cmp_gt_u32_e64 s[8:9], 8, v0
	v_cndmask_b32_e64 v0, v9, v7, s[8:9]
	v_mov_b32_e32 v1, 0x2000
	v_and_b32_e32 v6, 7, v6
	v_lshlrev_b32_e32 v7, 8, v36
	v_lshl_add_u32 v0, v0, 10, v1
	v_cndmask_b32_e64 v6, v8, v6, s[8:9]
	v_and_or_b32 v0, v7, s41, v0
	v_lshl_or_b32 v0, v6, 7, v0
	v_cvt_f32_f16_e32 v46, v0
.LBB282_140:                            ;   in Loop: Header=BB282_13 Depth=1
	s_or_b64 exec, exec, s[36:37]
.LBB282_141:                            ;   in Loop: Header=BB282_13 Depth=1
	s_or_b64 exec, exec, s[34:35]
.LBB282_142:                            ;   in Loop: Header=BB282_13 Depth=1
	s_or_b64 exec, exec, s[30:31]
	v_lshrrev_b16_e32 v36, 8, v36
	v_cmp_ne_u16_e64 s[8:9], 0, v36
	s_and_saveexec_b64 s[30:31], s[8:9]
	s_cbranch_execz .LBB282_148
; %bb.143:                              ;   in Loop: Header=BB282_13 Depth=1
	v_cmp_ne_u16_e64 s[8:9], s39, v36
	v_bfrev_b32_e32 v44, 1
	s_and_saveexec_b64 s[34:35], s[8:9]
	s_cbranch_execz .LBB282_147
; %bb.144:                              ;   in Loop: Header=BB282_13 Depth=1
	v_and_b32_e32 v0, 0x7f, v36
	v_cmp_ne_u32_e64 s[8:9], s40, v0
	v_mov_b32_e32 v44, 0x7fc02000
	s_and_saveexec_b64 s[36:37], s[8:9]
	s_cbranch_execz .LBB282_146
; %bb.145:                              ;   in Loop: Header=BB282_13 Depth=1
	v_and_b32_e32 v2, 7, v36
	v_ffbh_u32_e32 v6, v2
	v_min_u32_e32 v9, 32, v6
	v_subrev_u32_e32 v6, 28, v9
	v_lshlrev_b64 v[6:7], v6, v[36:37]
	v_lshrrev_b32_e32 v8, 3, v0
	v_sub_u32_e32 v7, 29, v9
	v_cmp_gt_u32_e64 s[8:9], 8, v0
	v_and_b32_e32 v6, 7, v6
	v_cndmask_b32_e64 v0, v8, v7, s[8:9]
	v_mov_b32_e32 v1, 0x2000
	v_cndmask_b32_e64 v2, v2, v6, s[8:9]
	v_lshlrev_b32_e32 v6, 8, v36
	v_lshl_add_u32 v0, v0, 10, v1
	v_and_or_b32 v0, v6, s41, v0
	v_lshl_or_b32 v0, v2, 7, v0
	v_cvt_f32_f16_e32 v44, v0
.LBB282_146:                            ;   in Loop: Header=BB282_13 Depth=1
	s_or_b64 exec, exec, s[36:37]
.LBB282_147:                            ;   in Loop: Header=BB282_13 Depth=1
	s_or_b64 exec, exec, s[34:35]
.LBB282_148:                            ;   in Loop: Header=BB282_13 Depth=1
	s_or_b64 exec, exec, s[30:31]
	flat_load_ushort v0, v[20:21] offset:1288
	v_mov_b32_e32 v1, 0
	v_mov_b32_e32 v57, 0
	v_mov_b32_e32 v2, 0
	s_waitcnt vmcnt(0) lgkmcnt(0)
	v_and_b32_e32 v36, 0xffff, v0
	v_cmp_ne_u16_sdwa s[8:9], v0, v1 src0_sel:BYTE_0 src1_sel:DWORD
	s_and_saveexec_b64 s[30:31], s[8:9]
	s_cbranch_execz .LBB282_154
; %bb.149:                              ;   in Loop: Header=BB282_13 Depth=1
	v_cmp_ne_u16_sdwa s[8:9], v36, s39 src0_sel:BYTE_0 src1_sel:DWORD
	v_bfrev_b32_e32 v2, 1
	s_and_saveexec_b64 s[34:35], s[8:9]
	s_cbranch_execz .LBB282_153
; %bb.150:                              ;   in Loop: Header=BB282_13 Depth=1
	v_and_b32_e32 v0, 0x7f, v36
	v_cmp_ne_u32_e64 s[8:9], s40, v0
	v_mov_b32_e32 v2, 0x7fc02000
	s_and_saveexec_b64 s[36:37], s[8:9]
	s_cbranch_execz .LBB282_152
; %bb.151:                              ;   in Loop: Header=BB282_13 Depth=1
	v_and_b32_e32 v8, 7, v36
	v_ffbh_u32_e32 v6, v8
	v_min_u32_e32 v12, 32, v6
	v_subrev_u32_e32 v6, 28, v12
	v_lshlrev_b64 v[6:7], v6, v[36:37]
	v_lshrrev_b32_e32 v9, 3, v0
	v_sub_u32_e32 v7, 29, v12
	v_cmp_gt_u32_e64 s[8:9], 8, v0
	v_cndmask_b32_e64 v0, v9, v7, s[8:9]
	v_mov_b32_e32 v1, 0x2000
	v_and_b32_e32 v6, 7, v6
	v_lshlrev_b32_e32 v7, 8, v36
	v_lshl_add_u32 v0, v0, 10, v1
	v_cndmask_b32_e64 v6, v8, v6, s[8:9]
	v_and_or_b32 v0, v7, s41, v0
	v_lshl_or_b32 v0, v6, 7, v0
	v_cvt_f32_f16_e32 v2, v0
.LBB282_152:                            ;   in Loop: Header=BB282_13 Depth=1
	s_or_b64 exec, exec, s[36:37]
.LBB282_153:                            ;   in Loop: Header=BB282_13 Depth=1
	s_or_b64 exec, exec, s[34:35]
.LBB282_154:                            ;   in Loop: Header=BB282_13 Depth=1
	s_or_b64 exec, exec, s[30:31]
	v_lshrrev_b16_e32 v36, 8, v36
	v_cmp_ne_u16_e64 s[8:9], 0, v36
	s_and_saveexec_b64 s[30:31], s[8:9]
	s_cbranch_execz .LBB282_160
; %bb.155:                              ;   in Loop: Header=BB282_13 Depth=1
	v_cmp_ne_u16_e64 s[8:9], s39, v36
	v_bfrev_b32_e32 v57, 1
	s_and_saveexec_b64 s[34:35], s[8:9]
	s_cbranch_execz .LBB282_159
; %bb.156:                              ;   in Loop: Header=BB282_13 Depth=1
	v_and_b32_e32 v0, 0x7f, v36
	v_cmp_ne_u32_e64 s[8:9], s40, v0
	v_mov_b32_e32 v57, 0x7fc02000
	s_and_saveexec_b64 s[36:37], s[8:9]
	s_cbranch_execz .LBB282_158
; %bb.157:                              ;   in Loop: Header=BB282_13 Depth=1
	v_and_b32_e32 v8, 7, v36
	v_ffbh_u32_e32 v6, v8
	v_min_u32_e32 v12, 32, v6
	v_subrev_u32_e32 v6, 28, v12
	v_lshlrev_b64 v[6:7], v6, v[36:37]
	v_lshrrev_b32_e32 v9, 3, v0
	v_sub_u32_e32 v7, 29, v12
	v_cmp_gt_u32_e64 s[8:9], 8, v0
	v_cndmask_b32_e64 v0, v9, v7, s[8:9]
	v_mov_b32_e32 v1, 0x2000
	v_and_b32_e32 v6, 7, v6
	v_lshlrev_b32_e32 v7, 8, v36
	v_lshl_add_u32 v0, v0, 10, v1
	v_cndmask_b32_e64 v6, v8, v6, s[8:9]
	v_and_or_b32 v0, v7, s41, v0
	v_lshl_or_b32 v0, v6, 7, v0
	v_cvt_f32_f16_e32 v57, v0
.LBB282_158:                            ;   in Loop: Header=BB282_13 Depth=1
	s_or_b64 exec, exec, s[36:37]
.LBB282_159:                            ;   in Loop: Header=BB282_13 Depth=1
	s_or_b64 exec, exec, s[34:35]
.LBB282_160:                            ;   in Loop: Header=BB282_13 Depth=1
	s_or_b64 exec, exec, s[30:31]
	flat_load_ushort v0, v[20:21] offset:1536
	v_mov_b32_e32 v1, 0
	v_mov_b32_e32 v3, 0
	;; [unrolled: 1-line block ×3, first 2 shown]
	s_waitcnt vmcnt(0) lgkmcnt(0)
	v_and_b32_e32 v36, 0xffff, v0
	v_cmp_ne_u16_sdwa s[8:9], v0, v1 src0_sel:BYTE_0 src1_sel:DWORD
	s_and_saveexec_b64 s[30:31], s[8:9]
	s_cbranch_execz .LBB282_166
; %bb.161:                              ;   in Loop: Header=BB282_13 Depth=1
	v_cmp_ne_u16_sdwa s[8:9], v36, s39 src0_sel:BYTE_0 src1_sel:DWORD
	v_bfrev_b32_e32 v5, 1
	s_and_saveexec_b64 s[34:35], s[8:9]
	s_cbranch_execz .LBB282_165
; %bb.162:                              ;   in Loop: Header=BB282_13 Depth=1
	v_and_b32_e32 v0, 0x7f, v36
	v_cmp_ne_u32_e64 s[8:9], s40, v0
	v_mov_b32_e32 v5, 0x7fc02000
	s_and_saveexec_b64 s[36:37], s[8:9]
	s_cbranch_execz .LBB282_164
; %bb.163:                              ;   in Loop: Header=BB282_13 Depth=1
	v_and_b32_e32 v8, 7, v36
	v_ffbh_u32_e32 v6, v8
	v_min_u32_e32 v12, 32, v6
	v_subrev_u32_e32 v6, 28, v12
	v_lshlrev_b64 v[6:7], v6, v[36:37]
	v_lshrrev_b32_e32 v9, 3, v0
	v_sub_u32_e32 v7, 29, v12
	v_cmp_gt_u32_e64 s[8:9], 8, v0
	v_cndmask_b32_e64 v0, v9, v7, s[8:9]
	v_mov_b32_e32 v1, 0x2000
	v_and_b32_e32 v6, 7, v6
	v_lshlrev_b32_e32 v7, 8, v36
	v_lshl_add_u32 v0, v0, 10, v1
	v_cndmask_b32_e64 v6, v8, v6, s[8:9]
	v_and_or_b32 v0, v7, s41, v0
	v_lshl_or_b32 v0, v6, 7, v0
	v_cvt_f32_f16_e32 v5, v0
.LBB282_164:                            ;   in Loop: Header=BB282_13 Depth=1
	s_or_b64 exec, exec, s[36:37]
.LBB282_165:                            ;   in Loop: Header=BB282_13 Depth=1
	s_or_b64 exec, exec, s[34:35]
.LBB282_166:                            ;   in Loop: Header=BB282_13 Depth=1
	s_or_b64 exec, exec, s[30:31]
	v_lshrrev_b16_e32 v36, 8, v36
	v_cmp_ne_u16_e64 s[8:9], 0, v36
	s_and_saveexec_b64 s[30:31], s[8:9]
	s_cbranch_execz .LBB282_172
; %bb.167:                              ;   in Loop: Header=BB282_13 Depth=1
	v_cmp_ne_u16_e64 s[8:9], s39, v36
	v_bfrev_b32_e32 v3, 1
	s_and_saveexec_b64 s[34:35], s[8:9]
	s_cbranch_execz .LBB282_171
; %bb.168:                              ;   in Loop: Header=BB282_13 Depth=1
	v_and_b32_e32 v0, 0x7f, v36
	v_cmp_ne_u32_e64 s[8:9], s40, v0
	v_mov_b32_e32 v3, 0x7fc02000
	s_and_saveexec_b64 s[36:37], s[8:9]
	s_cbranch_execz .LBB282_170
; %bb.169:                              ;   in Loop: Header=BB282_13 Depth=1
	v_and_b32_e32 v8, 7, v36
	v_ffbh_u32_e32 v6, v8
	v_min_u32_e32 v1, 32, v6
	v_subrev_u32_e32 v6, 28, v1
	v_lshlrev_b64 v[6:7], v6, v[36:37]
	v_lshrrev_b32_e32 v9, 3, v0
	v_sub_u32_e32 v7, 29, v1
	v_cmp_gt_u32_e64 s[8:9], 8, v0
	v_cndmask_b32_e64 v0, v9, v7, s[8:9]
	v_mov_b32_e32 v1, 0x2000
	v_and_b32_e32 v6, 7, v6
	v_lshlrev_b32_e32 v7, 8, v36
	v_lshl_add_u32 v0, v0, 10, v1
	v_cndmask_b32_e64 v6, v8, v6, s[8:9]
	v_and_or_b32 v0, v7, s41, v0
	v_lshl_or_b32 v0, v6, 7, v0
	v_cvt_f32_f16_e32 v3, v0
.LBB282_170:                            ;   in Loop: Header=BB282_13 Depth=1
	s_or_b64 exec, exec, s[36:37]
.LBB282_171:                            ;   in Loop: Header=BB282_13 Depth=1
	s_or_b64 exec, exec, s[34:35]
.LBB282_172:                            ;   in Loop: Header=BB282_13 Depth=1
	s_or_b64 exec, exec, s[30:31]
	flat_load_ushort v0, v[20:21] offset:1544
	v_mov_b32_e32 v1, 0
	v_mov_b32_e32 v12, 0
	;; [unrolled: 1-line block ×3, first 2 shown]
	s_waitcnt vmcnt(0) lgkmcnt(0)
	v_and_b32_e32 v36, 0xffff, v0
	v_cmp_ne_u16_sdwa s[8:9], v0, v1 src0_sel:BYTE_0 src1_sel:DWORD
	s_and_saveexec_b64 s[30:31], s[8:9]
	s_cbranch_execz .LBB282_178
; %bb.173:                              ;   in Loop: Header=BB282_13 Depth=1
	v_cmp_ne_u16_sdwa s[8:9], v36, s39 src0_sel:BYTE_0 src1_sel:DWORD
	v_bfrev_b32_e32 v13, 1
	s_and_saveexec_b64 s[34:35], s[8:9]
	s_cbranch_execz .LBB282_177
; %bb.174:                              ;   in Loop: Header=BB282_13 Depth=1
	v_and_b32_e32 v0, 0x7f, v36
	v_cmp_ne_u32_e64 s[8:9], s40, v0
	v_mov_b32_e32 v13, 0x7fc02000
	s_and_saveexec_b64 s[36:37], s[8:9]
	s_cbranch_execz .LBB282_176
; %bb.175:                              ;   in Loop: Header=BB282_13 Depth=1
	v_and_b32_e32 v8, 7, v36
	v_ffbh_u32_e32 v6, v8
	v_min_u32_e32 v1, 32, v6
	v_subrev_u32_e32 v6, 28, v1
	v_lshlrev_b64 v[6:7], v6, v[36:37]
	v_lshrrev_b32_e32 v9, 3, v0
	v_sub_u32_e32 v7, 29, v1
	v_cmp_gt_u32_e64 s[8:9], 8, v0
	v_cndmask_b32_e64 v0, v9, v7, s[8:9]
	v_mov_b32_e32 v1, 0x2000
	v_and_b32_e32 v6, 7, v6
	v_lshlrev_b32_e32 v7, 8, v36
	v_lshl_add_u32 v0, v0, 10, v1
	v_cndmask_b32_e64 v6, v8, v6, s[8:9]
	v_and_or_b32 v0, v7, s41, v0
	v_lshl_or_b32 v0, v6, 7, v0
	v_cvt_f32_f16_e32 v13, v0
.LBB282_176:                            ;   in Loop: Header=BB282_13 Depth=1
	s_or_b64 exec, exec, s[36:37]
.LBB282_177:                            ;   in Loop: Header=BB282_13 Depth=1
	s_or_b64 exec, exec, s[34:35]
.LBB282_178:                            ;   in Loop: Header=BB282_13 Depth=1
	s_or_b64 exec, exec, s[30:31]
	v_lshrrev_b16_e32 v36, 8, v36
	v_cmp_ne_u16_e64 s[8:9], 0, v36
	s_and_saveexec_b64 s[30:31], s[8:9]
	s_cbranch_execz .LBB282_184
; %bb.179:                              ;   in Loop: Header=BB282_13 Depth=1
	v_cmp_ne_u16_e64 s[8:9], s39, v36
	v_bfrev_b32_e32 v12, 1
	s_and_saveexec_b64 s[34:35], s[8:9]
	s_cbranch_execz .LBB282_183
; %bb.180:                              ;   in Loop: Header=BB282_13 Depth=1
	v_and_b32_e32 v0, 0x7f, v36
	v_cmp_ne_u32_e64 s[8:9], s40, v0
	v_mov_b32_e32 v12, 0x7fc02000
	s_and_saveexec_b64 s[36:37], s[8:9]
	s_cbranch_execz .LBB282_182
; %bb.181:                              ;   in Loop: Header=BB282_13 Depth=1
	v_and_b32_e32 v8, 7, v36
	v_ffbh_u32_e32 v6, v8
	v_min_u32_e32 v1, 32, v6
	v_subrev_u32_e32 v6, 28, v1
	v_lshlrev_b64 v[6:7], v6, v[36:37]
	v_lshrrev_b32_e32 v9, 3, v0
	v_sub_u32_e32 v7, 29, v1
	v_cmp_gt_u32_e64 s[8:9], 8, v0
	v_cndmask_b32_e64 v0, v9, v7, s[8:9]
	v_mov_b32_e32 v1, 0x2000
	v_and_b32_e32 v6, 7, v6
	v_lshlrev_b32_e32 v7, 8, v36
	v_lshl_add_u32 v0, v0, 10, v1
	v_cndmask_b32_e64 v6, v8, v6, s[8:9]
	v_and_or_b32 v0, v7, s41, v0
	v_lshl_or_b32 v0, v6, 7, v0
	v_cvt_f32_f16_e32 v12, v0
.LBB282_182:                            ;   in Loop: Header=BB282_13 Depth=1
	s_or_b64 exec, exec, s[36:37]
.LBB282_183:                            ;   in Loop: Header=BB282_13 Depth=1
	s_or_b64 exec, exec, s[34:35]
.LBB282_184:                            ;   in Loop: Header=BB282_13 Depth=1
	s_or_b64 exec, exec, s[30:31]
	flat_load_ushort v0, v[20:21] offset:1792
	v_mov_b32_e32 v1, 0
	v_mov_b32_e32 v31, 0
	;; [unrolled: 1-line block ×3, first 2 shown]
	s_waitcnt vmcnt(0) lgkmcnt(0)
	v_and_b32_e32 v36, 0xffff, v0
	v_cmp_ne_u16_sdwa s[8:9], v0, v1 src0_sel:BYTE_0 src1_sel:DWORD
	s_and_saveexec_b64 s[30:31], s[8:9]
	s_cbranch_execz .LBB282_190
; %bb.185:                              ;   in Loop: Header=BB282_13 Depth=1
	v_cmp_ne_u16_sdwa s[8:9], v36, s39 src0_sel:BYTE_0 src1_sel:DWORD
	v_bfrev_b32_e32 v37, 1
	s_and_saveexec_b64 s[34:35], s[8:9]
	s_cbranch_execz .LBB282_189
; %bb.186:                              ;   in Loop: Header=BB282_13 Depth=1
	v_and_b32_e32 v0, 0x7f, v36
	v_cmp_ne_u32_e64 s[8:9], s40, v0
	v_mov_b32_e32 v37, 0x7fc02000
	s_and_saveexec_b64 s[36:37], s[8:9]
	s_cbranch_execz .LBB282_188
; %bb.187:                              ;   in Loop: Header=BB282_13 Depth=1
	v_and_b32_e32 v8, 7, v36
	v_ffbh_u32_e32 v6, v8
	v_min_u32_e32 v1, 32, v6
	v_subrev_u32_e32 v6, 28, v1
	v_lshlrev_b64 v[6:7], v6, v[36:37]
	v_lshrrev_b32_e32 v9, 3, v0
	v_sub_u32_e32 v7, 29, v1
	v_cmp_gt_u32_e64 s[8:9], 8, v0
	v_cndmask_b32_e64 v0, v9, v7, s[8:9]
	v_mov_b32_e32 v1, 0x2000
	v_and_b32_e32 v6, 7, v6
	v_lshlrev_b32_e32 v7, 8, v36
	v_lshl_add_u32 v0, v0, 10, v1
	v_cndmask_b32_e64 v6, v8, v6, s[8:9]
	v_and_or_b32 v0, v7, s41, v0
	v_lshl_or_b32 v0, v6, 7, v0
	v_cvt_f32_f16_e32 v37, v0
.LBB282_188:                            ;   in Loop: Header=BB282_13 Depth=1
	s_or_b64 exec, exec, s[36:37]
.LBB282_189:                            ;   in Loop: Header=BB282_13 Depth=1
	s_or_b64 exec, exec, s[34:35]
.LBB282_190:                            ;   in Loop: Header=BB282_13 Depth=1
	s_or_b64 exec, exec, s[30:31]
	v_lshrrev_b16_e32 v36, 8, v36
	v_cmp_ne_u16_e64 s[8:9], 0, v36
	s_and_saveexec_b64 s[30:31], s[8:9]
	s_cbranch_execz .LBB282_196
; %bb.191:                              ;   in Loop: Header=BB282_13 Depth=1
	v_cmp_ne_u16_e64 s[8:9], s39, v36
	v_bfrev_b32_e32 v31, 1
	s_and_saveexec_b64 s[34:35], s[8:9]
	s_cbranch_execz .LBB282_195
; %bb.192:                              ;   in Loop: Header=BB282_13 Depth=1
	v_and_b32_e32 v0, 0x7f, v36
	v_cmp_ne_u32_e64 s[8:9], s40, v0
	v_mov_b32_e32 v31, 0x7fc02000
	s_and_saveexec_b64 s[36:37], s[8:9]
	s_cbranch_execz .LBB282_194
; %bb.193:                              ;   in Loop: Header=BB282_13 Depth=1
	v_and_b32_e32 v8, 7, v36
	v_ffbh_u32_e32 v6, v8
	v_min_u32_e32 v16, 32, v6
	v_subrev_u32_e32 v6, 28, v16
	v_lshlrev_b64 v[6:7], v6, v[36:37]
	v_lshrrev_b32_e32 v9, 3, v0
	v_sub_u32_e32 v7, 29, v16
	v_cmp_gt_u32_e64 s[8:9], 8, v0
	v_cndmask_b32_e64 v0, v9, v7, s[8:9]
	v_mov_b32_e32 v1, 0x2000
	v_and_b32_e32 v6, 7, v6
	v_lshlrev_b32_e32 v7, 8, v36
	v_lshl_add_u32 v0, v0, 10, v1
	v_cndmask_b32_e64 v6, v8, v6, s[8:9]
	v_and_or_b32 v0, v7, s41, v0
	v_lshl_or_b32 v0, v6, 7, v0
	v_cvt_f32_f16_e32 v31, v0
.LBB282_194:                            ;   in Loop: Header=BB282_13 Depth=1
	s_or_b64 exec, exec, s[36:37]
.LBB282_195:                            ;   in Loop: Header=BB282_13 Depth=1
	s_or_b64 exec, exec, s[34:35]
.LBB282_196:                            ;   in Loop: Header=BB282_13 Depth=1
	s_or_b64 exec, exec, s[30:31]
	flat_load_ushort v0, v[20:21] offset:1800
	v_mov_b32_e32 v1, 0
	v_mov_b32_e32 v49, 0
	v_mov_b32_e32 v38, 0
	s_waitcnt vmcnt(0) lgkmcnt(0)
	v_and_b32_e32 v36, 0xffff, v0
	v_cmp_ne_u16_sdwa s[8:9], v0, v1 src0_sel:BYTE_0 src1_sel:DWORD
	s_and_saveexec_b64 s[30:31], s[8:9]
	s_cbranch_execz .LBB282_202
; %bb.197:                              ;   in Loop: Header=BB282_13 Depth=1
	v_cmp_ne_u16_sdwa s[8:9], v36, s39 src0_sel:BYTE_0 src1_sel:DWORD
	v_bfrev_b32_e32 v38, 1
	s_and_saveexec_b64 s[34:35], s[8:9]
	s_cbranch_execz .LBB282_201
; %bb.198:                              ;   in Loop: Header=BB282_13 Depth=1
	v_and_b32_e32 v0, 0x7f, v36
	v_cmp_ne_u32_e64 s[8:9], s40, v0
	v_mov_b32_e32 v38, 0x7fc02000
	s_and_saveexec_b64 s[36:37], s[8:9]
	s_cbranch_execz .LBB282_200
; %bb.199:                              ;   in Loop: Header=BB282_13 Depth=1
	v_and_b32_e32 v8, 7, v36
	v_lshrrev_b32_e32 v9, 3, v0
	v_cmp_gt_u32_e64 s[8:9], 8, v0
	v_ffbh_u32_e32 v0, v8
	v_min_u32_e32 v0, 32, v0
	v_subrev_u32_e32 v6, 28, v0
	v_sub_u32_e32 v0, 29, v0
	v_lshlrev_b64 v[6:7], v6, v[36:37]
	v_cndmask_b32_e64 v0, v9, v0, s[8:9]
	v_mov_b32_e32 v1, 0x2000
	v_and_b32_e32 v6, 7, v6
	v_lshlrev_b32_e32 v7, 8, v36
	v_lshl_add_u32 v0, v0, 10, v1
	v_cndmask_b32_e64 v6, v8, v6, s[8:9]
	v_and_or_b32 v0, v7, s41, v0
	v_lshl_or_b32 v0, v6, 7, v0
	v_cvt_f32_f16_e32 v38, v0
.LBB282_200:                            ;   in Loop: Header=BB282_13 Depth=1
	s_or_b64 exec, exec, s[36:37]
.LBB282_201:                            ;   in Loop: Header=BB282_13 Depth=1
	s_or_b64 exec, exec, s[34:35]
.LBB282_202:                            ;   in Loop: Header=BB282_13 Depth=1
	s_or_b64 exec, exec, s[30:31]
	v_lshrrev_b16_e32 v36, 8, v36
	v_cmp_ne_u16_e64 s[8:9], 0, v36
	s_and_saveexec_b64 s[30:31], s[8:9]
	s_cbranch_execz .LBB282_208
; %bb.203:                              ;   in Loop: Header=BB282_13 Depth=1
	v_cmp_ne_u16_e64 s[8:9], s39, v36
	v_bfrev_b32_e32 v49, 1
	s_and_saveexec_b64 s[34:35], s[8:9]
	s_cbranch_execz .LBB282_207
; %bb.204:                              ;   in Loop: Header=BB282_13 Depth=1
	v_and_b32_e32 v0, 0x7f, v36
	v_cmp_ne_u32_e64 s[8:9], s40, v0
	v_mov_b32_e32 v49, 0x7fc02000
	s_and_saveexec_b64 s[36:37], s[8:9]
	s_cbranch_execz .LBB282_206
; %bb.205:                              ;   in Loop: Header=BB282_13 Depth=1
	v_and_b32_e32 v8, 7, v36
	v_lshrrev_b32_e32 v9, 3, v0
	v_cmp_gt_u32_e64 s[8:9], 8, v0
	v_ffbh_u32_e32 v0, v8
	v_min_u32_e32 v0, 32, v0
	v_subrev_u32_e32 v6, 28, v0
	v_sub_u32_e32 v0, 29, v0
	v_lshlrev_b64 v[6:7], v6, v[36:37]
	v_cndmask_b32_e64 v0, v9, v0, s[8:9]
	v_mov_b32_e32 v1, 0x2000
	v_and_b32_e32 v6, 7, v6
	v_lshlrev_b32_e32 v7, 8, v36
	v_lshl_add_u32 v0, v0, 10, v1
	v_cndmask_b32_e64 v6, v8, v6, s[8:9]
	v_and_or_b32 v0, v7, s41, v0
	v_lshl_or_b32 v0, v6, 7, v0
	v_cvt_f32_f16_e32 v49, v0
.LBB282_206:                            ;   in Loop: Header=BB282_13 Depth=1
	s_or_b64 exec, exec, s[36:37]
.LBB282_207:                            ;   in Loop: Header=BB282_13 Depth=1
	s_or_b64 exec, exec, s[34:35]
.LBB282_208:                            ;   in Loop: Header=BB282_13 Depth=1
	s_or_b64 exec, exec, s[30:31]
	flat_load_ushort v0, v[20:21] offset:2048
	v_mov_b32_e32 v1, 0
	v_mov_b32_e32 v39, 0
	;; [unrolled: 1-line block ×3, first 2 shown]
	s_waitcnt vmcnt(0) lgkmcnt(0)
	v_and_b32_e32 v36, 0xffff, v0
	v_cmp_ne_u16_sdwa s[8:9], v0, v1 src0_sel:BYTE_0 src1_sel:DWORD
	s_and_saveexec_b64 s[30:31], s[8:9]
	s_cbranch_execz .LBB282_214
; %bb.209:                              ;   in Loop: Header=BB282_13 Depth=1
	v_cmp_ne_u16_sdwa s[8:9], v36, s39 src0_sel:BYTE_0 src1_sel:DWORD
	v_bfrev_b32_e32 v7, 1
	s_and_saveexec_b64 s[34:35], s[8:9]
	s_cbranch_execz .LBB282_213
; %bb.210:                              ;   in Loop: Header=BB282_13 Depth=1
	v_and_b32_e32 v0, 0x7f, v36
	v_cmp_ne_u32_e64 s[8:9], s40, v0
	v_mov_b32_e32 v7, 0x7fc02000
	s_and_saveexec_b64 s[36:37], s[8:9]
	s_cbranch_execz .LBB282_212
; %bb.211:                              ;   in Loop: Header=BB282_13 Depth=1
	v_and_b32_e32 v8, 7, v36
	v_ffbh_u32_e32 v6, v8
	v_min_u32_e32 v16, 32, v6
	v_subrev_u32_e32 v6, 28, v16
	v_lshlrev_b64 v[6:7], v6, v[36:37]
	v_lshrrev_b32_e32 v9, 3, v0
	v_sub_u32_e32 v7, 29, v16
	v_cmp_gt_u32_e64 s[8:9], 8, v0
	v_cndmask_b32_e64 v0, v9, v7, s[8:9]
	v_mov_b32_e32 v1, 0x2000
	v_and_b32_e32 v6, 7, v6
	v_lshlrev_b32_e32 v7, 8, v36
	v_lshl_add_u32 v0, v0, 10, v1
	v_cndmask_b32_e64 v6, v8, v6, s[8:9]
	v_and_or_b32 v0, v7, s41, v0
	v_lshl_or_b32 v0, v6, 7, v0
	v_cvt_f32_f16_e32 v7, v0
.LBB282_212:                            ;   in Loop: Header=BB282_13 Depth=1
	s_or_b64 exec, exec, s[36:37]
.LBB282_213:                            ;   in Loop: Header=BB282_13 Depth=1
	s_or_b64 exec, exec, s[34:35]
.LBB282_214:                            ;   in Loop: Header=BB282_13 Depth=1
	s_or_b64 exec, exec, s[30:31]
	v_lshrrev_b16_e32 v36, 8, v36
	v_cmp_ne_u16_e64 s[8:9], 0, v36
	s_and_saveexec_b64 s[30:31], s[8:9]
	s_cbranch_execz .LBB282_220
; %bb.215:                              ;   in Loop: Header=BB282_13 Depth=1
	v_cmp_ne_u16_e64 s[8:9], s39, v36
	v_bfrev_b32_e32 v39, 1
	s_and_saveexec_b64 s[34:35], s[8:9]
	s_cbranch_execz .LBB282_219
; %bb.216:                              ;   in Loop: Header=BB282_13 Depth=1
	v_and_b32_e32 v0, 0x7f, v36
	v_cmp_ne_u32_e64 s[8:9], s40, v0
	v_mov_b32_e32 v39, 0x7fc02000
	s_and_saveexec_b64 s[36:37], s[8:9]
	s_cbranch_execz .LBB282_218
; %bb.217:                              ;   in Loop: Header=BB282_13 Depth=1
	v_and_b32_e32 v6, 7, v36
	v_ffbh_u32_e32 v8, v6
	v_min_u32_e32 v22, 32, v8
	v_subrev_u32_e32 v8, 28, v22
	v_lshlrev_b64 v[8:9], v8, v[36:37]
	v_lshrrev_b32_e32 v16, 3, v0
	v_sub_u32_e32 v9, 29, v22
	v_cmp_gt_u32_e64 s[8:9], 8, v0
	v_and_b32_e32 v8, 7, v8
	v_cndmask_b32_e64 v0, v16, v9, s[8:9]
	v_mov_b32_e32 v1, 0x2000
	v_cndmask_b32_e64 v6, v6, v8, s[8:9]
	v_lshlrev_b32_e32 v8, 8, v36
	v_lshl_add_u32 v0, v0, 10, v1
	v_and_or_b32 v0, v8, s41, v0
	v_lshl_or_b32 v0, v6, 7, v0
	v_cvt_f32_f16_e32 v39, v0
.LBB282_218:                            ;   in Loop: Header=BB282_13 Depth=1
	s_or_b64 exec, exec, s[36:37]
.LBB282_219:                            ;   in Loop: Header=BB282_13 Depth=1
	s_or_b64 exec, exec, s[34:35]
.LBB282_220:                            ;   in Loop: Header=BB282_13 Depth=1
	s_or_b64 exec, exec, s[30:31]
	flat_load_ushort v0, v[20:21] offset:2056
	v_mov_b32_e32 v1, 0
	v_mov_b32_e32 v16, 0
	;; [unrolled: 1-line block ×3, first 2 shown]
	s_waitcnt vmcnt(0) lgkmcnt(0)
	v_and_b32_e32 v36, 0xffff, v0
	v_cmp_ne_u16_sdwa s[8:9], v0, v1 src0_sel:BYTE_0 src1_sel:DWORD
	s_and_saveexec_b64 s[30:31], s[8:9]
	s_cbranch_execz .LBB282_226
; %bb.221:                              ;   in Loop: Header=BB282_13 Depth=1
	v_cmp_ne_u16_sdwa s[8:9], v36, s39 src0_sel:BYTE_0 src1_sel:DWORD
	v_bfrev_b32_e32 v8, 1
	s_and_saveexec_b64 s[34:35], s[8:9]
	s_cbranch_execz .LBB282_225
; %bb.222:                              ;   in Loop: Header=BB282_13 Depth=1
	v_and_b32_e32 v0, 0x7f, v36
	v_cmp_ne_u32_e64 s[8:9], s40, v0
	v_mov_b32_e32 v8, 0x7fc02000
	s_and_saveexec_b64 s[36:37], s[8:9]
	s_cbranch_execz .LBB282_224
; %bb.223:                              ;   in Loop: Header=BB282_13 Depth=1
	v_and_b32_e32 v6, 7, v36
	v_ffbh_u32_e32 v8, v6
	v_min_u32_e32 v24, 32, v8
	v_subrev_u32_e32 v8, 28, v24
	v_lshlrev_b64 v[8:9], v8, v[36:37]
	v_lshrrev_b32_e32 v22, 3, v0
	v_sub_u32_e32 v9, 29, v24
	v_cmp_gt_u32_e64 s[8:9], 8, v0
	v_and_b32_e32 v8, 7, v8
	v_cndmask_b32_e64 v0, v22, v9, s[8:9]
	v_mov_b32_e32 v1, 0x2000
	v_cndmask_b32_e64 v6, v6, v8, s[8:9]
	v_lshlrev_b32_e32 v8, 8, v36
	v_lshl_add_u32 v0, v0, 10, v1
	v_and_or_b32 v0, v8, s41, v0
	v_lshl_or_b32 v0, v6, 7, v0
	v_cvt_f32_f16_e32 v8, v0
.LBB282_224:                            ;   in Loop: Header=BB282_13 Depth=1
	s_or_b64 exec, exec, s[36:37]
.LBB282_225:                            ;   in Loop: Header=BB282_13 Depth=1
	s_or_b64 exec, exec, s[34:35]
.LBB282_226:                            ;   in Loop: Header=BB282_13 Depth=1
	s_or_b64 exec, exec, s[30:31]
	v_lshrrev_b16_e32 v36, 8, v36
	v_cmp_ne_u16_e64 s[8:9], 0, v36
	s_and_saveexec_b64 s[30:31], s[8:9]
	s_cbranch_execz .LBB282_232
; %bb.227:                              ;   in Loop: Header=BB282_13 Depth=1
	v_cmp_ne_u16_e64 s[8:9], s39, v36
	v_bfrev_b32_e32 v16, 1
	s_and_saveexec_b64 s[34:35], s[8:9]
	s_cbranch_execz .LBB282_231
; %bb.228:                              ;   in Loop: Header=BB282_13 Depth=1
	v_and_b32_e32 v0, 0x7f, v36
	v_cmp_ne_u32_e64 s[8:9], s40, v0
	v_mov_b32_e32 v16, 0x7fc02000
	s_and_saveexec_b64 s[36:37], s[8:9]
	s_cbranch_execz .LBB282_230
; %bb.229:                              ;   in Loop: Header=BB282_13 Depth=1
	v_and_b32_e32 v6, 7, v36
	v_ffbh_u32_e32 v16, v6
	v_min_u32_e32 v16, 32, v16
	v_lshrrev_b32_e32 v9, 3, v0
	v_subrev_u32_e32 v22, 28, v16
	v_sub_u32_e32 v16, 29, v16
	v_cmp_gt_u32_e64 s[8:9], 8, v0
	v_lshlrev_b64 v[24:25], v22, v[36:37]
	v_cndmask_b32_e64 v0, v9, v16, s[8:9]
	v_mov_b32_e32 v1, 0x2000
	v_and_b32_e32 v22, 7, v24
	v_lshlrev_b32_e32 v9, 8, v36
	v_lshl_add_u32 v0, v0, 10, v1
	v_cndmask_b32_e64 v6, v6, v22, s[8:9]
	v_and_or_b32 v0, v9, s41, v0
	v_lshl_or_b32 v0, v6, 7, v0
	v_cvt_f32_f16_e32 v16, v0
.LBB282_230:                            ;   in Loop: Header=BB282_13 Depth=1
	s_or_b64 exec, exec, s[36:37]
.LBB282_231:                            ;   in Loop: Header=BB282_13 Depth=1
	s_or_b64 exec, exec, s[34:35]
.LBB282_232:                            ;   in Loop: Header=BB282_13 Depth=1
	s_or_b64 exec, exec, s[30:31]
	flat_load_ushort v0, v[20:21] offset:2304
	v_mov_b32_e32 v1, 0
	v_mov_b32_e32 v9, 0
	;; [unrolled: 1-line block ×3, first 2 shown]
	s_waitcnt vmcnt(0) lgkmcnt(0)
	v_and_b32_e32 v36, 0xffff, v0
	v_cmp_ne_u16_sdwa s[8:9], v0, v1 src0_sel:BYTE_0 src1_sel:DWORD
	s_and_saveexec_b64 s[30:31], s[8:9]
	s_cbranch_execz .LBB282_238
; %bb.233:                              ;   in Loop: Header=BB282_13 Depth=1
	v_cmp_ne_u16_sdwa s[8:9], v36, s39 src0_sel:BYTE_0 src1_sel:DWORD
	v_bfrev_b32_e32 v6, 1
	s_and_saveexec_b64 s[34:35], s[8:9]
	s_cbranch_execz .LBB282_237
; %bb.234:                              ;   in Loop: Header=BB282_13 Depth=1
	v_and_b32_e32 v0, 0x7f, v36
	v_cmp_ne_u32_e64 s[8:9], s40, v0
	v_mov_b32_e32 v6, 0x7fc02000
	s_and_saveexec_b64 s[36:37], s[8:9]
	s_cbranch_execz .LBB282_236
; %bb.235:                              ;   in Loop: Header=BB282_13 Depth=1
	v_and_b32_e32 v6, 7, v36
	v_ffbh_u32_e32 v24, v6
	v_min_u32_e32 v26, 32, v24
	v_subrev_u32_e32 v24, 28, v26
	v_lshlrev_b64 v[24:25], v24, v[36:37]
	v_lshrrev_b32_e32 v22, 3, v0
	v_sub_u32_e32 v25, 29, v26
	v_cmp_gt_u32_e64 s[8:9], 8, v0
	v_cndmask_b32_e64 v0, v22, v25, s[8:9]
	v_mov_b32_e32 v1, 0x2000
	v_and_b32_e32 v24, 7, v24
	v_lshlrev_b32_e32 v22, 8, v36
	v_lshl_add_u32 v0, v0, 10, v1
	v_cndmask_b32_e64 v6, v6, v24, s[8:9]
	v_and_or_b32 v0, v22, s41, v0
	v_lshl_or_b32 v0, v6, 7, v0
	v_cvt_f32_f16_e32 v6, v0
.LBB282_236:                            ;   in Loop: Header=BB282_13 Depth=1
	s_or_b64 exec, exec, s[36:37]
.LBB282_237:                            ;   in Loop: Header=BB282_13 Depth=1
	s_or_b64 exec, exec, s[34:35]
.LBB282_238:                            ;   in Loop: Header=BB282_13 Depth=1
	s_or_b64 exec, exec, s[30:31]
	v_lshrrev_b16_e32 v36, 8, v36
	v_cmp_ne_u16_e64 s[8:9], 0, v36
	s_and_saveexec_b64 s[30:31], s[8:9]
	s_cbranch_execz .LBB282_244
; %bb.239:                              ;   in Loop: Header=BB282_13 Depth=1
	v_cmp_ne_u16_e64 s[8:9], s39, v36
	v_bfrev_b32_e32 v9, 1
	s_and_saveexec_b64 s[34:35], s[8:9]
	s_cbranch_execz .LBB282_243
; %bb.240:                              ;   in Loop: Header=BB282_13 Depth=1
	v_and_b32_e32 v0, 0x7f, v36
	v_cmp_ne_u32_e64 s[8:9], s40, v0
	v_mov_b32_e32 v9, 0x7fc02000
	s_and_saveexec_b64 s[36:37], s[8:9]
	s_cbranch_execz .LBB282_242
; %bb.241:                              ;   in Loop: Header=BB282_13 Depth=1
	v_and_b32_e32 v9, 7, v36
	v_ffbh_u32_e32 v24, v9
	v_min_u32_e32 v26, 32, v24
	v_subrev_u32_e32 v24, 28, v26
	v_lshlrev_b64 v[24:25], v24, v[36:37]
	v_lshrrev_b32_e32 v22, 3, v0
	v_sub_u32_e32 v25, 29, v26
	v_cmp_gt_u32_e64 s[8:9], 8, v0
	v_cndmask_b32_e64 v0, v22, v25, s[8:9]
	v_mov_b32_e32 v1, 0x2000
	v_and_b32_e32 v24, 7, v24
	v_lshlrev_b32_e32 v22, 8, v36
	v_lshl_add_u32 v0, v0, 10, v1
	v_cndmask_b32_e64 v9, v9, v24, s[8:9]
	v_and_or_b32 v0, v22, s41, v0
	v_lshl_or_b32 v0, v9, 7, v0
	v_cvt_f32_f16_e32 v9, v0
.LBB282_242:                            ;   in Loop: Header=BB282_13 Depth=1
	s_or_b64 exec, exec, s[36:37]
.LBB282_243:                            ;   in Loop: Header=BB282_13 Depth=1
	s_or_b64 exec, exec, s[34:35]
.LBB282_244:                            ;   in Loop: Header=BB282_13 Depth=1
	s_or_b64 exec, exec, s[30:31]
	flat_load_ushort v0, v[20:21] offset:2312
	v_mov_b32_e32 v1, 0
	v_mov_b32_e32 v42, 0
	;; [unrolled: 1-line block ×3, first 2 shown]
	s_waitcnt vmcnt(0) lgkmcnt(0)
	v_and_b32_e32 v36, 0xffff, v0
	v_cmp_ne_u16_sdwa s[8:9], v0, v1 src0_sel:BYTE_0 src1_sel:DWORD
	s_and_saveexec_b64 s[30:31], s[8:9]
	s_cbranch_execz .LBB282_250
; %bb.245:                              ;   in Loop: Header=BB282_13 Depth=1
	v_cmp_ne_u16_sdwa s[8:9], v36, s39 src0_sel:BYTE_0 src1_sel:DWORD
	v_bfrev_b32_e32 v22, 1
	s_and_saveexec_b64 s[34:35], s[8:9]
	s_cbranch_execz .LBB282_249
; %bb.246:                              ;   in Loop: Header=BB282_13 Depth=1
	v_and_b32_e32 v0, 0x7f, v36
	v_cmp_ne_u32_e64 s[8:9], s40, v0
	v_mov_b32_e32 v22, 0x7fc02000
	s_and_saveexec_b64 s[36:37], s[8:9]
	s_cbranch_execz .LBB282_248
; %bb.247:                              ;   in Loop: Header=BB282_13 Depth=1
	v_and_b32_e32 v22, 7, v36
	v_ffbh_u32_e32 v24, v22
	v_min_u32_e32 v27, 32, v24
	v_subrev_u32_e32 v24, 28, v27
	v_lshlrev_b64 v[24:25], v24, v[36:37]
	v_lshrrev_b32_e32 v26, 3, v0
	v_sub_u32_e32 v25, 29, v27
	v_cmp_gt_u32_e64 s[8:9], 8, v0
	v_and_b32_e32 v24, 7, v24
	v_cndmask_b32_e64 v0, v26, v25, s[8:9]
	v_mov_b32_e32 v1, 0x2000
	v_cndmask_b32_e64 v22, v22, v24, s[8:9]
	v_lshlrev_b32_e32 v24, 8, v36
	v_lshl_add_u32 v0, v0, 10, v1
	v_and_or_b32 v0, v24, s41, v0
	v_lshl_or_b32 v0, v22, 7, v0
	v_cvt_f32_f16_e32 v22, v0
.LBB282_248:                            ;   in Loop: Header=BB282_13 Depth=1
	s_or_b64 exec, exec, s[36:37]
.LBB282_249:                            ;   in Loop: Header=BB282_13 Depth=1
	s_or_b64 exec, exec, s[34:35]
.LBB282_250:                            ;   in Loop: Header=BB282_13 Depth=1
	s_or_b64 exec, exec, s[30:31]
	v_lshrrev_b16_e32 v36, 8, v36
	v_cmp_ne_u16_e64 s[8:9], 0, v36
	s_and_saveexec_b64 s[30:31], s[8:9]
	s_cbranch_execz .LBB282_256
; %bb.251:                              ;   in Loop: Header=BB282_13 Depth=1
	v_cmp_ne_u16_e64 s[8:9], s39, v36
	v_bfrev_b32_e32 v42, 1
	s_and_saveexec_b64 s[34:35], s[8:9]
	s_cbranch_execz .LBB282_255
; %bb.252:                              ;   in Loop: Header=BB282_13 Depth=1
	v_and_b32_e32 v0, 0x7f, v36
	v_cmp_ne_u32_e64 s[8:9], s40, v0
	v_mov_b32_e32 v42, 0x7fc02000
	s_and_saveexec_b64 s[36:37], s[8:9]
	s_cbranch_execz .LBB282_254
; %bb.253:                              ;   in Loop: Header=BB282_13 Depth=1
	v_and_b32_e32 v26, 7, v36
	v_ffbh_u32_e32 v24, v26
	v_min_u32_e32 v42, 32, v24
	v_subrev_u32_e32 v24, 28, v42
	v_lshlrev_b64 v[24:25], v24, v[36:37]
	v_lshrrev_b32_e32 v27, 3, v0
	v_sub_u32_e32 v25, 29, v42
	v_cmp_gt_u32_e64 s[8:9], 8, v0
	v_cndmask_b32_e64 v0, v27, v25, s[8:9]
	v_mov_b32_e32 v1, 0x2000
	v_and_b32_e32 v24, 7, v24
	v_lshlrev_b32_e32 v25, 8, v36
	v_lshl_add_u32 v0, v0, 10, v1
	v_cndmask_b32_e64 v24, v26, v24, s[8:9]
	v_and_or_b32 v0, v25, s41, v0
	v_lshl_or_b32 v0, v24, 7, v0
	v_cvt_f32_f16_e32 v42, v0
.LBB282_254:                            ;   in Loop: Header=BB282_13 Depth=1
	s_or_b64 exec, exec, s[36:37]
.LBB282_255:                            ;   in Loop: Header=BB282_13 Depth=1
	s_or_b64 exec, exec, s[34:35]
.LBB282_256:                            ;   in Loop: Header=BB282_13 Depth=1
	s_or_b64 exec, exec, s[30:31]
	flat_load_ushort v0, v[20:21] offset:2560
	v_mov_b32_e32 v1, 0
	v_mov_b32_e32 v25, 0
	;; [unrolled: 1-line block ×3, first 2 shown]
	s_waitcnt vmcnt(0) lgkmcnt(0)
	v_and_b32_e32 v36, 0xffff, v0
	v_cmp_ne_u16_sdwa s[8:9], v0, v1 src0_sel:BYTE_0 src1_sel:DWORD
	s_and_saveexec_b64 s[30:31], s[8:9]
	s_cbranch_execz .LBB282_262
; %bb.257:                              ;   in Loop: Header=BB282_13 Depth=1
	v_cmp_ne_u16_sdwa s[8:9], v36, s39 src0_sel:BYTE_0 src1_sel:DWORD
	v_bfrev_b32_e32 v24, 1
	s_and_saveexec_b64 s[34:35], s[8:9]
	s_cbranch_execz .LBB282_261
; %bb.258:                              ;   in Loop: Header=BB282_13 Depth=1
	v_and_b32_e32 v0, 0x7f, v36
	v_cmp_ne_u32_e64 s[8:9], s40, v0
	v_mov_b32_e32 v24, 0x7fc02000
	s_and_saveexec_b64 s[36:37], s[8:9]
	s_cbranch_execz .LBB282_260
; %bb.259:                              ;   in Loop: Header=BB282_13 Depth=1
	v_and_b32_e32 v24, 7, v36
	v_ffbh_u32_e32 v26, v24
	v_min_u32_e32 v56, 32, v26
	v_subrev_u32_e32 v26, 28, v56
	v_lshlrev_b64 v[26:27], v26, v[36:37]
	v_lshrrev_b32_e32 v47, 3, v0
	v_sub_u32_e32 v27, 29, v56
	v_cmp_gt_u32_e64 s[8:9], 8, v0
	v_and_b32_e32 v26, 7, v26
	v_cndmask_b32_e64 v0, v47, v27, s[8:9]
	v_mov_b32_e32 v1, 0x2000
	v_cndmask_b32_e64 v24, v24, v26, s[8:9]
	v_lshlrev_b32_e32 v26, 8, v36
	v_lshl_add_u32 v0, v0, 10, v1
	v_and_or_b32 v0, v26, s41, v0
	v_lshl_or_b32 v0, v24, 7, v0
	v_cvt_f32_f16_e32 v24, v0
.LBB282_260:                            ;   in Loop: Header=BB282_13 Depth=1
	s_or_b64 exec, exec, s[36:37]
.LBB282_261:                            ;   in Loop: Header=BB282_13 Depth=1
	s_or_b64 exec, exec, s[34:35]
.LBB282_262:                            ;   in Loop: Header=BB282_13 Depth=1
	s_or_b64 exec, exec, s[30:31]
	v_lshrrev_b16_e32 v36, 8, v36
	v_cmp_ne_u16_e64 s[8:9], 0, v36
	s_and_saveexec_b64 s[30:31], s[8:9]
	s_cbranch_execz .LBB282_268
; %bb.263:                              ;   in Loop: Header=BB282_13 Depth=1
	v_cmp_ne_u16_e64 s[8:9], s39, v36
	v_bfrev_b32_e32 v25, 1
	s_and_saveexec_b64 s[34:35], s[8:9]
	s_cbranch_execz .LBB282_267
; %bb.264:                              ;   in Loop: Header=BB282_13 Depth=1
	v_and_b32_e32 v0, 0x7f, v36
	v_cmp_ne_u32_e64 s[8:9], s40, v0
	v_mov_b32_e32 v25, 0x7fc02000
	s_and_saveexec_b64 s[36:37], s[8:9]
	s_cbranch_execz .LBB282_266
; %bb.265:                              ;   in Loop: Header=BB282_13 Depth=1
	v_and_b32_e32 v25, 7, v36
	v_ffbh_u32_e32 v26, v25
	v_min_u32_e32 v56, 32, v26
	v_subrev_u32_e32 v26, 28, v56
	v_lshlrev_b64 v[26:27], v26, v[36:37]
	v_lshrrev_b32_e32 v47, 3, v0
	v_sub_u32_e32 v27, 29, v56
	v_cmp_gt_u32_e64 s[8:9], 8, v0
	v_and_b32_e32 v26, 7, v26
	v_cndmask_b32_e64 v0, v47, v27, s[8:9]
	v_mov_b32_e32 v1, 0x2000
	v_cndmask_b32_e64 v25, v25, v26, s[8:9]
	v_lshlrev_b32_e32 v26, 8, v36
	v_lshl_add_u32 v0, v0, 10, v1
	v_and_or_b32 v0, v26, s41, v0
	v_lshl_or_b32 v0, v25, 7, v0
	v_cvt_f32_f16_e32 v25, v0
.LBB282_266:                            ;   in Loop: Header=BB282_13 Depth=1
	s_or_b64 exec, exec, s[36:37]
.LBB282_267:                            ;   in Loop: Header=BB282_13 Depth=1
	s_or_b64 exec, exec, s[34:35]
.LBB282_268:                            ;   in Loop: Header=BB282_13 Depth=1
	s_or_b64 exec, exec, s[30:31]
	flat_load_ushort v0, v[20:21] offset:2568
	v_mov_b32_e32 v1, 0
	v_mov_b32_e32 v56, 0
	v_mov_b32_e32 v47, 0
	s_waitcnt vmcnt(0) lgkmcnt(0)
	v_and_b32_e32 v36, 0xffff, v0
	v_cmp_ne_u16_sdwa s[8:9], v0, v1 src0_sel:BYTE_0 src1_sel:DWORD
	s_and_saveexec_b64 s[30:31], s[8:9]
	s_cbranch_execz .LBB282_274
; %bb.269:                              ;   in Loop: Header=BB282_13 Depth=1
	v_cmp_ne_u16_sdwa s[8:9], v36, s39 src0_sel:BYTE_0 src1_sel:DWORD
	v_bfrev_b32_e32 v47, 1
	s_and_saveexec_b64 s[34:35], s[8:9]
	s_cbranch_execz .LBB282_273
; %bb.270:                              ;   in Loop: Header=BB282_13 Depth=1
	v_and_b32_e32 v0, 0x7f, v36
	v_cmp_ne_u32_e64 s[8:9], s40, v0
	v_mov_b32_e32 v47, 0x7fc02000
	s_and_saveexec_b64 s[36:37], s[8:9]
	s_cbranch_execz .LBB282_272
; %bb.271:                              ;   in Loop: Header=BB282_13 Depth=1
	v_and_b32_e32 v47, 7, v36
	v_ffbh_u32_e32 v26, v47
	v_min_u32_e32 v60, 32, v26
	v_subrev_u32_e32 v26, 28, v60
	v_lshlrev_b64 v[26:27], v26, v[36:37]
	v_lshrrev_b32_e32 v59, 3, v0
	v_sub_u32_e32 v27, 29, v60
	v_cmp_gt_u32_e64 s[8:9], 8, v0
	v_cndmask_b32_e64 v0, v59, v27, s[8:9]
	v_mov_b32_e32 v1, 0x2000
	v_and_b32_e32 v26, 7, v26
	v_lshlrev_b32_e32 v27, 8, v36
	v_lshl_add_u32 v0, v0, 10, v1
	v_cndmask_b32_e64 v26, v47, v26, s[8:9]
	v_and_or_b32 v0, v27, s41, v0
	v_lshl_or_b32 v0, v26, 7, v0
	v_cvt_f32_f16_e32 v47, v0
.LBB282_272:                            ;   in Loop: Header=BB282_13 Depth=1
	s_or_b64 exec, exec, s[36:37]
.LBB282_273:                            ;   in Loop: Header=BB282_13 Depth=1
	s_or_b64 exec, exec, s[34:35]
.LBB282_274:                            ;   in Loop: Header=BB282_13 Depth=1
	s_or_b64 exec, exec, s[30:31]
	v_lshrrev_b16_e32 v36, 8, v36
	v_cmp_ne_u16_e64 s[8:9], 0, v36
	s_and_saveexec_b64 s[30:31], s[8:9]
	s_cbranch_execz .LBB282_280
; %bb.275:                              ;   in Loop: Header=BB282_13 Depth=1
	v_cmp_ne_u16_e64 s[8:9], s39, v36
	v_bfrev_b32_e32 v56, 1
	s_and_saveexec_b64 s[34:35], s[8:9]
	s_cbranch_execz .LBB282_279
; %bb.276:                              ;   in Loop: Header=BB282_13 Depth=1
	v_and_b32_e32 v0, 0x7f, v36
	v_cmp_ne_u32_e64 s[8:9], s40, v0
	v_mov_b32_e32 v56, 0x7fc02000
	s_and_saveexec_b64 s[36:37], s[8:9]
	s_cbranch_execz .LBB282_278
; %bb.277:                              ;   in Loop: Header=BB282_13 Depth=1
	v_and_b32_e32 v56, 7, v36
	v_ffbh_u32_e32 v26, v56
	v_min_u32_e32 v60, 32, v26
	v_subrev_u32_e32 v26, 28, v60
	v_lshlrev_b64 v[26:27], v26, v[36:37]
	v_lshrrev_b32_e32 v59, 3, v0
	v_sub_u32_e32 v27, 29, v60
	v_cmp_gt_u32_e64 s[8:9], 8, v0
	v_cndmask_b32_e64 v0, v59, v27, s[8:9]
	v_mov_b32_e32 v1, 0x2000
	v_and_b32_e32 v26, 7, v26
	v_lshlrev_b32_e32 v27, 8, v36
	v_lshl_add_u32 v0, v0, 10, v1
	v_cndmask_b32_e64 v26, v56, v26, s[8:9]
	v_and_or_b32 v0, v27, s41, v0
	v_lshl_or_b32 v0, v26, 7, v0
	v_cvt_f32_f16_e32 v56, v0
.LBB282_278:                            ;   in Loop: Header=BB282_13 Depth=1
	s_or_b64 exec, exec, s[36:37]
.LBB282_279:                            ;   in Loop: Header=BB282_13 Depth=1
	s_or_b64 exec, exec, s[34:35]
.LBB282_280:                            ;   in Loop: Header=BB282_13 Depth=1
	s_or_b64 exec, exec, s[30:31]
	flat_load_ushort v0, v[20:21] offset:2816
	v_mov_b32_e32 v1, 0
	v_mov_b32_e32 v26, 0
	;; [unrolled: 1-line block ×3, first 2 shown]
	s_waitcnt vmcnt(0) lgkmcnt(0)
	v_and_b32_e32 v36, 0xffff, v0
	v_cmp_ne_u16_sdwa s[8:9], v0, v1 src0_sel:BYTE_0 src1_sel:DWORD
	s_and_saveexec_b64 s[30:31], s[8:9]
	s_cbranch_execz .LBB282_286
; %bb.281:                              ;   in Loop: Header=BB282_13 Depth=1
	v_cmp_ne_u16_sdwa s[8:9], v36, s39 src0_sel:BYTE_0 src1_sel:DWORD
	v_bfrev_b32_e32 v59, 1
	s_and_saveexec_b64 s[34:35], s[8:9]
	s_cbranch_execz .LBB282_285
; %bb.282:                              ;   in Loop: Header=BB282_13 Depth=1
	v_and_b32_e32 v0, 0x7f, v36
	v_cmp_ne_u32_e64 s[8:9], s40, v0
	v_mov_b32_e32 v59, 0x7fc02000
	s_and_saveexec_b64 s[36:37], s[8:9]
	s_cbranch_execz .LBB282_284
; %bb.283:                              ;   in Loop: Header=BB282_13 Depth=1
	v_and_b32_e32 v27, 7, v36
	v_ffbh_u32_e32 v60, v27
	v_min_u32_e32 v40, 32, v60
	v_lshrrev_b32_e32 v59, 3, v0
	v_subrev_u32_e32 v60, 28, v40
	v_sub_u32_e32 v40, 29, v40
	v_cmp_gt_u32_e64 s[8:9], 8, v0
	v_lshlrev_b64 v[60:61], v60, v[36:37]
	v_cndmask_b32_e64 v0, v59, v40, s[8:9]
	v_mov_b32_e32 v1, 0x2000
	v_and_b32_e32 v60, 7, v60
	v_lshlrev_b32_e32 v40, 8, v36
	v_lshl_add_u32 v0, v0, 10, v1
	v_cndmask_b32_e64 v27, v27, v60, s[8:9]
	v_and_or_b32 v0, v40, s41, v0
	v_lshl_or_b32 v0, v27, 7, v0
	v_cvt_f32_f16_e32 v59, v0
.LBB282_284:                            ;   in Loop: Header=BB282_13 Depth=1
	s_or_b64 exec, exec, s[36:37]
.LBB282_285:                            ;   in Loop: Header=BB282_13 Depth=1
	s_or_b64 exec, exec, s[34:35]
.LBB282_286:                            ;   in Loop: Header=BB282_13 Depth=1
	s_or_b64 exec, exec, s[30:31]
	v_lshrrev_b16_e32 v36, 8, v36
	v_cmp_ne_u16_e64 s[8:9], 0, v36
	s_and_saveexec_b64 s[30:31], s[8:9]
	s_cbranch_execz .LBB282_292
; %bb.287:                              ;   in Loop: Header=BB282_13 Depth=1
	v_cmp_ne_u16_e64 s[8:9], s39, v36
	v_bfrev_b32_e32 v26, 1
	s_and_saveexec_b64 s[34:35], s[8:9]
	s_cbranch_execz .LBB282_291
; %bb.288:                              ;   in Loop: Header=BB282_13 Depth=1
	v_and_b32_e32 v0, 0x7f, v36
	v_cmp_ne_u32_e64 s[8:9], s40, v0
	v_mov_b32_e32 v26, 0x7fc02000
	s_and_saveexec_b64 s[36:37], s[8:9]
	s_cbranch_execz .LBB282_290
; %bb.289:                              ;   in Loop: Header=BB282_13 Depth=1
	v_and_b32_e32 v40, 7, v36
	v_ffbh_u32_e32 v26, v40
	v_min_u32_e32 v61, 32, v26
	v_subrev_u32_e32 v26, 28, v61
	v_lshlrev_b64 v[26:27], v26, v[36:37]
	v_lshrrev_b32_e32 v60, 3, v0
	v_sub_u32_e32 v27, 29, v61
	v_cmp_gt_u32_e64 s[8:9], 8, v0
	v_cndmask_b32_e64 v0, v60, v27, s[8:9]
	v_mov_b32_e32 v1, 0x2000
	v_and_b32_e32 v26, 7, v26
	v_lshlrev_b32_e32 v27, 8, v36
	v_lshl_add_u32 v0, v0, 10, v1
	v_cndmask_b32_e64 v26, v40, v26, s[8:9]
	v_and_or_b32 v0, v27, s41, v0
	v_lshl_or_b32 v0, v26, 7, v0
	v_cvt_f32_f16_e32 v26, v0
.LBB282_290:                            ;   in Loop: Header=BB282_13 Depth=1
	s_or_b64 exec, exec, s[36:37]
.LBB282_291:                            ;   in Loop: Header=BB282_13 Depth=1
	s_or_b64 exec, exec, s[34:35]
.LBB282_292:                            ;   in Loop: Header=BB282_13 Depth=1
	s_or_b64 exec, exec, s[30:31]
	flat_load_ushort v0, v[20:21] offset:2824
	v_mov_b32_e32 v1, 0
	v_mov_b32_e32 v21, 0
	;; [unrolled: 1-line block ×3, first 2 shown]
	s_waitcnt vmcnt(0) lgkmcnt(0)
	v_and_b32_e32 v20, 0xffff, v0
	v_cmp_ne_u16_sdwa s[8:9], v0, v1 src0_sel:BYTE_0 src1_sel:DWORD
	s_and_saveexec_b64 s[30:31], s[8:9]
	s_cbranch_execz .LBB282_298
; %bb.293:                              ;   in Loop: Header=BB282_13 Depth=1
	v_cmp_ne_u16_sdwa s[8:9], v20, s39 src0_sel:BYTE_0 src1_sel:DWORD
	v_bfrev_b32_e32 v27, 1
	s_and_saveexec_b64 s[34:35], s[8:9]
	s_cbranch_execz .LBB282_297
; %bb.294:                              ;   in Loop: Header=BB282_13 Depth=1
	v_and_b32_e32 v0, 0x7f, v20
	v_cmp_ne_u32_e64 s[8:9], s40, v0
	v_mov_b32_e32 v27, 0x7fc02000
	s_and_saveexec_b64 s[36:37], s[8:9]
	s_cbranch_execz .LBB282_296
; %bb.295:                              ;   in Loop: Header=BB282_13 Depth=1
	v_and_b32_e32 v27, 7, v20
	v_ffbh_u32_e32 v40, v27
	v_min_u32_e32 v40, 32, v40
	v_lshrrev_b32_e32 v36, 3, v0
	v_subrev_u32_e32 v60, 28, v40
	v_sub_u32_e32 v40, 29, v40
	v_cmp_gt_u32_e64 s[8:9], 8, v0
	v_lshlrev_b64 v[60:61], v60, v[20:21]
	v_cndmask_b32_e64 v0, v36, v40, s[8:9]
	v_mov_b32_e32 v1, 0x2000
	v_and_b32_e32 v60, 7, v60
	v_lshlrev_b32_e32 v36, 8, v20
	v_lshl_add_u32 v0, v0, 10, v1
	v_cndmask_b32_e64 v27, v27, v60, s[8:9]
	v_and_or_b32 v0, v36, s41, v0
	v_lshl_or_b32 v0, v27, 7, v0
	v_cvt_f32_f16_e32 v27, v0
.LBB282_296:                            ;   in Loop: Header=BB282_13 Depth=1
	s_or_b64 exec, exec, s[36:37]
.LBB282_297:                            ;   in Loop: Header=BB282_13 Depth=1
	s_or_b64 exec, exec, s[34:35]
.LBB282_298:                            ;   in Loop: Header=BB282_13 Depth=1
	s_or_b64 exec, exec, s[30:31]
	v_lshrrev_b16_e32 v20, 8, v20
	v_accvgpr_write_b32 a55, v49
	v_accvgpr_write_b32 a54, v37
	;; [unrolled: 1-line block ×8, first 2 shown]
	v_cmp_ne_u16_e64 s[8:9], 0, v20
	s_and_saveexec_b64 s[30:31], s[8:9]
	s_cbranch_execz .LBB282_304
; %bb.299:                              ;   in Loop: Header=BB282_13 Depth=1
	v_cmp_ne_u16_e64 s[8:9], s39, v20
	v_bfrev_b32_e32 v21, 1
	s_and_saveexec_b64 s[34:35], s[8:9]
	s_cbranch_execz .LBB282_303
; %bb.300:                              ;   in Loop: Header=BB282_13 Depth=1
	v_and_b32_e32 v0, 0x7f, v20
	v_cmp_ne_u32_e64 s[8:9], s40, v0
	v_mov_b32_e32 v21, 0x7fc02000
	s_and_saveexec_b64 s[36:37], s[8:9]
	s_cbranch_execz .LBB282_302
; %bb.301:                              ;   in Loop: Header=BB282_13 Depth=1
	v_and_b32_e32 v21, 7, v20
	v_ffbh_u32_e32 v40, v21
	v_min_u32_e32 v40, 32, v40
	v_lshrrev_b32_e32 v36, 3, v0
	v_subrev_u32_e32 v60, 28, v40
	v_sub_u32_e32 v40, 29, v40
	v_cmp_gt_u32_e64 s[8:9], 8, v0
	v_lshlrev_b64 v[60:61], v60, v[20:21]
	v_cndmask_b32_e64 v0, v36, v40, s[8:9]
	v_mov_b32_e32 v1, 0x2000
	v_and_b32_e32 v60, 7, v60
	v_lshlrev_b32_e32 v20, 8, v20
	v_lshl_add_u32 v0, v0, 10, v1
	v_cndmask_b32_e64 v21, v21, v60, s[8:9]
	v_and_or_b32 v0, v20, s41, v0
	v_lshl_or_b32 v0, v21, 7, v0
	v_cvt_f32_f16_e32 v21, v0
.LBB282_302:                            ;   in Loop: Header=BB282_13 Depth=1
	s_or_b64 exec, exec, s[36:37]
.LBB282_303:                            ;   in Loop: Header=BB282_13 Depth=1
	s_or_b64 exec, exec, s[34:35]
.LBB282_304:                            ;   in Loop: Header=BB282_13 Depth=1
	s_or_b64 exec, exec, s[30:31]
	v_accvgpr_read_b32 v13, a41
	ds_read_b32 v0, v13
	v_fma_mixlo_f16 v20, v58, v14, 0
	v_fma_mixlo_f16 v36, v58, v11, 0
	v_and_b32_e32 v20, 0xffff, v20
	v_fma_mixlo_f16 v50, v58, v50, 0
	s_waitcnt lgkmcnt(0)
	v_lshrrev_b32_e32 v40, 16, v0
	v_and_b32_e32 v0, 0xffff, v0
	;;#ASMSTART
	v_cvt_f32_f16 v0, v0;
	;;#ASMEND
	;;#ASMSTART
	v_cvt_f32_f16 v40, v40;
	;;#ASMEND
	;; [unrolled: 3-line block ×3, first 2 shown]
	v_and_b32_e32 v20, 0xffff, v36
	;;#ASMSTART
	v_cvt_f32_f16 v61, v20;
	;;#ASMEND
	ds_read_b32 v62, v13 offset:4
	v_fma_mixlo_f16 v36, v58, v59, 0
	v_fma_mixlo_f16 v20, v58, v26, 0
	;; [unrolled: 1-line block ×4, first 2 shown]
	s_waitcnt lgkmcnt(0)
	v_lshrrev_b32_e32 v51, 16, v62
	v_and_b32_e32 v62, 0xffff, v62
	;;#ASMSTART
	v_cvt_f32_f16 v62, v62;
	;;#ASMEND
	;;#ASMSTART
	v_cvt_f32_f16 v52, v51;
	;;#ASMEND
	v_and_b32_e32 v26, 0xffff, v26
	v_and_b32_e32 v51, 0xffff, v59
	;;#ASMSTART
	v_cvt_f32_f16 v26, v26;
	;;#ASMEND
	;;#ASMSTART
	v_cvt_f32_f16 v49, v51;
	;;#ASMEND
	ds_read_b32 v51, v13 offset:8
	v_fma_mixlo_f16 v59, v58, v47, 0
	v_fma_mixlo_f16 v47, v58, v56, 0
	;; [unrolled: 1-line block ×4, first 2 shown]
	s_waitcnt lgkmcnt(0)
	v_lshrrev_b32_e32 v5, 16, v51
	v_and_b32_e32 v51, 0xffff, v51
	;;#ASMSTART
	v_cvt_f32_f16 v45, v51;
	;;#ASMEND
	;;#ASMSTART
	v_cvt_f32_f16 v1, v5;
	;;#ASMEND
	v_and_b32_e32 v5, 0xffff, v56
	;;#ASMSTART
	v_cvt_f32_f16 v11, v5;
	;;#ASMEND
	v_and_b32_e32 v5, 0xffff, v17
	;;#ASMSTART
	v_cvt_f32_f16 v37, v5;
	;;#ASMEND
	ds_read_b32 v5, v13 offset:12
	v_fma_mixlo_f16 v17, v58, v30, 0
	v_fma_mixlo_f16 v51, v58, v24, 0
	;; [unrolled: 1-line block ×4, first 2 shown]
	s_waitcnt lgkmcnt(0)
	v_lshrrev_b32_e32 v56, 16, v5
	v_and_b32_e32 v5, 0xffff, v5
	;;#ASMSTART
	v_cvt_f32_f16 v3, v5;
	;;#ASMEND
	v_and_b32_e32 v5, 0xffff, v17
	;;#ASMSTART
	v_cvt_f32_f16 v2, v56;
	;;#ASMEND
	;;#ASMSTART
	v_cvt_f32_f16 v31, v5;
	;;#ASMEND
	v_and_b32_e32 v5, 0xffff, v25
	;;#ASMSTART
	v_cvt_f32_f16 v54, v5;
	;;#ASMEND
	ds_read_b32 v5, v13 offset:16
	v_fma_mixlo_f16 v17, v58, v4, 0
	v_mul_f32_e32 v4, v62, v26
	v_fmac_f32_e32 v4, v0, v60
	v_fma_mixlo_f16 v25, v58, v32, 0
	s_waitcnt lgkmcnt(0)
	v_lshrrev_b32_e32 v0, 16, v5
	v_and_b32_e32 v5, 0xffff, v5
	;;#ASMSTART
	v_cvt_f32_f16 v15, v5;
	;;#ASMEND
	;;#ASMSTART
	v_cvt_f32_f16 v60, v0;
	;;#ASMEND
	v_and_b32_e32 v0, 0xffff, v17
	;;#ASMSTART
	v_cvt_f32_f16 v14, v0;
	;;#ASMEND
	v_and_b32_e32 v0, 0xffff, v25
	;;#ASMSTART
	v_cvt_f32_f16 v0, v0;
	;;#ASMEND
	ds_read_b32 v25, v13 offset:20
	v_fma_mixlo_f16 v17, v58, v22, 0
	v_fma_mixlo_f16 v22, v58, v35, 0
	;; [unrolled: 1-line block ×3, first 2 shown]
	v_and_b32_e32 v22, 0xffff, v22
	s_waitcnt lgkmcnt(0)
	v_lshrrev_b32_e32 v35, 16, v25
	v_and_b32_e32 v25, 0xffff, v25
	v_mul_f32_e32 v5, v52, v49
	;;#ASMSTART
	v_cvt_f32_f16 v56, v25;
	;;#ASMEND
	;;#ASMSTART
	v_cvt_f32_f16 v25, v35;
	;;#ASMEND
	;;#ASMSTART
	v_cvt_f32_f16 v62, v22;
	;;#ASMEND
	v_and_b32_e32 v22, 0xffff, v26
	;;#ASMSTART
	v_cvt_f32_f16 v49, v22;
	;;#ASMEND
	ds_read_b32 v26, v13 offset:24
	v_fma_mixlo_f16 v35, v58, v34, 0
	v_and_b32_e32 v35, 0xffff, v35
	v_and_b32_e32 v50, 0xffff, v50
	v_fma_mixlo_f16 v22, v58, v42, 0
	s_waitcnt lgkmcnt(0)
	v_lshrrev_b32_e32 v34, 16, v26
	v_and_b32_e32 v26, 0xffff, v26
	;;#ASMSTART
	v_cvt_f32_f16 v26, v26;
	;;#ASMEND
	;;#ASMSTART
	v_cvt_f32_f16 v34, v34;
	;;#ASMEND
	;; [unrolled: 3-line block ×4, first 2 shown]
	ds_read_b32 v52, v13 offset:28
	v_fmac_f32_e32 v5, v40, v61
	v_fma_mixlo_f16 v40, v58, v10, 0
	v_fma_mixlo_f16 v42, v58, v48, 0
	v_fmac_f32_e32 v4, v45, v11
	s_waitcnt lgkmcnt(0)
	v_lshrrev_b32_e32 v11, 16, v52
	v_and_b32_e32 v10, 0xffff, v52
	v_and_b32_e32 v52, 0xffff, v40
	;; [unrolled: 1-line block ×3, first 2 shown]
	;;#ASMSTART
	v_cvt_f32_f16 v10, v10;
	;;#ASMEND
	;;#ASMSTART
	v_cvt_f32_f16 v11, v11;
	;;#ASMEND
	;; [unrolled: 3-line block ×4, first 2 shown]
	ds_read_b32 v40, v13 offset:32
	v_fma_mixlo_f16 v32, v58, v55, 0
	v_fmac_f32_e32 v5, v1, v37
	v_fma_mixlo_f16 v33, v58, v53, 0
	v_fma_mixlo_f16 v12, v58, v41, 0
	s_waitcnt lgkmcnt(0)
	v_lshrrev_b32_e32 v1, 16, v40
	v_and_b32_e32 v37, 0xffff, v40
	;;#ASMSTART
	v_cvt_f32_f16 v45, v37;
	;;#ASMEND
	;;#ASMSTART
	v_cvt_f32_f16 v61, v1;
	;;#ASMEND
	v_and_b32_e32 v1, 0xffff, v32
	;;#ASMSTART
	v_cvt_f32_f16 v37, v1;
	;;#ASMEND
	v_and_b32_e32 v1, 0xffff, v33
	;;#ASMSTART
	v_cvt_f32_f16 v40, v1;
	;;#ASMEND
	ds_read_b32 v32, v13 offset:36
	v_fma_mixlo_f16 v33, v58, v43, 0
	v_fma_mixlo_f16 v1, v58, v8, 0
	v_fmac_f32_e32 v4, v3, v31
	v_and_b32_e32 v31, 0xffff, v33
	s_waitcnt lgkmcnt(0)
	v_lshrrev_b32_e32 v8, 16, v32
	v_and_b32_e32 v3, 0xffff, v32
	v_and_b32_e32 v12, 0xffff, v12
	;;#ASMSTART
	v_cvt_f32_f16 v3, v3;
	;;#ASMEND
	;;#ASMSTART
	v_cvt_f32_f16 v8, v8;
	;;#ASMEND
	;; [unrolled: 3-line block ×4, first 2 shown]
	ds_read_b32 v32, v13 offset:40
	v_fma_mixlo_f16 v33, v58, v46, 0
	v_fmac_f32_e32 v5, v2, v54
	v_fma_mixlo_f16 v46, v58, v44, 0
	v_accvgpr_read_b32 v23, a48
	s_waitcnt lgkmcnt(0)
	v_lshrrev_b32_e32 v2, 16, v32
	v_and_b32_e32 v32, 0xffff, v32
	;;#ASMSTART
	v_cvt_f32_f16 v32, v32;
	;;#ASMEND
	;;#ASMSTART
	v_cvt_f32_f16 v54, v2;
	;;#ASMEND
	v_and_b32_e32 v2, 0xffff, v33
	;;#ASMSTART
	v_cvt_f32_f16 v33, v2;
	;;#ASMEND
	v_and_b32_e32 v2, 0xffff, v46
	;;#ASMSTART
	v_cvt_f32_f16 v46, v2;
	;;#ASMEND
	ds_read_b32 v2, v13 offset:44
	v_fma_mixlo_f16 v30, v58, v23, 0
	v_fmac_f32_e32 v4, v15, v14
	v_fma_mixlo_f16 v53, v58, v57, 0
	v_accvgpr_read_b32 v23, a50
	s_waitcnt lgkmcnt(0)
	v_lshrrev_b32_e32 v14, 16, v2
	v_and_b32_e32 v2, 0xffff, v2
	;;#ASMSTART
	v_cvt_f32_f16 v15, v2;
	;;#ASMEND
	v_and_b32_e32 v2, 0xffff, v30
	;;#ASMSTART
	v_cvt_f32_f16 v14, v14;
	;;#ASMEND
	;;#ASMSTART
	v_cvt_f32_f16 v30, v2;
	;;#ASMEND
	v_and_b32_e32 v2, 0xffff, v53
	;;#ASMSTART
	v_cvt_f32_f16 v53, v2;
	;;#ASMEND
	ds_read_b32 v2, v13 offset:48
	v_fma_mixlo_f16 v23, v58, v23, 0
	v_accvgpr_read_b32 v28, a49
	v_fmac_f32_e32 v5, v60, v0
	v_fma_mixlo_f16 v28, v58, v28, 0
	s_waitcnt lgkmcnt(0)
	v_lshrrev_b32_e32 v0, 16, v2
	v_and_b32_e32 v2, 0xffff, v2
	;;#ASMSTART
	v_cvt_f32_f16 v29, v2;
	;;#ASMEND
	;;#ASMSTART
	v_cvt_f32_f16 v60, v0;
	;;#ASMEND
	v_and_b32_e32 v0, 0xffff, v23
	;;#ASMSTART
	v_cvt_f32_f16 v43, v0;
	;;#ASMEND
	v_and_b32_e32 v0, 0xffff, v28
	;;#ASMSTART
	v_cvt_f32_f16 v28, v0;
	;;#ASMEND
	ds_read_b32 v0, v13 offset:52
	v_accvgpr_read_b32 v2, a52
	v_fma_mixlo_f16 v2, v58, v2, 0
	v_accvgpr_read_b32 v23, a51
	v_fmac_f32_e32 v4, v56, v62
	s_waitcnt lgkmcnt(0)
	v_lshrrev_b32_e32 v56, 16, v0
	v_and_b32_e32 v0, 0xffff, v0
	v_fma_mixlo_f16 v48, v58, v23, 0
	;;#ASMSTART
	v_cvt_f32_f16 v62, v0;
	;;#ASMEND
	v_and_b32_e32 v0, 0xffff, v2
	;;#ASMSTART
	v_cvt_f32_f16 v56, v56;
	;;#ASMEND
	;;#ASMSTART
	v_cvt_f32_f16 v23, v0;
	;;#ASMEND
	v_and_b32_e32 v0, 0xffff, v48
	;;#ASMSTART
	v_cvt_f32_f16 v48, v0;
	;;#ASMEND
	ds_read_b32 v0, v13 offset:56
	v_accvgpr_read_b32 v2, a55
	v_fma_mixlo_f16 v55, v58, v2, 0
	v_accvgpr_read_b32 v2, a54
	v_fma_mixlo_f16 v2, v58, v2, 0
	v_accvgpr_read_b32 v41, a53
	v_fmac_f32_e32 v5, v25, v49
	s_waitcnt lgkmcnt(0)
	v_lshrrev_b32_e32 v25, 16, v0
	v_and_b32_e32 v0, 0xffff, v0
	v_fma_mixlo_f16 v41, v58, v41, 0
	;;#ASMSTART
	v_cvt_f32_f16 v49, v0;
	;;#ASMEND
	v_and_b32_e32 v0, 0xffff, v2
	;;#ASMSTART
	v_cvt_f32_f16 v25, v25;
	;;#ASMEND
	;;#ASMSTART
	v_cvt_f32_f16 v44, v0;
	;;#ASMEND
	v_and_b32_e32 v0, 0xffff, v41
	;;#ASMSTART
	v_cvt_f32_f16 v41, v0;
	;;#ASMEND
	ds_read_b32 v57, v13 offset:60
	v_fma_mixlo_f16 v38, v58, v38, 0
	v_fma_mixlo_f16 v2, v58, v27, 0
	;; [unrolled: 1-line block ×3, first 2 shown]
	v_fmac_f32_e32 v4, v26, v35
	v_fmac_f32_e32 v5, v34, v50
	s_waitcnt lgkmcnt(0)
	v_lshrrev_b32_e32 v21, 16, v57
	v_and_b32_e32 v26, 0xffff, v57
	v_and_b32_e32 v27, 0xffff, v38
	;; [unrolled: 1-line block ×3, first 2 shown]
	;;#ASMSTART
	v_cvt_f32_f16 v26, v26;
	;;#ASMEND
	;;#ASMSTART
	v_cvt_f32_f16 v21, v21;
	;;#ASMEND
	;; [unrolled: 3-line block ×4, first 2 shown]
	ds_read_b32 v35, v13 offset:64
	v_fma_mixlo_f16 v7, v58, v7, 0
	v_fma_mixlo_f16 v39, v58, v39, 0
	v_fmac_f32_e32 v4, v10, v52
	v_fmac_f32_e32 v5, v11, v42
	s_waitcnt lgkmcnt(0)
	v_lshrrev_b32_e32 v10, 16, v35
	v_and_b32_e32 v11, 0xffff, v35
	v_and_b32_e32 v7, 0xffff, v7
	;; [unrolled: 1-line block ×3, first 2 shown]
	v_fmac_f32_e32 v4, v45, v37
	;;#ASMSTART
	v_cvt_f32_f16 v11, v11;
	;;#ASMEND
	;;#ASMSTART
	v_cvt_f32_f16 v10, v10;
	;;#ASMEND
	;; [unrolled: 3-line block ×4, first 2 shown]
	ds_read_b32 v37, v13 offset:68
	v_fma_mixlo_f16 v16, v58, v16, 0
	v_fmac_f32_e32 v5, v61, v40
	v_fmac_f32_e32 v4, v3, v31
	;; [unrolled: 1-line block ×3, first 2 shown]
	s_waitcnt lgkmcnt(0)
	v_lshrrev_b32_e32 v3, 16, v37
	v_and_b32_e32 v8, 0xffff, v37
	v_and_b32_e32 v1, 0xffff, v1
	;; [unrolled: 1-line block ×3, first 2 shown]
	;;#ASMSTART
	v_cvt_f32_f16 v8, v8;
	;;#ASMEND
	;;#ASMSTART
	v_cvt_f32_f16 v3, v3;
	;;#ASMEND
	;; [unrolled: 3-line block ×4, first 2 shown]
	ds_read_b32 v16, v13 offset:72
	v_fma_mixlo_f16 v6, v58, v6, 0
	v_fma_mixlo_f16 v9, v58, v9, 0
	v_fmac_f32_e32 v4, v32, v33
	v_fmac_f32_e32 v5, v54, v46
	v_fmac_f32_e32 v4, v15, v30
	v_fmac_f32_e32 v5, v14, v53
	s_waitcnt lgkmcnt(0)
	v_lshrrev_b32_e32 v15, 16, v16
	v_and_b32_e32 v14, 0xffff, v16
	v_and_b32_e32 v6, 0xffff, v6
	;; [unrolled: 1-line block ×3, first 2 shown]
	v_fmac_f32_e32 v5, v60, v28
	;;#ASMSTART
	v_cvt_f32_f16 v14, v14;
	;;#ASMEND
	;;#ASMSTART
	v_cvt_f32_f16 v28, v15;
	;;#ASMEND
	;; [unrolled: 3-line block ×4, first 2 shown]
	ds_read_b32 v15, v13 offset:76
	v_fmac_f32_e32 v4, v29, v43
	v_and_b32_e32 v17, 0xffff, v17
	v_and_b32_e32 v22, 0xffff, v22
	v_fmac_f32_e32 v4, v62, v23
	s_waitcnt lgkmcnt(0)
	v_lshrrev_b32_e32 v16, 16, v15
	v_and_b32_e32 v15, 0xffff, v15
	;;#ASMSTART
	v_cvt_f32_f16 v15, v15;
	;;#ASMEND
	;;#ASMSTART
	v_cvt_f32_f16 v16, v16;
	;;#ASMEND
	;; [unrolled: 3-line block ×4, first 2 shown]
	ds_read_b32 v23, v13 offset:80
	v_fmac_f32_e32 v5, v56, v48
	v_fmac_f32_e32 v4, v49, v44
	;; [unrolled: 1-line block ×7, first 2 shown]
	s_waitcnt lgkmcnt(0)
	v_lshrrev_b32_e32 v7, 16, v23
	v_and_b32_e32 v10, 0xffff, v23
	v_and_b32_e32 v11, 0xffff, v51
	;; [unrolled: 1-line block ×3, first 2 shown]
	;;#ASMSTART
	v_cvt_f32_f16 v10, v10;
	;;#ASMEND
	;;#ASMSTART
	v_cvt_f32_f16 v7, v7;
	;;#ASMEND
	;; [unrolled: 3-line block ×4, first 2 shown]
	ds_read_b32 v23, v13 offset:84
	v_fmac_f32_e32 v4, v8, v1
	v_fmac_f32_e32 v5, v3, v12
	;; [unrolled: 1-line block ×3, first 2 shown]
	v_and_b32_e32 v6, 0xffff, v59
	s_waitcnt lgkmcnt(0)
	v_lshrrev_b32_e32 v1, 16, v23
	v_and_b32_e32 v3, 0xffff, v23
	v_and_b32_e32 v8, 0xffff, v47
	v_fmac_f32_e32 v5, v28, v9
	;;#ASMSTART
	v_cvt_f32_f16 v3, v3;
	;;#ASMEND
	;;#ASMSTART
	v_cvt_f32_f16 v1, v1;
	;;#ASMEND
	;; [unrolled: 3-line block ×4, first 2 shown]
	ds_read_b32 v9, v13 offset:88
	v_fmac_f32_e32 v4, v15, v17
	v_fmac_f32_e32 v5, v16, v22
	;; [unrolled: 1-line block ×4, first 2 shown]
	s_waitcnt lgkmcnt(0)
	v_lshrrev_b32_e32 v7, 16, v9
	v_and_b32_e32 v9, 0xffff, v9
	v_and_b32_e32 v10, 0xffff, v36
	;; [unrolled: 1-line block ×3, first 2 shown]
	;;#ASMSTART
	v_cvt_f32_f16 v9, v9;
	;;#ASMEND
	;;#ASMSTART
	v_cvt_f32_f16 v7, v7;
	;;#ASMEND
	;; [unrolled: 3-line block ×4, first 2 shown]
	ds_read_b32 v12, v13 offset:92
	v_fmac_f32_e32 v4, v3, v6
	v_fmac_f32_e32 v5, v1, v8
	;; [unrolled: 1-line block ×3, first 2 shown]
	v_and_b32_e32 v2, 0xffff, v2
	s_waitcnt lgkmcnt(0)
	v_and_b32_e32 v3, 0xffff, v12
	v_lshrrev_b32_e32 v1, 16, v12
	;;#ASMSTART
	v_cvt_f32_f16 v3, v3;
	;;#ASMEND
	v_fmac_f32_e32 v5, v7, v11
	;;#ASMSTART
	v_cvt_f32_f16 v1, v1;
	;;#ASMEND
	;;#ASMSTART
	v_cvt_f32_f16 v2, v2;
	;;#ASMEND
	v_and_b32_e32 v0, 0xffff, v0
	v_fmac_f32_e32 v4, v3, v2
	v_accvgpr_read_b32 v3, a46
	;;#ASMSTART
	v_cvt_f32_f16 v0, v0;
	;;#ASMEND
	v_fmac_f32_e32 v5, v1, v0
	v_and_b32_e32 v1, 64, v3
	v_add_u32_e32 v1, 64, v1
	v_xor_b32_e32 v2, 2, v3
	v_cmp_lt_i32_e64 s[8:9], v2, v1
	v_cndmask_b32_e64 v2, v3, v2, s[8:9]
	v_add_f32_e32 v0, v4, v5
	v_lshlrev_b32_e32 v2, 2, v2
	ds_bpermute_b32 v2, v2, v0
	s_waitcnt lgkmcnt(0)
	v_add_f32_e32 v0, v0, v2
	v_xor_b32_e32 v2, 1, v3
	v_cmp_lt_i32_e64 s[8:9], v2, v1
	v_cndmask_b32_e64 v1, v3, v2, s[8:9]
	v_lshlrev_b32_e32 v1, 2, v1
	ds_bpermute_b32 v1, v1, v0
	s_and_saveexec_b64 s[30:31], vcc
	s_cbranch_execz .LBB282_11
; %bb.305:                              ;   in Loop: Header=BB282_13 Depth=1
	v_accvgpr_read_b32 v4, a43
	v_accvgpr_read_b32 v2, a45
	;; [unrolled: 1-line block ×3, first 2 shown]
	v_add_u32_e32 v2, v2, v4
	v_add_u32_e32 v3, v3, v4
	buffer_load_dword v4, off, s[0:3], s32 offset:168 ; 4-byte Folded Reload
	v_cvt_f32_i32_e32 v2, v2
	s_waitcnt lgkmcnt(0)
	v_add_f32_e32 v0, v0, v1
	v_accvgpr_read_b32 v1, a34
	s_load_dword s8, s[26:27], 0x0
	s_waitcnt vmcnt(0)
	v_mul_f32_e32 v2, v4, v2
	v_cndmask_b32_e64 v2, 0, v2, s[6:7]
	v_fmac_f32_e32 v2, v0, v1
	buffer_load_dword v1, off, s[0:3], s32 offset:164 ; 4-byte Folded Reload
	v_accvgpr_read_b32 v4, a44
	v_accvgpr_read_b32 v0, a8
	s_waitcnt lgkmcnt(0)
	v_add_u32_e32 v4, s8, v4
	v_cmp_lt_i32_e64 s[8:9], v3, v0
	v_cndmask_b32_e64 v0, 0, v2, s[8:9]
	ds_write_b32 v4, v0
	s_waitcnt vmcnt(0)
	v_max_f32_e32 v0, v1, v1
	v_max_f32_e32 v0, v0, v2
	v_cndmask_b32_e64 v1, v1, v0, s[8:9]
	buffer_store_dword v1, off, s[0:3], s32 offset:164 ; 4-byte Folded Spill
	s_branch .LBB282_11
.LBB282_306:
	s_or_b64 exec, exec, s[28:29]
	buffer_load_dword v5, off, s[0:3], s32 offset:164 ; 4-byte Folded Reload
	v_accvgpr_read_b32 v35, a27
	v_accvgpr_read_b32 v19, a2
	;; [unrolled: 1-line block ×18, first 2 shown]
.LBB282_307:
	s_or_b64 exec, exec, s[24:25]
	v_mbcnt_hi_u32_b32 v2, -1, v4
	v_and_b32_e32 v0, 64, v2
	v_add_u32_e32 v3, 64, v0
	v_xor_b32_e32 v0, 32, v2
	v_cmp_lt_i32_e32 vcc, v0, v3
	v_cndmask_b32_e32 v0, v2, v0, vcc
	v_lshlrev_b32_e32 v4, 2, v0
	s_waitcnt vmcnt(0)
	ds_bpermute_b32 v0, v4, v5
	v_max_f32_e32 v1, v5, v5
	v_xor_b32_e32 v5, 16, v2
	v_cmp_lt_i32_e32 vcc, v5, v3
	v_xor_b32_e32 v6, 8, v2
	s_waitcnt lgkmcnt(0)
	v_max_f32_e32 v0, v0, v0
	v_max_f32_e32 v0, v1, v0
	v_cndmask_b32_e32 v1, v2, v5, vcc
	v_lshlrev_b32_e32 v5, 2, v1
	ds_bpermute_b32 v1, v5, v0
	v_cmp_lt_i32_e32 vcc, v6, v3
	v_and_b32_e32 v62, 63, v19
	s_lshr_b32 s28, s38, 16
	s_waitcnt lgkmcnt(0)
	v_max_f32_e32 v1, v1, v1
	v_max_f32_e32 v0, v0, v1
	v_cndmask_b32_e32 v1, v2, v6, vcc
	v_lshlrev_b32_e32 v8, 2, v1
	ds_bpermute_b32 v1, v8, v0
	v_xor_b32_e32 v6, 4, v2
	v_cmp_lt_i32_e32 vcc, v6, v3
	s_waitcnt lgkmcnt(0)
	v_max_f32_e32 v1, v1, v1
	v_max_f32_e32 v0, v0, v1
	v_cndmask_b32_e32 v1, v2, v6, vcc
	v_lshlrev_b32_e32 v10, 2, v1
	ds_bpermute_b32 v1, v10, v0
	v_cmp_eq_u32_e32 vcc, 0, v62
	v_lshlrev_b32_e32 v6, 2, v28
	s_and_saveexec_b64 s[6:7], vcc
	s_cbranch_execz .LBB282_309
; %bb.308:
	s_waitcnt lgkmcnt(0)
	v_max_f32_e32 v1, v1, v1
	v_max_f32_e32 v0, v0, v0
	;; [unrolled: 1-line block ×3, first 2 shown]
	ds_write_b32 v6, v0 offset:384
.LBB282_309:
	s_or_b64 exec, exec, s[6:7]
	v_cmp_gt_u32_e64 s[6:7], 2, v62
	v_mov_b32_e32 v0, 0xff7fffff
	v_lshlrev_b32_e32 v7, 2, v62
	s_waitcnt lgkmcnt(0)
	s_barrier
	s_and_saveexec_b64 s[8:9], s[6:7]
	s_cbranch_execz .LBB282_311
; %bb.310:
	ds_read_b32 v0, v7 offset:384
.LBB282_311:
	s_or_b64 exec, exec, s[8:9]
	v_xor_b32_e32 v1, 1, v2
	v_cmp_lt_i32_e64 s[8:9], v1, v3
	v_cndmask_b32_e64 v1, v2, v1, s[8:9]
	v_lshlrev_b32_e32 v53, 2, v1
	s_waitcnt lgkmcnt(0)
	ds_bpermute_b32 v1, v53, v0
	v_max_f32_e32 v0, v0, v0
	v_accvgpr_read_b32 v9, a11
	v_subrev_u32_e32 v9, s19, v9
	v_lshl_add_u32 v9, v9, 4, s23
	s_waitcnt lgkmcnt(0)
	v_max_f32_e32 v1, v1, v1
	v_max_f32_e32 v0, v0, v1
	v_lshlrev_b32_e32 v1, 2, v2
	v_and_b32_e32 v11, 0x100, v1
	ds_bpermute_b32 v0, v11, v0
	v_accvgpr_read_b32 v12, a8
	v_min_i32_e32 v9, v9, v12
	v_subrev_u32_e32 v1, s23, v9
	v_cmp_lt_i32_e64 s[8:9], v19, v1
	v_mov_b32_e32 v12, 0
	s_and_saveexec_b64 s[24:25], s[8:9]
	s_cbranch_execz .LBB282_315
; %bb.312:
	s_ashr_i32 s21, s20, 31
	s_lshl_b64 s[10:11], s[20:21], 2
	s_getpc_b64 s[26:27]
	s_add_u32 s26, s26, llvm.amdgcn.dynlds.offset.table@rel32@lo+4
	s_addc_u32 s27, s27, llvm.amdgcn.dynlds.offset.table@rel32@hi+12
	s_add_u32 s10, s10, s26
	s_addc_u32 s11, s11, s27
	s_load_dword s10, s[10:11], 0x0
	s_mov_b64 s[26:27], 0
	v_mov_b32_e32 v12, 0
	v_mov_b32_e32 v17, v19
	s_waitcnt lgkmcnt(0)
	v_lshl_add_u32 v13, v19, 2, s10
.LBB282_313:                            ; =>This Inner Loop Header: Depth=1
	ds_read_b32 v16, v13
	v_add_u32_e32 v17, 0x80, v17
	v_cmp_ge_i32_e64 s[10:11], v17, v1
	s_or_b64 s[26:27], s[10:11], s[26:27]
	s_waitcnt lgkmcnt(0)
	v_sub_f32_e32 v16, v16, v0
	v_mul_f32_e32 v16, 0x3fb8aa3b, v16
	v_exp_f32_e32 v16, v16
	ds_write_b32 v13, v16
	v_add_f32_e32 v12, v12, v16
	v_add_u32_e32 v13, 0x200, v13
	s_andn2_b64 exec, exec, s[26:27]
	s_cbranch_execnz .LBB282_313
; %bb.314:
	s_or_b64 exec, exec, s[26:27]
.LBB282_315:
	s_or_b64 exec, exec, s[24:25]
	ds_bpermute_b32 v4, v4, v12
	s_waitcnt lgkmcnt(0)
	v_add_f32_e32 v4, v12, v4
	ds_bpermute_b32 v5, v5, v4
	s_waitcnt lgkmcnt(0)
	v_add_f32_e32 v4, v4, v5
	ds_bpermute_b32 v5, v8, v4
	v_xor_b32_e32 v8, 2, v2
	v_cmp_lt_i32_e64 s[10:11], v8, v3
	v_cndmask_b32_e64 v2, v2, v8, s[10:11]
	v_lshlrev_b32_e32 v2, 2, v2
	s_waitcnt lgkmcnt(0)
	v_add_f32_e32 v4, v4, v5
	ds_bpermute_b32 v5, v10, v4
	s_waitcnt lgkmcnt(0)
	v_add_f32_e32 v3, v4, v5
	ds_bpermute_b32 v2, v2, v3
	s_waitcnt lgkmcnt(0)
	v_add_f32_e32 v2, v3, v2
	ds_bpermute_b32 v3, v53, v2
	s_waitcnt lgkmcnt(0)
	v_add_f32_e32 v2, v2, v3
	s_and_saveexec_b64 s[10:11], vcc
	s_cbranch_execz .LBB282_317
; %bb.316:
	ds_write_b32 v6, v2 offset:392
.LBB282_317:
	s_or_b64 exec, exec, s[10:11]
	s_waitcnt lgkmcnt(0)
	s_barrier
	s_and_saveexec_b64 s[10:11], s[6:7]
	s_cbranch_execz .LBB282_319
; %bb.318:
	ds_read_b32 v2, v7 offset:392
.LBB282_319:
	s_or_b64 exec, exec, s[10:11]
	s_waitcnt lgkmcnt(0)
	ds_bpermute_b32 v3, v53, v2
	s_waitcnt lgkmcnt(0)
	v_add_f32_e32 v2, v2, v3
	ds_bpermute_b32 v2, v11, v2
	s_and_saveexec_b64 s[6:7], s[8:9]
	s_cbranch_execz .LBB282_332
; %bb.320:
	s_waitcnt lgkmcnt(0)
	v_add_f32_e32 v3, 0x358637bd, v2
	v_div_scale_f32 v4, s[8:9], v3, v3, 1.0
	v_rcp_f32_e32 v5, v4
	v_div_scale_f32 v6, vcc, 1.0, v3, 1.0
	s_movk_i32 s8, 0x7f
	v_fma_f32 v7, -v4, v5, 1.0
	v_fmac_f32_e32 v5, v7, v5
	v_mul_f32_e32 v7, v6, v5
	v_fma_f32 v8, -v4, v7, v6
	v_fmac_f32_e32 v7, v8, v5
	v_fma_f32 v4, -v4, v7, v6
	v_div_fmas_f32 v4, v4, v5, v7
	v_div_fixup_f32 v8, v4, v3, 1.0
	v_xad_u32 v3, v19, -1, v9
	v_subrev_u32_e32 v4, s23, v3
	v_cmp_lt_u32_e32 vcc, s8, v4
	s_mov_b64 s[10:11], -1
	v_mov_b32_e32 v3, v19
	s_and_saveexec_b64 s[8:9], vcc
	s_cbranch_execz .LBB282_329
; %bb.321:
	v_lshrrev_b32_e32 v3, 7, v4
	v_add_u32_e32 v5, -1, v3
	v_lshrrev_b32_e32 v4, 1, v5
	v_mov_b32_e32 v9, v8
	v_add_u32_e32 v4, 1, v4
	v_cmp_lt_u32_e32 vcc, 13, v5
	v_mov_b32_e32 v7, 0
	s_and_saveexec_b64 s[10:11], vcc
	s_cbranch_execz .LBB282_325
; %bb.322:
	s_ashr_i32 s21, s20, 31
	s_lshl_b64 s[24:25], s[20:21], 2
	s_getpc_b64 s[26:27]
	s_add_u32 s26, s26, llvm.amdgcn.dynlds.offset.table@rel32@lo+4
	s_addc_u32 s27, s27, llvm.amdgcn.dynlds.offset.table@rel32@hi+12
	s_add_u32 s24, s24, s26
	s_addc_u32 s25, s25, s27
	s_load_dword s21, s[24:25], 0x0
	v_and_b32_e32 v5, -8, v4
	s_mov_b32 s19, 0
	s_mov_b64 s[24:25], 0
	s_waitcnt lgkmcnt(0)
	v_lshl_add_u32 v6, v19, 2, s21
.LBB282_323:                            ; =>This Inner Loop Header: Depth=1
	ds_read2st64_b32 v[10:11], v6 offset1:2
	ds_read2st64_b32 v[12:13], v6 offset0:4 offset1:6
	ds_read2st64_b32 v[20:21], v6 offset0:8 offset1:10
	ds_read2st64_b32 v[16:17], v6 offset0:12 offset1:14
	v_add_u32_e32 v5, -8, v5
	s_waitcnt lgkmcnt(3)
	v_pk_mul_f32 v[10:11], v[8:9], v[10:11]
	s_waitcnt lgkmcnt(2)
	v_pk_mul_f32 v[12:13], v[8:9], v[12:13]
	ds_write2st64_b32 v6, v10, v11 offset1:2
	ds_write2st64_b32 v6, v12, v13 offset0:4 offset1:6
	ds_read2st64_b32 v[12:13], v6 offset0:16 offset1:18
	s_waitcnt lgkmcnt(4)
	v_pk_mul_f32 v[10:11], v[8:9], v[20:21]
	ds_write2st64_b32 v6, v10, v11 offset0:8 offset1:10
	s_waitcnt lgkmcnt(4)
	v_pk_mul_f32 v[10:11], v[8:9], v[16:17]
	ds_write2st64_b32 v6, v10, v11 offset0:12 offset1:14
	ds_read2st64_b32 v[10:11], v6 offset0:20 offset1:22
	s_waitcnt lgkmcnt(3)
	v_pk_mul_f32 v[12:13], v[8:9], v[12:13]
	ds_read2st64_b32 v[16:17], v6 offset0:24 offset1:26
	ds_write2st64_b32 v6, v12, v13 offset0:16 offset1:18
	ds_read2st64_b32 v[12:13], v6 offset0:28 offset1:30
	s_waitcnt lgkmcnt(3)
	v_pk_mul_f32 v[10:11], v[8:9], v[10:11]
	ds_write2st64_b32 v6, v10, v11 offset0:20 offset1:22
	s_waitcnt lgkmcnt(3)
	v_pk_mul_f32 v[10:11], v[8:9], v[16:17]
	ds_write2st64_b32 v6, v10, v11 offset0:24 offset1:26
	s_waitcnt lgkmcnt(2)
	v_pk_mul_f32 v[10:11], v[8:9], v[12:13]
	s_add_i32 s19, s19, 16
	v_cmp_eq_u32_e32 vcc, 0, v5
	ds_write2st64_b32 v6, v10, v11 offset0:28 offset1:30
	v_add_u32_e32 v6, 0x2000, v6
	s_or_b64 s[24:25], vcc, s[24:25]
	v_mov_b32_e32 v7, s19
	s_andn2_b64 exec, exec, s[24:25]
	s_cbranch_execnz .LBB282_323
; %bb.324:
	s_or_b64 exec, exec, s[24:25]
.LBB282_325:
	s_or_b64 exec, exec, s[10:11]
	v_and_b32_e32 v4, 7, v4
	v_cmp_ne_u32_e32 vcc, 0, v4
	s_and_saveexec_b64 s[10:11], vcc
	s_cbranch_execz .LBB282_328
; %bb.326:
	s_ashr_i32 s21, s20, 31
	s_lshl_b64 s[24:25], s[20:21], 2
	s_getpc_b64 s[26:27]
	s_add_u32 s26, s26, llvm.amdgcn.dynlds.offset.table@rel32@lo+4
	s_addc_u32 s27, s27, llvm.amdgcn.dynlds.offset.table@rel32@hi+12
	s_add_u32 s24, s24, s26
	s_addc_u32 s25, s25, s27
	s_load_dword s19, s[24:25], 0x0
	v_lshlrev_b32_e32 v5, 9, v7
	v_lshlrev_b32_e32 v6, 2, v19
	s_mov_b64 s[24:25], 0
	s_waitcnt lgkmcnt(0)
	v_add3_u32 v5, v5, v6, s19
.LBB282_327:                            ; =>This Inner Loop Header: Depth=1
	ds_read2st64_b32 v[6:7], v5 offset1:2
	v_add_u32_e32 v4, -1, v4
	v_cmp_eq_u32_e32 vcc, 0, v4
	s_or_b64 s[24:25], vcc, s[24:25]
	s_waitcnt lgkmcnt(0)
	v_pk_mul_f32 v[6:7], v[8:9], v[6:7]
	ds_write2st64_b32 v5, v6, v7 offset1:2
	v_add_u32_e32 v5, 0x400, v5
	s_andn2_b64 exec, exec, s[24:25]
	s_cbranch_execnz .LBB282_327
.LBB282_328:
	s_or_b64 exec, exec, s[10:11]
	v_add_u32_e32 v4, 1, v3
	v_and_b32_e32 v5, 0x3fffffe, v4
	v_cmp_ne_u32_e32 vcc, v4, v5
	v_lshl_add_u32 v3, v5, 7, v19
	s_orn2_b64 s[10:11], vcc, exec
.LBB282_329:
	s_or_b64 exec, exec, s[8:9]
	s_and_b64 exec, exec, s[10:11]
	s_cbranch_execz .LBB282_332
; %bb.330:
	s_ashr_i32 s21, s20, 31
	s_lshl_b64 s[8:9], s[20:21], 2
	s_getpc_b64 s[10:11]
	s_add_u32 s10, s10, llvm.amdgcn.dynlds.offset.table@rel32@lo+4
	s_addc_u32 s11, s11, llvm.amdgcn.dynlds.offset.table@rel32@hi+12
	s_add_u32 s8, s8, s10
	s_addc_u32 s9, s9, s11
	s_load_dword s8, s[8:9], 0x0
	s_waitcnt lgkmcnt(0)
	v_lshl_add_u32 v4, v3, 2, s8
	s_mov_b64 s[8:9], 0
.LBB282_331:                            ; =>This Inner Loop Header: Depth=1
	ds_read_b32 v5, v4
	v_add_u32_e32 v3, 0x80, v3
	v_cmp_ge_i32_e32 vcc, v3, v1
	s_or_b64 s[8:9], vcc, s[8:9]
	s_waitcnt lgkmcnt(0)
	v_mul_f32_e32 v5, v8, v5
	ds_write_b32 v4, v5
	v_add_u32_e32 v4, 0x200, v4
	s_andn2_b64 exec, exec, s[8:9]
	s_cbranch_execnz .LBB282_331
.LBB282_332:
	s_or_b64 exec, exec, s[6:7]
	v_cmp_ne_u16_e64 s[6:7], s28, 0
	s_cmp_lg_u64 s[6:7], 0
	s_addc_u32 s19, s13, 0
	s_mul_i32 s6, s19, s22
	v_cmp_eq_u32_e32 vcc, 0, v19
	s_mul_i32 s6, s6, s15
	s_waitcnt lgkmcnt(0)
	s_barrier
	s_and_saveexec_b64 s[8:9], vcc
	s_cbranch_execz .LBB282_334
; %bb.333:
	s_mul_i32 s12, s19, s12
	s_ashr_i32 s7, s6, 31
	s_ashr_i32 s13, s12, 31
	;; [unrolled: 1-line block ×3, first 2 shown]
	s_lshl_b64 s[10:11], s[6:7], 2
	s_lshl_b64 s[12:13], s[12:13], 2
	;; [unrolled: 1-line block ×3, first 2 shown]
	s_add_u32 s7, s22, s12
	s_addc_u32 s12, s23, s13
	s_add_u32 s7, s7, s10
	s_addc_u32 s10, s12, s11
	v_mov_b32_e32 v1, s10
	v_add_co_u32_e32 v4, vcc, s7, v32
	v_addc_co_u32_e32 v5, vcc, v1, v27, vcc
	flat_store_dword v[4:5], v0
	v_add_co_u32_e32 v0, vcc, s7, v26
	v_addc_co_u32_e32 v1, vcc, v1, v25, vcc
	flat_store_dword v[0:1], v2
.LBB282_334:
	s_or_b64 exec, exec, s[8:9]
	s_ashr_i32 s21, s20, 31
	s_lshl_b64 s[8:9], s[20:21], 2
	s_getpc_b64 s[10:11]
	s_add_u32 s10, s10, llvm.amdgcn.dynlds.offset.table@rel32@lo+4
	s_addc_u32 s11, s11, llvm.amdgcn.dynlds.offset.table@rel32@hi+12
	s_add_u32 s20, s8, s10
	s_addc_u32 s21, s9, s11
	s_mov_b32 s8, 0
	v_mov_b32_e32 v21, 0
	v_and_b32_e32 v54, 1, v19
	v_mov_b32_e32 v20, 0
	v_mov_b32_e32 v19, 0
	;; [unrolled: 1-line block ×5, first 2 shown]
	s_and_saveexec_b64 s[22:23], s[4:5]
	s_cbranch_execz .LBB282_640
; %bb.335:
	v_max_i32_e32 v52, v30, v33
	v_cvt_f32_u32_e32 v1, v52
	v_accvgpr_read_b32 v0, a2
	v_lshlrev_b32_e32 v0, 3, v0
	v_add_co_u32_e32 v4, vcc, v24, v23
	v_rcp_iflag_f32_e32 v1, v1
	v_and_b32_e32 v55, 8, v0
	v_addc_co_u32_e32 v5, vcc, v22, v29, vcc
	v_and_b32_e32 v0, 0x1f8, v0
	v_add_co_u32_e32 v8, vcc, v4, v0
	v_mul_f32_e32 v1, 0x4f7ffffe, v1
	v_addc_co_u32_e32 v9, vcc, 0, v5, vcc
	v_accvgpr_read_b32 v4, a12
	v_cvt_u32_f32_e32 v2, v1
	v_accvgpr_read_b32 v5, a13
	s_load_dword s4, s[20:21], 0x0
	v_lshlrev_b64 v[4:5], 2, v[4:5]
	v_add_co_u32_e32 v0, vcc, v34, v4
	v_sub_u32_e32 v6, 0, v52
	v_addc_co_u32_e32 v4, vcc, v35, v5, vcc
	v_mul_lo_u32 v6, v6, v2
	v_add_co_u32_e32 v10, vcc, v14, v0
	v_lshlrev_b32_e32 v0, 5, v54
	s_mov_b32 s12, s8
	s_mov_b32 s13, s8
	s_mov_b32 s24, -1
	v_mul_hi_u32 v6, v2, v6
	v_lshl_or_b32 v0, v28, 6, v0
	s_mov_b32 s9, s8
	s_mov_b32 s10, s8
	;; [unrolled: 1-line block ×3, first 2 shown]
	v_pk_mov_b32 v[20:21], s[12:13], s[12:13] op_sel:[0,1]
	s_mov_b32 s25, 0xffffff
	v_add_u32_e32 v49, -1, v31
	v_mov_b32_e32 v1, 0
	v_accvgpr_read_b32 v3, a8
	v_add_u32_e32 v2, v2, v6
	v_addc_co_u32_e32 v11, vcc, v15, v4, vcc
	s_waitcnt lgkmcnt(0)
	v_add_u32_e32 v29, s4, v0
	s_mov_b64 s[26:27], 0
	v_pk_mov_b32 v[18:19], s[10:11], s[10:11] op_sel:[0,1]
	v_pk_mov_b32 v[16:17], s[8:9], s[8:9] op_sel:[0,1]
	s_movk_i32 s7, 0x80
	s_movk_i32 s15, 0x7f
	s_mov_b32 s30, 0x8000
	s_movk_i32 s31, 0x380
	s_mov_b32 s34, 0x3020706
	s_mov_b32 s35, 0x1000504
	s_mov_b32 s36, 0x5040100
	v_mov_b32_e32 v50, 0x2000
	v_accvgpr_read_b32 v5, a15
	s_branch .LBB282_338
.LBB282_336:                            ;   in Loop: Header=BB282_338 Depth=1
	s_or_b64 exec, exec, s[4:5]
	v_add_f32_e32 v4, v4, v5
	v_add_f32_e32 v17, v17, v4
	;; [unrolled: 1-line block ×8, first 2 shown]
	;;#ASMSTART
	v_pk_mul_f16 v4, v58, v14;

	;;#ASMEND
	;;#ASMSTART
	v_pk_mul_f16 v0, v57, v0;

	;;#ASMEND
	;; [unrolled: 4-line block ×4, first 2 shown]
	;;#ASMSTART
	v_pk_add_f16 v0, v4, v0;

	;;#ASMEND
	;;#ASMSTART
	v_pk_add_f16 v0, v0, v5;

	;;#ASMEND
	;; [unrolled: 4-line block ×3, first 2 shown]
	v_lshrrev_b32_e32 v4, 16, v0
	v_and_b32_e32 v0, 0xffff, v0
	;;#ASMSTART
	v_cvt_f32_f16 v0, v0;
	;;#ASMEND
	v_add_f32_e32 v15, v59, v60
	;;#ASMSTART
	v_cvt_f32_f16 v4, v4;
	;;#ASMEND
	v_add_f32_e32 v0, v0, v4
	v_add_f32_e32 v16, v16, v15
	;; [unrolled: 1-line block ×3, first 2 shown]
.LBB282_337:                            ;   in Loop: Header=BB282_338 Depth=1
	s_or_b64 exec, exec, s[8:9]
	v_accvgpr_read_b32 v4, a12
	v_add_co_u32_e32 v10, vcc, 8, v10
	v_add_u32_e32 v4, 2, v4
	v_addc_co_u32_e32 v11, vcc, 0, v11, vcc
	v_accvgpr_read_b32 v0, a11
	v_accvgpr_read_b32 v5, a13
	v_cmp_ge_i32_e32 vcc, v4, v0
	v_add_u32_e32 v5, 32, v5
	v_accvgpr_write_b32 a12, v4
	s_or_b64 s[26:27], vcc, s[26:27]
	v_add_u32_e32 v29, 0x80, v29
	s_andn2_b64 exec, exec, s[26:27]
	s_cbranch_execz .LBB282_639
.LBB282_338:                            ; =>This Inner Loop Header: Depth=1
	v_ashrrev_i32_e32 v0, 31, v5
	v_accvgpr_read_b32 v4, a9
	v_xor_b32_e32 v0, v0, v4
	v_sub_u32_e32 v4, 0, v5
	v_accvgpr_write_b32 a13, v5
	v_max_i32_e32 v4, v5, v4
	v_accvgpr_read_b32 v5, a7
	v_mul_hi_u32 v5, v4, v5
	v_accvgpr_read_b32 v7, a3
	v_mul_lo_u32 v6, v5, v7
	v_sub_u32_e32 v4, v4, v6
	v_add_u32_e32 v6, 1, v5
	v_cmp_ge_u32_e32 vcc, v4, v7
	v_cndmask_b32_e32 v5, v5, v6, vcc
	v_sub_u32_e32 v6, v4, v7
	v_cndmask_b32_e32 v4, v4, v6, vcc
	v_add_u32_e32 v6, 1, v5
	v_cmp_ge_u32_e32 vcc, v4, v7
	v_cndmask_b32_e32 v4, v5, v6, vcc
	v_xor_b32_e32 v4, v4, v0
	v_sub_u32_e32 v0, v4, v0
	v_accvgpr_read_b32 v4, a10
	v_add_u32_e32 v4, v0, v4
	v_sub_u32_e32 v6, 0, v4
	v_ashrrev_i32_e32 v5, 31, v4
	v_max_i32_e32 v4, v4, v6
	v_mul_hi_u32 v6, v4, v2
	v_mul_lo_u32 v6, v6, v52
	v_sub_u32_e32 v4, v4, v6
	v_sub_u32_e32 v6, v4, v52
	v_cmp_ge_u32_e32 vcc, v4, v52
	v_cndmask_b32_e32 v4, v4, v6, vcc
	v_sub_u32_e32 v6, v4, v52
	v_cmp_ge_u32_e32 vcc, v4, v52
	v_cndmask_b32_e32 v4, v4, v6, vcc
	v_xor_b32_e32 v4, v4, v5
	v_sub_u32_e32 v4, v4, v5
	v_cmp_eq_u32_e32 vcc, 0, v4
	v_accvgpr_read_b32 v4, a14
	v_cmp_gt_i32_e64 s[4:5], v0, v4
	s_or_b64 s[4:5], vcc, s[4:5]
	s_and_saveexec_b64 s[8:9], s[4:5]
	s_cbranch_execz .LBB282_337
; %bb.339:                              ;   in Loop: Header=BB282_338 Depth=1
	flat_load_dword v0, v[10:11]
	ds_read2_b64 v[4:7], v29 offset1:1
	ds_read2_b64 v[24:27], v29 offset0:2 offset1:3
	v_accvgpr_read_b32 v12, a6
	v_mov_b32_e32 v30, 0
	s_waitcnt lgkmcnt(0)
	;;#ASMSTART
	v_cvt_f16_f32 v4, v4;

	;;#ASMEND
	;;#ASMSTART
	v_cvt_f16_f32 v5, v5;

	;;#ASMEND
	;; [unrolled: 4-line block ×6, first 2 shown]
	v_accvgpr_read_b32 v25, a5
	;;#ASMSTART
	v_cvt_f16_f32 v33, v26;

	;;#ASMEND
	;;#ASMSTART
	v_cvt_f16_f32 v38, v27;

	;;#ASMEND
	v_accvgpr_read_b32 v24, a4
	flat_load_dword v14, v[24:25]
	v_mov_b32_e32 v24, 0
	s_waitcnt vmcnt(0)
	v_mad_i64_i32 v[12:13], s[4:5], v0, v12, v[8:9]
	flat_load_dwordx2 v[34:35], v[12:13]
	s_waitcnt vmcnt(0) lgkmcnt(0)
	v_cmp_ne_u16_sdwa s[10:11], v34, v1 src0_sel:BYTE_0 src1_sel:DWORD
	s_and_saveexec_b64 s[4:5], s[10:11]
	s_cbranch_execz .LBB282_345
; %bb.340:                              ;   in Loop: Header=BB282_338 Depth=1
	v_cmp_ne_u16_sdwa s[12:13], v34, s7 src0_sel:BYTE_0 src1_sel:DWORD
	v_bfrev_b32_e32 v24, 1
	s_and_saveexec_b64 s[10:11], s[12:13]
	s_cbranch_execz .LBB282_344
; %bb.341:                              ;   in Loop: Header=BB282_338 Depth=1
	v_and_b32_e32 v0, 0x7f, v34
	v_cmp_ne_u32_e32 vcc, s15, v0
	v_mov_b32_e32 v24, 0x7fc02000
	s_and_saveexec_b64 s[12:13], vcc
	s_cbranch_execz .LBB282_343
; %bb.342:                              ;   in Loop: Header=BB282_338 Depth=1
	v_and_b32_e32 v23, 7, v34
	v_ffbh_u32_e32 v23, v23
	v_min_u32_e32 v23, 32, v23
	v_subrev_u32_e32 v24, 28, v23
	v_cmp_gt_u32_e32 vcc, 8, v0
	v_lshrrev_b32_e32 v26, 3, v0
	v_sub_u32_e32 v23, 29, v23
	v_cndmask_b32_e32 v0, 0, v24, vcc
	v_lshlrev_b64 v[24:25], v0, v[34:35]
	v_cndmask_b32_e32 v0, v26, v23, vcc
	v_lshlrev_b32_e32 v23, 7, v24
	v_lshlrev_b32_e32 v24, 8, v34
	v_lshl_add_u32 v0, v0, 10, v50
	v_and_or_b32 v0, v24, s30, v0
	v_and_or_b32 v0, v23, s31, v0
	v_cvt_f32_f16_e32 v24, v0
.LBB282_343:                            ;   in Loop: Header=BB282_338 Depth=1
	s_or_b64 exec, exec, s[12:13]
.LBB282_344:                            ;   in Loop: Header=BB282_338 Depth=1
	s_or_b64 exec, exec, s[10:11]
.LBB282_345:                            ;   in Loop: Header=BB282_338 Depth=1
	s_or_b64 exec, exec, s[4:5]
	v_lshrrev_b16_e32 v0, 8, v34
	v_cmp_ne_u16_e32 vcc, 0, v0
	s_and_saveexec_b64 s[4:5], vcc
	s_cbranch_execz .LBB282_351
; %bb.346:                              ;   in Loop: Header=BB282_338 Depth=1
	v_cmp_ne_u16_e32 vcc, s7, v0
	v_bfrev_b32_e32 v30, 1
	s_and_saveexec_b64 s[10:11], vcc
	s_cbranch_execz .LBB282_350
; %bb.347:                              ;   in Loop: Header=BB282_338 Depth=1
	v_and_b32_e32 v25, 0x7f, v0
	v_cmp_ne_u32_e32 vcc, s15, v25
	v_mov_b32_e32 v30, 0x7fc02000
	s_and_saveexec_b64 s[12:13], vcc
	s_cbranch_execz .LBB282_349
; %bb.348:                              ;   in Loop: Header=BB282_338 Depth=1
	v_and_b32_e32 v23, 7, v0
	v_ffbh_u32_e32 v26, v23
	v_min_u32_e32 v30, 32, v26
	v_subrev_u32_e32 v26, 28, v30
	v_lshlrev_b64 v[26:27], v26, v[0:1]
	v_lshrrev_b32_e32 v28, 3, v25
	v_sub_u32_e32 v27, 29, v30
	v_cmp_gt_u32_e32 vcc, 8, v25
	v_cndmask_b32_e32 v25, v28, v27, vcc
	v_and_b32_e32 v26, 7, v26
	v_lshlrev_b32_e32 v0, 8, v0
	v_lshl_add_u32 v25, v25, 10, v50
	v_cndmask_b32_e32 v23, v23, v26, vcc
	v_and_or_b32 v0, v0, s30, v25
	v_lshl_or_b32 v0, v23, 7, v0
	v_cvt_f32_f16_e32 v30, v0
.LBB282_349:                            ;   in Loop: Header=BB282_338 Depth=1
	s_or_b64 exec, exec, s[12:13]
.LBB282_350:                            ;   in Loop: Header=BB282_338 Depth=1
	s_or_b64 exec, exec, s[10:11]
.LBB282_351:                            ;   in Loop: Header=BB282_338 Depth=1
	s_or_b64 exec, exec, s[4:5]
	v_lshrrev_b32_e32 v0, 16, v34
	v_cmp_ne_u16_sdwa s[10:11], v0, v1 src0_sel:BYTE_0 src1_sel:DWORD
	v_mov_b32_e32 v31, 0
	v_mov_b32_e32 v25, 0
	s_and_saveexec_b64 s[4:5], s[10:11]
	s_cbranch_execz .LBB282_357
; %bb.352:                              ;   in Loop: Header=BB282_338 Depth=1
	v_cmp_ne_u16_sdwa s[12:13], v0, s7 src0_sel:BYTE_0 src1_sel:DWORD
	v_bfrev_b32_e32 v25, 1
	s_and_saveexec_b64 s[10:11], s[12:13]
	s_cbranch_execz .LBB282_356
; %bb.353:                              ;   in Loop: Header=BB282_338 Depth=1
	v_bfe_u32 v26, v34, 16, 7
	v_cmp_ne_u32_e32 vcc, s15, v26
	v_mov_b32_e32 v25, 0x7fc02000
	s_and_saveexec_b64 s[12:13], vcc
	s_cbranch_execz .LBB282_355
; %bb.354:                              ;   in Loop: Header=BB282_338 Depth=1
	v_and_b32_e32 v23, 7, v0
	v_ffbh_u32_e32 v27, v23
	v_min_u32_e32 v27, 32, v27
	v_lshrrev_b32_e32 v25, 3, v26
	v_subrev_u32_e32 v28, 28, v27
	v_sub_u32_e32 v27, 29, v27
	v_cmp_gt_u32_e32 vcc, 8, v26
	v_lshlrev_b64 v[40:41], v28, v[0:1]
	v_cndmask_b32_e32 v25, v25, v27, vcc
	v_and_b32_e32 v28, 7, v40
	v_lshlrev_b32_e32 v0, 8, v0
	v_lshl_add_u32 v25, v25, 10, v50
	v_cndmask_b32_e32 v23, v23, v28, vcc
	v_and_or_b32 v0, v0, s30, v25
	v_lshl_or_b32 v0, v23, 7, v0
	v_cvt_f32_f16_e32 v25, v0
.LBB282_355:                            ;   in Loop: Header=BB282_338 Depth=1
	s_or_b64 exec, exec, s[12:13]
.LBB282_356:                            ;   in Loop: Header=BB282_338 Depth=1
	s_or_b64 exec, exec, s[10:11]
.LBB282_357:                            ;   in Loop: Header=BB282_338 Depth=1
	s_or_b64 exec, exec, s[4:5]
	v_cmp_lt_u32_e32 vcc, s25, v34
	s_and_saveexec_b64 s[4:5], vcc
	s_cbranch_execz .LBB282_363
; %bb.358:                              ;   in Loop: Header=BB282_338 Depth=1
	v_lshrrev_b32_e32 v0, 24, v34
	v_cmp_ne_u32_e32 vcc, s7, v0
	v_bfrev_b32_e32 v31, 1
	s_and_saveexec_b64 s[10:11], vcc
	s_cbranch_execz .LBB282_362
; %bb.359:                              ;   in Loop: Header=BB282_338 Depth=1
	v_and_b32_e32 v26, 0x7f, v0
	v_cmp_ne_u32_e32 vcc, s15, v26
	v_mov_b32_e32 v31, 0x7fc02000
	s_and_saveexec_b64 s[12:13], vcc
	s_cbranch_execz .LBB282_361
; %bb.360:                              ;   in Loop: Header=BB282_338 Depth=1
	v_and_b32_e32 v23, 7, v0
	v_ffbh_u32_e32 v28, v23
	v_min_u32_e32 v28, 32, v28
	v_lshrrev_b32_e32 v27, 3, v26
	v_subrev_u32_e32 v31, 28, v28
	v_sub_u32_e32 v28, 29, v28
	v_cmp_gt_u32_e32 vcc, 8, v26
	v_lshlrev_b64 v[40:41], v31, v[0:1]
	v_cndmask_b32_e32 v26, v27, v28, vcc
	v_and_b32_e32 v31, 7, v40
	v_lshlrev_b32_e32 v0, 8, v0
	v_lshl_add_u32 v26, v26, 10, v50
	v_cndmask_b32_e32 v23, v23, v31, vcc
	v_and_or_b32 v0, v0, s30, v26
	v_lshl_or_b32 v0, v23, 7, v0
	v_cvt_f32_f16_e32 v31, v0
.LBB282_361:                            ;   in Loop: Header=BB282_338 Depth=1
	s_or_b64 exec, exec, s[12:13]
.LBB282_362:                            ;   in Loop: Header=BB282_338 Depth=1
	s_or_b64 exec, exec, s[10:11]
.LBB282_363:                            ;   in Loop: Header=BB282_338 Depth=1
	s_or_b64 exec, exec, s[4:5]
	v_mov_b32_e32 v0, v35
	v_cmp_ne_u16_sdwa s[10:11], v35, v1 src0_sel:BYTE_0 src1_sel:DWORD
	v_mov_b32_e32 v27, 0
	v_mov_b32_e32 v26, 0
	s_and_saveexec_b64 s[4:5], s[10:11]
	s_cbranch_execz .LBB282_369
; %bb.364:                              ;   in Loop: Header=BB282_338 Depth=1
	v_cmp_ne_u16_sdwa s[12:13], v35, s7 src0_sel:BYTE_0 src1_sel:DWORD
	v_bfrev_b32_e32 v26, 1
	s_and_saveexec_b64 s[10:11], s[12:13]
	s_cbranch_execz .LBB282_368
; %bb.365:                              ;   in Loop: Header=BB282_338 Depth=1
	v_and_b32_e32 v37, 0x7f, v35
	v_cmp_ne_u32_e32 vcc, s15, v37
	v_mov_b32_e32 v26, 0x7fc02000
	s_and_saveexec_b64 s[12:13], vcc
	s_cbranch_execz .LBB282_367
; %bb.366:                              ;   in Loop: Header=BB282_338 Depth=1
	v_and_b32_e32 v23, 7, v35
	v_ffbh_u32_e32 v23, v23
	v_min_u32_e32 v23, 32, v23
	v_lshrrev_b32_e32 v26, 3, v37
	v_subrev_u32_e32 v28, 28, v23
	v_sub_u32_e32 v23, 29, v23
	v_cmp_gt_u32_e32 vcc, 8, v37
	v_cndmask_b32_e32 v28, 0, v28, vcc
	v_cndmask_b32_e32 v23, v26, v23, vcc
	v_lshlrev_b64 v[40:41], v28, v[0:1]
	v_lshlrev_b32_e32 v28, 8, v35
	v_lshl_add_u32 v23, v23, 10, v50
	v_lshlrev_b32_e32 v26, 7, v40
	v_and_or_b32 v23, v28, s30, v23
	v_and_or_b32 v23, v26, s31, v23
	v_cvt_f32_f16_e32 v26, v23
.LBB282_367:                            ;   in Loop: Header=BB282_338 Depth=1
	s_or_b64 exec, exec, s[12:13]
.LBB282_368:                            ;   in Loop: Header=BB282_338 Depth=1
	s_or_b64 exec, exec, s[10:11]
.LBB282_369:                            ;   in Loop: Header=BB282_338 Depth=1
	s_or_b64 exec, exec, s[4:5]
	v_lshrrev_b16_e32 v0, 8, v0
	v_cmp_ne_u16_e32 vcc, 0, v0
	s_and_saveexec_b64 s[4:5], vcc
	s_cbranch_execz .LBB282_375
; %bb.370:                              ;   in Loop: Header=BB282_338 Depth=1
	v_cmp_ne_u16_e32 vcc, s7, v0
	v_bfrev_b32_e32 v27, 1
	s_and_saveexec_b64 s[10:11], vcc
	s_cbranch_execz .LBB282_374
; %bb.371:                              ;   in Loop: Header=BB282_338 Depth=1
	v_and_b32_e32 v37, 0x7f, v0
	v_cmp_ne_u32_e32 vcc, s15, v37
	v_mov_b32_e32 v27, 0x7fc02000
	s_and_saveexec_b64 s[12:13], vcc
	s_cbranch_execz .LBB282_373
; %bb.372:                              ;   in Loop: Header=BB282_338 Depth=1
	v_and_b32_e32 v23, 7, v0
	v_ffbh_u32_e32 v28, v23
	v_min_u32_e32 v28, 32, v28
	v_lshrrev_b32_e32 v27, 3, v37
	v_subrev_u32_e32 v32, 28, v28
	v_sub_u32_e32 v28, 29, v28
	v_cmp_gt_u32_e32 vcc, 8, v37
	v_lshlrev_b64 v[40:41], v32, v[0:1]
	v_cndmask_b32_e32 v27, v27, v28, vcc
	v_and_b32_e32 v32, 7, v40
	v_lshlrev_b32_e32 v0, 8, v0
	v_lshl_add_u32 v27, v27, 10, v50
	v_cndmask_b32_e32 v23, v23, v32, vcc
	v_and_or_b32 v0, v0, s30, v27
	v_lshl_or_b32 v0, v23, 7, v0
	v_cvt_f32_f16_e32 v27, v0
.LBB282_373:                            ;   in Loop: Header=BB282_338 Depth=1
	s_or_b64 exec, exec, s[12:13]
.LBB282_374:                            ;   in Loop: Header=BB282_338 Depth=1
	s_or_b64 exec, exec, s[10:11]
.LBB282_375:                            ;   in Loop: Header=BB282_338 Depth=1
	s_or_b64 exec, exec, s[4:5]
	v_lshrrev_b32_e32 v0, 16, v35
	v_cmp_ne_u16_sdwa s[10:11], v0, v1 src0_sel:BYTE_0 src1_sel:DWORD
	v_mov_b32_e32 v37, 0
	v_mov_b32_e32 v39, 0
	s_and_saveexec_b64 s[4:5], s[10:11]
	s_cbranch_execz .LBB282_381
; %bb.376:                              ;   in Loop: Header=BB282_338 Depth=1
	v_cmp_ne_u16_sdwa s[12:13], v0, s7 src0_sel:BYTE_0 src1_sel:DWORD
	v_bfrev_b32_e32 v39, 1
	s_and_saveexec_b64 s[10:11], s[12:13]
	s_cbranch_execz .LBB282_380
; %bb.377:                              ;   in Loop: Header=BB282_338 Depth=1
	v_bfe_u32 v48, v35, 16, 7
	v_cmp_ne_u32_e32 vcc, s15, v48
	v_mov_b32_e32 v39, 0x7fc02000
	s_and_saveexec_b64 s[12:13], vcc
	s_cbranch_execz .LBB282_379
; %bb.378:                              ;   in Loop: Header=BB282_338 Depth=1
	v_and_b32_e32 v23, 7, v0
	v_ffbh_u32_e32 v32, v23
	v_min_u32_e32 v32, 32, v32
	v_lshrrev_b32_e32 v28, 3, v48
	v_subrev_u32_e32 v36, 28, v32
	v_sub_u32_e32 v32, 29, v32
	v_cmp_gt_u32_e32 vcc, 8, v48
	v_lshlrev_b64 v[40:41], v36, v[0:1]
	v_cndmask_b32_e32 v28, v28, v32, vcc
	v_and_b32_e32 v36, 7, v40
	v_lshlrev_b32_e32 v0, 8, v0
	v_lshl_add_u32 v28, v28, 10, v50
	v_cndmask_b32_e32 v23, v23, v36, vcc
	v_and_or_b32 v0, v0, s30, v28
	v_lshl_or_b32 v0, v23, 7, v0
	v_cvt_f32_f16_e32 v39, v0
.LBB282_379:                            ;   in Loop: Header=BB282_338 Depth=1
	s_or_b64 exec, exec, s[12:13]
.LBB282_380:                            ;   in Loop: Header=BB282_338 Depth=1
	s_or_b64 exec, exec, s[10:11]
.LBB282_381:                            ;   in Loop: Header=BB282_338 Depth=1
	s_or_b64 exec, exec, s[4:5]
	v_cmp_lt_u64_e32 vcc, s[24:25], v[34:35]
	s_and_saveexec_b64 s[4:5], vcc
	s_cbranch_execz .LBB282_387
; %bb.382:                              ;   in Loop: Header=BB282_338 Depth=1
	v_lshrrev_b32_e32 v0, 24, v35
	v_cmp_ne_u32_e32 vcc, s7, v0
	v_bfrev_b32_e32 v37, 1
	s_and_saveexec_b64 s[10:11], vcc
	s_cbranch_execz .LBB282_386
; %bb.383:                              ;   in Loop: Header=BB282_338 Depth=1
	v_and_b32_e32 v34, 0x7f, v0
	v_cmp_ne_u32_e32 vcc, s15, v34
	v_mov_b32_e32 v37, 0x7fc02000
	s_and_saveexec_b64 s[12:13], vcc
	s_cbranch_execz .LBB282_385
; %bb.384:                              ;   in Loop: Header=BB282_338 Depth=1
	v_and_b32_e32 v23, 7, v0
	v_ffbh_u32_e32 v32, v23
	v_min_u32_e32 v32, 32, v32
	v_lshrrev_b32_e32 v28, 3, v34
	v_subrev_u32_e32 v35, 28, v32
	v_sub_u32_e32 v32, 29, v32
	v_cmp_gt_u32_e32 vcc, 8, v34
	v_lshlrev_b64 v[40:41], v35, v[0:1]
	v_cndmask_b32_e32 v28, v28, v32, vcc
	v_and_b32_e32 v35, 7, v40
	v_lshlrev_b32_e32 v0, 8, v0
	v_lshl_add_u32 v28, v28, 10, v50
	v_cndmask_b32_e32 v23, v23, v35, vcc
	v_and_or_b32 v0, v0, s30, v28
	v_lshl_or_b32 v0, v23, 7, v0
	v_cvt_f32_f16_e32 v37, v0
.LBB282_385:                            ;   in Loop: Header=BB282_338 Depth=1
	s_or_b64 exec, exec, s[12:13]
.LBB282_386:                            ;   in Loop: Header=BB282_338 Depth=1
	s_or_b64 exec, exec, s[10:11]
.LBB282_387:                            ;   in Loop: Header=BB282_338 Depth=1
	s_or_b64 exec, exec, s[4:5]
	v_pk_mul_f32 v[30:31], v[14:15], v[30:31] op_sel_hi:[0,1]
	v_pk_mul_f32 v[24:25], v[14:15], v[24:25] op_sel_hi:[0,1]
	v_cvt_f16_f32_e32 v0, v31
	v_cvt_f16_f32_e32 v23, v30
	;; [unrolled: 1-line block ×4, first 2 shown]
	v_accvgpr_read_b32 v28, a13
	v_pack_b32_f16 v23, v23, v0
	v_add_u32_e32 v41, v55, v28
	v_pack_b32_f16 v24, v24, v25
	v_perm_b32 v0, v24, v23, s34
	v_perm_b32 v24, v24, v23, s35
	v_fma_mixlo_f16 v23, v14, v27, 0
	v_fma_mixlo_f16 v25, v14, v26, 0
	;; [unrolled: 1-line block ×4, first 2 shown]
	v_accvgpr_read_b32 v28, a12
	v_lshlrev_b32_e32 v23, 16, v23
	v_lshlrev_b32_e32 v14, 16, v14
	v_cmp_eq_u32_e32 vcc, v49, v28
	v_or_b32_sdwa v25, v23, v25 dst_sel:DWORD dst_unused:UNUSED_PAD src0_sel:DWORD src1_sel:WORD_0
	v_or_b32_sdwa v14, v14, v26 dst_sel:DWORD dst_unused:UNUSED_PAD src0_sel:DWORD src1_sel:WORD_0
	v_add_u32_e32 v46, 1, v41
	v_or_b32_e32 v45, 3, v41
	v_or_b32_e32 v44, 2, v41
	;; [unrolled: 1-line block ×6, first 2 shown]
	s_and_saveexec_b64 s[10:11], vcc
	s_cbranch_execz .LBB282_389
; %bb.388:                              ;   in Loop: Header=BB282_338 Depth=1
	v_lshrrev_b32_e32 v23, 16, v24
	v_cmp_lt_i32_e64 s[4:5], v46, v3
	v_accvgpr_read_b32 v28, a8
	v_cndmask_b32_e64 v23, 0, v23, s[4:5]
	v_cmp_lt_i32_e64 s[4:5], v41, v28
	v_cndmask_b32_e64 v24, 0, v24, s[4:5]
	v_perm_b32 v24, v23, v24, s36
	v_lshrrev_b32_e32 v23, 16, v0
	v_cmp_lt_i32_e64 s[4:5], v45, v3
	v_cndmask_b32_e64 v23, 0, v23, s[4:5]
	v_cmp_lt_i32_e64 s[4:5], v44, v28
	v_cndmask_b32_e64 v0, 0, v0, s[4:5]
	v_perm_b32 v0, v23, v0, s36
	v_lshrrev_b32_e32 v23, 16, v25
	v_cmp_lt_i32_e64 s[4:5], v43, v3
	v_cndmask_b32_e64 v23, 0, v23, s[4:5]
	v_cmp_lt_i32_e64 s[4:5], v42, v28
	v_cndmask_b32_e64 v25, 0, v25, s[4:5]
	v_lshrrev_b32_e32 v14, 16, v14
	v_cmp_lt_i32_e64 s[4:5], v40, v3
	v_cndmask_b32_e64 v14, 0, v14, s[4:5]
	v_cmp_lt_i32_e64 s[4:5], v51, v28
	v_perm_b32 v25, v23, v25, s36
	v_cndmask_b32_e64 v23, 0, v26, s[4:5]
	v_perm_b32 v14, v14, v23, s36
.LBB282_389:                            ;   in Loop: Header=BB282_338 Depth=1
	s_or_b64 exec, exec, s[10:11]
	v_and_b32_e32 v4, 0xffff, v4
	v_lshl_or_b32 v58, v5, 16, v4
	v_and_b32_e32 v4, 0xffff, v6
	v_lshl_or_b32 v57, v7, 16, v4
	;; [unrolled: 2-line block ×4, first 2 shown]
	;;#ASMSTART
	v_pk_mul_f16 v4, v58, v24;

	;;#ASMEND
	;;#ASMSTART
	v_pk_mul_f16 v0, v57, v0;

	;;#ASMEND
	;; [unrolled: 4-line block ×4, first 2 shown]
	;;#ASMSTART
	v_pk_add_f16 v0, v4, v0;

	;;#ASMEND
	;;#ASMSTART
	v_pk_add_f16 v0, v0, v5;

	;;#ASMEND
	;;#ASMSTART
	v_pk_add_f16 v0, v0, v6;

	;;#ASMEND
	v_lshrrev_b32_e32 v4, 16, v0
	v_and_b32_e32 v0, 0xffff, v0
	;;#ASMSTART
	v_cvt_f32_f16 v59, v0;
	;;#ASMEND
	;;#ASMSTART
	v_cvt_f32_f16 v60, v4;
	;;#ASMEND
	v_accvgpr_read_b32 v4, a4
	flat_load_dwordx2 v[34:35], v[12:13] offset:512
	v_accvgpr_read_b32 v5, a5
	flat_load_dword v14, v[4:5]
	v_mov_b32_e32 v30, 0
	v_mov_b32_e32 v24, 0
	s_waitcnt vmcnt(0) lgkmcnt(0)
	v_cmp_ne_u16_sdwa s[4:5], v34, v1 src0_sel:BYTE_0 src1_sel:DWORD
	s_and_saveexec_b64 s[10:11], s[4:5]
	s_cbranch_execz .LBB282_395
; %bb.390:                              ;   in Loop: Header=BB282_338 Depth=1
	v_cmp_ne_u16_sdwa s[4:5], v34, s7 src0_sel:BYTE_0 src1_sel:DWORD
	v_bfrev_b32_e32 v24, 1
	s_and_saveexec_b64 s[12:13], s[4:5]
	s_cbranch_execz .LBB282_394
; %bb.391:                              ;   in Loop: Header=BB282_338 Depth=1
	v_and_b32_e32 v0, 0x7f, v34
	v_cmp_ne_u32_e64 s[4:5], s15, v0
	v_mov_b32_e32 v24, 0x7fc02000
	s_and_saveexec_b64 s[28:29], s[4:5]
	s_cbranch_execz .LBB282_393
; %bb.392:                              ;   in Loop: Header=BB282_338 Depth=1
	v_and_b32_e32 v4, 7, v34
	v_ffbh_u32_e32 v4, v4
	v_min_u32_e32 v4, 32, v4
	v_subrev_u32_e32 v5, 28, v4
	v_cmp_gt_u32_e64 s[4:5], 8, v0
	v_lshrrev_b32_e32 v6, 3, v0
	v_sub_u32_e32 v7, 29, v4
	v_cndmask_b32_e64 v0, 0, v5, s[4:5]
	v_lshlrev_b64 v[4:5], v0, v[34:35]
	v_cndmask_b32_e64 v0, v6, v7, s[4:5]
	v_lshlrev_b32_e32 v5, 8, v34
	v_lshl_add_u32 v0, v0, 10, v50
	v_lshlrev_b32_e32 v4, 7, v4
	v_and_or_b32 v0, v5, s30, v0
	v_and_or_b32 v0, v4, s31, v0
	v_cvt_f32_f16_e32 v24, v0
.LBB282_393:                            ;   in Loop: Header=BB282_338 Depth=1
	s_or_b64 exec, exec, s[28:29]
.LBB282_394:                            ;   in Loop: Header=BB282_338 Depth=1
	s_or_b64 exec, exec, s[12:13]
.LBB282_395:                            ;   in Loop: Header=BB282_338 Depth=1
	s_or_b64 exec, exec, s[10:11]
	v_lshrrev_b16_e32 v0, 8, v34
	v_cmp_ne_u16_e64 s[4:5], 0, v0
	s_and_saveexec_b64 s[10:11], s[4:5]
	s_cbranch_execz .LBB282_401
; %bb.396:                              ;   in Loop: Header=BB282_338 Depth=1
	v_cmp_ne_u16_e64 s[4:5], s7, v0
	v_bfrev_b32_e32 v30, 1
	s_and_saveexec_b64 s[12:13], s[4:5]
	s_cbranch_execz .LBB282_400
; %bb.397:                              ;   in Loop: Header=BB282_338 Depth=1
	v_and_b32_e32 v4, 0x7f, v0
	v_cmp_ne_u32_e64 s[4:5], s15, v4
	v_mov_b32_e32 v30, 0x7fc02000
	s_and_saveexec_b64 s[28:29], s[4:5]
	s_cbranch_execz .LBB282_399
; %bb.398:                              ;   in Loop: Header=BB282_338 Depth=1
	v_and_b32_e32 v5, 7, v0
	v_ffbh_u32_e32 v6, v5
	v_min_u32_e32 v22, 32, v6
	v_subrev_u32_e32 v6, 28, v22
	v_lshlrev_b64 v[6:7], v6, v[0:1]
	v_lshrrev_b32_e32 v15, 3, v4
	v_sub_u32_e32 v7, 29, v22
	v_cmp_gt_u32_e64 s[4:5], 8, v4
	v_cndmask_b32_e64 v4, v15, v7, s[4:5]
	v_and_b32_e32 v6, 7, v6
	v_lshlrev_b32_e32 v0, 8, v0
	v_lshl_add_u32 v4, v4, 10, v50
	v_cndmask_b32_e64 v5, v5, v6, s[4:5]
	v_and_or_b32 v0, v0, s30, v4
	v_lshl_or_b32 v0, v5, 7, v0
	v_cvt_f32_f16_e32 v30, v0
.LBB282_399:                            ;   in Loop: Header=BB282_338 Depth=1
	s_or_b64 exec, exec, s[28:29]
.LBB282_400:                            ;   in Loop: Header=BB282_338 Depth=1
	s_or_b64 exec, exec, s[12:13]
.LBB282_401:                            ;   in Loop: Header=BB282_338 Depth=1
	s_or_b64 exec, exec, s[10:11]
	v_lshrrev_b32_e32 v0, 16, v34
	v_cmp_ne_u16_sdwa s[4:5], v0, v1 src0_sel:BYTE_0 src1_sel:DWORD
	v_mov_b32_e32 v31, 0
	v_mov_b32_e32 v25, 0
	s_and_saveexec_b64 s[10:11], s[4:5]
	s_cbranch_execz .LBB282_407
; %bb.402:                              ;   in Loop: Header=BB282_338 Depth=1
	v_cmp_ne_u16_sdwa s[4:5], v0, s7 src0_sel:BYTE_0 src1_sel:DWORD
	v_bfrev_b32_e32 v25, 1
	s_and_saveexec_b64 s[12:13], s[4:5]
	s_cbranch_execz .LBB282_406
; %bb.403:                              ;   in Loop: Header=BB282_338 Depth=1
	v_bfe_u32 v4, v34, 16, 7
	v_cmp_ne_u32_e64 s[4:5], s15, v4
	v_mov_b32_e32 v25, 0x7fc02000
	s_and_saveexec_b64 s[28:29], s[4:5]
	s_cbranch_execz .LBB282_405
; %bb.404:                              ;   in Loop: Header=BB282_338 Depth=1
	v_and_b32_e32 v5, 7, v0
	v_ffbh_u32_e32 v6, v5
	v_min_u32_e32 v22, 32, v6
	v_subrev_u32_e32 v6, 28, v22
	v_lshlrev_b64 v[6:7], v6, v[0:1]
	v_lshrrev_b32_e32 v15, 3, v4
	v_sub_u32_e32 v7, 29, v22
	v_cmp_gt_u32_e64 s[4:5], 8, v4
	v_cndmask_b32_e64 v4, v15, v7, s[4:5]
	v_and_b32_e32 v6, 7, v6
	v_lshlrev_b32_e32 v0, 8, v0
	v_lshl_add_u32 v4, v4, 10, v50
	v_cndmask_b32_e64 v5, v5, v6, s[4:5]
	v_and_or_b32 v0, v0, s30, v4
	v_lshl_or_b32 v0, v5, 7, v0
	v_cvt_f32_f16_e32 v25, v0
.LBB282_405:                            ;   in Loop: Header=BB282_338 Depth=1
	s_or_b64 exec, exec, s[28:29]
.LBB282_406:                            ;   in Loop: Header=BB282_338 Depth=1
	s_or_b64 exec, exec, s[12:13]
.LBB282_407:                            ;   in Loop: Header=BB282_338 Depth=1
	s_or_b64 exec, exec, s[10:11]
	v_cmp_lt_u32_e64 s[4:5], s25, v34
	s_and_saveexec_b64 s[10:11], s[4:5]
	s_cbranch_execz .LBB282_413
; %bb.408:                              ;   in Loop: Header=BB282_338 Depth=1
	v_lshrrev_b32_e32 v0, 24, v34
	v_cmp_ne_u32_e64 s[4:5], s7, v0
	v_bfrev_b32_e32 v31, 1
	s_and_saveexec_b64 s[12:13], s[4:5]
	s_cbranch_execz .LBB282_412
; %bb.409:                              ;   in Loop: Header=BB282_338 Depth=1
	v_and_b32_e32 v4, 0x7f, v0
	v_cmp_ne_u32_e64 s[4:5], s15, v4
	v_mov_b32_e32 v31, 0x7fc02000
	s_and_saveexec_b64 s[28:29], s[4:5]
	s_cbranch_execz .LBB282_411
; %bb.410:                              ;   in Loop: Header=BB282_338 Depth=1
	v_and_b32_e32 v5, 7, v0
	v_ffbh_u32_e32 v6, v5
	v_min_u32_e32 v22, 32, v6
	v_subrev_u32_e32 v6, 28, v22
	v_lshlrev_b64 v[6:7], v6, v[0:1]
	v_lshrrev_b32_e32 v15, 3, v4
	v_sub_u32_e32 v7, 29, v22
	v_cmp_gt_u32_e64 s[4:5], 8, v4
	v_cndmask_b32_e64 v4, v15, v7, s[4:5]
	v_and_b32_e32 v6, 7, v6
	v_lshlrev_b32_e32 v0, 8, v0
	v_lshl_add_u32 v4, v4, 10, v50
	v_cndmask_b32_e64 v5, v5, v6, s[4:5]
	v_and_or_b32 v0, v0, s30, v4
	v_lshl_or_b32 v0, v5, 7, v0
	v_cvt_f32_f16_e32 v31, v0
.LBB282_411:                            ;   in Loop: Header=BB282_338 Depth=1
	s_or_b64 exec, exec, s[28:29]
.LBB282_412:                            ;   in Loop: Header=BB282_338 Depth=1
	s_or_b64 exec, exec, s[12:13]
.LBB282_413:                            ;   in Loop: Header=BB282_338 Depth=1
	s_or_b64 exec, exec, s[10:11]
	v_mov_b32_e32 v0, v35
	v_cmp_ne_u16_sdwa s[4:5], v35, v1 src0_sel:BYTE_0 src1_sel:DWORD
	v_mov_b32_e32 v5, 0
	v_mov_b32_e32 v4, 0
	s_and_saveexec_b64 s[10:11], s[4:5]
	s_cbranch_execz .LBB282_419
; %bb.414:                              ;   in Loop: Header=BB282_338 Depth=1
	v_cmp_ne_u16_sdwa s[4:5], v35, s7 src0_sel:BYTE_0 src1_sel:DWORD
	v_bfrev_b32_e32 v4, 1
	s_and_saveexec_b64 s[12:13], s[4:5]
	s_cbranch_execz .LBB282_418
; %bb.415:                              ;   in Loop: Header=BB282_338 Depth=1
	v_and_b32_e32 v6, 0x7f, v35
	v_cmp_ne_u32_e64 s[4:5], s15, v6
	v_mov_b32_e32 v4, 0x7fc02000
	s_and_saveexec_b64 s[28:29], s[4:5]
	s_cbranch_execz .LBB282_417
; %bb.416:                              ;   in Loop: Header=BB282_338 Depth=1
	v_and_b32_e32 v4, 7, v35
	v_ffbh_u32_e32 v4, v4
	v_min_u32_e32 v4, 32, v4
	v_subrev_u32_e32 v7, 28, v4
	v_cmp_gt_u32_e64 s[4:5], 8, v6
	v_lshrrev_b32_e32 v15, 3, v6
	v_sub_u32_e32 v4, 29, v4
	v_cndmask_b32_e64 v6, 0, v7, s[4:5]
	v_lshlrev_b64 v[6:7], v6, v[0:1]
	v_cndmask_b32_e64 v4, v15, v4, s[4:5]
	v_lshlrev_b32_e32 v7, 8, v35
	v_lshl_add_u32 v4, v4, 10, v50
	v_lshlrev_b32_e32 v6, 7, v6
	v_and_or_b32 v4, v7, s30, v4
	v_and_or_b32 v4, v6, s31, v4
	v_cvt_f32_f16_e32 v4, v4
.LBB282_417:                            ;   in Loop: Header=BB282_338 Depth=1
	s_or_b64 exec, exec, s[28:29]
.LBB282_418:                            ;   in Loop: Header=BB282_338 Depth=1
	s_or_b64 exec, exec, s[12:13]
.LBB282_419:                            ;   in Loop: Header=BB282_338 Depth=1
	s_or_b64 exec, exec, s[10:11]
	v_lshrrev_b16_e32 v0, 8, v0
	v_cmp_ne_u16_e64 s[4:5], 0, v0
	s_and_saveexec_b64 s[10:11], s[4:5]
	s_cbranch_execz .LBB282_425
; %bb.420:                              ;   in Loop: Header=BB282_338 Depth=1
	v_cmp_ne_u16_e64 s[4:5], s7, v0
	v_bfrev_b32_e32 v5, 1
	s_and_saveexec_b64 s[12:13], s[4:5]
	s_cbranch_execz .LBB282_424
; %bb.421:                              ;   in Loop: Header=BB282_338 Depth=1
	v_and_b32_e32 v6, 0x7f, v0
	v_cmp_ne_u32_e64 s[4:5], s15, v6
	v_mov_b32_e32 v5, 0x7fc02000
	s_and_saveexec_b64 s[28:29], s[4:5]
	s_cbranch_execz .LBB282_423
; %bb.422:                              ;   in Loop: Header=BB282_338 Depth=1
	v_and_b32_e32 v5, 7, v0
	v_ffbh_u32_e32 v15, v5
	v_min_u32_e32 v15, 32, v15
	v_lshrrev_b32_e32 v7, 3, v6
	v_subrev_u32_e32 v22, 28, v15
	v_sub_u32_e32 v15, 29, v15
	v_cmp_gt_u32_e64 s[4:5], 8, v6
	v_lshlrev_b64 v[26:27], v22, v[0:1]
	v_cndmask_b32_e64 v6, v7, v15, s[4:5]
	v_and_b32_e32 v22, 7, v26
	v_lshlrev_b32_e32 v0, 8, v0
	v_lshl_add_u32 v6, v6, 10, v50
	v_cndmask_b32_e64 v5, v5, v22, s[4:5]
	v_and_or_b32 v0, v0, s30, v6
	v_lshl_or_b32 v0, v5, 7, v0
	v_cvt_f32_f16_e32 v5, v0
.LBB282_423:                            ;   in Loop: Header=BB282_338 Depth=1
	s_or_b64 exec, exec, s[28:29]
.LBB282_424:                            ;   in Loop: Header=BB282_338 Depth=1
	s_or_b64 exec, exec, s[12:13]
.LBB282_425:                            ;   in Loop: Header=BB282_338 Depth=1
	s_or_b64 exec, exec, s[10:11]
	v_lshrrev_b32_e32 v0, 16, v35
	v_cmp_ne_u16_sdwa s[4:5], v0, v1 src0_sel:BYTE_0 src1_sel:DWORD
	v_mov_b32_e32 v6, 0
	v_mov_b32_e32 v7, 0
	s_and_saveexec_b64 s[10:11], s[4:5]
	s_cbranch_execz .LBB282_431
; %bb.426:                              ;   in Loop: Header=BB282_338 Depth=1
	v_cmp_ne_u16_sdwa s[4:5], v0, s7 src0_sel:BYTE_0 src1_sel:DWORD
	v_bfrev_b32_e32 v7, 1
	s_and_saveexec_b64 s[12:13], s[4:5]
	s_cbranch_execz .LBB282_430
; %bb.427:                              ;   in Loop: Header=BB282_338 Depth=1
	v_bfe_u32 v15, v35, 16, 7
	v_cmp_ne_u32_e64 s[4:5], s15, v15
	v_mov_b32_e32 v7, 0x7fc02000
	s_and_saveexec_b64 s[28:29], s[4:5]
	s_cbranch_execz .LBB282_429
; %bb.428:                              ;   in Loop: Header=BB282_338 Depth=1
	v_and_b32_e32 v7, 7, v0
	v_ffbh_u32_e32 v23, v7
	v_min_u32_e32 v23, 32, v23
	v_lshrrev_b32_e32 v22, 3, v15
	v_subrev_u32_e32 v26, 28, v23
	v_sub_u32_e32 v23, 29, v23
	v_cmp_gt_u32_e64 s[4:5], 8, v15
	v_lshlrev_b64 v[26:27], v26, v[0:1]
	v_cndmask_b32_e64 v15, v22, v23, s[4:5]
	v_and_b32_e32 v26, 7, v26
	v_lshlrev_b32_e32 v0, 8, v0
	v_lshl_add_u32 v15, v15, 10, v50
	v_cndmask_b32_e64 v7, v7, v26, s[4:5]
	v_and_or_b32 v0, v0, s30, v15
	v_lshl_or_b32 v0, v7, 7, v0
	v_cvt_f32_f16_e32 v7, v0
.LBB282_429:                            ;   in Loop: Header=BB282_338 Depth=1
	s_or_b64 exec, exec, s[28:29]
.LBB282_430:                            ;   in Loop: Header=BB282_338 Depth=1
	s_or_b64 exec, exec, s[12:13]
.LBB282_431:                            ;   in Loop: Header=BB282_338 Depth=1
	s_or_b64 exec, exec, s[10:11]
	v_cmp_lt_u64_e64 s[4:5], s[24:25], v[34:35]
	s_and_saveexec_b64 s[10:11], s[4:5]
	s_cbranch_execz .LBB282_437
; %bb.432:                              ;   in Loop: Header=BB282_338 Depth=1
	v_lshrrev_b32_e32 v0, 24, v35
	v_cmp_ne_u32_e64 s[4:5], s7, v0
	v_bfrev_b32_e32 v6, 1
	s_and_saveexec_b64 s[12:13], s[4:5]
	s_cbranch_execz .LBB282_436
; %bb.433:                              ;   in Loop: Header=BB282_338 Depth=1
	v_and_b32_e32 v15, 0x7f, v0
	v_cmp_ne_u32_e64 s[4:5], s15, v15
	v_mov_b32_e32 v6, 0x7fc02000
	s_and_saveexec_b64 s[28:29], s[4:5]
	s_cbranch_execz .LBB282_435
; %bb.434:                              ;   in Loop: Header=BB282_338 Depth=1
	v_and_b32_e32 v6, 7, v0
	v_ffbh_u32_e32 v23, v6
	v_min_u32_e32 v23, 32, v23
	v_lshrrev_b32_e32 v22, 3, v15
	v_subrev_u32_e32 v26, 28, v23
	v_sub_u32_e32 v23, 29, v23
	v_cmp_gt_u32_e64 s[4:5], 8, v15
	v_lshlrev_b64 v[26:27], v26, v[0:1]
	v_cndmask_b32_e64 v15, v22, v23, s[4:5]
	v_and_b32_e32 v26, 7, v26
	v_lshlrev_b32_e32 v0, 8, v0
	v_lshl_add_u32 v15, v15, 10, v50
	v_cndmask_b32_e64 v6, v6, v26, s[4:5]
	v_and_or_b32 v0, v0, s30, v15
	v_lshl_or_b32 v0, v6, 7, v0
	v_cvt_f32_f16_e32 v6, v0
.LBB282_435:                            ;   in Loop: Header=BB282_338 Depth=1
	s_or_b64 exec, exec, s[28:29]
.LBB282_436:                            ;   in Loop: Header=BB282_338 Depth=1
	s_or_b64 exec, exec, s[12:13]
.LBB282_437:                            ;   in Loop: Header=BB282_338 Depth=1
	s_or_b64 exec, exec, s[10:11]
	v_pk_mul_f32 v[26:27], v[14:15], v[30:31] op_sel_hi:[0,1]
	v_pk_mul_f32 v[24:25], v[14:15], v[24:25] op_sel_hi:[0,1]
	v_cvt_f16_f32_e32 v0, v27
	v_cvt_f16_f32_e32 v15, v26
	;; [unrolled: 1-line block ×4, first 2 shown]
	v_fma_mixlo_f16 v5, v14, v5, 0
	v_lshlrev_b32_e32 v5, 16, v5
	v_fma_mixlo_f16 v4, v14, v4, 0
	v_or_b32_sdwa v4, v5, v4 dst_sel:DWORD dst_unused:UNUSED_PAD src0_sel:DWORD src1_sel:WORD_0
	v_fma_mixlo_f16 v5, v14, v6, 0
	v_pack_b32_f16 v15, v15, v0
	v_pack_b32_f16 v22, v23, v22
	v_fma_mixlo_f16 v7, v14, v7, 0
	v_lshlrev_b32_e32 v5, 16, v5
	v_perm_b32 v0, v22, v15, s34
	v_perm_b32 v15, v22, v15, s35
	v_or_b32_sdwa v5, v5, v7 dst_sel:DWORD dst_unused:UNUSED_PAD src0_sel:DWORD src1_sel:WORD_0
	s_and_saveexec_b64 s[10:11], vcc
	s_cbranch_execz .LBB282_439
; %bb.438:                              ;   in Loop: Header=BB282_338 Depth=1
	v_lshrrev_b32_e32 v6, 16, v15
	v_cmp_lt_i32_e64 s[4:5], v46, v3
	v_accvgpr_read_b32 v22, a8
	v_cndmask_b32_e64 v6, 0, v6, s[4:5]
	v_cmp_lt_i32_e64 s[4:5], v41, v22
	v_cndmask_b32_e64 v14, 0, v15, s[4:5]
	v_perm_b32 v15, v6, v14, s36
	v_lshrrev_b32_e32 v6, 16, v0
	v_cmp_lt_i32_e64 s[4:5], v45, v3
	v_cndmask_b32_e64 v6, 0, v6, s[4:5]
	v_cmp_lt_i32_e64 s[4:5], v44, v22
	v_cndmask_b32_e64 v0, 0, v0, s[4:5]
	v_perm_b32 v0, v6, v0, s36
	v_lshrrev_b32_e32 v6, 16, v4
	v_cmp_lt_i32_e64 s[4:5], v43, v3
	v_cndmask_b32_e64 v6, 0, v6, s[4:5]
	v_cmp_lt_i32_e64 s[4:5], v42, v22
	v_cndmask_b32_e64 v4, 0, v4, s[4:5]
	v_lshrrev_b32_e32 v5, 16, v5
	v_cmp_lt_i32_e64 s[4:5], v40, v3
	v_cndmask_b32_e64 v5, 0, v5, s[4:5]
	v_cmp_lt_i32_e64 s[4:5], v51, v22
	v_perm_b32 v4, v6, v4, s36
	v_cndmask_b32_e64 v6, 0, v7, s[4:5]
	v_perm_b32 v5, v5, v6, s36
.LBB282_439:                            ;   in Loop: Header=BB282_338 Depth=1
	s_or_b64 exec, exec, s[10:11]
	;;#ASMSTART
	v_pk_mul_f16 v6, v58, v15;

	;;#ASMEND
	;;#ASMSTART
	v_pk_mul_f16 v0, v57, v0;

	;;#ASMEND
	;; [unrolled: 4-line block ×4, first 2 shown]
	;;#ASMSTART
	v_pk_add_f16 v0, v6, v0;

	;;#ASMEND
	;;#ASMSTART
	v_pk_add_f16 v0, v0, v4;

	;;#ASMEND
	;; [unrolled: 4-line block ×3, first 2 shown]
	v_lshrrev_b32_e32 v5, 16, v0
	v_accvgpr_read_b32 v7, a5
	v_and_b32_e32 v0, 0xffff, v0
	;;#ASMSTART
	v_cvt_f32_f16 v4, v0;
	;;#ASMEND
	;;#ASMSTART
	v_cvt_f32_f16 v5, v5;
	;;#ASMEND
	flat_load_dwordx2 v[34:35], v[12:13] offset:1024
	v_accvgpr_read_b32 v6, a4
	flat_load_dword v14, v[6:7]
	v_mov_b32_e32 v30, 0
	v_mov_b32_e32 v24, 0
	s_waitcnt vmcnt(0) lgkmcnt(0)
	v_cmp_ne_u16_sdwa s[4:5], v34, v1 src0_sel:BYTE_0 src1_sel:DWORD
	s_and_saveexec_b64 s[10:11], s[4:5]
	s_cbranch_execz .LBB282_445
; %bb.440:                              ;   in Loop: Header=BB282_338 Depth=1
	v_cmp_ne_u16_sdwa s[4:5], v34, s7 src0_sel:BYTE_0 src1_sel:DWORD
	v_bfrev_b32_e32 v24, 1
	s_and_saveexec_b64 s[12:13], s[4:5]
	s_cbranch_execz .LBB282_444
; %bb.441:                              ;   in Loop: Header=BB282_338 Depth=1
	v_and_b32_e32 v0, 0x7f, v34
	v_cmp_ne_u32_e64 s[4:5], s15, v0
	v_mov_b32_e32 v24, 0x7fc02000
	s_and_saveexec_b64 s[28:29], s[4:5]
	s_cbranch_execz .LBB282_443
; %bb.442:                              ;   in Loop: Header=BB282_338 Depth=1
	v_and_b32_e32 v6, 7, v34
	v_ffbh_u32_e32 v6, v6
	v_min_u32_e32 v6, 32, v6
	v_subrev_u32_e32 v7, 28, v6
	v_cmp_gt_u32_e64 s[4:5], 8, v0
	v_lshrrev_b32_e32 v15, 3, v0
	v_sub_u32_e32 v22, 29, v6
	v_cndmask_b32_e64 v0, 0, v7, s[4:5]
	v_lshlrev_b64 v[6:7], v0, v[34:35]
	v_cndmask_b32_e64 v0, v15, v22, s[4:5]
	v_lshlrev_b32_e32 v7, 8, v34
	v_lshl_add_u32 v0, v0, 10, v50
	v_lshlrev_b32_e32 v6, 7, v6
	v_and_or_b32 v0, v7, s30, v0
	v_and_or_b32 v0, v6, s31, v0
	v_cvt_f32_f16_e32 v24, v0
.LBB282_443:                            ;   in Loop: Header=BB282_338 Depth=1
	s_or_b64 exec, exec, s[28:29]
.LBB282_444:                            ;   in Loop: Header=BB282_338 Depth=1
	s_or_b64 exec, exec, s[12:13]
.LBB282_445:                            ;   in Loop: Header=BB282_338 Depth=1
	s_or_b64 exec, exec, s[10:11]
	v_lshrrev_b16_e32 v0, 8, v34
	v_cmp_ne_u16_e64 s[4:5], 0, v0
	s_and_saveexec_b64 s[10:11], s[4:5]
	s_cbranch_execz .LBB282_451
; %bb.446:                              ;   in Loop: Header=BB282_338 Depth=1
	v_cmp_ne_u16_e64 s[4:5], s7, v0
	v_bfrev_b32_e32 v30, 1
	s_and_saveexec_b64 s[12:13], s[4:5]
	s_cbranch_execz .LBB282_450
; %bb.447:                              ;   in Loop: Header=BB282_338 Depth=1
	v_and_b32_e32 v6, 0x7f, v0
	v_cmp_ne_u32_e64 s[4:5], s15, v6
	v_mov_b32_e32 v30, 0x7fc02000
	s_and_saveexec_b64 s[28:29], s[4:5]
	s_cbranch_execz .LBB282_449
; %bb.448:                              ;   in Loop: Header=BB282_338 Depth=1
	v_and_b32_e32 v7, 7, v0
	v_ffbh_u32_e32 v22, v7
	v_min_u32_e32 v22, 32, v22
	v_lshrrev_b32_e32 v15, 3, v6
	v_subrev_u32_e32 v23, 28, v22
	v_sub_u32_e32 v22, 29, v22
	v_cmp_gt_u32_e64 s[4:5], 8, v6
	v_lshlrev_b64 v[26:27], v23, v[0:1]
	v_cndmask_b32_e64 v6, v15, v22, s[4:5]
	v_and_b32_e32 v23, 7, v26
	v_lshlrev_b32_e32 v0, 8, v0
	v_lshl_add_u32 v6, v6, 10, v50
	v_cndmask_b32_e64 v7, v7, v23, s[4:5]
	v_and_or_b32 v0, v0, s30, v6
	v_lshl_or_b32 v0, v7, 7, v0
	v_cvt_f32_f16_e32 v30, v0
.LBB282_449:                            ;   in Loop: Header=BB282_338 Depth=1
	s_or_b64 exec, exec, s[28:29]
.LBB282_450:                            ;   in Loop: Header=BB282_338 Depth=1
	s_or_b64 exec, exec, s[12:13]
.LBB282_451:                            ;   in Loop: Header=BB282_338 Depth=1
	s_or_b64 exec, exec, s[10:11]
	v_lshrrev_b32_e32 v0, 16, v34
	v_cmp_ne_u16_sdwa s[4:5], v0, v1 src0_sel:BYTE_0 src1_sel:DWORD
	v_mov_b32_e32 v31, 0
	v_mov_b32_e32 v25, 0
	s_and_saveexec_b64 s[10:11], s[4:5]
	s_cbranch_execz .LBB282_457
; %bb.452:                              ;   in Loop: Header=BB282_338 Depth=1
	v_cmp_ne_u16_sdwa s[4:5], v0, s7 src0_sel:BYTE_0 src1_sel:DWORD
	v_bfrev_b32_e32 v25, 1
	s_and_saveexec_b64 s[12:13], s[4:5]
	s_cbranch_execz .LBB282_456
; %bb.453:                              ;   in Loop: Header=BB282_338 Depth=1
	v_bfe_u32 v6, v34, 16, 7
	v_cmp_ne_u32_e64 s[4:5], s15, v6
	v_mov_b32_e32 v25, 0x7fc02000
	s_and_saveexec_b64 s[28:29], s[4:5]
	s_cbranch_execz .LBB282_455
; %bb.454:                              ;   in Loop: Header=BB282_338 Depth=1
	v_and_b32_e32 v7, 7, v0
	v_ffbh_u32_e32 v22, v7
	v_min_u32_e32 v22, 32, v22
	v_lshrrev_b32_e32 v15, 3, v6
	v_subrev_u32_e32 v23, 28, v22
	v_sub_u32_e32 v22, 29, v22
	v_cmp_gt_u32_e64 s[4:5], 8, v6
	v_lshlrev_b64 v[26:27], v23, v[0:1]
	v_cndmask_b32_e64 v6, v15, v22, s[4:5]
	v_and_b32_e32 v23, 7, v26
	v_lshlrev_b32_e32 v0, 8, v0
	v_lshl_add_u32 v6, v6, 10, v50
	v_cndmask_b32_e64 v7, v7, v23, s[4:5]
	v_and_or_b32 v0, v0, s30, v6
	v_lshl_or_b32 v0, v7, 7, v0
	v_cvt_f32_f16_e32 v25, v0
.LBB282_455:                            ;   in Loop: Header=BB282_338 Depth=1
	s_or_b64 exec, exec, s[28:29]
.LBB282_456:                            ;   in Loop: Header=BB282_338 Depth=1
	s_or_b64 exec, exec, s[12:13]
.LBB282_457:                            ;   in Loop: Header=BB282_338 Depth=1
	s_or_b64 exec, exec, s[10:11]
	v_cmp_lt_u32_e64 s[4:5], s25, v34
	s_and_saveexec_b64 s[10:11], s[4:5]
	s_cbranch_execz .LBB282_463
; %bb.458:                              ;   in Loop: Header=BB282_338 Depth=1
	v_lshrrev_b32_e32 v0, 24, v34
	v_cmp_ne_u32_e64 s[4:5], s7, v0
	v_bfrev_b32_e32 v31, 1
	s_and_saveexec_b64 s[12:13], s[4:5]
	s_cbranch_execz .LBB282_462
; %bb.459:                              ;   in Loop: Header=BB282_338 Depth=1
	v_and_b32_e32 v6, 0x7f, v0
	v_cmp_ne_u32_e64 s[4:5], s15, v6
	v_mov_b32_e32 v31, 0x7fc02000
	s_and_saveexec_b64 s[28:29], s[4:5]
	s_cbranch_execz .LBB282_461
; %bb.460:                              ;   in Loop: Header=BB282_338 Depth=1
	v_and_b32_e32 v7, 7, v0
	v_ffbh_u32_e32 v22, v7
	v_min_u32_e32 v22, 32, v22
	v_lshrrev_b32_e32 v15, 3, v6
	v_subrev_u32_e32 v23, 28, v22
	v_sub_u32_e32 v22, 29, v22
	v_cmp_gt_u32_e64 s[4:5], 8, v6
	v_lshlrev_b64 v[26:27], v23, v[0:1]
	v_cndmask_b32_e64 v6, v15, v22, s[4:5]
	v_and_b32_e32 v23, 7, v26
	v_lshlrev_b32_e32 v0, 8, v0
	v_lshl_add_u32 v6, v6, 10, v50
	v_cndmask_b32_e64 v7, v7, v23, s[4:5]
	v_and_or_b32 v0, v0, s30, v6
	v_lshl_or_b32 v0, v7, 7, v0
	v_cvt_f32_f16_e32 v31, v0
.LBB282_461:                            ;   in Loop: Header=BB282_338 Depth=1
	s_or_b64 exec, exec, s[28:29]
.LBB282_462:                            ;   in Loop: Header=BB282_338 Depth=1
	s_or_b64 exec, exec, s[12:13]
.LBB282_463:                            ;   in Loop: Header=BB282_338 Depth=1
	s_or_b64 exec, exec, s[10:11]
	v_mov_b32_e32 v0, v35
	v_cmp_ne_u16_sdwa s[4:5], v35, v1 src0_sel:BYTE_0 src1_sel:DWORD
	v_mov_b32_e32 v7, 0
	v_mov_b32_e32 v6, 0
	s_and_saveexec_b64 s[10:11], s[4:5]
	s_cbranch_execz .LBB282_469
; %bb.464:                              ;   in Loop: Header=BB282_338 Depth=1
	v_cmp_ne_u16_sdwa s[4:5], v35, s7 src0_sel:BYTE_0 src1_sel:DWORD
	v_bfrev_b32_e32 v6, 1
	s_and_saveexec_b64 s[12:13], s[4:5]
	s_cbranch_execz .LBB282_468
; %bb.465:                              ;   in Loop: Header=BB282_338 Depth=1
	v_and_b32_e32 v15, 0x7f, v35
	v_cmp_ne_u32_e64 s[4:5], s15, v15
	v_mov_b32_e32 v6, 0x7fc02000
	s_and_saveexec_b64 s[28:29], s[4:5]
	s_cbranch_execz .LBB282_467
; %bb.466:                              ;   in Loop: Header=BB282_338 Depth=1
	v_and_b32_e32 v6, 7, v35
	v_ffbh_u32_e32 v6, v6
	v_min_u32_e32 v6, 32, v6
	v_lshrrev_b32_e32 v22, 3, v15
	v_subrev_u32_e32 v23, 28, v6
	v_sub_u32_e32 v6, 29, v6
	v_cmp_gt_u32_e64 s[4:5], 8, v15
	v_cndmask_b32_e64 v15, 0, v23, s[4:5]
	v_cndmask_b32_e64 v6, v22, v6, s[4:5]
	v_lshlrev_b64 v[26:27], v15, v[0:1]
	v_lshlrev_b32_e32 v22, 8, v35
	v_lshl_add_u32 v6, v6, 10, v50
	v_lshlrev_b32_e32 v15, 7, v26
	v_and_or_b32 v6, v22, s30, v6
	v_and_or_b32 v6, v15, s31, v6
	v_cvt_f32_f16_e32 v6, v6
.LBB282_467:                            ;   in Loop: Header=BB282_338 Depth=1
	s_or_b64 exec, exec, s[28:29]
.LBB282_468:                            ;   in Loop: Header=BB282_338 Depth=1
	s_or_b64 exec, exec, s[12:13]
.LBB282_469:                            ;   in Loop: Header=BB282_338 Depth=1
	s_or_b64 exec, exec, s[10:11]
	v_lshrrev_b16_e32 v0, 8, v0
	v_cmp_ne_u16_e64 s[4:5], 0, v0
	s_and_saveexec_b64 s[10:11], s[4:5]
	s_cbranch_execz .LBB282_475
; %bb.470:                              ;   in Loop: Header=BB282_338 Depth=1
	v_cmp_ne_u16_e64 s[4:5], s7, v0
	v_bfrev_b32_e32 v7, 1
	s_and_saveexec_b64 s[12:13], s[4:5]
	s_cbranch_execz .LBB282_474
; %bb.471:                              ;   in Loop: Header=BB282_338 Depth=1
	v_and_b32_e32 v15, 0x7f, v0
	v_cmp_ne_u32_e64 s[4:5], s15, v15
	v_mov_b32_e32 v7, 0x7fc02000
	s_and_saveexec_b64 s[28:29], s[4:5]
	s_cbranch_execz .LBB282_473
; %bb.472:                              ;   in Loop: Header=BB282_338 Depth=1
	v_and_b32_e32 v7, 7, v0
	v_ffbh_u32_e32 v23, v7
	v_min_u32_e32 v23, 32, v23
	v_lshrrev_b32_e32 v22, 3, v15
	v_subrev_u32_e32 v26, 28, v23
	v_sub_u32_e32 v23, 29, v23
	v_cmp_gt_u32_e64 s[4:5], 8, v15
	v_lshlrev_b64 v[26:27], v26, v[0:1]
	v_cndmask_b32_e64 v15, v22, v23, s[4:5]
	v_and_b32_e32 v26, 7, v26
	v_lshlrev_b32_e32 v0, 8, v0
	v_lshl_add_u32 v15, v15, 10, v50
	v_cndmask_b32_e64 v7, v7, v26, s[4:5]
	v_and_or_b32 v0, v0, s30, v15
	v_lshl_or_b32 v0, v7, 7, v0
	v_cvt_f32_f16_e32 v7, v0
.LBB282_473:                            ;   in Loop: Header=BB282_338 Depth=1
	s_or_b64 exec, exec, s[28:29]
.LBB282_474:                            ;   in Loop: Header=BB282_338 Depth=1
	s_or_b64 exec, exec, s[12:13]
.LBB282_475:                            ;   in Loop: Header=BB282_338 Depth=1
	s_or_b64 exec, exec, s[10:11]
	v_lshrrev_b32_e32 v0, 16, v35
	v_cmp_ne_u16_sdwa s[4:5], v0, v1 src0_sel:BYTE_0 src1_sel:DWORD
	v_mov_b32_e32 v15, 0
	v_mov_b32_e32 v22, 0
	s_and_saveexec_b64 s[10:11], s[4:5]
	s_cbranch_execz .LBB282_481
; %bb.476:                              ;   in Loop: Header=BB282_338 Depth=1
	v_cmp_ne_u16_sdwa s[4:5], v0, s7 src0_sel:BYTE_0 src1_sel:DWORD
	v_bfrev_b32_e32 v22, 1
	s_and_saveexec_b64 s[12:13], s[4:5]
	s_cbranch_execz .LBB282_480
; %bb.477:                              ;   in Loop: Header=BB282_338 Depth=1
	v_bfe_u32 v26, v35, 16, 7
	v_cmp_ne_u32_e64 s[4:5], s15, v26
	v_mov_b32_e32 v22, 0x7fc02000
	s_and_saveexec_b64 s[28:29], s[4:5]
	s_cbranch_execz .LBB282_479
; %bb.478:                              ;   in Loop: Header=BB282_338 Depth=1
	v_and_b32_e32 v22, 7, v0
	v_ffbh_u32_e32 v27, v22
	v_min_u32_e32 v27, 32, v27
	v_lshrrev_b32_e32 v23, 3, v26
	v_subrev_u32_e32 v28, 28, v27
	v_sub_u32_e32 v27, 29, v27
	v_cmp_gt_u32_e64 s[4:5], 8, v26
	v_lshlrev_b64 v[38:39], v28, v[0:1]
	v_cndmask_b32_e64 v23, v23, v27, s[4:5]
	v_and_b32_e32 v28, 7, v38
	v_lshlrev_b32_e32 v0, 8, v0
	v_lshl_add_u32 v23, v23, 10, v50
	v_cndmask_b32_e64 v22, v22, v28, s[4:5]
	v_and_or_b32 v0, v0, s30, v23
	v_lshl_or_b32 v0, v22, 7, v0
	v_cvt_f32_f16_e32 v22, v0
.LBB282_479:                            ;   in Loop: Header=BB282_338 Depth=1
	s_or_b64 exec, exec, s[28:29]
.LBB282_480:                            ;   in Loop: Header=BB282_338 Depth=1
	s_or_b64 exec, exec, s[12:13]
.LBB282_481:                            ;   in Loop: Header=BB282_338 Depth=1
	s_or_b64 exec, exec, s[10:11]
	v_cmp_lt_u64_e64 s[4:5], s[24:25], v[34:35]
	s_and_saveexec_b64 s[10:11], s[4:5]
	s_cbranch_execz .LBB282_487
; %bb.482:                              ;   in Loop: Header=BB282_338 Depth=1
	v_lshrrev_b32_e32 v0, 24, v35
	v_cmp_ne_u32_e64 s[4:5], s7, v0
	v_bfrev_b32_e32 v15, 1
	s_and_saveexec_b64 s[12:13], s[4:5]
	s_cbranch_execz .LBB282_486
; %bb.483:                              ;   in Loop: Header=BB282_338 Depth=1
	v_and_b32_e32 v26, 0x7f, v0
	v_cmp_ne_u32_e64 s[4:5], s15, v26
	v_mov_b32_e32 v15, 0x7fc02000
	s_and_saveexec_b64 s[28:29], s[4:5]
	s_cbranch_execz .LBB282_485
; %bb.484:                              ;   in Loop: Header=BB282_338 Depth=1
	v_and_b32_e32 v15, 7, v0
	v_ffbh_u32_e32 v27, v15
	v_min_u32_e32 v27, 32, v27
	v_lshrrev_b32_e32 v23, 3, v26
	v_subrev_u32_e32 v28, 28, v27
	v_sub_u32_e32 v27, 29, v27
	v_cmp_gt_u32_e64 s[4:5], 8, v26
	v_lshlrev_b64 v[34:35], v28, v[0:1]
	v_cndmask_b32_e64 v23, v23, v27, s[4:5]
	v_and_b32_e32 v28, 7, v34
	v_lshlrev_b32_e32 v0, 8, v0
	v_lshl_add_u32 v23, v23, 10, v50
	v_cndmask_b32_e64 v15, v15, v28, s[4:5]
	v_and_or_b32 v0, v0, s30, v23
	v_lshl_or_b32 v0, v15, 7, v0
	v_cvt_f32_f16_e32 v15, v0
.LBB282_485:                            ;   in Loop: Header=BB282_338 Depth=1
	s_or_b64 exec, exec, s[28:29]
.LBB282_486:                            ;   in Loop: Header=BB282_338 Depth=1
	s_or_b64 exec, exec, s[12:13]
.LBB282_487:                            ;   in Loop: Header=BB282_338 Depth=1
	s_or_b64 exec, exec, s[10:11]
	v_pk_mul_f32 v[26:27], v[14:15], v[30:31] op_sel_hi:[0,1]
	v_pk_mul_f32 v[24:25], v[14:15], v[24:25] op_sel_hi:[0,1]
	v_cvt_f16_f32_e32 v0, v27
	v_cvt_f16_f32_e32 v23, v26
	;; [unrolled: 1-line block ×4, first 2 shown]
	v_fma_mixlo_f16 v7, v14, v7, 0
	v_lshlrev_b32_e32 v7, 16, v7
	v_fma_mixlo_f16 v6, v14, v6, 0
	v_or_b32_sdwa v6, v7, v6 dst_sel:DWORD dst_unused:UNUSED_PAD src0_sel:DWORD src1_sel:WORD_0
	v_fma_mixlo_f16 v7, v14, v15, 0
	v_pack_b32_f16 v23, v23, v0
	v_pack_b32_f16 v24, v24, v25
	v_fma_mixlo_f16 v22, v14, v22, 0
	v_lshlrev_b32_e32 v7, 16, v7
	v_perm_b32 v0, v24, v23, s34
	v_perm_b32 v24, v24, v23, s35
	v_or_b32_sdwa v7, v7, v22 dst_sel:DWORD dst_unused:UNUSED_PAD src0_sel:DWORD src1_sel:WORD_0
	s_and_saveexec_b64 s[10:11], vcc
	s_cbranch_execz .LBB282_489
; %bb.488:                              ;   in Loop: Header=BB282_338 Depth=1
	v_lshrrev_b32_e32 v14, 16, v24
	v_cmp_lt_i32_e64 s[4:5], v46, v3
	v_accvgpr_read_b32 v26, a8
	v_cndmask_b32_e64 v14, 0, v14, s[4:5]
	v_cmp_lt_i32_e64 s[4:5], v41, v26
	v_cndmask_b32_e64 v15, 0, v24, s[4:5]
	v_perm_b32 v24, v14, v15, s36
	v_lshrrev_b32_e32 v14, 16, v0
	v_cmp_lt_i32_e64 s[4:5], v45, v3
	v_cndmask_b32_e64 v14, 0, v14, s[4:5]
	v_cmp_lt_i32_e64 s[4:5], v44, v26
	v_cndmask_b32_e64 v0, 0, v0, s[4:5]
	v_perm_b32 v0, v14, v0, s36
	v_lshrrev_b32_e32 v14, 16, v6
	v_cmp_lt_i32_e64 s[4:5], v43, v3
	v_cndmask_b32_e64 v14, 0, v14, s[4:5]
	v_cmp_lt_i32_e64 s[4:5], v42, v26
	v_cndmask_b32_e64 v6, 0, v6, s[4:5]
	v_lshrrev_b32_e32 v7, 16, v7
	v_cmp_lt_i32_e64 s[4:5], v40, v3
	v_cndmask_b32_e64 v7, 0, v7, s[4:5]
	v_cmp_lt_i32_e64 s[4:5], v51, v26
	v_perm_b32 v6, v14, v6, s36
	v_cndmask_b32_e64 v14, 0, v22, s[4:5]
	v_perm_b32 v7, v7, v14, s36
.LBB282_489:                            ;   in Loop: Header=BB282_338 Depth=1
	s_or_b64 exec, exec, s[10:11]
	;;#ASMSTART
	v_pk_mul_f16 v14, v58, v24;

	;;#ASMEND
	;;#ASMSTART
	v_pk_mul_f16 v0, v57, v0;

	;;#ASMEND
	;; [unrolled: 4-line block ×4, first 2 shown]
	;;#ASMSTART
	v_pk_add_f16 v0, v14, v0;

	;;#ASMEND
	;;#ASMSTART
	v_pk_add_f16 v0, v0, v6;

	;;#ASMEND
	;; [unrolled: 4-line block ×3, first 2 shown]
	v_lshrrev_b32_e32 v6, 16, v0
	v_and_b32_e32 v0, 0xffff, v0
	;;#ASMSTART
	v_cvt_f32_f16 v33, v0;
	;;#ASMEND
	;;#ASMSTART
	v_cvt_f32_f16 v61, v6;
	;;#ASMEND
	v_accvgpr_read_b32 v7, a5
	flat_load_dwordx2 v[34:35], v[12:13] offset:1536
	v_accvgpr_read_b32 v6, a4
	flat_load_dword v14, v[6:7]
	v_mov_b32_e32 v30, 0
	v_mov_b32_e32 v24, 0
	s_waitcnt vmcnt(0) lgkmcnt(0)
	v_cmp_ne_u16_sdwa s[4:5], v34, v1 src0_sel:BYTE_0 src1_sel:DWORD
	s_and_saveexec_b64 s[10:11], s[4:5]
	s_cbranch_execz .LBB282_495
; %bb.490:                              ;   in Loop: Header=BB282_338 Depth=1
	v_cmp_ne_u16_sdwa s[4:5], v34, s7 src0_sel:BYTE_0 src1_sel:DWORD
	v_bfrev_b32_e32 v24, 1
	s_and_saveexec_b64 s[12:13], s[4:5]
	s_cbranch_execz .LBB282_494
; %bb.491:                              ;   in Loop: Header=BB282_338 Depth=1
	v_and_b32_e32 v0, 0x7f, v34
	v_cmp_ne_u32_e64 s[4:5], s15, v0
	v_mov_b32_e32 v24, 0x7fc02000
	s_and_saveexec_b64 s[28:29], s[4:5]
	s_cbranch_execz .LBB282_493
; %bb.492:                              ;   in Loop: Header=BB282_338 Depth=1
	v_and_b32_e32 v6, 7, v34
	v_ffbh_u32_e32 v6, v6
	v_min_u32_e32 v6, 32, v6
	v_subrev_u32_e32 v7, 28, v6
	v_cmp_gt_u32_e64 s[4:5], 8, v0
	v_lshrrev_b32_e32 v15, 3, v0
	v_sub_u32_e32 v22, 29, v6
	v_cndmask_b32_e64 v0, 0, v7, s[4:5]
	v_lshlrev_b64 v[6:7], v0, v[34:35]
	v_cndmask_b32_e64 v0, v15, v22, s[4:5]
	v_lshlrev_b32_e32 v7, 8, v34
	v_lshl_add_u32 v0, v0, 10, v50
	v_lshlrev_b32_e32 v6, 7, v6
	v_and_or_b32 v0, v7, s30, v0
	v_and_or_b32 v0, v6, s31, v0
	v_cvt_f32_f16_e32 v24, v0
.LBB282_493:                            ;   in Loop: Header=BB282_338 Depth=1
	s_or_b64 exec, exec, s[28:29]
.LBB282_494:                            ;   in Loop: Header=BB282_338 Depth=1
	s_or_b64 exec, exec, s[12:13]
.LBB282_495:                            ;   in Loop: Header=BB282_338 Depth=1
	s_or_b64 exec, exec, s[10:11]
	v_lshrrev_b16_e32 v0, 8, v34
	v_cmp_ne_u16_e64 s[4:5], 0, v0
	s_and_saveexec_b64 s[10:11], s[4:5]
	s_cbranch_execz .LBB282_501
; %bb.496:                              ;   in Loop: Header=BB282_338 Depth=1
	v_cmp_ne_u16_e64 s[4:5], s7, v0
	v_bfrev_b32_e32 v30, 1
	s_and_saveexec_b64 s[12:13], s[4:5]
	s_cbranch_execz .LBB282_500
; %bb.497:                              ;   in Loop: Header=BB282_338 Depth=1
	v_and_b32_e32 v6, 0x7f, v0
	v_cmp_ne_u32_e64 s[4:5], s15, v6
	v_mov_b32_e32 v30, 0x7fc02000
	s_and_saveexec_b64 s[28:29], s[4:5]
	s_cbranch_execz .LBB282_499
; %bb.498:                              ;   in Loop: Header=BB282_338 Depth=1
	v_and_b32_e32 v7, 7, v0
	v_ffbh_u32_e32 v22, v7
	v_min_u32_e32 v22, 32, v22
	v_lshrrev_b32_e32 v15, 3, v6
	v_subrev_u32_e32 v23, 28, v22
	v_sub_u32_e32 v22, 29, v22
	v_cmp_gt_u32_e64 s[4:5], 8, v6
	v_lshlrev_b64 v[26:27], v23, v[0:1]
	v_cndmask_b32_e64 v6, v15, v22, s[4:5]
	v_and_b32_e32 v23, 7, v26
	v_lshlrev_b32_e32 v0, 8, v0
	v_lshl_add_u32 v6, v6, 10, v50
	v_cndmask_b32_e64 v7, v7, v23, s[4:5]
	v_and_or_b32 v0, v0, s30, v6
	v_lshl_or_b32 v0, v7, 7, v0
	v_cvt_f32_f16_e32 v30, v0
.LBB282_499:                            ;   in Loop: Header=BB282_338 Depth=1
	s_or_b64 exec, exec, s[28:29]
.LBB282_500:                            ;   in Loop: Header=BB282_338 Depth=1
	s_or_b64 exec, exec, s[12:13]
.LBB282_501:                            ;   in Loop: Header=BB282_338 Depth=1
	s_or_b64 exec, exec, s[10:11]
	v_lshrrev_b32_e32 v0, 16, v34
	v_cmp_ne_u16_sdwa s[4:5], v0, v1 src0_sel:BYTE_0 src1_sel:DWORD
	v_mov_b32_e32 v31, 0
	v_mov_b32_e32 v25, 0
	s_and_saveexec_b64 s[10:11], s[4:5]
	s_cbranch_execz .LBB282_507
; %bb.502:                              ;   in Loop: Header=BB282_338 Depth=1
	v_cmp_ne_u16_sdwa s[4:5], v0, s7 src0_sel:BYTE_0 src1_sel:DWORD
	v_bfrev_b32_e32 v25, 1
	s_and_saveexec_b64 s[12:13], s[4:5]
	s_cbranch_execz .LBB282_506
; %bb.503:                              ;   in Loop: Header=BB282_338 Depth=1
	v_bfe_u32 v6, v34, 16, 7
	v_cmp_ne_u32_e64 s[4:5], s15, v6
	v_mov_b32_e32 v25, 0x7fc02000
	s_and_saveexec_b64 s[28:29], s[4:5]
	s_cbranch_execz .LBB282_505
; %bb.504:                              ;   in Loop: Header=BB282_338 Depth=1
	v_and_b32_e32 v7, 7, v0
	v_ffbh_u32_e32 v22, v7
	v_min_u32_e32 v22, 32, v22
	v_lshrrev_b32_e32 v15, 3, v6
	v_subrev_u32_e32 v23, 28, v22
	v_sub_u32_e32 v22, 29, v22
	v_cmp_gt_u32_e64 s[4:5], 8, v6
	v_lshlrev_b64 v[26:27], v23, v[0:1]
	v_cndmask_b32_e64 v6, v15, v22, s[4:5]
	v_and_b32_e32 v23, 7, v26
	v_lshlrev_b32_e32 v0, 8, v0
	v_lshl_add_u32 v6, v6, 10, v50
	v_cndmask_b32_e64 v7, v7, v23, s[4:5]
	v_and_or_b32 v0, v0, s30, v6
	v_lshl_or_b32 v0, v7, 7, v0
	v_cvt_f32_f16_e32 v25, v0
.LBB282_505:                            ;   in Loop: Header=BB282_338 Depth=1
	s_or_b64 exec, exec, s[28:29]
.LBB282_506:                            ;   in Loop: Header=BB282_338 Depth=1
	s_or_b64 exec, exec, s[12:13]
.LBB282_507:                            ;   in Loop: Header=BB282_338 Depth=1
	s_or_b64 exec, exec, s[10:11]
	v_cmp_lt_u32_e64 s[4:5], s25, v34
	s_and_saveexec_b64 s[10:11], s[4:5]
	s_cbranch_execz .LBB282_513
; %bb.508:                              ;   in Loop: Header=BB282_338 Depth=1
	v_lshrrev_b32_e32 v0, 24, v34
	v_cmp_ne_u32_e64 s[4:5], s7, v0
	v_bfrev_b32_e32 v31, 1
	s_and_saveexec_b64 s[12:13], s[4:5]
	s_cbranch_execz .LBB282_512
; %bb.509:                              ;   in Loop: Header=BB282_338 Depth=1
	v_and_b32_e32 v6, 0x7f, v0
	v_cmp_ne_u32_e64 s[4:5], s15, v6
	v_mov_b32_e32 v31, 0x7fc02000
	s_and_saveexec_b64 s[28:29], s[4:5]
	s_cbranch_execz .LBB282_511
; %bb.510:                              ;   in Loop: Header=BB282_338 Depth=1
	v_and_b32_e32 v7, 7, v0
	v_ffbh_u32_e32 v22, v7
	v_min_u32_e32 v22, 32, v22
	v_lshrrev_b32_e32 v15, 3, v6
	v_subrev_u32_e32 v23, 28, v22
	v_sub_u32_e32 v22, 29, v22
	v_cmp_gt_u32_e64 s[4:5], 8, v6
	v_lshlrev_b64 v[26:27], v23, v[0:1]
	v_cndmask_b32_e64 v6, v15, v22, s[4:5]
	v_and_b32_e32 v23, 7, v26
	v_lshlrev_b32_e32 v0, 8, v0
	v_lshl_add_u32 v6, v6, 10, v50
	v_cndmask_b32_e64 v7, v7, v23, s[4:5]
	v_and_or_b32 v0, v0, s30, v6
	v_lshl_or_b32 v0, v7, 7, v0
	v_cvt_f32_f16_e32 v31, v0
.LBB282_511:                            ;   in Loop: Header=BB282_338 Depth=1
	s_or_b64 exec, exec, s[28:29]
.LBB282_512:                            ;   in Loop: Header=BB282_338 Depth=1
	s_or_b64 exec, exec, s[12:13]
.LBB282_513:                            ;   in Loop: Header=BB282_338 Depth=1
	s_or_b64 exec, exec, s[10:11]
	v_mov_b32_e32 v0, v35
	v_cmp_ne_u16_sdwa s[4:5], v35, v1 src0_sel:BYTE_0 src1_sel:DWORD
	v_mov_b32_e32 v7, 0
	v_mov_b32_e32 v6, 0
	s_and_saveexec_b64 s[10:11], s[4:5]
	s_cbranch_execz .LBB282_519
; %bb.514:                              ;   in Loop: Header=BB282_338 Depth=1
	v_cmp_ne_u16_sdwa s[4:5], v35, s7 src0_sel:BYTE_0 src1_sel:DWORD
	v_bfrev_b32_e32 v6, 1
	s_and_saveexec_b64 s[12:13], s[4:5]
	s_cbranch_execz .LBB282_518
; %bb.515:                              ;   in Loop: Header=BB282_338 Depth=1
	v_and_b32_e32 v15, 0x7f, v35
	v_cmp_ne_u32_e64 s[4:5], s15, v15
	v_mov_b32_e32 v6, 0x7fc02000
	s_and_saveexec_b64 s[28:29], s[4:5]
	s_cbranch_execz .LBB282_517
; %bb.516:                              ;   in Loop: Header=BB282_338 Depth=1
	v_and_b32_e32 v6, 7, v35
	v_ffbh_u32_e32 v6, v6
	v_min_u32_e32 v6, 32, v6
	v_lshrrev_b32_e32 v22, 3, v15
	v_subrev_u32_e32 v23, 28, v6
	v_sub_u32_e32 v6, 29, v6
	v_cmp_gt_u32_e64 s[4:5], 8, v15
	v_cndmask_b32_e64 v15, 0, v23, s[4:5]
	v_cndmask_b32_e64 v6, v22, v6, s[4:5]
	v_lshlrev_b64 v[26:27], v15, v[0:1]
	v_lshlrev_b32_e32 v22, 8, v35
	v_lshl_add_u32 v6, v6, 10, v50
	v_lshlrev_b32_e32 v15, 7, v26
	v_and_or_b32 v6, v22, s30, v6
	v_and_or_b32 v6, v15, s31, v6
	v_cvt_f32_f16_e32 v6, v6
.LBB282_517:                            ;   in Loop: Header=BB282_338 Depth=1
	s_or_b64 exec, exec, s[28:29]
.LBB282_518:                            ;   in Loop: Header=BB282_338 Depth=1
	s_or_b64 exec, exec, s[12:13]
.LBB282_519:                            ;   in Loop: Header=BB282_338 Depth=1
	s_or_b64 exec, exec, s[10:11]
	v_lshrrev_b16_e32 v0, 8, v0
	v_cmp_ne_u16_e64 s[4:5], 0, v0
	s_and_saveexec_b64 s[10:11], s[4:5]
	s_cbranch_execz .LBB282_525
; %bb.520:                              ;   in Loop: Header=BB282_338 Depth=1
	v_cmp_ne_u16_e64 s[4:5], s7, v0
	v_bfrev_b32_e32 v7, 1
	s_and_saveexec_b64 s[12:13], s[4:5]
	s_cbranch_execz .LBB282_524
; %bb.521:                              ;   in Loop: Header=BB282_338 Depth=1
	v_and_b32_e32 v15, 0x7f, v0
	v_cmp_ne_u32_e64 s[4:5], s15, v15
	v_mov_b32_e32 v7, 0x7fc02000
	s_and_saveexec_b64 s[28:29], s[4:5]
	s_cbranch_execz .LBB282_523
; %bb.522:                              ;   in Loop: Header=BB282_338 Depth=1
	v_and_b32_e32 v7, 7, v0
	v_ffbh_u32_e32 v23, v7
	v_min_u32_e32 v23, 32, v23
	v_lshrrev_b32_e32 v22, 3, v15
	v_subrev_u32_e32 v26, 28, v23
	v_sub_u32_e32 v23, 29, v23
	v_cmp_gt_u32_e64 s[4:5], 8, v15
	v_lshlrev_b64 v[26:27], v26, v[0:1]
	v_cndmask_b32_e64 v15, v22, v23, s[4:5]
	v_and_b32_e32 v26, 7, v26
	v_lshlrev_b32_e32 v0, 8, v0
	v_lshl_add_u32 v15, v15, 10, v50
	v_cndmask_b32_e64 v7, v7, v26, s[4:5]
	v_and_or_b32 v0, v0, s30, v15
	v_lshl_or_b32 v0, v7, 7, v0
	v_cvt_f32_f16_e32 v7, v0
.LBB282_523:                            ;   in Loop: Header=BB282_338 Depth=1
	s_or_b64 exec, exec, s[28:29]
.LBB282_524:                            ;   in Loop: Header=BB282_338 Depth=1
	s_or_b64 exec, exec, s[12:13]
.LBB282_525:                            ;   in Loop: Header=BB282_338 Depth=1
	s_or_b64 exec, exec, s[10:11]
	v_lshrrev_b32_e32 v0, 16, v35
	v_cmp_ne_u16_sdwa s[4:5], v0, v1 src0_sel:BYTE_0 src1_sel:DWORD
	v_mov_b32_e32 v15, 0
	v_mov_b32_e32 v22, 0
	s_and_saveexec_b64 s[10:11], s[4:5]
	s_cbranch_execz .LBB282_531
; %bb.526:                              ;   in Loop: Header=BB282_338 Depth=1
	v_cmp_ne_u16_sdwa s[4:5], v0, s7 src0_sel:BYTE_0 src1_sel:DWORD
	v_bfrev_b32_e32 v22, 1
	s_and_saveexec_b64 s[12:13], s[4:5]
	s_cbranch_execz .LBB282_530
; %bb.527:                              ;   in Loop: Header=BB282_338 Depth=1
	v_bfe_u32 v26, v35, 16, 7
	v_cmp_ne_u32_e64 s[4:5], s15, v26
	v_mov_b32_e32 v22, 0x7fc02000
	s_and_saveexec_b64 s[28:29], s[4:5]
	s_cbranch_execz .LBB282_529
; %bb.528:                              ;   in Loop: Header=BB282_338 Depth=1
	v_and_b32_e32 v22, 7, v0
	v_ffbh_u32_e32 v27, v22
	v_min_u32_e32 v27, 32, v27
	v_lshrrev_b32_e32 v23, 3, v26
	v_subrev_u32_e32 v28, 28, v27
	v_sub_u32_e32 v27, 29, v27
	v_cmp_gt_u32_e64 s[4:5], 8, v26
	v_lshlrev_b64 v[38:39], v28, v[0:1]
	v_cndmask_b32_e64 v23, v23, v27, s[4:5]
	v_and_b32_e32 v28, 7, v38
	v_lshlrev_b32_e32 v0, 8, v0
	v_lshl_add_u32 v23, v23, 10, v50
	v_cndmask_b32_e64 v22, v22, v28, s[4:5]
	v_and_or_b32 v0, v0, s30, v23
	v_lshl_or_b32 v0, v22, 7, v0
	v_cvt_f32_f16_e32 v22, v0
.LBB282_529:                            ;   in Loop: Header=BB282_338 Depth=1
	s_or_b64 exec, exec, s[28:29]
.LBB282_530:                            ;   in Loop: Header=BB282_338 Depth=1
	s_or_b64 exec, exec, s[12:13]
.LBB282_531:                            ;   in Loop: Header=BB282_338 Depth=1
	s_or_b64 exec, exec, s[10:11]
	v_cmp_lt_u64_e64 s[4:5], s[24:25], v[34:35]
	s_and_saveexec_b64 s[10:11], s[4:5]
	s_cbranch_execz .LBB282_537
; %bb.532:                              ;   in Loop: Header=BB282_338 Depth=1
	v_lshrrev_b32_e32 v0, 24, v35
	v_cmp_ne_u32_e64 s[4:5], s7, v0
	v_bfrev_b32_e32 v15, 1
	s_and_saveexec_b64 s[12:13], s[4:5]
	s_cbranch_execz .LBB282_536
; %bb.533:                              ;   in Loop: Header=BB282_338 Depth=1
	v_and_b32_e32 v26, 0x7f, v0
	v_cmp_ne_u32_e64 s[4:5], s15, v26
	v_mov_b32_e32 v15, 0x7fc02000
	s_and_saveexec_b64 s[28:29], s[4:5]
	s_cbranch_execz .LBB282_535
; %bb.534:                              ;   in Loop: Header=BB282_338 Depth=1
	v_and_b32_e32 v15, 7, v0
	v_ffbh_u32_e32 v27, v15
	v_min_u32_e32 v27, 32, v27
	v_lshrrev_b32_e32 v23, 3, v26
	v_subrev_u32_e32 v28, 28, v27
	v_sub_u32_e32 v27, 29, v27
	v_cmp_gt_u32_e64 s[4:5], 8, v26
	v_lshlrev_b64 v[34:35], v28, v[0:1]
	v_cndmask_b32_e64 v23, v23, v27, s[4:5]
	v_and_b32_e32 v28, 7, v34
	v_lshlrev_b32_e32 v0, 8, v0
	v_lshl_add_u32 v23, v23, 10, v50
	v_cndmask_b32_e64 v15, v15, v28, s[4:5]
	v_and_or_b32 v0, v0, s30, v23
	v_lshl_or_b32 v0, v15, 7, v0
	v_cvt_f32_f16_e32 v15, v0
.LBB282_535:                            ;   in Loop: Header=BB282_338 Depth=1
	s_or_b64 exec, exec, s[28:29]
.LBB282_536:                            ;   in Loop: Header=BB282_338 Depth=1
	s_or_b64 exec, exec, s[12:13]
.LBB282_537:                            ;   in Loop: Header=BB282_338 Depth=1
	s_or_b64 exec, exec, s[10:11]
	v_pk_mul_f32 v[26:27], v[14:15], v[30:31] op_sel_hi:[0,1]
	v_pk_mul_f32 v[24:25], v[14:15], v[24:25] op_sel_hi:[0,1]
	v_cvt_f16_f32_e32 v0, v27
	v_cvt_f16_f32_e32 v23, v26
	;; [unrolled: 1-line block ×4, first 2 shown]
	v_fma_mixlo_f16 v7, v14, v7, 0
	v_lshlrev_b32_e32 v7, 16, v7
	v_fma_mixlo_f16 v6, v14, v6, 0
	v_or_b32_sdwa v6, v7, v6 dst_sel:DWORD dst_unused:UNUSED_PAD src0_sel:DWORD src1_sel:WORD_0
	v_fma_mixlo_f16 v7, v14, v15, 0
	v_pack_b32_f16 v23, v23, v0
	v_pack_b32_f16 v24, v24, v25
	v_fma_mixlo_f16 v22, v14, v22, 0
	v_lshlrev_b32_e32 v7, 16, v7
	v_perm_b32 v0, v24, v23, s34
	v_perm_b32 v24, v24, v23, s35
	v_or_b32_sdwa v7, v7, v22 dst_sel:DWORD dst_unused:UNUSED_PAD src0_sel:DWORD src1_sel:WORD_0
	s_and_saveexec_b64 s[10:11], vcc
	s_cbranch_execz .LBB282_539
; %bb.538:                              ;   in Loop: Header=BB282_338 Depth=1
	v_lshrrev_b32_e32 v14, 16, v24
	v_cmp_lt_i32_e64 s[4:5], v46, v3
	v_accvgpr_read_b32 v26, a8
	v_cndmask_b32_e64 v14, 0, v14, s[4:5]
	v_cmp_lt_i32_e64 s[4:5], v41, v26
	v_cndmask_b32_e64 v15, 0, v24, s[4:5]
	v_perm_b32 v24, v14, v15, s36
	v_lshrrev_b32_e32 v14, 16, v0
	v_cmp_lt_i32_e64 s[4:5], v45, v3
	v_cndmask_b32_e64 v14, 0, v14, s[4:5]
	v_cmp_lt_i32_e64 s[4:5], v44, v26
	v_cndmask_b32_e64 v0, 0, v0, s[4:5]
	v_perm_b32 v0, v14, v0, s36
	v_lshrrev_b32_e32 v14, 16, v6
	v_cmp_lt_i32_e64 s[4:5], v43, v3
	v_cndmask_b32_e64 v14, 0, v14, s[4:5]
	v_cmp_lt_i32_e64 s[4:5], v42, v26
	v_cndmask_b32_e64 v6, 0, v6, s[4:5]
	v_lshrrev_b32_e32 v7, 16, v7
	v_cmp_lt_i32_e64 s[4:5], v40, v3
	v_cndmask_b32_e64 v7, 0, v7, s[4:5]
	v_cmp_lt_i32_e64 s[4:5], v51, v26
	v_perm_b32 v6, v14, v6, s36
	v_cndmask_b32_e64 v14, 0, v22, s[4:5]
	v_perm_b32 v7, v7, v14, s36
.LBB282_539:                            ;   in Loop: Header=BB282_338 Depth=1
	s_or_b64 exec, exec, s[10:11]
	;;#ASMSTART
	v_pk_mul_f16 v14, v58, v24;

	;;#ASMEND
	;;#ASMSTART
	v_pk_mul_f16 v0, v57, v0;

	;;#ASMEND
	;; [unrolled: 4-line block ×4, first 2 shown]
	;;#ASMSTART
	v_pk_add_f16 v0, v14, v0;

	;;#ASMEND
	;;#ASMSTART
	v_pk_add_f16 v0, v0, v6;

	;;#ASMEND
	;; [unrolled: 4-line block ×3, first 2 shown]
	v_accvgpr_read_b32 v15, a5
	v_lshrrev_b32_e32 v6, 16, v0
	v_and_b32_e32 v0, 0xffff, v0
	;;#ASMSTART
	v_cvt_f32_f16 v7, v0;
	;;#ASMEND
	;;#ASMSTART
	v_cvt_f32_f16 v38, v6;
	;;#ASMEND
	flat_load_dwordx2 v[34:35], v[12:13] offset:2048
	v_accvgpr_read_b32 v14, a4
	flat_load_dword v14, v[14:15]
	v_mov_b32_e32 v30, 0
	v_mov_b32_e32 v24, 0
	s_waitcnt vmcnt(0) lgkmcnt(0)
	v_cmp_ne_u16_sdwa s[4:5], v34, v1 src0_sel:BYTE_0 src1_sel:DWORD
	s_and_saveexec_b64 s[10:11], s[4:5]
	s_cbranch_execz .LBB282_545
; %bb.540:                              ;   in Loop: Header=BB282_338 Depth=1
	v_cmp_ne_u16_sdwa s[4:5], v34, s7 src0_sel:BYTE_0 src1_sel:DWORD
	v_bfrev_b32_e32 v24, 1
	s_and_saveexec_b64 s[12:13], s[4:5]
	s_cbranch_execz .LBB282_544
; %bb.541:                              ;   in Loop: Header=BB282_338 Depth=1
	v_and_b32_e32 v0, 0x7f, v34
	v_cmp_ne_u32_e64 s[4:5], s15, v0
	v_mov_b32_e32 v24, 0x7fc02000
	s_and_saveexec_b64 s[28:29], s[4:5]
	s_cbranch_execz .LBB282_543
; %bb.542:                              ;   in Loop: Header=BB282_338 Depth=1
	v_and_b32_e32 v6, 7, v34
	v_ffbh_u32_e32 v6, v6
	v_min_u32_e32 v6, 32, v6
	v_subrev_u32_e32 v22, 28, v6
	v_cmp_gt_u32_e64 s[4:5], 8, v0
	v_lshrrev_b32_e32 v15, 3, v0
	v_sub_u32_e32 v6, 29, v6
	v_cndmask_b32_e64 v0, 0, v22, s[4:5]
	v_lshlrev_b64 v[24:25], v0, v[34:35]
	v_cndmask_b32_e64 v0, v15, v6, s[4:5]
	v_lshlrev_b32_e32 v15, 8, v34
	v_lshl_add_u32 v0, v0, 10, v50
	v_lshlrev_b32_e32 v6, 7, v24
	v_and_or_b32 v0, v15, s30, v0
	v_and_or_b32 v0, v6, s31, v0
	v_cvt_f32_f16_e32 v24, v0
.LBB282_543:                            ;   in Loop: Header=BB282_338 Depth=1
	s_or_b64 exec, exec, s[28:29]
.LBB282_544:                            ;   in Loop: Header=BB282_338 Depth=1
	s_or_b64 exec, exec, s[12:13]
.LBB282_545:                            ;   in Loop: Header=BB282_338 Depth=1
	s_or_b64 exec, exec, s[10:11]
	v_lshrrev_b16_e32 v0, 8, v34
	v_cmp_ne_u16_e64 s[4:5], 0, v0
	s_and_saveexec_b64 s[10:11], s[4:5]
	s_cbranch_execz .LBB282_551
; %bb.546:                              ;   in Loop: Header=BB282_338 Depth=1
	v_cmp_ne_u16_e64 s[4:5], s7, v0
	v_bfrev_b32_e32 v30, 1
	s_and_saveexec_b64 s[12:13], s[4:5]
	s_cbranch_execz .LBB282_550
; %bb.547:                              ;   in Loop: Header=BB282_338 Depth=1
	v_and_b32_e32 v6, 0x7f, v0
	v_cmp_ne_u32_e64 s[4:5], s15, v6
	v_mov_b32_e32 v30, 0x7fc02000
	s_and_saveexec_b64 s[28:29], s[4:5]
	s_cbranch_execz .LBB282_549
; %bb.548:                              ;   in Loop: Header=BB282_338 Depth=1
	v_and_b32_e32 v15, 7, v0
	v_ffbh_u32_e32 v23, v15
	v_min_u32_e32 v23, 32, v23
	v_lshrrev_b32_e32 v22, 3, v6
	v_subrev_u32_e32 v25, 28, v23
	v_sub_u32_e32 v23, 29, v23
	v_cmp_gt_u32_e64 s[4:5], 8, v6
	v_lshlrev_b64 v[26:27], v25, v[0:1]
	v_cndmask_b32_e64 v6, v22, v23, s[4:5]
	v_and_b32_e32 v25, 7, v26
	v_lshlrev_b32_e32 v0, 8, v0
	v_lshl_add_u32 v6, v6, 10, v50
	v_cndmask_b32_e64 v15, v15, v25, s[4:5]
	v_and_or_b32 v0, v0, s30, v6
	v_lshl_or_b32 v0, v15, 7, v0
	v_cvt_f32_f16_e32 v30, v0
.LBB282_549:                            ;   in Loop: Header=BB282_338 Depth=1
	s_or_b64 exec, exec, s[28:29]
.LBB282_550:                            ;   in Loop: Header=BB282_338 Depth=1
	s_or_b64 exec, exec, s[12:13]
.LBB282_551:                            ;   in Loop: Header=BB282_338 Depth=1
	s_or_b64 exec, exec, s[10:11]
	v_lshrrev_b32_e32 v0, 16, v34
	v_cmp_ne_u16_sdwa s[4:5], v0, v1 src0_sel:BYTE_0 src1_sel:DWORD
	v_mov_b32_e32 v31, 0
	v_mov_b32_e32 v25, 0
	s_and_saveexec_b64 s[10:11], s[4:5]
	s_cbranch_execz .LBB282_557
; %bb.552:                              ;   in Loop: Header=BB282_338 Depth=1
	v_cmp_ne_u16_sdwa s[4:5], v0, s7 src0_sel:BYTE_0 src1_sel:DWORD
	v_bfrev_b32_e32 v25, 1
	s_and_saveexec_b64 s[12:13], s[4:5]
	s_cbranch_execz .LBB282_556
; %bb.553:                              ;   in Loop: Header=BB282_338 Depth=1
	v_bfe_u32 v6, v34, 16, 7
	v_cmp_ne_u32_e64 s[4:5], s15, v6
	v_mov_b32_e32 v25, 0x7fc02000
	s_and_saveexec_b64 s[28:29], s[4:5]
	s_cbranch_execz .LBB282_555
; %bb.554:                              ;   in Loop: Header=BB282_338 Depth=1
	v_and_b32_e32 v15, 7, v0
	v_ffbh_u32_e32 v23, v15
	v_min_u32_e32 v23, 32, v23
	v_lshrrev_b32_e32 v22, 3, v6
	v_subrev_u32_e32 v25, 28, v23
	v_sub_u32_e32 v23, 29, v23
	v_cmp_gt_u32_e64 s[4:5], 8, v6
	v_lshlrev_b64 v[26:27], v25, v[0:1]
	v_cndmask_b32_e64 v6, v22, v23, s[4:5]
	v_and_b32_e32 v25, 7, v26
	v_lshlrev_b32_e32 v0, 8, v0
	v_lshl_add_u32 v6, v6, 10, v50
	v_cndmask_b32_e64 v15, v15, v25, s[4:5]
	v_and_or_b32 v0, v0, s30, v6
	v_lshl_or_b32 v0, v15, 7, v0
	v_cvt_f32_f16_e32 v25, v0
.LBB282_555:                            ;   in Loop: Header=BB282_338 Depth=1
	s_or_b64 exec, exec, s[28:29]
.LBB282_556:                            ;   in Loop: Header=BB282_338 Depth=1
	s_or_b64 exec, exec, s[12:13]
.LBB282_557:                            ;   in Loop: Header=BB282_338 Depth=1
	s_or_b64 exec, exec, s[10:11]
	v_cmp_lt_u32_e64 s[4:5], s25, v34
	s_and_saveexec_b64 s[10:11], s[4:5]
	s_cbranch_execz .LBB282_563
; %bb.558:                              ;   in Loop: Header=BB282_338 Depth=1
	v_lshrrev_b32_e32 v0, 24, v34
	v_cmp_ne_u32_e64 s[4:5], s7, v0
	v_bfrev_b32_e32 v31, 1
	s_and_saveexec_b64 s[12:13], s[4:5]
	s_cbranch_execz .LBB282_562
; %bb.559:                              ;   in Loop: Header=BB282_338 Depth=1
	v_and_b32_e32 v6, 0x7f, v0
	v_cmp_ne_u32_e64 s[4:5], s15, v6
	v_mov_b32_e32 v31, 0x7fc02000
	s_and_saveexec_b64 s[28:29], s[4:5]
	s_cbranch_execz .LBB282_561
; %bb.560:                              ;   in Loop: Header=BB282_338 Depth=1
	v_and_b32_e32 v15, 7, v0
	v_ffbh_u32_e32 v23, v15
	v_min_u32_e32 v23, 32, v23
	v_lshrrev_b32_e32 v22, 3, v6
	v_subrev_u32_e32 v26, 28, v23
	v_sub_u32_e32 v23, 29, v23
	v_cmp_gt_u32_e64 s[4:5], 8, v6
	v_lshlrev_b64 v[26:27], v26, v[0:1]
	v_cndmask_b32_e64 v6, v22, v23, s[4:5]
	v_and_b32_e32 v26, 7, v26
	v_lshlrev_b32_e32 v0, 8, v0
	v_lshl_add_u32 v6, v6, 10, v50
	v_cndmask_b32_e64 v15, v15, v26, s[4:5]
	v_and_or_b32 v0, v0, s30, v6
	v_lshl_or_b32 v0, v15, 7, v0
	v_cvt_f32_f16_e32 v31, v0
.LBB282_561:                            ;   in Loop: Header=BB282_338 Depth=1
	s_or_b64 exec, exec, s[28:29]
.LBB282_562:                            ;   in Loop: Header=BB282_338 Depth=1
	s_or_b64 exec, exec, s[12:13]
.LBB282_563:                            ;   in Loop: Header=BB282_338 Depth=1
	s_or_b64 exec, exec, s[10:11]
	v_mov_b32_e32 v0, v35
	v_cmp_ne_u16_sdwa s[4:5], v35, v1 src0_sel:BYTE_0 src1_sel:DWORD
	v_mov_b32_e32 v15, 0
	v_mov_b32_e32 v6, 0
	s_and_saveexec_b64 s[10:11], s[4:5]
	s_cbranch_execz .LBB282_569
; %bb.564:                              ;   in Loop: Header=BB282_338 Depth=1
	v_cmp_ne_u16_sdwa s[4:5], v35, s7 src0_sel:BYTE_0 src1_sel:DWORD
	v_bfrev_b32_e32 v6, 1
	s_and_saveexec_b64 s[12:13], s[4:5]
	s_cbranch_execz .LBB282_568
; %bb.565:                              ;   in Loop: Header=BB282_338 Depth=1
	v_and_b32_e32 v22, 0x7f, v35
	v_cmp_ne_u32_e64 s[4:5], s15, v22
	v_mov_b32_e32 v6, 0x7fc02000
	s_and_saveexec_b64 s[28:29], s[4:5]
	s_cbranch_execz .LBB282_567
; %bb.566:                              ;   in Loop: Header=BB282_338 Depth=1
	v_and_b32_e32 v6, 7, v35
	v_ffbh_u32_e32 v6, v6
	v_min_u32_e32 v6, 32, v6
	v_lshrrev_b32_e32 v23, 3, v22
	v_subrev_u32_e32 v26, 28, v6
	v_sub_u32_e32 v6, 29, v6
	v_cmp_gt_u32_e64 s[4:5], 8, v22
	v_cndmask_b32_e64 v22, 0, v26, s[4:5]
	v_cndmask_b32_e64 v6, v23, v6, s[4:5]
	v_lshlrev_b64 v[26:27], v22, v[0:1]
	v_lshlrev_b32_e32 v23, 8, v35
	v_lshl_add_u32 v6, v6, 10, v50
	v_lshlrev_b32_e32 v22, 7, v26
	v_and_or_b32 v6, v23, s30, v6
	v_and_or_b32 v6, v22, s31, v6
	v_cvt_f32_f16_e32 v6, v6
.LBB282_567:                            ;   in Loop: Header=BB282_338 Depth=1
	s_or_b64 exec, exec, s[28:29]
.LBB282_568:                            ;   in Loop: Header=BB282_338 Depth=1
	s_or_b64 exec, exec, s[12:13]
.LBB282_569:                            ;   in Loop: Header=BB282_338 Depth=1
	s_or_b64 exec, exec, s[10:11]
	v_lshrrev_b16_e32 v0, 8, v0
	v_cmp_ne_u16_e64 s[4:5], 0, v0
	s_and_saveexec_b64 s[10:11], s[4:5]
	s_cbranch_execz .LBB282_575
; %bb.570:                              ;   in Loop: Header=BB282_338 Depth=1
	v_cmp_ne_u16_e64 s[4:5], s7, v0
	v_bfrev_b32_e32 v15, 1
	s_and_saveexec_b64 s[12:13], s[4:5]
	s_cbranch_execz .LBB282_574
; %bb.571:                              ;   in Loop: Header=BB282_338 Depth=1
	v_and_b32_e32 v22, 0x7f, v0
	v_cmp_ne_u32_e64 s[4:5], s15, v22
	v_mov_b32_e32 v15, 0x7fc02000
	s_and_saveexec_b64 s[28:29], s[4:5]
	s_cbranch_execz .LBB282_573
; %bb.572:                              ;   in Loop: Header=BB282_338 Depth=1
	v_and_b32_e32 v15, 7, v0
	v_ffbh_u32_e32 v26, v15
	v_min_u32_e32 v28, 32, v26
	v_subrev_u32_e32 v26, 28, v28
	v_lshlrev_b64 v[26:27], v26, v[0:1]
	v_lshrrev_b32_e32 v23, 3, v22
	v_sub_u32_e32 v27, 29, v28
	v_cmp_gt_u32_e64 s[4:5], 8, v22
	v_cndmask_b32_e64 v22, v23, v27, s[4:5]
	v_and_b32_e32 v26, 7, v26
	v_lshlrev_b32_e32 v0, 8, v0
	v_lshl_add_u32 v22, v22, 10, v50
	v_cndmask_b32_e64 v15, v15, v26, s[4:5]
	v_and_or_b32 v0, v0, s30, v22
	v_lshl_or_b32 v0, v15, 7, v0
	v_cvt_f32_f16_e32 v15, v0
.LBB282_573:                            ;   in Loop: Header=BB282_338 Depth=1
	s_or_b64 exec, exec, s[28:29]
.LBB282_574:                            ;   in Loop: Header=BB282_338 Depth=1
	s_or_b64 exec, exec, s[12:13]
.LBB282_575:                            ;   in Loop: Header=BB282_338 Depth=1
	s_or_b64 exec, exec, s[10:11]
	v_lshrrev_b32_e32 v0, 16, v35
	v_cmp_ne_u16_sdwa s[4:5], v0, v1 src0_sel:BYTE_0 src1_sel:DWORD
	v_mov_b32_e32 v22, 0
	v_mov_b32_e32 v26, 0
	s_and_saveexec_b64 s[10:11], s[4:5]
	s_cbranch_execz .LBB282_581
; %bb.576:                              ;   in Loop: Header=BB282_338 Depth=1
	v_cmp_ne_u16_sdwa s[4:5], v0, s7 src0_sel:BYTE_0 src1_sel:DWORD
	v_bfrev_b32_e32 v26, 1
	s_and_saveexec_b64 s[12:13], s[4:5]
	s_cbranch_execz .LBB282_580
; %bb.577:                              ;   in Loop: Header=BB282_338 Depth=1
	v_bfe_u32 v27, v35, 16, 7
	v_cmp_ne_u32_e64 s[4:5], s15, v27
	v_mov_b32_e32 v26, 0x7fc02000
	s_and_saveexec_b64 s[28:29], s[4:5]
	s_cbranch_execz .LBB282_579
; %bb.578:                              ;   in Loop: Header=BB282_338 Depth=1
	v_and_b32_e32 v23, 7, v0
	v_ffbh_u32_e32 v28, v23
	v_min_u32_e32 v28, 32, v28
	v_lshrrev_b32_e32 v26, 3, v27
	v_subrev_u32_e32 v32, 28, v28
	v_sub_u32_e32 v28, 29, v28
	v_cmp_gt_u32_e64 s[4:5], 8, v27
	v_lshlrev_b64 v[36:37], v32, v[0:1]
	v_cndmask_b32_e64 v26, v26, v28, s[4:5]
	v_and_b32_e32 v32, 7, v36
	v_lshlrev_b32_e32 v0, 8, v0
	v_lshl_add_u32 v26, v26, 10, v50
	v_cndmask_b32_e64 v23, v23, v32, s[4:5]
	v_and_or_b32 v0, v0, s30, v26
	v_lshl_or_b32 v0, v23, 7, v0
	v_cvt_f32_f16_e32 v26, v0
.LBB282_579:                            ;   in Loop: Header=BB282_338 Depth=1
	s_or_b64 exec, exec, s[28:29]
.LBB282_580:                            ;   in Loop: Header=BB282_338 Depth=1
	s_or_b64 exec, exec, s[12:13]
.LBB282_581:                            ;   in Loop: Header=BB282_338 Depth=1
	s_or_b64 exec, exec, s[10:11]
	v_cmp_lt_u64_e64 s[4:5], s[24:25], v[34:35]
	s_and_saveexec_b64 s[10:11], s[4:5]
	s_cbranch_execz .LBB282_587
; %bb.582:                              ;   in Loop: Header=BB282_338 Depth=1
	v_lshrrev_b32_e32 v0, 24, v35
	v_cmp_ne_u32_e64 s[4:5], s7, v0
	v_bfrev_b32_e32 v22, 1
	s_and_saveexec_b64 s[12:13], s[4:5]
	s_cbranch_execz .LBB282_586
; %bb.583:                              ;   in Loop: Header=BB282_338 Depth=1
	v_and_b32_e32 v27, 0x7f, v0
	v_cmp_ne_u32_e64 s[4:5], s15, v27
	v_mov_b32_e32 v22, 0x7fc02000
	s_and_saveexec_b64 s[28:29], s[4:5]
	s_cbranch_execz .LBB282_585
; %bb.584:                              ;   in Loop: Header=BB282_338 Depth=1
	v_and_b32_e32 v22, 7, v0
	v_ffbh_u32_e32 v28, v22
	v_min_u32_e32 v28, 32, v28
	v_lshrrev_b32_e32 v23, 3, v27
	v_subrev_u32_e32 v32, 28, v28
	v_sub_u32_e32 v28, 29, v28
	v_cmp_gt_u32_e64 s[4:5], 8, v27
	v_lshlrev_b64 v[34:35], v32, v[0:1]
	v_cndmask_b32_e64 v23, v23, v28, s[4:5]
	v_and_b32_e32 v32, 7, v34
	v_lshlrev_b32_e32 v0, 8, v0
	v_lshl_add_u32 v23, v23, 10, v50
	v_cndmask_b32_e64 v22, v22, v32, s[4:5]
	v_and_or_b32 v0, v0, s30, v23
	v_lshl_or_b32 v0, v22, 7, v0
	v_cvt_f32_f16_e32 v22, v0
.LBB282_585:                            ;   in Loop: Header=BB282_338 Depth=1
	s_or_b64 exec, exec, s[28:29]
.LBB282_586:                            ;   in Loop: Header=BB282_338 Depth=1
	s_or_b64 exec, exec, s[12:13]
.LBB282_587:                            ;   in Loop: Header=BB282_338 Depth=1
	s_or_b64 exec, exec, s[10:11]
	v_pk_mul_f32 v[30:31], v[14:15], v[30:31] op_sel_hi:[0,1]
	v_pk_mul_f32 v[24:25], v[14:15], v[24:25] op_sel_hi:[0,1]
	v_cvt_f16_f32_e32 v0, v31
	v_cvt_f16_f32_e32 v23, v30
	;; [unrolled: 1-line block ×4, first 2 shown]
	v_fma_mixlo_f16 v15, v14, v15, 0
	v_lshlrev_b32_e32 v15, 16, v15
	v_fma_mixlo_f16 v6, v14, v6, 0
	v_or_b32_sdwa v6, v15, v6 dst_sel:DWORD dst_unused:UNUSED_PAD src0_sel:DWORD src1_sel:WORD_0
	v_fma_mixlo_f16 v15, v14, v26, 0
	v_fma_mixlo_f16 v14, v14, v22, 0
	v_pack_b32_f16 v23, v23, v0
	v_pack_b32_f16 v24, v24, v25
	v_lshlrev_b32_e32 v14, 16, v14
	v_perm_b32 v0, v24, v23, s34
	v_perm_b32 v24, v24, v23, s35
	v_or_b32_sdwa v14, v14, v15 dst_sel:DWORD dst_unused:UNUSED_PAD src0_sel:DWORD src1_sel:WORD_0
	s_and_saveexec_b64 s[10:11], vcc
	s_cbranch_execz .LBB282_589
; %bb.588:                              ;   in Loop: Header=BB282_338 Depth=1
	v_lshrrev_b32_e32 v22, 16, v24
	v_cmp_lt_i32_e64 s[4:5], v46, v3
	v_accvgpr_read_b32 v26, a8
	v_cndmask_b32_e64 v22, 0, v22, s[4:5]
	v_cmp_lt_i32_e64 s[4:5], v41, v26
	v_cndmask_b32_e64 v23, 0, v24, s[4:5]
	v_perm_b32 v24, v22, v23, s36
	v_lshrrev_b32_e32 v22, 16, v0
	v_cmp_lt_i32_e64 s[4:5], v45, v3
	v_cndmask_b32_e64 v22, 0, v22, s[4:5]
	v_cmp_lt_i32_e64 s[4:5], v44, v26
	v_cndmask_b32_e64 v0, 0, v0, s[4:5]
	v_perm_b32 v0, v22, v0, s36
	v_lshrrev_b32_e32 v22, 16, v6
	v_cmp_lt_i32_e64 s[4:5], v43, v3
	v_cndmask_b32_e64 v22, 0, v22, s[4:5]
	v_cmp_lt_i32_e64 s[4:5], v42, v26
	v_cndmask_b32_e64 v6, 0, v6, s[4:5]
	v_lshrrev_b32_e32 v14, 16, v14
	v_cmp_lt_i32_e64 s[4:5], v40, v3
	v_cndmask_b32_e64 v14, 0, v14, s[4:5]
	v_cmp_lt_i32_e64 s[4:5], v51, v26
	v_cndmask_b32_e64 v15, 0, v15, s[4:5]
	v_perm_b32 v6, v22, v6, s36
	v_perm_b32 v14, v14, v15, s36
.LBB282_589:                            ;   in Loop: Header=BB282_338 Depth=1
	s_or_b64 exec, exec, s[10:11]
	;;#ASMSTART
	v_pk_mul_f16 v15, v58, v24;

	;;#ASMEND
	;;#ASMSTART
	v_pk_mul_f16 v0, v57, v0;

	;;#ASMEND
	;; [unrolled: 4-line block ×4, first 2 shown]
	;;#ASMSTART
	v_pk_add_f16 v0, v15, v0;

	;;#ASMEND
	;;#ASMSTART
	v_pk_add_f16 v0, v0, v6;

	;;#ASMEND
	;; [unrolled: 4-line block ×3, first 2 shown]
	v_lshrrev_b32_e32 v14, 16, v0
	v_and_b32_e32 v0, 0xffff, v0
	;;#ASMSTART
	v_cvt_f32_f16 v6, v0;
	;;#ASMEND
	;;#ASMSTART
	v_cvt_f32_f16 v22, v14;
	;;#ASMEND
	flat_load_dwordx2 v[30:31], v[12:13] offset:2560
	v_accvgpr_read_b32 v13, a5
	v_accvgpr_read_b32 v12, a4
	flat_load_dword v12, v[12:13]
	v_mov_b32_e32 v24, 0
	v_mov_b32_e32 v14, 0
	s_waitcnt vmcnt(0) lgkmcnt(0)
	v_cmp_ne_u16_sdwa s[4:5], v30, v1 src0_sel:BYTE_0 src1_sel:DWORD
	s_and_saveexec_b64 s[10:11], s[4:5]
	s_cbranch_execz .LBB282_595
; %bb.590:                              ;   in Loop: Header=BB282_338 Depth=1
	v_cmp_ne_u16_sdwa s[4:5], v30, s7 src0_sel:BYTE_0 src1_sel:DWORD
	v_bfrev_b32_e32 v14, 1
	s_and_saveexec_b64 s[12:13], s[4:5]
	s_cbranch_execz .LBB282_594
; %bb.591:                              ;   in Loop: Header=BB282_338 Depth=1
	v_and_b32_e32 v0, 0x7f, v30
	v_cmp_ne_u32_e64 s[4:5], s15, v0
	v_mov_b32_e32 v14, 0x7fc02000
	s_and_saveexec_b64 s[28:29], s[4:5]
	s_cbranch_execz .LBB282_593
; %bb.592:                              ;   in Loop: Header=BB282_338 Depth=1
	v_and_b32_e32 v13, 7, v30
	v_ffbh_u32_e32 v13, v13
	v_min_u32_e32 v13, 32, v13
	v_subrev_u32_e32 v14, 28, v13
	v_cmp_gt_u32_e64 s[4:5], 8, v0
	v_lshrrev_b32_e32 v23, 3, v0
	v_sub_u32_e32 v13, 29, v13
	v_cndmask_b32_e64 v0, 0, v14, s[4:5]
	v_lshlrev_b64 v[14:15], v0, v[30:31]
	v_cndmask_b32_e64 v0, v23, v13, s[4:5]
	v_lshlrev_b32_e32 v13, 7, v14
	v_lshlrev_b32_e32 v14, 8, v30
	v_lshl_add_u32 v0, v0, 10, v50
	v_and_or_b32 v0, v14, s30, v0
	v_and_or_b32 v0, v13, s31, v0
	v_cvt_f32_f16_e32 v14, v0
.LBB282_593:                            ;   in Loop: Header=BB282_338 Depth=1
	s_or_b64 exec, exec, s[28:29]
.LBB282_594:                            ;   in Loop: Header=BB282_338 Depth=1
	s_or_b64 exec, exec, s[12:13]
.LBB282_595:                            ;   in Loop: Header=BB282_338 Depth=1
	s_or_b64 exec, exec, s[10:11]
	v_lshrrev_b16_e32 v0, 8, v30
	v_cmp_ne_u16_e64 s[4:5], 0, v0
	s_and_saveexec_b64 s[10:11], s[4:5]
	s_cbranch_execz .LBB282_601
; %bb.596:                              ;   in Loop: Header=BB282_338 Depth=1
	v_cmp_ne_u16_e64 s[4:5], s7, v0
	v_bfrev_b32_e32 v24, 1
	s_and_saveexec_b64 s[12:13], s[4:5]
	s_cbranch_execz .LBB282_600
; %bb.597:                              ;   in Loop: Header=BB282_338 Depth=1
	v_and_b32_e32 v13, 0x7f, v0
	v_cmp_ne_u32_e64 s[4:5], s15, v13
	v_mov_b32_e32 v24, 0x7fc02000
	s_and_saveexec_b64 s[28:29], s[4:5]
	s_cbranch_execz .LBB282_599
; %bb.598:                              ;   in Loop: Header=BB282_338 Depth=1
	v_and_b32_e32 v15, 7, v0
	v_ffbh_u32_e32 v24, v15
	v_min_u32_e32 v26, 32, v24
	v_subrev_u32_e32 v24, 28, v26
	v_lshlrev_b64 v[24:25], v24, v[0:1]
	v_lshrrev_b32_e32 v23, 3, v13
	v_sub_u32_e32 v25, 29, v26
	v_cmp_gt_u32_e64 s[4:5], 8, v13
	v_cndmask_b32_e64 v13, v23, v25, s[4:5]
	v_and_b32_e32 v24, 7, v24
	v_lshlrev_b32_e32 v0, 8, v0
	v_lshl_add_u32 v13, v13, 10, v50
	v_cndmask_b32_e64 v15, v15, v24, s[4:5]
	v_and_or_b32 v0, v0, s30, v13
	v_lshl_or_b32 v0, v15, 7, v0
	v_cvt_f32_f16_e32 v24, v0
.LBB282_599:                            ;   in Loop: Header=BB282_338 Depth=1
	s_or_b64 exec, exec, s[28:29]
.LBB282_600:                            ;   in Loop: Header=BB282_338 Depth=1
	s_or_b64 exec, exec, s[12:13]
.LBB282_601:                            ;   in Loop: Header=BB282_338 Depth=1
	s_or_b64 exec, exec, s[10:11]
	v_lshrrev_b32_e32 v0, 16, v30
	v_cmp_ne_u16_sdwa s[4:5], v0, v1 src0_sel:BYTE_0 src1_sel:DWORD
	v_mov_b32_e32 v25, 0
	v_mov_b32_e32 v15, 0
	s_and_saveexec_b64 s[10:11], s[4:5]
	s_cbranch_execz .LBB282_607
; %bb.602:                              ;   in Loop: Header=BB282_338 Depth=1
	v_cmp_ne_u16_sdwa s[4:5], v0, s7 src0_sel:BYTE_0 src1_sel:DWORD
	v_bfrev_b32_e32 v15, 1
	s_and_saveexec_b64 s[12:13], s[4:5]
	s_cbranch_execz .LBB282_606
; %bb.603:                              ;   in Loop: Header=BB282_338 Depth=1
	v_bfe_u32 v13, v30, 16, 7
	v_cmp_ne_u32_e64 s[4:5], s15, v13
	v_mov_b32_e32 v15, 0x7fc02000
	s_and_saveexec_b64 s[28:29], s[4:5]
	s_cbranch_execz .LBB282_605
; %bb.604:                              ;   in Loop: Header=BB282_338 Depth=1
	v_and_b32_e32 v15, 7, v0
	v_ffbh_u32_e32 v26, v15
	v_min_u32_e32 v28, 32, v26
	v_subrev_u32_e32 v26, 28, v28
	v_lshlrev_b64 v[26:27], v26, v[0:1]
	v_lshrrev_b32_e32 v23, 3, v13
	v_sub_u32_e32 v27, 29, v28
	v_cmp_gt_u32_e64 s[4:5], 8, v13
	v_cndmask_b32_e64 v13, v23, v27, s[4:5]
	v_and_b32_e32 v26, 7, v26
	v_lshlrev_b32_e32 v0, 8, v0
	v_lshl_add_u32 v13, v13, 10, v50
	v_cndmask_b32_e64 v15, v15, v26, s[4:5]
	v_and_or_b32 v0, v0, s30, v13
	v_lshl_or_b32 v0, v15, 7, v0
	v_cvt_f32_f16_e32 v15, v0
.LBB282_605:                            ;   in Loop: Header=BB282_338 Depth=1
	s_or_b64 exec, exec, s[28:29]
.LBB282_606:                            ;   in Loop: Header=BB282_338 Depth=1
	s_or_b64 exec, exec, s[12:13]
.LBB282_607:                            ;   in Loop: Header=BB282_338 Depth=1
	s_or_b64 exec, exec, s[10:11]
	v_cmp_lt_u32_e64 s[4:5], s25, v30
	s_and_saveexec_b64 s[10:11], s[4:5]
	s_cbranch_execz .LBB282_613
; %bb.608:                              ;   in Loop: Header=BB282_338 Depth=1
	v_lshrrev_b32_e32 v0, 24, v30
	v_cmp_ne_u32_e64 s[4:5], s7, v0
	v_bfrev_b32_e32 v25, 1
	s_and_saveexec_b64 s[12:13], s[4:5]
	s_cbranch_execz .LBB282_612
; %bb.609:                              ;   in Loop: Header=BB282_338 Depth=1
	v_and_b32_e32 v13, 0x7f, v0
	v_cmp_ne_u32_e64 s[4:5], s15, v13
	v_mov_b32_e32 v25, 0x7fc02000
	s_and_saveexec_b64 s[28:29], s[4:5]
	s_cbranch_execz .LBB282_611
; %bb.610:                              ;   in Loop: Header=BB282_338 Depth=1
	v_and_b32_e32 v23, 7, v0
	v_ffbh_u32_e32 v26, v23
	v_min_u32_e32 v28, 32, v26
	v_subrev_u32_e32 v26, 28, v28
	v_lshlrev_b64 v[26:27], v26, v[0:1]
	v_lshrrev_b32_e32 v25, 3, v13
	v_sub_u32_e32 v27, 29, v28
	v_cmp_gt_u32_e64 s[4:5], 8, v13
	v_cndmask_b32_e64 v13, v25, v27, s[4:5]
	v_and_b32_e32 v26, 7, v26
	v_lshlrev_b32_e32 v0, 8, v0
	v_lshl_add_u32 v13, v13, 10, v50
	v_cndmask_b32_e64 v23, v23, v26, s[4:5]
	v_and_or_b32 v0, v0, s30, v13
	v_lshl_or_b32 v0, v23, 7, v0
	v_cvt_f32_f16_e32 v25, v0
.LBB282_611:                            ;   in Loop: Header=BB282_338 Depth=1
	s_or_b64 exec, exec, s[28:29]
.LBB282_612:                            ;   in Loop: Header=BB282_338 Depth=1
	s_or_b64 exec, exec, s[12:13]
.LBB282_613:                            ;   in Loop: Header=BB282_338 Depth=1
	s_or_b64 exec, exec, s[10:11]
	v_mov_b32_e32 v0, v31
	v_cmp_ne_u16_sdwa s[4:5], v31, v1 src0_sel:BYTE_0 src1_sel:DWORD
	v_mov_b32_e32 v26, 0
	v_mov_b32_e32 v13, 0
	s_and_saveexec_b64 s[10:11], s[4:5]
	s_cbranch_execz .LBB282_619
; %bb.614:                              ;   in Loop: Header=BB282_338 Depth=1
	v_cmp_ne_u16_sdwa s[4:5], v31, s7 src0_sel:BYTE_0 src1_sel:DWORD
	v_bfrev_b32_e32 v13, 1
	s_and_saveexec_b64 s[12:13], s[4:5]
	s_cbranch_execz .LBB282_618
; %bb.615:                              ;   in Loop: Header=BB282_338 Depth=1
	v_and_b32_e32 v27, 0x7f, v31
	v_cmp_ne_u32_e64 s[4:5], s15, v27
	v_mov_b32_e32 v13, 0x7fc02000
	s_and_saveexec_b64 s[28:29], s[4:5]
	s_cbranch_execz .LBB282_617
; %bb.616:                              ;   in Loop: Header=BB282_338 Depth=1
	v_and_b32_e32 v13, 7, v31
	v_ffbh_u32_e32 v13, v13
	v_min_u32_e32 v13, 32, v13
	v_lshrrev_b32_e32 v23, 3, v27
	v_subrev_u32_e32 v28, 28, v13
	v_sub_u32_e32 v13, 29, v13
	v_cmp_gt_u32_e64 s[4:5], 8, v27
	v_cndmask_b32_e64 v27, 0, v28, s[4:5]
	v_cndmask_b32_e64 v13, v23, v13, s[4:5]
	v_lshlrev_b64 v[34:35], v27, v[0:1]
	v_lshlrev_b32_e32 v27, 8, v31
	v_lshl_add_u32 v13, v13, 10, v50
	v_lshlrev_b32_e32 v23, 7, v34
	v_and_or_b32 v13, v27, s30, v13
	v_and_or_b32 v13, v23, s31, v13
	v_cvt_f32_f16_e32 v13, v13
.LBB282_617:                            ;   in Loop: Header=BB282_338 Depth=1
	s_or_b64 exec, exec, s[28:29]
.LBB282_618:                            ;   in Loop: Header=BB282_338 Depth=1
	s_or_b64 exec, exec, s[12:13]
.LBB282_619:                            ;   in Loop: Header=BB282_338 Depth=1
	s_or_b64 exec, exec, s[10:11]
	v_lshrrev_b16_e32 v0, 8, v0
	v_cmp_ne_u16_e64 s[4:5], 0, v0
	s_and_saveexec_b64 s[10:11], s[4:5]
	s_cbranch_execz .LBB282_625
; %bb.620:                              ;   in Loop: Header=BB282_338 Depth=1
	v_cmp_ne_u16_e64 s[4:5], s7, v0
	v_bfrev_b32_e32 v26, 1
	s_and_saveexec_b64 s[12:13], s[4:5]
	s_cbranch_execz .LBB282_624
; %bb.621:                              ;   in Loop: Header=BB282_338 Depth=1
	v_and_b32_e32 v27, 0x7f, v0
	v_cmp_ne_u32_e64 s[4:5], s15, v27
	v_mov_b32_e32 v26, 0x7fc02000
	s_and_saveexec_b64 s[28:29], s[4:5]
	s_cbranch_execz .LBB282_623
; %bb.622:                              ;   in Loop: Header=BB282_338 Depth=1
	v_and_b32_e32 v23, 7, v0
	v_ffbh_u32_e32 v28, v23
	v_min_u32_e32 v28, 32, v28
	v_lshrrev_b32_e32 v26, 3, v27
	v_subrev_u32_e32 v32, 28, v28
	v_sub_u32_e32 v28, 29, v28
	v_cmp_gt_u32_e64 s[4:5], 8, v27
	v_lshlrev_b64 v[34:35], v32, v[0:1]
	v_cndmask_b32_e64 v26, v26, v28, s[4:5]
	v_and_b32_e32 v32, 7, v34
	v_lshlrev_b32_e32 v0, 8, v0
	v_lshl_add_u32 v26, v26, 10, v50
	v_cndmask_b32_e64 v23, v23, v32, s[4:5]
	v_and_or_b32 v0, v0, s30, v26
	v_lshl_or_b32 v0, v23, 7, v0
	v_cvt_f32_f16_e32 v26, v0
.LBB282_623:                            ;   in Loop: Header=BB282_338 Depth=1
	s_or_b64 exec, exec, s[28:29]
.LBB282_624:                            ;   in Loop: Header=BB282_338 Depth=1
	s_or_b64 exec, exec, s[12:13]
.LBB282_625:                            ;   in Loop: Header=BB282_338 Depth=1
	s_or_b64 exec, exec, s[10:11]
	v_lshrrev_b32_e32 v0, 16, v31
	v_cmp_ne_u16_sdwa s[4:5], v0, v1 src0_sel:BYTE_0 src1_sel:DWORD
	v_mov_b32_e32 v27, 0
	v_mov_b32_e32 v34, 0
	s_and_saveexec_b64 s[10:11], s[4:5]
	s_cbranch_execz .LBB282_631
; %bb.626:                              ;   in Loop: Header=BB282_338 Depth=1
	v_cmp_ne_u16_sdwa s[4:5], v0, s7 src0_sel:BYTE_0 src1_sel:DWORD
	v_bfrev_b32_e32 v34, 1
	s_and_saveexec_b64 s[12:13], s[4:5]
	s_cbranch_execz .LBB282_630
; %bb.627:                              ;   in Loop: Header=BB282_338 Depth=1
	v_bfe_u32 v35, v31, 16, 7
	v_cmp_ne_u32_e64 s[4:5], s15, v35
	v_mov_b32_e32 v34, 0x7fc02000
	s_and_saveexec_b64 s[28:29], s[4:5]
	s_cbranch_execz .LBB282_629
; %bb.628:                              ;   in Loop: Header=BB282_338 Depth=1
	v_and_b32_e32 v23, 7, v0
	v_ffbh_u32_e32 v32, v23
	v_min_u32_e32 v32, 32, v32
	v_lshrrev_b32_e32 v28, 3, v35
	v_subrev_u32_e32 v34, 28, v32
	v_sub_u32_e32 v32, 29, v32
	v_cmp_gt_u32_e64 s[4:5], 8, v35
	v_lshlrev_b64 v[36:37], v34, v[0:1]
	v_cndmask_b32_e64 v28, v28, v32, s[4:5]
	v_and_b32_e32 v34, 7, v36
	v_lshlrev_b32_e32 v0, 8, v0
	v_lshl_add_u32 v28, v28, 10, v50
	v_cndmask_b32_e64 v23, v23, v34, s[4:5]
	v_and_or_b32 v0, v0, s30, v28
	v_lshl_or_b32 v0, v23, 7, v0
	v_cvt_f32_f16_e32 v34, v0
.LBB282_629:                            ;   in Loop: Header=BB282_338 Depth=1
	s_or_b64 exec, exec, s[28:29]
.LBB282_630:                            ;   in Loop: Header=BB282_338 Depth=1
	s_or_b64 exec, exec, s[12:13]
.LBB282_631:                            ;   in Loop: Header=BB282_338 Depth=1
	s_or_b64 exec, exec, s[10:11]
	v_cmp_lt_u64_e64 s[4:5], s[24:25], v[30:31]
	s_and_saveexec_b64 s[10:11], s[4:5]
	s_cbranch_execz .LBB282_637
; %bb.632:                              ;   in Loop: Header=BB282_338 Depth=1
	v_lshrrev_b32_e32 v0, 24, v31
	v_cmp_ne_u32_e64 s[4:5], s7, v0
	v_bfrev_b32_e32 v27, 1
	s_and_saveexec_b64 s[12:13], s[4:5]
	s_cbranch_execz .LBB282_636
; %bb.633:                              ;   in Loop: Header=BB282_338 Depth=1
	v_and_b32_e32 v30, 0x7f, v0
	v_cmp_ne_u32_e64 s[4:5], s15, v30
	v_mov_b32_e32 v27, 0x7fc02000
	s_and_saveexec_b64 s[28:29], s[4:5]
	s_cbranch_execz .LBB282_635
; %bb.634:                              ;   in Loop: Header=BB282_338 Depth=1
	v_and_b32_e32 v23, 7, v0
	v_ffbh_u32_e32 v28, v23
	v_min_u32_e32 v28, 32, v28
	v_lshrrev_b32_e32 v27, 3, v30
	v_subrev_u32_e32 v31, 28, v28
	v_sub_u32_e32 v28, 29, v28
	v_cmp_gt_u32_e64 s[4:5], 8, v30
	v_lshlrev_b64 v[36:37], v31, v[0:1]
	v_cndmask_b32_e64 v27, v27, v28, s[4:5]
	v_and_b32_e32 v31, 7, v36
	v_lshlrev_b32_e32 v0, 8, v0
	v_lshl_add_u32 v27, v27, 10, v50
	v_cndmask_b32_e64 v23, v23, v31, s[4:5]
	v_and_or_b32 v0, v0, s30, v27
	v_lshl_or_b32 v0, v23, 7, v0
	v_cvt_f32_f16_e32 v27, v0
.LBB282_635:                            ;   in Loop: Header=BB282_338 Depth=1
	s_or_b64 exec, exec, s[28:29]
.LBB282_636:                            ;   in Loop: Header=BB282_338 Depth=1
	s_or_b64 exec, exec, s[12:13]
.LBB282_637:                            ;   in Loop: Header=BB282_338 Depth=1
	s_or_b64 exec, exec, s[10:11]
	v_pk_mul_f32 v[14:15], v[12:13], v[14:15] op_sel_hi:[0,1]
	v_cvt_f16_f32_e32 v15, v15
	v_cvt_f16_f32_e32 v14, v14
	v_pk_mul_f32 v[24:25], v[12:13], v[24:25] op_sel_hi:[0,1]
	v_cvt_f16_f32_e32 v0, v25
	v_cvt_f16_f32_e32 v23, v24
	v_pack_b32_f16 v14, v14, v15
	v_fma_mixlo_f16 v15, v12, v26, 0
	v_lshlrev_b32_e32 v15, 16, v15
	v_fma_mixlo_f16 v13, v12, v13, 0
	v_or_b32_sdwa v13, v15, v13 dst_sel:DWORD dst_unused:UNUSED_PAD src0_sel:DWORD src1_sel:WORD_0
	v_fma_mixlo_f16 v15, v12, v34, 0
	v_fma_mixlo_f16 v12, v12, v27, 0
	v_pack_b32_f16 v23, v23, v0
	v_lshlrev_b32_e32 v12, 16, v12
	v_perm_b32 v0, v14, v23, s34
	v_perm_b32 v14, v14, v23, s35
	v_or_b32_sdwa v12, v12, v15 dst_sel:DWORD dst_unused:UNUSED_PAD src0_sel:DWORD src1_sel:WORD_0
	s_and_saveexec_b64 s[4:5], vcc
	s_cbranch_execz .LBB282_336
; %bb.638:                              ;   in Loop: Header=BB282_338 Depth=1
	v_lshrrev_b32_e32 v23, 16, v14
	v_cmp_lt_i32_e32 vcc, v46, v3
	v_accvgpr_read_b32 v24, a8
	v_cndmask_b32_e32 v23, 0, v23, vcc
	v_cmp_lt_i32_e32 vcc, v41, v24
	v_cndmask_b32_e32 v14, 0, v14, vcc
	v_perm_b32 v14, v23, v14, s36
	v_lshrrev_b32_e32 v23, 16, v0
	v_cmp_lt_i32_e32 vcc, v45, v3
	v_cndmask_b32_e32 v23, 0, v23, vcc
	v_cmp_lt_i32_e32 vcc, v44, v24
	v_cndmask_b32_e32 v0, 0, v0, vcc
	v_perm_b32 v0, v23, v0, s36
	v_lshrrev_b32_e32 v23, 16, v13
	v_cmp_lt_i32_e32 vcc, v43, v3
	v_cndmask_b32_e32 v23, 0, v23, vcc
	v_cmp_lt_i32_e32 vcc, v42, v24
	v_cndmask_b32_e32 v13, 0, v13, vcc
	v_lshrrev_b32_e32 v12, 16, v12
	v_cmp_lt_i32_e32 vcc, v40, v3
	v_cndmask_b32_e32 v12, 0, v12, vcc
	v_cmp_lt_i32_e32 vcc, v51, v24
	v_cndmask_b32_e32 v15, 0, v15, vcc
	v_perm_b32 v13, v23, v13, s36
	v_perm_b32 v12, v12, v15, s36
	s_branch .LBB282_336
.LBB282_639:
	s_or_b64 exec, exec, s[26:27]
.LBB282_640:
	s_or_b64 exec, exec, s[22:23]
	ds_bpermute_b32 v0, v53, v16
	ds_bpermute_b32 v1, v53, v17
	;; [unrolled: 1-line block ×6, first 2 shown]
	v_accvgpr_read_b32 v9, a2
	s_waitcnt lgkmcnt(0)
	v_pk_add_f32 v[6:7], v[16:17], v[0:1]
	v_pk_add_f32 v[0:1], v[20:21], v[4:5]
	v_and_b32_e32 v4, 0x3c1, v9
	v_pk_add_f32 v[2:3], v[18:19], v[2:3]
	v_cmp_eq_u32_e32 vcc, 64, v4
	s_barrier
	s_and_saveexec_b64 s[4:5], vcc
	s_cbranch_execz .LBB282_642
; %bb.641:
	s_load_dword s7, s[20:21], 0x0
	s_waitcnt lgkmcnt(0)
	v_lshl_add_u32 v5, v62, 1, s7
	ds_write2_b32 v5, v6, v7 offset1:32
	ds_write2_b32 v5, v2, v3 offset0:64 offset1:96
	ds_write2_b32 v5, v0, v1 offset0:128 offset1:160
.LBB282_642:
	s_or_b64 exec, exec, s[4:5]
	v_cmp_gt_u32_e32 vcc, 64, v9
	s_waitcnt lgkmcnt(0)
	s_barrier
	s_and_saveexec_b64 s[4:5], vcc
	s_cbranch_execz .LBB282_651
; %bb.643:
	v_cmp_eq_u32_e32 vcc, 0, v54
	v_lshrrev_b32_e32 v5, 1, v9
	s_and_saveexec_b64 s[8:9], vcc
	s_cbranch_execnz .LBB282_654
; %bb.644:
	s_or_b64 exec, exec, s[8:9]
	s_and_saveexec_b64 s[8:9], vcc
	s_cbranch_execnz .LBB282_655
.LBB282_645:
	s_or_b64 exec, exec, s[8:9]
	s_and_saveexec_b64 s[8:9], vcc
	s_cbranch_execnz .LBB282_656
.LBB282_646:
	s_or_b64 exec, exec, s[8:9]
	s_and_saveexec_b64 s[8:9], vcc
	s_cbranch_execnz .LBB282_657
.LBB282_647:
	s_or_b64 exec, exec, s[8:9]
	s_and_saveexec_b64 s[8:9], vcc
	s_cbranch_execnz .LBB282_658
.LBB282_648:
	s_or_b64 exec, exec, s[8:9]
	s_and_saveexec_b64 s[8:9], vcc
	s_cbranch_execz .LBB282_650
.LBB282_649:
	s_load_dword s7, s[20:21], 0x0
	s_waitcnt lgkmcnt(0)
	v_lshl_add_u32 v5, v5, 2, s7
	ds_read_b32 v5, v5 offset:640
	s_waitcnt lgkmcnt(0)
	v_add_f32_e32 v1, v1, v5
.LBB282_650:
	s_or_b64 exec, exec, s[8:9]
.LBB282_651:
	s_or_b64 exec, exec, s[4:5]
	v_cmp_eq_u32_e32 vcc, 0, v4
	s_barrier
	s_and_b64 exec, exec, vcc
	s_cbranch_execz .LBB282_653
; %bb.652:
	s_mul_i32 s4, s6, 0xc0
	s_mul_i32 s6, s18, s19
	;; [unrolled: 1-line block ×3, first 2 shown]
	s_ashr_i32 s5, s4, 31
	s_ashr_i32 s7, s6, 31
	;; [unrolled: 1-line block ×3, first 2 shown]
	s_lshl_b64 s[4:5], s[4:5], 1
	s_lshl_b64 s[6:7], s[6:7], 1
	s_lshl_b64 s[8:9], s[8:9], 1
	s_add_u32 s6, s8, s6
	s_addc_u32 s7, s9, s7
	s_add_u32 s4, s6, s4
	s_addc_u32 s5, s7, s5
	v_accvgpr_read_b32 v5, a1
	v_mov_b32_e32 v4, s5
	v_add_co_u32_e32 v5, vcc, s4, v5
	v_accvgpr_read_b32 v8, a0
	v_addc_co_u32_e32 v8, vcc, v4, v8, vcc
	v_add_co_u32_e32 v4, vcc, v5, v9
	v_addc_co_u32_e32 v5, vcc, 0, v8, vcc
	;;#ASMSTART
	v_cvt_f16_f32 v6, v6;

	;;#ASMEND
	flat_store_short v[4:5], v6
	;;#ASMSTART
	v_cvt_f16_f32 v6, v7;

	;;#ASMEND
	flat_store_short v[4:5], v6 offset:64
	;;#ASMSTART
	v_cvt_f16_f32 v2, v2;

	;;#ASMEND
	flat_store_short v[4:5], v2 offset:128
	;; [unrolled: 5-line block ×5, first 2 shown]
.LBB282_653:
	s_or_b64 exec, exec, s[16:17]
	buffer_load_dword a55, off, s[0:3], s32 offset:8 ; 4-byte Folded Reload
	buffer_load_dword a54, off, s[0:3], s32 offset:12 ; 4-byte Folded Reload
	;; [unrolled: 1-line block ×39, first 2 shown]
	v_readlane_b32 s30, v63, 8
	v_readlane_b32 s31, v63, 9
	;; [unrolled: 1-line block ×10, first 2 shown]
	s_or_saveexec_b64 s[4:5], -1
	buffer_load_dword v63, off, s[0:3], s32 offset:172 ; 4-byte Folded Reload
	s_mov_b64 exec, s[4:5]
	s_waitcnt vmcnt(0) lgkmcnt(0)
	s_setpc_b64 s[30:31]
.LBB282_654:
	s_load_dword s7, s[20:21], 0x0
	s_waitcnt lgkmcnt(0)
	v_lshl_add_u32 v8, v5, 2, s7
	ds_read_b32 v8, v8
	s_waitcnt lgkmcnt(0)
	v_add_f32_e32 v6, v6, v8
	s_or_b64 exec, exec, s[8:9]
	s_and_saveexec_b64 s[8:9], vcc
	s_cbranch_execz .LBB282_645
.LBB282_655:
	s_load_dword s7, s[20:21], 0x0
	s_waitcnt lgkmcnt(0)
	v_lshl_add_u32 v8, v5, 2, s7
	ds_read_b32 v8, v8 offset:128
	s_waitcnt lgkmcnt(0)
	v_add_f32_e32 v7, v7, v8
	s_or_b64 exec, exec, s[8:9]
	s_and_saveexec_b64 s[8:9], vcc
	s_cbranch_execz .LBB282_646
.LBB282_656:
	s_load_dword s7, s[20:21], 0x0
	s_waitcnt lgkmcnt(0)
	v_lshl_add_u32 v8, v5, 2, s7
	ds_read_b32 v8, v8 offset:256
	s_waitcnt lgkmcnt(0)
	v_add_f32_e32 v2, v2, v8
	s_or_b64 exec, exec, s[8:9]
	s_and_saveexec_b64 s[8:9], vcc
	s_cbranch_execz .LBB282_647
.LBB282_657:
	s_load_dword s7, s[20:21], 0x0
	s_waitcnt lgkmcnt(0)
	v_lshl_add_u32 v8, v5, 2, s7
	ds_read_b32 v8, v8 offset:384
	s_waitcnt lgkmcnt(0)
	v_add_f32_e32 v3, v3, v8
	s_or_b64 exec, exec, s[8:9]
	s_and_saveexec_b64 s[8:9], vcc
	s_cbranch_execz .LBB282_648
.LBB282_658:
	s_load_dword s7, s[20:21], 0x0
	s_waitcnt lgkmcnt(0)
	v_lshl_add_u32 v8, v5, 2, s7
	ds_read_b32 v8, v8 offset:512
	s_waitcnt lgkmcnt(0)
	v_add_f32_e32 v0, v0, v8
	s_or_b64 exec, exec, s[8:9]
	s_and_saveexec_b64 s[8:9], vcc
	s_cbranch_execnz .LBB282_649
	s_branch .LBB282_650
.Lfunc_end282:
	.size	_ZN4vllm22paged_attention_kernelIthLi192ELi16ELi128ELNS_18Fp8KVCacheDataTypeE1ELb1ELi512EEEvPfS2_PT_PKS3_PKT0_S9_ifPKiSB_iPKfiiiSD_SD_iiiii, .Lfunc_end282-_ZN4vllm22paged_attention_kernelIthLi192ELi16ELi128ELNS_18Fp8KVCacheDataTypeE1ELb1ELi512EEEvPfS2_PT_PKS3_PKT0_S9_ifPKiSB_iPKfiiiSD_SD_iiiii
                                        ; -- End function
	.section	.AMDGPU.csdata,"",@progbits
; Function info:
; codeLenInByte = 29800
; NumSgprs: 46
; NumVgprs: 64
; NumAgprs: 56
; TotalNumVgprs: 120
; ScratchSize: 180
; MemoryBound: 0
	.section	.text._ZN4vllm25paged_attention_v2_kernelIthLi192ELi16ELi128ELNS_18Fp8KVCacheDataTypeE1ELb1ELi512EEEvPfS2_PT_PKS3_PKT0_S9_ifPKiSB_iPKfiiiSD_SD_iiiii,"axG",@progbits,_ZN4vllm25paged_attention_v2_kernelIthLi192ELi16ELi128ELNS_18Fp8KVCacheDataTypeE1ELb1ELi512EEEvPfS2_PT_PKS3_PKT0_S9_ifPKiSB_iPKfiiiSD_SD_iiiii,comdat
	.protected	_ZN4vllm25paged_attention_v2_kernelIthLi192ELi16ELi128ELNS_18Fp8KVCacheDataTypeE1ELb1ELi512EEEvPfS2_PT_PKS3_PKT0_S9_ifPKiSB_iPKfiiiSD_SD_iiiii ; -- Begin function _ZN4vllm25paged_attention_v2_kernelIthLi192ELi16ELi128ELNS_18Fp8KVCacheDataTypeE1ELb1ELi512EEEvPfS2_PT_PKS3_PKT0_S9_ifPKiSB_iPKfiiiSD_SD_iiiii
	.globl	_ZN4vllm25paged_attention_v2_kernelIthLi192ELi16ELi128ELNS_18Fp8KVCacheDataTypeE1ELb1ELi512EEEvPfS2_PT_PKS3_PKT0_S9_ifPKiSB_iPKfiiiSD_SD_iiiii
	.p2align	8
	.type	_ZN4vllm25paged_attention_v2_kernelIthLi192ELi16ELi128ELNS_18Fp8KVCacheDataTypeE1ELb1ELi512EEEvPfS2_PT_PKS3_PKT0_S9_ifPKiSB_iPKfiiiSD_SD_iiiii,@function
_ZN4vllm25paged_attention_v2_kernelIthLi192ELi16ELi128ELNS_18Fp8KVCacheDataTypeE1ELb1ELi512EEEvPfS2_PT_PKS3_PKT0_S9_ifPKiSB_iPKfiiiSD_SD_iiiii: ; @_ZN4vllm25paged_attention_v2_kernelIthLi192ELi16ELi128ELNS_18Fp8KVCacheDataTypeE1ELb1ELi512EEEvPfS2_PT_PKS3_PKT0_S9_ifPKiSB_iPKfiiiSD_SD_iiiii
; %bb.0:
	s_add_u32 flat_scratch_lo, s6, s11
	s_addc_u32 flat_scratch_hi, s7, 0
	s_add_u32 s0, s0, s11
	s_mov_b32 s12, s8
	s_load_dwordx8 s[24:31], s[4:5], 0x0
	s_load_dwordx8 s[16:23], s[4:5], 0x20
	s_load_dwordx2 s[6:7], s[4:5], 0x40
	s_load_dwordx4 s[44:47], s[4:5], 0x78
	s_load_dwordx2 s[34:35], s[4:5], 0x50
	s_load_dword s11, s[4:5], 0x48
	s_load_dword s8, s[4:5], 0x88
	s_load_dwordx8 s[36:43], s[4:5], 0x58
	s_mov_b32 s32, 0
	s_addc_u32 s1, s1, 0
	s_waitcnt lgkmcnt(0)
	v_mov_b32_e32 v1, s47
	buffer_store_dword v1, off, s[0:3], s32
	v_mov_b32_e32 v1, s8
	s_add_u32 s8, s4, 0x90
	s_mov_b32 s13, s9
	buffer_store_dword v1, off, s[0:3], s32 offset:4
	s_addc_u32 s9, s5, 0
	s_mov_b32 s14, s10
	s_mov_b32 s15, 47
	v_mov_b32_e32 v31, v0
	v_mov_b32_e32 v0, s24
	;; [unrolled: 1-line block ×32, first 2 shown]
	s_getpc_b64 s[4:5]
	s_add_u32 s4, s4, _ZN4vllm22paged_attention_kernelIthLi192ELi16ELi128ELNS_18Fp8KVCacheDataTypeE1ELb1ELi512EEEvPfS2_PT_PKS3_PKT0_S9_ifPKiSB_iPKfiiiSD_SD_iiiii@rel32@lo+4
	s_addc_u32 s5, s5, _ZN4vllm22paged_attention_kernelIthLi192ELi16ELi128ELNS_18Fp8KVCacheDataTypeE1ELb1ELi512EEEvPfS2_PT_PKS3_PKT0_S9_ifPKiSB_iPKfiiiSD_SD_iiiii@rel32@hi+12
	s_swappc_b64 s[30:31], s[4:5]
	s_endpgm
	.section	.rodata,"a",@progbits
	.p2align	6, 0x0
	.amdhsa_kernel _ZN4vllm25paged_attention_v2_kernelIthLi192ELi16ELi128ELNS_18Fp8KVCacheDataTypeE1ELb1ELi512EEEvPfS2_PT_PKS3_PKT0_S9_ifPKiSB_iPKfiiiSD_SD_iiiii
		.amdhsa_group_segment_fixed_size 400
		.amdhsa_private_segment_fixed_size 180
		.amdhsa_kernarg_size 400
		.amdhsa_user_sgpr_count 8
		.amdhsa_user_sgpr_private_segment_buffer 1
		.amdhsa_user_sgpr_dispatch_ptr 0
		.amdhsa_user_sgpr_queue_ptr 0
		.amdhsa_user_sgpr_kernarg_segment_ptr 1
		.amdhsa_user_sgpr_dispatch_id 0
		.amdhsa_user_sgpr_flat_scratch_init 1
		.amdhsa_user_sgpr_kernarg_preload_length 0
		.amdhsa_user_sgpr_kernarg_preload_offset 0
		.amdhsa_user_sgpr_private_segment_size 0
		.amdhsa_uses_dynamic_stack 0
		.amdhsa_system_sgpr_private_segment_wavefront_offset 1
		.amdhsa_system_sgpr_workgroup_id_x 1
		.amdhsa_system_sgpr_workgroup_id_y 1
		.amdhsa_system_sgpr_workgroup_id_z 1
		.amdhsa_system_sgpr_workgroup_info 0
		.amdhsa_system_vgpr_workitem_id 0
		.amdhsa_next_free_vgpr 120
		.amdhsa_next_free_sgpr 48
		.amdhsa_accum_offset 64
		.amdhsa_reserve_vcc 1
		.amdhsa_reserve_flat_scratch 1
		.amdhsa_float_round_mode_32 0
		.amdhsa_float_round_mode_16_64 0
		.amdhsa_float_denorm_mode_32 3
		.amdhsa_float_denorm_mode_16_64 3
		.amdhsa_dx10_clamp 1
		.amdhsa_ieee_mode 1
		.amdhsa_fp16_overflow 0
		.amdhsa_tg_split 0
		.amdhsa_exception_fp_ieee_invalid_op 0
		.amdhsa_exception_fp_denorm_src 0
		.amdhsa_exception_fp_ieee_div_zero 0
		.amdhsa_exception_fp_ieee_overflow 0
		.amdhsa_exception_fp_ieee_underflow 0
		.amdhsa_exception_fp_ieee_inexact 0
		.amdhsa_exception_int_div_zero 0
	.end_amdhsa_kernel
	.section	.text._ZN4vllm25paged_attention_v2_kernelIthLi192ELi16ELi128ELNS_18Fp8KVCacheDataTypeE1ELb1ELi512EEEvPfS2_PT_PKS3_PKT0_S9_ifPKiSB_iPKfiiiSD_SD_iiiii,"axG",@progbits,_ZN4vllm25paged_attention_v2_kernelIthLi192ELi16ELi128ELNS_18Fp8KVCacheDataTypeE1ELb1ELi512EEEvPfS2_PT_PKS3_PKT0_S9_ifPKiSB_iPKfiiiSD_SD_iiiii,comdat
.Lfunc_end283:
	.size	_ZN4vllm25paged_attention_v2_kernelIthLi192ELi16ELi128ELNS_18Fp8KVCacheDataTypeE1ELb1ELi512EEEvPfS2_PT_PKS3_PKT0_S9_ifPKiSB_iPKfiiiSD_SD_iiiii, .Lfunc_end283-_ZN4vllm25paged_attention_v2_kernelIthLi192ELi16ELi128ELNS_18Fp8KVCacheDataTypeE1ELb1ELi512EEEvPfS2_PT_PKS3_PKT0_S9_ifPKiSB_iPKfiiiSD_SD_iiiii
                                        ; -- End function
	.section	.AMDGPU.csdata,"",@progbits
; Kernel info:
; codeLenInByte = 296
; NumSgprs: 54
; NumVgprs: 64
; NumAgprs: 56
; TotalNumVgprs: 120
; ScratchSize: 180
; MemoryBound: 0
; FloatMode: 240
; IeeeMode: 1
; LDSByteSize: 400 bytes/workgroup (compile time only)
; SGPRBlocks: 6
; VGPRBlocks: 14
; NumSGPRsForWavesPerEU: 54
; NumVGPRsForWavesPerEU: 120
; AccumOffset: 64
; Occupancy: 4
; WaveLimiterHint : 1
; COMPUTE_PGM_RSRC2:SCRATCH_EN: 1
; COMPUTE_PGM_RSRC2:USER_SGPR: 8
; COMPUTE_PGM_RSRC2:TRAP_HANDLER: 0
; COMPUTE_PGM_RSRC2:TGID_X_EN: 1
; COMPUTE_PGM_RSRC2:TGID_Y_EN: 1
; COMPUTE_PGM_RSRC2:TGID_Z_EN: 1
; COMPUTE_PGM_RSRC2:TIDIG_COMP_CNT: 0
; COMPUTE_PGM_RSRC3_GFX90A:ACCUM_OFFSET: 15
; COMPUTE_PGM_RSRC3_GFX90A:TG_SPLIT: 0
	.text
	.p2align	2                               ; -- Begin function _ZN4vllm22paged_attention_kernelIthLi256ELi16ELi128ELNS_18Fp8KVCacheDataTypeE1ELb1ELi512EEEvPfS2_PT_PKS3_PKT0_S9_ifPKiSB_iPKfiiiSD_SD_iiiii
	.type	_ZN4vllm22paged_attention_kernelIthLi256ELi16ELi128ELNS_18Fp8KVCacheDataTypeE1ELb1ELi512EEEvPfS2_PT_PKS3_PKT0_S9_ifPKiSB_iPKfiiiSD_SD_iiiii,@function
_ZN4vllm22paged_attention_kernelIthLi256ELi16ELi128ELNS_18Fp8KVCacheDataTypeE1ELb1ELi512EEEvPfS2_PT_PKS3_PKT0_S9_ifPKiSB_iPKfiiiSD_SD_iiiii: ; @_ZN4vllm22paged_attention_kernelIthLi256ELi16ELi128ELNS_18Fp8KVCacheDataTypeE1ELb1ELi512EEEvPfS2_PT_PKS3_PKT0_S9_ifPKiSB_iPKfiiiSD_SD_iiiii
; %bb.0:
	s_waitcnt vmcnt(0) expcnt(0) lgkmcnt(0)
	s_or_saveexec_b64 s[4:5], -1
	buffer_store_dword v63, off, s[0:3], s32 offset:200 ; 4-byte Folded Spill
	s_mov_b64 exec, s[4:5]
	buffer_store_dword v40, off, s[0:3], s32 offset:156 ; 4-byte Folded Spill
	buffer_store_dword v41, off, s[0:3], s32 offset:152 ; 4-byte Folded Spill
	;; [unrolled: 1-line block ×38, first 2 shown]
	v_writelane_b32 v63, s34, 0
	v_writelane_b32 v63, s35, 1
	v_writelane_b32 v63, s36, 2
	v_writelane_b32 v63, s37, 3
	v_writelane_b32 v63, s38, 4
	v_writelane_b32 v63, s39, 5
	v_writelane_b32 v63, s40, 6
	v_writelane_b32 v63, s41, 7
	v_writelane_b32 v63, s30, 8
	v_writelane_b32 v63, s31, 9
	s_mov_b32 s18, s13
	s_ashr_i32 s19, s13, 31
	v_accvgpr_write_b32 a33, v25
	s_lshl_b64 s[4:5], s[18:19], 2
	v_accvgpr_write_b32 a32, v24
	v_mov_b32_e32 v24, v1
	v_mov_b32_e32 v25, v0
	;; [unrolled: 1-line block ×3, first 2 shown]
	v_add_co_u32_e32 v0, vcc, s4, v16
	v_accvgpr_write_b32 a4, v26
	v_addc_co_u32_e32 v1, vcc, v17, v1, vcc
	v_accvgpr_write_b32 a5, v27
	v_mov_b32_e32 v27, v2
	flat_load_dword v2, v[0:1]
	s_nop 0
	buffer_load_dword v0, off, s[0:3], s32 offset:4
	buffer_load_dword v1, off, s[0:3], s32
	s_lshl_b32 s19, s14, 9
	v_accvgpr_write_b32 a6, v22
	v_mov_b32_e32 v33, v20
	v_mov_b32_e32 v32, v19
	v_accvgpr_write_b32 a34, v13
	v_mov_b32_e32 v19, v11
	v_mov_b32_e32 v22, v10
	;; [unrolled: 1-line block ×3, first 2 shown]
	s_waitcnt vmcnt(0) lgkmcnt(0)
	v_accvgpr_write_b32 a8, v2
	v_cmp_lt_i32_e32 vcc, s19, v2
	s_and_saveexec_b64 s[24:25], vcc
	s_cbranch_execz .LBB284_851
; %bb.1:
	v_sub_u32_e32 v2, 0, v12
	v_max_i32_e32 v2, v12, v2
	v_cvt_f32_u32_e32 v3, v2
	s_load_dword s4, s[8:9], 0x10
	s_load_dword s6, s[8:9], 0x0
	v_accvgpr_write_b32 a0, v5
	v_sub_u32_e32 v5, 0, v2
	v_rcp_iflag_f32_e32 v3, v3
	s_waitcnt lgkmcnt(0)
	s_lshr_b32 s4, s4, 16
	s_cmp_lg_u32 s4, 0
	s_cselect_b64 s[4:5], -1, 0
	v_mul_f32_e32 v3, 0x4f7ffffe, v3
	v_cvt_u32_f32_e32 v3, v3
	s_cmp_lg_u64 s[4:5], 0
	s_mov_b32 s16, s15
	s_addc_u32 s15, s6, 0
	v_mul_lo_u32 v5, v5, v3
	v_mul_hi_u32 v5, v3, v5
	s_abs_i32 s4, s15
	v_add_u32_e32 v3, v3, v5
	v_mul_hi_u32 v3, s4, v3
	v_mul_lo_u32 v5, v3, v2
	v_sub_u32_e32 v5, s4, v5
	v_add_u32_e32 v10, 1, v3
	v_cmp_ge_u32_e32 vcc, v5, v2
	v_cndmask_b32_e32 v3, v3, v10, vcc
	v_sub_u32_e32 v10, v5, v2
	v_cndmask_b32_e32 v5, v5, v10, vcc
	v_accvgpr_write_b32 a1, v4
	v_xor_b32_e32 v4, s15, v12
	v_add_u32_e32 v10, 1, v3
	v_cmp_ge_u32_e32 vcc, v5, v2
	v_ashrrev_i32_e32 v4, 31, v4
	v_cndmask_b32_e32 v2, v3, v10, vcc
	v_xor_b32_e32 v2, v2, v4
	v_sub_u32_e32 v2, v2, v4
	v_sub_u32_e32 v3, 0, v2
	v_max_i32_e32 v3, v2, v3
	v_cvt_f32_u32_e32 v4, v3
	v_sub_u32_e32 v5, 0, v3
	s_abs_i32 s6, s12
	v_cmp_ne_u64_e32 vcc, 0, v[32:33]
	v_rcp_iflag_f32_e32 v4, v4
	v_mul_f32_e32 v4, 0x4f7ffffe, v4
	v_cvt_u32_f32_e32 v4, v4
	v_mul_lo_u32 v5, v5, v4
	v_mul_hi_u32 v5, v4, v5
	v_add_u32_e32 v4, v4, v5
	v_mad_u64_u32 v[34:35], s[4:5], s6, v4, 0
	v_mov_b32_e32 v4, 0
	buffer_store_dword v4, off, s[0:3], s32 offset:196 ; 4-byte Folded Spill
	s_and_saveexec_b64 s[4:5], vcc
	s_cbranch_execz .LBB284_3
; %bb.2:
	s_ashr_i32 s13, s12, 31
	s_lshl_b64 s[10:11], s[12:13], 2
	v_mov_b32_e32 v5, s11
	v_add_co_u32_e32 v4, vcc, s10, v32
	v_addc_co_u32_e32 v5, vcc, v33, v5, vcc
	flat_load_dword v4, v[4:5]
	s_waitcnt vmcnt(0) lgkmcnt(0)
	buffer_store_dword v4, off, s[0:3], s32 offset:196 ; 4-byte Folded Spill
.LBB284_3:
	s_or_b64 exec, exec, s[4:5]
	v_and_b32_e32 v5, 0x3ff, v31
	s_movk_i32 s4, 0x80
	s_ashr_i32 s7, s12, 31
	v_ashrrev_i32_e32 v4, 31, v2
	v_and_b32_e32 v2, 3, v5
	s_lshl_b32 s26, s12, 8
	v_accvgpr_write_b32 a2, v5
	v_cmp_gt_u32_e32 vcc, s4, v5
	s_and_saveexec_b64 s[4:5], vcc
	s_cbranch_execz .LBB284_5
; %bb.4:
	v_mul_lo_u32 v10, s18, v21
	v_ashrrev_i32_e32 v11, 31, v10
	v_lshlrev_b64 v[10:11], 1, v[10:11]
	v_add_co_u32_e32 v5, vcc, v6, v10
	s_ashr_i32 s27, s26, 31
	v_addc_co_u32_e32 v6, vcc, v7, v11, vcc
	s_lshl_b64 s[10:11], s[26:27], 1
	v_mov_b32_e32 v7, s11
	v_add_co_u32_e32 v5, vcc, s10, v5
	v_accvgpr_read_b32 v10, a2
	v_addc_co_u32_e32 v7, vcc, v6, v7, vcc
	v_lshlrev_b32_e32 v6, 2, v10
	v_add_co_u32_e32 v6, vcc, v5, v6
	v_addc_co_u32_e32 v7, vcc, 0, v7, vcc
	flat_load_dword v5, v[6:7]
	v_and_b32_e32 v6, 0x3fc, v10
	v_lshl_add_u32 v6, v2, 7, v6
	s_waitcnt vmcnt(0) lgkmcnt(0)
	ds_write_b32 v6, v5
.LBB284_5:
	s_or_b64 exec, exec, s[4:5]
	v_mul_lo_u32 v5, v35, v3
	v_sub_u32_e32 v5, s6, v5
	v_add_u32_e32 v6, 1, v35
	v_cmp_ge_u32_e32 vcc, v5, v3
	v_sub_u32_e32 v7, v5, v3
	v_cndmask_b32_e32 v6, v35, v6, vcc
	v_cndmask_b32_e32 v5, v5, v7, vcc
	v_add_u32_e32 v7, 1, v6
	v_cmp_ge_u32_e32 vcc, v5, v3
	v_sub_u32_e32 v5, 0, v1
	v_cndmask_b32_e32 v3, v6, v7, vcc
	v_max_i32_e32 v6, v1, v5
	v_cvt_f32_u32_e32 v5, v6
	v_xor_b32_e32 v4, s7, v4
	v_xor_b32_e32 v3, v3, v4
	v_sub_u32_e32 v20, v3, v4
	v_rcp_iflag_f32_e32 v3, v5
	v_accvgpr_read_b32 v4, a8
	v_accvgpr_write_b32 a3, v6
	v_sub_u32_e32 v6, 0, v6
	v_mul_f32_e32 v3, 0x4f7ffffe, v3
	v_cvt_u32_f32_e32 v5, v3
	v_add_u32_e32 v4, -1, v4
	v_sub_u32_e32 v3, 0, v4
	v_max_i32_e32 v3, v4, v3
	v_mul_lo_u32 v6, v6, v5
	v_mul_hi_u32 v6, v5, v6
	v_add_u32_e32 v5, v5, v6
	v_accvgpr_write_b32 a7, v5
	v_mad_u64_u32 v[32:33], s[4:5], v3, v5, 0
	v_cmp_gt_i32_e32 vcc, 0, v0
	s_waitcnt lgkmcnt(0)
	s_barrier
	s_waitcnt lgkmcnt(0)
                                        ; implicit-def: $agpr10
	s_and_saveexec_b64 s[4:5], vcc
	s_xor_b64 s[4:5], exec, s[4:5]
; %bb.6:
	v_mad_u64_u32 v[6:7], s[6:7], v28, v12, v[20:21]
	v_mul_lo_u32 v0, v6, v0
	v_sub_u32_e32 v0, 1, v0
	v_accvgpr_write_b32 a10, v0
                                        ; implicit-def: $vgpr28
                                        ; implicit-def: $vgpr0
; %bb.7:
	s_or_saveexec_b64 s[4:5], s[4:5]
	v_ashrrev_i32_e32 v1, 31, v1
	v_ashrrev_i32_e32 v4, 31, v4
	v_accvgpr_write_b32 a9, v1
	s_xor_b64 exec, exec, s[4:5]
; %bb.8:
	v_mul_lo_u32 v1, s15, v28
	v_add_u32_e32 v1, s12, v1
	v_mad_u64_u32 v[0:1], s[6:7], v1, v0, 1
	v_accvgpr_write_b32 a10, v0
; %bb.9:
	s_or_b64 exec, exec, s[4:5]
	v_accvgpr_read_b32 v5, a9
	v_accvgpr_read_b32 v7, a3
	v_xor_b32_e32 v4, v4, v5
	v_mul_lo_u32 v5, v33, v7
	v_sub_u32_e32 v3, v3, v5
	v_add_u32_e32 v5, 1, v33
	v_cmp_ge_u32_e32 vcc, v3, v7
	v_sub_u32_e32 v6, v3, v7
	v_cndmask_b32_e32 v5, v33, v5, vcc
	v_cndmask_b32_e32 v3, v3, v6, vcc
	v_add_u32_e32 v6, 1, v5
	v_cmp_ge_u32_e32 vcc, v3, v7
	v_cndmask_b32_e32 v3, v5, v6, vcc
	v_xor_b32_e32 v3, v3, v4
	v_sub_u32_e32 v3, v3, v4
	v_accvgpr_read_b32 v4, a8
	v_add_u32_e32 v4, 15, v4
	v_ashrrev_i32_e32 v5, 31, v4
	v_lshrrev_b32_e32 v5, 28, v5
	v_add_u32_e32 v4, v4, v5
	v_ashrrev_i32_e32 v28, 4, v4
	s_lshl_b32 s27, s14, 5
	v_accvgpr_read_b32 v4, a2
	s_load_dword s38, s[8:9], 0x14
	s_load_dword s13, s[8:9], 0x8
	v_mul_lo_u32 v0, s18, v18
	s_add_i32 s4, s27, 32
	v_lshrrev_b32_e32 v18, 6, v4
	v_ashrrev_i32_e32 v1, 31, v0
	v_min_i32_e32 v5, s4, v28
	v_or_b32_e32 v4, s27, v18
	v_accvgpr_write_b32 a11, v5
	v_cmp_lt_i32_e64 s[4:5], v4, v5
	v_ashrrev_i32_e32 v5, 31, v4
	v_lshlrev_b64 v[0:1], 2, v[0:1]
	v_sub_u32_e32 v3, v3, v29
	v_mul_lo_u32 v29, v20, v23
	v_accvgpr_write_b32 a13, v5
	v_accvgpr_write_b32 a27, v1
	v_mov_b32_e32 v7, 0xff7fffff
	v_accvgpr_write_b32 a14, v3
	v_accvgpr_write_b32 a12, v4
	v_ashrrev_i32_e32 v31, 31, v29
	v_sub_u32_e32 v48, 0, v30
	v_accvgpr_write_b32 a26, v0
	v_mbcnt_lo_u32_b32 v6, -1, 0
	v_lshl_add_u32 v0, v18, 4, s19
	s_mov_b64 s[20:21], exec
	s_and_b64 s[6:7], s[20:21], s[4:5]
	v_accvgpr_write_b32 a15, v0
	s_mov_b64 exec, s[6:7]
	s_cbranch_execz .LBB284_403
; %bb.10:
	v_accvgpr_read_b32 v0, a2
	v_bfe_u32 v7, v0, 2, 4
	v_add_co_u32_e64 v0, s[6:7], v8, v29
	v_addc_co_u32_e64 v1, s[6:7], v9, v31, s[6:7]
	v_lshlrev_b32_e32 v3, 4, v7
	v_add_co_u32_e64 v0, s[6:7], v0, v3
	v_addc_co_u32_e64 v1, s[6:7], 0, v1, s[6:7]
	v_accvgpr_write_b32 a39, v1
	v_accvgpr_write_b32 a38, v0
	v_lshlrev_b32_e32 v1, 7, v2
	v_accvgpr_write_b32 a41, v1
	buffer_load_dword v1, off, s[0:3], s32 offset:196 ; 4-byte Folded Reload
	v_lshlrev_b32_e32 v0, 1, v2
	v_max_i32_e32 v3, v30, v48
	v_accvgpr_write_b32 a40, v0
	v_cvt_f32_u32_e32 v0, v3
	s_ashr_i32 s17, s16, 31
	v_cmp_eq_u32_e32 vcc, 0, v2
	s_lshl_b64 s[8:9], s[16:17], 2
	v_rcp_iflag_f32_e32 v0, v0
	v_accvgpr_write_b32 a37, v3
	s_getpc_b64 s[10:11]
	s_add_u32 s10, s10, llvm.amdgcn.dynlds.offset.table@rel32@lo+4
	s_addc_u32 s11, s11, llvm.amdgcn.dynlds.offset.table@rel32@hi+12
	s_add_u32 s22, s8, s10
	v_mul_f32_e32 v0, 0x4f7ffffe, v0
	v_cvt_u32_f32_e32 v0, v0
	v_accvgpr_read_b32 v4, a26
	s_addc_u32 s23, s9, s11
	v_accvgpr_read_b32 v5, a27
	s_load_dword s17, s[22:23], 0x0
	v_accvgpr_write_b32 a28, v28
	v_accvgpr_write_b32 a24, v27
	;; [unrolled: 1-line block ×15, first 2 shown]
	s_mov_b64 s[28:29], 0
	s_movk_i32 s39, 0x80
	s_movk_i32 s40, 0x7f
	s_mov_b32 s41, 0x8000
	v_accvgpr_write_b32 a35, v6
	s_waitcnt vmcnt(0)
	v_cmp_neq_f32_e64 s[6:7], 0, v1
	v_sub_u32_e32 v1, 0, v3
	v_mul_lo_u32 v1, v1, v0
	v_mul_hi_u32 v1, v0, v1
	v_accvgpr_read_b32 v2, a12
	v_add_u32_e32 v0, v0, v1
	v_accvgpr_read_b32 v3, a13
	v_accvgpr_write_b32 a42, v0
	v_lshlrev_b64 v[0:1], 2, v[2:3]
	v_add_co_u32_e64 v0, s[8:9], v4, v0
	v_addc_co_u32_e64 v1, s[8:9], v5, v1, s[8:9]
	v_add_co_u32_e64 v32, s[8:9], v14, v0
	v_lshlrev_b32_e32 v0, 2, v7
	v_lshl_or_b32 v0, v18, 6, v0
	v_accvgpr_write_b32 a44, v0
	v_accvgpr_read_b32 v0, a8
	v_sub_u32_e32 v0, v7, v0
	v_add_u32_e32 v0, 1, v0
	v_accvgpr_write_b32 a45, v0
	v_mbcnt_hi_u32_b32 v0, -1, v6
	v_addc_co_u32_e64 v33, s[8:9], v15, v1, s[8:9]
	v_lshl_add_u32 v1, v18, 4, s19
	v_accvgpr_write_b32 a46, v0
	v_mov_b32_e32 v0, 0xff7fffff
	buffer_store_dword v0, off, s[0:3], s32 offset:192 ; 4-byte Folded Spill
	s_branch .LBB284_13
.LBB284_11:                             ;   in Loop: Header=BB284_13 Depth=1
	s_or_b64 exec, exec, s[30:31]
.LBB284_12:                             ;   in Loop: Header=BB284_13 Depth=1
	s_or_b64 exec, exec, s[10:11]
	v_accvgpr_read_b32 v2, a47
	v_add_co_u32_e64 v32, s[8:9], 8, v32
	v_add_u32_e32 v2, 2, v2
	v_addc_co_u32_e64 v33, s[8:9], 0, v33, s[8:9]
	v_accvgpr_read_b32 v0, a11
	v_cmp_ge_i32_e64 s[8:9], v2, v0
	v_accvgpr_read_b32 v0, a44
	s_waitcnt lgkmcnt(0)
	v_accvgpr_read_b32 v1, a43
	v_add_u32_e32 v0, 0x80, v0
	v_add_u32_e32 v1, 32, v1
	s_or_b64 s[28:29], s[8:9], s[28:29]
	v_accvgpr_write_b32 a44, v0
	s_andn2_b64 exec, exec, s[28:29]
	s_cbranch_execz .LBB284_402
.LBB284_13:                             ; =>This Inner Loop Header: Depth=1
	v_accvgpr_write_b32 a47, v2
	v_ashrrev_i32_e32 v0, 31, v1
	v_mov_b32_e32 v2, v1
	v_accvgpr_read_b32 v1, a9
	v_xor_b32_e32 v0, v0, v1
	v_sub_u32_e32 v1, 0, v2
	v_accvgpr_write_b32 a43, v2
	v_max_i32_e32 v1, v2, v1
	v_accvgpr_read_b32 v2, a7
	v_mul_hi_u32 v2, v1, v2
	v_accvgpr_read_b32 v4, a3
	v_mul_lo_u32 v3, v2, v4
	v_sub_u32_e32 v1, v1, v3
	v_add_u32_e32 v3, 1, v2
	v_cmp_ge_u32_e64 s[8:9], v1, v4
	v_cndmask_b32_e64 v2, v2, v3, s[8:9]
	v_sub_u32_e32 v3, v1, v4
	v_cndmask_b32_e64 v1, v1, v3, s[8:9]
	v_add_u32_e32 v3, 1, v2
	v_cmp_ge_u32_e64 s[8:9], v1, v4
	v_cndmask_b32_e64 v1, v2, v3, s[8:9]
	v_xor_b32_e32 v1, v1, v0
	v_sub_u32_e32 v0, v1, v0
	v_accvgpr_read_b32 v2, a10
	v_add_u32_e32 v1, v0, v2
	v_sub_u32_e32 v3, 0, v1
	v_ashrrev_i32_e32 v2, 31, v1
	v_max_i32_e32 v1, v1, v3
	v_accvgpr_read_b32 v4, a42
	v_mul_hi_u32 v3, v1, v4
	v_accvgpr_read_b32 v4, a37
	v_mul_lo_u32 v3, v3, v4
	v_sub_u32_e32 v1, v1, v3
	v_sub_u32_e32 v3, v1, v4
	v_cmp_ge_u32_e64 s[8:9], v1, v4
	v_cndmask_b32_e64 v1, v1, v3, s[8:9]
	v_sub_u32_e32 v3, v1, v4
	v_cmp_ge_u32_e64 s[8:9], v1, v4
	v_cndmask_b32_e64 v1, v1, v3, s[8:9]
	v_xor_b32_e32 v1, v1, v2
	v_sub_u32_e32 v1, v1, v2
	v_cmp_ne_u32_e64 s[8:9], 0, v1
	v_accvgpr_read_b32 v1, a14
	v_cmp_le_i32_e64 s[10:11], v0, v1
	s_and_b64 s[8:9], s[8:9], s[10:11]
	s_and_b64 s[30:31], vcc, s[8:9]
	s_and_saveexec_b64 s[10:11], s[30:31]
	s_cbranch_execz .LBB284_15
; %bb.14:                               ;   in Loop: Header=BB284_13 Depth=1
	v_accvgpr_read_b32 v0, a44
	s_waitcnt lgkmcnt(0)
	v_add_u32_e32 v0, s17, v0
	v_mov_b32_e32 v1, 0xff7fffff
	ds_write_b32 v0, v1
.LBB284_15:                             ;   in Loop: Header=BB284_13 Depth=1
	s_or_b64 exec, exec, s[10:11]
	s_xor_b64 s[8:9], s[8:9], -1
	s_and_saveexec_b64 s[10:11], s[8:9]
	s_cbranch_execz .LBB284_12
; %bb.16:                               ;   in Loop: Header=BB284_13 Depth=1
	flat_load_dword v0, v[32:33]
	v_accvgpr_read_b32 v4, a38
	v_accvgpr_read_b32 v2, a6
	;; [unrolled: 1-line block ×3, first 2 shown]
	s_waitcnt vmcnt(0) lgkmcnt(0)
	v_mad_i64_i32 v[0:1], s[8:9], v0, v2, v[4:5]
	v_accvgpr_read_b32 v2, a40
	v_add_co_u32_e64 v34, s[8:9], v0, v2
	v_addc_co_u32_e64 v35, s[8:9], 0, v1, s[8:9]
	v_accvgpr_read_b32 v2, a32
	flat_load_ushort v0, v[34:35]
	v_accvgpr_read_b32 v3, a33
	flat_load_dword v58, v[2:3]
	v_mov_b32_e32 v1, 0
	buffer_store_dword v1, off, s[0:3], s32 offset:164 ; 4-byte Folded Spill
	v_mov_b32_e32 v1, 0
	s_waitcnt vmcnt(0) lgkmcnt(0)
	v_and_b32_e32 v36, 0xffff, v0
	v_cmp_ne_u16_sdwa s[8:9], v0, v1 src0_sel:BYTE_0 src1_sel:DWORD
	v_mov_b32_e32 v0, 0
	buffer_store_dword v0, off, s[0:3], s32 offset:160 ; 4-byte Folded Spill
	s_and_saveexec_b64 s[30:31], s[8:9]
	s_cbranch_execz .LBB284_22
; %bb.17:                               ;   in Loop: Header=BB284_13 Depth=1
	v_cmp_ne_u16_sdwa s[8:9], v36, s39 src0_sel:BYTE_0 src1_sel:DWORD
	v_bfrev_b32_e32 v0, 1
	buffer_store_dword v0, off, s[0:3], s32 offset:160 ; 4-byte Folded Spill
	s_and_saveexec_b64 s[34:35], s[8:9]
	s_cbranch_execz .LBB284_21
; %bb.18:                               ;   in Loop: Header=BB284_13 Depth=1
	v_and_b32_e32 v0, 0x7f, v36
	v_cmp_ne_u32_e64 s[8:9], s40, v0
	v_mov_b32_e32 v1, 0x7fc02000
	buffer_store_dword v1, off, s[0:3], s32 offset:160 ; 4-byte Folded Spill
	s_and_saveexec_b64 s[36:37], s[8:9]
	s_cbranch_execz .LBB284_20
; %bb.19:                               ;   in Loop: Header=BB284_13 Depth=1
	v_and_b32_e32 v1, 7, v36
	v_ffbh_u32_e32 v2, v1
	v_min_u32_e32 v5, 32, v2
	v_subrev_u32_e32 v2, 28, v5
	v_lshlrev_b64 v[2:3], v2, v[36:37]
	v_lshrrev_b32_e32 v4, 3, v0
	v_sub_u32_e32 v3, 29, v5
	v_cmp_gt_u32_e64 s[8:9], 8, v0
	v_and_b32_e32 v2, 7, v2
	v_cndmask_b32_e64 v0, v4, v3, s[8:9]
	v_mov_b32_e32 v3, 0x2000
	v_cndmask_b32_e64 v1, v1, v2, s[8:9]
	v_lshlrev_b32_e32 v2, 8, v36
	v_lshl_add_u32 v0, v0, 10, v3
	v_and_or_b32 v0, v2, s41, v0
	v_lshl_or_b32 v0, v1, 7, v0
	v_cvt_f32_f16_e32 v0, v0
	buffer_store_dword v0, off, s[0:3], s32 offset:160 ; 4-byte Folded Spill
.LBB284_20:                             ;   in Loop: Header=BB284_13 Depth=1
	s_or_b64 exec, exec, s[36:37]
.LBB284_21:                             ;   in Loop: Header=BB284_13 Depth=1
	s_or_b64 exec, exec, s[34:35]
.LBB284_22:                             ;   in Loop: Header=BB284_13 Depth=1
	s_or_b64 exec, exec, s[30:31]
	v_lshrrev_b16_e32 v36, 8, v36
	v_cmp_ne_u16_e64 s[8:9], 0, v36
	s_and_saveexec_b64 s[30:31], s[8:9]
	s_cbranch_execz .LBB284_28
; %bb.23:                               ;   in Loop: Header=BB284_13 Depth=1
	v_cmp_ne_u16_e64 s[8:9], s39, v36
	v_bfrev_b32_e32 v0, 1
	buffer_store_dword v0, off, s[0:3], s32 offset:164 ; 4-byte Folded Spill
	s_and_saveexec_b64 s[34:35], s[8:9]
	s_cbranch_execz .LBB284_27
; %bb.24:                               ;   in Loop: Header=BB284_13 Depth=1
	v_and_b32_e32 v0, 0x7f, v36
	v_cmp_ne_u32_e64 s[8:9], s40, v0
	v_mov_b32_e32 v1, 0x7fc02000
	buffer_store_dword v1, off, s[0:3], s32 offset:164 ; 4-byte Folded Spill
	s_and_saveexec_b64 s[36:37], s[8:9]
	s_cbranch_execz .LBB284_26
; %bb.25:                               ;   in Loop: Header=BB284_13 Depth=1
	v_and_b32_e32 v1, 7, v36
	v_ffbh_u32_e32 v2, v1
	v_min_u32_e32 v5, 32, v2
	v_subrev_u32_e32 v2, 28, v5
	v_lshlrev_b64 v[2:3], v2, v[36:37]
	v_lshrrev_b32_e32 v4, 3, v0
	v_sub_u32_e32 v3, 29, v5
	v_cmp_gt_u32_e64 s[8:9], 8, v0
	v_and_b32_e32 v2, 7, v2
	v_cndmask_b32_e64 v0, v4, v3, s[8:9]
	v_mov_b32_e32 v3, 0x2000
	v_cndmask_b32_e64 v1, v1, v2, s[8:9]
	v_lshlrev_b32_e32 v2, 8, v36
	v_lshl_add_u32 v0, v0, 10, v3
	v_and_or_b32 v0, v2, s41, v0
	v_lshl_or_b32 v0, v1, 7, v0
	v_cvt_f32_f16_e32 v0, v0
	buffer_store_dword v0, off, s[0:3], s32 offset:164 ; 4-byte Folded Spill
.LBB284_26:                             ;   in Loop: Header=BB284_13 Depth=1
	s_or_b64 exec, exec, s[36:37]
.LBB284_27:                             ;   in Loop: Header=BB284_13 Depth=1
	s_or_b64 exec, exec, s[34:35]
.LBB284_28:                             ;   in Loop: Header=BB284_13 Depth=1
	s_or_b64 exec, exec, s[30:31]
	flat_load_ushort v0, v[34:35] offset:8
	v_mov_b32_e32 v1, 0
	v_mov_b32_e32 v15, 0
	;; [unrolled: 1-line block ×3, first 2 shown]
	s_waitcnt vmcnt(0) lgkmcnt(0)
	v_and_b32_e32 v36, 0xffff, v0
	v_cmp_ne_u16_sdwa s[8:9], v0, v1 src0_sel:BYTE_0 src1_sel:DWORD
	s_and_saveexec_b64 s[30:31], s[8:9]
	s_cbranch_execz .LBB284_34
; %bb.29:                               ;   in Loop: Header=BB284_13 Depth=1
	v_cmp_ne_u16_sdwa s[8:9], v36, s39 src0_sel:BYTE_0 src1_sel:DWORD
	v_bfrev_b32_e32 v13, 1
	s_and_saveexec_b64 s[34:35], s[8:9]
	s_cbranch_execz .LBB284_33
; %bb.30:                               ;   in Loop: Header=BB284_13 Depth=1
	v_and_b32_e32 v0, 0x7f, v36
	v_cmp_ne_u32_e64 s[8:9], s40, v0
	v_mov_b32_e32 v13, 0x7fc02000
	s_and_saveexec_b64 s[36:37], s[8:9]
	s_cbranch_execz .LBB284_32
; %bb.31:                               ;   in Loop: Header=BB284_13 Depth=1
	v_and_b32_e32 v1, 7, v36
	v_ffbh_u32_e32 v2, v1
	v_min_u32_e32 v5, 32, v2
	v_subrev_u32_e32 v2, 28, v5
	v_lshlrev_b64 v[2:3], v2, v[36:37]
	v_lshrrev_b32_e32 v4, 3, v0
	v_sub_u32_e32 v3, 29, v5
	v_cmp_gt_u32_e64 s[8:9], 8, v0
	v_and_b32_e32 v2, 7, v2
	v_cndmask_b32_e64 v0, v4, v3, s[8:9]
	v_mov_b32_e32 v3, 0x2000
	v_cndmask_b32_e64 v1, v1, v2, s[8:9]
	v_lshlrev_b32_e32 v2, 8, v36
	v_lshl_add_u32 v0, v0, 10, v3
	v_and_or_b32 v0, v2, s41, v0
	v_lshl_or_b32 v0, v1, 7, v0
	v_cvt_f32_f16_e32 v13, v0
.LBB284_32:                             ;   in Loop: Header=BB284_13 Depth=1
	s_or_b64 exec, exec, s[36:37]
.LBB284_33:                             ;   in Loop: Header=BB284_13 Depth=1
	s_or_b64 exec, exec, s[34:35]
.LBB284_34:                             ;   in Loop: Header=BB284_13 Depth=1
	s_or_b64 exec, exec, s[30:31]
	v_lshrrev_b16_e32 v36, 8, v36
	v_cmp_ne_u16_e64 s[8:9], 0, v36
	s_and_saveexec_b64 s[30:31], s[8:9]
	s_cbranch_execz .LBB284_40
; %bb.35:                               ;   in Loop: Header=BB284_13 Depth=1
	v_cmp_ne_u16_e64 s[8:9], s39, v36
	v_bfrev_b32_e32 v15, 1
	s_and_saveexec_b64 s[34:35], s[8:9]
	s_cbranch_execz .LBB284_39
; %bb.36:                               ;   in Loop: Header=BB284_13 Depth=1
	v_and_b32_e32 v0, 0x7f, v36
	v_cmp_ne_u32_e64 s[8:9], s40, v0
	v_mov_b32_e32 v15, 0x7fc02000
	s_and_saveexec_b64 s[36:37], s[8:9]
	s_cbranch_execz .LBB284_38
; %bb.37:                               ;   in Loop: Header=BB284_13 Depth=1
	v_and_b32_e32 v1, 7, v36
	v_ffbh_u32_e32 v2, v1
	v_min_u32_e32 v5, 32, v2
	v_subrev_u32_e32 v2, 28, v5
	v_lshlrev_b64 v[2:3], v2, v[36:37]
	v_lshrrev_b32_e32 v4, 3, v0
	v_sub_u32_e32 v3, 29, v5
	v_cmp_gt_u32_e64 s[8:9], 8, v0
	v_and_b32_e32 v2, 7, v2
	v_cndmask_b32_e64 v0, v4, v3, s[8:9]
	v_mov_b32_e32 v3, 0x2000
	v_cndmask_b32_e64 v1, v1, v2, s[8:9]
	v_lshlrev_b32_e32 v2, 8, v36
	v_lshl_add_u32 v0, v0, 10, v3
	v_and_or_b32 v0, v2, s41, v0
	v_lshl_or_b32 v0, v1, 7, v0
	v_cvt_f32_f16_e32 v15, v0
.LBB284_38:                             ;   in Loop: Header=BB284_13 Depth=1
	s_or_b64 exec, exec, s[36:37]
.LBB284_39:                             ;   in Loop: Header=BB284_13 Depth=1
	s_or_b64 exec, exec, s[34:35]
.LBB284_40:                             ;   in Loop: Header=BB284_13 Depth=1
	s_or_b64 exec, exec, s[30:31]
	flat_load_ushort v0, v[34:35] offset:256
	v_mov_b32_e32 v1, 0
	v_mov_b32_e32 v18, 0
	s_waitcnt vmcnt(0) lgkmcnt(0)
	v_and_b32_e32 v36, 0xffff, v0
	v_cmp_ne_u16_sdwa s[8:9], v0, v1 src0_sel:BYTE_0 src1_sel:DWORD
	v_mov_b32_e32 v0, 0
	buffer_store_dword v0, off, s[0:3], s32 offset:168 ; 4-byte Folded Spill
	s_and_saveexec_b64 s[30:31], s[8:9]
	s_cbranch_execz .LBB284_46
; %bb.41:                               ;   in Loop: Header=BB284_13 Depth=1
	v_cmp_ne_u16_sdwa s[8:9], v36, s39 src0_sel:BYTE_0 src1_sel:DWORD
	v_bfrev_b32_e32 v0, 1
	buffer_store_dword v0, off, s[0:3], s32 offset:168 ; 4-byte Folded Spill
	s_and_saveexec_b64 s[34:35], s[8:9]
	s_cbranch_execz .LBB284_45
; %bb.42:                               ;   in Loop: Header=BB284_13 Depth=1
	v_and_b32_e32 v0, 0x7f, v36
	v_cmp_ne_u32_e64 s[8:9], s40, v0
	v_mov_b32_e32 v1, 0x7fc02000
	buffer_store_dword v1, off, s[0:3], s32 offset:168 ; 4-byte Folded Spill
	s_and_saveexec_b64 s[36:37], s[8:9]
	s_cbranch_execz .LBB284_44
; %bb.43:                               ;   in Loop: Header=BB284_13 Depth=1
	v_and_b32_e32 v1, 7, v36
	v_ffbh_u32_e32 v2, v1
	v_min_u32_e32 v5, 32, v2
	v_subrev_u32_e32 v2, 28, v5
	v_lshlrev_b64 v[2:3], v2, v[36:37]
	v_lshrrev_b32_e32 v4, 3, v0
	v_sub_u32_e32 v3, 29, v5
	v_cmp_gt_u32_e64 s[8:9], 8, v0
	v_and_b32_e32 v2, 7, v2
	v_cndmask_b32_e64 v0, v4, v3, s[8:9]
	v_mov_b32_e32 v3, 0x2000
	v_cndmask_b32_e64 v1, v1, v2, s[8:9]
	v_lshlrev_b32_e32 v2, 8, v36
	v_lshl_add_u32 v0, v0, 10, v3
	v_and_or_b32 v0, v2, s41, v0
	v_lshl_or_b32 v0, v1, 7, v0
	v_cvt_f32_f16_e32 v0, v0
	buffer_store_dword v0, off, s[0:3], s32 offset:168 ; 4-byte Folded Spill
.LBB284_44:                             ;   in Loop: Header=BB284_13 Depth=1
	s_or_b64 exec, exec, s[36:37]
.LBB284_45:                             ;   in Loop: Header=BB284_13 Depth=1
	s_or_b64 exec, exec, s[34:35]
.LBB284_46:                             ;   in Loop: Header=BB284_13 Depth=1
	s_or_b64 exec, exec, s[30:31]
	v_lshrrev_b16_e32 v36, 8, v36
	v_cmp_ne_u16_e64 s[8:9], 0, v36
	s_and_saveexec_b64 s[30:31], s[8:9]
	s_cbranch_execz .LBB284_52
; %bb.47:                               ;   in Loop: Header=BB284_13 Depth=1
	v_cmp_ne_u16_e64 s[8:9], s39, v36
	v_bfrev_b32_e32 v18, 1
	s_and_saveexec_b64 s[34:35], s[8:9]
	s_cbranch_execz .LBB284_51
; %bb.48:                               ;   in Loop: Header=BB284_13 Depth=1
	v_and_b32_e32 v0, 0x7f, v36
	v_cmp_ne_u32_e64 s[8:9], s40, v0
	v_mov_b32_e32 v18, 0x7fc02000
	s_and_saveexec_b64 s[36:37], s[8:9]
	s_cbranch_execz .LBB284_50
; %bb.49:                               ;   in Loop: Header=BB284_13 Depth=1
	v_and_b32_e32 v1, 7, v36
	v_ffbh_u32_e32 v2, v1
	v_min_u32_e32 v5, 32, v2
	v_subrev_u32_e32 v2, 28, v5
	v_lshlrev_b64 v[2:3], v2, v[36:37]
	v_lshrrev_b32_e32 v4, 3, v0
	v_sub_u32_e32 v3, 29, v5
	v_cmp_gt_u32_e64 s[8:9], 8, v0
	v_and_b32_e32 v2, 7, v2
	v_cndmask_b32_e64 v0, v4, v3, s[8:9]
	v_mov_b32_e32 v3, 0x2000
	v_cndmask_b32_e64 v1, v1, v2, s[8:9]
	v_lshlrev_b32_e32 v2, 8, v36
	v_lshl_add_u32 v0, v0, 10, v3
	v_and_or_b32 v0, v2, s41, v0
	v_lshl_or_b32 v0, v1, 7, v0
	v_cvt_f32_f16_e32 v18, v0
.LBB284_50:                             ;   in Loop: Header=BB284_13 Depth=1
	s_or_b64 exec, exec, s[36:37]
.LBB284_51:                             ;   in Loop: Header=BB284_13 Depth=1
	s_or_b64 exec, exec, s[34:35]
.LBB284_52:                             ;   in Loop: Header=BB284_13 Depth=1
	s_or_b64 exec, exec, s[30:31]
	flat_load_ushort v0, v[34:35] offset:264
	v_mov_b32_e32 v1, 0
	v_mov_b32_e32 v22, 0
	s_waitcnt vmcnt(0) lgkmcnt(0)
	v_and_b32_e32 v36, 0xffff, v0
	v_cmp_ne_u16_sdwa s[8:9], v0, v1 src0_sel:BYTE_0 src1_sel:DWORD
	v_mov_b32_e32 v0, 0
	buffer_store_dword v0, off, s[0:3], s32 offset:172 ; 4-byte Folded Spill
	s_and_saveexec_b64 s[30:31], s[8:9]
	s_cbranch_execz .LBB284_58
; %bb.53:                               ;   in Loop: Header=BB284_13 Depth=1
	v_cmp_ne_u16_sdwa s[8:9], v36, s39 src0_sel:BYTE_0 src1_sel:DWORD
	v_bfrev_b32_e32 v0, 1
	buffer_store_dword v0, off, s[0:3], s32 offset:172 ; 4-byte Folded Spill
	s_and_saveexec_b64 s[34:35], s[8:9]
	s_cbranch_execz .LBB284_57
; %bb.54:                               ;   in Loop: Header=BB284_13 Depth=1
	v_and_b32_e32 v0, 0x7f, v36
	v_cmp_ne_u32_e64 s[8:9], s40, v0
	v_mov_b32_e32 v1, 0x7fc02000
	buffer_store_dword v1, off, s[0:3], s32 offset:172 ; 4-byte Folded Spill
	s_and_saveexec_b64 s[36:37], s[8:9]
	s_cbranch_execz .LBB284_56
; %bb.55:                               ;   in Loop: Header=BB284_13 Depth=1
	v_and_b32_e32 v2, 7, v36
	v_lshrrev_b32_e32 v3, 3, v0
	v_cmp_gt_u32_e64 s[8:9], 8, v0
	v_ffbh_u32_e32 v0, v2
	v_min_u32_e32 v4, 32, v0
	v_subrev_u32_e32 v0, 28, v4
	v_lshlrev_b64 v[0:1], v0, v[36:37]
	v_sub_u32_e32 v1, 29, v4
	v_and_b32_e32 v0, 7, v0
	v_cndmask_b32_e64 v1, v3, v1, s[8:9]
	v_mov_b32_e32 v3, 0x2000
	v_cndmask_b32_e64 v0, v2, v0, s[8:9]
	v_lshlrev_b32_e32 v2, 8, v36
	v_lshl_add_u32 v1, v1, 10, v3
	v_and_or_b32 v1, v2, s41, v1
	v_lshl_or_b32 v0, v0, 7, v1
	v_cvt_f32_f16_e32 v0, v0
	buffer_store_dword v0, off, s[0:3], s32 offset:172 ; 4-byte Folded Spill
.LBB284_56:                             ;   in Loop: Header=BB284_13 Depth=1
	s_or_b64 exec, exec, s[36:37]
.LBB284_57:                             ;   in Loop: Header=BB284_13 Depth=1
	s_or_b64 exec, exec, s[34:35]
.LBB284_58:                             ;   in Loop: Header=BB284_13 Depth=1
	s_or_b64 exec, exec, s[30:31]
	v_lshrrev_b16_e32 v36, 8, v36
	v_cmp_ne_u16_e64 s[8:9], 0, v36
	s_and_saveexec_b64 s[30:31], s[8:9]
	s_cbranch_execz .LBB284_64
; %bb.59:                               ;   in Loop: Header=BB284_13 Depth=1
	v_cmp_ne_u16_e64 s[8:9], s39, v36
	v_bfrev_b32_e32 v22, 1
	s_and_saveexec_b64 s[34:35], s[8:9]
	s_cbranch_execz .LBB284_63
; %bb.60:                               ;   in Loop: Header=BB284_13 Depth=1
	v_and_b32_e32 v0, 0x7f, v36
	v_cmp_ne_u32_e64 s[8:9], s40, v0
	v_mov_b32_e32 v22, 0x7fc02000
	s_and_saveexec_b64 s[36:37], s[8:9]
	s_cbranch_execz .LBB284_62
; %bb.61:                               ;   in Loop: Header=BB284_13 Depth=1
	v_and_b32_e32 v2, 7, v36
	v_lshrrev_b32_e32 v3, 3, v0
	v_cmp_gt_u32_e64 s[8:9], 8, v0
	v_ffbh_u32_e32 v0, v2
	v_min_u32_e32 v4, 32, v0
	v_subrev_u32_e32 v0, 28, v4
	v_lshlrev_b64 v[0:1], v0, v[36:37]
	v_sub_u32_e32 v1, 29, v4
	v_and_b32_e32 v0, 7, v0
	v_cndmask_b32_e64 v1, v3, v1, s[8:9]
	v_mov_b32_e32 v3, 0x2000
	v_cndmask_b32_e64 v0, v2, v0, s[8:9]
	v_lshlrev_b32_e32 v2, 8, v36
	v_lshl_add_u32 v1, v1, 10, v3
	v_and_or_b32 v1, v2, s41, v1
	v_lshl_or_b32 v0, v0, 7, v1
	v_cvt_f32_f16_e32 v22, v0
.LBB284_62:                             ;   in Loop: Header=BB284_13 Depth=1
	s_or_b64 exec, exec, s[36:37]
.LBB284_63:                             ;   in Loop: Header=BB284_13 Depth=1
	s_or_b64 exec, exec, s[34:35]
.LBB284_64:                             ;   in Loop: Header=BB284_13 Depth=1
	s_or_b64 exec, exec, s[30:31]
	flat_load_ushort v0, v[34:35] offset:512
	v_mov_b32_e32 v1, 0
	v_mov_b32_e32 v12, 0
	s_waitcnt vmcnt(0) lgkmcnt(0)
	v_and_b32_e32 v36, 0xffff, v0
	v_cmp_ne_u16_sdwa s[8:9], v0, v1 src0_sel:BYTE_0 src1_sel:DWORD
	v_mov_b32_e32 v0, 0
	buffer_store_dword v0, off, s[0:3], s32 offset:176 ; 4-byte Folded Spill
	s_and_saveexec_b64 s[30:31], s[8:9]
	s_cbranch_execz .LBB284_70
; %bb.65:                               ;   in Loop: Header=BB284_13 Depth=1
	v_cmp_ne_u16_sdwa s[8:9], v36, s39 src0_sel:BYTE_0 src1_sel:DWORD
	v_bfrev_b32_e32 v0, 1
	buffer_store_dword v0, off, s[0:3], s32 offset:176 ; 4-byte Folded Spill
	s_and_saveexec_b64 s[34:35], s[8:9]
	s_cbranch_execz .LBB284_69
; %bb.66:                               ;   in Loop: Header=BB284_13 Depth=1
	v_and_b32_e32 v0, 0x7f, v36
	v_cmp_ne_u32_e64 s[8:9], s40, v0
	v_mov_b32_e32 v1, 0x7fc02000
	buffer_store_dword v1, off, s[0:3], s32 offset:176 ; 4-byte Folded Spill
	s_and_saveexec_b64 s[36:37], s[8:9]
	s_cbranch_execz .LBB284_68
; %bb.67:                               ;   in Loop: Header=BB284_13 Depth=1
	v_and_b32_e32 v1, 7, v36
	v_ffbh_u32_e32 v2, v1
	v_min_u32_e32 v5, 32, v2
	v_subrev_u32_e32 v2, 28, v5
	v_lshlrev_b64 v[2:3], v2, v[36:37]
	v_lshrrev_b32_e32 v4, 3, v0
	v_sub_u32_e32 v3, 29, v5
	v_cmp_gt_u32_e64 s[8:9], 8, v0
	v_and_b32_e32 v2, 7, v2
	v_cndmask_b32_e64 v0, v4, v3, s[8:9]
	v_mov_b32_e32 v3, 0x2000
	v_cndmask_b32_e64 v1, v1, v2, s[8:9]
	v_lshlrev_b32_e32 v2, 8, v36
	v_lshl_add_u32 v0, v0, 10, v3
	v_and_or_b32 v0, v2, s41, v0
	v_lshl_or_b32 v0, v1, 7, v0
	v_cvt_f32_f16_e32 v0, v0
	buffer_store_dword v0, off, s[0:3], s32 offset:176 ; 4-byte Folded Spill
.LBB284_68:                             ;   in Loop: Header=BB284_13 Depth=1
	s_or_b64 exec, exec, s[36:37]
.LBB284_69:                             ;   in Loop: Header=BB284_13 Depth=1
	s_or_b64 exec, exec, s[34:35]
.LBB284_70:                             ;   in Loop: Header=BB284_13 Depth=1
	s_or_b64 exec, exec, s[30:31]
	v_lshrrev_b16_e32 v36, 8, v36
	v_cmp_ne_u16_e64 s[8:9], 0, v36
	s_and_saveexec_b64 s[30:31], s[8:9]
	s_cbranch_execz .LBB284_76
; %bb.71:                               ;   in Loop: Header=BB284_13 Depth=1
	v_cmp_ne_u16_e64 s[8:9], s39, v36
	v_bfrev_b32_e32 v12, 1
	s_and_saveexec_b64 s[34:35], s[8:9]
	s_cbranch_execz .LBB284_75
; %bb.72:                               ;   in Loop: Header=BB284_13 Depth=1
	v_and_b32_e32 v0, 0x7f, v36
	v_cmp_ne_u32_e64 s[8:9], s40, v0
	v_mov_b32_e32 v12, 0x7fc02000
	s_and_saveexec_b64 s[36:37], s[8:9]
	s_cbranch_execz .LBB284_74
; %bb.73:                               ;   in Loop: Header=BB284_13 Depth=1
	v_and_b32_e32 v1, 7, v36
	v_ffbh_u32_e32 v2, v1
	v_min_u32_e32 v5, 32, v2
	v_subrev_u32_e32 v2, 28, v5
	v_lshlrev_b64 v[2:3], v2, v[36:37]
	v_lshrrev_b32_e32 v4, 3, v0
	v_sub_u32_e32 v3, 29, v5
	v_cmp_gt_u32_e64 s[8:9], 8, v0
	v_and_b32_e32 v2, 7, v2
	v_cndmask_b32_e64 v0, v4, v3, s[8:9]
	v_mov_b32_e32 v3, 0x2000
	v_cndmask_b32_e64 v1, v1, v2, s[8:9]
	v_lshlrev_b32_e32 v2, 8, v36
	v_lshl_add_u32 v0, v0, 10, v3
	v_and_or_b32 v0, v2, s41, v0
	v_lshl_or_b32 v0, v1, 7, v0
	v_cvt_f32_f16_e32 v12, v0
.LBB284_74:                             ;   in Loop: Header=BB284_13 Depth=1
	s_or_b64 exec, exec, s[36:37]
.LBB284_75:                             ;   in Loop: Header=BB284_13 Depth=1
	s_or_b64 exec, exec, s[34:35]
.LBB284_76:                             ;   in Loop: Header=BB284_13 Depth=1
	s_or_b64 exec, exec, s[30:31]
	flat_load_ushort v0, v[34:35] offset:520
	v_mov_b32_e32 v1, 0
	v_mov_b32_e32 v25, 0
	;; [unrolled: 1-line block ×3, first 2 shown]
	s_waitcnt vmcnt(0) lgkmcnt(0)
	v_and_b32_e32 v36, 0xffff, v0
	v_cmp_ne_u16_sdwa s[8:9], v0, v1 src0_sel:BYTE_0 src1_sel:DWORD
	s_and_saveexec_b64 s[30:31], s[8:9]
	s_cbranch_execz .LBB284_82
; %bb.77:                               ;   in Loop: Header=BB284_13 Depth=1
	v_cmp_ne_u16_sdwa s[8:9], v36, s39 src0_sel:BYTE_0 src1_sel:DWORD
	v_bfrev_b32_e32 v28, 1
	s_and_saveexec_b64 s[34:35], s[8:9]
	s_cbranch_execz .LBB284_81
; %bb.78:                               ;   in Loop: Header=BB284_13 Depth=1
	v_and_b32_e32 v0, 0x7f, v36
	v_cmp_ne_u32_e64 s[8:9], s40, v0
	v_mov_b32_e32 v28, 0x7fc02000
	s_and_saveexec_b64 s[36:37], s[8:9]
	s_cbranch_execz .LBB284_80
; %bb.79:                               ;   in Loop: Header=BB284_13 Depth=1
	v_and_b32_e32 v1, 7, v36
	v_ffbh_u32_e32 v2, v1
	v_min_u32_e32 v5, 32, v2
	v_subrev_u32_e32 v2, 28, v5
	v_lshlrev_b64 v[2:3], v2, v[36:37]
	v_lshrrev_b32_e32 v4, 3, v0
	v_sub_u32_e32 v3, 29, v5
	v_cmp_gt_u32_e64 s[8:9], 8, v0
	v_and_b32_e32 v2, 7, v2
	v_cndmask_b32_e64 v0, v4, v3, s[8:9]
	v_mov_b32_e32 v3, 0x2000
	v_cndmask_b32_e64 v1, v1, v2, s[8:9]
	v_lshlrev_b32_e32 v2, 8, v36
	v_lshl_add_u32 v0, v0, 10, v3
	v_and_or_b32 v0, v2, s41, v0
	v_lshl_or_b32 v0, v1, 7, v0
	v_cvt_f32_f16_e32 v28, v0
.LBB284_80:                             ;   in Loop: Header=BB284_13 Depth=1
	s_or_b64 exec, exec, s[36:37]
.LBB284_81:                             ;   in Loop: Header=BB284_13 Depth=1
	s_or_b64 exec, exec, s[34:35]
.LBB284_82:                             ;   in Loop: Header=BB284_13 Depth=1
	s_or_b64 exec, exec, s[30:31]
	v_lshrrev_b16_e32 v36, 8, v36
	v_cmp_ne_u16_e64 s[8:9], 0, v36
	s_and_saveexec_b64 s[30:31], s[8:9]
	s_cbranch_execz .LBB284_88
; %bb.83:                               ;   in Loop: Header=BB284_13 Depth=1
	v_cmp_ne_u16_e64 s[8:9], s39, v36
	v_bfrev_b32_e32 v25, 1
	s_and_saveexec_b64 s[34:35], s[8:9]
	s_cbranch_execz .LBB284_87
; %bb.84:                               ;   in Loop: Header=BB284_13 Depth=1
	v_and_b32_e32 v0, 0x7f, v36
	v_cmp_ne_u32_e64 s[8:9], s40, v0
	v_mov_b32_e32 v25, 0x7fc02000
	s_and_saveexec_b64 s[36:37], s[8:9]
	s_cbranch_execz .LBB284_86
; %bb.85:                               ;   in Loop: Header=BB284_13 Depth=1
	v_and_b32_e32 v1, 7, v36
	v_ffbh_u32_e32 v2, v1
	v_min_u32_e32 v5, 32, v2
	v_subrev_u32_e32 v2, 28, v5
	v_lshlrev_b64 v[2:3], v2, v[36:37]
	v_lshrrev_b32_e32 v4, 3, v0
	v_sub_u32_e32 v3, 29, v5
	v_cmp_gt_u32_e64 s[8:9], 8, v0
	v_and_b32_e32 v2, 7, v2
	v_cndmask_b32_e64 v0, v4, v3, s[8:9]
	v_mov_b32_e32 v3, 0x2000
	v_cndmask_b32_e64 v1, v1, v2, s[8:9]
	v_lshlrev_b32_e32 v2, 8, v36
	v_lshl_add_u32 v0, v0, 10, v3
	v_and_or_b32 v0, v2, s41, v0
	v_lshl_or_b32 v0, v1, 7, v0
	v_cvt_f32_f16_e32 v25, v0
.LBB284_86:                             ;   in Loop: Header=BB284_13 Depth=1
	s_or_b64 exec, exec, s[36:37]
.LBB284_87:                             ;   in Loop: Header=BB284_13 Depth=1
	s_or_b64 exec, exec, s[34:35]
.LBB284_88:                             ;   in Loop: Header=BB284_13 Depth=1
	s_or_b64 exec, exec, s[30:31]
	flat_load_ushort v0, v[34:35] offset:768
	v_mov_b32_e32 v1, 0
	v_mov_b32_e32 v30, 0
	;; [unrolled: 1-line block ×3, first 2 shown]
	s_waitcnt vmcnt(0) lgkmcnt(0)
	v_and_b32_e32 v36, 0xffff, v0
	v_cmp_ne_u16_sdwa s[8:9], v0, v1 src0_sel:BYTE_0 src1_sel:DWORD
	s_and_saveexec_b64 s[30:31], s[8:9]
	s_cbranch_execz .LBB284_94
; %bb.89:                               ;   in Loop: Header=BB284_13 Depth=1
	v_cmp_ne_u16_sdwa s[8:9], v36, s39 src0_sel:BYTE_0 src1_sel:DWORD
	v_bfrev_b32_e32 v37, 1
	s_and_saveexec_b64 s[34:35], s[8:9]
	s_cbranch_execz .LBB284_93
; %bb.90:                               ;   in Loop: Header=BB284_13 Depth=1
	v_and_b32_e32 v0, 0x7f, v36
	v_cmp_ne_u32_e64 s[8:9], s40, v0
	v_mov_b32_e32 v37, 0x7fc02000
	s_and_saveexec_b64 s[36:37], s[8:9]
	s_cbranch_execz .LBB284_92
; %bb.91:                               ;   in Loop: Header=BB284_13 Depth=1
	v_and_b32_e32 v1, 7, v36
	v_ffbh_u32_e32 v2, v1
	v_min_u32_e32 v5, 32, v2
	v_subrev_u32_e32 v2, 28, v5
	v_lshlrev_b64 v[2:3], v2, v[36:37]
	v_lshrrev_b32_e32 v4, 3, v0
	v_sub_u32_e32 v3, 29, v5
	v_cmp_gt_u32_e64 s[8:9], 8, v0
	v_and_b32_e32 v2, 7, v2
	v_cndmask_b32_e64 v0, v4, v3, s[8:9]
	v_mov_b32_e32 v3, 0x2000
	v_cndmask_b32_e64 v1, v1, v2, s[8:9]
	v_lshlrev_b32_e32 v2, 8, v36
	v_lshl_add_u32 v0, v0, 10, v3
	v_and_or_b32 v0, v2, s41, v0
	v_lshl_or_b32 v0, v1, 7, v0
	v_cvt_f32_f16_e32 v37, v0
.LBB284_92:                             ;   in Loop: Header=BB284_13 Depth=1
	s_or_b64 exec, exec, s[36:37]
.LBB284_93:                             ;   in Loop: Header=BB284_13 Depth=1
	s_or_b64 exec, exec, s[34:35]
.LBB284_94:                             ;   in Loop: Header=BB284_13 Depth=1
	s_or_b64 exec, exec, s[30:31]
	v_lshrrev_b16_e32 v36, 8, v36
	v_cmp_ne_u16_e64 s[8:9], 0, v36
	s_and_saveexec_b64 s[30:31], s[8:9]
	s_cbranch_execz .LBB284_100
; %bb.95:                               ;   in Loop: Header=BB284_13 Depth=1
	v_cmp_ne_u16_e64 s[8:9], s39, v36
	v_bfrev_b32_e32 v30, 1
	s_and_saveexec_b64 s[34:35], s[8:9]
	s_cbranch_execz .LBB284_99
; %bb.96:                               ;   in Loop: Header=BB284_13 Depth=1
	v_and_b32_e32 v0, 0x7f, v36
	v_cmp_ne_u32_e64 s[8:9], s40, v0
	v_mov_b32_e32 v30, 0x7fc02000
	s_and_saveexec_b64 s[36:37], s[8:9]
	s_cbranch_execz .LBB284_98
; %bb.97:                               ;   in Loop: Header=BB284_13 Depth=1
	v_and_b32_e32 v1, 7, v36
	v_ffbh_u32_e32 v2, v1
	v_min_u32_e32 v5, 32, v2
	v_subrev_u32_e32 v2, 28, v5
	v_lshlrev_b64 v[2:3], v2, v[36:37]
	v_lshrrev_b32_e32 v4, 3, v0
	v_sub_u32_e32 v3, 29, v5
	v_cmp_gt_u32_e64 s[8:9], 8, v0
	v_and_b32_e32 v2, 7, v2
	v_cndmask_b32_e64 v0, v4, v3, s[8:9]
	v_mov_b32_e32 v3, 0x2000
	v_cndmask_b32_e64 v1, v1, v2, s[8:9]
	v_lshlrev_b32_e32 v2, 8, v36
	v_lshl_add_u32 v0, v0, 10, v3
	v_and_or_b32 v0, v2, s41, v0
	v_lshl_or_b32 v0, v1, 7, v0
	v_cvt_f32_f16_e32 v30, v0
.LBB284_98:                             ;   in Loop: Header=BB284_13 Depth=1
	s_or_b64 exec, exec, s[36:37]
.LBB284_99:                             ;   in Loop: Header=BB284_13 Depth=1
	s_or_b64 exec, exec, s[34:35]
.LBB284_100:                            ;   in Loop: Header=BB284_13 Depth=1
	s_or_b64 exec, exec, s[30:31]
	flat_load_ushort v0, v[34:35] offset:776
	v_mov_b32_e32 v1, 0
	v_mov_b32_e32 v39, 0
	;; [unrolled: 1-line block ×3, first 2 shown]
	s_waitcnt vmcnt(0) lgkmcnt(0)
	v_and_b32_e32 v36, 0xffff, v0
	v_cmp_ne_u16_sdwa s[8:9], v0, v1 src0_sel:BYTE_0 src1_sel:DWORD
	s_and_saveexec_b64 s[30:31], s[8:9]
	s_cbranch_execz .LBB284_106
; %bb.101:                              ;   in Loop: Header=BB284_13 Depth=1
	v_cmp_ne_u16_sdwa s[8:9], v36, s39 src0_sel:BYTE_0 src1_sel:DWORD
	v_bfrev_b32_e32 v48, 1
	s_and_saveexec_b64 s[34:35], s[8:9]
	s_cbranch_execz .LBB284_105
; %bb.102:                              ;   in Loop: Header=BB284_13 Depth=1
	v_and_b32_e32 v0, 0x7f, v36
	v_cmp_ne_u32_e64 s[8:9], s40, v0
	v_mov_b32_e32 v48, 0x7fc02000
	s_and_saveexec_b64 s[36:37], s[8:9]
	s_cbranch_execz .LBB284_104
; %bb.103:                              ;   in Loop: Header=BB284_13 Depth=1
	v_and_b32_e32 v2, 7, v36
	v_lshrrev_b32_e32 v3, 3, v0
	v_cmp_gt_u32_e64 s[8:9], 8, v0
	v_ffbh_u32_e32 v0, v2
	v_min_u32_e32 v4, 32, v0
	v_subrev_u32_e32 v0, 28, v4
	v_lshlrev_b64 v[0:1], v0, v[36:37]
	v_sub_u32_e32 v1, 29, v4
	v_and_b32_e32 v0, 7, v0
	v_cndmask_b32_e64 v1, v3, v1, s[8:9]
	v_mov_b32_e32 v3, 0x2000
	v_cndmask_b32_e64 v0, v2, v0, s[8:9]
	v_lshlrev_b32_e32 v2, 8, v36
	v_lshl_add_u32 v1, v1, 10, v3
	v_and_or_b32 v1, v2, s41, v1
	v_lshl_or_b32 v0, v0, 7, v1
	v_cvt_f32_f16_e32 v48, v0
.LBB284_104:                            ;   in Loop: Header=BB284_13 Depth=1
	s_or_b64 exec, exec, s[36:37]
.LBB284_105:                            ;   in Loop: Header=BB284_13 Depth=1
	s_or_b64 exec, exec, s[34:35]
.LBB284_106:                            ;   in Loop: Header=BB284_13 Depth=1
	s_or_b64 exec, exec, s[30:31]
	v_lshrrev_b16_e32 v36, 8, v36
	v_cmp_ne_u16_e64 s[8:9], 0, v36
	s_and_saveexec_b64 s[30:31], s[8:9]
	s_cbranch_execz .LBB284_112
; %bb.107:                              ;   in Loop: Header=BB284_13 Depth=1
	v_cmp_ne_u16_e64 s[8:9], s39, v36
	v_bfrev_b32_e32 v39, 1
	s_and_saveexec_b64 s[34:35], s[8:9]
	s_cbranch_execz .LBB284_111
; %bb.108:                              ;   in Loop: Header=BB284_13 Depth=1
	v_and_b32_e32 v0, 0x7f, v36
	v_cmp_ne_u32_e64 s[8:9], s40, v0
	v_mov_b32_e32 v39, 0x7fc02000
	s_and_saveexec_b64 s[36:37], s[8:9]
	s_cbranch_execz .LBB284_110
; %bb.109:                              ;   in Loop: Header=BB284_13 Depth=1
	v_and_b32_e32 v2, 7, v36
	v_lshrrev_b32_e32 v3, 3, v0
	v_cmp_gt_u32_e64 s[8:9], 8, v0
	v_ffbh_u32_e32 v0, v2
	v_min_u32_e32 v4, 32, v0
	v_subrev_u32_e32 v0, 28, v4
	v_lshlrev_b64 v[0:1], v0, v[36:37]
	v_sub_u32_e32 v1, 29, v4
	v_and_b32_e32 v0, 7, v0
	v_cndmask_b32_e64 v1, v3, v1, s[8:9]
	v_mov_b32_e32 v3, 0x2000
	v_cndmask_b32_e64 v0, v2, v0, s[8:9]
	v_lshlrev_b32_e32 v2, 8, v36
	v_lshl_add_u32 v1, v1, 10, v3
	v_and_or_b32 v1, v2, s41, v1
	v_lshl_or_b32 v0, v0, 7, v1
	v_cvt_f32_f16_e32 v39, v0
.LBB284_110:                            ;   in Loop: Header=BB284_13 Depth=1
	s_or_b64 exec, exec, s[36:37]
.LBB284_111:                            ;   in Loop: Header=BB284_13 Depth=1
	s_or_b64 exec, exec, s[34:35]
.LBB284_112:                            ;   in Loop: Header=BB284_13 Depth=1
	s_or_b64 exec, exec, s[30:31]
	flat_load_ushort v0, v[34:35] offset:1024
	v_mov_b32_e32 v1, 0
	v_mov_b32_e32 v50, 0
	;; [unrolled: 1-line block ×3, first 2 shown]
	s_waitcnt vmcnt(0) lgkmcnt(0)
	v_and_b32_e32 v36, 0xffff, v0
	v_cmp_ne_u16_sdwa s[8:9], v0, v1 src0_sel:BYTE_0 src1_sel:DWORD
	s_and_saveexec_b64 s[30:31], s[8:9]
	s_cbranch_execz .LBB284_118
; %bb.113:                              ;   in Loop: Header=BB284_13 Depth=1
	v_cmp_ne_u16_sdwa s[8:9], v36, s39 src0_sel:BYTE_0 src1_sel:DWORD
	v_bfrev_b32_e32 v14, 1
	s_and_saveexec_b64 s[34:35], s[8:9]
	s_cbranch_execz .LBB284_117
; %bb.114:                              ;   in Loop: Header=BB284_13 Depth=1
	v_and_b32_e32 v2, 0x7f, v36
	v_cmp_ne_u32_e64 s[8:9], s40, v2
	v_mov_b32_e32 v14, 0x7fc02000
	s_and_saveexec_b64 s[36:37], s[8:9]
	s_cbranch_execz .LBB284_116
; %bb.115:                              ;   in Loop: Header=BB284_13 Depth=1
	v_and_b32_e32 v0, 7, v36
	v_ffbh_u32_e32 v3, v0
	v_min_u32_e32 v3, 32, v3
	v_lshrrev_b32_e32 v1, 3, v2
	v_subrev_u32_e32 v4, 28, v3
	v_sub_u32_e32 v3, 29, v3
	v_cmp_gt_u32_e64 s[8:9], 8, v2
	v_lshlrev_b64 v[4:5], v4, v[36:37]
	v_cndmask_b32_e64 v1, v1, v3, s[8:9]
	v_mov_b32_e32 v3, 0x2000
	v_and_b32_e32 v4, 7, v4
	v_lshlrev_b32_e32 v2, 8, v36
	v_lshl_add_u32 v1, v1, 10, v3
	v_cndmask_b32_e64 v0, v0, v4, s[8:9]
	v_and_or_b32 v1, v2, s41, v1
	v_lshl_or_b32 v0, v0, 7, v1
	v_cvt_f32_f16_e32 v14, v0
.LBB284_116:                            ;   in Loop: Header=BB284_13 Depth=1
	s_or_b64 exec, exec, s[36:37]
.LBB284_117:                            ;   in Loop: Header=BB284_13 Depth=1
	s_or_b64 exec, exec, s[34:35]
.LBB284_118:                            ;   in Loop: Header=BB284_13 Depth=1
	s_or_b64 exec, exec, s[30:31]
	v_lshrrev_b16_e32 v36, 8, v36
	v_cmp_ne_u16_e64 s[8:9], 0, v36
	s_and_saveexec_b64 s[30:31], s[8:9]
	s_cbranch_execz .LBB284_124
; %bb.119:                              ;   in Loop: Header=BB284_13 Depth=1
	v_cmp_ne_u16_e64 s[8:9], s39, v36
	v_bfrev_b32_e32 v50, 1
	s_and_saveexec_b64 s[34:35], s[8:9]
	s_cbranch_execz .LBB284_123
; %bb.120:                              ;   in Loop: Header=BB284_13 Depth=1
	v_and_b32_e32 v2, 0x7f, v36
	v_cmp_ne_u32_e64 s[8:9], s40, v2
	v_mov_b32_e32 v50, 0x7fc02000
	s_and_saveexec_b64 s[36:37], s[8:9]
	s_cbranch_execz .LBB284_122
; %bb.121:                              ;   in Loop: Header=BB284_13 Depth=1
	v_and_b32_e32 v0, 7, v36
	v_ffbh_u32_e32 v3, v0
	v_min_u32_e32 v3, 32, v3
	v_lshrrev_b32_e32 v1, 3, v2
	v_subrev_u32_e32 v4, 28, v3
	v_sub_u32_e32 v3, 29, v3
	v_cmp_gt_u32_e64 s[8:9], 8, v2
	v_lshlrev_b64 v[4:5], v4, v[36:37]
	v_cndmask_b32_e64 v1, v1, v3, s[8:9]
	v_mov_b32_e32 v3, 0x2000
	v_and_b32_e32 v4, 7, v4
	v_lshlrev_b32_e32 v2, 8, v36
	v_lshl_add_u32 v1, v1, 10, v3
	v_cndmask_b32_e64 v0, v0, v4, s[8:9]
	v_and_or_b32 v1, v2, s41, v1
	v_lshl_or_b32 v0, v0, 7, v1
	v_cvt_f32_f16_e32 v50, v0
.LBB284_122:                            ;   in Loop: Header=BB284_13 Depth=1
	s_or_b64 exec, exec, s[36:37]
.LBB284_123:                            ;   in Loop: Header=BB284_13 Depth=1
	s_or_b64 exec, exec, s[34:35]
.LBB284_124:                            ;   in Loop: Header=BB284_13 Depth=1
	s_or_b64 exec, exec, s[30:31]
	flat_load_ushort v0, v[34:35] offset:1032
	v_mov_b32_e32 v1, 0
	v_mov_b32_e32 v17, 0
	;; [unrolled: 1-line block ×3, first 2 shown]
	s_waitcnt vmcnt(0) lgkmcnt(0)
	v_and_b32_e32 v36, 0xffff, v0
	v_cmp_ne_u16_sdwa s[8:9], v0, v1 src0_sel:BYTE_0 src1_sel:DWORD
	s_and_saveexec_b64 s[30:31], s[8:9]
	s_cbranch_execz .LBB284_130
; %bb.125:                              ;   in Loop: Header=BB284_13 Depth=1
	v_cmp_ne_u16_sdwa s[8:9], v36, s39 src0_sel:BYTE_0 src1_sel:DWORD
	v_bfrev_b32_e32 v42, 1
	s_and_saveexec_b64 s[34:35], s[8:9]
	s_cbranch_execz .LBB284_129
; %bb.126:                              ;   in Loop: Header=BB284_13 Depth=1
	v_and_b32_e32 v4, 0x7f, v36
	v_cmp_ne_u32_e64 s[8:9], s40, v4
	v_mov_b32_e32 v42, 0x7fc02000
	s_and_saveexec_b64 s[36:37], s[8:9]
	s_cbranch_execz .LBB284_128
; %bb.127:                              ;   in Loop: Header=BB284_13 Depth=1
	v_and_b32_e32 v0, 7, v36
	v_ffbh_u32_e32 v2, v0
	v_min_u32_e32 v2, 32, v2
	v_lshrrev_b32_e32 v1, 3, v4
	v_subrev_u32_e32 v5, 28, v2
	v_sub_u32_e32 v2, 29, v2
	v_cmp_gt_u32_e64 s[8:9], 8, v4
	v_lshlrev_b64 v[6:7], v5, v[36:37]
	v_cndmask_b32_e64 v1, v1, v2, s[8:9]
	v_mov_b32_e32 v3, 0x2000
	v_and_b32_e32 v5, 7, v6
	v_lshlrev_b32_e32 v2, 8, v36
	v_lshl_add_u32 v1, v1, 10, v3
	v_cndmask_b32_e64 v0, v0, v5, s[8:9]
	v_and_or_b32 v1, v2, s41, v1
	v_lshl_or_b32 v0, v0, 7, v1
	v_cvt_f32_f16_e32 v42, v0
.LBB284_128:                            ;   in Loop: Header=BB284_13 Depth=1
	s_or_b64 exec, exec, s[36:37]
.LBB284_129:                            ;   in Loop: Header=BB284_13 Depth=1
	s_or_b64 exec, exec, s[34:35]
.LBB284_130:                            ;   in Loop: Header=BB284_13 Depth=1
	s_or_b64 exec, exec, s[30:31]
	v_lshrrev_b16_e32 v36, 8, v36
	v_cmp_ne_u16_e64 s[8:9], 0, v36
	s_and_saveexec_b64 s[30:31], s[8:9]
	s_cbranch_execz .LBB284_136
; %bb.131:                              ;   in Loop: Header=BB284_13 Depth=1
	v_cmp_ne_u16_e64 s[8:9], s39, v36
	v_bfrev_b32_e32 v17, 1
	s_and_saveexec_b64 s[34:35], s[8:9]
	s_cbranch_execz .LBB284_135
; %bb.132:                              ;   in Loop: Header=BB284_13 Depth=1
	v_and_b32_e32 v4, 0x7f, v36
	v_cmp_ne_u32_e64 s[8:9], s40, v4
	v_mov_b32_e32 v17, 0x7fc02000
	s_and_saveexec_b64 s[36:37], s[8:9]
	s_cbranch_execz .LBB284_134
; %bb.133:                              ;   in Loop: Header=BB284_13 Depth=1
	v_and_b32_e32 v0, 7, v36
	v_ffbh_u32_e32 v3, v0
	v_min_u32_e32 v3, 32, v3
	v_lshrrev_b32_e32 v1, 3, v4
	v_subrev_u32_e32 v5, 28, v3
	v_sub_u32_e32 v3, 29, v3
	v_cmp_gt_u32_e64 s[8:9], 8, v4
	v_lshlrev_b64 v[6:7], v5, v[36:37]
	v_cndmask_b32_e64 v1, v1, v3, s[8:9]
	v_mov_b32_e32 v2, 0x2000
	v_and_b32_e32 v5, 7, v6
	v_lshlrev_b32_e32 v3, 8, v36
	v_lshl_add_u32 v1, v1, 10, v2
	v_cndmask_b32_e64 v0, v0, v5, s[8:9]
	v_and_or_b32 v1, v3, s41, v1
	v_lshl_or_b32 v0, v0, 7, v1
	v_cvt_f32_f16_e32 v17, v0
.LBB284_134:                            ;   in Loop: Header=BB284_13 Depth=1
	s_or_b64 exec, exec, s[36:37]
.LBB284_135:                            ;   in Loop: Header=BB284_13 Depth=1
	s_or_b64 exec, exec, s[34:35]
.LBB284_136:                            ;   in Loop: Header=BB284_13 Depth=1
	s_or_b64 exec, exec, s[30:31]
	flat_load_ushort v0, v[34:35] offset:1280
	v_mov_b32_e32 v1, 0
	v_mov_b32_e32 v43, 0
	;; [unrolled: 1-line block ×3, first 2 shown]
	s_waitcnt vmcnt(0) lgkmcnt(0)
	v_and_b32_e32 v36, 0xffff, v0
	v_cmp_ne_u16_sdwa s[8:9], v0, v1 src0_sel:BYTE_0 src1_sel:DWORD
	s_and_saveexec_b64 s[30:31], s[8:9]
	s_cbranch_execz .LBB284_142
; %bb.137:                              ;   in Loop: Header=BB284_13 Depth=1
	v_cmp_ne_u16_sdwa s[8:9], v36, s39 src0_sel:BYTE_0 src1_sel:DWORD
	v_bfrev_b32_e32 v19, 1
	s_and_saveexec_b64 s[34:35], s[8:9]
	s_cbranch_execz .LBB284_141
; %bb.138:                              ;   in Loop: Header=BB284_13 Depth=1
	v_and_b32_e32 v4, 0x7f, v36
	v_cmp_ne_u32_e64 s[8:9], s40, v4
	v_mov_b32_e32 v19, 0x7fc02000
	s_and_saveexec_b64 s[36:37], s[8:9]
	s_cbranch_execz .LBB284_140
; %bb.139:                              ;   in Loop: Header=BB284_13 Depth=1
	v_and_b32_e32 v0, 7, v36
	v_ffbh_u32_e32 v5, v0
	v_min_u32_e32 v5, 32, v5
	v_lshrrev_b32_e32 v1, 3, v4
	v_subrev_u32_e32 v6, 28, v5
	v_sub_u32_e32 v5, 29, v5
	v_cmp_gt_u32_e64 s[8:9], 8, v4
	v_lshlrev_b64 v[6:7], v6, v[36:37]
	v_cndmask_b32_e64 v1, v1, v5, s[8:9]
	v_mov_b32_e32 v2, 0x2000
	v_and_b32_e32 v6, 7, v6
	v_lshlrev_b32_e32 v4, 8, v36
	v_lshl_add_u32 v1, v1, 10, v2
	v_cndmask_b32_e64 v0, v0, v6, s[8:9]
	v_and_or_b32 v1, v4, s41, v1
	v_lshl_or_b32 v0, v0, 7, v1
	v_cvt_f32_f16_e32 v19, v0
.LBB284_140:                            ;   in Loop: Header=BB284_13 Depth=1
	s_or_b64 exec, exec, s[36:37]
.LBB284_141:                            ;   in Loop: Header=BB284_13 Depth=1
	s_or_b64 exec, exec, s[34:35]
.LBB284_142:                            ;   in Loop: Header=BB284_13 Depth=1
	s_or_b64 exec, exec, s[30:31]
	v_lshrrev_b16_e32 v36, 8, v36
	v_cmp_ne_u16_e64 s[8:9], 0, v36
	s_and_saveexec_b64 s[30:31], s[8:9]
	s_cbranch_execz .LBB284_148
; %bb.143:                              ;   in Loop: Header=BB284_13 Depth=1
	v_cmp_ne_u16_e64 s[8:9], s39, v36
	v_bfrev_b32_e32 v43, 1
	s_and_saveexec_b64 s[34:35], s[8:9]
	s_cbranch_execz .LBB284_147
; %bb.144:                              ;   in Loop: Header=BB284_13 Depth=1
	v_and_b32_e32 v4, 0x7f, v36
	v_cmp_ne_u32_e64 s[8:9], s40, v4
	v_mov_b32_e32 v43, 0x7fc02000
	s_and_saveexec_b64 s[36:37], s[8:9]
	s_cbranch_execz .LBB284_146
; %bb.145:                              ;   in Loop: Header=BB284_13 Depth=1
	v_and_b32_e32 v0, 7, v36
	v_ffbh_u32_e32 v5, v0
	v_min_u32_e32 v5, 32, v5
	v_lshrrev_b32_e32 v1, 3, v4
	v_subrev_u32_e32 v6, 28, v5
	v_sub_u32_e32 v5, 29, v5
	v_cmp_gt_u32_e64 s[8:9], 8, v4
	v_lshlrev_b64 v[6:7], v6, v[36:37]
	v_cndmask_b32_e64 v1, v1, v5, s[8:9]
	v_mov_b32_e32 v2, 0x2000
	v_and_b32_e32 v6, 7, v6
	v_lshlrev_b32_e32 v4, 8, v36
	v_lshl_add_u32 v1, v1, 10, v2
	v_cndmask_b32_e64 v0, v0, v6, s[8:9]
	v_and_or_b32 v1, v4, s41, v1
	v_lshl_or_b32 v0, v0, 7, v1
	v_cvt_f32_f16_e32 v43, v0
.LBB284_146:                            ;   in Loop: Header=BB284_13 Depth=1
	s_or_b64 exec, exec, s[36:37]
.LBB284_147:                            ;   in Loop: Header=BB284_13 Depth=1
	s_or_b64 exec, exec, s[34:35]
.LBB284_148:                            ;   in Loop: Header=BB284_13 Depth=1
	s_or_b64 exec, exec, s[30:31]
	flat_load_ushort v0, v[34:35] offset:1288
	v_mov_b32_e32 v1, 0
	v_mov_b32_e32 v56, 0
	;; [unrolled: 1-line block ×3, first 2 shown]
	s_waitcnt vmcnt(0) lgkmcnt(0)
	v_and_b32_e32 v36, 0xffff, v0
	v_cmp_ne_u16_sdwa s[8:9], v0, v1 src0_sel:BYTE_0 src1_sel:DWORD
	s_and_saveexec_b64 s[30:31], s[8:9]
	s_cbranch_execz .LBB284_154
; %bb.149:                              ;   in Loop: Header=BB284_13 Depth=1
	v_cmp_ne_u16_sdwa s[8:9], v36, s39 src0_sel:BYTE_0 src1_sel:DWORD
	v_bfrev_b32_e32 v24, 1
	s_and_saveexec_b64 s[34:35], s[8:9]
	s_cbranch_execz .LBB284_153
; %bb.150:                              ;   in Loop: Header=BB284_13 Depth=1
	v_and_b32_e32 v4, 0x7f, v36
	v_cmp_ne_u32_e64 s[8:9], s40, v4
	v_mov_b32_e32 v24, 0x7fc02000
	s_and_saveexec_b64 s[36:37], s[8:9]
	s_cbranch_execz .LBB284_152
; %bb.151:                              ;   in Loop: Header=BB284_13 Depth=1
	v_and_b32_e32 v0, 7, v36
	v_ffbh_u32_e32 v5, v0
	v_min_u32_e32 v5, 32, v5
	v_lshrrev_b32_e32 v1, 3, v4
	v_subrev_u32_e32 v6, 28, v5
	v_sub_u32_e32 v5, 29, v5
	v_cmp_gt_u32_e64 s[8:9], 8, v4
	v_lshlrev_b64 v[6:7], v6, v[36:37]
	v_cndmask_b32_e64 v1, v1, v5, s[8:9]
	v_mov_b32_e32 v2, 0x2000
	v_and_b32_e32 v6, 7, v6
	v_lshlrev_b32_e32 v4, 8, v36
	v_lshl_add_u32 v1, v1, 10, v2
	v_cndmask_b32_e64 v0, v0, v6, s[8:9]
	v_and_or_b32 v1, v4, s41, v1
	v_lshl_or_b32 v0, v0, 7, v1
	v_cvt_f32_f16_e32 v24, v0
.LBB284_152:                            ;   in Loop: Header=BB284_13 Depth=1
	s_or_b64 exec, exec, s[36:37]
.LBB284_153:                            ;   in Loop: Header=BB284_13 Depth=1
	s_or_b64 exec, exec, s[34:35]
.LBB284_154:                            ;   in Loop: Header=BB284_13 Depth=1
	s_or_b64 exec, exec, s[30:31]
	v_lshrrev_b16_e32 v36, 8, v36
	v_cmp_ne_u16_e64 s[8:9], 0, v36
	s_and_saveexec_b64 s[30:31], s[8:9]
	s_cbranch_execz .LBB284_160
; %bb.155:                              ;   in Loop: Header=BB284_13 Depth=1
	v_cmp_ne_u16_e64 s[8:9], s39, v36
	v_bfrev_b32_e32 v56, 1
	s_and_saveexec_b64 s[34:35], s[8:9]
	s_cbranch_execz .LBB284_159
; %bb.156:                              ;   in Loop: Header=BB284_13 Depth=1
	v_and_b32_e32 v4, 0x7f, v36
	v_cmp_ne_u32_e64 s[8:9], s40, v4
	v_mov_b32_e32 v56, 0x7fc02000
	s_and_saveexec_b64 s[36:37], s[8:9]
	s_cbranch_execz .LBB284_158
; %bb.157:                              ;   in Loop: Header=BB284_13 Depth=1
	v_and_b32_e32 v0, 7, v36
	v_ffbh_u32_e32 v5, v0
	v_min_u32_e32 v5, 32, v5
	v_lshrrev_b32_e32 v1, 3, v4
	v_subrev_u32_e32 v6, 28, v5
	v_sub_u32_e32 v5, 29, v5
	v_cmp_gt_u32_e64 s[8:9], 8, v4
	v_lshlrev_b64 v[6:7], v6, v[36:37]
	v_cndmask_b32_e64 v1, v1, v5, s[8:9]
	v_mov_b32_e32 v2, 0x2000
	v_and_b32_e32 v6, 7, v6
	v_lshlrev_b32_e32 v4, 8, v36
	v_lshl_add_u32 v1, v1, 10, v2
	v_cndmask_b32_e64 v0, v0, v6, s[8:9]
	v_and_or_b32 v1, v4, s41, v1
	v_lshl_or_b32 v0, v0, 7, v1
	v_cvt_f32_f16_e32 v56, v0
.LBB284_158:                            ;   in Loop: Header=BB284_13 Depth=1
	s_or_b64 exec, exec, s[36:37]
.LBB284_159:                            ;   in Loop: Header=BB284_13 Depth=1
	s_or_b64 exec, exec, s[34:35]
.LBB284_160:                            ;   in Loop: Header=BB284_13 Depth=1
	s_or_b64 exec, exec, s[30:31]
	flat_load_ushort v0, v[34:35] offset:1536
	v_mov_b32_e32 v1, 0
	v_mov_b32_e32 v59, 0
	;; [unrolled: 1-line block ×3, first 2 shown]
	s_waitcnt vmcnt(0) lgkmcnt(0)
	v_and_b32_e32 v36, 0xffff, v0
	v_cmp_ne_u16_sdwa s[8:9], v0, v1 src0_sel:BYTE_0 src1_sel:DWORD
	s_and_saveexec_b64 s[30:31], s[8:9]
	s_cbranch_execz .LBB284_166
; %bb.161:                              ;   in Loop: Header=BB284_13 Depth=1
	v_cmp_ne_u16_sdwa s[8:9], v36, s39 src0_sel:BYTE_0 src1_sel:DWORD
	v_bfrev_b32_e32 v60, 1
	s_and_saveexec_b64 s[34:35], s[8:9]
	s_cbranch_execz .LBB284_165
; %bb.162:                              ;   in Loop: Header=BB284_13 Depth=1
	v_and_b32_e32 v4, 0x7f, v36
	v_cmp_ne_u32_e64 s[8:9], s40, v4
	v_mov_b32_e32 v60, 0x7fc02000
	s_and_saveexec_b64 s[36:37], s[8:9]
	s_cbranch_execz .LBB284_164
; %bb.163:                              ;   in Loop: Header=BB284_13 Depth=1
	v_and_b32_e32 v0, 7, v36
	v_ffbh_u32_e32 v5, v0
	v_min_u32_e32 v5, 32, v5
	v_lshrrev_b32_e32 v1, 3, v4
	v_subrev_u32_e32 v6, 28, v5
	v_sub_u32_e32 v5, 29, v5
	v_cmp_gt_u32_e64 s[8:9], 8, v4
	v_lshlrev_b64 v[6:7], v6, v[36:37]
	v_cndmask_b32_e64 v1, v1, v5, s[8:9]
	v_mov_b32_e32 v2, 0x2000
	v_and_b32_e32 v6, 7, v6
	v_lshlrev_b32_e32 v4, 8, v36
	v_lshl_add_u32 v1, v1, 10, v2
	v_cndmask_b32_e64 v0, v0, v6, s[8:9]
	v_and_or_b32 v1, v4, s41, v1
	v_lshl_or_b32 v0, v0, 7, v1
	v_cvt_f32_f16_e32 v60, v0
.LBB284_164:                            ;   in Loop: Header=BB284_13 Depth=1
	s_or_b64 exec, exec, s[36:37]
.LBB284_165:                            ;   in Loop: Header=BB284_13 Depth=1
	s_or_b64 exec, exec, s[34:35]
.LBB284_166:                            ;   in Loop: Header=BB284_13 Depth=1
	s_or_b64 exec, exec, s[30:31]
	v_lshrrev_b16_e32 v36, 8, v36
	v_cmp_ne_u16_e64 s[8:9], 0, v36
	s_and_saveexec_b64 s[30:31], s[8:9]
	s_cbranch_execz .LBB284_172
; %bb.167:                              ;   in Loop: Header=BB284_13 Depth=1
	v_cmp_ne_u16_e64 s[8:9], s39, v36
	v_bfrev_b32_e32 v59, 1
	s_and_saveexec_b64 s[34:35], s[8:9]
	s_cbranch_execz .LBB284_171
; %bb.168:                              ;   in Loop: Header=BB284_13 Depth=1
	v_and_b32_e32 v4, 0x7f, v36
	v_cmp_ne_u32_e64 s[8:9], s40, v4
	v_mov_b32_e32 v59, 0x7fc02000
	s_and_saveexec_b64 s[36:37], s[8:9]
	s_cbranch_execz .LBB284_170
; %bb.169:                              ;   in Loop: Header=BB284_13 Depth=1
	v_and_b32_e32 v0, 7, v36
	v_ffbh_u32_e32 v5, v0
	v_min_u32_e32 v5, 32, v5
	v_lshrrev_b32_e32 v1, 3, v4
	v_subrev_u32_e32 v6, 28, v5
	v_sub_u32_e32 v5, 29, v5
	v_cmp_gt_u32_e64 s[8:9], 8, v4
	v_lshlrev_b64 v[6:7], v6, v[36:37]
	v_cndmask_b32_e64 v1, v1, v5, s[8:9]
	v_mov_b32_e32 v2, 0x2000
	v_and_b32_e32 v6, 7, v6
	v_lshlrev_b32_e32 v4, 8, v36
	v_lshl_add_u32 v1, v1, 10, v2
	v_cndmask_b32_e64 v0, v0, v6, s[8:9]
	v_and_or_b32 v1, v4, s41, v1
	v_lshl_or_b32 v0, v0, 7, v1
	v_cvt_f32_f16_e32 v59, v0
.LBB284_170:                            ;   in Loop: Header=BB284_13 Depth=1
	s_or_b64 exec, exec, s[36:37]
.LBB284_171:                            ;   in Loop: Header=BB284_13 Depth=1
	s_or_b64 exec, exec, s[34:35]
.LBB284_172:                            ;   in Loop: Header=BB284_13 Depth=1
	s_or_b64 exec, exec, s[30:31]
	flat_load_ushort v0, v[34:35] offset:1544
	v_mov_b32_e32 v1, 0
	v_mov_b32_e32 v61, 0
	;; [unrolled: 1-line block ×3, first 2 shown]
	s_waitcnt vmcnt(0) lgkmcnt(0)
	v_and_b32_e32 v36, 0xffff, v0
	v_cmp_ne_u16_sdwa s[8:9], v0, v1 src0_sel:BYTE_0 src1_sel:DWORD
	s_and_saveexec_b64 s[30:31], s[8:9]
	s_cbranch_execz .LBB284_178
; %bb.173:                              ;   in Loop: Header=BB284_13 Depth=1
	v_cmp_ne_u16_sdwa s[8:9], v36, s39 src0_sel:BYTE_0 src1_sel:DWORD
	v_bfrev_b32_e32 v46, 1
	s_and_saveexec_b64 s[34:35], s[8:9]
	s_cbranch_execz .LBB284_177
; %bb.174:                              ;   in Loop: Header=BB284_13 Depth=1
	v_and_b32_e32 v4, 0x7f, v36
	v_cmp_ne_u32_e64 s[8:9], s40, v4
	v_mov_b32_e32 v46, 0x7fc02000
	s_and_saveexec_b64 s[36:37], s[8:9]
	s_cbranch_execz .LBB284_176
; %bb.175:                              ;   in Loop: Header=BB284_13 Depth=1
	v_and_b32_e32 v0, 7, v36
	v_ffbh_u32_e32 v5, v0
	v_min_u32_e32 v5, 32, v5
	v_lshrrev_b32_e32 v1, 3, v4
	v_subrev_u32_e32 v6, 28, v5
	v_sub_u32_e32 v5, 29, v5
	v_cmp_gt_u32_e64 s[8:9], 8, v4
	v_lshlrev_b64 v[6:7], v6, v[36:37]
	v_cndmask_b32_e64 v1, v1, v5, s[8:9]
	v_mov_b32_e32 v2, 0x2000
	v_and_b32_e32 v6, 7, v6
	v_lshlrev_b32_e32 v4, 8, v36
	v_lshl_add_u32 v1, v1, 10, v2
	v_cndmask_b32_e64 v0, v0, v6, s[8:9]
	v_and_or_b32 v1, v4, s41, v1
	v_lshl_or_b32 v0, v0, 7, v1
	v_cvt_f32_f16_e32 v46, v0
.LBB284_176:                            ;   in Loop: Header=BB284_13 Depth=1
	s_or_b64 exec, exec, s[36:37]
.LBB284_177:                            ;   in Loop: Header=BB284_13 Depth=1
	s_or_b64 exec, exec, s[34:35]
.LBB284_178:                            ;   in Loop: Header=BB284_13 Depth=1
	s_or_b64 exec, exec, s[30:31]
	v_lshrrev_b16_e32 v36, 8, v36
	v_cmp_ne_u16_e64 s[8:9], 0, v36
	s_and_saveexec_b64 s[30:31], s[8:9]
	s_cbranch_execz .LBB284_184
; %bb.179:                              ;   in Loop: Header=BB284_13 Depth=1
	v_cmp_ne_u16_e64 s[8:9], s39, v36
	v_bfrev_b32_e32 v61, 1
	s_and_saveexec_b64 s[34:35], s[8:9]
	s_cbranch_execz .LBB284_183
; %bb.180:                              ;   in Loop: Header=BB284_13 Depth=1
	v_and_b32_e32 v4, 0x7f, v36
	v_cmp_ne_u32_e64 s[8:9], s40, v4
	v_mov_b32_e32 v61, 0x7fc02000
	s_and_saveexec_b64 s[36:37], s[8:9]
	s_cbranch_execz .LBB284_182
; %bb.181:                              ;   in Loop: Header=BB284_13 Depth=1
	v_and_b32_e32 v0, 7, v36
	v_ffbh_u32_e32 v5, v0
	v_min_u32_e32 v5, 32, v5
	v_lshrrev_b32_e32 v1, 3, v4
	v_subrev_u32_e32 v6, 28, v5
	v_sub_u32_e32 v5, 29, v5
	v_cmp_gt_u32_e64 s[8:9], 8, v4
	v_lshlrev_b64 v[6:7], v6, v[36:37]
	v_cndmask_b32_e64 v1, v1, v5, s[8:9]
	v_mov_b32_e32 v2, 0x2000
	v_and_b32_e32 v6, 7, v6
	v_lshlrev_b32_e32 v4, 8, v36
	v_lshl_add_u32 v1, v1, 10, v2
	v_cndmask_b32_e64 v0, v0, v6, s[8:9]
	v_and_or_b32 v1, v4, s41, v1
	v_lshl_or_b32 v0, v0, 7, v1
	v_cvt_f32_f16_e32 v61, v0
.LBB284_182:                            ;   in Loop: Header=BB284_13 Depth=1
	s_or_b64 exec, exec, s[36:37]
.LBB284_183:                            ;   in Loop: Header=BB284_13 Depth=1
	s_or_b64 exec, exec, s[34:35]
.LBB284_184:                            ;   in Loop: Header=BB284_13 Depth=1
	s_or_b64 exec, exec, s[30:31]
	flat_load_ushort v0, v[34:35] offset:1792
	v_mov_b32_e32 v1, 0
	v_mov_b32_e32 v62, 0
	;; [unrolled: 1-line block ×3, first 2 shown]
	s_waitcnt vmcnt(0) lgkmcnt(0)
	v_and_b32_e32 v36, 0xffff, v0
	v_cmp_ne_u16_sdwa s[8:9], v0, v1 src0_sel:BYTE_0 src1_sel:DWORD
	s_and_saveexec_b64 s[30:31], s[8:9]
	s_cbranch_execz .LBB284_190
; %bb.185:                              ;   in Loop: Header=BB284_13 Depth=1
	v_cmp_ne_u16_sdwa s[8:9], v36, s39 src0_sel:BYTE_0 src1_sel:DWORD
	v_bfrev_b32_e32 v16, 1
	s_and_saveexec_b64 s[34:35], s[8:9]
	s_cbranch_execz .LBB284_189
; %bb.186:                              ;   in Loop: Header=BB284_13 Depth=1
	v_and_b32_e32 v4, 0x7f, v36
	v_cmp_ne_u32_e64 s[8:9], s40, v4
	v_mov_b32_e32 v16, 0x7fc02000
	s_and_saveexec_b64 s[36:37], s[8:9]
	s_cbranch_execz .LBB284_188
; %bb.187:                              ;   in Loop: Header=BB284_13 Depth=1
	v_and_b32_e32 v0, 7, v36
	v_ffbh_u32_e32 v5, v0
	v_min_u32_e32 v5, 32, v5
	v_lshrrev_b32_e32 v1, 3, v4
	v_subrev_u32_e32 v6, 28, v5
	v_sub_u32_e32 v5, 29, v5
	v_cmp_gt_u32_e64 s[8:9], 8, v4
	v_lshlrev_b64 v[6:7], v6, v[36:37]
	v_cndmask_b32_e64 v1, v1, v5, s[8:9]
	v_mov_b32_e32 v2, 0x2000
	v_and_b32_e32 v6, 7, v6
	v_lshlrev_b32_e32 v4, 8, v36
	v_lshl_add_u32 v1, v1, 10, v2
	v_cndmask_b32_e64 v0, v0, v6, s[8:9]
	v_and_or_b32 v1, v4, s41, v1
	v_lshl_or_b32 v0, v0, 7, v1
	v_cvt_f32_f16_e32 v16, v0
.LBB284_188:                            ;   in Loop: Header=BB284_13 Depth=1
	s_or_b64 exec, exec, s[36:37]
.LBB284_189:                            ;   in Loop: Header=BB284_13 Depth=1
	s_or_b64 exec, exec, s[34:35]
.LBB284_190:                            ;   in Loop: Header=BB284_13 Depth=1
	s_or_b64 exec, exec, s[30:31]
	v_lshrrev_b16_e32 v36, 8, v36
	v_cmp_ne_u16_e64 s[8:9], 0, v36
	s_and_saveexec_b64 s[30:31], s[8:9]
	s_cbranch_execz .LBB284_196
; %bb.191:                              ;   in Loop: Header=BB284_13 Depth=1
	v_cmp_ne_u16_e64 s[8:9], s39, v36
	v_bfrev_b32_e32 v62, 1
	s_and_saveexec_b64 s[34:35], s[8:9]
	s_cbranch_execz .LBB284_195
; %bb.192:                              ;   in Loop: Header=BB284_13 Depth=1
	v_and_b32_e32 v4, 0x7f, v36
	v_cmp_ne_u32_e64 s[8:9], s40, v4
	v_mov_b32_e32 v62, 0x7fc02000
	s_and_saveexec_b64 s[36:37], s[8:9]
	s_cbranch_execz .LBB284_194
; %bb.193:                              ;   in Loop: Header=BB284_13 Depth=1
	v_and_b32_e32 v0, 7, v36
	v_ffbh_u32_e32 v5, v0
	v_min_u32_e32 v5, 32, v5
	v_lshrrev_b32_e32 v1, 3, v4
	v_subrev_u32_e32 v6, 28, v5
	v_sub_u32_e32 v5, 29, v5
	v_cmp_gt_u32_e64 s[8:9], 8, v4
	v_lshlrev_b64 v[6:7], v6, v[36:37]
	v_cndmask_b32_e64 v1, v1, v5, s[8:9]
	v_mov_b32_e32 v2, 0x2000
	v_and_b32_e32 v6, 7, v6
	v_lshlrev_b32_e32 v4, 8, v36
	v_lshl_add_u32 v1, v1, 10, v2
	v_cndmask_b32_e64 v0, v0, v6, s[8:9]
	v_and_or_b32 v1, v4, s41, v1
	v_lshl_or_b32 v0, v0, 7, v1
	v_cvt_f32_f16_e32 v62, v0
.LBB284_194:                            ;   in Loop: Header=BB284_13 Depth=1
	s_or_b64 exec, exec, s[36:37]
.LBB284_195:                            ;   in Loop: Header=BB284_13 Depth=1
	s_or_b64 exec, exec, s[34:35]
.LBB284_196:                            ;   in Loop: Header=BB284_13 Depth=1
	s_or_b64 exec, exec, s[30:31]
	flat_load_ushort v0, v[34:35] offset:1800
	v_mov_b32_e32 v1, 0
	v_mov_b32_e32 v3, 0
	;; [unrolled: 1-line block ×3, first 2 shown]
	s_waitcnt vmcnt(0) lgkmcnt(0)
	v_and_b32_e32 v36, 0xffff, v0
	v_cmp_ne_u16_sdwa s[8:9], v0, v1 src0_sel:BYTE_0 src1_sel:DWORD
	s_and_saveexec_b64 s[30:31], s[8:9]
	s_cbranch_execz .LBB284_202
; %bb.197:                              ;   in Loop: Header=BB284_13 Depth=1
	v_cmp_ne_u16_sdwa s[8:9], v36, s39 src0_sel:BYTE_0 src1_sel:DWORD
	v_bfrev_b32_e32 v51, 1
	s_and_saveexec_b64 s[34:35], s[8:9]
	s_cbranch_execz .LBB284_201
; %bb.198:                              ;   in Loop: Header=BB284_13 Depth=1
	v_and_b32_e32 v4, 0x7f, v36
	v_cmp_ne_u32_e64 s[8:9], s40, v4
	v_mov_b32_e32 v51, 0x7fc02000
	s_and_saveexec_b64 s[36:37], s[8:9]
	s_cbranch_execz .LBB284_200
; %bb.199:                              ;   in Loop: Header=BB284_13 Depth=1
	v_and_b32_e32 v0, 7, v36
	v_lshrrev_b32_e32 v1, 3, v4
	v_cmp_gt_u32_e64 s[8:9], 8, v4
	v_ffbh_u32_e32 v4, v0
	v_min_u32_e32 v6, 32, v4
	v_subrev_u32_e32 v4, 28, v6
	v_lshlrev_b64 v[4:5], v4, v[36:37]
	v_sub_u32_e32 v5, 29, v6
	v_and_b32_e32 v4, 7, v4
	v_cndmask_b32_e64 v1, v1, v5, s[8:9]
	v_mov_b32_e32 v2, 0x2000
	v_cndmask_b32_e64 v0, v0, v4, s[8:9]
	v_lshlrev_b32_e32 v4, 8, v36
	v_lshl_add_u32 v1, v1, 10, v2
	v_and_or_b32 v1, v4, s41, v1
	v_lshl_or_b32 v0, v0, 7, v1
	v_cvt_f32_f16_e32 v51, v0
.LBB284_200:                            ;   in Loop: Header=BB284_13 Depth=1
	s_or_b64 exec, exec, s[36:37]
.LBB284_201:                            ;   in Loop: Header=BB284_13 Depth=1
	s_or_b64 exec, exec, s[34:35]
.LBB284_202:                            ;   in Loop: Header=BB284_13 Depth=1
	s_or_b64 exec, exec, s[30:31]
	v_lshrrev_b16_e32 v36, 8, v36
	v_cmp_ne_u16_e64 s[8:9], 0, v36
	s_and_saveexec_b64 s[30:31], s[8:9]
	s_cbranch_execz .LBB284_208
; %bb.203:                              ;   in Loop: Header=BB284_13 Depth=1
	v_cmp_ne_u16_e64 s[8:9], s39, v36
	v_bfrev_b32_e32 v3, 1
	s_and_saveexec_b64 s[34:35], s[8:9]
	s_cbranch_execz .LBB284_207
; %bb.204:                              ;   in Loop: Header=BB284_13 Depth=1
	v_and_b32_e32 v4, 0x7f, v36
	v_cmp_ne_u32_e64 s[8:9], s40, v4
	v_mov_b32_e32 v3, 0x7fc02000
	s_and_saveexec_b64 s[36:37], s[8:9]
	s_cbranch_execz .LBB284_206
; %bb.205:                              ;   in Loop: Header=BB284_13 Depth=1
	v_and_b32_e32 v0, 7, v36
	v_lshrrev_b32_e32 v1, 3, v4
	v_cmp_gt_u32_e64 s[8:9], 8, v4
	v_ffbh_u32_e32 v4, v0
	v_min_u32_e32 v6, 32, v4
	v_subrev_u32_e32 v4, 28, v6
	v_lshlrev_b64 v[4:5], v4, v[36:37]
	v_sub_u32_e32 v5, 29, v6
	v_and_b32_e32 v4, 7, v4
	v_cndmask_b32_e64 v1, v1, v5, s[8:9]
	v_mov_b32_e32 v2, 0x2000
	v_cndmask_b32_e64 v0, v0, v4, s[8:9]
	v_lshlrev_b32_e32 v4, 8, v36
	v_lshl_add_u32 v1, v1, 10, v2
	v_and_or_b32 v1, v4, s41, v1
	v_lshl_or_b32 v0, v0, 7, v1
	v_cvt_f32_f16_e32 v3, v0
.LBB284_206:                            ;   in Loop: Header=BB284_13 Depth=1
	s_or_b64 exec, exec, s[36:37]
.LBB284_207:                            ;   in Loop: Header=BB284_13 Depth=1
	s_or_b64 exec, exec, s[34:35]
.LBB284_208:                            ;   in Loop: Header=BB284_13 Depth=1
	s_or_b64 exec, exec, s[30:31]
	flat_load_ushort v0, v[34:35] offset:2048
	v_mov_b32_e32 v1, 0
	v_mov_b32_e32 v49, 0
	;; [unrolled: 1-line block ×3, first 2 shown]
	s_waitcnt vmcnt(0) lgkmcnt(0)
	v_and_b32_e32 v36, 0xffff, v0
	v_cmp_ne_u16_sdwa s[8:9], v0, v1 src0_sel:BYTE_0 src1_sel:DWORD
	s_and_saveexec_b64 s[30:31], s[8:9]
	s_cbranch_execz .LBB284_214
; %bb.209:                              ;   in Loop: Header=BB284_13 Depth=1
	v_cmp_ne_u16_sdwa s[8:9], v36, s39 src0_sel:BYTE_0 src1_sel:DWORD
	v_bfrev_b32_e32 v7, 1
	s_and_saveexec_b64 s[34:35], s[8:9]
	s_cbranch_execz .LBB284_213
; %bb.210:                              ;   in Loop: Header=BB284_13 Depth=1
	v_and_b32_e32 v4, 0x7f, v36
	v_cmp_ne_u32_e64 s[8:9], s40, v4
	v_mov_b32_e32 v7, 0x7fc02000
	s_and_saveexec_b64 s[36:37], s[8:9]
	s_cbranch_execz .LBB284_212
; %bb.211:                              ;   in Loop: Header=BB284_13 Depth=1
	v_and_b32_e32 v0, 7, v36
	v_ffbh_u32_e32 v5, v0
	v_min_u32_e32 v5, 32, v5
	v_lshrrev_b32_e32 v1, 3, v4
	v_subrev_u32_e32 v6, 28, v5
	v_sub_u32_e32 v5, 29, v5
	v_cmp_gt_u32_e64 s[8:9], 8, v4
	v_lshlrev_b64 v[6:7], v6, v[36:37]
	v_cndmask_b32_e64 v1, v1, v5, s[8:9]
	v_mov_b32_e32 v2, 0x2000
	v_and_b32_e32 v6, 7, v6
	v_lshlrev_b32_e32 v4, 8, v36
	v_lshl_add_u32 v1, v1, 10, v2
	v_cndmask_b32_e64 v0, v0, v6, s[8:9]
	v_and_or_b32 v1, v4, s41, v1
	v_lshl_or_b32 v0, v0, 7, v1
	v_cvt_f32_f16_e32 v7, v0
.LBB284_212:                            ;   in Loop: Header=BB284_13 Depth=1
	s_or_b64 exec, exec, s[36:37]
.LBB284_213:                            ;   in Loop: Header=BB284_13 Depth=1
	s_or_b64 exec, exec, s[34:35]
.LBB284_214:                            ;   in Loop: Header=BB284_13 Depth=1
	s_or_b64 exec, exec, s[30:31]
	v_lshrrev_b16_e32 v36, 8, v36
	v_cmp_ne_u16_e64 s[8:9], 0, v36
	s_and_saveexec_b64 s[30:31], s[8:9]
	s_cbranch_execz .LBB284_220
; %bb.215:                              ;   in Loop: Header=BB284_13 Depth=1
	v_cmp_ne_u16_e64 s[8:9], s39, v36
	v_bfrev_b32_e32 v49, 1
	s_and_saveexec_b64 s[34:35], s[8:9]
	s_cbranch_execz .LBB284_219
; %bb.216:                              ;   in Loop: Header=BB284_13 Depth=1
	v_and_b32_e32 v4, 0x7f, v36
	v_cmp_ne_u32_e64 s[8:9], s40, v4
	v_mov_b32_e32 v49, 0x7fc02000
	s_and_saveexec_b64 s[36:37], s[8:9]
	s_cbranch_execz .LBB284_218
; %bb.217:                              ;   in Loop: Header=BB284_13 Depth=1
	v_and_b32_e32 v0, 7, v36
	v_ffbh_u32_e32 v5, v0
	v_min_u32_e32 v5, 32, v5
	v_lshrrev_b32_e32 v1, 3, v4
	v_subrev_u32_e32 v6, 28, v5
	v_sub_u32_e32 v5, 29, v5
	v_cmp_gt_u32_e64 s[8:9], 8, v4
	v_lshlrev_b64 v[8:9], v6, v[36:37]
	v_cndmask_b32_e64 v1, v1, v5, s[8:9]
	v_mov_b32_e32 v2, 0x2000
	v_and_b32_e32 v6, 7, v8
	v_lshlrev_b32_e32 v4, 8, v36
	v_lshl_add_u32 v1, v1, 10, v2
	v_cndmask_b32_e64 v0, v0, v6, s[8:9]
	v_and_or_b32 v1, v4, s41, v1
	v_lshl_or_b32 v0, v0, 7, v1
	v_cvt_f32_f16_e32 v49, v0
.LBB284_218:                            ;   in Loop: Header=BB284_13 Depth=1
	s_or_b64 exec, exec, s[36:37]
.LBB284_219:                            ;   in Loop: Header=BB284_13 Depth=1
	s_or_b64 exec, exec, s[34:35]
.LBB284_220:                            ;   in Loop: Header=BB284_13 Depth=1
	s_or_b64 exec, exec, s[30:31]
	flat_load_ushort v0, v[34:35] offset:2056
	v_mov_b32_e32 v1, 0
	v_mov_b32_e32 v8, 0
	s_waitcnt vmcnt(0) lgkmcnt(0)
	v_and_b32_e32 v36, 0xffff, v0
	v_cmp_ne_u16_sdwa s[8:9], v0, v1 src0_sel:BYTE_0 src1_sel:DWORD
	v_mov_b32_e32 v0, 0
	s_and_saveexec_b64 s[30:31], s[8:9]
	s_cbranch_execz .LBB284_226
; %bb.221:                              ;   in Loop: Header=BB284_13 Depth=1
	v_cmp_ne_u16_sdwa s[8:9], v36, s39 src0_sel:BYTE_0 src1_sel:DWORD
	v_bfrev_b32_e32 v0, 1
	s_and_saveexec_b64 s[34:35], s[8:9]
	s_cbranch_execz .LBB284_225
; %bb.222:                              ;   in Loop: Header=BB284_13 Depth=1
	v_and_b32_e32 v4, 0x7f, v36
	v_cmp_ne_u32_e64 s[8:9], s40, v4
	v_mov_b32_e32 v0, 0x7fc02000
	s_and_saveexec_b64 s[36:37], s[8:9]
	s_cbranch_execz .LBB284_224
; %bb.223:                              ;   in Loop: Header=BB284_13 Depth=1
	v_and_b32_e32 v0, 7, v36
	v_ffbh_u32_e32 v5, v0
	v_min_u32_e32 v5, 32, v5
	v_lshrrev_b32_e32 v1, 3, v4
	v_subrev_u32_e32 v6, 28, v5
	v_sub_u32_e32 v5, 29, v5
	v_cmp_gt_u32_e64 s[8:9], 8, v4
	v_lshlrev_b64 v[8:9], v6, v[36:37]
	v_cndmask_b32_e64 v1, v1, v5, s[8:9]
	v_mov_b32_e32 v2, 0x2000
	v_and_b32_e32 v6, 7, v8
	v_lshlrev_b32_e32 v4, 8, v36
	v_lshl_add_u32 v1, v1, 10, v2
	v_cndmask_b32_e64 v0, v0, v6, s[8:9]
	v_and_or_b32 v1, v4, s41, v1
	v_lshl_or_b32 v0, v0, 7, v1
	v_cvt_f32_f16_e32 v0, v0
	v_mov_b32_e32 v8, 0
.LBB284_224:                            ;   in Loop: Header=BB284_13 Depth=1
	s_or_b64 exec, exec, s[36:37]
.LBB284_225:                            ;   in Loop: Header=BB284_13 Depth=1
	s_or_b64 exec, exec, s[34:35]
.LBB284_226:                            ;   in Loop: Header=BB284_13 Depth=1
	s_or_b64 exec, exec, s[30:31]
	v_lshrrev_b16_e32 v36, 8, v36
	v_cmp_ne_u16_e64 s[8:9], 0, v36
	s_mov_b64 s[30:31], exec
	s_and_b64 s[8:9], s[30:31], s[8:9]
	v_accvgpr_write_b32 a51, v0
	s_mov_b64 exec, s[8:9]
	s_cbranch_execz .LBB284_232
; %bb.227:                              ;   in Loop: Header=BB284_13 Depth=1
	v_cmp_ne_u16_e64 s[8:9], s39, v36
	v_bfrev_b32_e32 v8, 1
	s_and_saveexec_b64 s[34:35], s[8:9]
	s_cbranch_execz .LBB284_231
; %bb.228:                              ;   in Loop: Header=BB284_13 Depth=1
	v_and_b32_e32 v4, 0x7f, v36
	v_cmp_ne_u32_e64 s[8:9], s40, v4
	v_mov_b32_e32 v8, 0x7fc02000
	s_and_saveexec_b64 s[36:37], s[8:9]
	s_cbranch_execz .LBB284_230
; %bb.229:                              ;   in Loop: Header=BB284_13 Depth=1
	v_and_b32_e32 v0, 7, v36
	v_ffbh_u32_e32 v5, v0
	v_min_u32_e32 v5, 32, v5
	v_lshrrev_b32_e32 v1, 3, v4
	v_subrev_u32_e32 v6, 28, v5
	v_sub_u32_e32 v5, 29, v5
	v_cmp_gt_u32_e64 s[8:9], 8, v4
	v_lshlrev_b64 v[10:11], v6, v[36:37]
	v_cndmask_b32_e64 v1, v1, v5, s[8:9]
	v_mov_b32_e32 v2, 0x2000
	v_and_b32_e32 v6, 7, v10
	v_lshlrev_b32_e32 v4, 8, v36
	v_lshl_add_u32 v1, v1, 10, v2
	v_cndmask_b32_e64 v0, v0, v6, s[8:9]
	v_and_or_b32 v1, v4, s41, v1
	v_lshl_or_b32 v0, v0, 7, v1
	v_cvt_f32_f16_e32 v8, v0
.LBB284_230:                            ;   in Loop: Header=BB284_13 Depth=1
	s_or_b64 exec, exec, s[36:37]
.LBB284_231:                            ;   in Loop: Header=BB284_13 Depth=1
	s_or_b64 exec, exec, s[34:35]
.LBB284_232:                            ;   in Loop: Header=BB284_13 Depth=1
	s_or_b64 exec, exec, s[30:31]
	flat_load_ushort v0, v[34:35] offset:2304
	v_mov_b32_e32 v1, 0
	v_mov_b32_e32 v6, 0
	;; [unrolled: 1-line block ×3, first 2 shown]
	s_waitcnt vmcnt(0) lgkmcnt(0)
	v_and_b32_e32 v36, 0xffff, v0
	v_cmp_ne_u16_sdwa s[8:9], v0, v1 src0_sel:BYTE_0 src1_sel:DWORD
	s_and_saveexec_b64 s[30:31], s[8:9]
	s_cbranch_execz .LBB284_238
; %bb.233:                              ;   in Loop: Header=BB284_13 Depth=1
	v_cmp_ne_u16_sdwa s[8:9], v36, s39 src0_sel:BYTE_0 src1_sel:DWORD
	v_bfrev_b32_e32 v40, 1
	s_and_saveexec_b64 s[34:35], s[8:9]
	s_cbranch_execz .LBB284_237
; %bb.234:                              ;   in Loop: Header=BB284_13 Depth=1
	v_and_b32_e32 v4, 0x7f, v36
	v_cmp_ne_u32_e64 s[8:9], s40, v4
	v_mov_b32_e32 v40, 0x7fc02000
	s_and_saveexec_b64 s[36:37], s[8:9]
	s_cbranch_execz .LBB284_236
; %bb.235:                              ;   in Loop: Header=BB284_13 Depth=1
	v_and_b32_e32 v0, 7, v36
	v_ffbh_u32_e32 v5, v0
	v_min_u32_e32 v5, 32, v5
	v_lshrrev_b32_e32 v1, 3, v4
	v_subrev_u32_e32 v6, 28, v5
	v_sub_u32_e32 v5, 29, v5
	v_cmp_gt_u32_e64 s[8:9], 8, v4
	v_lshlrev_b64 v[10:11], v6, v[36:37]
	v_cndmask_b32_e64 v1, v1, v5, s[8:9]
	v_mov_b32_e32 v2, 0x2000
	v_and_b32_e32 v6, 7, v10
	v_lshlrev_b32_e32 v4, 8, v36
	v_lshl_add_u32 v1, v1, 10, v2
	v_cndmask_b32_e64 v0, v0, v6, s[8:9]
	v_and_or_b32 v1, v4, s41, v1
	v_lshl_or_b32 v0, v0, 7, v1
	v_cvt_f32_f16_e32 v40, v0
	v_mov_b32_e32 v6, 0
.LBB284_236:                            ;   in Loop: Header=BB284_13 Depth=1
	s_or_b64 exec, exec, s[36:37]
.LBB284_237:                            ;   in Loop: Header=BB284_13 Depth=1
	s_or_b64 exec, exec, s[34:35]
.LBB284_238:                            ;   in Loop: Header=BB284_13 Depth=1
	s_or_b64 exec, exec, s[30:31]
	v_lshrrev_b16_e32 v36, 8, v36
	v_cmp_ne_u16_e64 s[8:9], 0, v36
	s_and_saveexec_b64 s[30:31], s[8:9]
	s_cbranch_execz .LBB284_244
; %bb.239:                              ;   in Loop: Header=BB284_13 Depth=1
	v_cmp_ne_u16_e64 s[8:9], s39, v36
	v_bfrev_b32_e32 v6, 1
	s_and_saveexec_b64 s[34:35], s[8:9]
	s_cbranch_execz .LBB284_243
; %bb.240:                              ;   in Loop: Header=BB284_13 Depth=1
	v_and_b32_e32 v4, 0x7f, v36
	v_cmp_ne_u32_e64 s[8:9], s40, v4
	v_mov_b32_e32 v6, 0x7fc02000
	s_and_saveexec_b64 s[36:37], s[8:9]
	s_cbranch_execz .LBB284_242
; %bb.241:                              ;   in Loop: Header=BB284_13 Depth=1
	v_and_b32_e32 v0, 7, v36
	v_ffbh_u32_e32 v5, v0
	v_min_u32_e32 v5, 32, v5
	v_lshrrev_b32_e32 v1, 3, v4
	v_subrev_u32_e32 v9, 28, v5
	v_sub_u32_e32 v5, 29, v5
	v_cmp_gt_u32_e64 s[8:9], 8, v4
	v_lshlrev_b64 v[10:11], v9, v[36:37]
	v_cndmask_b32_e64 v1, v1, v5, s[8:9]
	v_mov_b32_e32 v2, 0x2000
	v_and_b32_e32 v9, 7, v10
	v_lshlrev_b32_e32 v4, 8, v36
	v_lshl_add_u32 v1, v1, 10, v2
	v_cndmask_b32_e64 v0, v0, v9, s[8:9]
	v_and_or_b32 v1, v4, s41, v1
	v_lshl_or_b32 v0, v0, 7, v1
	v_cvt_f32_f16_e32 v6, v0
.LBB284_242:                            ;   in Loop: Header=BB284_13 Depth=1
	s_or_b64 exec, exec, s[36:37]
.LBB284_243:                            ;   in Loop: Header=BB284_13 Depth=1
	s_or_b64 exec, exec, s[34:35]
.LBB284_244:                            ;   in Loop: Header=BB284_13 Depth=1
	s_or_b64 exec, exec, s[30:31]
	flat_load_ushort v0, v[34:35] offset:2312
	v_mov_b32_e32 v1, 0
	v_mov_b32_e32 v45, 0
	;; [unrolled: 1-line block ×3, first 2 shown]
	s_waitcnt vmcnt(0) lgkmcnt(0)
	v_and_b32_e32 v36, 0xffff, v0
	v_cmp_ne_u16_sdwa s[8:9], v0, v1 src0_sel:BYTE_0 src1_sel:DWORD
	s_and_saveexec_b64 s[30:31], s[8:9]
	s_cbranch_execz .LBB284_250
; %bb.245:                              ;   in Loop: Header=BB284_13 Depth=1
	v_cmp_ne_u16_sdwa s[8:9], v36, s39 src0_sel:BYTE_0 src1_sel:DWORD
	v_bfrev_b32_e32 v23, 1
	s_and_saveexec_b64 s[34:35], s[8:9]
	s_cbranch_execz .LBB284_249
; %bb.246:                              ;   in Loop: Header=BB284_13 Depth=1
	v_and_b32_e32 v4, 0x7f, v36
	v_cmp_ne_u32_e64 s[8:9], s40, v4
	v_mov_b32_e32 v23, 0x7fc02000
	s_and_saveexec_b64 s[36:37], s[8:9]
	s_cbranch_execz .LBB284_248
; %bb.247:                              ;   in Loop: Header=BB284_13 Depth=1
	v_and_b32_e32 v0, 7, v36
	v_ffbh_u32_e32 v5, v0
	v_min_u32_e32 v5, 32, v5
	v_lshrrev_b32_e32 v1, 3, v4
	v_subrev_u32_e32 v9, 28, v5
	v_sub_u32_e32 v5, 29, v5
	v_cmp_gt_u32_e64 s[8:9], 8, v4
	v_lshlrev_b64 v[10:11], v9, v[36:37]
	v_cndmask_b32_e64 v1, v1, v5, s[8:9]
	v_mov_b32_e32 v2, 0x2000
	v_and_b32_e32 v9, 7, v10
	v_lshlrev_b32_e32 v4, 8, v36
	v_lshl_add_u32 v1, v1, 10, v2
	v_cndmask_b32_e64 v0, v0, v9, s[8:9]
	v_and_or_b32 v1, v4, s41, v1
	v_lshl_or_b32 v0, v0, 7, v1
	v_cvt_f32_f16_e32 v23, v0
.LBB284_248:                            ;   in Loop: Header=BB284_13 Depth=1
	s_or_b64 exec, exec, s[36:37]
.LBB284_249:                            ;   in Loop: Header=BB284_13 Depth=1
	s_or_b64 exec, exec, s[34:35]
.LBB284_250:                            ;   in Loop: Header=BB284_13 Depth=1
	s_or_b64 exec, exec, s[30:31]
	v_lshrrev_b16_e32 v36, 8, v36
	v_cmp_ne_u16_e64 s[8:9], 0, v36
	s_and_saveexec_b64 s[30:31], s[8:9]
	s_cbranch_execz .LBB284_256
; %bb.251:                              ;   in Loop: Header=BB284_13 Depth=1
	v_cmp_ne_u16_e64 s[8:9], s39, v36
	v_bfrev_b32_e32 v45, 1
	s_and_saveexec_b64 s[34:35], s[8:9]
	s_cbranch_execz .LBB284_255
; %bb.252:                              ;   in Loop: Header=BB284_13 Depth=1
	v_and_b32_e32 v4, 0x7f, v36
	v_cmp_ne_u32_e64 s[8:9], s40, v4
	v_mov_b32_e32 v45, 0x7fc02000
	s_and_saveexec_b64 s[36:37], s[8:9]
	s_cbranch_execz .LBB284_254
; %bb.253:                              ;   in Loop: Header=BB284_13 Depth=1
	v_and_b32_e32 v0, 7, v36
	v_ffbh_u32_e32 v5, v0
	v_min_u32_e32 v5, 32, v5
	v_lshrrev_b32_e32 v1, 3, v4
	v_subrev_u32_e32 v9, 28, v5
	v_sub_u32_e32 v5, 29, v5
	v_cmp_gt_u32_e64 s[8:9], 8, v4
	v_lshlrev_b64 v[10:11], v9, v[36:37]
	v_cndmask_b32_e64 v1, v1, v5, s[8:9]
	v_mov_b32_e32 v2, 0x2000
	v_and_b32_e32 v9, 7, v10
	v_lshlrev_b32_e32 v4, 8, v36
	v_lshl_add_u32 v1, v1, 10, v2
	v_cndmask_b32_e64 v0, v0, v9, s[8:9]
	v_and_or_b32 v1, v4, s41, v1
	v_lshl_or_b32 v0, v0, 7, v1
	v_cvt_f32_f16_e32 v45, v0
.LBB284_254:                            ;   in Loop: Header=BB284_13 Depth=1
	s_or_b64 exec, exec, s[36:37]
.LBB284_255:                            ;   in Loop: Header=BB284_13 Depth=1
	s_or_b64 exec, exec, s[34:35]
.LBB284_256:                            ;   in Loop: Header=BB284_13 Depth=1
	s_or_b64 exec, exec, s[30:31]
	flat_load_ushort v0, v[34:35] offset:2560
	v_mov_b32_e32 v1, 0
	v_mov_b32_e32 v52, 0
	;; [unrolled: 1-line block ×3, first 2 shown]
	s_waitcnt vmcnt(0) lgkmcnt(0)
	v_and_b32_e32 v36, 0xffff, v0
	v_cmp_ne_u16_sdwa s[8:9], v0, v1 src0_sel:BYTE_0 src1_sel:DWORD
	s_and_saveexec_b64 s[30:31], s[8:9]
	s_cbranch_execz .LBB284_262
; %bb.257:                              ;   in Loop: Header=BB284_13 Depth=1
	v_cmp_ne_u16_sdwa s[8:9], v36, s39 src0_sel:BYTE_0 src1_sel:DWORD
	v_bfrev_b32_e32 v41, 1
	s_and_saveexec_b64 s[34:35], s[8:9]
	s_cbranch_execz .LBB284_261
; %bb.258:                              ;   in Loop: Header=BB284_13 Depth=1
	v_and_b32_e32 v4, 0x7f, v36
	v_cmp_ne_u32_e64 s[8:9], s40, v4
	v_mov_b32_e32 v41, 0x7fc02000
	s_and_saveexec_b64 s[36:37], s[8:9]
	s_cbranch_execz .LBB284_260
; %bb.259:                              ;   in Loop: Header=BB284_13 Depth=1
	v_and_b32_e32 v0, 7, v36
	v_ffbh_u32_e32 v5, v0
	v_min_u32_e32 v5, 32, v5
	v_lshrrev_b32_e32 v1, 3, v4
	v_subrev_u32_e32 v9, 28, v5
	v_sub_u32_e32 v5, 29, v5
	v_cmp_gt_u32_e64 s[8:9], 8, v4
	v_lshlrev_b64 v[10:11], v9, v[36:37]
	v_cndmask_b32_e64 v1, v1, v5, s[8:9]
	v_mov_b32_e32 v2, 0x2000
	v_and_b32_e32 v9, 7, v10
	v_lshlrev_b32_e32 v4, 8, v36
	v_lshl_add_u32 v1, v1, 10, v2
	v_cndmask_b32_e64 v0, v0, v9, s[8:9]
	v_and_or_b32 v1, v4, s41, v1
	v_lshl_or_b32 v0, v0, 7, v1
	v_cvt_f32_f16_e32 v41, v0
.LBB284_260:                            ;   in Loop: Header=BB284_13 Depth=1
	s_or_b64 exec, exec, s[36:37]
.LBB284_261:                            ;   in Loop: Header=BB284_13 Depth=1
	s_or_b64 exec, exec, s[34:35]
.LBB284_262:                            ;   in Loop: Header=BB284_13 Depth=1
	s_or_b64 exec, exec, s[30:31]
	v_lshrrev_b16_e32 v36, 8, v36
	v_cmp_ne_u16_e64 s[8:9], 0, v36
	s_and_saveexec_b64 s[30:31], s[8:9]
	s_cbranch_execz .LBB284_268
; %bb.263:                              ;   in Loop: Header=BB284_13 Depth=1
	v_cmp_ne_u16_e64 s[8:9], s39, v36
	v_bfrev_b32_e32 v52, 1
	s_and_saveexec_b64 s[34:35], s[8:9]
	s_cbranch_execz .LBB284_267
; %bb.264:                              ;   in Loop: Header=BB284_13 Depth=1
	v_and_b32_e32 v4, 0x7f, v36
	v_cmp_ne_u32_e64 s[8:9], s40, v4
	v_mov_b32_e32 v52, 0x7fc02000
	s_and_saveexec_b64 s[36:37], s[8:9]
	s_cbranch_execz .LBB284_266
; %bb.265:                              ;   in Loop: Header=BB284_13 Depth=1
	v_and_b32_e32 v0, 7, v36
	v_ffbh_u32_e32 v5, v0
	v_min_u32_e32 v5, 32, v5
	v_lshrrev_b32_e32 v1, 3, v4
	v_subrev_u32_e32 v9, 28, v5
	v_sub_u32_e32 v5, 29, v5
	v_cmp_gt_u32_e64 s[8:9], 8, v4
	v_lshlrev_b64 v[10:11], v9, v[36:37]
	v_cndmask_b32_e64 v1, v1, v5, s[8:9]
	v_mov_b32_e32 v2, 0x2000
	v_and_b32_e32 v9, 7, v10
	v_lshlrev_b32_e32 v4, 8, v36
	v_lshl_add_u32 v1, v1, 10, v2
	v_cndmask_b32_e64 v0, v0, v9, s[8:9]
	v_and_or_b32 v1, v4, s41, v1
	v_lshl_or_b32 v0, v0, 7, v1
	v_cvt_f32_f16_e32 v52, v0
.LBB284_266:                            ;   in Loop: Header=BB284_13 Depth=1
	s_or_b64 exec, exec, s[36:37]
.LBB284_267:                            ;   in Loop: Header=BB284_13 Depth=1
	s_or_b64 exec, exec, s[34:35]
.LBB284_268:                            ;   in Loop: Header=BB284_13 Depth=1
	s_or_b64 exec, exec, s[30:31]
	flat_load_ushort v0, v[34:35] offset:2568
	v_mov_b32_e32 v1, 0
	v_mov_b32_e32 v44, 0
	;; [unrolled: 1-line block ×3, first 2 shown]
	s_waitcnt vmcnt(0) lgkmcnt(0)
	v_and_b32_e32 v36, 0xffff, v0
	v_cmp_ne_u16_sdwa s[8:9], v0, v1 src0_sel:BYTE_0 src1_sel:DWORD
	s_and_saveexec_b64 s[30:31], s[8:9]
	s_cbranch_execz .LBB284_274
; %bb.269:                              ;   in Loop: Header=BB284_13 Depth=1
	v_cmp_ne_u16_sdwa s[8:9], v36, s39 src0_sel:BYTE_0 src1_sel:DWORD
	v_bfrev_b32_e32 v57, 1
	s_and_saveexec_b64 s[34:35], s[8:9]
	s_cbranch_execz .LBB284_273
; %bb.270:                              ;   in Loop: Header=BB284_13 Depth=1
	v_and_b32_e32 v4, 0x7f, v36
	v_cmp_ne_u32_e64 s[8:9], s40, v4
	v_mov_b32_e32 v57, 0x7fc02000
	s_and_saveexec_b64 s[36:37], s[8:9]
	s_cbranch_execz .LBB284_272
; %bb.271:                              ;   in Loop: Header=BB284_13 Depth=1
	v_and_b32_e32 v0, 7, v36
	v_ffbh_u32_e32 v5, v0
	v_min_u32_e32 v5, 32, v5
	v_lshrrev_b32_e32 v1, 3, v4
	v_subrev_u32_e32 v9, 28, v5
	v_sub_u32_e32 v5, 29, v5
	v_cmp_gt_u32_e64 s[8:9], 8, v4
	v_lshlrev_b64 v[10:11], v9, v[36:37]
	v_cndmask_b32_e64 v1, v1, v5, s[8:9]
	v_mov_b32_e32 v2, 0x2000
	v_and_b32_e32 v9, 7, v10
	v_lshlrev_b32_e32 v4, 8, v36
	v_lshl_add_u32 v1, v1, 10, v2
	v_cndmask_b32_e64 v0, v0, v9, s[8:9]
	v_and_or_b32 v1, v4, s41, v1
	v_lshl_or_b32 v0, v0, 7, v1
	v_cvt_f32_f16_e32 v57, v0
.LBB284_272:                            ;   in Loop: Header=BB284_13 Depth=1
	s_or_b64 exec, exec, s[36:37]
.LBB284_273:                            ;   in Loop: Header=BB284_13 Depth=1
	s_or_b64 exec, exec, s[34:35]
.LBB284_274:                            ;   in Loop: Header=BB284_13 Depth=1
	s_or_b64 exec, exec, s[30:31]
	v_lshrrev_b16_e32 v36, 8, v36
	v_cmp_ne_u16_e64 s[8:9], 0, v36
	s_and_saveexec_b64 s[30:31], s[8:9]
	s_cbranch_execz .LBB284_280
; %bb.275:                              ;   in Loop: Header=BB284_13 Depth=1
	v_cmp_ne_u16_e64 s[8:9], s39, v36
	v_bfrev_b32_e32 v44, 1
	s_and_saveexec_b64 s[34:35], s[8:9]
	s_cbranch_execz .LBB284_279
; %bb.276:                              ;   in Loop: Header=BB284_13 Depth=1
	v_and_b32_e32 v4, 0x7f, v36
	v_cmp_ne_u32_e64 s[8:9], s40, v4
	v_mov_b32_e32 v44, 0x7fc02000
	s_and_saveexec_b64 s[36:37], s[8:9]
	s_cbranch_execz .LBB284_278
; %bb.277:                              ;   in Loop: Header=BB284_13 Depth=1
	v_and_b32_e32 v0, 7, v36
	v_ffbh_u32_e32 v5, v0
	v_min_u32_e32 v5, 32, v5
	v_lshrrev_b32_e32 v1, 3, v4
	v_subrev_u32_e32 v9, 28, v5
	v_sub_u32_e32 v5, 29, v5
	v_cmp_gt_u32_e64 s[8:9], 8, v4
	v_lshlrev_b64 v[10:11], v9, v[36:37]
	v_cndmask_b32_e64 v1, v1, v5, s[8:9]
	v_mov_b32_e32 v2, 0x2000
	v_and_b32_e32 v9, 7, v10
	v_lshlrev_b32_e32 v4, 8, v36
	v_lshl_add_u32 v1, v1, 10, v2
	v_cndmask_b32_e64 v0, v0, v9, s[8:9]
	v_and_or_b32 v1, v4, s41, v1
	v_lshl_or_b32 v0, v0, 7, v1
	v_cvt_f32_f16_e32 v44, v0
.LBB284_278:                            ;   in Loop: Header=BB284_13 Depth=1
	s_or_b64 exec, exec, s[36:37]
.LBB284_279:                            ;   in Loop: Header=BB284_13 Depth=1
	s_or_b64 exec, exec, s[34:35]
.LBB284_280:                            ;   in Loop: Header=BB284_13 Depth=1
	s_or_b64 exec, exec, s[30:31]
	flat_load_ushort v0, v[34:35] offset:2816
	v_mov_b32_e32 v1, 0
	buffer_store_dword v1, off, s[0:3], s32 offset:180 ; 4-byte Folded Spill
	v_mov_b32_e32 v1, 0
	s_waitcnt vmcnt(0) lgkmcnt(0)
	v_and_b32_e32 v36, 0xffff, v0
	v_cmp_ne_u16_sdwa s[8:9], v0, v1 src0_sel:BYTE_0 src1_sel:DWORD
	v_mov_b32_e32 v0, 0
	buffer_store_dword v0, off, s[0:3], s32 offset:184 ; 4-byte Folded Spill
	s_and_saveexec_b64 s[30:31], s[8:9]
	s_cbranch_execz .LBB284_286
; %bb.281:                              ;   in Loop: Header=BB284_13 Depth=1
	v_cmp_ne_u16_sdwa s[8:9], v36, s39 src0_sel:BYTE_0 src1_sel:DWORD
	v_bfrev_b32_e32 v0, 1
	buffer_store_dword v0, off, s[0:3], s32 offset:184 ; 4-byte Folded Spill
	s_and_saveexec_b64 s[34:35], s[8:9]
	s_cbranch_execz .LBB284_285
; %bb.282:                              ;   in Loop: Header=BB284_13 Depth=1
	v_and_b32_e32 v4, 0x7f, v36
	v_cmp_ne_u32_e64 s[8:9], s40, v4
	v_mov_b32_e32 v0, 0x7fc02000
	buffer_store_dword v0, off, s[0:3], s32 offset:184 ; 4-byte Folded Spill
	s_and_saveexec_b64 s[36:37], s[8:9]
	s_cbranch_execz .LBB284_284
; %bb.283:                              ;   in Loop: Header=BB284_13 Depth=1
	v_and_b32_e32 v0, 7, v36
	v_ffbh_u32_e32 v5, v0
	v_min_u32_e32 v5, 32, v5
	v_lshrrev_b32_e32 v1, 3, v4
	v_subrev_u32_e32 v9, 28, v5
	v_sub_u32_e32 v5, 29, v5
	v_cmp_gt_u32_e64 s[8:9], 8, v4
	v_lshlrev_b64 v[10:11], v9, v[36:37]
	v_cndmask_b32_e64 v1, v1, v5, s[8:9]
	v_mov_b32_e32 v2, 0x2000
	v_and_b32_e32 v9, 7, v10
	v_lshlrev_b32_e32 v4, 8, v36
	v_lshl_add_u32 v1, v1, 10, v2
	v_cndmask_b32_e64 v0, v0, v9, s[8:9]
	v_and_or_b32 v1, v4, s41, v1
	v_lshl_or_b32 v0, v0, 7, v1
	v_cvt_f32_f16_e32 v0, v0
	buffer_store_dword v0, off, s[0:3], s32 offset:184 ; 4-byte Folded Spill
.LBB284_284:                            ;   in Loop: Header=BB284_13 Depth=1
	s_or_b64 exec, exec, s[36:37]
.LBB284_285:                            ;   in Loop: Header=BB284_13 Depth=1
	s_or_b64 exec, exec, s[34:35]
.LBB284_286:                            ;   in Loop: Header=BB284_13 Depth=1
	s_or_b64 exec, exec, s[30:31]
	v_lshrrev_b16_e32 v36, 8, v36
	v_cmp_ne_u16_e64 s[8:9], 0, v36
	s_and_saveexec_b64 s[30:31], s[8:9]
	s_cbranch_execz .LBB284_292
; %bb.287:                              ;   in Loop: Header=BB284_13 Depth=1
	v_cmp_ne_u16_e64 s[8:9], s39, v36
	v_bfrev_b32_e32 v0, 1
	buffer_store_dword v0, off, s[0:3], s32 offset:180 ; 4-byte Folded Spill
	s_and_saveexec_b64 s[34:35], s[8:9]
	s_cbranch_execz .LBB284_291
; %bb.288:                              ;   in Loop: Header=BB284_13 Depth=1
	v_and_b32_e32 v4, 0x7f, v36
	v_cmp_ne_u32_e64 s[8:9], s40, v4
	v_mov_b32_e32 v0, 0x7fc02000
	buffer_store_dword v0, off, s[0:3], s32 offset:180 ; 4-byte Folded Spill
	s_and_saveexec_b64 s[36:37], s[8:9]
	s_cbranch_execz .LBB284_290
; %bb.289:                              ;   in Loop: Header=BB284_13 Depth=1
	v_and_b32_e32 v0, 7, v36
	v_ffbh_u32_e32 v5, v0
	v_min_u32_e32 v5, 32, v5
	v_lshrrev_b32_e32 v1, 3, v4
	v_subrev_u32_e32 v9, 28, v5
	v_sub_u32_e32 v5, 29, v5
	v_cmp_gt_u32_e64 s[8:9], 8, v4
	v_lshlrev_b64 v[10:11], v9, v[36:37]
	v_cndmask_b32_e64 v1, v1, v5, s[8:9]
	v_mov_b32_e32 v2, 0x2000
	v_and_b32_e32 v9, 7, v10
	v_lshlrev_b32_e32 v4, 8, v36
	v_lshl_add_u32 v1, v1, 10, v2
	v_cndmask_b32_e64 v0, v0, v9, s[8:9]
	v_and_or_b32 v1, v4, s41, v1
	v_lshl_or_b32 v0, v0, 7, v1
	v_cvt_f32_f16_e32 v0, v0
	buffer_store_dword v0, off, s[0:3], s32 offset:180 ; 4-byte Folded Spill
.LBB284_290:                            ;   in Loop: Header=BB284_13 Depth=1
	s_or_b64 exec, exec, s[36:37]
.LBB284_291:                            ;   in Loop: Header=BB284_13 Depth=1
	s_or_b64 exec, exec, s[34:35]
.LBB284_292:                            ;   in Loop: Header=BB284_13 Depth=1
	s_or_b64 exec, exec, s[30:31]
	flat_load_ushort v0, v[34:35] offset:2824
	v_mov_b32_e32 v1, 0
	buffer_store_dword v1, off, s[0:3], s32 offset:188 ; 4-byte Folded Spill
	v_mov_b32_e32 v1, 0
	v_mov_b32_e32 v54, 0
	s_waitcnt vmcnt(0) lgkmcnt(0)
	v_and_b32_e32 v36, 0xffff, v0
	v_cmp_ne_u16_sdwa s[8:9], v0, v1 src0_sel:BYTE_0 src1_sel:DWORD
	s_and_saveexec_b64 s[30:31], s[8:9]
	s_cbranch_execz .LBB284_298
; %bb.293:                              ;   in Loop: Header=BB284_13 Depth=1
	v_cmp_ne_u16_sdwa s[8:9], v36, s39 src0_sel:BYTE_0 src1_sel:DWORD
	v_bfrev_b32_e32 v54, 1
	s_and_saveexec_b64 s[34:35], s[8:9]
	s_cbranch_execz .LBB284_297
; %bb.294:                              ;   in Loop: Header=BB284_13 Depth=1
	v_and_b32_e32 v4, 0x7f, v36
	v_cmp_ne_u32_e64 s[8:9], s40, v4
	v_mov_b32_e32 v54, 0x7fc02000
	s_and_saveexec_b64 s[36:37], s[8:9]
	s_cbranch_execz .LBB284_296
; %bb.295:                              ;   in Loop: Header=BB284_13 Depth=1
	v_and_b32_e32 v0, 7, v36
	v_ffbh_u32_e32 v5, v0
	v_min_u32_e32 v5, 32, v5
	v_lshrrev_b32_e32 v1, 3, v4
	v_subrev_u32_e32 v9, 28, v5
	v_sub_u32_e32 v5, 29, v5
	v_cmp_gt_u32_e64 s[8:9], 8, v4
	v_lshlrev_b64 v[10:11], v9, v[36:37]
	v_cndmask_b32_e64 v1, v1, v5, s[8:9]
	v_mov_b32_e32 v2, 0x2000
	v_and_b32_e32 v9, 7, v10
	v_lshlrev_b32_e32 v4, 8, v36
	v_lshl_add_u32 v1, v1, 10, v2
	v_cndmask_b32_e64 v0, v0, v9, s[8:9]
	v_and_or_b32 v1, v4, s41, v1
	v_lshl_or_b32 v0, v0, 7, v1
	v_cvt_f32_f16_e32 v54, v0
.LBB284_296:                            ;   in Loop: Header=BB284_13 Depth=1
	s_or_b64 exec, exec, s[36:37]
.LBB284_297:                            ;   in Loop: Header=BB284_13 Depth=1
	s_or_b64 exec, exec, s[34:35]
.LBB284_298:                            ;   in Loop: Header=BB284_13 Depth=1
	s_or_b64 exec, exec, s[30:31]
	v_lshrrev_b16_e32 v36, 8, v36
	v_cmp_ne_u16_e64 s[8:9], 0, v36
	s_and_saveexec_b64 s[30:31], s[8:9]
	s_cbranch_execz .LBB284_304
; %bb.299:                              ;   in Loop: Header=BB284_13 Depth=1
	v_cmp_ne_u16_e64 s[8:9], s39, v36
	v_bfrev_b32_e32 v0, 1
	buffer_store_dword v0, off, s[0:3], s32 offset:188 ; 4-byte Folded Spill
	s_and_saveexec_b64 s[34:35], s[8:9]
	s_cbranch_execz .LBB284_303
; %bb.300:                              ;   in Loop: Header=BB284_13 Depth=1
	v_and_b32_e32 v4, 0x7f, v36
	v_cmp_ne_u32_e64 s[8:9], s40, v4
	v_mov_b32_e32 v0, 0x7fc02000
	buffer_store_dword v0, off, s[0:3], s32 offset:188 ; 4-byte Folded Spill
	s_and_saveexec_b64 s[36:37], s[8:9]
	s_cbranch_execz .LBB284_302
; %bb.301:                              ;   in Loop: Header=BB284_13 Depth=1
	v_and_b32_e32 v0, 7, v36
	v_ffbh_u32_e32 v5, v0
	v_min_u32_e32 v5, 32, v5
	v_lshrrev_b32_e32 v1, 3, v4
	v_subrev_u32_e32 v9, 28, v5
	v_sub_u32_e32 v5, 29, v5
	v_cmp_gt_u32_e64 s[8:9], 8, v4
	v_lshlrev_b64 v[10:11], v9, v[36:37]
	v_cndmask_b32_e64 v1, v1, v5, s[8:9]
	v_mov_b32_e32 v2, 0x2000
	v_and_b32_e32 v9, 7, v10
	v_lshlrev_b32_e32 v4, 8, v36
	v_lshl_add_u32 v1, v1, 10, v2
	v_cndmask_b32_e64 v0, v0, v9, s[8:9]
	v_and_or_b32 v1, v4, s41, v1
	v_lshl_or_b32 v0, v0, 7, v1
	v_cvt_f32_f16_e32 v0, v0
	buffer_store_dword v0, off, s[0:3], s32 offset:188 ; 4-byte Folded Spill
.LBB284_302:                            ;   in Loop: Header=BB284_13 Depth=1
	s_or_b64 exec, exec, s[36:37]
.LBB284_303:                            ;   in Loop: Header=BB284_13 Depth=1
	s_or_b64 exec, exec, s[34:35]
.LBB284_304:                            ;   in Loop: Header=BB284_13 Depth=1
	s_or_b64 exec, exec, s[30:31]
	flat_load_ushort v0, v[34:35] offset:3072
	v_mov_b32_e32 v1, 0
	v_mov_b32_e32 v55, 0
	;; [unrolled: 1-line block ×3, first 2 shown]
	s_waitcnt vmcnt(0) lgkmcnt(0)
	v_and_b32_e32 v36, 0xffff, v0
	v_cmp_ne_u16_sdwa s[8:9], v0, v1 src0_sel:BYTE_0 src1_sel:DWORD
	s_and_saveexec_b64 s[30:31], s[8:9]
	s_cbranch_execz .LBB284_310
; %bb.305:                              ;   in Loop: Header=BB284_13 Depth=1
	v_cmp_ne_u16_sdwa s[8:9], v36, s39 src0_sel:BYTE_0 src1_sel:DWORD
	v_bfrev_b32_e32 v53, 1
	s_and_saveexec_b64 s[34:35], s[8:9]
	s_cbranch_execz .LBB284_309
; %bb.306:                              ;   in Loop: Header=BB284_13 Depth=1
	v_and_b32_e32 v4, 0x7f, v36
	v_cmp_ne_u32_e64 s[8:9], s40, v4
	v_mov_b32_e32 v53, 0x7fc02000
	s_and_saveexec_b64 s[36:37], s[8:9]
	s_cbranch_execz .LBB284_308
; %bb.307:                              ;   in Loop: Header=BB284_13 Depth=1
	v_and_b32_e32 v0, 7, v36
	v_ffbh_u32_e32 v5, v0
	v_min_u32_e32 v5, 32, v5
	v_lshrrev_b32_e32 v1, 3, v4
	v_subrev_u32_e32 v9, 28, v5
	v_sub_u32_e32 v5, 29, v5
	v_cmp_gt_u32_e64 s[8:9], 8, v4
	v_lshlrev_b64 v[10:11], v9, v[36:37]
	v_cndmask_b32_e64 v1, v1, v5, s[8:9]
	v_mov_b32_e32 v2, 0x2000
	v_and_b32_e32 v9, 7, v10
	v_lshlrev_b32_e32 v4, 8, v36
	v_lshl_add_u32 v1, v1, 10, v2
	v_cndmask_b32_e64 v0, v0, v9, s[8:9]
	v_and_or_b32 v1, v4, s41, v1
	v_lshl_or_b32 v0, v0, 7, v1
	v_cvt_f32_f16_e32 v53, v0
.LBB284_308:                            ;   in Loop: Header=BB284_13 Depth=1
	s_or_b64 exec, exec, s[36:37]
.LBB284_309:                            ;   in Loop: Header=BB284_13 Depth=1
	s_or_b64 exec, exec, s[34:35]
.LBB284_310:                            ;   in Loop: Header=BB284_13 Depth=1
	s_or_b64 exec, exec, s[30:31]
	v_lshrrev_b16_e32 v36, 8, v36
	v_cmp_ne_u16_e64 s[8:9], 0, v36
	s_and_saveexec_b64 s[30:31], s[8:9]
	s_cbranch_execz .LBB284_316
; %bb.311:                              ;   in Loop: Header=BB284_13 Depth=1
	v_cmp_ne_u16_e64 s[8:9], s39, v36
	v_bfrev_b32_e32 v55, 1
	s_and_saveexec_b64 s[34:35], s[8:9]
	s_cbranch_execz .LBB284_315
; %bb.312:                              ;   in Loop: Header=BB284_13 Depth=1
	v_and_b32_e32 v4, 0x7f, v36
	v_cmp_ne_u32_e64 s[8:9], s40, v4
	v_mov_b32_e32 v55, 0x7fc02000
	s_and_saveexec_b64 s[36:37], s[8:9]
	s_cbranch_execz .LBB284_314
; %bb.313:                              ;   in Loop: Header=BB284_13 Depth=1
	v_and_b32_e32 v0, 7, v36
	v_ffbh_u32_e32 v5, v0
	v_min_u32_e32 v5, 32, v5
	v_lshrrev_b32_e32 v1, 3, v4
	v_subrev_u32_e32 v9, 28, v5
	v_sub_u32_e32 v5, 29, v5
	v_cmp_gt_u32_e64 s[8:9], 8, v4
	v_lshlrev_b64 v[10:11], v9, v[36:37]
	v_cndmask_b32_e64 v1, v1, v5, s[8:9]
	v_mov_b32_e32 v2, 0x2000
	v_and_b32_e32 v9, 7, v10
	v_lshlrev_b32_e32 v4, 8, v36
	v_lshl_add_u32 v1, v1, 10, v2
	v_cndmask_b32_e64 v0, v0, v9, s[8:9]
	v_and_or_b32 v1, v4, s41, v1
	v_lshl_or_b32 v0, v0, 7, v1
	v_cvt_f32_f16_e32 v55, v0
.LBB284_314:                            ;   in Loop: Header=BB284_13 Depth=1
	s_or_b64 exec, exec, s[36:37]
.LBB284_315:                            ;   in Loop: Header=BB284_13 Depth=1
	s_or_b64 exec, exec, s[34:35]
.LBB284_316:                            ;   in Loop: Header=BB284_13 Depth=1
	s_or_b64 exec, exec, s[30:31]
	flat_load_ushort v0, v[34:35] offset:3080
	v_mov_b32_e32 v1, 0
	v_mov_b32_e32 v38, 0
	;; [unrolled: 1-line block ×3, first 2 shown]
	s_waitcnt vmcnt(0) lgkmcnt(0)
	v_and_b32_e32 v36, 0xffff, v0
	v_cmp_ne_u16_sdwa s[8:9], v0, v1 src0_sel:BYTE_0 src1_sel:DWORD
	s_and_saveexec_b64 s[30:31], s[8:9]
	s_cbranch_execz .LBB284_322
; %bb.317:                              ;   in Loop: Header=BB284_13 Depth=1
	v_cmp_ne_u16_sdwa s[8:9], v36, s39 src0_sel:BYTE_0 src1_sel:DWORD
	v_bfrev_b32_e32 v5, 1
	s_and_saveexec_b64 s[34:35], s[8:9]
	s_cbranch_execz .LBB284_321
; %bb.318:                              ;   in Loop: Header=BB284_13 Depth=1
	v_and_b32_e32 v4, 0x7f, v36
	v_cmp_ne_u32_e64 s[8:9], s40, v4
	v_mov_b32_e32 v5, 0x7fc02000
	s_and_saveexec_b64 s[36:37], s[8:9]
	s_cbranch_execz .LBB284_320
; %bb.319:                              ;   in Loop: Header=BB284_13 Depth=1
	v_and_b32_e32 v0, 7, v36
	v_ffbh_u32_e32 v5, v0
	v_min_u32_e32 v5, 32, v5
	v_lshrrev_b32_e32 v1, 3, v4
	v_subrev_u32_e32 v9, 28, v5
	v_sub_u32_e32 v5, 29, v5
	v_cmp_gt_u32_e64 s[8:9], 8, v4
	v_lshlrev_b64 v[10:11], v9, v[36:37]
	v_cndmask_b32_e64 v1, v1, v5, s[8:9]
	v_mov_b32_e32 v2, 0x2000
	v_and_b32_e32 v9, 7, v10
	v_lshlrev_b32_e32 v4, 8, v36
	v_lshl_add_u32 v1, v1, 10, v2
	v_cndmask_b32_e64 v0, v0, v9, s[8:9]
	v_and_or_b32 v1, v4, s41, v1
	v_lshl_or_b32 v0, v0, 7, v1
	v_cvt_f32_f16_e32 v5, v0
.LBB284_320:                            ;   in Loop: Header=BB284_13 Depth=1
	s_or_b64 exec, exec, s[36:37]
.LBB284_321:                            ;   in Loop: Header=BB284_13 Depth=1
	s_or_b64 exec, exec, s[34:35]
.LBB284_322:                            ;   in Loop: Header=BB284_13 Depth=1
	s_or_b64 exec, exec, s[30:31]
	v_lshrrev_b16_e32 v36, 8, v36
	v_cmp_ne_u16_e64 s[8:9], 0, v36
	s_and_saveexec_b64 s[30:31], s[8:9]
	s_cbranch_execz .LBB284_328
; %bb.323:                              ;   in Loop: Header=BB284_13 Depth=1
	v_cmp_ne_u16_e64 s[8:9], s39, v36
	v_bfrev_b32_e32 v38, 1
	s_and_saveexec_b64 s[34:35], s[8:9]
	s_cbranch_execz .LBB284_327
; %bb.324:                              ;   in Loop: Header=BB284_13 Depth=1
	v_and_b32_e32 v4, 0x7f, v36
	v_cmp_ne_u32_e64 s[8:9], s40, v4
	v_mov_b32_e32 v38, 0x7fc02000
	s_and_saveexec_b64 s[36:37], s[8:9]
	s_cbranch_execz .LBB284_326
; %bb.325:                              ;   in Loop: Header=BB284_13 Depth=1
	v_and_b32_e32 v0, 7, v36
	v_ffbh_u32_e32 v9, v0
	v_min_u32_e32 v9, 32, v9
	v_lshrrev_b32_e32 v1, 3, v4
	v_subrev_u32_e32 v10, 28, v9
	v_sub_u32_e32 v9, 29, v9
	v_cmp_gt_u32_e64 s[8:9], 8, v4
	v_lshlrev_b64 v[10:11], v10, v[36:37]
	v_cndmask_b32_e64 v1, v1, v9, s[8:9]
	v_mov_b32_e32 v2, 0x2000
	v_and_b32_e32 v10, 7, v10
	v_lshlrev_b32_e32 v4, 8, v36
	v_lshl_add_u32 v1, v1, 10, v2
	v_cndmask_b32_e64 v0, v0, v10, s[8:9]
	v_and_or_b32 v1, v4, s41, v1
	v_lshl_or_b32 v0, v0, 7, v1
	v_cvt_f32_f16_e32 v38, v0
.LBB284_326:                            ;   in Loop: Header=BB284_13 Depth=1
	s_or_b64 exec, exec, s[36:37]
.LBB284_327:                            ;   in Loop: Header=BB284_13 Depth=1
	s_or_b64 exec, exec, s[34:35]
.LBB284_328:                            ;   in Loop: Header=BB284_13 Depth=1
	s_or_b64 exec, exec, s[30:31]
	flat_load_ushort v0, v[34:35] offset:3328
	v_mov_b32_e32 v1, 0
	v_mov_b32_e32 v4, 0
	;; [unrolled: 1-line block ×3, first 2 shown]
	s_waitcnt vmcnt(0) lgkmcnt(0)
	v_and_b32_e32 v36, 0xffff, v0
	v_cmp_ne_u16_sdwa s[8:9], v0, v1 src0_sel:BYTE_0 src1_sel:DWORD
	s_and_saveexec_b64 s[30:31], s[8:9]
	s_cbranch_execz .LBB284_334
; %bb.329:                              ;   in Loop: Header=BB284_13 Depth=1
	v_cmp_ne_u16_sdwa s[8:9], v36, s39 src0_sel:BYTE_0 src1_sel:DWORD
	v_bfrev_b32_e32 v31, 1
	s_and_saveexec_b64 s[34:35], s[8:9]
	s_cbranch_execz .LBB284_333
; %bb.330:                              ;   in Loop: Header=BB284_13 Depth=1
	v_and_b32_e32 v9, 0x7f, v36
	v_cmp_ne_u32_e64 s[8:9], s40, v9
	v_mov_b32_e32 v31, 0x7fc02000
	s_and_saveexec_b64 s[36:37], s[8:9]
	s_cbranch_execz .LBB284_332
; %bb.331:                              ;   in Loop: Header=BB284_13 Depth=1
	v_and_b32_e32 v0, 7, v36
	v_ffbh_u32_e32 v10, v0
	v_min_u32_e32 v20, 32, v10
	v_subrev_u32_e32 v10, 28, v20
	v_lshlrev_b64 v[10:11], v10, v[36:37]
	v_lshrrev_b32_e32 v1, 3, v9
	v_sub_u32_e32 v11, 29, v20
	v_cmp_gt_u32_e64 s[8:9], 8, v9
	v_cndmask_b32_e64 v1, v1, v11, s[8:9]
	v_mov_b32_e32 v2, 0x2000
	v_and_b32_e32 v10, 7, v10
	v_lshlrev_b32_e32 v9, 8, v36
	v_lshl_add_u32 v1, v1, 10, v2
	v_cndmask_b32_e64 v0, v0, v10, s[8:9]
	v_and_or_b32 v1, v9, s41, v1
	v_lshl_or_b32 v0, v0, 7, v1
	v_cvt_f32_f16_e32 v31, v0
.LBB284_332:                            ;   in Loop: Header=BB284_13 Depth=1
	s_or_b64 exec, exec, s[36:37]
.LBB284_333:                            ;   in Loop: Header=BB284_13 Depth=1
	s_or_b64 exec, exec, s[34:35]
.LBB284_334:                            ;   in Loop: Header=BB284_13 Depth=1
	s_or_b64 exec, exec, s[30:31]
	v_lshrrev_b16_e32 v36, 8, v36
	v_cmp_ne_u16_e64 s[8:9], 0, v36
	s_and_saveexec_b64 s[30:31], s[8:9]
	s_cbranch_execz .LBB284_340
; %bb.335:                              ;   in Loop: Header=BB284_13 Depth=1
	v_cmp_ne_u16_e64 s[8:9], s39, v36
	v_bfrev_b32_e32 v4, 1
	s_and_saveexec_b64 s[34:35], s[8:9]
	s_cbranch_execz .LBB284_339
; %bb.336:                              ;   in Loop: Header=BB284_13 Depth=1
	v_and_b32_e32 v9, 0x7f, v36
	v_cmp_ne_u32_e64 s[8:9], s40, v9
	v_mov_b32_e32 v4, 0x7fc02000
	s_and_saveexec_b64 s[36:37], s[8:9]
	s_cbranch_execz .LBB284_338
; %bb.337:                              ;   in Loop: Header=BB284_13 Depth=1
	v_and_b32_e32 v0, 7, v36
	v_ffbh_u32_e32 v4, v0
	v_min_u32_e32 v4, 32, v4
	v_lshrrev_b32_e32 v1, 3, v9
	v_subrev_u32_e32 v10, 28, v4
	v_sub_u32_e32 v4, 29, v4
	v_cmp_gt_u32_e64 s[8:9], 8, v9
	v_lshlrev_b64 v[10:11], v10, v[36:37]
	v_cndmask_b32_e64 v1, v1, v4, s[8:9]
	v_mov_b32_e32 v2, 0x2000
	v_and_b32_e32 v10, 7, v10
	v_lshlrev_b32_e32 v4, 8, v36
	v_lshl_add_u32 v1, v1, 10, v2
	v_cndmask_b32_e64 v0, v0, v10, s[8:9]
	v_and_or_b32 v1, v4, s41, v1
	v_lshl_or_b32 v0, v0, 7, v1
	v_cvt_f32_f16_e32 v4, v0
.LBB284_338:                            ;   in Loop: Header=BB284_13 Depth=1
	s_or_b64 exec, exec, s[36:37]
.LBB284_339:                            ;   in Loop: Header=BB284_13 Depth=1
	s_or_b64 exec, exec, s[34:35]
.LBB284_340:                            ;   in Loop: Header=BB284_13 Depth=1
	s_or_b64 exec, exec, s[30:31]
	flat_load_ushort v0, v[34:35] offset:3336
	v_mov_b32_e32 v1, 0
	v_mov_b32_e32 v20, 0
	;; [unrolled: 1-line block ×3, first 2 shown]
	s_waitcnt vmcnt(0) lgkmcnt(0)
	v_and_b32_e32 v36, 0xffff, v0
	v_cmp_ne_u16_sdwa s[8:9], v0, v1 src0_sel:BYTE_0 src1_sel:DWORD
	s_and_saveexec_b64 s[30:31], s[8:9]
	s_cbranch_execz .LBB284_346
; %bb.341:                              ;   in Loop: Header=BB284_13 Depth=1
	v_cmp_ne_u16_sdwa s[8:9], v36, s39 src0_sel:BYTE_0 src1_sel:DWORD
	v_bfrev_b32_e32 v21, 1
	s_and_saveexec_b64 s[34:35], s[8:9]
	s_cbranch_execz .LBB284_345
; %bb.342:                              ;   in Loop: Header=BB284_13 Depth=1
	v_and_b32_e32 v9, 0x7f, v36
	v_cmp_ne_u32_e64 s[8:9], s40, v9
	v_mov_b32_e32 v21, 0x7fc02000
	s_and_saveexec_b64 s[36:37], s[8:9]
	s_cbranch_execz .LBB284_344
; %bb.343:                              ;   in Loop: Header=BB284_13 Depth=1
	v_and_b32_e32 v0, 7, v36
	v_ffbh_u32_e32 v10, v0
	v_min_u32_e32 v21, 32, v10
	v_subrev_u32_e32 v10, 28, v21
	v_lshlrev_b64 v[10:11], v10, v[36:37]
	v_lshrrev_b32_e32 v1, 3, v9
	v_sub_u32_e32 v11, 29, v21
	v_cmp_gt_u32_e64 s[8:9], 8, v9
	v_cndmask_b32_e64 v1, v1, v11, s[8:9]
	v_mov_b32_e32 v2, 0x2000
	v_and_b32_e32 v10, 7, v10
	v_lshlrev_b32_e32 v9, 8, v36
	v_lshl_add_u32 v1, v1, 10, v2
	v_cndmask_b32_e64 v0, v0, v10, s[8:9]
	v_and_or_b32 v1, v9, s41, v1
	v_lshl_or_b32 v0, v0, 7, v1
	v_cvt_f32_f16_e32 v21, v0
.LBB284_344:                            ;   in Loop: Header=BB284_13 Depth=1
	s_or_b64 exec, exec, s[36:37]
.LBB284_345:                            ;   in Loop: Header=BB284_13 Depth=1
	s_or_b64 exec, exec, s[34:35]
.LBB284_346:                            ;   in Loop: Header=BB284_13 Depth=1
	s_or_b64 exec, exec, s[30:31]
	v_lshrrev_b16_e32 v36, 8, v36
	v_cmp_ne_u16_e64 s[8:9], 0, v36
	s_and_saveexec_b64 s[30:31], s[8:9]
	s_cbranch_execz .LBB284_352
; %bb.347:                              ;   in Loop: Header=BB284_13 Depth=1
	v_cmp_ne_u16_e64 s[8:9], s39, v36
	v_bfrev_b32_e32 v20, 1
	s_and_saveexec_b64 s[34:35], s[8:9]
	s_cbranch_execz .LBB284_351
; %bb.348:                              ;   in Loop: Header=BB284_13 Depth=1
	v_and_b32_e32 v9, 0x7f, v36
	v_cmp_ne_u32_e64 s[8:9], s40, v9
	v_mov_b32_e32 v20, 0x7fc02000
	s_and_saveexec_b64 s[36:37], s[8:9]
	s_cbranch_execz .LBB284_350
; %bb.349:                              ;   in Loop: Header=BB284_13 Depth=1
	v_and_b32_e32 v0, 7, v36
	v_ffbh_u32_e32 v10, v0
	v_min_u32_e32 v20, 32, v10
	v_subrev_u32_e32 v10, 28, v20
	v_lshlrev_b64 v[10:11], v10, v[36:37]
	v_lshrrev_b32_e32 v1, 3, v9
	v_sub_u32_e32 v11, 29, v20
	v_cmp_gt_u32_e64 s[8:9], 8, v9
	v_cndmask_b32_e64 v1, v1, v11, s[8:9]
	v_mov_b32_e32 v2, 0x2000
	v_and_b32_e32 v10, 7, v10
	v_lshlrev_b32_e32 v9, 8, v36
	v_lshl_add_u32 v1, v1, 10, v2
	v_cndmask_b32_e64 v0, v0, v10, s[8:9]
	v_and_or_b32 v1, v9, s41, v1
	v_lshl_or_b32 v0, v0, 7, v1
	v_cvt_f32_f16_e32 v20, v0
.LBB284_350:                            ;   in Loop: Header=BB284_13 Depth=1
	s_or_b64 exec, exec, s[36:37]
.LBB284_351:                            ;   in Loop: Header=BB284_13 Depth=1
	s_or_b64 exec, exec, s[34:35]
.LBB284_352:                            ;   in Loop: Header=BB284_13 Depth=1
	s_or_b64 exec, exec, s[30:31]
	flat_load_ushort v0, v[34:35] offset:3584
	v_mov_b32_e32 v1, 0
	v_mov_b32_e32 v47, 0
	;; [unrolled: 1-line block ×3, first 2 shown]
	s_waitcnt vmcnt(0) lgkmcnt(0)
	v_and_b32_e32 v36, 0xffff, v0
	v_cmp_ne_u16_sdwa s[8:9], v0, v1 src0_sel:BYTE_0 src1_sel:DWORD
	s_and_saveexec_b64 s[30:31], s[8:9]
	s_cbranch_execz .LBB284_358
; %bb.353:                              ;   in Loop: Header=BB284_13 Depth=1
	v_cmp_ne_u16_sdwa s[8:9], v36, s39 src0_sel:BYTE_0 src1_sel:DWORD
	v_bfrev_b32_e32 v27, 1
	s_and_saveexec_b64 s[34:35], s[8:9]
	s_cbranch_execz .LBB284_357
; %bb.354:                              ;   in Loop: Header=BB284_13 Depth=1
	v_and_b32_e32 v9, 0x7f, v36
	v_cmp_ne_u32_e64 s[8:9], s40, v9
	v_mov_b32_e32 v27, 0x7fc02000
	s_and_saveexec_b64 s[36:37], s[8:9]
	s_cbranch_execz .LBB284_356
; %bb.355:                              ;   in Loop: Header=BB284_13 Depth=1
	v_and_b32_e32 v0, 7, v36
	v_ffbh_u32_e32 v10, v0
	v_min_u32_e32 v26, 32, v10
	v_subrev_u32_e32 v10, 28, v26
	v_lshlrev_b64 v[10:11], v10, v[36:37]
	v_lshrrev_b32_e32 v1, 3, v9
	v_sub_u32_e32 v11, 29, v26
	v_cmp_gt_u32_e64 s[8:9], 8, v9
	v_cndmask_b32_e64 v1, v1, v11, s[8:9]
	v_mov_b32_e32 v2, 0x2000
	v_and_b32_e32 v10, 7, v10
	v_lshlrev_b32_e32 v9, 8, v36
	v_lshl_add_u32 v1, v1, 10, v2
	v_cndmask_b32_e64 v0, v0, v10, s[8:9]
	v_and_or_b32 v1, v9, s41, v1
	v_lshl_or_b32 v0, v0, 7, v1
	v_cvt_f32_f16_e32 v27, v0
.LBB284_356:                            ;   in Loop: Header=BB284_13 Depth=1
	s_or_b64 exec, exec, s[36:37]
.LBB284_357:                            ;   in Loop: Header=BB284_13 Depth=1
	s_or_b64 exec, exec, s[34:35]
.LBB284_358:                            ;   in Loop: Header=BB284_13 Depth=1
	s_or_b64 exec, exec, s[30:31]
	v_lshrrev_b16_e32 v36, 8, v36
	v_cmp_ne_u16_e64 s[8:9], 0, v36
	s_and_saveexec_b64 s[30:31], s[8:9]
	s_cbranch_execz .LBB284_364
; %bb.359:                              ;   in Loop: Header=BB284_13 Depth=1
	v_cmp_ne_u16_e64 s[8:9], s39, v36
	v_bfrev_b32_e32 v47, 1
	s_and_saveexec_b64 s[34:35], s[8:9]
	s_cbranch_execz .LBB284_363
; %bb.360:                              ;   in Loop: Header=BB284_13 Depth=1
	v_and_b32_e32 v9, 0x7f, v36
	v_cmp_ne_u32_e64 s[8:9], s40, v9
	v_mov_b32_e32 v47, 0x7fc02000
	s_and_saveexec_b64 s[36:37], s[8:9]
	s_cbranch_execz .LBB284_362
; %bb.361:                              ;   in Loop: Header=BB284_13 Depth=1
	v_and_b32_e32 v0, 7, v36
	v_ffbh_u32_e32 v10, v0
	v_min_u32_e32 v26, 32, v10
	v_subrev_u32_e32 v10, 28, v26
	v_lshlrev_b64 v[10:11], v10, v[36:37]
	v_lshrrev_b32_e32 v1, 3, v9
	v_sub_u32_e32 v11, 29, v26
	v_cmp_gt_u32_e64 s[8:9], 8, v9
	v_cndmask_b32_e64 v1, v1, v11, s[8:9]
	v_mov_b32_e32 v2, 0x2000
	v_and_b32_e32 v10, 7, v10
	v_lshlrev_b32_e32 v9, 8, v36
	v_lshl_add_u32 v1, v1, 10, v2
	v_cndmask_b32_e64 v0, v0, v10, s[8:9]
	v_and_or_b32 v1, v9, s41, v1
	v_lshl_or_b32 v0, v0, 7, v1
	v_cvt_f32_f16_e32 v47, v0
.LBB284_362:                            ;   in Loop: Header=BB284_13 Depth=1
	s_or_b64 exec, exec, s[36:37]
.LBB284_363:                            ;   in Loop: Header=BB284_13 Depth=1
	s_or_b64 exec, exec, s[34:35]
.LBB284_364:                            ;   in Loop: Header=BB284_13 Depth=1
	s_or_b64 exec, exec, s[30:31]
	flat_load_ushort v0, v[34:35] offset:3592
	v_mov_b32_e32 v1, 0
	v_mov_b32_e32 v26, 0
	;; [unrolled: 1-line block ×3, first 2 shown]
	s_waitcnt vmcnt(0) lgkmcnt(0)
	v_and_b32_e32 v36, 0xffff, v0
	v_cmp_ne_u16_sdwa s[8:9], v0, v1 src0_sel:BYTE_0 src1_sel:DWORD
	s_and_saveexec_b64 s[30:31], s[8:9]
	s_cbranch_execz .LBB284_370
; %bb.365:                              ;   in Loop: Header=BB284_13 Depth=1
	v_cmp_ne_u16_sdwa s[8:9], v36, s39 src0_sel:BYTE_0 src1_sel:DWORD
	v_bfrev_b32_e32 v29, 1
	s_and_saveexec_b64 s[34:35], s[8:9]
	s_cbranch_execz .LBB284_369
; %bb.366:                              ;   in Loop: Header=BB284_13 Depth=1
	v_and_b32_e32 v9, 0x7f, v36
	v_cmp_ne_u32_e64 s[8:9], s40, v9
	v_mov_b32_e32 v29, 0x7fc02000
	s_and_saveexec_b64 s[36:37], s[8:9]
	s_cbranch_execz .LBB284_368
; %bb.367:                              ;   in Loop: Header=BB284_13 Depth=1
	v_and_b32_e32 v0, 7, v36
	v_ffbh_u32_e32 v10, v0
	v_min_u32_e32 v29, 32, v10
	v_subrev_u32_e32 v10, 28, v29
	v_lshlrev_b64 v[10:11], v10, v[36:37]
	v_lshrrev_b32_e32 v1, 3, v9
	v_sub_u32_e32 v11, 29, v29
	v_cmp_gt_u32_e64 s[8:9], 8, v9
	v_cndmask_b32_e64 v1, v1, v11, s[8:9]
	v_mov_b32_e32 v2, 0x2000
	v_and_b32_e32 v10, 7, v10
	v_lshlrev_b32_e32 v9, 8, v36
	v_lshl_add_u32 v1, v1, 10, v2
	v_cndmask_b32_e64 v0, v0, v10, s[8:9]
	v_and_or_b32 v1, v9, s41, v1
	v_lshl_or_b32 v0, v0, 7, v1
	v_cvt_f32_f16_e32 v29, v0
.LBB284_368:                            ;   in Loop: Header=BB284_13 Depth=1
	s_or_b64 exec, exec, s[36:37]
.LBB284_369:                            ;   in Loop: Header=BB284_13 Depth=1
	s_or_b64 exec, exec, s[34:35]
.LBB284_370:                            ;   in Loop: Header=BB284_13 Depth=1
	s_or_b64 exec, exec, s[30:31]
	v_lshrrev_b16_e32 v36, 8, v36
	v_cmp_ne_u16_e64 s[8:9], 0, v36
	s_and_saveexec_b64 s[30:31], s[8:9]
	s_cbranch_execz .LBB284_376
; %bb.371:                              ;   in Loop: Header=BB284_13 Depth=1
	v_cmp_ne_u16_e64 s[8:9], s39, v36
	v_bfrev_b32_e32 v26, 1
	s_and_saveexec_b64 s[34:35], s[8:9]
	s_cbranch_execz .LBB284_375
; %bb.372:                              ;   in Loop: Header=BB284_13 Depth=1
	v_and_b32_e32 v9, 0x7f, v36
	v_cmp_ne_u32_e64 s[8:9], s40, v9
	v_mov_b32_e32 v26, 0x7fc02000
	s_and_saveexec_b64 s[36:37], s[8:9]
	s_cbranch_execz .LBB284_374
; %bb.373:                              ;   in Loop: Header=BB284_13 Depth=1
	v_and_b32_e32 v0, 7, v36
	v_ffbh_u32_e32 v10, v0
	v_min_u32_e32 v26, 32, v10
	v_subrev_u32_e32 v10, 28, v26
	v_lshlrev_b64 v[10:11], v10, v[36:37]
	v_lshrrev_b32_e32 v1, 3, v9
	v_sub_u32_e32 v11, 29, v26
	v_cmp_gt_u32_e64 s[8:9], 8, v9
	v_cndmask_b32_e64 v1, v1, v11, s[8:9]
	v_mov_b32_e32 v2, 0x2000
	v_and_b32_e32 v10, 7, v10
	v_lshlrev_b32_e32 v9, 8, v36
	v_lshl_add_u32 v1, v1, 10, v2
	v_cndmask_b32_e64 v0, v0, v10, s[8:9]
	v_and_or_b32 v1, v9, s41, v1
	v_lshl_or_b32 v0, v0, 7, v1
	v_cvt_f32_f16_e32 v26, v0
.LBB284_374:                            ;   in Loop: Header=BB284_13 Depth=1
	s_or_b64 exec, exec, s[36:37]
.LBB284_375:                            ;   in Loop: Header=BB284_13 Depth=1
	s_or_b64 exec, exec, s[34:35]
.LBB284_376:                            ;   in Loop: Header=BB284_13 Depth=1
	s_or_b64 exec, exec, s[30:31]
	flat_load_ushort v0, v[34:35] offset:3840
	v_mov_b32_e32 v11, 0
	v_mov_b32_e32 v1, 0
	;; [unrolled: 1-line block ×3, first 2 shown]
	s_waitcnt vmcnt(0) lgkmcnt(0)
	v_and_b32_e32 v36, 0xffff, v0
	v_cmp_ne_u16_sdwa s[8:9], v0, v1 src0_sel:BYTE_0 src1_sel:DWORD
	s_mov_b64 s[30:31], exec
	s_and_b64 s[8:9], s[30:31], s[8:9]
	v_accvgpr_write_b32 a53, v40
	v_accvgpr_write_b32 a54, v45
	s_mov_b64 exec, s[8:9]
	s_cbranch_execz .LBB284_382
; %bb.377:                              ;   in Loop: Header=BB284_13 Depth=1
	v_cmp_ne_u16_sdwa s[8:9], v36, s39 src0_sel:BYTE_0 src1_sel:DWORD
	v_bfrev_b32_e32 v10, 1
	s_and_saveexec_b64 s[34:35], s[8:9]
	s_cbranch_execz .LBB284_381
; %bb.378:                              ;   in Loop: Header=BB284_13 Depth=1
	v_and_b32_e32 v9, 0x7f, v36
	v_cmp_ne_u32_e64 s[8:9], s40, v9
	v_mov_b32_e32 v10, 0x7fc02000
	s_and_saveexec_b64 s[36:37], s[8:9]
	s_cbranch_execz .LBB284_380
; %bb.379:                              ;   in Loop: Header=BB284_13 Depth=1
	v_and_b32_e32 v10, 7, v36
	v_ffbh_u32_e32 v0, v10
	v_min_u32_e32 v40, 32, v0
	v_subrev_u32_e32 v0, 28, v40
	v_lshlrev_b64 v[0:1], v0, v[36:37]
	v_lshrrev_b32_e32 v45, 3, v9
	v_sub_u32_e32 v1, 29, v40
	v_cmp_gt_u32_e64 s[8:9], 8, v9
	v_cndmask_b32_e64 v1, v45, v1, s[8:9]
	v_mov_b32_e32 v2, 0x2000
	v_and_b32_e32 v0, 7, v0
	v_lshlrev_b32_e32 v9, 8, v36
	v_lshl_add_u32 v1, v1, 10, v2
	v_cndmask_b32_e64 v0, v10, v0, s[8:9]
	v_and_or_b32 v1, v9, s41, v1
	v_lshl_or_b32 v0, v0, 7, v1
	v_cvt_f32_f16_e32 v10, v0
.LBB284_380:                            ;   in Loop: Header=BB284_13 Depth=1
	s_or_b64 exec, exec, s[36:37]
.LBB284_381:                            ;   in Loop: Header=BB284_13 Depth=1
	s_or_b64 exec, exec, s[34:35]
.LBB284_382:                            ;   in Loop: Header=BB284_13 Depth=1
	s_or_b64 exec, exec, s[30:31]
	v_lshrrev_b16_e32 v36, 8, v36
	v_cmp_ne_u16_e64 s[8:9], 0, v36
	s_and_saveexec_b64 s[30:31], s[8:9]
	s_cbranch_execz .LBB284_388
; %bb.383:                              ;   in Loop: Header=BB284_13 Depth=1
	v_cmp_ne_u16_e64 s[8:9], s39, v36
	v_bfrev_b32_e32 v11, 1
	s_and_saveexec_b64 s[34:35], s[8:9]
	s_cbranch_execz .LBB284_387
; %bb.384:                              ;   in Loop: Header=BB284_13 Depth=1
	v_and_b32_e32 v9, 0x7f, v36
	v_cmp_ne_u32_e64 s[8:9], s40, v9
	v_mov_b32_e32 v11, 0x7fc02000
	s_and_saveexec_b64 s[36:37], s[8:9]
	s_cbranch_execz .LBB284_386
; %bb.385:                              ;   in Loop: Header=BB284_13 Depth=1
	v_and_b32_e32 v11, 7, v36
	v_ffbh_u32_e32 v0, v11
	v_min_u32_e32 v45, 32, v0
	v_subrev_u32_e32 v0, 28, v45
	v_lshlrev_b64 v[0:1], v0, v[36:37]
	v_lshrrev_b32_e32 v40, 3, v9
	v_sub_u32_e32 v1, 29, v45
	v_cmp_gt_u32_e64 s[8:9], 8, v9
	v_cndmask_b32_e64 v1, v40, v1, s[8:9]
	v_mov_b32_e32 v2, 0x2000
	v_and_b32_e32 v0, 7, v0
	v_lshlrev_b32_e32 v9, 8, v36
	v_lshl_add_u32 v1, v1, 10, v2
	v_cndmask_b32_e64 v0, v11, v0, s[8:9]
	v_and_or_b32 v1, v9, s41, v1
	v_lshl_or_b32 v0, v0, 7, v1
	v_cvt_f32_f16_e32 v11, v0
.LBB284_386:                            ;   in Loop: Header=BB284_13 Depth=1
	s_or_b64 exec, exec, s[36:37]
.LBB284_387:                            ;   in Loop: Header=BB284_13 Depth=1
	s_or_b64 exec, exec, s[34:35]
.LBB284_388:                            ;   in Loop: Header=BB284_13 Depth=1
	s_or_b64 exec, exec, s[30:31]
	flat_load_ushort v0, v[34:35] offset:3848
	v_mov_b32_e32 v1, 0
	v_mov_b32_e32 v35, 0
	;; [unrolled: 1-line block ×3, first 2 shown]
	s_waitcnt vmcnt(0) lgkmcnt(0)
	v_and_b32_e32 v34, 0xffff, v0
	v_cmp_ne_u16_sdwa s[8:9], v0, v1 src0_sel:BYTE_0 src1_sel:DWORD
	s_and_saveexec_b64 s[30:31], s[8:9]
	s_cbranch_execz .LBB284_394
; %bb.389:                              ;   in Loop: Header=BB284_13 Depth=1
	v_cmp_ne_u16_sdwa s[8:9], v34, s39 src0_sel:BYTE_0 src1_sel:DWORD
	v_bfrev_b32_e32 v36, 1
	s_and_saveexec_b64 s[34:35], s[8:9]
	s_cbranch_execz .LBB284_393
; %bb.390:                              ;   in Loop: Header=BB284_13 Depth=1
	v_and_b32_e32 v9, 0x7f, v34
	v_cmp_ne_u32_e64 s[8:9], s40, v9
	v_mov_b32_e32 v36, 0x7fc02000
	s_and_saveexec_b64 s[36:37], s[8:9]
	s_cbranch_execz .LBB284_392
; %bb.391:                              ;   in Loop: Header=BB284_13 Depth=1
	v_and_b32_e32 v36, 7, v34
	v_ffbh_u32_e32 v0, v36
	v_min_u32_e32 v45, 32, v0
	v_subrev_u32_e32 v0, 28, v45
	v_lshlrev_b64 v[0:1], v0, v[34:35]
	v_lshrrev_b32_e32 v40, 3, v9
	v_sub_u32_e32 v1, 29, v45
	v_cmp_gt_u32_e64 s[8:9], 8, v9
	v_cndmask_b32_e64 v1, v40, v1, s[8:9]
	v_mov_b32_e32 v2, 0x2000
	v_and_b32_e32 v0, 7, v0
	v_lshlrev_b32_e32 v9, 8, v34
	v_lshl_add_u32 v1, v1, 10, v2
	v_cndmask_b32_e64 v0, v36, v0, s[8:9]
	v_and_or_b32 v1, v9, s41, v1
	v_lshl_or_b32 v0, v0, 7, v1
	v_cvt_f32_f16_e32 v36, v0
.LBB284_392:                            ;   in Loop: Header=BB284_13 Depth=1
	s_or_b64 exec, exec, s[36:37]
.LBB284_393:                            ;   in Loop: Header=BB284_13 Depth=1
	s_or_b64 exec, exec, s[34:35]
.LBB284_394:                            ;   in Loop: Header=BB284_13 Depth=1
	s_or_b64 exec, exec, s[30:31]
	v_lshrrev_b16_e32 v34, 8, v34
	v_accvgpr_write_b32 a52, v6
	v_accvgpr_write_b32 a50, v8
	;; [unrolled: 1-line block ×4, first 2 shown]
	v_cmp_ne_u16_e64 s[8:9], 0, v34
	s_and_saveexec_b64 s[30:31], s[8:9]
	s_cbranch_execz .LBB284_400
; %bb.395:                              ;   in Loop: Header=BB284_13 Depth=1
	v_cmp_ne_u16_e64 s[8:9], s39, v34
	v_bfrev_b32_e32 v35, 1
	s_and_saveexec_b64 s[34:35], s[8:9]
	s_cbranch_execz .LBB284_399
; %bb.396:                              ;   in Loop: Header=BB284_13 Depth=1
	v_and_b32_e32 v9, 0x7f, v34
	v_cmp_ne_u32_e64 s[8:9], s40, v9
	v_mov_b32_e32 v35, 0x7fc02000
	s_and_saveexec_b64 s[36:37], s[8:9]
	s_cbranch_execz .LBB284_398
; %bb.397:                              ;   in Loop: Header=BB284_13 Depth=1
	v_and_b32_e32 v35, 7, v34
	v_ffbh_u32_e32 v0, v35
	v_min_u32_e32 v45, 32, v0
	v_subrev_u32_e32 v0, 28, v45
	v_lshlrev_b64 v[0:1], v0, v[34:35]
	v_lshrrev_b32_e32 v40, 3, v9
	v_sub_u32_e32 v1, 29, v45
	v_cmp_gt_u32_e64 s[8:9], 8, v9
	v_cndmask_b32_e64 v1, v40, v1, s[8:9]
	v_mov_b32_e32 v2, 0x2000
	v_and_b32_e32 v0, 7, v0
	v_lshlrev_b32_e32 v9, 8, v34
	v_lshl_add_u32 v1, v1, 10, v2
	v_cndmask_b32_e64 v0, v35, v0, s[8:9]
	v_and_or_b32 v1, v9, s41, v1
	v_lshl_or_b32 v0, v0, 7, v1
	v_cvt_f32_f16_e32 v35, v0
.LBB284_398:                            ;   in Loop: Header=BB284_13 Depth=1
	s_or_b64 exec, exec, s[36:37]
.LBB284_399:                            ;   in Loop: Header=BB284_13 Depth=1
	s_or_b64 exec, exec, s[34:35]
.LBB284_400:                            ;   in Loop: Header=BB284_13 Depth=1
	s_or_b64 exec, exec, s[30:31]
	buffer_load_dword v1, off, s[0:3], s32 offset:160 ; 4-byte Folded Reload
	buffer_load_dword v2, off, s[0:3], s32 offset:164 ; 4-byte Folded Reload
	v_fma_mixlo_f16 v0, v58, v13, 0
	v_accvgpr_read_b32 v13, a41
	ds_read_b32 v34, v13
	v_and_b32_e32 v0, 0xffff, v0
	v_fma_mixlo_f16 v51, v58, v39, 0
	v_fma_mixlo_f16 v39, v58, v14, 0
	;; [unrolled: 1-line block ×3, first 2 shown]
	s_waitcnt lgkmcnt(0)
	v_lshrrev_b32_e32 v40, 16, v34
	v_and_b32_e32 v34, 0xffff, v34
	;;#ASMSTART
	v_cvt_f32_f16 v45, v34;
	;;#ASMEND
	;;#ASMSTART
	v_cvt_f32_f16 v40, v40;
	;;#ASMEND
	v_fma_mixlo_f16 v8, v58, v16, 0
	v_and_b32_e32 v8, 0xffff, v8
	v_fma_mixlo_f16 v7, v58, v7, 0
	v_and_b32_e32 v7, 0xffff, v7
	v_accvgpr_read_b32 v16, a50
	v_fma_mixlo_f16 v54, v58, v54, 0
	v_fma_mixlo_f16 v53, v58, v53, 0
	;; [unrolled: 1-line block ×5, first 2 shown]
	v_and_b32_e32 v4, 0xffff, v4
	v_fma_mixlo_f16 v10, v58, v10, 0
	v_fma_mixlo_f16 v11, v58, v11, 0
	s_waitcnt vmcnt(1)
	v_fma_mixlo_f16 v1, v58, v1, 0
	s_waitcnt vmcnt(0)
	v_fma_mixlo_f16 v9, v58, v2, 0
	v_and_b32_e32 v1, 0xffff, v1
	v_and_b32_e32 v9, 0xffff, v9
	;;#ASMSTART
	v_cvt_f32_f16 v1, v1;
	;;#ASMEND
	;;#ASMSTART
	v_cvt_f32_f16 v9, v9;
	;;#ASMEND
	ds_read_b32 v34, v13 offset:4
	v_fma_mixlo_f16 v2, v58, v48, 0
	s_waitcnt lgkmcnt(0)
	v_lshrrev_b32_e32 v3, 16, v34
	v_and_b32_e32 v34, 0xffff, v34
	;;#ASMSTART
	v_cvt_f32_f16 v34, v34;
	;;#ASMEND
	;;#ASMSTART
	v_cvt_f32_f16 v3, v3;
	;;#ASMEND
	;; [unrolled: 3-line block ×3, first 2 shown]
	v_mul_f32_e32 v34, v34, v0
	v_fma_mixlo_f16 v0, v58, v15, 0
	v_and_b32_e32 v0, 0xffff, v0
	;;#ASMSTART
	v_cvt_f32_f16 v0, v0;
	;;#ASMEND
	v_fmac_f32_e32 v34, v45, v1
	v_mul_f32_e32 v45, v3, v0
	buffer_load_dword v0, off, s[0:3], s32 offset:168 ; 4-byte Folded Reload
	ds_read_b32 v1, v13 offset:8
	v_fmac_f32_e32 v45, v40, v9
	v_fma_mixlo_f16 v9, v58, v37, 0
	v_fma_mixlo_f16 v40, v58, v30, 0
	;; [unrolled: 1-line block ×3, first 2 shown]
	s_waitcnt lgkmcnt(0)
	v_lshrrev_b32_e32 v3, 16, v1
	v_and_b32_e32 v1, 0xffff, v1
	;;#ASMSTART
	v_cvt_f32_f16 v1, v1;
	;;#ASMEND
	;;#ASMSTART
	v_cvt_f32_f16 v3, v3;
	;;#ASMEND
	v_fma_mixlo_f16 v37, v58, v62, 0
	v_fma_mixlo_f16 v62, v58, v44, 0
	s_waitcnt vmcnt(0)
	v_fma_mixlo_f16 v0, v58, v0, 0
	v_and_b32_e32 v0, 0xffff, v0
	;;#ASMSTART
	v_cvt_f32_f16 v0, v0;
	;;#ASMEND
	v_fmac_f32_e32 v34, v1, v0
	v_fma_mixlo_f16 v0, v58, v18, 0
	v_and_b32_e32 v0, 0xffff, v0
	;;#ASMSTART
	v_cvt_f32_f16 v0, v0;
	;;#ASMEND
	v_fmac_f32_e32 v45, v3, v0
	buffer_load_dword v0, off, s[0:3], s32 offset:172 ; 4-byte Folded Reload
	ds_read_b32 v1, v13 offset:12
	s_waitcnt lgkmcnt(0)
	v_lshrrev_b32_e32 v3, 16, v1
	v_and_b32_e32 v1, 0xffff, v1
	;;#ASMSTART
	v_cvt_f32_f16 v1, v1;
	;;#ASMEND
	;;#ASMSTART
	v_cvt_f32_f16 v3, v3;
	;;#ASMEND
	s_waitcnt vmcnt(0)
	v_fma_mixlo_f16 v0, v58, v0, 0
	v_and_b32_e32 v0, 0xffff, v0
	;;#ASMSTART
	v_cvt_f32_f16 v0, v0;
	;;#ASMEND
	v_fmac_f32_e32 v34, v1, v0
	v_fma_mixlo_f16 v0, v58, v22, 0
	v_and_b32_e32 v0, 0xffff, v0
	;;#ASMSTART
	v_cvt_f32_f16 v0, v0;
	;;#ASMEND
	v_fmac_f32_e32 v45, v3, v0
	buffer_load_dword v0, off, s[0:3], s32 offset:176 ; 4-byte Folded Reload
	ds_read_b32 v1, v13 offset:16
	s_waitcnt lgkmcnt(0)
	v_lshrrev_b32_e32 v3, 16, v1
	v_and_b32_e32 v1, 0xffff, v1
	;;#ASMSTART
	v_cvt_f32_f16 v1, v1;
	;;#ASMEND
	;;#ASMSTART
	v_cvt_f32_f16 v3, v3;
	;;#ASMEND
	s_waitcnt vmcnt(0)
	v_fma_mixlo_f16 v0, v58, v0, 0
	v_and_b32_e32 v0, 0xffff, v0
	;;#ASMSTART
	v_cvt_f32_f16 v0, v0;
	;;#ASMEND
	v_fmac_f32_e32 v34, v1, v0
	v_fma_mixlo_f16 v0, v58, v12, 0
	v_and_b32_e32 v0, 0xffff, v0
	;;#ASMSTART
	v_cvt_f32_f16 v0, v0;
	;;#ASMEND
	v_fmac_f32_e32 v45, v3, v0
	ds_read_b32 v0, v13 offset:20
	v_fma_mixlo_f16 v1, v58, v28, 0
	v_and_b32_e32 v1, 0xffff, v1
	v_fma_mixlo_f16 v12, v58, v43, 0
	v_fma_mixlo_f16 v43, v58, v31, 0
	s_waitcnt lgkmcnt(0)
	v_lshrrev_b32_e32 v3, 16, v0
	v_and_b32_e32 v0, 0xffff, v0
	;;#ASMSTART
	v_cvt_f32_f16 v0, v0;
	;;#ASMEND
	;;#ASMSTART
	v_cvt_f32_f16 v3, v3;
	;;#ASMEND
	;; [unrolled: 3-line block ×3, first 2 shown]
	v_fmac_f32_e32 v34, v0, v1
	v_fma_mixlo_f16 v0, v58, v25, 0
	v_and_b32_e32 v0, 0xffff, v0
	;;#ASMSTART
	v_cvt_f32_f16 v0, v0;
	;;#ASMEND
	ds_read_b32 v1, v13 offset:24
	v_fmac_f32_e32 v45, v3, v0
	v_and_b32_e32 v3, 0xffff, v9
	v_and_b32_e32 v9, 0xffff, v40
	s_waitcnt lgkmcnt(0)
	v_lshrrev_b32_e32 v0, 16, v1
	v_and_b32_e32 v1, 0xffff, v1
	;;#ASMSTART
	v_cvt_f32_f16 v1, v1;
	;;#ASMEND
	;;#ASMSTART
	v_cvt_f32_f16 v0, v0;
	;;#ASMEND
	;; [unrolled: 3-line block ×4, first 2 shown]
	ds_read_b32 v40, v13 offset:28
	v_fmac_f32_e32 v34, v1, v3
	v_fmac_f32_e32 v45, v0, v9
	s_waitcnt lgkmcnt(0)
	v_lshrrev_b32_e32 v1, 16, v40
	v_and_b32_e32 v3, 0xffff, v40
	;;#ASMSTART
	v_cvt_f32_f16 v3, v3;
	;;#ASMEND
	;;#ASMSTART
	v_cvt_f32_f16 v40, v1;
	;;#ASMEND
	v_and_b32_e32 v1, 0xffff, v2
	v_and_b32_e32 v2, 0xffff, v51
	;;#ASMSTART
	v_cvt_f32_f16 v1, v1;
	;;#ASMEND
	;;#ASMSTART
	v_cvt_f32_f16 v2, v2;
	;;#ASMEND
	ds_read_b32 v51, v13 offset:32
	v_fmac_f32_e32 v34, v3, v1
	v_fmac_f32_e32 v45, v40, v2
	s_waitcnt lgkmcnt(0)
	v_lshrrev_b32_e32 v0, 16, v51
	v_and_b32_e32 v9, 0xffff, v51
	;;#ASMSTART
	v_cvt_f32_f16 v9, v9;
	;;#ASMEND
	;;#ASMSTART
	v_cvt_f32_f16 v51, v0;
	;;#ASMEND
	v_and_b32_e32 v0, 0xffff, v39
	;;#ASMSTART
	v_cvt_f32_f16 v39, v0;
	;;#ASMEND
	v_and_b32_e32 v0, 0xffff, v15
	;;#ASMSTART
	v_cvt_f32_f16 v15, v0;
	;;#ASMEND
	ds_read_b32 v14, v13 offset:36
	v_fma_mixlo_f16 v0, v58, v29, 0
	v_fma_mixlo_f16 v29, v58, v42, 0
	v_fmac_f32_e32 v34, v9, v39
	v_fmac_f32_e32 v45, v51, v15
	s_waitcnt lgkmcnt(0)
	v_lshrrev_b32_e32 v1, 16, v14
	v_and_b32_e32 v3, 0xffff, v14
	;;#ASMSTART
	v_cvt_f32_f16 v14, v3;
	;;#ASMEND
	;;#ASMSTART
	v_cvt_f32_f16 v30, v1;
	;;#ASMEND
	v_and_b32_e32 v1, 0xffff, v29
	;;#ASMSTART
	v_cvt_f32_f16 v29, v1;
	;;#ASMEND
	v_and_b32_e32 v1, 0xffff, v17
	;;#ASMSTART
	v_cvt_f32_f16 v17, v1;
	;;#ASMEND
	ds_read_b32 v3, v13 offset:40
	v_fma_mixlo_f16 v1, v58, v26, 0
	v_fma_mixlo_f16 v26, v58, v19, 0
	;; [unrolled: 1-line block ×3, first 2 shown]
	v_fmac_f32_e32 v34, v14, v29
	s_waitcnt lgkmcnt(0)
	v_lshrrev_b32_e32 v2, 16, v3
	v_and_b32_e32 v3, 0xffff, v3
	;;#ASMSTART
	v_cvt_f32_f16 v40, v3;
	;;#ASMEND
	;;#ASMSTART
	v_cvt_f32_f16 v50, v2;
	;;#ASMEND
	v_and_b32_e32 v2, 0xffff, v26
	;;#ASMSTART
	v_cvt_f32_f16 v26, v2;
	;;#ASMEND
	v_and_b32_e32 v2, 0xffff, v12
	;;#ASMSTART
	v_cvt_f32_f16 v48, v2;
	;;#ASMEND
	ds_read_b32 v3, v13 offset:44
	v_fma_mixlo_f16 v12, v58, v24, 0
	v_fma_mixlo_f16 v2, v58, v27, 0
	;; [unrolled: 1-line block ×3, first 2 shown]
	v_fmac_f32_e32 v45, v30, v17
	s_waitcnt lgkmcnt(0)
	v_lshrrev_b32_e32 v9, 16, v3
	v_and_b32_e32 v3, 0xffff, v3
	;;#ASMSTART
	v_cvt_f32_f16 v28, v3;
	;;#ASMEND
	v_and_b32_e32 v3, 0xffff, v12
	;;#ASMSTART
	v_cvt_f32_f16 v6, v9;
	;;#ASMEND
	;;#ASMSTART
	v_cvt_f32_f16 v9, v3;
	;;#ASMEND
	v_and_b32_e32 v3, 0xffff, v27
	;;#ASMSTART
	v_cvt_f32_f16 v42, v3;
	;;#ASMEND
	ds_read_b32 v12, v13 offset:48
	v_fma_mixlo_f16 v27, v58, v60, 0
	v_fma_mixlo_f16 v3, v58, v47, 0
	v_fmac_f32_e32 v34, v40, v26
	v_fmac_f32_e32 v45, v50, v48
	s_waitcnt lgkmcnt(0)
	v_lshrrev_b32_e32 v15, 16, v12
	v_and_b32_e32 v12, 0xffff, v12
	;;#ASMSTART
	v_cvt_f32_f16 v22, v12;
	;;#ASMEND
	v_and_b32_e32 v12, 0xffff, v27
	;;#ASMSTART
	v_cvt_f32_f16 v51, v15;
	;;#ASMEND
	;;#ASMSTART
	v_cvt_f32_f16 v25, v12;
	;;#ASMEND
	v_and_b32_e32 v12, 0xffff, v39
	;;#ASMSTART
	v_cvt_f32_f16 v47, v12;
	;;#ASMEND
	ds_read_b32 v15, v13 offset:52
	v_fma_mixlo_f16 v12, v58, v21, 0
	v_fma_mixlo_f16 v21, v58, v46, 0
	;; [unrolled: 1-line block ×4, first 2 shown]
	s_waitcnt lgkmcnt(0)
	v_lshrrev_b32_e32 v14, 16, v15
	v_and_b32_e32 v15, 0xffff, v15
	;;#ASMSTART
	v_cvt_f32_f16 v39, v15;
	;;#ASMEND
	;;#ASMSTART
	v_cvt_f32_f16 v15, v14;
	;;#ASMEND
	v_and_b32_e32 v14, 0xffff, v21
	;;#ASMSTART
	v_cvt_f32_f16 v46, v14;
	;;#ASMEND
	v_and_b32_e32 v14, 0xffff, v27
	;;#ASMSTART
	v_cvt_f32_f16 v29, v14;
	;;#ASMEND
	ds_read_b32 v21, v13 offset:56
	v_fma_mixlo_f16 v14, v58, v20, 0
	v_fmac_f32_e32 v34, v28, v9
	v_accvgpr_read_b32 v16, a53
	v_fma_mixlo_f16 v18, v58, v16, 0
	s_waitcnt lgkmcnt(0)
	v_lshrrev_b32_e32 v20, 16, v21
	v_and_b32_e32 v17, 0xffff, v21
	;;#ASMSTART
	v_cvt_f32_f16 v17, v17;
	;;#ASMEND
	;;#ASMSTART
	v_cvt_f32_f16 v20, v20;
	;;#ASMEND
	;; [unrolled: 3-line block ×3, first 2 shown]
	v_and_b32_e32 v8, 0xffff, v37
	;;#ASMSTART
	v_cvt_f32_f16 v30, v8;
	;;#ASMEND
	ds_read_b32 v21, v13 offset:60
	v_accvgpr_read_b32 v8, a49
	v_fma_mixlo_f16 v31, v58, v8, 0
	v_accvgpr_read_b32 v8, a48
	v_fma_mixlo_f16 v37, v58, v8, 0
	s_waitcnt lgkmcnt(0)
	v_lshrrev_b32_e32 v26, 16, v21
	v_and_b32_e32 v21, 0xffff, v21
	v_and_b32_e32 v31, 0xffff, v31
	;; [unrolled: 1-line block ×3, first 2 shown]
	;;#ASMSTART
	v_cvt_f32_f16 v21, v21;
	;;#ASMEND
	;;#ASMSTART
	v_cvt_f32_f16 v26, v26;
	;;#ASMEND
	;; [unrolled: 3-line block ×4, first 2 shown]
	ds_read_b32 v40, v13 offset:64
	v_fma_mixlo_f16 v8, v58, v49, 0
	v_accvgpr_read_b32 v16, a52
	v_fmac_f32_e32 v45, v6, v42
	v_fma_mixlo_f16 v19, v58, v16, 0
	s_waitcnt lgkmcnt(0)
	v_lshrrev_b32_e32 v49, 16, v40
	v_and_b32_e32 v48, 0xffff, v40
	;;#ASMSTART
	v_cvt_f32_f16 v48, v48;
	;;#ASMEND
	;;#ASMSTART
	v_cvt_f32_f16 v49, v49;
	;;#ASMEND
	;; [unrolled: 3-line block ×3, first 2 shown]
	v_and_b32_e32 v7, 0xffff, v8
	;;#ASMSTART
	v_cvt_f32_f16 v40, v7;
	;;#ASMEND
	ds_read_b32 v8, v13 offset:68
	v_fma_mixlo_f16 v7, v58, v5, 0
	v_accvgpr_read_b32 v5, a51
	v_fma_mixlo_f16 v5, v58, v5, 0
	v_and_b32_e32 v5, 0xffff, v5
	s_waitcnt lgkmcnt(0)
	v_lshrrev_b32_e32 v9, 16, v8
	v_and_b32_e32 v8, 0xffff, v8
	;;#ASMSTART
	v_cvt_f32_f16 v8, v8;
	;;#ASMEND
	;;#ASMSTART
	v_cvt_f32_f16 v28, v9;
	;;#ASMEND
	;; [unrolled: 3-line block ×3, first 2 shown]
	v_and_b32_e32 v5, 0xffff, v24
	;;#ASMSTART
	v_cvt_f32_f16 v24, v5;
	;;#ASMEND
	ds_read_b32 v5, v13 offset:72
	v_accvgpr_read_b32 v16, a54
	v_fmac_f32_e32 v34, v22, v25
	v_fma_mixlo_f16 v59, v58, v16, 0
	v_fmac_f32_e32 v45, v51, v47
	s_waitcnt lgkmcnt(0)
	v_lshrrev_b32_e32 v6, 16, v5
	v_and_b32_e32 v5, 0xffff, v5
	;;#ASMSTART
	v_cvt_f32_f16 v42, v5;
	;;#ASMEND
	v_and_b32_e32 v5, 0xffff, v18
	;;#ASMSTART
	v_cvt_f32_f16 v56, v6;
	;;#ASMEND
	;;#ASMSTART
	v_cvt_f32_f16 v18, v5;
	;;#ASMEND
	v_and_b32_e32 v5, 0xffff, v19
	;;#ASMSTART
	v_cvt_f32_f16 v19, v5;
	;;#ASMEND
	ds_read_b32 v5, v13 offset:76
	v_fma_mixlo_f16 v6, v58, v23, 0
	v_fma_mixlo_f16 v60, v58, v52, 0
	v_fmac_f32_e32 v34, v39, v46
	v_fmac_f32_e32 v45, v15, v29
	s_waitcnt lgkmcnt(0)
	v_lshrrev_b32_e32 v22, 16, v5
	v_and_b32_e32 v5, 0xffff, v5
	;;#ASMSTART
	v_cvt_f32_f16 v25, v5;
	;;#ASMEND
	v_and_b32_e32 v5, 0xffff, v6
	;;#ASMSTART
	v_cvt_f32_f16 v22, v22;
	;;#ASMEND
	;;#ASMSTART
	v_cvt_f32_f16 v16, v5;
	;;#ASMEND
	v_and_b32_e32 v5, 0xffff, v59
	;;#ASMSTART
	v_cvt_f32_f16 v59, v5;
	;;#ASMEND
	ds_read_b32 v5, v13 offset:80
	v_fma_mixlo_f16 v6, v58, v41, 0
	v_fmac_f32_e32 v34, v17, v27
	v_fmac_f32_e32 v45, v20, v30
	v_and_b32_e32 v27, 0xffff, v54
	s_waitcnt lgkmcnt(0)
	v_lshrrev_b32_e32 v51, 16, v5
	v_and_b32_e32 v5, 0xffff, v5
	;;#ASMSTART
	v_cvt_f32_f16 v47, v5;
	;;#ASMEND
	v_and_b32_e32 v5, 0xffff, v6
	;;#ASMSTART
	v_cvt_f32_f16 v51, v51;
	;;#ASMEND
	;;#ASMSTART
	v_cvt_f32_f16 v61, v5;
	;;#ASMEND
	v_and_b32_e32 v5, 0xffff, v60
	;;#ASMSTART
	v_cvt_f32_f16 v60, v5;
	;;#ASMEND
	ds_read_b32 v5, v13 offset:84
	v_fma_mixlo_f16 v6, v58, v57, 0
	v_fmac_f32_e32 v34, v21, v31
	v_fmac_f32_e32 v45, v26, v37
	v_and_b32_e32 v31, 0xffff, v53
	s_waitcnt lgkmcnt(0)
	v_lshrrev_b32_e32 v39, 16, v5
	v_and_b32_e32 v5, 0xffff, v5
	;;#ASMSTART
	v_cvt_f32_f16 v46, v5;
	;;#ASMEND
	v_and_b32_e32 v5, 0xffff, v6
	;;#ASMSTART
	v_cvt_f32_f16 v39, v39;
	;;#ASMEND
	;;#ASMSTART
	v_cvt_f32_f16 v23, v5;
	;;#ASMEND
	v_and_b32_e32 v5, 0xffff, v62
	;;#ASMSTART
	v_cvt_f32_f16 v62, v5;
	;;#ASMEND
	buffer_load_dword v6, off, s[0:3], s32 offset:188 ; 4-byte Folded Reload
	buffer_load_dword v52, off, s[0:3], s32 offset:180 ; 4-byte Folded Reload
	ds_read_b32 v5, v13 offset:88
	v_fmac_f32_e32 v34, v48, v50
	v_fmac_f32_e32 v45, v49, v40
	;; [unrolled: 1-line block ×4, first 2 shown]
	s_waitcnt lgkmcnt(0)
	v_lshrrev_b32_e32 v15, 16, v5
	v_and_b32_e32 v5, 0xffff, v5
	v_fmac_f32_e32 v34, v42, v18
	v_and_b32_e32 v7, 0xffff, v7
	v_and_b32_e32 v18, 0xffff, v38
	v_fmac_f32_e32 v45, v56, v19
	v_fmac_f32_e32 v34, v25, v16
	;; [unrolled: 1-line block ×3, first 2 shown]
	v_and_b32_e32 v22, 0xffff, v43
	v_fmac_f32_e32 v45, v51, v60
	v_fmac_f32_e32 v45, v39, v62
	;; [unrolled: 1-line block ×3, first 2 shown]
	v_and_b32_e32 v12, 0xffff, v12
	v_and_b32_e32 v14, 0xffff, v14
	v_fmac_f32_e32 v34, v46, v23
	v_and_b32_e32 v2, 0xffff, v2
	v_and_b32_e32 v3, 0xffff, v3
	;; [unrolled: 1-line block ×4, first 2 shown]
	s_waitcnt vmcnt(1)
	v_fma_mixlo_f16 v44, v58, v6, 0
	buffer_load_dword v6, off, s[0:3], s32 offset:184 ; 4-byte Folded Reload
	s_waitcnt vmcnt(1)
	v_fma_mixlo_f16 v57, v58, v52, 0
	;;#ASMSTART
	v_cvt_f32_f16 v29, v5;
	;;#ASMEND
	;;#ASMSTART
	v_cvt_f32_f16 v15, v15;
	;;#ASMEND
	v_and_b32_e32 v30, 0xffff, v44
	s_waitcnt vmcnt(0)
	v_fma_mixlo_f16 v6, v58, v6, 0
	v_and_b32_e32 v5, 0xffff, v6
	;;#ASMSTART
	v_cvt_f32_f16 v52, v5;
	;;#ASMEND
	v_and_b32_e32 v5, 0xffff, v57
	;;#ASMSTART
	v_cvt_f32_f16 v57, v5;
	;;#ASMEND
	ds_read_b32 v41, v13 offset:92
	v_fma_mixlo_f16 v5, v58, v35, 0
	v_fma_mixlo_f16 v6, v58, v36, 0
	v_fmac_f32_e32 v45, v15, v57
	v_fmac_f32_e32 v34, v29, v52
	s_waitcnt lgkmcnt(0)
	v_lshrrev_b32_e32 v17, 16, v41
	v_and_b32_e32 v20, 0xffff, v41
	;;#ASMSTART
	v_cvt_f32_f16 v20, v20;
	;;#ASMEND
	;;#ASMSTART
	v_cvt_f32_f16 v17, v17;
	;;#ASMEND
	;; [unrolled: 3-line block ×4, first 2 shown]
	ds_read_b32 v35, v13 offset:96
	v_fmac_f32_e32 v34, v20, v27
	v_fmac_f32_e32 v45, v17, v30
	s_waitcnt lgkmcnt(0)
	v_lshrrev_b32_e32 v21, 16, v35
	v_and_b32_e32 v26, 0xffff, v35
	v_and_b32_e32 v35, 0xffff, v55
	;;#ASMSTART
	v_cvt_f32_f16 v26, v26;
	;;#ASMEND
	;;#ASMSTART
	v_cvt_f32_f16 v21, v21;
	;;#ASMEND
	;; [unrolled: 3-line block ×4, first 2 shown]
	ds_read_b32 v36, v13 offset:100
	v_fmac_f32_e32 v45, v21, v35
	v_fmac_f32_e32 v34, v26, v31
	s_waitcnt lgkmcnt(0)
	v_lshrrev_b32_e32 v8, 16, v36
	v_and_b32_e32 v9, 0xffff, v36
	;;#ASMSTART
	v_cvt_f32_f16 v9, v9;
	;;#ASMEND
	;;#ASMSTART
	v_cvt_f32_f16 v8, v8;
	;;#ASMEND
	;; [unrolled: 3-line block ×4, first 2 shown]
	ds_read_b32 v19, v13 offset:104
	v_fmac_f32_e32 v45, v8, v18
	v_fmac_f32_e32 v34, v9, v7
	v_and_b32_e32 v9, 0xffff, v11
	s_waitcnt lgkmcnt(0)
	v_lshrrev_b32_e32 v16, 16, v19
	v_and_b32_e32 v19, 0xffff, v19
	;;#ASMSTART
	v_cvt_f32_f16 v19, v19;
	;;#ASMEND
	;;#ASMSTART
	v_cvt_f32_f16 v16, v16;
	;;#ASMEND
	;;#ASMSTART
	v_cvt_f32_f16 v24, v22;
	;;#ASMEND
	;;#ASMSTART
	v_cvt_f32_f16 v4, v4;
	;;#ASMEND
	ds_read_b32 v22, v13 offset:108
	v_fmac_f32_e32 v45, v16, v4
	v_fmac_f32_e32 v34, v19, v24
	s_waitcnt lgkmcnt(0)
	v_lshrrev_b32_e32 v15, 16, v22
	v_and_b32_e32 v22, 0xffff, v22
	;;#ASMSTART
	v_cvt_f32_f16 v22, v22;
	;;#ASMEND
	;;#ASMSTART
	v_cvt_f32_f16 v15, v15;
	;;#ASMEND
	;;#ASMSTART
	v_cvt_f32_f16 v12, v12;
	;;#ASMEND
	;;#ASMSTART
	v_cvt_f32_f16 v14, v14;
	;;#ASMEND
	ds_read_b32 v23, v13 offset:112
	v_fmac_f32_e32 v34, v22, v12
	v_fmac_f32_e32 v45, v15, v14
	;; [unrolled: 18-line block ×4, first 2 shown]
	s_waitcnt lgkmcnt(0)
	v_lshrrev_b32_e32 v2, 16, v8
	v_and_b32_e32 v3, 0xffff, v8
	v_and_b32_e32 v8, 0xffff, v10
	;;#ASMSTART
	v_cvt_f32_f16 v3, v3;
	;;#ASMEND
	;;#ASMSTART
	v_cvt_f32_f16 v2, v2;
	;;#ASMEND
	;; [unrolled: 3-line block ×4, first 2 shown]
	ds_read_b32 v10, v13 offset:124
	v_fmac_f32_e32 v34, v3, v8
	v_fmac_f32_e32 v45, v2, v9
	v_and_b32_e32 v2, 0xffff, v6
	v_and_b32_e32 v3, 0xffff, v5
	s_waitcnt lgkmcnt(0)
	v_lshrrev_b32_e32 v0, 16, v10
	v_and_b32_e32 v1, 0xffff, v10
	;;#ASMSTART
	v_cvt_f32_f16 v1, v1;
	;;#ASMEND
	;;#ASMSTART
	v_cvt_f32_f16 v0, v0;
	;;#ASMEND
	;; [unrolled: 3-line block ×4, first 2 shown]
	v_fmac_f32_e32 v45, v0, v3
	v_accvgpr_read_b32 v3, a46
	v_fmac_f32_e32 v34, v1, v2
	v_and_b32_e32 v1, 64, v3
	v_add_u32_e32 v1, 64, v1
	v_xor_b32_e32 v2, 2, v3
	v_cmp_lt_i32_e64 s[8:9], v2, v1
	v_cndmask_b32_e64 v2, v3, v2, s[8:9]
	v_add_f32_e32 v0, v34, v45
	v_lshlrev_b32_e32 v2, 2, v2
	ds_bpermute_b32 v2, v2, v0
	s_waitcnt lgkmcnt(0)
	v_add_f32_e32 v0, v0, v2
	v_xor_b32_e32 v2, 1, v3
	v_cmp_lt_i32_e64 s[8:9], v2, v1
	v_cndmask_b32_e64 v1, v3, v2, s[8:9]
	v_lshlrev_b32_e32 v1, 2, v1
	ds_bpermute_b32 v1, v1, v0
	s_and_saveexec_b64 s[30:31], vcc
	s_cbranch_execz .LBB284_11
; %bb.401:                              ;   in Loop: Header=BB284_13 Depth=1
	v_accvgpr_read_b32 v4, a43
	v_accvgpr_read_b32 v2, a45
	;; [unrolled: 1-line block ×3, first 2 shown]
	v_add_u32_e32 v2, v2, v4
	v_add_u32_e32 v3, v3, v4
	buffer_load_dword v4, off, s[0:3], s32 offset:196 ; 4-byte Folded Reload
	v_cvt_f32_i32_e32 v2, v2
	s_waitcnt lgkmcnt(0)
	v_add_f32_e32 v0, v0, v1
	v_accvgpr_read_b32 v1, a34
	s_load_dword s8, s[22:23], 0x0
	s_waitcnt vmcnt(0)
	v_mul_f32_e32 v2, v4, v2
	v_cndmask_b32_e64 v2, 0, v2, s[6:7]
	v_fmac_f32_e32 v2, v0, v1
	buffer_load_dword v1, off, s[0:3], s32 offset:192 ; 4-byte Folded Reload
	v_accvgpr_read_b32 v4, a44
	v_accvgpr_read_b32 v0, a8
	s_waitcnt lgkmcnt(0)
	v_add_u32_e32 v4, s8, v4
	v_cmp_lt_i32_e64 s[8:9], v3, v0
	v_cndmask_b32_e64 v0, 0, v2, s[8:9]
	ds_write_b32 v4, v0
	s_waitcnt vmcnt(0)
	v_max_f32_e32 v0, v1, v1
	v_max_f32_e32 v0, v0, v2
	v_cndmask_b32_e64 v1, v1, v0, s[8:9]
	buffer_store_dword v1, off, s[0:3], s32 offset:192 ; 4-byte Folded Spill
	s_branch .LBB284_11
.LBB284_402:
	s_or_b64 exec, exec, s[28:29]
	buffer_load_dword v7, off, s[0:3], s32 offset:192 ; 4-byte Folded Reload
	v_accvgpr_read_b32 v15, a16
	v_accvgpr_read_b32 v14, a17
	;; [unrolled: 1-line block ×15, first 2 shown]
.LBB284_403:
	s_or_b64 exec, exec, s[20:21]
	v_mbcnt_hi_u32_b32 v2, -1, v6
	v_and_b32_e32 v0, 64, v2
	v_add_u32_e32 v3, 64, v0
	v_xor_b32_e32 v0, 32, v2
	v_cmp_lt_i32_e32 vcc, v0, v3
	v_cndmask_b32_e32 v0, v2, v0, vcc
	v_lshlrev_b32_e32 v4, 2, v0
	s_waitcnt vmcnt(0)
	ds_bpermute_b32 v0, v4, v7
	v_xor_b32_e32 v5, 16, v2
	v_max_f32_e32 v1, v7, v7
	v_cmp_lt_i32_e32 vcc, v5, v3
	v_xor_b32_e32 v6, 8, v2
	s_waitcnt lgkmcnt(0)
	v_max_f32_e32 v0, v0, v0
	v_max_f32_e32 v0, v1, v0
	v_cndmask_b32_e32 v1, v2, v5, vcc
	v_lshlrev_b32_e32 v5, 2, v1
	ds_bpermute_b32 v1, v5, v0
	v_cmp_lt_i32_e32 vcc, v6, v3
	s_lshr_b32 s28, s38, 16
	s_waitcnt lgkmcnt(0)
	v_max_f32_e32 v1, v1, v1
	v_max_f32_e32 v0, v0, v1
	v_cndmask_b32_e32 v1, v2, v6, vcc
	v_lshlrev_b32_e32 v8, 2, v1
	ds_bpermute_b32 v1, v8, v0
	v_xor_b32_e32 v6, 4, v2
	v_cmp_lt_i32_e32 vcc, v6, v3
	s_waitcnt lgkmcnt(0)
	v_max_f32_e32 v1, v1, v1
	v_max_f32_e32 v0, v0, v1
	v_cndmask_b32_e32 v1, v2, v6, vcc
	v_lshlrev_b32_e32 v10, 2, v1
	ds_bpermute_b32 v1, v10, v0
	v_accvgpr_read_b32 v6, a2
	v_and_b32_e32 v23, 63, v6
	v_cmp_eq_u32_e32 vcc, 0, v23
	v_lshlrev_b32_e32 v6, 2, v18
	s_and_saveexec_b64 s[6:7], vcc
	s_cbranch_execz .LBB284_405
; %bb.404:
	s_waitcnt lgkmcnt(0)
	v_max_f32_e32 v1, v1, v1
	v_max_f32_e32 v0, v0, v0
	;; [unrolled: 1-line block ×3, first 2 shown]
	ds_write_b32 v6, v0 offset:512
.LBB284_405:
	s_or_b64 exec, exec, s[6:7]
	v_cmp_gt_u32_e64 s[6:7], 2, v23
	v_mov_b32_e32 v0, 0xff7fffff
	v_lshlrev_b32_e32 v7, 2, v23
	s_waitcnt lgkmcnt(0)
	s_barrier
	s_and_saveexec_b64 s[8:9], s[6:7]
	s_cbranch_execz .LBB284_407
; %bb.406:
	ds_read_b32 v0, v7 offset:512
.LBB284_407:
	s_or_b64 exec, exec, s[8:9]
	v_xor_b32_e32 v1, 1, v2
	v_cmp_lt_i32_e64 s[8:9], v1, v3
	v_cndmask_b32_e64 v1, v2, v1, s[8:9]
	v_lshlrev_b32_e32 v40, 2, v1
	s_waitcnt lgkmcnt(0)
	ds_bpermute_b32 v1, v40, v0
	v_max_f32_e32 v0, v0, v0
	v_accvgpr_read_b32 v9, a11
	v_subrev_u32_e32 v9, s27, v9
	v_lshl_add_u32 v9, v9, 4, s19
	s_waitcnt lgkmcnt(0)
	v_max_f32_e32 v1, v1, v1
	v_max_f32_e32 v0, v0, v1
	v_lshlrev_b32_e32 v1, 2, v2
	v_and_b32_e32 v11, 0x100, v1
	ds_bpermute_b32 v0, v11, v0
	v_accvgpr_read_b32 v12, a8
	v_min_i32_e32 v9, v9, v12
	v_subrev_u32_e32 v1, s19, v9
	v_accvgpr_read_b32 v12, a2
	v_cmp_lt_i32_e64 s[8:9], v12, v1
	v_mov_b32_e32 v12, 0
	s_and_saveexec_b64 s[20:21], s[8:9]
	s_cbranch_execz .LBB284_411
; %bb.408:
	s_ashr_i32 s17, s16, 31
	s_lshl_b64 s[10:11], s[16:17], 2
	s_getpc_b64 s[22:23]
	s_add_u32 s22, s22, llvm.amdgcn.dynlds.offset.table@rel32@lo+4
	s_addc_u32 s23, s23, llvm.amdgcn.dynlds.offset.table@rel32@hi+12
	s_add_u32 s10, s10, s22
	s_addc_u32 s11, s11, s23
	s_load_dword s10, s[10:11], 0x0
	v_mov_b32_e32 v17, v14
	v_accvgpr_read_b32 v14, a2
	s_mov_b64 s[22:23], 0
	v_mov_b32_e32 v12, 0
	s_waitcnt lgkmcnt(0)
	v_lshl_add_u32 v13, v14, 2, s10
.LBB284_409:                            ; =>This Inner Loop Header: Depth=1
	ds_read_b32 v16, v13
	v_add_u32_e32 v14, 0x80, v14
	v_cmp_ge_i32_e64 s[10:11], v14, v1
	s_or_b64 s[22:23], s[10:11], s[22:23]
	s_waitcnt lgkmcnt(0)
	v_sub_f32_e32 v16, v16, v0
	v_mul_f32_e32 v16, 0x3fb8aa3b, v16
	v_exp_f32_e32 v16, v16
	ds_write_b32 v13, v16
	v_add_f32_e32 v12, v12, v16
	v_add_u32_e32 v13, 0x200, v13
	s_andn2_b64 exec, exec, s[22:23]
	s_cbranch_execnz .LBB284_409
; %bb.410:
	s_or_b64 exec, exec, s[22:23]
	v_mov_b32_e32 v14, v17
.LBB284_411:
	s_or_b64 exec, exec, s[20:21]
	ds_bpermute_b32 v4, v4, v12
	s_waitcnt lgkmcnt(0)
	v_add_f32_e32 v4, v12, v4
	ds_bpermute_b32 v5, v5, v4
	s_waitcnt lgkmcnt(0)
	v_add_f32_e32 v4, v4, v5
	ds_bpermute_b32 v5, v8, v4
	v_xor_b32_e32 v8, 2, v2
	v_cmp_lt_i32_e64 s[10:11], v8, v3
	v_cndmask_b32_e64 v2, v2, v8, s[10:11]
	v_lshlrev_b32_e32 v2, 2, v2
	s_waitcnt lgkmcnt(0)
	v_add_f32_e32 v4, v4, v5
	ds_bpermute_b32 v5, v10, v4
	s_waitcnt lgkmcnt(0)
	v_add_f32_e32 v3, v4, v5
	ds_bpermute_b32 v2, v2, v3
	;; [unrolled: 3-line block ×3, first 2 shown]
	s_waitcnt lgkmcnt(0)
	v_add_f32_e32 v2, v2, v3
	s_and_saveexec_b64 s[10:11], vcc
	s_cbranch_execz .LBB284_413
; %bb.412:
	ds_write_b32 v6, v2 offset:520
.LBB284_413:
	s_or_b64 exec, exec, s[10:11]
	s_waitcnt lgkmcnt(0)
	s_barrier
	s_and_saveexec_b64 s[10:11], s[6:7]
	s_cbranch_execz .LBB284_415
; %bb.414:
	ds_read_b32 v2, v7 offset:520
.LBB284_415:
	s_or_b64 exec, exec, s[10:11]
	s_waitcnt lgkmcnt(0)
	ds_bpermute_b32 v3, v40, v2
	s_waitcnt lgkmcnt(0)
	v_add_f32_e32 v2, v2, v3
	ds_bpermute_b32 v2, v11, v2
	s_and_saveexec_b64 s[6:7], s[8:9]
	s_cbranch_execz .LBB284_428
; %bb.416:
	s_waitcnt lgkmcnt(0)
	v_add_f32_e32 v3, 0x358637bd, v2
	v_div_scale_f32 v4, s[8:9], v3, v3, 1.0
	v_rcp_f32_e32 v5, v4
	v_div_scale_f32 v6, vcc, 1.0, v3, 1.0
	s_movk_i32 s8, 0x7f
	v_fma_f32 v7, -v4, v5, 1.0
	v_fmac_f32_e32 v5, v7, v5
	v_mul_f32_e32 v7, v6, v5
	v_fma_f32 v8, -v4, v7, v6
	v_fmac_f32_e32 v7, v8, v5
	v_fma_f32 v4, -v4, v7, v6
	v_div_fmas_f32 v4, v4, v5, v7
	v_accvgpr_read_b32 v5, a2
	v_div_fixup_f32 v8, v4, v3, 1.0
	v_xad_u32 v3, v5, -1, v9
	v_subrev_u32_e32 v4, s19, v3
	v_cmp_lt_u32_e32 vcc, s8, v4
	s_mov_b64 s[10:11], -1
	v_accvgpr_read_b32 v3, a2
	s_and_saveexec_b64 s[8:9], vcc
	s_cbranch_execz .LBB284_425
; %bb.417:
	v_lshrrev_b32_e32 v3, 7, v4
	v_add_u32_e32 v5, -1, v3
	v_lshrrev_b32_e32 v4, 1, v5
	v_mov_b32_e32 v9, v8
	v_add_u32_e32 v4, 1, v4
	v_cmp_lt_u32_e32 vcc, 13, v5
	v_mov_b32_e32 v7, 0
	s_and_saveexec_b64 s[10:11], vcc
	s_cbranch_execz .LBB284_421
; %bb.418:
	s_ashr_i32 s17, s16, 31
	s_lshl_b64 s[20:21], s[16:17], 2
	s_getpc_b64 s[22:23]
	s_add_u32 s22, s22, llvm.amdgcn.dynlds.offset.table@rel32@lo+4
	s_addc_u32 s23, s23, llvm.amdgcn.dynlds.offset.table@rel32@hi+12
	s_add_u32 s20, s20, s22
	s_addc_u32 s21, s21, s23
	s_load_dword s19, s[20:21], 0x0
	v_accvgpr_read_b32 v6, a2
	v_and_b32_e32 v5, -8, v4
	s_mov_b32 s17, 0
	s_mov_b64 s[20:21], 0
	s_waitcnt lgkmcnt(0)
	v_lshl_add_u32 v6, v6, 2, s19
.LBB284_419:                            ; =>This Inner Loop Header: Depth=1
	ds_read2st64_b32 v[10:11], v6 offset1:2
	ds_read2st64_b32 v[12:13], v6 offset0:4 offset1:6
	ds_read2st64_b32 v[16:17], v6 offset0:8 offset1:10
	;; [unrolled: 1-line block ×3, first 2 shown]
	v_add_u32_e32 v5, -8, v5
	s_waitcnt lgkmcnt(3)
	v_pk_mul_f32 v[10:11], v[8:9], v[10:11]
	s_waitcnt lgkmcnt(2)
	v_pk_mul_f32 v[12:13], v[8:9], v[12:13]
	ds_write2st64_b32 v6, v10, v11 offset1:2
	ds_write2st64_b32 v6, v12, v13 offset0:4 offset1:6
	ds_read2st64_b32 v[12:13], v6 offset0:16 offset1:18
	s_waitcnt lgkmcnt(4)
	v_pk_mul_f32 v[10:11], v[8:9], v[16:17]
	ds_write2st64_b32 v6, v10, v11 offset0:8 offset1:10
	s_waitcnt lgkmcnt(4)
	v_pk_mul_f32 v[10:11], v[8:9], v[20:21]
	ds_write2st64_b32 v6, v10, v11 offset0:12 offset1:14
	ds_read2st64_b32 v[10:11], v6 offset0:20 offset1:22
	s_waitcnt lgkmcnt(3)
	v_pk_mul_f32 v[12:13], v[8:9], v[12:13]
	ds_read2st64_b32 v[16:17], v6 offset0:24 offset1:26
	ds_write2st64_b32 v6, v12, v13 offset0:16 offset1:18
	ds_read2st64_b32 v[12:13], v6 offset0:28 offset1:30
	s_waitcnt lgkmcnt(3)
	v_pk_mul_f32 v[10:11], v[8:9], v[10:11]
	ds_write2st64_b32 v6, v10, v11 offset0:20 offset1:22
	s_waitcnt lgkmcnt(3)
	v_pk_mul_f32 v[10:11], v[8:9], v[16:17]
	ds_write2st64_b32 v6, v10, v11 offset0:24 offset1:26
	s_waitcnt lgkmcnt(2)
	v_pk_mul_f32 v[10:11], v[8:9], v[12:13]
	s_add_i32 s17, s17, 16
	v_cmp_eq_u32_e32 vcc, 0, v5
	ds_write2st64_b32 v6, v10, v11 offset0:28 offset1:30
	v_add_u32_e32 v6, 0x2000, v6
	s_or_b64 s[20:21], vcc, s[20:21]
	v_mov_b32_e32 v7, s17
	s_andn2_b64 exec, exec, s[20:21]
	s_cbranch_execnz .LBB284_419
; %bb.420:
	s_or_b64 exec, exec, s[20:21]
.LBB284_421:
	s_or_b64 exec, exec, s[10:11]
	v_and_b32_e32 v4, 7, v4
	v_cmp_ne_u32_e32 vcc, 0, v4
	s_and_saveexec_b64 s[10:11], vcc
	s_cbranch_execz .LBB284_424
; %bb.422:
	s_ashr_i32 s17, s16, 31
	s_lshl_b64 s[20:21], s[16:17], 2
	s_getpc_b64 s[22:23]
	s_add_u32 s22, s22, llvm.amdgcn.dynlds.offset.table@rel32@lo+4
	s_addc_u32 s23, s23, llvm.amdgcn.dynlds.offset.table@rel32@hi+12
	s_add_u32 s20, s20, s22
	s_addc_u32 s21, s21, s23
	s_load_dword s17, s[20:21], 0x0
	v_accvgpr_read_b32 v6, a2
	v_lshlrev_b32_e32 v5, 9, v7
	v_lshlrev_b32_e32 v6, 2, v6
	s_mov_b64 s[20:21], 0
	s_waitcnt lgkmcnt(0)
	v_add3_u32 v5, v5, v6, s17
.LBB284_423:                            ; =>This Inner Loop Header: Depth=1
	ds_read2st64_b32 v[6:7], v5 offset1:2
	v_add_u32_e32 v4, -1, v4
	v_cmp_eq_u32_e32 vcc, 0, v4
	s_or_b64 s[20:21], vcc, s[20:21]
	s_waitcnt lgkmcnt(0)
	v_pk_mul_f32 v[6:7], v[8:9], v[6:7]
	ds_write2st64_b32 v5, v6, v7 offset1:2
	v_add_u32_e32 v5, 0x400, v5
	s_andn2_b64 exec, exec, s[20:21]
	s_cbranch_execnz .LBB284_423
.LBB284_424:
	s_or_b64 exec, exec, s[10:11]
	v_add_u32_e32 v4, 1, v3
	v_and_b32_e32 v5, 0x3fffffe, v4
	v_accvgpr_read_b32 v3, a2
	v_cmp_ne_u32_e32 vcc, v4, v5
	v_lshl_add_u32 v3, v5, 7, v3
	s_orn2_b64 s[10:11], vcc, exec
.LBB284_425:
	s_or_b64 exec, exec, s[8:9]
	s_and_b64 exec, exec, s[10:11]
	s_cbranch_execz .LBB284_428
; %bb.426:
	s_ashr_i32 s17, s16, 31
	s_lshl_b64 s[8:9], s[16:17], 2
	s_getpc_b64 s[10:11]
	s_add_u32 s10, s10, llvm.amdgcn.dynlds.offset.table@rel32@lo+4
	s_addc_u32 s11, s11, llvm.amdgcn.dynlds.offset.table@rel32@hi+12
	s_add_u32 s8, s8, s10
	s_addc_u32 s9, s9, s11
	s_load_dword s8, s[8:9], 0x0
	s_waitcnt lgkmcnt(0)
	v_lshl_add_u32 v4, v3, 2, s8
	s_mov_b64 s[8:9], 0
.LBB284_427:                            ; =>This Inner Loop Header: Depth=1
	ds_read_b32 v5, v4
	v_add_u32_e32 v3, 0x80, v3
	v_cmp_ge_i32_e32 vcc, v3, v1
	s_or_b64 s[8:9], vcc, s[8:9]
	s_waitcnt lgkmcnt(0)
	v_mul_f32_e32 v5, v8, v5
	ds_write_b32 v4, v5
	v_add_u32_e32 v4, 0x200, v4
	s_andn2_b64 exec, exec, s[8:9]
	s_cbranch_execnz .LBB284_427
.LBB284_428:
	s_or_b64 exec, exec, s[6:7]
	v_cmp_ne_u16_e64 s[6:7], s28, 0
	s_cmp_lg_u64 s[6:7], 0
	s_addc_u32 s27, s13, 0
	v_accvgpr_read_b32 v1, a2
	s_mul_i32 s6, s27, s18
	v_cmp_eq_u32_e32 vcc, 0, v1
	s_mul_i32 s6, s6, s15
	s_waitcnt lgkmcnt(0)
	s_barrier
	s_and_saveexec_b64 s[8:9], vcc
	s_cbranch_execz .LBB284_430
; %bb.429:
	s_mul_i32 s12, s27, s12
	s_ashr_i32 s7, s6, 31
	s_ashr_i32 s13, s12, 31
	;; [unrolled: 1-line block ×3, first 2 shown]
	s_lshl_b64 s[10:11], s[6:7], 2
	s_lshl_b64 s[12:13], s[12:13], 2
	;; [unrolled: 1-line block ×3, first 2 shown]
	s_add_u32 s7, s18, s12
	s_addc_u32 s12, s19, s13
	s_add_u32 s7, s7, s10
	s_addc_u32 s10, s12, s11
	v_mov_b32_e32 v1, s10
	v_add_co_u32_e32 v4, vcc, s7, v27
	v_addc_co_u32_e32 v5, vcc, v1, v26, vcc
	flat_store_dword v[4:5], v0
	v_add_co_u32_e32 v0, vcc, s7, v25
	v_addc_co_u32_e32 v1, vcc, v1, v24, vcc
	flat_store_dword v[0:1], v2
.LBB284_430:
	s_or_b64 exec, exec, s[8:9]
	s_ashr_i32 s17, s16, 31
	s_lshl_b64 s[8:9], s[16:17], 2
	s_getpc_b64 s[10:11]
	s_add_u32 s10, s10, llvm.amdgcn.dynlds.offset.table@rel32@lo+4
	s_addc_u32 s11, s11, llvm.amdgcn.dynlds.offset.table@rel32@hi+12
	s_add_u32 s8, s8, s10
	v_accvgpr_read_b32 v0, a2
	s_addc_u32 s9, s9, s11
	s_mov_b32 s16, 0
	v_mov_b32_e32 v39, 0
	v_and_b32_e32 v13, 1, v0
	v_mov_b32_e32 v38, 0
	v_mov_b32_e32 v37, 0
	;; [unrolled: 1-line block ×7, first 2 shown]
	s_and_saveexec_b64 s[10:11], s[4:5]
	s_cbranch_execz .LBB284_836
; %bb.431:
	v_max_i32_e32 v30, v30, v48
	v_cvt_f32_u32_e32 v1, v30
	v_accvgpr_read_b32 v0, a2
	v_lshlrev_b32_e32 v0, 3, v0
	v_add_co_u32_e32 v4, vcc, v22, v29
	v_rcp_iflag_f32_e32 v1, v1
	v_and_b32_e32 v42, 8, v0
	v_addc_co_u32_e32 v5, vcc, v19, v31, vcc
	v_mul_f32_e32 v1, 0x4f7ffffe, v1
	v_and_b32_e32 v0, 0x1f8, v0
	v_cvt_u32_f32_e32 v2, v1
	v_add_co_u32_e32 v4, vcc, v4, v0
	v_addc_co_u32_e32 v5, vcc, 0, v5, vcc
	v_sub_u32_e32 v6, 0, v30
	v_accvgpr_write_b32 a19, v5
	v_mul_lo_u32 v6, v6, v2
	v_accvgpr_write_b32 a18, v4
	v_accvgpr_read_b32 v4, a12
	v_mul_hi_u32 v6, v2, v6
	v_accvgpr_read_b32 v5, a13
	s_load_dword s4, s[8:9], 0x0
	v_add_u32_e32 v2, v2, v6
	v_lshlrev_b64 v[4:5], 2, v[4:5]
	v_accvgpr_read_b32 v6, a26
	v_accvgpr_read_b32 v7, a27
	v_add_co_u32_e32 v0, vcc, v6, v4
	v_addc_co_u32_e32 v4, vcc, v7, v5, vcc
	v_add_co_u32_e32 v10, vcc, v14, v0
	v_lshlrev_b32_e32 v0, 5, v13
	s_mov_b32 s22, s16
	s_mov_b32 s23, s16
	s_mov_b32 s12, -1
	v_lshl_or_b32 v0, v18, 6, v0
	s_mov_b32 s17, s16
	s_mov_b32 s18, s16
	;; [unrolled: 1-line block ×5, first 2 shown]
	v_pk_mov_b32 v[38:39], s[22:23], s[22:23] op_sel:[0,1]
	v_accvgpr_write_b32 a16, v23
	s_mov_b32 s13, 0xffffff
	v_add_u32_e32 v53, -1, v28
	v_mov_b32_e32 v1, 0
	v_accvgpr_read_b32 v3, a8
	v_addc_co_u32_e32 v11, vcc, v15, v4, vcc
	v_accvgpr_write_b32 a17, v13
	s_waitcnt lgkmcnt(0)
	v_add_u32_e32 v19, s4, v0
	s_mov_b64 s[28:29], 0
	v_pk_mov_b32 v[36:37], s[20:21], s[20:21] op_sel:[0,1]
	v_pk_mov_b32 v[34:35], s[18:19], s[18:19] op_sel:[0,1]
	v_pk_mov_b32 v[32:33], s[16:17], s[16:17] op_sel:[0,1]
	s_movk_i32 s7, 0x80
	s_movk_i32 s15, 0x7f
	s_mov_b32 s30, 0x8000
	s_movk_i32 s31, 0x380
	s_mov_b32 s34, 0x3020706
	s_mov_b32 s35, 0x1000504
	;; [unrolled: 1-line block ×3, first 2 shown]
	v_mov_b32_e32 v51, 0x2000
	v_accvgpr_read_b32 v5, a15
	s_branch .LBB284_434
.LBB284_432:                            ;   in Loop: Header=BB284_434 Depth=1
	s_or_b64 exec, exec, s[4:5]
	v_add_f32_e32 v4, v4, v5
	v_add_f32_e32 v33, v33, v4
	;; [unrolled: 1-line block ×12, first 2 shown]
	;;#ASMSTART
	v_pk_mul_f16 v4, v60, v14;

	;;#ASMEND
	;;#ASMSTART
	v_pk_mul_f16 v0, v59, v0;

	;;#ASMEND
	;; [unrolled: 4-line block ×4, first 2 shown]
	;;#ASMSTART
	v_pk_add_f16 v0, v4, v0;

	;;#ASMEND
	;;#ASMSTART
	v_pk_add_f16 v0, v0, v5;

	;;#ASMEND
	;; [unrolled: 4-line block ×3, first 2 shown]
	v_lshrrev_b32_e32 v4, 16, v0
	v_and_b32_e32 v0, 0xffff, v0
	;;#ASMSTART
	v_cvt_f32_f16 v0, v0;
	;;#ASMEND
	v_add_f32_e32 v8, v61, v62
	;;#ASMSTART
	v_cvt_f32_f16 v4, v4;
	;;#ASMEND
	v_add_f32_e32 v0, v0, v4
	v_add_f32_e32 v32, v32, v8
	;; [unrolled: 1-line block ×3, first 2 shown]
.LBB284_433:                            ;   in Loop: Header=BB284_434 Depth=1
	s_or_b64 exec, exec, s[16:17]
	v_accvgpr_read_b32 v4, a12
	v_add_co_u32_e32 v10, vcc, 8, v10
	v_add_u32_e32 v4, 2, v4
	v_addc_co_u32_e32 v11, vcc, 0, v11, vcc
	v_accvgpr_read_b32 v0, a11
	v_accvgpr_read_b32 v5, a13
	v_cmp_ge_i32_e32 vcc, v4, v0
	v_add_u32_e32 v5, 32, v5
	v_accvgpr_write_b32 a12, v4
	s_or_b64 s[28:29], vcc, s[28:29]
	v_add_u32_e32 v19, 0x80, v19
	s_andn2_b64 exec, exec, s[28:29]
	s_cbranch_execz .LBB284_835
.LBB284_434:                            ; =>This Inner Loop Header: Depth=1
	v_ashrrev_i32_e32 v0, 31, v5
	v_accvgpr_read_b32 v4, a9
	v_xor_b32_e32 v0, v0, v4
	v_sub_u32_e32 v4, 0, v5
	v_accvgpr_write_b32 a13, v5
	v_max_i32_e32 v4, v5, v4
	v_accvgpr_read_b32 v5, a7
	v_mul_hi_u32 v5, v4, v5
	v_accvgpr_read_b32 v7, a3
	v_mul_lo_u32 v6, v5, v7
	v_sub_u32_e32 v4, v4, v6
	v_add_u32_e32 v6, 1, v5
	v_cmp_ge_u32_e32 vcc, v4, v7
	v_cndmask_b32_e32 v5, v5, v6, vcc
	v_sub_u32_e32 v6, v4, v7
	v_cndmask_b32_e32 v4, v4, v6, vcc
	v_add_u32_e32 v6, 1, v5
	v_cmp_ge_u32_e32 vcc, v4, v7
	v_cndmask_b32_e32 v4, v5, v6, vcc
	v_xor_b32_e32 v4, v4, v0
	v_sub_u32_e32 v0, v4, v0
	v_accvgpr_read_b32 v4, a10
	v_add_u32_e32 v4, v0, v4
	v_sub_u32_e32 v6, 0, v4
	v_ashrrev_i32_e32 v5, 31, v4
	v_max_i32_e32 v4, v4, v6
	v_mul_hi_u32 v6, v4, v2
	v_mul_lo_u32 v6, v6, v30
	v_sub_u32_e32 v4, v4, v6
	v_sub_u32_e32 v6, v4, v30
	v_cmp_ge_u32_e32 vcc, v4, v30
	v_cndmask_b32_e32 v4, v4, v6, vcc
	v_sub_u32_e32 v6, v4, v30
	v_cmp_ge_u32_e32 vcc, v4, v30
	v_cndmask_b32_e32 v4, v4, v6, vcc
	v_xor_b32_e32 v4, v4, v5
	v_sub_u32_e32 v4, v4, v5
	v_cmp_eq_u32_e32 vcc, 0, v4
	v_accvgpr_read_b32 v4, a14
	v_cmp_gt_i32_e64 s[4:5], v0, v4
	s_or_b64 s[4:5], vcc, s[4:5]
	s_and_saveexec_b64 s[16:17], s[4:5]
	s_cbranch_execz .LBB284_433
; %bb.435:                              ;   in Loop: Header=BB284_434 Depth=1
	flat_load_dword v0, v[10:11]
	ds_read2_b64 v[4:7], v19 offset1:1
	ds_read2_b64 v[24:27], v19 offset0:2 offset1:3
	v_accvgpr_read_b32 v12, a18
	v_accvgpr_read_b32 v8, a6
	v_accvgpr_read_b32 v13, a19
	s_waitcnt lgkmcnt(0)
	;;#ASMSTART
	v_cvt_f16_f32 v4, v4;

	;;#ASMEND
	;;#ASMSTART
	v_cvt_f16_f32 v5, v5;

	;;#ASMEND
	;;#ASMSTART
	v_cvt_f16_f32 v6, v6;

	;;#ASMEND
	;;#ASMSTART
	v_cvt_f16_f32 v7, v7;

	;;#ASMEND
	;;#ASMSTART
	v_cvt_f16_f32 v15, v24;

	;;#ASMEND
	;;#ASMSTART
	v_cvt_f16_f32 v17, v25;

	;;#ASMEND
	;;#ASMSTART
	v_cvt_f16_f32 v22, v26;

	;;#ASMEND
	;;#ASMSTART
	v_cvt_f16_f32 v26, v27;

	;;#ASMEND
	v_mov_b32_e32 v24, 0
	v_mov_b32_e32 v20, 0
	s_waitcnt vmcnt(0)
	v_mad_i64_i32 v[12:13], s[4:5], v0, v8, v[12:13]
	v_accvgpr_read_b32 v9, a5
	flat_load_dwordx2 v[28:29], v[12:13]
	v_accvgpr_read_b32 v8, a4
	flat_load_dword v14, v[8:9]
	s_waitcnt vmcnt(0) lgkmcnt(0)
	v_cmp_ne_u16_sdwa s[18:19], v28, v1 src0_sel:BYTE_0 src1_sel:DWORD
	s_and_saveexec_b64 s[4:5], s[18:19]
	s_cbranch_execz .LBB284_441
; %bb.436:                              ;   in Loop: Header=BB284_434 Depth=1
	v_cmp_ne_u16_sdwa s[20:21], v28, s7 src0_sel:BYTE_0 src1_sel:DWORD
	v_bfrev_b32_e32 v20, 1
	s_and_saveexec_b64 s[18:19], s[20:21]
	s_cbranch_execz .LBB284_440
; %bb.437:                              ;   in Loop: Header=BB284_434 Depth=1
	v_and_b32_e32 v0, 0x7f, v28
	v_cmp_ne_u32_e32 vcc, s15, v0
	v_mov_b32_e32 v20, 0x7fc02000
	s_and_saveexec_b64 s[20:21], vcc
	s_cbranch_execz .LBB284_439
; %bb.438:                              ;   in Loop: Header=BB284_434 Depth=1
	v_and_b32_e32 v8, 7, v28
	v_ffbh_u32_e32 v8, v8
	v_min_u32_e32 v8, 32, v8
	v_subrev_u32_e32 v16, 28, v8
	v_cmp_gt_u32_e32 vcc, 8, v0
	v_lshrrev_b32_e32 v9, 3, v0
	v_sub_u32_e32 v8, 29, v8
	v_cndmask_b32_e32 v0, 0, v16, vcc
	v_lshlrev_b64 v[20:21], v0, v[28:29]
	v_cndmask_b32_e32 v0, v9, v8, vcc
	v_lshlrev_b32_e32 v9, 8, v28
	v_lshl_add_u32 v0, v0, 10, v51
	v_lshlrev_b32_e32 v8, 7, v20
	v_and_or_b32 v0, v9, s30, v0
	v_and_or_b32 v0, v8, s31, v0
	v_cvt_f32_f16_e32 v20, v0
.LBB284_439:                            ;   in Loop: Header=BB284_434 Depth=1
	s_or_b64 exec, exec, s[20:21]
.LBB284_440:                            ;   in Loop: Header=BB284_434 Depth=1
	s_or_b64 exec, exec, s[18:19]
.LBB284_441:                            ;   in Loop: Header=BB284_434 Depth=1
	s_or_b64 exec, exec, s[4:5]
	v_lshrrev_b16_e32 v0, 8, v28
	v_cmp_ne_u16_e32 vcc, 0, v0
	s_and_saveexec_b64 s[4:5], vcc
	s_cbranch_execz .LBB284_447
; %bb.442:                              ;   in Loop: Header=BB284_434 Depth=1
	v_cmp_ne_u16_e32 vcc, s7, v0
	v_bfrev_b32_e32 v24, 1
	s_and_saveexec_b64 s[18:19], vcc
	s_cbranch_execz .LBB284_446
; %bb.443:                              ;   in Loop: Header=BB284_434 Depth=1
	v_and_b32_e32 v21, 0x7f, v0
	v_cmp_ne_u32_e32 vcc, s15, v21
	v_mov_b32_e32 v24, 0x7fc02000
	s_and_saveexec_b64 s[20:21], vcc
	s_cbranch_execz .LBB284_445
; %bb.444:                              ;   in Loop: Header=BB284_434 Depth=1
	v_and_b32_e32 v8, 7, v0
	v_ffbh_u32_e32 v16, v8
	v_min_u32_e32 v16, 32, v16
	v_lshrrev_b32_e32 v9, 3, v21
	v_subrev_u32_e32 v18, 28, v16
	v_sub_u32_e32 v16, 29, v16
	v_cmp_gt_u32_e32 vcc, 8, v21
	v_lshlrev_b64 v[24:25], v18, v[0:1]
	v_cndmask_b32_e32 v9, v9, v16, vcc
	v_and_b32_e32 v18, 7, v24
	v_lshlrev_b32_e32 v0, 8, v0
	v_lshl_add_u32 v9, v9, 10, v51
	v_cndmask_b32_e32 v8, v8, v18, vcc
	v_and_or_b32 v0, v0, s30, v9
	v_lshl_or_b32 v0, v8, 7, v0
	v_cvt_f32_f16_e32 v24, v0
.LBB284_445:                            ;   in Loop: Header=BB284_434 Depth=1
	s_or_b64 exec, exec, s[20:21]
.LBB284_446:                            ;   in Loop: Header=BB284_434 Depth=1
	s_or_b64 exec, exec, s[18:19]
.LBB284_447:                            ;   in Loop: Header=BB284_434 Depth=1
	s_or_b64 exec, exec, s[4:5]
	v_lshrrev_b32_e32 v0, 16, v28
	v_cmp_ne_u16_sdwa s[18:19], v0, v1 src0_sel:BYTE_0 src1_sel:DWORD
	v_mov_b32_e32 v25, 0
	v_mov_b32_e32 v21, 0
	s_and_saveexec_b64 s[4:5], s[18:19]
	s_cbranch_execz .LBB284_453
; %bb.448:                              ;   in Loop: Header=BB284_434 Depth=1
	v_cmp_ne_u16_sdwa s[20:21], v0, s7 src0_sel:BYTE_0 src1_sel:DWORD
	v_bfrev_b32_e32 v21, 1
	s_and_saveexec_b64 s[18:19], s[20:21]
	s_cbranch_execz .LBB284_452
; %bb.449:                              ;   in Loop: Header=BB284_434 Depth=1
	v_bfe_u32 v27, v28, 16, 7
	v_cmp_ne_u32_e32 vcc, s15, v27
	v_mov_b32_e32 v21, 0x7fc02000
	s_and_saveexec_b64 s[20:21], vcc
	s_cbranch_execz .LBB284_451
; %bb.450:                              ;   in Loop: Header=BB284_434 Depth=1
	v_and_b32_e32 v8, 7, v0
	v_ffbh_u32_e32 v16, v8
	v_min_u32_e32 v16, 32, v16
	v_lshrrev_b32_e32 v9, 3, v27
	v_subrev_u32_e32 v18, 28, v16
	v_sub_u32_e32 v16, 29, v16
	v_cmp_gt_u32_e32 vcc, 8, v27
	v_lshlrev_b64 v[48:49], v18, v[0:1]
	v_cndmask_b32_e32 v9, v9, v16, vcc
	v_and_b32_e32 v18, 7, v48
	v_lshlrev_b32_e32 v0, 8, v0
	v_lshl_add_u32 v9, v9, 10, v51
	v_cndmask_b32_e32 v8, v8, v18, vcc
	v_and_or_b32 v0, v0, s30, v9
	v_lshl_or_b32 v0, v8, 7, v0
	v_cvt_f32_f16_e32 v21, v0
.LBB284_451:                            ;   in Loop: Header=BB284_434 Depth=1
	s_or_b64 exec, exec, s[20:21]
.LBB284_452:                            ;   in Loop: Header=BB284_434 Depth=1
	s_or_b64 exec, exec, s[18:19]
.LBB284_453:                            ;   in Loop: Header=BB284_434 Depth=1
	s_or_b64 exec, exec, s[4:5]
	v_cmp_lt_u32_e32 vcc, s13, v28
	s_and_saveexec_b64 s[4:5], vcc
	s_cbranch_execz .LBB284_459
; %bb.454:                              ;   in Loop: Header=BB284_434 Depth=1
	v_lshrrev_b32_e32 v0, 24, v28
	v_cmp_ne_u32_e32 vcc, s7, v0
	v_bfrev_b32_e32 v25, 1
	s_and_saveexec_b64 s[18:19], vcc
	s_cbranch_execz .LBB284_458
; %bb.455:                              ;   in Loop: Header=BB284_434 Depth=1
	v_and_b32_e32 v27, 0x7f, v0
	v_cmp_ne_u32_e32 vcc, s15, v27
	v_mov_b32_e32 v25, 0x7fc02000
	s_and_saveexec_b64 s[20:21], vcc
	s_cbranch_execz .LBB284_457
; %bb.456:                              ;   in Loop: Header=BB284_434 Depth=1
	v_and_b32_e32 v8, 7, v0
	v_ffbh_u32_e32 v16, v8
	v_min_u32_e32 v16, 32, v16
	v_lshrrev_b32_e32 v9, 3, v27
	v_subrev_u32_e32 v18, 28, v16
	v_sub_u32_e32 v16, 29, v16
	v_cmp_gt_u32_e32 vcc, 8, v27
	v_lshlrev_b64 v[48:49], v18, v[0:1]
	v_cndmask_b32_e32 v9, v9, v16, vcc
	v_and_b32_e32 v18, 7, v48
	v_lshlrev_b32_e32 v0, 8, v0
	v_lshl_add_u32 v9, v9, 10, v51
	v_cndmask_b32_e32 v8, v8, v18, vcc
	v_and_or_b32 v0, v0, s30, v9
	v_lshl_or_b32 v0, v8, 7, v0
	v_cvt_f32_f16_e32 v25, v0
.LBB284_457:                            ;   in Loop: Header=BB284_434 Depth=1
	s_or_b64 exec, exec, s[20:21]
.LBB284_458:                            ;   in Loop: Header=BB284_434 Depth=1
	s_or_b64 exec, exec, s[18:19]
.LBB284_459:                            ;   in Loop: Header=BB284_434 Depth=1
	s_or_b64 exec, exec, s[4:5]
	v_mov_b32_e32 v0, v29
	v_cmp_ne_u16_sdwa s[18:19], v29, v1 src0_sel:BYTE_0 src1_sel:DWORD
	v_mov_b32_e32 v31, 0
	v_mov_b32_e32 v27, 0
	s_and_saveexec_b64 s[4:5], s[18:19]
	s_cbranch_execz .LBB284_465
; %bb.460:                              ;   in Loop: Header=BB284_434 Depth=1
	v_cmp_ne_u16_sdwa s[20:21], v29, s7 src0_sel:BYTE_0 src1_sel:DWORD
	v_bfrev_b32_e32 v27, 1
	s_and_saveexec_b64 s[18:19], s[20:21]
	s_cbranch_execz .LBB284_464
; %bb.461:                              ;   in Loop: Header=BB284_434 Depth=1
	v_and_b32_e32 v48, 0x7f, v29
	v_cmp_ne_u32_e32 vcc, s15, v48
	v_mov_b32_e32 v27, 0x7fc02000
	s_and_saveexec_b64 s[20:21], vcc
	s_cbranch_execz .LBB284_463
; %bb.462:                              ;   in Loop: Header=BB284_434 Depth=1
	v_and_b32_e32 v8, 7, v29
	v_ffbh_u32_e32 v8, v8
	v_min_u32_e32 v8, 32, v8
	v_lshrrev_b32_e32 v9, 3, v48
	v_subrev_u32_e32 v16, 28, v8
	v_sub_u32_e32 v8, 29, v8
	v_cmp_gt_u32_e32 vcc, 8, v48
	v_cndmask_b32_e32 v16, 0, v16, vcc
	v_cndmask_b32_e32 v8, v9, v8, vcc
	v_lshlrev_b64 v[48:49], v16, v[0:1]
	v_lshlrev_b32_e32 v16, 8, v29
	v_lshl_add_u32 v8, v8, 10, v51
	v_lshlrev_b32_e32 v9, 7, v48
	v_and_or_b32 v8, v16, s30, v8
	v_and_or_b32 v8, v9, s31, v8
	v_cvt_f32_f16_e32 v27, v8
.LBB284_463:                            ;   in Loop: Header=BB284_434 Depth=1
	s_or_b64 exec, exec, s[20:21]
.LBB284_464:                            ;   in Loop: Header=BB284_434 Depth=1
	s_or_b64 exec, exec, s[18:19]
.LBB284_465:                            ;   in Loop: Header=BB284_434 Depth=1
	s_or_b64 exec, exec, s[4:5]
	v_lshrrev_b16_e32 v0, 8, v0
	v_cmp_ne_u16_e32 vcc, 0, v0
	s_and_saveexec_b64 s[4:5], vcc
	s_cbranch_execz .LBB284_471
; %bb.466:                              ;   in Loop: Header=BB284_434 Depth=1
	v_cmp_ne_u16_e32 vcc, s7, v0
	v_bfrev_b32_e32 v31, 1
	s_and_saveexec_b64 s[18:19], vcc
	s_cbranch_execz .LBB284_470
; %bb.467:                              ;   in Loop: Header=BB284_434 Depth=1
	v_and_b32_e32 v48, 0x7f, v0
	v_cmp_ne_u32_e32 vcc, s15, v48
	v_mov_b32_e32 v31, 0x7fc02000
	s_and_saveexec_b64 s[20:21], vcc
	s_cbranch_execz .LBB284_469
; %bb.468:                              ;   in Loop: Header=BB284_434 Depth=1
	v_and_b32_e32 v8, 7, v0
	v_ffbh_u32_e32 v16, v8
	v_min_u32_e32 v16, 32, v16
	v_lshrrev_b32_e32 v9, 3, v48
	v_subrev_u32_e32 v18, 28, v16
	v_sub_u32_e32 v16, 29, v16
	v_cmp_gt_u32_e32 vcc, 8, v48
	v_lshlrev_b64 v[54:55], v18, v[0:1]
	v_cndmask_b32_e32 v9, v9, v16, vcc
	v_and_b32_e32 v18, 7, v54
	v_lshlrev_b32_e32 v0, 8, v0
	v_lshl_add_u32 v9, v9, 10, v51
	v_cndmask_b32_e32 v8, v8, v18, vcc
	v_and_or_b32 v0, v0, s30, v9
	v_lshl_or_b32 v0, v8, 7, v0
	v_cvt_f32_f16_e32 v31, v0
.LBB284_469:                            ;   in Loop: Header=BB284_434 Depth=1
	s_or_b64 exec, exec, s[20:21]
.LBB284_470:                            ;   in Loop: Header=BB284_434 Depth=1
	s_or_b64 exec, exec, s[18:19]
.LBB284_471:                            ;   in Loop: Header=BB284_434 Depth=1
	s_or_b64 exec, exec, s[4:5]
	v_lshrrev_b32_e32 v0, 16, v29
	v_cmp_ne_u16_sdwa s[18:19], v0, v1 src0_sel:BYTE_0 src1_sel:DWORD
	v_mov_b32_e32 v48, 0
	v_mov_b32_e32 v49, 0
	s_and_saveexec_b64 s[4:5], s[18:19]
	s_cbranch_execz .LBB284_477
; %bb.472:                              ;   in Loop: Header=BB284_434 Depth=1
	v_cmp_ne_u16_sdwa s[20:21], v0, s7 src0_sel:BYTE_0 src1_sel:DWORD
	v_bfrev_b32_e32 v49, 1
	s_and_saveexec_b64 s[18:19], s[20:21]
	s_cbranch_execz .LBB284_476
; %bb.473:                              ;   in Loop: Header=BB284_434 Depth=1
	v_bfe_u32 v50, v29, 16, 7
	v_cmp_ne_u32_e32 vcc, s15, v50
	v_mov_b32_e32 v49, 0x7fc02000
	s_and_saveexec_b64 s[20:21], vcc
	s_cbranch_execz .LBB284_475
; %bb.474:                              ;   in Loop: Header=BB284_434 Depth=1
	v_and_b32_e32 v8, 7, v0
	v_ffbh_u32_e32 v16, v8
	v_min_u32_e32 v16, 32, v16
	v_lshrrev_b32_e32 v9, 3, v50
	v_subrev_u32_e32 v18, 28, v16
	v_sub_u32_e32 v16, 29, v16
	v_cmp_gt_u32_e32 vcc, 8, v50
	v_lshlrev_b64 v[54:55], v18, v[0:1]
	v_cndmask_b32_e32 v9, v9, v16, vcc
	v_and_b32_e32 v18, 7, v54
	v_lshlrev_b32_e32 v0, 8, v0
	v_lshl_add_u32 v9, v9, 10, v51
	v_cndmask_b32_e32 v8, v8, v18, vcc
	v_and_or_b32 v0, v0, s30, v9
	v_lshl_or_b32 v0, v8, 7, v0
	v_cvt_f32_f16_e32 v49, v0
.LBB284_475:                            ;   in Loop: Header=BB284_434 Depth=1
	s_or_b64 exec, exec, s[20:21]
.LBB284_476:                            ;   in Loop: Header=BB284_434 Depth=1
	s_or_b64 exec, exec, s[18:19]
.LBB284_477:                            ;   in Loop: Header=BB284_434 Depth=1
	s_or_b64 exec, exec, s[4:5]
	v_cmp_lt_u64_e32 vcc, s[12:13], v[28:29]
	s_and_saveexec_b64 s[4:5], vcc
	s_cbranch_execz .LBB284_483
; %bb.478:                              ;   in Loop: Header=BB284_434 Depth=1
	v_lshrrev_b32_e32 v0, 24, v29
	v_cmp_ne_u32_e32 vcc, s7, v0
	v_bfrev_b32_e32 v48, 1
	s_and_saveexec_b64 s[18:19], vcc
	s_cbranch_execz .LBB284_482
; %bb.479:                              ;   in Loop: Header=BB284_434 Depth=1
	v_and_b32_e32 v28, 0x7f, v0
	v_cmp_ne_u32_e32 vcc, s15, v28
	v_mov_b32_e32 v48, 0x7fc02000
	s_and_saveexec_b64 s[20:21], vcc
	s_cbranch_execz .LBB284_481
; %bb.480:                              ;   in Loop: Header=BB284_434 Depth=1
	v_and_b32_e32 v8, 7, v0
	v_ffbh_u32_e32 v16, v8
	v_min_u32_e32 v16, 32, v16
	v_lshrrev_b32_e32 v9, 3, v28
	v_subrev_u32_e32 v18, 28, v16
	v_sub_u32_e32 v16, 29, v16
	v_cmp_gt_u32_e32 vcc, 8, v28
	v_lshlrev_b64 v[54:55], v18, v[0:1]
	v_cndmask_b32_e32 v9, v9, v16, vcc
	v_and_b32_e32 v18, 7, v54
	v_lshlrev_b32_e32 v0, 8, v0
	v_lshl_add_u32 v9, v9, 10, v51
	v_cndmask_b32_e32 v8, v8, v18, vcc
	v_and_or_b32 v0, v0, s30, v9
	v_lshl_or_b32 v0, v8, 7, v0
	v_cvt_f32_f16_e32 v48, v0
.LBB284_481:                            ;   in Loop: Header=BB284_434 Depth=1
	s_or_b64 exec, exec, s[20:21]
.LBB284_482:                            ;   in Loop: Header=BB284_434 Depth=1
	s_or_b64 exec, exec, s[18:19]
.LBB284_483:                            ;   in Loop: Header=BB284_434 Depth=1
	s_or_b64 exec, exec, s[4:5]
	v_pk_mul_f32 v[24:25], v[14:15], v[24:25] op_sel_hi:[0,1]
	v_pk_mul_f32 v[20:21], v[14:15], v[20:21] op_sel_hi:[0,1]
	v_cvt_f16_f32_e32 v0, v25
	v_cvt_f16_f32_e32 v8, v24
	;; [unrolled: 1-line block ×4, first 2 shown]
	v_accvgpr_read_b32 v18, a13
	v_pack_b32_f16 v8, v8, v0
	v_add_u32_e32 v43, v42, v18
	v_pack_b32_f16 v9, v16, v9
	v_perm_b32 v0, v9, v8, s34
	v_perm_b32 v20, v9, v8, s35
	v_fma_mixlo_f16 v8, v14, v31, 0
	v_lshlrev_b32_e32 v8, 16, v8
	v_fma_mixlo_f16 v9, v14, v27, 0
	v_or_b32_sdwa v21, v8, v9 dst_sel:DWORD dst_unused:UNUSED_PAD src0_sel:DWORD src1_sel:WORD_0
	v_fma_mixlo_f16 v8, v14, v48, 0
	v_accvgpr_read_b32 v18, a12
	v_fma_mixlo_f16 v24, v14, v49, 0
	v_lshlrev_b32_e32 v8, 16, v8
	v_cmp_eq_u32_e32 vcc, v53, v18
	v_or_b32_sdwa v14, v8, v24 dst_sel:DWORD dst_unused:UNUSED_PAD src0_sel:DWORD src1_sel:WORD_0
	v_add_u32_e32 v56, 1, v43
	v_or_b32_e32 v47, 3, v43
	v_or_b32_e32 v46, 2, v43
	;; [unrolled: 1-line block ×6, first 2 shown]
	s_and_saveexec_b64 s[18:19], vcc
	s_cbranch_execz .LBB284_485
; %bb.484:                              ;   in Loop: Header=BB284_434 Depth=1
	v_lshrrev_b32_e32 v8, 16, v20
	v_cmp_lt_i32_e64 s[4:5], v56, v3
	v_accvgpr_read_b32 v16, a8
	v_cndmask_b32_e64 v8, 0, v8, s[4:5]
	v_cmp_lt_i32_e64 s[4:5], v43, v16
	v_cndmask_b32_e64 v9, 0, v20, s[4:5]
	v_perm_b32 v20, v8, v9, s36
	v_lshrrev_b32_e32 v8, 16, v0
	v_cmp_lt_i32_e64 s[4:5], v47, v3
	v_cndmask_b32_e64 v8, 0, v8, s[4:5]
	v_cmp_lt_i32_e64 s[4:5], v46, v16
	v_cndmask_b32_e64 v0, 0, v0, s[4:5]
	v_perm_b32 v0, v8, v0, s36
	v_lshrrev_b32_e32 v8, 16, v21
	v_cmp_lt_i32_e64 s[4:5], v45, v3
	;; [unrolled: 6-line block ×3, first 2 shown]
	v_cndmask_b32_e64 v8, 0, v8, s[4:5]
	v_cmp_lt_i32_e64 s[4:5], v54, v16
	v_cndmask_b32_e64 v9, 0, v24, s[4:5]
	v_perm_b32 v14, v8, v9, s36
.LBB284_485:                            ;   in Loop: Header=BB284_434 Depth=1
	s_or_b64 exec, exec, s[18:19]
	v_and_b32_e32 v4, 0xffff, v4
	v_lshl_or_b32 v60, v5, 16, v4
	v_and_b32_e32 v4, 0xffff, v6
	v_lshl_or_b32 v59, v7, 16, v4
	;; [unrolled: 2-line block ×4, first 2 shown]
	;;#ASMSTART
	v_pk_mul_f16 v4, v60, v20;

	;;#ASMEND
	;;#ASMSTART
	v_pk_mul_f16 v0, v59, v0;

	;;#ASMEND
	;; [unrolled: 4-line block ×4, first 2 shown]
	;;#ASMSTART
	v_pk_add_f16 v0, v4, v0;

	;;#ASMEND
	;;#ASMSTART
	v_pk_add_f16 v0, v0, v5;

	;;#ASMEND
	;; [unrolled: 4-line block ×3, first 2 shown]
	v_lshrrev_b32_e32 v4, 16, v0
	v_and_b32_e32 v0, 0xffff, v0
	;;#ASMSTART
	v_cvt_f32_f16 v61, v0;
	;;#ASMEND
	;;#ASMSTART
	v_cvt_f32_f16 v62, v4;
	;;#ASMEND
	v_accvgpr_read_b32 v4, a4
	flat_load_dwordx2 v[28:29], v[12:13] offset:512
	v_accvgpr_read_b32 v5, a5
	flat_load_dword v14, v[4:5]
	v_mov_b32_e32 v24, 0
	v_mov_b32_e32 v20, 0
	s_waitcnt vmcnt(0) lgkmcnt(0)
	v_cmp_ne_u16_sdwa s[4:5], v28, v1 src0_sel:BYTE_0 src1_sel:DWORD
	s_and_saveexec_b64 s[18:19], s[4:5]
	s_cbranch_execz .LBB284_491
; %bb.486:                              ;   in Loop: Header=BB284_434 Depth=1
	v_cmp_ne_u16_sdwa s[4:5], v28, s7 src0_sel:BYTE_0 src1_sel:DWORD
	v_bfrev_b32_e32 v20, 1
	s_and_saveexec_b64 s[20:21], s[4:5]
	s_cbranch_execz .LBB284_490
; %bb.487:                              ;   in Loop: Header=BB284_434 Depth=1
	v_and_b32_e32 v0, 0x7f, v28
	v_cmp_ne_u32_e64 s[4:5], s15, v0
	v_mov_b32_e32 v20, 0x7fc02000
	s_and_saveexec_b64 s[22:23], s[4:5]
	s_cbranch_execz .LBB284_489
; %bb.488:                              ;   in Loop: Header=BB284_434 Depth=1
	v_and_b32_e32 v4, 7, v28
	v_ffbh_u32_e32 v4, v4
	v_min_u32_e32 v4, 32, v4
	v_subrev_u32_e32 v5, 28, v4
	v_cmp_gt_u32_e64 s[4:5], 8, v0
	v_lshrrev_b32_e32 v6, 3, v0
	v_sub_u32_e32 v7, 29, v4
	v_cndmask_b32_e64 v0, 0, v5, s[4:5]
	v_lshlrev_b64 v[4:5], v0, v[28:29]
	v_cndmask_b32_e64 v0, v6, v7, s[4:5]
	v_lshlrev_b32_e32 v5, 8, v28
	v_lshl_add_u32 v0, v0, 10, v51
	v_lshlrev_b32_e32 v4, 7, v4
	v_and_or_b32 v0, v5, s30, v0
	v_and_or_b32 v0, v4, s31, v0
	v_cvt_f32_f16_e32 v20, v0
.LBB284_489:                            ;   in Loop: Header=BB284_434 Depth=1
	s_or_b64 exec, exec, s[22:23]
.LBB284_490:                            ;   in Loop: Header=BB284_434 Depth=1
	s_or_b64 exec, exec, s[20:21]
.LBB284_491:                            ;   in Loop: Header=BB284_434 Depth=1
	s_or_b64 exec, exec, s[18:19]
	v_lshrrev_b16_e32 v0, 8, v28
	v_cmp_ne_u16_e64 s[4:5], 0, v0
	s_and_saveexec_b64 s[18:19], s[4:5]
	s_cbranch_execz .LBB284_497
; %bb.492:                              ;   in Loop: Header=BB284_434 Depth=1
	v_cmp_ne_u16_e64 s[4:5], s7, v0
	v_bfrev_b32_e32 v24, 1
	s_and_saveexec_b64 s[20:21], s[4:5]
	s_cbranch_execz .LBB284_496
; %bb.493:                              ;   in Loop: Header=BB284_434 Depth=1
	v_and_b32_e32 v4, 0x7f, v0
	v_cmp_ne_u32_e64 s[4:5], s15, v4
	v_mov_b32_e32 v24, 0x7fc02000
	s_and_saveexec_b64 s[22:23], s[4:5]
	s_cbranch_execz .LBB284_495
; %bb.494:                              ;   in Loop: Header=BB284_434 Depth=1
	v_and_b32_e32 v5, 7, v0
	v_ffbh_u32_e32 v6, v5
	v_min_u32_e32 v9, 32, v6
	v_subrev_u32_e32 v6, 28, v9
	v_lshlrev_b64 v[6:7], v6, v[0:1]
	v_lshrrev_b32_e32 v8, 3, v4
	v_sub_u32_e32 v7, 29, v9
	v_cmp_gt_u32_e64 s[4:5], 8, v4
	v_cndmask_b32_e64 v4, v8, v7, s[4:5]
	v_and_b32_e32 v6, 7, v6
	v_lshlrev_b32_e32 v0, 8, v0
	v_lshl_add_u32 v4, v4, 10, v51
	v_cndmask_b32_e64 v5, v5, v6, s[4:5]
	v_and_or_b32 v0, v0, s30, v4
	v_lshl_or_b32 v0, v5, 7, v0
	v_cvt_f32_f16_e32 v24, v0
.LBB284_495:                            ;   in Loop: Header=BB284_434 Depth=1
	s_or_b64 exec, exec, s[22:23]
.LBB284_496:                            ;   in Loop: Header=BB284_434 Depth=1
	s_or_b64 exec, exec, s[20:21]
.LBB284_497:                            ;   in Loop: Header=BB284_434 Depth=1
	s_or_b64 exec, exec, s[18:19]
	v_lshrrev_b32_e32 v0, 16, v28
	v_cmp_ne_u16_sdwa s[4:5], v0, v1 src0_sel:BYTE_0 src1_sel:DWORD
	v_mov_b32_e32 v25, 0
	v_mov_b32_e32 v21, 0
	s_and_saveexec_b64 s[18:19], s[4:5]
	s_cbranch_execz .LBB284_503
; %bb.498:                              ;   in Loop: Header=BB284_434 Depth=1
	v_cmp_ne_u16_sdwa s[4:5], v0, s7 src0_sel:BYTE_0 src1_sel:DWORD
	v_bfrev_b32_e32 v21, 1
	s_and_saveexec_b64 s[20:21], s[4:5]
	s_cbranch_execz .LBB284_502
; %bb.499:                              ;   in Loop: Header=BB284_434 Depth=1
	v_bfe_u32 v4, v28, 16, 7
	v_cmp_ne_u32_e64 s[4:5], s15, v4
	v_mov_b32_e32 v21, 0x7fc02000
	s_and_saveexec_b64 s[22:23], s[4:5]
	s_cbranch_execz .LBB284_501
; %bb.500:                              ;   in Loop: Header=BB284_434 Depth=1
	v_and_b32_e32 v5, 7, v0
	v_ffbh_u32_e32 v6, v5
	v_min_u32_e32 v9, 32, v6
	v_subrev_u32_e32 v6, 28, v9
	v_lshlrev_b64 v[6:7], v6, v[0:1]
	v_lshrrev_b32_e32 v8, 3, v4
	v_sub_u32_e32 v7, 29, v9
	v_cmp_gt_u32_e64 s[4:5], 8, v4
	v_cndmask_b32_e64 v4, v8, v7, s[4:5]
	v_and_b32_e32 v6, 7, v6
	v_lshlrev_b32_e32 v0, 8, v0
	v_lshl_add_u32 v4, v4, 10, v51
	v_cndmask_b32_e64 v5, v5, v6, s[4:5]
	v_and_or_b32 v0, v0, s30, v4
	v_lshl_or_b32 v0, v5, 7, v0
	v_cvt_f32_f16_e32 v21, v0
.LBB284_501:                            ;   in Loop: Header=BB284_434 Depth=1
	s_or_b64 exec, exec, s[22:23]
.LBB284_502:                            ;   in Loop: Header=BB284_434 Depth=1
	s_or_b64 exec, exec, s[20:21]
.LBB284_503:                            ;   in Loop: Header=BB284_434 Depth=1
	s_or_b64 exec, exec, s[18:19]
	v_cmp_lt_u32_e64 s[4:5], s13, v28
	s_and_saveexec_b64 s[18:19], s[4:5]
	s_cbranch_execz .LBB284_509
; %bb.504:                              ;   in Loop: Header=BB284_434 Depth=1
	v_lshrrev_b32_e32 v0, 24, v28
	v_cmp_ne_u32_e64 s[4:5], s7, v0
	v_bfrev_b32_e32 v25, 1
	s_and_saveexec_b64 s[20:21], s[4:5]
	s_cbranch_execz .LBB284_508
; %bb.505:                              ;   in Loop: Header=BB284_434 Depth=1
	v_and_b32_e32 v4, 0x7f, v0
	v_cmp_ne_u32_e64 s[4:5], s15, v4
	v_mov_b32_e32 v25, 0x7fc02000
	s_and_saveexec_b64 s[22:23], s[4:5]
	s_cbranch_execz .LBB284_507
; %bb.506:                              ;   in Loop: Header=BB284_434 Depth=1
	v_and_b32_e32 v5, 7, v0
	v_ffbh_u32_e32 v6, v5
	v_min_u32_e32 v9, 32, v6
	v_subrev_u32_e32 v6, 28, v9
	v_lshlrev_b64 v[6:7], v6, v[0:1]
	v_lshrrev_b32_e32 v8, 3, v4
	v_sub_u32_e32 v7, 29, v9
	v_cmp_gt_u32_e64 s[4:5], 8, v4
	v_cndmask_b32_e64 v4, v8, v7, s[4:5]
	v_and_b32_e32 v6, 7, v6
	v_lshlrev_b32_e32 v0, 8, v0
	v_lshl_add_u32 v4, v4, 10, v51
	v_cndmask_b32_e64 v5, v5, v6, s[4:5]
	v_and_or_b32 v0, v0, s30, v4
	v_lshl_or_b32 v0, v5, 7, v0
	v_cvt_f32_f16_e32 v25, v0
.LBB284_507:                            ;   in Loop: Header=BB284_434 Depth=1
	s_or_b64 exec, exec, s[22:23]
.LBB284_508:                            ;   in Loop: Header=BB284_434 Depth=1
	s_or_b64 exec, exec, s[20:21]
.LBB284_509:                            ;   in Loop: Header=BB284_434 Depth=1
	s_or_b64 exec, exec, s[18:19]
	v_mov_b32_e32 v0, v29
	v_cmp_ne_u16_sdwa s[4:5], v29, v1 src0_sel:BYTE_0 src1_sel:DWORD
	v_mov_b32_e32 v5, 0
	v_mov_b32_e32 v4, 0
	s_and_saveexec_b64 s[18:19], s[4:5]
	s_cbranch_execz .LBB284_515
; %bb.510:                              ;   in Loop: Header=BB284_434 Depth=1
	v_cmp_ne_u16_sdwa s[4:5], v29, s7 src0_sel:BYTE_0 src1_sel:DWORD
	v_bfrev_b32_e32 v4, 1
	s_and_saveexec_b64 s[20:21], s[4:5]
	s_cbranch_execz .LBB284_514
; %bb.511:                              ;   in Loop: Header=BB284_434 Depth=1
	v_and_b32_e32 v6, 0x7f, v29
	v_cmp_ne_u32_e64 s[4:5], s15, v6
	v_mov_b32_e32 v4, 0x7fc02000
	s_and_saveexec_b64 s[22:23], s[4:5]
	s_cbranch_execz .LBB284_513
; %bb.512:                              ;   in Loop: Header=BB284_434 Depth=1
	v_and_b32_e32 v4, 7, v29
	v_ffbh_u32_e32 v4, v4
	v_min_u32_e32 v4, 32, v4
	v_subrev_u32_e32 v7, 28, v4
	v_cmp_gt_u32_e64 s[4:5], 8, v6
	v_lshrrev_b32_e32 v8, 3, v6
	v_sub_u32_e32 v4, 29, v4
	v_cndmask_b32_e64 v6, 0, v7, s[4:5]
	v_lshlrev_b64 v[6:7], v6, v[0:1]
	v_cndmask_b32_e64 v4, v8, v4, s[4:5]
	v_lshlrev_b32_e32 v7, 8, v29
	v_lshl_add_u32 v4, v4, 10, v51
	v_lshlrev_b32_e32 v6, 7, v6
	v_and_or_b32 v4, v7, s30, v4
	v_and_or_b32 v4, v6, s31, v4
	v_cvt_f32_f16_e32 v4, v4
.LBB284_513:                            ;   in Loop: Header=BB284_434 Depth=1
	s_or_b64 exec, exec, s[22:23]
.LBB284_514:                            ;   in Loop: Header=BB284_434 Depth=1
	s_or_b64 exec, exec, s[20:21]
.LBB284_515:                            ;   in Loop: Header=BB284_434 Depth=1
	s_or_b64 exec, exec, s[18:19]
	v_lshrrev_b16_e32 v0, 8, v0
	v_cmp_ne_u16_e64 s[4:5], 0, v0
	s_and_saveexec_b64 s[18:19], s[4:5]
	s_cbranch_execz .LBB284_521
; %bb.516:                              ;   in Loop: Header=BB284_434 Depth=1
	v_cmp_ne_u16_e64 s[4:5], s7, v0
	v_bfrev_b32_e32 v5, 1
	s_and_saveexec_b64 s[20:21], s[4:5]
	s_cbranch_execz .LBB284_520
; %bb.517:                              ;   in Loop: Header=BB284_434 Depth=1
	v_and_b32_e32 v6, 0x7f, v0
	v_cmp_ne_u32_e64 s[4:5], s15, v6
	v_mov_b32_e32 v5, 0x7fc02000
	s_and_saveexec_b64 s[22:23], s[4:5]
	s_cbranch_execz .LBB284_519
; %bb.518:                              ;   in Loop: Header=BB284_434 Depth=1
	v_and_b32_e32 v5, 7, v0
	v_ffbh_u32_e32 v8, v5
	v_min_u32_e32 v8, 32, v8
	v_lshrrev_b32_e32 v7, 3, v6
	v_subrev_u32_e32 v9, 28, v8
	v_sub_u32_e32 v8, 29, v8
	v_cmp_gt_u32_e64 s[4:5], 8, v6
	v_lshlrev_b64 v[26:27], v9, v[0:1]
	v_cndmask_b32_e64 v6, v7, v8, s[4:5]
	v_and_b32_e32 v9, 7, v26
	v_lshlrev_b32_e32 v0, 8, v0
	v_lshl_add_u32 v6, v6, 10, v51
	v_cndmask_b32_e64 v5, v5, v9, s[4:5]
	v_and_or_b32 v0, v0, s30, v6
	v_lshl_or_b32 v0, v5, 7, v0
	v_cvt_f32_f16_e32 v5, v0
.LBB284_519:                            ;   in Loop: Header=BB284_434 Depth=1
	s_or_b64 exec, exec, s[22:23]
.LBB284_520:                            ;   in Loop: Header=BB284_434 Depth=1
	s_or_b64 exec, exec, s[20:21]
.LBB284_521:                            ;   in Loop: Header=BB284_434 Depth=1
	s_or_b64 exec, exec, s[18:19]
	v_lshrrev_b32_e32 v0, 16, v29
	v_cmp_ne_u16_sdwa s[4:5], v0, v1 src0_sel:BYTE_0 src1_sel:DWORD
	v_mov_b32_e32 v6, 0
	v_mov_b32_e32 v7, 0
	s_and_saveexec_b64 s[18:19], s[4:5]
	s_cbranch_execz .LBB284_527
; %bb.522:                              ;   in Loop: Header=BB284_434 Depth=1
	v_cmp_ne_u16_sdwa s[4:5], v0, s7 src0_sel:BYTE_0 src1_sel:DWORD
	v_bfrev_b32_e32 v7, 1
	s_and_saveexec_b64 s[20:21], s[4:5]
	s_cbranch_execz .LBB284_526
; %bb.523:                              ;   in Loop: Header=BB284_434 Depth=1
	v_bfe_u32 v15, v29, 16, 7
	v_cmp_ne_u32_e64 s[4:5], s15, v15
	v_mov_b32_e32 v7, 0x7fc02000
	s_and_saveexec_b64 s[22:23], s[4:5]
	s_cbranch_execz .LBB284_525
; %bb.524:                              ;   in Loop: Header=BB284_434 Depth=1
	v_and_b32_e32 v7, 7, v0
	v_ffbh_u32_e32 v9, v7
	v_min_u32_e32 v9, 32, v9
	v_lshrrev_b32_e32 v8, 3, v15
	v_subrev_u32_e32 v16, 28, v9
	v_sub_u32_e32 v9, 29, v9
	v_cmp_gt_u32_e64 s[4:5], 8, v15
	v_lshlrev_b64 v[26:27], v16, v[0:1]
	v_cndmask_b32_e64 v8, v8, v9, s[4:5]
	v_and_b32_e32 v16, 7, v26
	v_lshlrev_b32_e32 v0, 8, v0
	v_lshl_add_u32 v8, v8, 10, v51
	v_cndmask_b32_e64 v7, v7, v16, s[4:5]
	v_and_or_b32 v0, v0, s30, v8
	v_lshl_or_b32 v0, v7, 7, v0
	v_cvt_f32_f16_e32 v7, v0
.LBB284_525:                            ;   in Loop: Header=BB284_434 Depth=1
	s_or_b64 exec, exec, s[22:23]
.LBB284_526:                            ;   in Loop: Header=BB284_434 Depth=1
	s_or_b64 exec, exec, s[20:21]
.LBB284_527:                            ;   in Loop: Header=BB284_434 Depth=1
	s_or_b64 exec, exec, s[18:19]
	v_cmp_lt_u64_e64 s[4:5], s[12:13], v[28:29]
	s_and_saveexec_b64 s[18:19], s[4:5]
	s_cbranch_execz .LBB284_533
; %bb.528:                              ;   in Loop: Header=BB284_434 Depth=1
	v_lshrrev_b32_e32 v0, 24, v29
	v_cmp_ne_u32_e64 s[4:5], s7, v0
	v_bfrev_b32_e32 v6, 1
	s_and_saveexec_b64 s[20:21], s[4:5]
	s_cbranch_execz .LBB284_532
; %bb.529:                              ;   in Loop: Header=BB284_434 Depth=1
	v_and_b32_e32 v15, 0x7f, v0
	v_cmp_ne_u32_e64 s[4:5], s15, v15
	v_mov_b32_e32 v6, 0x7fc02000
	s_and_saveexec_b64 s[22:23], s[4:5]
	s_cbranch_execz .LBB284_531
; %bb.530:                              ;   in Loop: Header=BB284_434 Depth=1
	v_and_b32_e32 v6, 7, v0
	v_ffbh_u32_e32 v9, v6
	v_min_u32_e32 v9, 32, v9
	v_lshrrev_b32_e32 v8, 3, v15
	v_subrev_u32_e32 v16, 28, v9
	v_sub_u32_e32 v9, 29, v9
	v_cmp_gt_u32_e64 s[4:5], 8, v15
	v_lshlrev_b64 v[26:27], v16, v[0:1]
	v_cndmask_b32_e64 v8, v8, v9, s[4:5]
	v_and_b32_e32 v16, 7, v26
	v_lshlrev_b32_e32 v0, 8, v0
	v_lshl_add_u32 v8, v8, 10, v51
	v_cndmask_b32_e64 v6, v6, v16, s[4:5]
	v_and_or_b32 v0, v0, s30, v8
	v_lshl_or_b32 v0, v6, 7, v0
	v_cvt_f32_f16_e32 v6, v0
.LBB284_531:                            ;   in Loop: Header=BB284_434 Depth=1
	s_or_b64 exec, exec, s[22:23]
.LBB284_532:                            ;   in Loop: Header=BB284_434 Depth=1
	s_or_b64 exec, exec, s[20:21]
.LBB284_533:                            ;   in Loop: Header=BB284_434 Depth=1
	s_or_b64 exec, exec, s[18:19]
	v_pk_mul_f32 v[24:25], v[14:15], v[24:25] op_sel_hi:[0,1]
	v_pk_mul_f32 v[20:21], v[14:15], v[20:21] op_sel_hi:[0,1]
	v_cvt_f16_f32_e32 v0, v25
	v_cvt_f16_f32_e32 v8, v24
	;; [unrolled: 1-line block ×4, first 2 shown]
	v_fma_mixlo_f16 v5, v14, v5, 0
	v_lshlrev_b32_e32 v5, 16, v5
	v_fma_mixlo_f16 v4, v14, v4, 0
	v_or_b32_sdwa v4, v5, v4 dst_sel:DWORD dst_unused:UNUSED_PAD src0_sel:DWORD src1_sel:WORD_0
	v_fma_mixlo_f16 v5, v14, v6, 0
	v_pack_b32_f16 v8, v8, v0
	v_pack_b32_f16 v9, v15, v9
	v_fma_mixlo_f16 v7, v14, v7, 0
	v_lshlrev_b32_e32 v5, 16, v5
	v_perm_b32 v0, v9, v8, s34
	v_perm_b32 v15, v9, v8, s35
	v_or_b32_sdwa v5, v5, v7 dst_sel:DWORD dst_unused:UNUSED_PAD src0_sel:DWORD src1_sel:WORD_0
	s_and_saveexec_b64 s[18:19], vcc
	s_cbranch_execz .LBB284_535
; %bb.534:                              ;   in Loop: Header=BB284_434 Depth=1
	v_lshrrev_b32_e32 v6, 16, v15
	v_cmp_lt_i32_e64 s[4:5], v56, v3
	v_accvgpr_read_b32 v14, a8
	v_cndmask_b32_e64 v6, 0, v6, s[4:5]
	v_cmp_lt_i32_e64 s[4:5], v43, v14
	v_cndmask_b32_e64 v8, 0, v15, s[4:5]
	v_perm_b32 v15, v6, v8, s36
	v_lshrrev_b32_e32 v6, 16, v0
	v_cmp_lt_i32_e64 s[4:5], v47, v3
	v_cndmask_b32_e64 v6, 0, v6, s[4:5]
	v_cmp_lt_i32_e64 s[4:5], v46, v14
	v_cndmask_b32_e64 v0, 0, v0, s[4:5]
	v_perm_b32 v0, v6, v0, s36
	v_lshrrev_b32_e32 v6, 16, v4
	v_cmp_lt_i32_e64 s[4:5], v45, v3
	v_cndmask_b32_e64 v6, 0, v6, s[4:5]
	v_cmp_lt_i32_e64 s[4:5], v44, v14
	v_cndmask_b32_e64 v4, 0, v4, s[4:5]
	v_lshrrev_b32_e32 v5, 16, v5
	v_cmp_lt_i32_e64 s[4:5], v55, v3
	v_cndmask_b32_e64 v5, 0, v5, s[4:5]
	v_cmp_lt_i32_e64 s[4:5], v54, v14
	v_perm_b32 v4, v6, v4, s36
	v_cndmask_b32_e64 v6, 0, v7, s[4:5]
	v_perm_b32 v5, v5, v6, s36
.LBB284_535:                            ;   in Loop: Header=BB284_434 Depth=1
	s_or_b64 exec, exec, s[18:19]
	;;#ASMSTART
	v_pk_mul_f16 v6, v60, v15;

	;;#ASMEND
	;;#ASMSTART
	v_pk_mul_f16 v0, v59, v0;

	;;#ASMEND
	;; [unrolled: 4-line block ×4, first 2 shown]
	;;#ASMSTART
	v_pk_add_f16 v0, v6, v0;

	;;#ASMEND
	;;#ASMSTART
	v_pk_add_f16 v0, v0, v4;

	;;#ASMEND
	;; [unrolled: 4-line block ×3, first 2 shown]
	v_lshrrev_b32_e32 v5, 16, v0
	v_accvgpr_read_b32 v7, a5
	v_and_b32_e32 v0, 0xffff, v0
	;;#ASMSTART
	v_cvt_f32_f16 v4, v0;
	;;#ASMEND
	;;#ASMSTART
	v_cvt_f32_f16 v5, v5;
	;;#ASMEND
	flat_load_dwordx2 v[28:29], v[12:13] offset:1024
	v_accvgpr_read_b32 v6, a4
	flat_load_dword v14, v[6:7]
	v_mov_b32_e32 v24, 0
	v_mov_b32_e32 v20, 0
	s_waitcnt vmcnt(0) lgkmcnt(0)
	v_cmp_ne_u16_sdwa s[4:5], v28, v1 src0_sel:BYTE_0 src1_sel:DWORD
	s_and_saveexec_b64 s[18:19], s[4:5]
	s_cbranch_execz .LBB284_541
; %bb.536:                              ;   in Loop: Header=BB284_434 Depth=1
	v_cmp_ne_u16_sdwa s[4:5], v28, s7 src0_sel:BYTE_0 src1_sel:DWORD
	v_bfrev_b32_e32 v20, 1
	s_and_saveexec_b64 s[20:21], s[4:5]
	s_cbranch_execz .LBB284_540
; %bb.537:                              ;   in Loop: Header=BB284_434 Depth=1
	v_and_b32_e32 v0, 0x7f, v28
	v_cmp_ne_u32_e64 s[4:5], s15, v0
	v_mov_b32_e32 v20, 0x7fc02000
	s_and_saveexec_b64 s[22:23], s[4:5]
	s_cbranch_execz .LBB284_539
; %bb.538:                              ;   in Loop: Header=BB284_434 Depth=1
	v_and_b32_e32 v6, 7, v28
	v_ffbh_u32_e32 v6, v6
	v_min_u32_e32 v6, 32, v6
	v_subrev_u32_e32 v7, 28, v6
	v_cmp_gt_u32_e64 s[4:5], 8, v0
	v_lshrrev_b32_e32 v8, 3, v0
	v_sub_u32_e32 v9, 29, v6
	v_cndmask_b32_e64 v0, 0, v7, s[4:5]
	v_lshlrev_b64 v[6:7], v0, v[28:29]
	v_cndmask_b32_e64 v0, v8, v9, s[4:5]
	v_lshlrev_b32_e32 v7, 8, v28
	v_lshl_add_u32 v0, v0, 10, v51
	v_lshlrev_b32_e32 v6, 7, v6
	v_and_or_b32 v0, v7, s30, v0
	v_and_or_b32 v0, v6, s31, v0
	v_cvt_f32_f16_e32 v20, v0
.LBB284_539:                            ;   in Loop: Header=BB284_434 Depth=1
	s_or_b64 exec, exec, s[22:23]
.LBB284_540:                            ;   in Loop: Header=BB284_434 Depth=1
	s_or_b64 exec, exec, s[20:21]
.LBB284_541:                            ;   in Loop: Header=BB284_434 Depth=1
	s_or_b64 exec, exec, s[18:19]
	v_lshrrev_b16_e32 v0, 8, v28
	v_cmp_ne_u16_e64 s[4:5], 0, v0
	s_and_saveexec_b64 s[18:19], s[4:5]
	s_cbranch_execz .LBB284_547
; %bb.542:                              ;   in Loop: Header=BB284_434 Depth=1
	v_cmp_ne_u16_e64 s[4:5], s7, v0
	v_bfrev_b32_e32 v24, 1
	s_and_saveexec_b64 s[20:21], s[4:5]
	s_cbranch_execz .LBB284_546
; %bb.543:                              ;   in Loop: Header=BB284_434 Depth=1
	v_and_b32_e32 v6, 0x7f, v0
	v_cmp_ne_u32_e64 s[4:5], s15, v6
	v_mov_b32_e32 v24, 0x7fc02000
	s_and_saveexec_b64 s[22:23], s[4:5]
	s_cbranch_execz .LBB284_545
; %bb.544:                              ;   in Loop: Header=BB284_434 Depth=1
	v_and_b32_e32 v7, 7, v0
	v_ffbh_u32_e32 v9, v7
	v_min_u32_e32 v9, 32, v9
	v_lshrrev_b32_e32 v8, 3, v6
	v_subrev_u32_e32 v15, 28, v9
	v_sub_u32_e32 v9, 29, v9
	v_cmp_gt_u32_e64 s[4:5], 8, v6
	v_lshlrev_b64 v[24:25], v15, v[0:1]
	v_cndmask_b32_e64 v6, v8, v9, s[4:5]
	v_and_b32_e32 v15, 7, v24
	v_lshlrev_b32_e32 v0, 8, v0
	v_lshl_add_u32 v6, v6, 10, v51
	v_cndmask_b32_e64 v7, v7, v15, s[4:5]
	v_and_or_b32 v0, v0, s30, v6
	v_lshl_or_b32 v0, v7, 7, v0
	v_cvt_f32_f16_e32 v24, v0
.LBB284_545:                            ;   in Loop: Header=BB284_434 Depth=1
	s_or_b64 exec, exec, s[22:23]
.LBB284_546:                            ;   in Loop: Header=BB284_434 Depth=1
	s_or_b64 exec, exec, s[20:21]
.LBB284_547:                            ;   in Loop: Header=BB284_434 Depth=1
	s_or_b64 exec, exec, s[18:19]
	v_lshrrev_b32_e32 v0, 16, v28
	v_cmp_ne_u16_sdwa s[4:5], v0, v1 src0_sel:BYTE_0 src1_sel:DWORD
	v_mov_b32_e32 v25, 0
	v_mov_b32_e32 v21, 0
	s_and_saveexec_b64 s[18:19], s[4:5]
	s_cbranch_execz .LBB284_553
; %bb.548:                              ;   in Loop: Header=BB284_434 Depth=1
	v_cmp_ne_u16_sdwa s[4:5], v0, s7 src0_sel:BYTE_0 src1_sel:DWORD
	v_bfrev_b32_e32 v21, 1
	s_and_saveexec_b64 s[20:21], s[4:5]
	s_cbranch_execz .LBB284_552
; %bb.549:                              ;   in Loop: Header=BB284_434 Depth=1
	v_bfe_u32 v6, v28, 16, 7
	v_cmp_ne_u32_e64 s[4:5], s15, v6
	v_mov_b32_e32 v21, 0x7fc02000
	s_and_saveexec_b64 s[22:23], s[4:5]
	s_cbranch_execz .LBB284_551
; %bb.550:                              ;   in Loop: Header=BB284_434 Depth=1
	v_and_b32_e32 v7, 7, v0
	v_ffbh_u32_e32 v9, v7
	v_min_u32_e32 v9, 32, v9
	v_lshrrev_b32_e32 v8, 3, v6
	v_subrev_u32_e32 v15, 28, v9
	v_sub_u32_e32 v9, 29, v9
	v_cmp_gt_u32_e64 s[4:5], 8, v6
	v_lshlrev_b64 v[26:27], v15, v[0:1]
	v_cndmask_b32_e64 v6, v8, v9, s[4:5]
	v_and_b32_e32 v15, 7, v26
	v_lshlrev_b32_e32 v0, 8, v0
	v_lshl_add_u32 v6, v6, 10, v51
	v_cndmask_b32_e64 v7, v7, v15, s[4:5]
	v_and_or_b32 v0, v0, s30, v6
	v_lshl_or_b32 v0, v7, 7, v0
	v_cvt_f32_f16_e32 v21, v0
.LBB284_551:                            ;   in Loop: Header=BB284_434 Depth=1
	s_or_b64 exec, exec, s[22:23]
.LBB284_552:                            ;   in Loop: Header=BB284_434 Depth=1
	s_or_b64 exec, exec, s[20:21]
.LBB284_553:                            ;   in Loop: Header=BB284_434 Depth=1
	s_or_b64 exec, exec, s[18:19]
	v_cmp_lt_u32_e64 s[4:5], s13, v28
	s_and_saveexec_b64 s[18:19], s[4:5]
	s_cbranch_execz .LBB284_559
; %bb.554:                              ;   in Loop: Header=BB284_434 Depth=1
	v_lshrrev_b32_e32 v0, 24, v28
	v_cmp_ne_u32_e64 s[4:5], s7, v0
	v_bfrev_b32_e32 v25, 1
	s_and_saveexec_b64 s[20:21], s[4:5]
	s_cbranch_execz .LBB284_558
; %bb.555:                              ;   in Loop: Header=BB284_434 Depth=1
	v_and_b32_e32 v6, 0x7f, v0
	v_cmp_ne_u32_e64 s[4:5], s15, v6
	v_mov_b32_e32 v25, 0x7fc02000
	s_and_saveexec_b64 s[22:23], s[4:5]
	s_cbranch_execz .LBB284_557
; %bb.556:                              ;   in Loop: Header=BB284_434 Depth=1
	v_and_b32_e32 v7, 7, v0
	v_ffbh_u32_e32 v9, v7
	v_min_u32_e32 v9, 32, v9
	v_lshrrev_b32_e32 v8, 3, v6
	v_subrev_u32_e32 v15, 28, v9
	v_sub_u32_e32 v9, 29, v9
	v_cmp_gt_u32_e64 s[4:5], 8, v6
	v_lshlrev_b64 v[26:27], v15, v[0:1]
	v_cndmask_b32_e64 v6, v8, v9, s[4:5]
	v_and_b32_e32 v15, 7, v26
	v_lshlrev_b32_e32 v0, 8, v0
	v_lshl_add_u32 v6, v6, 10, v51
	v_cndmask_b32_e64 v7, v7, v15, s[4:5]
	v_and_or_b32 v0, v0, s30, v6
	v_lshl_or_b32 v0, v7, 7, v0
	v_cvt_f32_f16_e32 v25, v0
.LBB284_557:                            ;   in Loop: Header=BB284_434 Depth=1
	s_or_b64 exec, exec, s[22:23]
.LBB284_558:                            ;   in Loop: Header=BB284_434 Depth=1
	s_or_b64 exec, exec, s[20:21]
.LBB284_559:                            ;   in Loop: Header=BB284_434 Depth=1
	s_or_b64 exec, exec, s[18:19]
	v_mov_b32_e32 v0, v29
	v_cmp_ne_u16_sdwa s[4:5], v29, v1 src0_sel:BYTE_0 src1_sel:DWORD
	v_mov_b32_e32 v7, 0
	v_mov_b32_e32 v6, 0
	s_and_saveexec_b64 s[18:19], s[4:5]
	s_cbranch_execz .LBB284_565
; %bb.560:                              ;   in Loop: Header=BB284_434 Depth=1
	v_cmp_ne_u16_sdwa s[4:5], v29, s7 src0_sel:BYTE_0 src1_sel:DWORD
	v_bfrev_b32_e32 v6, 1
	s_and_saveexec_b64 s[20:21], s[4:5]
	s_cbranch_execz .LBB284_564
; %bb.561:                              ;   in Loop: Header=BB284_434 Depth=1
	v_and_b32_e32 v15, 0x7f, v29
	v_cmp_ne_u32_e64 s[4:5], s15, v15
	v_mov_b32_e32 v6, 0x7fc02000
	s_and_saveexec_b64 s[22:23], s[4:5]
	s_cbranch_execz .LBB284_563
; %bb.562:                              ;   in Loop: Header=BB284_434 Depth=1
	v_and_b32_e32 v6, 7, v29
	v_ffbh_u32_e32 v6, v6
	v_min_u32_e32 v6, 32, v6
	v_lshrrev_b32_e32 v8, 3, v15
	v_subrev_u32_e32 v9, 28, v6
	v_sub_u32_e32 v6, 29, v6
	v_cmp_gt_u32_e64 s[4:5], 8, v15
	v_cndmask_b32_e64 v9, 0, v9, s[4:5]
	v_cndmask_b32_e64 v6, v8, v6, s[4:5]
	v_lshlrev_b64 v[26:27], v9, v[0:1]
	v_lshlrev_b32_e32 v9, 8, v29
	v_lshl_add_u32 v6, v6, 10, v51
	v_lshlrev_b32_e32 v8, 7, v26
	v_and_or_b32 v6, v9, s30, v6
	v_and_or_b32 v6, v8, s31, v6
	v_cvt_f32_f16_e32 v6, v6
.LBB284_563:                            ;   in Loop: Header=BB284_434 Depth=1
	s_or_b64 exec, exec, s[22:23]
.LBB284_564:                            ;   in Loop: Header=BB284_434 Depth=1
	s_or_b64 exec, exec, s[20:21]
.LBB284_565:                            ;   in Loop: Header=BB284_434 Depth=1
	s_or_b64 exec, exec, s[18:19]
	v_lshrrev_b16_e32 v0, 8, v0
	v_cmp_ne_u16_e64 s[4:5], 0, v0
	s_and_saveexec_b64 s[18:19], s[4:5]
	s_cbranch_execz .LBB284_571
; %bb.566:                              ;   in Loop: Header=BB284_434 Depth=1
	v_cmp_ne_u16_e64 s[4:5], s7, v0
	v_bfrev_b32_e32 v7, 1
	s_and_saveexec_b64 s[20:21], s[4:5]
	s_cbranch_execz .LBB284_570
; %bb.567:                              ;   in Loop: Header=BB284_434 Depth=1
	v_and_b32_e32 v15, 0x7f, v0
	v_cmp_ne_u32_e64 s[4:5], s15, v15
	v_mov_b32_e32 v7, 0x7fc02000
	s_and_saveexec_b64 s[22:23], s[4:5]
	s_cbranch_execz .LBB284_569
; %bb.568:                              ;   in Loop: Header=BB284_434 Depth=1
	v_and_b32_e32 v7, 7, v0
	v_ffbh_u32_e32 v9, v7
	v_min_u32_e32 v9, 32, v9
	v_lshrrev_b32_e32 v8, 3, v15
	v_subrev_u32_e32 v16, 28, v9
	v_sub_u32_e32 v9, 29, v9
	v_cmp_gt_u32_e64 s[4:5], 8, v15
	v_lshlrev_b64 v[26:27], v16, v[0:1]
	v_cndmask_b32_e64 v8, v8, v9, s[4:5]
	v_and_b32_e32 v16, 7, v26
	v_lshlrev_b32_e32 v0, 8, v0
	v_lshl_add_u32 v8, v8, 10, v51
	v_cndmask_b32_e64 v7, v7, v16, s[4:5]
	v_and_or_b32 v0, v0, s30, v8
	v_lshl_or_b32 v0, v7, 7, v0
	v_cvt_f32_f16_e32 v7, v0
.LBB284_569:                            ;   in Loop: Header=BB284_434 Depth=1
	s_or_b64 exec, exec, s[22:23]
.LBB284_570:                            ;   in Loop: Header=BB284_434 Depth=1
	s_or_b64 exec, exec, s[20:21]
.LBB284_571:                            ;   in Loop: Header=BB284_434 Depth=1
	s_or_b64 exec, exec, s[18:19]
	v_lshrrev_b32_e32 v0, 16, v29
	v_cmp_ne_u16_sdwa s[4:5], v0, v1 src0_sel:BYTE_0 src1_sel:DWORD
	v_mov_b32_e32 v15, 0
	v_mov_b32_e32 v17, 0
	s_and_saveexec_b64 s[18:19], s[4:5]
	s_cbranch_execz .LBB284_577
; %bb.572:                              ;   in Loop: Header=BB284_434 Depth=1
	v_cmp_ne_u16_sdwa s[4:5], v0, s7 src0_sel:BYTE_0 src1_sel:DWORD
	v_bfrev_b32_e32 v17, 1
	s_and_saveexec_b64 s[20:21], s[4:5]
	s_cbranch_execz .LBB284_576
; %bb.573:                              ;   in Loop: Header=BB284_434 Depth=1
	v_bfe_u32 v22, v29, 16, 7
	v_cmp_ne_u32_e64 s[4:5], s15, v22
	v_mov_b32_e32 v17, 0x7fc02000
	s_and_saveexec_b64 s[22:23], s[4:5]
	s_cbranch_execz .LBB284_575
; %bb.574:                              ;   in Loop: Header=BB284_434 Depth=1
	v_and_b32_e32 v8, 7, v0
	v_ffbh_u32_e32 v16, v8
	v_min_u32_e32 v16, 32, v16
	v_lshrrev_b32_e32 v9, 3, v22
	v_subrev_u32_e32 v17, 28, v16
	v_sub_u32_e32 v16, 29, v16
	v_cmp_gt_u32_e64 s[4:5], 8, v22
	v_lshlrev_b64 v[26:27], v17, v[0:1]
	v_cndmask_b32_e64 v9, v9, v16, s[4:5]
	v_and_b32_e32 v17, 7, v26
	v_lshlrev_b32_e32 v0, 8, v0
	v_lshl_add_u32 v9, v9, 10, v51
	v_cndmask_b32_e64 v8, v8, v17, s[4:5]
	v_and_or_b32 v0, v0, s30, v9
	v_lshl_or_b32 v0, v8, 7, v0
	v_cvt_f32_f16_e32 v17, v0
.LBB284_575:                            ;   in Loop: Header=BB284_434 Depth=1
	s_or_b64 exec, exec, s[22:23]
.LBB284_576:                            ;   in Loop: Header=BB284_434 Depth=1
	s_or_b64 exec, exec, s[20:21]
.LBB284_577:                            ;   in Loop: Header=BB284_434 Depth=1
	s_or_b64 exec, exec, s[18:19]
	v_cmp_lt_u64_e64 s[4:5], s[12:13], v[28:29]
	s_and_saveexec_b64 s[18:19], s[4:5]
	s_cbranch_execz .LBB284_583
; %bb.578:                              ;   in Loop: Header=BB284_434 Depth=1
	v_lshrrev_b32_e32 v0, 24, v29
	v_cmp_ne_u32_e64 s[4:5], s7, v0
	v_bfrev_b32_e32 v15, 1
	s_and_saveexec_b64 s[20:21], s[4:5]
	s_cbranch_execz .LBB284_582
; %bb.579:                              ;   in Loop: Header=BB284_434 Depth=1
	v_and_b32_e32 v22, 0x7f, v0
	v_cmp_ne_u32_e64 s[4:5], s15, v22
	v_mov_b32_e32 v15, 0x7fc02000
	s_and_saveexec_b64 s[22:23], s[4:5]
	s_cbranch_execz .LBB284_581
; %bb.580:                              ;   in Loop: Header=BB284_434 Depth=1
	v_and_b32_e32 v8, 7, v0
	v_ffbh_u32_e32 v15, v8
	v_min_u32_e32 v15, 32, v15
	v_lshrrev_b32_e32 v9, 3, v22
	v_subrev_u32_e32 v16, 28, v15
	v_sub_u32_e32 v15, 29, v15
	v_cmp_gt_u32_e64 s[4:5], 8, v22
	v_lshlrev_b64 v[26:27], v16, v[0:1]
	v_cndmask_b32_e64 v9, v9, v15, s[4:5]
	v_and_b32_e32 v16, 7, v26
	v_lshlrev_b32_e32 v0, 8, v0
	v_lshl_add_u32 v9, v9, 10, v51
	v_cndmask_b32_e64 v8, v8, v16, s[4:5]
	v_and_or_b32 v0, v0, s30, v9
	v_lshl_or_b32 v0, v8, 7, v0
	v_cvt_f32_f16_e32 v15, v0
.LBB284_581:                            ;   in Loop: Header=BB284_434 Depth=1
	s_or_b64 exec, exec, s[22:23]
.LBB284_582:                            ;   in Loop: Header=BB284_434 Depth=1
	s_or_b64 exec, exec, s[20:21]
.LBB284_583:                            ;   in Loop: Header=BB284_434 Depth=1
	s_or_b64 exec, exec, s[18:19]
	v_pk_mul_f32 v[24:25], v[14:15], v[24:25] op_sel_hi:[0,1]
	v_pk_mul_f32 v[20:21], v[14:15], v[20:21] op_sel_hi:[0,1]
	v_cvt_f16_f32_e32 v0, v25
	v_cvt_f16_f32_e32 v8, v24
	;; [unrolled: 1-line block ×4, first 2 shown]
	v_fma_mixlo_f16 v7, v14, v7, 0
	v_lshlrev_b32_e32 v7, 16, v7
	v_fma_mixlo_f16 v6, v14, v6, 0
	v_or_b32_sdwa v6, v7, v6 dst_sel:DWORD dst_unused:UNUSED_PAD src0_sel:DWORD src1_sel:WORD_0
	v_fma_mixlo_f16 v7, v14, v15, 0
	v_pack_b32_f16 v8, v8, v0
	v_pack_b32_f16 v9, v16, v9
	v_fma_mixlo_f16 v17, v14, v17, 0
	v_lshlrev_b32_e32 v7, 16, v7
	v_perm_b32 v0, v9, v8, s34
	v_perm_b32 v20, v9, v8, s35
	v_or_b32_sdwa v7, v7, v17 dst_sel:DWORD dst_unused:UNUSED_PAD src0_sel:DWORD src1_sel:WORD_0
	s_and_saveexec_b64 s[18:19], vcc
	s_cbranch_execz .LBB284_585
; %bb.584:                              ;   in Loop: Header=BB284_434 Depth=1
	v_lshrrev_b32_e32 v8, 16, v20
	v_cmp_lt_i32_e64 s[4:5], v56, v3
	v_accvgpr_read_b32 v14, a8
	v_cndmask_b32_e64 v8, 0, v8, s[4:5]
	v_cmp_lt_i32_e64 s[4:5], v43, v14
	v_cndmask_b32_e64 v9, 0, v20, s[4:5]
	v_perm_b32 v20, v8, v9, s36
	v_lshrrev_b32_e32 v8, 16, v0
	v_cmp_lt_i32_e64 s[4:5], v47, v3
	v_cndmask_b32_e64 v8, 0, v8, s[4:5]
	v_cmp_lt_i32_e64 s[4:5], v46, v14
	v_cndmask_b32_e64 v0, 0, v0, s[4:5]
	v_perm_b32 v0, v8, v0, s36
	v_lshrrev_b32_e32 v8, 16, v6
	v_cmp_lt_i32_e64 s[4:5], v45, v3
	v_cndmask_b32_e64 v8, 0, v8, s[4:5]
	v_cmp_lt_i32_e64 s[4:5], v44, v14
	v_cndmask_b32_e64 v6, 0, v6, s[4:5]
	v_lshrrev_b32_e32 v7, 16, v7
	v_cmp_lt_i32_e64 s[4:5], v55, v3
	v_cndmask_b32_e64 v7, 0, v7, s[4:5]
	v_cmp_lt_i32_e64 s[4:5], v54, v14
	v_perm_b32 v6, v8, v6, s36
	v_cndmask_b32_e64 v8, 0, v17, s[4:5]
	v_perm_b32 v7, v7, v8, s36
.LBB284_585:                            ;   in Loop: Header=BB284_434 Depth=1
	s_or_b64 exec, exec, s[18:19]
	;;#ASMSTART
	v_pk_mul_f16 v8, v60, v20;

	;;#ASMEND
	;;#ASMSTART
	v_pk_mul_f16 v0, v59, v0;

	;;#ASMEND
	;; [unrolled: 4-line block ×4, first 2 shown]
	;;#ASMSTART
	v_pk_add_f16 v0, v8, v0;

	;;#ASMEND
	;;#ASMSTART
	v_pk_add_f16 v0, v0, v6;

	;;#ASMEND
	;; [unrolled: 4-line block ×3, first 2 shown]
	v_lshrrev_b32_e32 v6, 16, v0
	v_and_b32_e32 v0, 0xffff, v0
	;;#ASMSTART
	v_cvt_f32_f16 v41, v0;
	;;#ASMEND
	;;#ASMSTART
	v_cvt_f32_f16 v52, v6;
	;;#ASMEND
	v_accvgpr_read_b32 v7, a5
	flat_load_dwordx2 v[28:29], v[12:13] offset:1536
	v_accvgpr_read_b32 v6, a4
	flat_load_dword v14, v[6:7]
	v_mov_b32_e32 v24, 0
	v_mov_b32_e32 v20, 0
	s_waitcnt vmcnt(0) lgkmcnt(0)
	v_cmp_ne_u16_sdwa s[4:5], v28, v1 src0_sel:BYTE_0 src1_sel:DWORD
	s_and_saveexec_b64 s[18:19], s[4:5]
	s_cbranch_execz .LBB284_591
; %bb.586:                              ;   in Loop: Header=BB284_434 Depth=1
	v_cmp_ne_u16_sdwa s[4:5], v28, s7 src0_sel:BYTE_0 src1_sel:DWORD
	v_bfrev_b32_e32 v20, 1
	s_and_saveexec_b64 s[20:21], s[4:5]
	s_cbranch_execz .LBB284_590
; %bb.587:                              ;   in Loop: Header=BB284_434 Depth=1
	v_and_b32_e32 v0, 0x7f, v28
	v_cmp_ne_u32_e64 s[4:5], s15, v0
	v_mov_b32_e32 v20, 0x7fc02000
	s_and_saveexec_b64 s[22:23], s[4:5]
	s_cbranch_execz .LBB284_589
; %bb.588:                              ;   in Loop: Header=BB284_434 Depth=1
	v_and_b32_e32 v6, 7, v28
	v_ffbh_u32_e32 v6, v6
	v_min_u32_e32 v6, 32, v6
	v_subrev_u32_e32 v7, 28, v6
	v_cmp_gt_u32_e64 s[4:5], 8, v0
	v_lshrrev_b32_e32 v8, 3, v0
	v_sub_u32_e32 v9, 29, v6
	v_cndmask_b32_e64 v0, 0, v7, s[4:5]
	v_lshlrev_b64 v[6:7], v0, v[28:29]
	v_cndmask_b32_e64 v0, v8, v9, s[4:5]
	v_lshlrev_b32_e32 v7, 8, v28
	v_lshl_add_u32 v0, v0, 10, v51
	v_lshlrev_b32_e32 v6, 7, v6
	v_and_or_b32 v0, v7, s30, v0
	v_and_or_b32 v0, v6, s31, v0
	v_cvt_f32_f16_e32 v20, v0
.LBB284_589:                            ;   in Loop: Header=BB284_434 Depth=1
	s_or_b64 exec, exec, s[22:23]
.LBB284_590:                            ;   in Loop: Header=BB284_434 Depth=1
	s_or_b64 exec, exec, s[20:21]
.LBB284_591:                            ;   in Loop: Header=BB284_434 Depth=1
	s_or_b64 exec, exec, s[18:19]
	v_lshrrev_b16_e32 v0, 8, v28
	v_cmp_ne_u16_e64 s[4:5], 0, v0
	s_and_saveexec_b64 s[18:19], s[4:5]
	s_cbranch_execz .LBB284_597
; %bb.592:                              ;   in Loop: Header=BB284_434 Depth=1
	v_cmp_ne_u16_e64 s[4:5], s7, v0
	v_bfrev_b32_e32 v24, 1
	s_and_saveexec_b64 s[20:21], s[4:5]
	s_cbranch_execz .LBB284_596
; %bb.593:                              ;   in Loop: Header=BB284_434 Depth=1
	v_and_b32_e32 v6, 0x7f, v0
	v_cmp_ne_u32_e64 s[4:5], s15, v6
	v_mov_b32_e32 v24, 0x7fc02000
	s_and_saveexec_b64 s[22:23], s[4:5]
	s_cbranch_execz .LBB284_595
; %bb.594:                              ;   in Loop: Header=BB284_434 Depth=1
	v_and_b32_e32 v7, 7, v0
	v_ffbh_u32_e32 v9, v7
	v_min_u32_e32 v9, 32, v9
	v_lshrrev_b32_e32 v8, 3, v6
	v_subrev_u32_e32 v15, 28, v9
	v_sub_u32_e32 v9, 29, v9
	v_cmp_gt_u32_e64 s[4:5], 8, v6
	v_lshlrev_b64 v[24:25], v15, v[0:1]
	v_cndmask_b32_e64 v6, v8, v9, s[4:5]
	v_and_b32_e32 v15, 7, v24
	v_lshlrev_b32_e32 v0, 8, v0
	v_lshl_add_u32 v6, v6, 10, v51
	v_cndmask_b32_e64 v7, v7, v15, s[4:5]
	v_and_or_b32 v0, v0, s30, v6
	v_lshl_or_b32 v0, v7, 7, v0
	v_cvt_f32_f16_e32 v24, v0
.LBB284_595:                            ;   in Loop: Header=BB284_434 Depth=1
	s_or_b64 exec, exec, s[22:23]
.LBB284_596:                            ;   in Loop: Header=BB284_434 Depth=1
	s_or_b64 exec, exec, s[20:21]
.LBB284_597:                            ;   in Loop: Header=BB284_434 Depth=1
	s_or_b64 exec, exec, s[18:19]
	v_lshrrev_b32_e32 v0, 16, v28
	v_cmp_ne_u16_sdwa s[4:5], v0, v1 src0_sel:BYTE_0 src1_sel:DWORD
	v_mov_b32_e32 v25, 0
	v_mov_b32_e32 v21, 0
	s_and_saveexec_b64 s[18:19], s[4:5]
	s_cbranch_execz .LBB284_603
; %bb.598:                              ;   in Loop: Header=BB284_434 Depth=1
	v_cmp_ne_u16_sdwa s[4:5], v0, s7 src0_sel:BYTE_0 src1_sel:DWORD
	v_bfrev_b32_e32 v21, 1
	s_and_saveexec_b64 s[20:21], s[4:5]
	s_cbranch_execz .LBB284_602
; %bb.599:                              ;   in Loop: Header=BB284_434 Depth=1
	v_bfe_u32 v6, v28, 16, 7
	v_cmp_ne_u32_e64 s[4:5], s15, v6
	v_mov_b32_e32 v21, 0x7fc02000
	s_and_saveexec_b64 s[22:23], s[4:5]
	s_cbranch_execz .LBB284_601
; %bb.600:                              ;   in Loop: Header=BB284_434 Depth=1
	v_and_b32_e32 v7, 7, v0
	v_ffbh_u32_e32 v9, v7
	v_min_u32_e32 v9, 32, v9
	v_lshrrev_b32_e32 v8, 3, v6
	v_subrev_u32_e32 v15, 28, v9
	v_sub_u32_e32 v9, 29, v9
	v_cmp_gt_u32_e64 s[4:5], 8, v6
	v_lshlrev_b64 v[26:27], v15, v[0:1]
	v_cndmask_b32_e64 v6, v8, v9, s[4:5]
	v_and_b32_e32 v15, 7, v26
	v_lshlrev_b32_e32 v0, 8, v0
	v_lshl_add_u32 v6, v6, 10, v51
	v_cndmask_b32_e64 v7, v7, v15, s[4:5]
	v_and_or_b32 v0, v0, s30, v6
	v_lshl_or_b32 v0, v7, 7, v0
	v_cvt_f32_f16_e32 v21, v0
.LBB284_601:                            ;   in Loop: Header=BB284_434 Depth=1
	s_or_b64 exec, exec, s[22:23]
.LBB284_602:                            ;   in Loop: Header=BB284_434 Depth=1
	s_or_b64 exec, exec, s[20:21]
.LBB284_603:                            ;   in Loop: Header=BB284_434 Depth=1
	s_or_b64 exec, exec, s[18:19]
	v_cmp_lt_u32_e64 s[4:5], s13, v28
	s_and_saveexec_b64 s[18:19], s[4:5]
	s_cbranch_execz .LBB284_609
; %bb.604:                              ;   in Loop: Header=BB284_434 Depth=1
	v_lshrrev_b32_e32 v0, 24, v28
	v_cmp_ne_u32_e64 s[4:5], s7, v0
	v_bfrev_b32_e32 v25, 1
	s_and_saveexec_b64 s[20:21], s[4:5]
	s_cbranch_execz .LBB284_608
; %bb.605:                              ;   in Loop: Header=BB284_434 Depth=1
	v_and_b32_e32 v6, 0x7f, v0
	v_cmp_ne_u32_e64 s[4:5], s15, v6
	v_mov_b32_e32 v25, 0x7fc02000
	s_and_saveexec_b64 s[22:23], s[4:5]
	s_cbranch_execz .LBB284_607
; %bb.606:                              ;   in Loop: Header=BB284_434 Depth=1
	v_and_b32_e32 v7, 7, v0
	v_ffbh_u32_e32 v9, v7
	v_min_u32_e32 v9, 32, v9
	v_lshrrev_b32_e32 v8, 3, v6
	v_subrev_u32_e32 v15, 28, v9
	v_sub_u32_e32 v9, 29, v9
	v_cmp_gt_u32_e64 s[4:5], 8, v6
	v_lshlrev_b64 v[26:27], v15, v[0:1]
	v_cndmask_b32_e64 v6, v8, v9, s[4:5]
	v_and_b32_e32 v15, 7, v26
	v_lshlrev_b32_e32 v0, 8, v0
	v_lshl_add_u32 v6, v6, 10, v51
	v_cndmask_b32_e64 v7, v7, v15, s[4:5]
	v_and_or_b32 v0, v0, s30, v6
	v_lshl_or_b32 v0, v7, 7, v0
	v_cvt_f32_f16_e32 v25, v0
.LBB284_607:                            ;   in Loop: Header=BB284_434 Depth=1
	s_or_b64 exec, exec, s[22:23]
.LBB284_608:                            ;   in Loop: Header=BB284_434 Depth=1
	s_or_b64 exec, exec, s[20:21]
.LBB284_609:                            ;   in Loop: Header=BB284_434 Depth=1
	s_or_b64 exec, exec, s[18:19]
	v_mov_b32_e32 v0, v29
	v_cmp_ne_u16_sdwa s[4:5], v29, v1 src0_sel:BYTE_0 src1_sel:DWORD
	v_mov_b32_e32 v7, 0
	v_mov_b32_e32 v6, 0
	s_and_saveexec_b64 s[18:19], s[4:5]
	s_cbranch_execz .LBB284_615
; %bb.610:                              ;   in Loop: Header=BB284_434 Depth=1
	v_cmp_ne_u16_sdwa s[4:5], v29, s7 src0_sel:BYTE_0 src1_sel:DWORD
	v_bfrev_b32_e32 v6, 1
	s_and_saveexec_b64 s[20:21], s[4:5]
	s_cbranch_execz .LBB284_614
; %bb.611:                              ;   in Loop: Header=BB284_434 Depth=1
	v_and_b32_e32 v15, 0x7f, v29
	v_cmp_ne_u32_e64 s[4:5], s15, v15
	v_mov_b32_e32 v6, 0x7fc02000
	s_and_saveexec_b64 s[22:23], s[4:5]
	s_cbranch_execz .LBB284_613
; %bb.612:                              ;   in Loop: Header=BB284_434 Depth=1
	v_and_b32_e32 v6, 7, v29
	v_ffbh_u32_e32 v6, v6
	v_min_u32_e32 v6, 32, v6
	v_lshrrev_b32_e32 v8, 3, v15
	v_subrev_u32_e32 v9, 28, v6
	v_sub_u32_e32 v6, 29, v6
	v_cmp_gt_u32_e64 s[4:5], 8, v15
	v_cndmask_b32_e64 v9, 0, v9, s[4:5]
	v_cndmask_b32_e64 v6, v8, v6, s[4:5]
	v_lshlrev_b64 v[26:27], v9, v[0:1]
	v_lshlrev_b32_e32 v9, 8, v29
	v_lshl_add_u32 v6, v6, 10, v51
	v_lshlrev_b32_e32 v8, 7, v26
	v_and_or_b32 v6, v9, s30, v6
	v_and_or_b32 v6, v8, s31, v6
	v_cvt_f32_f16_e32 v6, v6
.LBB284_613:                            ;   in Loop: Header=BB284_434 Depth=1
	s_or_b64 exec, exec, s[22:23]
.LBB284_614:                            ;   in Loop: Header=BB284_434 Depth=1
	s_or_b64 exec, exec, s[20:21]
.LBB284_615:                            ;   in Loop: Header=BB284_434 Depth=1
	s_or_b64 exec, exec, s[18:19]
	v_lshrrev_b16_e32 v0, 8, v0
	v_cmp_ne_u16_e64 s[4:5], 0, v0
	s_and_saveexec_b64 s[18:19], s[4:5]
	s_cbranch_execz .LBB284_621
; %bb.616:                              ;   in Loop: Header=BB284_434 Depth=1
	v_cmp_ne_u16_e64 s[4:5], s7, v0
	v_bfrev_b32_e32 v7, 1
	s_and_saveexec_b64 s[20:21], s[4:5]
	s_cbranch_execz .LBB284_620
; %bb.617:                              ;   in Loop: Header=BB284_434 Depth=1
	v_and_b32_e32 v15, 0x7f, v0
	v_cmp_ne_u32_e64 s[4:5], s15, v15
	v_mov_b32_e32 v7, 0x7fc02000
	s_and_saveexec_b64 s[22:23], s[4:5]
	s_cbranch_execz .LBB284_619
; %bb.618:                              ;   in Loop: Header=BB284_434 Depth=1
	v_and_b32_e32 v7, 7, v0
	v_ffbh_u32_e32 v9, v7
	v_min_u32_e32 v9, 32, v9
	v_lshrrev_b32_e32 v8, 3, v15
	v_subrev_u32_e32 v16, 28, v9
	v_sub_u32_e32 v9, 29, v9
	v_cmp_gt_u32_e64 s[4:5], 8, v15
	v_lshlrev_b64 v[26:27], v16, v[0:1]
	v_cndmask_b32_e64 v8, v8, v9, s[4:5]
	v_and_b32_e32 v16, 7, v26
	v_lshlrev_b32_e32 v0, 8, v0
	v_lshl_add_u32 v8, v8, 10, v51
	v_cndmask_b32_e64 v7, v7, v16, s[4:5]
	v_and_or_b32 v0, v0, s30, v8
	v_lshl_or_b32 v0, v7, 7, v0
	v_cvt_f32_f16_e32 v7, v0
.LBB284_619:                            ;   in Loop: Header=BB284_434 Depth=1
	s_or_b64 exec, exec, s[22:23]
.LBB284_620:                            ;   in Loop: Header=BB284_434 Depth=1
	s_or_b64 exec, exec, s[20:21]
.LBB284_621:                            ;   in Loop: Header=BB284_434 Depth=1
	s_or_b64 exec, exec, s[18:19]
	v_lshrrev_b32_e32 v0, 16, v29
	v_cmp_ne_u16_sdwa s[4:5], v0, v1 src0_sel:BYTE_0 src1_sel:DWORD
	v_mov_b32_e32 v15, 0
	v_mov_b32_e32 v17, 0
	s_and_saveexec_b64 s[18:19], s[4:5]
	s_cbranch_execz .LBB284_627
; %bb.622:                              ;   in Loop: Header=BB284_434 Depth=1
	v_cmp_ne_u16_sdwa s[4:5], v0, s7 src0_sel:BYTE_0 src1_sel:DWORD
	v_bfrev_b32_e32 v17, 1
	s_and_saveexec_b64 s[20:21], s[4:5]
	s_cbranch_execz .LBB284_626
; %bb.623:                              ;   in Loop: Header=BB284_434 Depth=1
	v_bfe_u32 v22, v29, 16, 7
	v_cmp_ne_u32_e64 s[4:5], s15, v22
	v_mov_b32_e32 v17, 0x7fc02000
	s_and_saveexec_b64 s[22:23], s[4:5]
	s_cbranch_execz .LBB284_625
; %bb.624:                              ;   in Loop: Header=BB284_434 Depth=1
	v_and_b32_e32 v8, 7, v0
	v_ffbh_u32_e32 v16, v8
	v_min_u32_e32 v16, 32, v16
	v_lshrrev_b32_e32 v9, 3, v22
	v_subrev_u32_e32 v17, 28, v16
	v_sub_u32_e32 v16, 29, v16
	v_cmp_gt_u32_e64 s[4:5], 8, v22
	v_lshlrev_b64 v[26:27], v17, v[0:1]
	v_cndmask_b32_e64 v9, v9, v16, s[4:5]
	v_and_b32_e32 v17, 7, v26
	v_lshlrev_b32_e32 v0, 8, v0
	v_lshl_add_u32 v9, v9, 10, v51
	v_cndmask_b32_e64 v8, v8, v17, s[4:5]
	v_and_or_b32 v0, v0, s30, v9
	v_lshl_or_b32 v0, v8, 7, v0
	v_cvt_f32_f16_e32 v17, v0
.LBB284_625:                            ;   in Loop: Header=BB284_434 Depth=1
	s_or_b64 exec, exec, s[22:23]
.LBB284_626:                            ;   in Loop: Header=BB284_434 Depth=1
	s_or_b64 exec, exec, s[20:21]
.LBB284_627:                            ;   in Loop: Header=BB284_434 Depth=1
	s_or_b64 exec, exec, s[18:19]
	v_cmp_lt_u64_e64 s[4:5], s[12:13], v[28:29]
	s_and_saveexec_b64 s[18:19], s[4:5]
	s_cbranch_execz .LBB284_633
; %bb.628:                              ;   in Loop: Header=BB284_434 Depth=1
	v_lshrrev_b32_e32 v0, 24, v29
	v_cmp_ne_u32_e64 s[4:5], s7, v0
	v_bfrev_b32_e32 v15, 1
	s_and_saveexec_b64 s[20:21], s[4:5]
	s_cbranch_execz .LBB284_632
; %bb.629:                              ;   in Loop: Header=BB284_434 Depth=1
	v_and_b32_e32 v22, 0x7f, v0
	v_cmp_ne_u32_e64 s[4:5], s15, v22
	v_mov_b32_e32 v15, 0x7fc02000
	s_and_saveexec_b64 s[22:23], s[4:5]
	s_cbranch_execz .LBB284_631
; %bb.630:                              ;   in Loop: Header=BB284_434 Depth=1
	v_and_b32_e32 v8, 7, v0
	v_ffbh_u32_e32 v15, v8
	v_min_u32_e32 v15, 32, v15
	v_lshrrev_b32_e32 v9, 3, v22
	v_subrev_u32_e32 v16, 28, v15
	v_sub_u32_e32 v15, 29, v15
	v_cmp_gt_u32_e64 s[4:5], 8, v22
	v_lshlrev_b64 v[26:27], v16, v[0:1]
	v_cndmask_b32_e64 v9, v9, v15, s[4:5]
	v_and_b32_e32 v16, 7, v26
	v_lshlrev_b32_e32 v0, 8, v0
	v_lshl_add_u32 v9, v9, 10, v51
	v_cndmask_b32_e64 v8, v8, v16, s[4:5]
	v_and_or_b32 v0, v0, s30, v9
	v_lshl_or_b32 v0, v8, 7, v0
	v_cvt_f32_f16_e32 v15, v0
.LBB284_631:                            ;   in Loop: Header=BB284_434 Depth=1
	s_or_b64 exec, exec, s[22:23]
.LBB284_632:                            ;   in Loop: Header=BB284_434 Depth=1
	s_or_b64 exec, exec, s[20:21]
.LBB284_633:                            ;   in Loop: Header=BB284_434 Depth=1
	s_or_b64 exec, exec, s[18:19]
	v_pk_mul_f32 v[24:25], v[14:15], v[24:25] op_sel_hi:[0,1]
	v_pk_mul_f32 v[20:21], v[14:15], v[20:21] op_sel_hi:[0,1]
	v_cvt_f16_f32_e32 v0, v25
	v_cvt_f16_f32_e32 v8, v24
	;; [unrolled: 1-line block ×4, first 2 shown]
	v_fma_mixlo_f16 v7, v14, v7, 0
	v_lshlrev_b32_e32 v7, 16, v7
	v_fma_mixlo_f16 v6, v14, v6, 0
	v_or_b32_sdwa v6, v7, v6 dst_sel:DWORD dst_unused:UNUSED_PAD src0_sel:DWORD src1_sel:WORD_0
	v_fma_mixlo_f16 v7, v14, v15, 0
	v_pack_b32_f16 v8, v8, v0
	v_pack_b32_f16 v9, v16, v9
	v_fma_mixlo_f16 v17, v14, v17, 0
	v_lshlrev_b32_e32 v7, 16, v7
	v_perm_b32 v0, v9, v8, s34
	v_perm_b32 v20, v9, v8, s35
	v_or_b32_sdwa v7, v7, v17 dst_sel:DWORD dst_unused:UNUSED_PAD src0_sel:DWORD src1_sel:WORD_0
	s_and_saveexec_b64 s[18:19], vcc
	s_cbranch_execz .LBB284_635
; %bb.634:                              ;   in Loop: Header=BB284_434 Depth=1
	v_lshrrev_b32_e32 v8, 16, v20
	v_cmp_lt_i32_e64 s[4:5], v56, v3
	v_accvgpr_read_b32 v14, a8
	v_cndmask_b32_e64 v8, 0, v8, s[4:5]
	v_cmp_lt_i32_e64 s[4:5], v43, v14
	v_cndmask_b32_e64 v9, 0, v20, s[4:5]
	v_perm_b32 v20, v8, v9, s36
	v_lshrrev_b32_e32 v8, 16, v0
	v_cmp_lt_i32_e64 s[4:5], v47, v3
	v_cndmask_b32_e64 v8, 0, v8, s[4:5]
	v_cmp_lt_i32_e64 s[4:5], v46, v14
	v_cndmask_b32_e64 v0, 0, v0, s[4:5]
	v_perm_b32 v0, v8, v0, s36
	v_lshrrev_b32_e32 v8, 16, v6
	v_cmp_lt_i32_e64 s[4:5], v45, v3
	v_cndmask_b32_e64 v8, 0, v8, s[4:5]
	v_cmp_lt_i32_e64 s[4:5], v44, v14
	v_cndmask_b32_e64 v6, 0, v6, s[4:5]
	v_lshrrev_b32_e32 v7, 16, v7
	v_cmp_lt_i32_e64 s[4:5], v55, v3
	v_cndmask_b32_e64 v7, 0, v7, s[4:5]
	v_cmp_lt_i32_e64 s[4:5], v54, v14
	v_perm_b32 v6, v8, v6, s36
	v_cndmask_b32_e64 v8, 0, v17, s[4:5]
	v_perm_b32 v7, v7, v8, s36
.LBB284_635:                            ;   in Loop: Header=BB284_434 Depth=1
	s_or_b64 exec, exec, s[18:19]
	;;#ASMSTART
	v_pk_mul_f16 v8, v60, v20;

	;;#ASMEND
	;;#ASMSTART
	v_pk_mul_f16 v0, v59, v0;

	;;#ASMEND
	;; [unrolled: 4-line block ×4, first 2 shown]
	;;#ASMSTART
	v_pk_add_f16 v0, v8, v0;

	;;#ASMEND
	;;#ASMSTART
	v_pk_add_f16 v0, v0, v6;

	;;#ASMEND
	;; [unrolled: 4-line block ×3, first 2 shown]
	v_lshrrev_b32_e32 v6, 16, v0
	v_and_b32_e32 v0, 0xffff, v0
	;;#ASMSTART
	v_cvt_f32_f16 v17, v0;
	;;#ASMEND
	;;#ASMSTART
	v_cvt_f32_f16 v48, v6;
	;;#ASMEND
	v_accvgpr_read_b32 v7, a5
	flat_load_dwordx2 v[28:29], v[12:13] offset:2048
	v_accvgpr_read_b32 v6, a4
	flat_load_dword v14, v[6:7]
	v_mov_b32_e32 v24, 0
	v_mov_b32_e32 v20, 0
	s_waitcnt vmcnt(0) lgkmcnt(0)
	v_cmp_ne_u16_sdwa s[4:5], v28, v1 src0_sel:BYTE_0 src1_sel:DWORD
	s_and_saveexec_b64 s[18:19], s[4:5]
	s_cbranch_execz .LBB284_641
; %bb.636:                              ;   in Loop: Header=BB284_434 Depth=1
	v_cmp_ne_u16_sdwa s[4:5], v28, s7 src0_sel:BYTE_0 src1_sel:DWORD
	v_bfrev_b32_e32 v20, 1
	s_and_saveexec_b64 s[20:21], s[4:5]
	s_cbranch_execz .LBB284_640
; %bb.637:                              ;   in Loop: Header=BB284_434 Depth=1
	v_and_b32_e32 v0, 0x7f, v28
	v_cmp_ne_u32_e64 s[4:5], s15, v0
	v_mov_b32_e32 v20, 0x7fc02000
	s_and_saveexec_b64 s[22:23], s[4:5]
	s_cbranch_execz .LBB284_639
; %bb.638:                              ;   in Loop: Header=BB284_434 Depth=1
	v_and_b32_e32 v6, 7, v28
	v_ffbh_u32_e32 v6, v6
	v_min_u32_e32 v6, 32, v6
	v_subrev_u32_e32 v7, 28, v6
	v_cmp_gt_u32_e64 s[4:5], 8, v0
	v_lshrrev_b32_e32 v8, 3, v0
	v_sub_u32_e32 v9, 29, v6
	v_cndmask_b32_e64 v0, 0, v7, s[4:5]
	v_lshlrev_b64 v[6:7], v0, v[28:29]
	v_cndmask_b32_e64 v0, v8, v9, s[4:5]
	v_lshlrev_b32_e32 v7, 8, v28
	v_lshl_add_u32 v0, v0, 10, v51
	v_lshlrev_b32_e32 v6, 7, v6
	v_and_or_b32 v0, v7, s30, v0
	v_and_or_b32 v0, v6, s31, v0
	v_cvt_f32_f16_e32 v20, v0
.LBB284_639:                            ;   in Loop: Header=BB284_434 Depth=1
	s_or_b64 exec, exec, s[22:23]
.LBB284_640:                            ;   in Loop: Header=BB284_434 Depth=1
	s_or_b64 exec, exec, s[20:21]
.LBB284_641:                            ;   in Loop: Header=BB284_434 Depth=1
	s_or_b64 exec, exec, s[18:19]
	v_lshrrev_b16_e32 v0, 8, v28
	v_cmp_ne_u16_e64 s[4:5], 0, v0
	s_and_saveexec_b64 s[18:19], s[4:5]
	s_cbranch_execz .LBB284_647
; %bb.642:                              ;   in Loop: Header=BB284_434 Depth=1
	v_cmp_ne_u16_e64 s[4:5], s7, v0
	v_bfrev_b32_e32 v24, 1
	s_and_saveexec_b64 s[20:21], s[4:5]
	s_cbranch_execz .LBB284_646
; %bb.643:                              ;   in Loop: Header=BB284_434 Depth=1
	v_and_b32_e32 v6, 0x7f, v0
	v_cmp_ne_u32_e64 s[4:5], s15, v6
	v_mov_b32_e32 v24, 0x7fc02000
	s_and_saveexec_b64 s[22:23], s[4:5]
	s_cbranch_execz .LBB284_645
; %bb.644:                              ;   in Loop: Header=BB284_434 Depth=1
	v_and_b32_e32 v7, 7, v0
	v_ffbh_u32_e32 v9, v7
	v_min_u32_e32 v9, 32, v9
	v_lshrrev_b32_e32 v8, 3, v6
	v_subrev_u32_e32 v15, 28, v9
	v_sub_u32_e32 v9, 29, v9
	v_cmp_gt_u32_e64 s[4:5], 8, v6
	v_lshlrev_b64 v[24:25], v15, v[0:1]
	v_cndmask_b32_e64 v6, v8, v9, s[4:5]
	v_and_b32_e32 v15, 7, v24
	v_lshlrev_b32_e32 v0, 8, v0
	v_lshl_add_u32 v6, v6, 10, v51
	v_cndmask_b32_e64 v7, v7, v15, s[4:5]
	v_and_or_b32 v0, v0, s30, v6
	v_lshl_or_b32 v0, v7, 7, v0
	v_cvt_f32_f16_e32 v24, v0
.LBB284_645:                            ;   in Loop: Header=BB284_434 Depth=1
	s_or_b64 exec, exec, s[22:23]
.LBB284_646:                            ;   in Loop: Header=BB284_434 Depth=1
	s_or_b64 exec, exec, s[20:21]
.LBB284_647:                            ;   in Loop: Header=BB284_434 Depth=1
	s_or_b64 exec, exec, s[18:19]
	v_lshrrev_b32_e32 v0, 16, v28
	v_cmp_ne_u16_sdwa s[4:5], v0, v1 src0_sel:BYTE_0 src1_sel:DWORD
	v_mov_b32_e32 v25, 0
	v_mov_b32_e32 v21, 0
	s_and_saveexec_b64 s[18:19], s[4:5]
	s_cbranch_execz .LBB284_653
; %bb.648:                              ;   in Loop: Header=BB284_434 Depth=1
	v_cmp_ne_u16_sdwa s[4:5], v0, s7 src0_sel:BYTE_0 src1_sel:DWORD
	v_bfrev_b32_e32 v21, 1
	s_and_saveexec_b64 s[20:21], s[4:5]
	s_cbranch_execz .LBB284_652
; %bb.649:                              ;   in Loop: Header=BB284_434 Depth=1
	v_bfe_u32 v6, v28, 16, 7
	v_cmp_ne_u32_e64 s[4:5], s15, v6
	v_mov_b32_e32 v21, 0x7fc02000
	s_and_saveexec_b64 s[22:23], s[4:5]
	s_cbranch_execz .LBB284_651
; %bb.650:                              ;   in Loop: Header=BB284_434 Depth=1
	v_and_b32_e32 v7, 7, v0
	v_ffbh_u32_e32 v9, v7
	v_min_u32_e32 v9, 32, v9
	v_lshrrev_b32_e32 v8, 3, v6
	v_subrev_u32_e32 v15, 28, v9
	v_sub_u32_e32 v9, 29, v9
	v_cmp_gt_u32_e64 s[4:5], 8, v6
	v_lshlrev_b64 v[26:27], v15, v[0:1]
	v_cndmask_b32_e64 v6, v8, v9, s[4:5]
	v_and_b32_e32 v15, 7, v26
	v_lshlrev_b32_e32 v0, 8, v0
	v_lshl_add_u32 v6, v6, 10, v51
	v_cndmask_b32_e64 v7, v7, v15, s[4:5]
	v_and_or_b32 v0, v0, s30, v6
	v_lshl_or_b32 v0, v7, 7, v0
	v_cvt_f32_f16_e32 v21, v0
.LBB284_651:                            ;   in Loop: Header=BB284_434 Depth=1
	s_or_b64 exec, exec, s[22:23]
.LBB284_652:                            ;   in Loop: Header=BB284_434 Depth=1
	s_or_b64 exec, exec, s[20:21]
.LBB284_653:                            ;   in Loop: Header=BB284_434 Depth=1
	s_or_b64 exec, exec, s[18:19]
	v_cmp_lt_u32_e64 s[4:5], s13, v28
	s_and_saveexec_b64 s[18:19], s[4:5]
	s_cbranch_execz .LBB284_659
; %bb.654:                              ;   in Loop: Header=BB284_434 Depth=1
	v_lshrrev_b32_e32 v0, 24, v28
	v_cmp_ne_u32_e64 s[4:5], s7, v0
	v_bfrev_b32_e32 v25, 1
	s_and_saveexec_b64 s[20:21], s[4:5]
	s_cbranch_execz .LBB284_658
; %bb.655:                              ;   in Loop: Header=BB284_434 Depth=1
	v_and_b32_e32 v6, 0x7f, v0
	v_cmp_ne_u32_e64 s[4:5], s15, v6
	v_mov_b32_e32 v25, 0x7fc02000
	s_and_saveexec_b64 s[22:23], s[4:5]
	s_cbranch_execz .LBB284_657
; %bb.656:                              ;   in Loop: Header=BB284_434 Depth=1
	v_and_b32_e32 v7, 7, v0
	v_ffbh_u32_e32 v9, v7
	v_min_u32_e32 v9, 32, v9
	v_lshrrev_b32_e32 v8, 3, v6
	v_subrev_u32_e32 v15, 28, v9
	v_sub_u32_e32 v9, 29, v9
	v_cmp_gt_u32_e64 s[4:5], 8, v6
	v_lshlrev_b64 v[26:27], v15, v[0:1]
	v_cndmask_b32_e64 v6, v8, v9, s[4:5]
	v_and_b32_e32 v15, 7, v26
	v_lshlrev_b32_e32 v0, 8, v0
	v_lshl_add_u32 v6, v6, 10, v51
	v_cndmask_b32_e64 v7, v7, v15, s[4:5]
	v_and_or_b32 v0, v0, s30, v6
	v_lshl_or_b32 v0, v7, 7, v0
	v_cvt_f32_f16_e32 v25, v0
.LBB284_657:                            ;   in Loop: Header=BB284_434 Depth=1
	s_or_b64 exec, exec, s[22:23]
.LBB284_658:                            ;   in Loop: Header=BB284_434 Depth=1
	s_or_b64 exec, exec, s[20:21]
.LBB284_659:                            ;   in Loop: Header=BB284_434 Depth=1
	s_or_b64 exec, exec, s[18:19]
	v_mov_b32_e32 v0, v29
	v_cmp_ne_u16_sdwa s[4:5], v29, v1 src0_sel:BYTE_0 src1_sel:DWORD
	v_mov_b32_e32 v7, 0
	v_mov_b32_e32 v6, 0
	s_and_saveexec_b64 s[18:19], s[4:5]
	s_cbranch_execz .LBB284_665
; %bb.660:                              ;   in Loop: Header=BB284_434 Depth=1
	v_cmp_ne_u16_sdwa s[4:5], v29, s7 src0_sel:BYTE_0 src1_sel:DWORD
	v_bfrev_b32_e32 v6, 1
	s_and_saveexec_b64 s[20:21], s[4:5]
	s_cbranch_execz .LBB284_664
; %bb.661:                              ;   in Loop: Header=BB284_434 Depth=1
	v_and_b32_e32 v15, 0x7f, v29
	v_cmp_ne_u32_e64 s[4:5], s15, v15
	v_mov_b32_e32 v6, 0x7fc02000
	s_and_saveexec_b64 s[22:23], s[4:5]
	s_cbranch_execz .LBB284_663
; %bb.662:                              ;   in Loop: Header=BB284_434 Depth=1
	v_and_b32_e32 v6, 7, v29
	v_ffbh_u32_e32 v6, v6
	v_min_u32_e32 v6, 32, v6
	v_lshrrev_b32_e32 v8, 3, v15
	v_subrev_u32_e32 v9, 28, v6
	v_sub_u32_e32 v6, 29, v6
	v_cmp_gt_u32_e64 s[4:5], 8, v15
	v_cndmask_b32_e64 v9, 0, v9, s[4:5]
	v_cndmask_b32_e64 v6, v8, v6, s[4:5]
	v_lshlrev_b64 v[26:27], v9, v[0:1]
	v_lshlrev_b32_e32 v9, 8, v29
	v_lshl_add_u32 v6, v6, 10, v51
	v_lshlrev_b32_e32 v8, 7, v26
	v_and_or_b32 v6, v9, s30, v6
	v_and_or_b32 v6, v8, s31, v6
	v_cvt_f32_f16_e32 v6, v6
.LBB284_663:                            ;   in Loop: Header=BB284_434 Depth=1
	s_or_b64 exec, exec, s[22:23]
.LBB284_664:                            ;   in Loop: Header=BB284_434 Depth=1
	s_or_b64 exec, exec, s[20:21]
.LBB284_665:                            ;   in Loop: Header=BB284_434 Depth=1
	s_or_b64 exec, exec, s[18:19]
	v_lshrrev_b16_e32 v0, 8, v0
	v_cmp_ne_u16_e64 s[4:5], 0, v0
	s_and_saveexec_b64 s[18:19], s[4:5]
	s_cbranch_execz .LBB284_671
; %bb.666:                              ;   in Loop: Header=BB284_434 Depth=1
	v_cmp_ne_u16_e64 s[4:5], s7, v0
	v_bfrev_b32_e32 v7, 1
	s_and_saveexec_b64 s[20:21], s[4:5]
	s_cbranch_execz .LBB284_670
; %bb.667:                              ;   in Loop: Header=BB284_434 Depth=1
	v_and_b32_e32 v15, 0x7f, v0
	v_cmp_ne_u32_e64 s[4:5], s15, v15
	v_mov_b32_e32 v7, 0x7fc02000
	s_and_saveexec_b64 s[22:23], s[4:5]
	s_cbranch_execz .LBB284_669
; %bb.668:                              ;   in Loop: Header=BB284_434 Depth=1
	v_and_b32_e32 v7, 7, v0
	v_ffbh_u32_e32 v9, v7
	v_min_u32_e32 v9, 32, v9
	v_lshrrev_b32_e32 v8, 3, v15
	v_subrev_u32_e32 v16, 28, v9
	v_sub_u32_e32 v9, 29, v9
	v_cmp_gt_u32_e64 s[4:5], 8, v15
	v_lshlrev_b64 v[26:27], v16, v[0:1]
	v_cndmask_b32_e64 v8, v8, v9, s[4:5]
	v_and_b32_e32 v16, 7, v26
	v_lshlrev_b32_e32 v0, 8, v0
	v_lshl_add_u32 v8, v8, 10, v51
	v_cndmask_b32_e64 v7, v7, v16, s[4:5]
	v_and_or_b32 v0, v0, s30, v8
	v_lshl_or_b32 v0, v7, 7, v0
	v_cvt_f32_f16_e32 v7, v0
.LBB284_669:                            ;   in Loop: Header=BB284_434 Depth=1
	s_or_b64 exec, exec, s[22:23]
.LBB284_670:                            ;   in Loop: Header=BB284_434 Depth=1
	s_or_b64 exec, exec, s[20:21]
.LBB284_671:                            ;   in Loop: Header=BB284_434 Depth=1
	s_or_b64 exec, exec, s[18:19]
	v_lshrrev_b32_e32 v0, 16, v29
	v_cmp_ne_u16_sdwa s[4:5], v0, v1 src0_sel:BYTE_0 src1_sel:DWORD
	v_mov_b32_e32 v15, 0
	v_mov_b32_e32 v22, 0
	s_and_saveexec_b64 s[18:19], s[4:5]
	s_cbranch_execz .LBB284_677
; %bb.672:                              ;   in Loop: Header=BB284_434 Depth=1
	v_cmp_ne_u16_sdwa s[4:5], v0, s7 src0_sel:BYTE_0 src1_sel:DWORD
	v_bfrev_b32_e32 v22, 1
	s_and_saveexec_b64 s[20:21], s[4:5]
	s_cbranch_execz .LBB284_676
; %bb.673:                              ;   in Loop: Header=BB284_434 Depth=1
	v_bfe_u32 v26, v29, 16, 7
	v_cmp_ne_u32_e64 s[4:5], s15, v26
	v_mov_b32_e32 v22, 0x7fc02000
	s_and_saveexec_b64 s[22:23], s[4:5]
	s_cbranch_execz .LBB284_675
; %bb.674:                              ;   in Loop: Header=BB284_434 Depth=1
	v_and_b32_e32 v16, 7, v0
	v_ffbh_u32_e32 v8, v16
	v_min_u32_e32 v22, 32, v8
	v_subrev_u32_e32 v8, 28, v22
	v_lshlrev_b64 v[8:9], v8, v[0:1]
	v_lshrrev_b32_e32 v18, 3, v26
	v_sub_u32_e32 v9, 29, v22
	v_cmp_gt_u32_e64 s[4:5], 8, v26
	v_cndmask_b32_e64 v9, v18, v9, s[4:5]
	v_and_b32_e32 v8, 7, v8
	v_lshlrev_b32_e32 v0, 8, v0
	v_lshl_add_u32 v9, v9, 10, v51
	v_cndmask_b32_e64 v8, v16, v8, s[4:5]
	v_and_or_b32 v0, v0, s30, v9
	v_lshl_or_b32 v0, v8, 7, v0
	v_cvt_f32_f16_e32 v22, v0
.LBB284_675:                            ;   in Loop: Header=BB284_434 Depth=1
	s_or_b64 exec, exec, s[22:23]
.LBB284_676:                            ;   in Loop: Header=BB284_434 Depth=1
	s_or_b64 exec, exec, s[20:21]
.LBB284_677:                            ;   in Loop: Header=BB284_434 Depth=1
	s_or_b64 exec, exec, s[18:19]
	v_cmp_lt_u64_e64 s[4:5], s[12:13], v[28:29]
	s_and_saveexec_b64 s[18:19], s[4:5]
	s_cbranch_execz .LBB284_683
; %bb.678:                              ;   in Loop: Header=BB284_434 Depth=1
	v_lshrrev_b32_e32 v0, 24, v29
	v_cmp_ne_u32_e64 s[4:5], s7, v0
	v_bfrev_b32_e32 v15, 1
	s_and_saveexec_b64 s[20:21], s[4:5]
	s_cbranch_execz .LBB284_682
; %bb.679:                              ;   in Loop: Header=BB284_434 Depth=1
	v_and_b32_e32 v26, 0x7f, v0
	v_cmp_ne_u32_e64 s[4:5], s15, v26
	v_mov_b32_e32 v15, 0x7fc02000
	s_and_saveexec_b64 s[22:23], s[4:5]
	s_cbranch_execz .LBB284_681
; %bb.680:                              ;   in Loop: Header=BB284_434 Depth=1
	v_and_b32_e32 v15, 7, v0
	v_ffbh_u32_e32 v8, v15
	v_min_u32_e32 v18, 32, v8
	v_subrev_u32_e32 v8, 28, v18
	v_lshlrev_b64 v[8:9], v8, v[0:1]
	v_lshrrev_b32_e32 v16, 3, v26
	v_sub_u32_e32 v9, 29, v18
	v_cmp_gt_u32_e64 s[4:5], 8, v26
	v_cndmask_b32_e64 v9, v16, v9, s[4:5]
	v_and_b32_e32 v8, 7, v8
	v_lshlrev_b32_e32 v0, 8, v0
	v_lshl_add_u32 v9, v9, 10, v51
	v_cndmask_b32_e64 v8, v15, v8, s[4:5]
	v_and_or_b32 v0, v0, s30, v9
	v_lshl_or_b32 v0, v8, 7, v0
	v_cvt_f32_f16_e32 v15, v0
.LBB284_681:                            ;   in Loop: Header=BB284_434 Depth=1
	s_or_b64 exec, exec, s[22:23]
.LBB284_682:                            ;   in Loop: Header=BB284_434 Depth=1
	s_or_b64 exec, exec, s[20:21]
.LBB284_683:                            ;   in Loop: Header=BB284_434 Depth=1
	s_or_b64 exec, exec, s[18:19]
	v_pk_mul_f32 v[8:9], v[14:15], v[24:25] op_sel_hi:[0,1]
	v_pk_mul_f32 v[20:21], v[14:15], v[20:21] op_sel_hi:[0,1]
	v_cvt_f16_f32_e32 v0, v9
	v_cvt_f16_f32_e32 v8, v8
	;; [unrolled: 1-line block ×4, first 2 shown]
	v_fma_mixlo_f16 v7, v14, v7, 0
	v_lshlrev_b32_e32 v7, 16, v7
	v_fma_mixlo_f16 v6, v14, v6, 0
	v_or_b32_sdwa v6, v7, v6 dst_sel:DWORD dst_unused:UNUSED_PAD src0_sel:DWORD src1_sel:WORD_0
	v_fma_mixlo_f16 v7, v14, v15, 0
	v_pack_b32_f16 v8, v8, v0
	v_pack_b32_f16 v9, v16, v9
	v_fma_mixlo_f16 v21, v14, v22, 0
	v_lshlrev_b32_e32 v7, 16, v7
	v_perm_b32 v0, v9, v8, s34
	v_perm_b32 v20, v9, v8, s35
	v_or_b32_sdwa v7, v7, v21 dst_sel:DWORD dst_unused:UNUSED_PAD src0_sel:DWORD src1_sel:WORD_0
	s_and_saveexec_b64 s[18:19], vcc
	s_cbranch_execz .LBB284_685
; %bb.684:                              ;   in Loop: Header=BB284_434 Depth=1
	v_lshrrev_b32_e32 v8, 16, v20
	v_cmp_lt_i32_e64 s[4:5], v56, v3
	v_accvgpr_read_b32 v14, a8
	v_cndmask_b32_e64 v8, 0, v8, s[4:5]
	v_cmp_lt_i32_e64 s[4:5], v43, v14
	v_cndmask_b32_e64 v9, 0, v20, s[4:5]
	v_perm_b32 v20, v8, v9, s36
	v_lshrrev_b32_e32 v8, 16, v0
	v_cmp_lt_i32_e64 s[4:5], v47, v3
	v_cndmask_b32_e64 v8, 0, v8, s[4:5]
	v_cmp_lt_i32_e64 s[4:5], v46, v14
	v_cndmask_b32_e64 v0, 0, v0, s[4:5]
	v_perm_b32 v0, v8, v0, s36
	v_lshrrev_b32_e32 v8, 16, v6
	v_cmp_lt_i32_e64 s[4:5], v45, v3
	v_cndmask_b32_e64 v8, 0, v8, s[4:5]
	v_cmp_lt_i32_e64 s[4:5], v44, v14
	v_cndmask_b32_e64 v6, 0, v6, s[4:5]
	v_lshrrev_b32_e32 v7, 16, v7
	v_cmp_lt_i32_e64 s[4:5], v55, v3
	v_cndmask_b32_e64 v7, 0, v7, s[4:5]
	v_cmp_lt_i32_e64 s[4:5], v54, v14
	v_perm_b32 v6, v8, v6, s36
	v_cndmask_b32_e64 v8, 0, v21, s[4:5]
	v_perm_b32 v7, v7, v8, s36
.LBB284_685:                            ;   in Loop: Header=BB284_434 Depth=1
	s_or_b64 exec, exec, s[18:19]
	;;#ASMSTART
	v_pk_mul_f16 v8, v60, v20;

	;;#ASMEND
	;;#ASMSTART
	v_pk_mul_f16 v0, v59, v0;

	;;#ASMEND
	;; [unrolled: 4-line block ×4, first 2 shown]
	;;#ASMSTART
	v_pk_add_f16 v0, v8, v0;

	;;#ASMEND
	;;#ASMSTART
	v_pk_add_f16 v0, v0, v6;

	;;#ASMEND
	;; [unrolled: 4-line block ×3, first 2 shown]
	v_lshrrev_b32_e32 v7, 16, v0
	v_accvgpr_read_b32 v9, a5
	v_and_b32_e32 v0, 0xffff, v0
	;;#ASMSTART
	v_cvt_f32_f16 v6, v0;
	;;#ASMEND
	;;#ASMSTART
	v_cvt_f32_f16 v7, v7;
	;;#ASMEND
	flat_load_dwordx2 v[28:29], v[12:13] offset:2560
	v_accvgpr_read_b32 v8, a4
	flat_load_dword v14, v[8:9]
	v_mov_b32_e32 v24, 0
	v_mov_b32_e32 v20, 0
	s_waitcnt vmcnt(0) lgkmcnt(0)
	v_cmp_ne_u16_sdwa s[4:5], v28, v1 src0_sel:BYTE_0 src1_sel:DWORD
	s_and_saveexec_b64 s[18:19], s[4:5]
	s_cbranch_execz .LBB284_691
; %bb.686:                              ;   in Loop: Header=BB284_434 Depth=1
	v_cmp_ne_u16_sdwa s[4:5], v28, s7 src0_sel:BYTE_0 src1_sel:DWORD
	v_bfrev_b32_e32 v20, 1
	s_and_saveexec_b64 s[20:21], s[4:5]
	s_cbranch_execz .LBB284_690
; %bb.687:                              ;   in Loop: Header=BB284_434 Depth=1
	v_and_b32_e32 v0, 0x7f, v28
	v_cmp_ne_u32_e64 s[4:5], s15, v0
	v_mov_b32_e32 v20, 0x7fc02000
	s_and_saveexec_b64 s[22:23], s[4:5]
	s_cbranch_execz .LBB284_689
; %bb.688:                              ;   in Loop: Header=BB284_434 Depth=1
	v_and_b32_e32 v8, 7, v28
	v_ffbh_u32_e32 v8, v8
	v_min_u32_e32 v8, 32, v8
	v_subrev_u32_e32 v9, 28, v8
	v_cmp_gt_u32_e64 s[4:5], 8, v0
	v_lshrrev_b32_e32 v15, 3, v0
	v_sub_u32_e32 v16, 29, v8
	v_cndmask_b32_e64 v0, 0, v9, s[4:5]
	v_lshlrev_b64 v[8:9], v0, v[28:29]
	v_cndmask_b32_e64 v0, v15, v16, s[4:5]
	v_lshlrev_b32_e32 v9, 8, v28
	v_lshl_add_u32 v0, v0, 10, v51
	v_lshlrev_b32_e32 v8, 7, v8
	v_and_or_b32 v0, v9, s30, v0
	v_and_or_b32 v0, v8, s31, v0
	v_cvt_f32_f16_e32 v20, v0
.LBB284_689:                            ;   in Loop: Header=BB284_434 Depth=1
	s_or_b64 exec, exec, s[22:23]
.LBB284_690:                            ;   in Loop: Header=BB284_434 Depth=1
	s_or_b64 exec, exec, s[20:21]
.LBB284_691:                            ;   in Loop: Header=BB284_434 Depth=1
	s_or_b64 exec, exec, s[18:19]
	v_lshrrev_b16_e32 v0, 8, v28
	v_cmp_ne_u16_e64 s[4:5], 0, v0
	s_and_saveexec_b64 s[18:19], s[4:5]
	s_cbranch_execz .LBB284_697
; %bb.692:                              ;   in Loop: Header=BB284_434 Depth=1
	v_cmp_ne_u16_e64 s[4:5], s7, v0
	v_bfrev_b32_e32 v24, 1
	s_and_saveexec_b64 s[20:21], s[4:5]
	s_cbranch_execz .LBB284_696
; %bb.693:                              ;   in Loop: Header=BB284_434 Depth=1
	v_and_b32_e32 v15, 0x7f, v0
	v_cmp_ne_u32_e64 s[4:5], s15, v15
	v_mov_b32_e32 v24, 0x7fc02000
	s_and_saveexec_b64 s[22:23], s[4:5]
	s_cbranch_execz .LBB284_695
; %bb.694:                              ;   in Loop: Header=BB284_434 Depth=1
	v_and_b32_e32 v16, 7, v0
	v_ffbh_u32_e32 v8, v16
	v_min_u32_e32 v21, 32, v8
	v_subrev_u32_e32 v8, 28, v21
	v_lshlrev_b64 v[8:9], v8, v[0:1]
	v_lshrrev_b32_e32 v18, 3, v15
	v_sub_u32_e32 v9, 29, v21
	v_cmp_gt_u32_e64 s[4:5], 8, v15
	v_cndmask_b32_e64 v9, v18, v9, s[4:5]
	v_and_b32_e32 v8, 7, v8
	v_lshlrev_b32_e32 v0, 8, v0
	v_lshl_add_u32 v9, v9, 10, v51
	v_cndmask_b32_e64 v8, v16, v8, s[4:5]
	v_and_or_b32 v0, v0, s30, v9
	v_lshl_or_b32 v0, v8, 7, v0
	v_cvt_f32_f16_e32 v24, v0
.LBB284_695:                            ;   in Loop: Header=BB284_434 Depth=1
	s_or_b64 exec, exec, s[22:23]
.LBB284_696:                            ;   in Loop: Header=BB284_434 Depth=1
	s_or_b64 exec, exec, s[20:21]
.LBB284_697:                            ;   in Loop: Header=BB284_434 Depth=1
	s_or_b64 exec, exec, s[18:19]
	v_lshrrev_b32_e32 v0, 16, v28
	v_cmp_ne_u16_sdwa s[4:5], v0, v1 src0_sel:BYTE_0 src1_sel:DWORD
	v_mov_b32_e32 v25, 0
	v_mov_b32_e32 v21, 0
	s_and_saveexec_b64 s[18:19], s[4:5]
	s_cbranch_execz .LBB284_703
; %bb.698:                              ;   in Loop: Header=BB284_434 Depth=1
	v_cmp_ne_u16_sdwa s[4:5], v0, s7 src0_sel:BYTE_0 src1_sel:DWORD
	v_bfrev_b32_e32 v21, 1
	s_and_saveexec_b64 s[20:21], s[4:5]
	s_cbranch_execz .LBB284_702
; %bb.699:                              ;   in Loop: Header=BB284_434 Depth=1
	v_bfe_u32 v15, v28, 16, 7
	v_cmp_ne_u32_e64 s[4:5], s15, v15
	v_mov_b32_e32 v21, 0x7fc02000
	s_and_saveexec_b64 s[22:23], s[4:5]
	s_cbranch_execz .LBB284_701
; %bb.700:                              ;   in Loop: Header=BB284_434 Depth=1
	v_and_b32_e32 v16, 7, v0
	v_ffbh_u32_e32 v8, v16
	v_min_u32_e32 v21, 32, v8
	v_subrev_u32_e32 v8, 28, v21
	v_lshlrev_b64 v[8:9], v8, v[0:1]
	v_lshrrev_b32_e32 v18, 3, v15
	v_sub_u32_e32 v9, 29, v21
	v_cmp_gt_u32_e64 s[4:5], 8, v15
	v_cndmask_b32_e64 v9, v18, v9, s[4:5]
	v_and_b32_e32 v8, 7, v8
	v_lshlrev_b32_e32 v0, 8, v0
	v_lshl_add_u32 v9, v9, 10, v51
	v_cndmask_b32_e64 v8, v16, v8, s[4:5]
	v_and_or_b32 v0, v0, s30, v9
	v_lshl_or_b32 v0, v8, 7, v0
	v_cvt_f32_f16_e32 v21, v0
.LBB284_701:                            ;   in Loop: Header=BB284_434 Depth=1
	s_or_b64 exec, exec, s[22:23]
.LBB284_702:                            ;   in Loop: Header=BB284_434 Depth=1
	s_or_b64 exec, exec, s[20:21]
.LBB284_703:                            ;   in Loop: Header=BB284_434 Depth=1
	s_or_b64 exec, exec, s[18:19]
	v_cmp_lt_u32_e64 s[4:5], s13, v28
	s_and_saveexec_b64 s[18:19], s[4:5]
	s_cbranch_execz .LBB284_709
; %bb.704:                              ;   in Loop: Header=BB284_434 Depth=1
	v_lshrrev_b32_e32 v0, 24, v28
	v_cmp_ne_u32_e64 s[4:5], s7, v0
	v_bfrev_b32_e32 v25, 1
	s_and_saveexec_b64 s[20:21], s[4:5]
	s_cbranch_execz .LBB284_708
; %bb.705:                              ;   in Loop: Header=BB284_434 Depth=1
	v_and_b32_e32 v15, 0x7f, v0
	v_cmp_ne_u32_e64 s[4:5], s15, v15
	v_mov_b32_e32 v25, 0x7fc02000
	s_and_saveexec_b64 s[22:23], s[4:5]
	s_cbranch_execz .LBB284_707
; %bb.706:                              ;   in Loop: Header=BB284_434 Depth=1
	v_and_b32_e32 v16, 7, v0
	v_ffbh_u32_e32 v8, v16
	v_min_u32_e32 v22, 32, v8
	v_subrev_u32_e32 v8, 28, v22
	v_lshlrev_b64 v[8:9], v8, v[0:1]
	v_lshrrev_b32_e32 v18, 3, v15
	v_sub_u32_e32 v9, 29, v22
	v_cmp_gt_u32_e64 s[4:5], 8, v15
	v_cndmask_b32_e64 v9, v18, v9, s[4:5]
	v_and_b32_e32 v8, 7, v8
	v_lshlrev_b32_e32 v0, 8, v0
	v_lshl_add_u32 v9, v9, 10, v51
	v_cndmask_b32_e64 v8, v16, v8, s[4:5]
	v_and_or_b32 v0, v0, s30, v9
	v_lshl_or_b32 v0, v8, 7, v0
	v_cvt_f32_f16_e32 v25, v0
.LBB284_707:                            ;   in Loop: Header=BB284_434 Depth=1
	s_or_b64 exec, exec, s[22:23]
.LBB284_708:                            ;   in Loop: Header=BB284_434 Depth=1
	s_or_b64 exec, exec, s[20:21]
.LBB284_709:                            ;   in Loop: Header=BB284_434 Depth=1
	s_or_b64 exec, exec, s[18:19]
	v_mov_b32_e32 v0, v29
	v_cmp_ne_u16_sdwa s[4:5], v29, v1 src0_sel:BYTE_0 src1_sel:DWORD
	v_mov_b32_e32 v22, 0
	v_mov_b32_e32 v15, 0
	s_and_saveexec_b64 s[18:19], s[4:5]
	s_cbranch_execz .LBB284_715
; %bb.710:                              ;   in Loop: Header=BB284_434 Depth=1
	v_cmp_ne_u16_sdwa s[4:5], v29, s7 src0_sel:BYTE_0 src1_sel:DWORD
	v_bfrev_b32_e32 v15, 1
	s_and_saveexec_b64 s[20:21], s[4:5]
	s_cbranch_execz .LBB284_714
; %bb.711:                              ;   in Loop: Header=BB284_434 Depth=1
	v_and_b32_e32 v26, 0x7f, v29
	v_cmp_ne_u32_e64 s[4:5], s15, v26
	v_mov_b32_e32 v15, 0x7fc02000
	s_and_saveexec_b64 s[22:23], s[4:5]
	s_cbranch_execz .LBB284_713
; %bb.712:                              ;   in Loop: Header=BB284_434 Depth=1
	v_and_b32_e32 v8, 7, v29
	v_ffbh_u32_e32 v8, v8
	v_min_u32_e32 v8, 32, v8
	v_subrev_u32_e32 v9, 28, v8
	v_cmp_gt_u32_e64 s[4:5], 8, v26
	v_sub_u32_e32 v16, 29, v8
	v_cndmask_b32_e64 v8, 0, v9, s[4:5]
	v_lshrrev_b32_e32 v15, 3, v26
	v_lshlrev_b64 v[8:9], v8, v[0:1]
	v_cndmask_b32_e64 v9, v15, v16, s[4:5]
	v_lshlrev_b32_e32 v15, 8, v29
	v_lshl_add_u32 v9, v9, 10, v51
	v_lshlrev_b32_e32 v8, 7, v8
	v_and_or_b32 v9, v15, s30, v9
	v_and_or_b32 v8, v8, s31, v9
	v_cvt_f32_f16_e32 v15, v8
.LBB284_713:                            ;   in Loop: Header=BB284_434 Depth=1
	s_or_b64 exec, exec, s[22:23]
.LBB284_714:                            ;   in Loop: Header=BB284_434 Depth=1
	s_or_b64 exec, exec, s[20:21]
.LBB284_715:                            ;   in Loop: Header=BB284_434 Depth=1
	s_or_b64 exec, exec, s[18:19]
	v_lshrrev_b16_e32 v0, 8, v0
	v_cmp_ne_u16_e64 s[4:5], 0, v0
	s_and_saveexec_b64 s[18:19], s[4:5]
	s_cbranch_execz .LBB284_721
; %bb.716:                              ;   in Loop: Header=BB284_434 Depth=1
	v_cmp_ne_u16_e64 s[4:5], s7, v0
	v_bfrev_b32_e32 v22, 1
	s_and_saveexec_b64 s[20:21], s[4:5]
	s_cbranch_execz .LBB284_720
; %bb.717:                              ;   in Loop: Header=BB284_434 Depth=1
	v_and_b32_e32 v26, 0x7f, v0
	v_cmp_ne_u32_e64 s[4:5], s15, v26
	v_mov_b32_e32 v22, 0x7fc02000
	s_and_saveexec_b64 s[22:23], s[4:5]
	s_cbranch_execz .LBB284_719
; %bb.718:                              ;   in Loop: Header=BB284_434 Depth=1
	v_and_b32_e32 v16, 7, v0
	v_ffbh_u32_e32 v8, v16
	v_min_u32_e32 v22, 32, v8
	v_subrev_u32_e32 v8, 28, v22
	v_lshlrev_b64 v[8:9], v8, v[0:1]
	v_lshrrev_b32_e32 v18, 3, v26
	v_sub_u32_e32 v9, 29, v22
	v_cmp_gt_u32_e64 s[4:5], 8, v26
	v_cndmask_b32_e64 v9, v18, v9, s[4:5]
	v_and_b32_e32 v8, 7, v8
	v_lshlrev_b32_e32 v0, 8, v0
	v_lshl_add_u32 v9, v9, 10, v51
	v_cndmask_b32_e64 v8, v16, v8, s[4:5]
	v_and_or_b32 v0, v0, s30, v9
	v_lshl_or_b32 v0, v8, 7, v0
	v_cvt_f32_f16_e32 v22, v0
.LBB284_719:                            ;   in Loop: Header=BB284_434 Depth=1
	s_or_b64 exec, exec, s[22:23]
.LBB284_720:                            ;   in Loop: Header=BB284_434 Depth=1
	s_or_b64 exec, exec, s[20:21]
.LBB284_721:                            ;   in Loop: Header=BB284_434 Depth=1
	s_or_b64 exec, exec, s[18:19]
	v_lshrrev_b32_e32 v0, 16, v29
	v_cmp_ne_u16_sdwa s[4:5], v0, v1 src0_sel:BYTE_0 src1_sel:DWORD
	v_mov_b32_e32 v26, 0
	v_mov_b32_e32 v27, 0
	s_and_saveexec_b64 s[18:19], s[4:5]
	s_cbranch_execz .LBB284_727
; %bb.722:                              ;   in Loop: Header=BB284_434 Depth=1
	v_cmp_ne_u16_sdwa s[4:5], v0, s7 src0_sel:BYTE_0 src1_sel:DWORD
	v_bfrev_b32_e32 v27, 1
	s_and_saveexec_b64 s[20:21], s[4:5]
	s_cbranch_execz .LBB284_726
; %bb.723:                              ;   in Loop: Header=BB284_434 Depth=1
	v_bfe_u32 v31, v29, 16, 7
	v_cmp_ne_u32_e64 s[4:5], s15, v31
	v_mov_b32_e32 v27, 0x7fc02000
	s_and_saveexec_b64 s[22:23], s[4:5]
	s_cbranch_execz .LBB284_725
; %bb.724:                              ;   in Loop: Header=BB284_434 Depth=1
	v_and_b32_e32 v16, 7, v0
	v_ffbh_u32_e32 v8, v16
	v_min_u32_e32 v23, 32, v8
	v_subrev_u32_e32 v8, 28, v23
	v_lshlrev_b64 v[8:9], v8, v[0:1]
	v_lshrrev_b32_e32 v18, 3, v31
	v_sub_u32_e32 v9, 29, v23
	v_cmp_gt_u32_e64 s[4:5], 8, v31
	v_cndmask_b32_e64 v9, v18, v9, s[4:5]
	v_and_b32_e32 v8, 7, v8
	v_lshlrev_b32_e32 v0, 8, v0
	v_lshl_add_u32 v9, v9, 10, v51
	v_cndmask_b32_e64 v8, v16, v8, s[4:5]
	v_and_or_b32 v0, v0, s30, v9
	v_lshl_or_b32 v0, v8, 7, v0
	v_cvt_f32_f16_e32 v27, v0
.LBB284_725:                            ;   in Loop: Header=BB284_434 Depth=1
	s_or_b64 exec, exec, s[22:23]
.LBB284_726:                            ;   in Loop: Header=BB284_434 Depth=1
	s_or_b64 exec, exec, s[20:21]
.LBB284_727:                            ;   in Loop: Header=BB284_434 Depth=1
	s_or_b64 exec, exec, s[18:19]
	v_cmp_lt_u64_e64 s[4:5], s[12:13], v[28:29]
	s_and_saveexec_b64 s[18:19], s[4:5]
	s_cbranch_execz .LBB284_733
; %bb.728:                              ;   in Loop: Header=BB284_434 Depth=1
	v_lshrrev_b32_e32 v0, 24, v29
	v_cmp_ne_u32_e64 s[4:5], s7, v0
	v_bfrev_b32_e32 v26, 1
	s_and_saveexec_b64 s[20:21], s[4:5]
	s_cbranch_execz .LBB284_732
; %bb.729:                              ;   in Loop: Header=BB284_434 Depth=1
	v_and_b32_e32 v28, 0x7f, v0
	v_cmp_ne_u32_e64 s[4:5], s15, v28
	v_mov_b32_e32 v26, 0x7fc02000
	s_and_saveexec_b64 s[22:23], s[4:5]
	s_cbranch_execz .LBB284_731
; %bb.730:                              ;   in Loop: Header=BB284_434 Depth=1
	v_and_b32_e32 v16, 7, v0
	v_ffbh_u32_e32 v8, v16
	v_min_u32_e32 v23, 32, v8
	v_subrev_u32_e32 v8, 28, v23
	v_lshlrev_b64 v[8:9], v8, v[0:1]
	v_lshrrev_b32_e32 v18, 3, v28
	v_sub_u32_e32 v9, 29, v23
	v_cmp_gt_u32_e64 s[4:5], 8, v28
	v_cndmask_b32_e64 v9, v18, v9, s[4:5]
	v_and_b32_e32 v8, 7, v8
	v_lshlrev_b32_e32 v0, 8, v0
	v_lshl_add_u32 v9, v9, 10, v51
	v_cndmask_b32_e64 v8, v16, v8, s[4:5]
	v_and_or_b32 v0, v0, s30, v9
	v_lshl_or_b32 v0, v8, 7, v0
	v_cvt_f32_f16_e32 v26, v0
.LBB284_731:                            ;   in Loop: Header=BB284_434 Depth=1
	s_or_b64 exec, exec, s[22:23]
.LBB284_732:                            ;   in Loop: Header=BB284_434 Depth=1
	s_or_b64 exec, exec, s[20:21]
.LBB284_733:                            ;   in Loop: Header=BB284_434 Depth=1
	s_or_b64 exec, exec, s[18:19]
	v_pk_mul_f32 v[8:9], v[14:15], v[24:25] op_sel_hi:[0,1]
	v_pk_mul_f32 v[20:21], v[14:15], v[20:21] op_sel_hi:[0,1]
	v_cvt_f16_f32_e32 v0, v9
	v_cvt_f16_f32_e32 v8, v8
	;; [unrolled: 1-line block ×4, first 2 shown]
	v_fma_mixlo_f16 v21, v14, v27, 0
	v_pack_b32_f16 v8, v8, v0
	v_pack_b32_f16 v9, v16, v9
	v_perm_b32 v0, v9, v8, s34
	v_perm_b32 v20, v9, v8, s35
	v_fma_mixlo_f16 v8, v14, v22, 0
	v_lshlrev_b32_e32 v8, 16, v8
	v_fma_mixlo_f16 v9, v14, v15, 0
	v_or_b32_sdwa v15, v8, v9 dst_sel:DWORD dst_unused:UNUSED_PAD src0_sel:DWORD src1_sel:WORD_0
	v_fma_mixlo_f16 v8, v14, v26, 0
	v_lshlrev_b32_e32 v8, 16, v8
	v_or_b32_sdwa v14, v8, v21 dst_sel:DWORD dst_unused:UNUSED_PAD src0_sel:DWORD src1_sel:WORD_0
	s_and_saveexec_b64 s[18:19], vcc
	s_cbranch_execz .LBB284_735
; %bb.734:                              ;   in Loop: Header=BB284_434 Depth=1
	v_lshrrev_b32_e32 v8, 16, v20
	v_cmp_lt_i32_e64 s[4:5], v56, v3
	v_accvgpr_read_b32 v16, a8
	v_cndmask_b32_e64 v8, 0, v8, s[4:5]
	v_cmp_lt_i32_e64 s[4:5], v43, v16
	v_cndmask_b32_e64 v9, 0, v20, s[4:5]
	v_perm_b32 v20, v8, v9, s36
	v_lshrrev_b32_e32 v8, 16, v0
	v_cmp_lt_i32_e64 s[4:5], v47, v3
	v_cndmask_b32_e64 v8, 0, v8, s[4:5]
	v_cmp_lt_i32_e64 s[4:5], v46, v16
	v_cndmask_b32_e64 v0, 0, v0, s[4:5]
	v_perm_b32 v0, v8, v0, s36
	v_lshrrev_b32_e32 v8, 16, v15
	v_cmp_lt_i32_e64 s[4:5], v45, v3
	;; [unrolled: 6-line block ×3, first 2 shown]
	v_cndmask_b32_e64 v8, 0, v8, s[4:5]
	v_cmp_lt_i32_e64 s[4:5], v54, v16
	v_cndmask_b32_e64 v9, 0, v21, s[4:5]
	v_perm_b32 v14, v8, v9, s36
.LBB284_735:                            ;   in Loop: Header=BB284_434 Depth=1
	s_or_b64 exec, exec, s[18:19]
	;;#ASMSTART
	v_pk_mul_f16 v8, v60, v20;

	;;#ASMEND
	;;#ASMSTART
	v_pk_mul_f16 v0, v59, v0;

	;;#ASMEND
	;; [unrolled: 4-line block ×4, first 2 shown]
	;;#ASMSTART
	v_pk_add_f16 v0, v8, v0;

	;;#ASMEND
	;;#ASMSTART
	v_pk_add_f16 v0, v0, v9;

	;;#ASMEND
	;; [unrolled: 4-line block ×3, first 2 shown]
	v_lshrrev_b32_e32 v8, 16, v0
	v_and_b32_e32 v0, 0xffff, v0
	;;#ASMSTART
	v_cvt_f32_f16 v22, v0;
	;;#ASMEND
	;;#ASMSTART
	v_cvt_f32_f16 v49, v8;
	;;#ASMEND
	v_accvgpr_read_b32 v9, a5
	flat_load_dwordx2 v[28:29], v[12:13] offset:3072
	v_accvgpr_read_b32 v8, a4
	flat_load_dword v14, v[8:9]
	v_mov_b32_e32 v24, 0
	v_mov_b32_e32 v20, 0
	s_waitcnt vmcnt(0) lgkmcnt(0)
	v_cmp_ne_u16_sdwa s[4:5], v28, v1 src0_sel:BYTE_0 src1_sel:DWORD
	s_and_saveexec_b64 s[18:19], s[4:5]
	s_cbranch_execz .LBB284_741
; %bb.736:                              ;   in Loop: Header=BB284_434 Depth=1
	v_cmp_ne_u16_sdwa s[4:5], v28, s7 src0_sel:BYTE_0 src1_sel:DWORD
	v_bfrev_b32_e32 v20, 1
	s_and_saveexec_b64 s[20:21], s[4:5]
	s_cbranch_execz .LBB284_740
; %bb.737:                              ;   in Loop: Header=BB284_434 Depth=1
	v_and_b32_e32 v0, 0x7f, v28
	v_cmp_ne_u32_e64 s[4:5], s15, v0
	v_mov_b32_e32 v20, 0x7fc02000
	s_and_saveexec_b64 s[22:23], s[4:5]
	s_cbranch_execz .LBB284_739
; %bb.738:                              ;   in Loop: Header=BB284_434 Depth=1
	v_and_b32_e32 v8, 7, v28
	v_ffbh_u32_e32 v8, v8
	v_min_u32_e32 v8, 32, v8
	v_subrev_u32_e32 v9, 28, v8
	v_cmp_gt_u32_e64 s[4:5], 8, v0
	v_lshrrev_b32_e32 v15, 3, v0
	v_sub_u32_e32 v16, 29, v8
	v_cndmask_b32_e64 v0, 0, v9, s[4:5]
	v_lshlrev_b64 v[8:9], v0, v[28:29]
	v_cndmask_b32_e64 v0, v15, v16, s[4:5]
	v_lshlrev_b32_e32 v9, 8, v28
	v_lshl_add_u32 v0, v0, 10, v51
	v_lshlrev_b32_e32 v8, 7, v8
	v_and_or_b32 v0, v9, s30, v0
	v_and_or_b32 v0, v8, s31, v0
	v_cvt_f32_f16_e32 v20, v0
.LBB284_739:                            ;   in Loop: Header=BB284_434 Depth=1
	s_or_b64 exec, exec, s[22:23]
.LBB284_740:                            ;   in Loop: Header=BB284_434 Depth=1
	s_or_b64 exec, exec, s[20:21]
.LBB284_741:                            ;   in Loop: Header=BB284_434 Depth=1
	s_or_b64 exec, exec, s[18:19]
	v_lshrrev_b16_e32 v0, 8, v28
	v_cmp_ne_u16_e64 s[4:5], 0, v0
	s_and_saveexec_b64 s[18:19], s[4:5]
	s_cbranch_execz .LBB284_747
; %bb.742:                              ;   in Loop: Header=BB284_434 Depth=1
	v_cmp_ne_u16_e64 s[4:5], s7, v0
	v_bfrev_b32_e32 v24, 1
	s_and_saveexec_b64 s[20:21], s[4:5]
	s_cbranch_execz .LBB284_746
; %bb.743:                              ;   in Loop: Header=BB284_434 Depth=1
	v_and_b32_e32 v15, 0x7f, v0
	v_cmp_ne_u32_e64 s[4:5], s15, v15
	v_mov_b32_e32 v24, 0x7fc02000
	s_and_saveexec_b64 s[22:23], s[4:5]
	s_cbranch_execz .LBB284_745
; %bb.744:                              ;   in Loop: Header=BB284_434 Depth=1
	v_and_b32_e32 v16, 7, v0
	v_ffbh_u32_e32 v8, v16
	v_min_u32_e32 v21, 32, v8
	v_subrev_u32_e32 v8, 28, v21
	v_lshlrev_b64 v[8:9], v8, v[0:1]
	v_lshrrev_b32_e32 v18, 3, v15
	v_sub_u32_e32 v9, 29, v21
	v_cmp_gt_u32_e64 s[4:5], 8, v15
	v_cndmask_b32_e64 v9, v18, v9, s[4:5]
	v_and_b32_e32 v8, 7, v8
	v_lshlrev_b32_e32 v0, 8, v0
	v_lshl_add_u32 v9, v9, 10, v51
	v_cndmask_b32_e64 v8, v16, v8, s[4:5]
	v_and_or_b32 v0, v0, s30, v9
	v_lshl_or_b32 v0, v8, 7, v0
	v_cvt_f32_f16_e32 v24, v0
.LBB284_745:                            ;   in Loop: Header=BB284_434 Depth=1
	s_or_b64 exec, exec, s[22:23]
.LBB284_746:                            ;   in Loop: Header=BB284_434 Depth=1
	s_or_b64 exec, exec, s[20:21]
.LBB284_747:                            ;   in Loop: Header=BB284_434 Depth=1
	s_or_b64 exec, exec, s[18:19]
	v_lshrrev_b32_e32 v0, 16, v28
	v_cmp_ne_u16_sdwa s[4:5], v0, v1 src0_sel:BYTE_0 src1_sel:DWORD
	v_mov_b32_e32 v25, 0
	v_mov_b32_e32 v21, 0
	s_and_saveexec_b64 s[18:19], s[4:5]
	s_cbranch_execz .LBB284_753
; %bb.748:                              ;   in Loop: Header=BB284_434 Depth=1
	v_cmp_ne_u16_sdwa s[4:5], v0, s7 src0_sel:BYTE_0 src1_sel:DWORD
	v_bfrev_b32_e32 v21, 1
	s_and_saveexec_b64 s[20:21], s[4:5]
	s_cbranch_execz .LBB284_752
; %bb.749:                              ;   in Loop: Header=BB284_434 Depth=1
	v_bfe_u32 v15, v28, 16, 7
	v_cmp_ne_u32_e64 s[4:5], s15, v15
	v_mov_b32_e32 v21, 0x7fc02000
	s_and_saveexec_b64 s[22:23], s[4:5]
	s_cbranch_execz .LBB284_751
; %bb.750:                              ;   in Loop: Header=BB284_434 Depth=1
	v_and_b32_e32 v16, 7, v0
	v_ffbh_u32_e32 v8, v16
	v_min_u32_e32 v21, 32, v8
	v_subrev_u32_e32 v8, 28, v21
	v_lshlrev_b64 v[8:9], v8, v[0:1]
	v_lshrrev_b32_e32 v18, 3, v15
	v_sub_u32_e32 v9, 29, v21
	v_cmp_gt_u32_e64 s[4:5], 8, v15
	v_cndmask_b32_e64 v9, v18, v9, s[4:5]
	v_and_b32_e32 v8, 7, v8
	v_lshlrev_b32_e32 v0, 8, v0
	v_lshl_add_u32 v9, v9, 10, v51
	v_cndmask_b32_e64 v8, v16, v8, s[4:5]
	v_and_or_b32 v0, v0, s30, v9
	v_lshl_or_b32 v0, v8, 7, v0
	v_cvt_f32_f16_e32 v21, v0
.LBB284_751:                            ;   in Loop: Header=BB284_434 Depth=1
	s_or_b64 exec, exec, s[22:23]
.LBB284_752:                            ;   in Loop: Header=BB284_434 Depth=1
	s_or_b64 exec, exec, s[20:21]
.LBB284_753:                            ;   in Loop: Header=BB284_434 Depth=1
	s_or_b64 exec, exec, s[18:19]
	v_cmp_lt_u32_e64 s[4:5], s13, v28
	s_and_saveexec_b64 s[18:19], s[4:5]
	s_cbranch_execz .LBB284_759
; %bb.754:                              ;   in Loop: Header=BB284_434 Depth=1
	v_lshrrev_b32_e32 v0, 24, v28
	v_cmp_ne_u32_e64 s[4:5], s7, v0
	v_bfrev_b32_e32 v25, 1
	s_and_saveexec_b64 s[20:21], s[4:5]
	s_cbranch_execz .LBB284_758
; %bb.755:                              ;   in Loop: Header=BB284_434 Depth=1
	v_and_b32_e32 v15, 0x7f, v0
	v_cmp_ne_u32_e64 s[4:5], s15, v15
	v_mov_b32_e32 v25, 0x7fc02000
	s_and_saveexec_b64 s[22:23], s[4:5]
	s_cbranch_execz .LBB284_757
; %bb.756:                              ;   in Loop: Header=BB284_434 Depth=1
	v_and_b32_e32 v16, 7, v0
	v_ffbh_u32_e32 v8, v16
	v_min_u32_e32 v23, 32, v8
	v_subrev_u32_e32 v8, 28, v23
	v_lshlrev_b64 v[8:9], v8, v[0:1]
	v_lshrrev_b32_e32 v18, 3, v15
	v_sub_u32_e32 v9, 29, v23
	v_cmp_gt_u32_e64 s[4:5], 8, v15
	v_cndmask_b32_e64 v9, v18, v9, s[4:5]
	v_and_b32_e32 v8, 7, v8
	v_lshlrev_b32_e32 v0, 8, v0
	v_lshl_add_u32 v9, v9, 10, v51
	v_cndmask_b32_e64 v8, v16, v8, s[4:5]
	v_and_or_b32 v0, v0, s30, v9
	v_lshl_or_b32 v0, v8, 7, v0
	v_cvt_f32_f16_e32 v25, v0
.LBB284_757:                            ;   in Loop: Header=BB284_434 Depth=1
	s_or_b64 exec, exec, s[22:23]
.LBB284_758:                            ;   in Loop: Header=BB284_434 Depth=1
	s_or_b64 exec, exec, s[20:21]
.LBB284_759:                            ;   in Loop: Header=BB284_434 Depth=1
	s_or_b64 exec, exec, s[18:19]
	v_mov_b32_e32 v0, v29
	v_cmp_ne_u16_sdwa s[4:5], v29, v1 src0_sel:BYTE_0 src1_sel:DWORD
	v_mov_b32_e32 v26, 0
	v_mov_b32_e32 v15, 0
	s_and_saveexec_b64 s[18:19], s[4:5]
	s_cbranch_execz .LBB284_765
; %bb.760:                              ;   in Loop: Header=BB284_434 Depth=1
	v_cmp_ne_u16_sdwa s[4:5], v29, s7 src0_sel:BYTE_0 src1_sel:DWORD
	v_bfrev_b32_e32 v15, 1
	s_and_saveexec_b64 s[20:21], s[4:5]
	s_cbranch_execz .LBB284_764
; %bb.761:                              ;   in Loop: Header=BB284_434 Depth=1
	v_and_b32_e32 v27, 0x7f, v29
	v_cmp_ne_u32_e64 s[4:5], s15, v27
	v_mov_b32_e32 v15, 0x7fc02000
	s_and_saveexec_b64 s[22:23], s[4:5]
	s_cbranch_execz .LBB284_763
; %bb.762:                              ;   in Loop: Header=BB284_434 Depth=1
	v_and_b32_e32 v8, 7, v29
	v_ffbh_u32_e32 v8, v8
	v_min_u32_e32 v8, 32, v8
	v_subrev_u32_e32 v9, 28, v8
	v_cmp_gt_u32_e64 s[4:5], 8, v27
	v_sub_u32_e32 v16, 29, v8
	v_cndmask_b32_e64 v8, 0, v9, s[4:5]
	v_lshrrev_b32_e32 v15, 3, v27
	v_lshlrev_b64 v[8:9], v8, v[0:1]
	v_cndmask_b32_e64 v9, v15, v16, s[4:5]
	v_lshlrev_b32_e32 v15, 8, v29
	v_lshl_add_u32 v9, v9, 10, v51
	v_lshlrev_b32_e32 v8, 7, v8
	v_and_or_b32 v9, v15, s30, v9
	v_and_or_b32 v8, v8, s31, v9
	v_cvt_f32_f16_e32 v15, v8
.LBB284_763:                            ;   in Loop: Header=BB284_434 Depth=1
	s_or_b64 exec, exec, s[22:23]
.LBB284_764:                            ;   in Loop: Header=BB284_434 Depth=1
	s_or_b64 exec, exec, s[20:21]
.LBB284_765:                            ;   in Loop: Header=BB284_434 Depth=1
	s_or_b64 exec, exec, s[18:19]
	v_lshrrev_b16_e32 v0, 8, v0
	v_cmp_ne_u16_e64 s[4:5], 0, v0
	s_and_saveexec_b64 s[18:19], s[4:5]
	s_cbranch_execz .LBB284_771
; %bb.766:                              ;   in Loop: Header=BB284_434 Depth=1
	v_cmp_ne_u16_e64 s[4:5], s7, v0
	v_bfrev_b32_e32 v26, 1
	s_and_saveexec_b64 s[20:21], s[4:5]
	s_cbranch_execz .LBB284_770
; %bb.767:                              ;   in Loop: Header=BB284_434 Depth=1
	v_and_b32_e32 v27, 0x7f, v0
	v_cmp_ne_u32_e64 s[4:5], s15, v27
	v_mov_b32_e32 v26, 0x7fc02000
	s_and_saveexec_b64 s[22:23], s[4:5]
	s_cbranch_execz .LBB284_769
; %bb.768:                              ;   in Loop: Header=BB284_434 Depth=1
	v_and_b32_e32 v16, 7, v0
	v_ffbh_u32_e32 v8, v16
	v_min_u32_e32 v23, 32, v8
	v_subrev_u32_e32 v8, 28, v23
	v_lshlrev_b64 v[8:9], v8, v[0:1]
	v_lshrrev_b32_e32 v18, 3, v27
	v_sub_u32_e32 v9, 29, v23
	v_cmp_gt_u32_e64 s[4:5], 8, v27
	v_cndmask_b32_e64 v9, v18, v9, s[4:5]
	v_and_b32_e32 v8, 7, v8
	v_lshlrev_b32_e32 v0, 8, v0
	v_lshl_add_u32 v9, v9, 10, v51
	v_cndmask_b32_e64 v8, v16, v8, s[4:5]
	v_and_or_b32 v0, v0, s30, v9
	v_lshl_or_b32 v0, v8, 7, v0
	v_cvt_f32_f16_e32 v26, v0
.LBB284_769:                            ;   in Loop: Header=BB284_434 Depth=1
	s_or_b64 exec, exec, s[22:23]
.LBB284_770:                            ;   in Loop: Header=BB284_434 Depth=1
	s_or_b64 exec, exec, s[20:21]
.LBB284_771:                            ;   in Loop: Header=BB284_434 Depth=1
	s_or_b64 exec, exec, s[18:19]
	v_lshrrev_b32_e32 v0, 16, v29
	v_cmp_ne_u16_sdwa s[4:5], v0, v1 src0_sel:BYTE_0 src1_sel:DWORD
	v_mov_b32_e32 v27, 0
	v_mov_b32_e32 v31, 0
	s_and_saveexec_b64 s[18:19], s[4:5]
	s_cbranch_execz .LBB284_777
; %bb.772:                              ;   in Loop: Header=BB284_434 Depth=1
	v_cmp_ne_u16_sdwa s[4:5], v0, s7 src0_sel:BYTE_0 src1_sel:DWORD
	v_bfrev_b32_e32 v31, 1
	s_and_saveexec_b64 s[20:21], s[4:5]
	s_cbranch_execz .LBB284_776
; %bb.773:                              ;   in Loop: Header=BB284_434 Depth=1
	v_bfe_u32 v50, v29, 16, 7
	v_cmp_ne_u32_e64 s[4:5], s15, v50
	v_mov_b32_e32 v31, 0x7fc02000
	s_and_saveexec_b64 s[22:23], s[4:5]
	s_cbranch_execz .LBB284_775
; %bb.774:                              ;   in Loop: Header=BB284_434 Depth=1
	v_and_b32_e32 v16, 7, v0
	v_ffbh_u32_e32 v8, v16
	v_min_u32_e32 v23, 32, v8
	v_subrev_u32_e32 v8, 28, v23
	v_lshlrev_b64 v[8:9], v8, v[0:1]
	v_lshrrev_b32_e32 v18, 3, v50
	v_sub_u32_e32 v9, 29, v23
	v_cmp_gt_u32_e64 s[4:5], 8, v50
	v_cndmask_b32_e64 v9, v18, v9, s[4:5]
	v_and_b32_e32 v8, 7, v8
	v_lshlrev_b32_e32 v0, 8, v0
	v_lshl_add_u32 v9, v9, 10, v51
	v_cndmask_b32_e64 v8, v16, v8, s[4:5]
	v_and_or_b32 v0, v0, s30, v9
	v_lshl_or_b32 v0, v8, 7, v0
	v_cvt_f32_f16_e32 v31, v0
.LBB284_775:                            ;   in Loop: Header=BB284_434 Depth=1
	s_or_b64 exec, exec, s[22:23]
.LBB284_776:                            ;   in Loop: Header=BB284_434 Depth=1
	s_or_b64 exec, exec, s[20:21]
.LBB284_777:                            ;   in Loop: Header=BB284_434 Depth=1
	s_or_b64 exec, exec, s[18:19]
	v_cmp_lt_u64_e64 s[4:5], s[12:13], v[28:29]
	s_and_saveexec_b64 s[18:19], s[4:5]
	s_cbranch_execz .LBB284_783
; %bb.778:                              ;   in Loop: Header=BB284_434 Depth=1
	v_lshrrev_b32_e32 v0, 24, v29
	v_cmp_ne_u32_e64 s[4:5], s7, v0
	v_bfrev_b32_e32 v27, 1
	s_and_saveexec_b64 s[20:21], s[4:5]
	s_cbranch_execz .LBB284_782
; %bb.779:                              ;   in Loop: Header=BB284_434 Depth=1
	v_and_b32_e32 v28, 0x7f, v0
	v_cmp_ne_u32_e64 s[4:5], s15, v28
	v_mov_b32_e32 v27, 0x7fc02000
	s_and_saveexec_b64 s[22:23], s[4:5]
	s_cbranch_execz .LBB284_781
; %bb.780:                              ;   in Loop: Header=BB284_434 Depth=1
	v_and_b32_e32 v16, 7, v0
	v_ffbh_u32_e32 v8, v16
	v_min_u32_e32 v23, 32, v8
	v_subrev_u32_e32 v8, 28, v23
	v_lshlrev_b64 v[8:9], v8, v[0:1]
	v_lshrrev_b32_e32 v18, 3, v28
	v_sub_u32_e32 v9, 29, v23
	v_cmp_gt_u32_e64 s[4:5], 8, v28
	v_cndmask_b32_e64 v9, v18, v9, s[4:5]
	v_and_b32_e32 v8, 7, v8
	v_lshlrev_b32_e32 v0, 8, v0
	v_lshl_add_u32 v9, v9, 10, v51
	v_cndmask_b32_e64 v8, v16, v8, s[4:5]
	v_and_or_b32 v0, v0, s30, v9
	v_lshl_or_b32 v0, v8, 7, v0
	v_cvt_f32_f16_e32 v27, v0
.LBB284_781:                            ;   in Loop: Header=BB284_434 Depth=1
	s_or_b64 exec, exec, s[22:23]
.LBB284_782:                            ;   in Loop: Header=BB284_434 Depth=1
	s_or_b64 exec, exec, s[20:21]
.LBB284_783:                            ;   in Loop: Header=BB284_434 Depth=1
	s_or_b64 exec, exec, s[18:19]
	v_pk_mul_f32 v[8:9], v[14:15], v[24:25] op_sel_hi:[0,1]
	v_pk_mul_f32 v[20:21], v[14:15], v[20:21] op_sel_hi:[0,1]
	v_cvt_f16_f32_e32 v0, v9
	v_cvt_f16_f32_e32 v8, v8
	;; [unrolled: 1-line block ×4, first 2 shown]
	v_fma_mixlo_f16 v21, v14, v31, 0
	v_pack_b32_f16 v8, v8, v0
	v_pack_b32_f16 v9, v16, v9
	v_perm_b32 v0, v9, v8, s34
	v_perm_b32 v20, v9, v8, s35
	v_fma_mixlo_f16 v8, v14, v26, 0
	v_lshlrev_b32_e32 v8, 16, v8
	v_fma_mixlo_f16 v9, v14, v15, 0
	v_or_b32_sdwa v15, v8, v9 dst_sel:DWORD dst_unused:UNUSED_PAD src0_sel:DWORD src1_sel:WORD_0
	v_fma_mixlo_f16 v8, v14, v27, 0
	v_lshlrev_b32_e32 v8, 16, v8
	v_or_b32_sdwa v14, v8, v21 dst_sel:DWORD dst_unused:UNUSED_PAD src0_sel:DWORD src1_sel:WORD_0
	s_and_saveexec_b64 s[18:19], vcc
	s_cbranch_execz .LBB284_785
; %bb.784:                              ;   in Loop: Header=BB284_434 Depth=1
	v_lshrrev_b32_e32 v8, 16, v20
	v_cmp_lt_i32_e64 s[4:5], v56, v3
	v_accvgpr_read_b32 v16, a8
	v_cndmask_b32_e64 v8, 0, v8, s[4:5]
	v_cmp_lt_i32_e64 s[4:5], v43, v16
	v_cndmask_b32_e64 v9, 0, v20, s[4:5]
	v_perm_b32 v20, v8, v9, s36
	v_lshrrev_b32_e32 v8, 16, v0
	v_cmp_lt_i32_e64 s[4:5], v47, v3
	v_cndmask_b32_e64 v8, 0, v8, s[4:5]
	v_cmp_lt_i32_e64 s[4:5], v46, v16
	v_cndmask_b32_e64 v0, 0, v0, s[4:5]
	v_perm_b32 v0, v8, v0, s36
	v_lshrrev_b32_e32 v8, 16, v15
	v_cmp_lt_i32_e64 s[4:5], v45, v3
	;; [unrolled: 6-line block ×3, first 2 shown]
	v_cndmask_b32_e64 v8, 0, v8, s[4:5]
	v_cmp_lt_i32_e64 s[4:5], v54, v16
	v_cndmask_b32_e64 v9, 0, v21, s[4:5]
	v_perm_b32 v14, v8, v9, s36
.LBB284_785:                            ;   in Loop: Header=BB284_434 Depth=1
	s_or_b64 exec, exec, s[18:19]
	;;#ASMSTART
	v_pk_mul_f16 v8, v60, v20;

	;;#ASMEND
	;;#ASMSTART
	v_pk_mul_f16 v0, v59, v0;

	;;#ASMEND
	;; [unrolled: 4-line block ×4, first 2 shown]
	;;#ASMSTART
	v_pk_add_f16 v0, v8, v0;

	;;#ASMEND
	;;#ASMSTART
	v_pk_add_f16 v0, v0, v9;

	;;#ASMEND
	;; [unrolled: 4-line block ×3, first 2 shown]
	v_lshrrev_b32_e32 v8, 16, v0
	v_and_b32_e32 v0, 0xffff, v0
	;;#ASMSTART
	v_cvt_f32_f16 v26, v0;
	;;#ASMEND
	;;#ASMSTART
	v_cvt_f32_f16 v27, v8;
	;;#ASMEND
	v_accvgpr_read_b32 v9, a5
	flat_load_dwordx2 v[24:25], v[12:13] offset:3584
	v_accvgpr_read_b32 v8, a4
	flat_load_dword v12, v[8:9]
	v_mov_b32_e32 v20, 0
	v_mov_b32_e32 v14, 0
	s_waitcnt vmcnt(0) lgkmcnt(0)
	v_cmp_ne_u16_sdwa s[4:5], v24, v1 src0_sel:BYTE_0 src1_sel:DWORD
	s_and_saveexec_b64 s[18:19], s[4:5]
	s_cbranch_execz .LBB284_791
; %bb.786:                              ;   in Loop: Header=BB284_434 Depth=1
	v_cmp_ne_u16_sdwa s[4:5], v24, s7 src0_sel:BYTE_0 src1_sel:DWORD
	v_bfrev_b32_e32 v14, 1
	s_and_saveexec_b64 s[20:21], s[4:5]
	s_cbranch_execz .LBB284_790
; %bb.787:                              ;   in Loop: Header=BB284_434 Depth=1
	v_and_b32_e32 v0, 0x7f, v24
	v_cmp_ne_u32_e64 s[4:5], s15, v0
	v_mov_b32_e32 v14, 0x7fc02000
	s_and_saveexec_b64 s[22:23], s[4:5]
	s_cbranch_execz .LBB284_789
; %bb.788:                              ;   in Loop: Header=BB284_434 Depth=1
	v_and_b32_e32 v8, 7, v24
	v_ffbh_u32_e32 v8, v8
	v_min_u32_e32 v8, 32, v8
	v_subrev_u32_e32 v9, 28, v8
	v_cmp_gt_u32_e64 s[4:5], 8, v0
	v_lshrrev_b32_e32 v13, 3, v0
	v_sub_u32_e32 v14, 29, v8
	v_cndmask_b32_e64 v0, 0, v9, s[4:5]
	v_lshlrev_b64 v[8:9], v0, v[24:25]
	v_cndmask_b32_e64 v0, v13, v14, s[4:5]
	v_lshlrev_b32_e32 v9, 8, v24
	v_lshl_add_u32 v0, v0, 10, v51
	v_lshlrev_b32_e32 v8, 7, v8
	v_and_or_b32 v0, v9, s30, v0
	v_and_or_b32 v0, v8, s31, v0
	v_cvt_f32_f16_e32 v14, v0
.LBB284_789:                            ;   in Loop: Header=BB284_434 Depth=1
	s_or_b64 exec, exec, s[22:23]
.LBB284_790:                            ;   in Loop: Header=BB284_434 Depth=1
	s_or_b64 exec, exec, s[20:21]
.LBB284_791:                            ;   in Loop: Header=BB284_434 Depth=1
	s_or_b64 exec, exec, s[18:19]
	v_lshrrev_b16_e32 v0, 8, v24
	v_cmp_ne_u16_e64 s[4:5], 0, v0
	s_and_saveexec_b64 s[18:19], s[4:5]
	s_cbranch_execz .LBB284_797
; %bb.792:                              ;   in Loop: Header=BB284_434 Depth=1
	v_cmp_ne_u16_e64 s[4:5], s7, v0
	v_bfrev_b32_e32 v20, 1
	s_and_saveexec_b64 s[20:21], s[4:5]
	s_cbranch_execz .LBB284_796
; %bb.793:                              ;   in Loop: Header=BB284_434 Depth=1
	v_and_b32_e32 v13, 0x7f, v0
	v_cmp_ne_u32_e64 s[4:5], s15, v13
	v_mov_b32_e32 v20, 0x7fc02000
	s_and_saveexec_b64 s[22:23], s[4:5]
	s_cbranch_execz .LBB284_795
; %bb.794:                              ;   in Loop: Header=BB284_434 Depth=1
	v_and_b32_e32 v15, 7, v0
	v_ffbh_u32_e32 v8, v15
	v_min_u32_e32 v18, 32, v8
	v_subrev_u32_e32 v8, 28, v18
	v_lshlrev_b64 v[8:9], v8, v[0:1]
	v_lshrrev_b32_e32 v16, 3, v13
	v_sub_u32_e32 v9, 29, v18
	v_cmp_gt_u32_e64 s[4:5], 8, v13
	v_cndmask_b32_e64 v9, v16, v9, s[4:5]
	v_and_b32_e32 v8, 7, v8
	v_lshlrev_b32_e32 v0, 8, v0
	v_lshl_add_u32 v9, v9, 10, v51
	v_cndmask_b32_e64 v8, v15, v8, s[4:5]
	v_and_or_b32 v0, v0, s30, v9
	v_lshl_or_b32 v0, v8, 7, v0
	v_cvt_f32_f16_e32 v20, v0
.LBB284_795:                            ;   in Loop: Header=BB284_434 Depth=1
	s_or_b64 exec, exec, s[22:23]
.LBB284_796:                            ;   in Loop: Header=BB284_434 Depth=1
	s_or_b64 exec, exec, s[20:21]
.LBB284_797:                            ;   in Loop: Header=BB284_434 Depth=1
	s_or_b64 exec, exec, s[18:19]
	v_lshrrev_b32_e32 v0, 16, v24
	v_cmp_ne_u16_sdwa s[4:5], v0, v1 src0_sel:BYTE_0 src1_sel:DWORD
	v_mov_b32_e32 v21, 0
	v_mov_b32_e32 v15, 0
	s_and_saveexec_b64 s[18:19], s[4:5]
	s_cbranch_execz .LBB284_803
; %bb.798:                              ;   in Loop: Header=BB284_434 Depth=1
	v_cmp_ne_u16_sdwa s[4:5], v0, s7 src0_sel:BYTE_0 src1_sel:DWORD
	v_bfrev_b32_e32 v15, 1
	s_and_saveexec_b64 s[20:21], s[4:5]
	s_cbranch_execz .LBB284_802
; %bb.799:                              ;   in Loop: Header=BB284_434 Depth=1
	v_bfe_u32 v13, v24, 16, 7
	v_cmp_ne_u32_e64 s[4:5], s15, v13
	v_mov_b32_e32 v15, 0x7fc02000
	s_and_saveexec_b64 s[22:23], s[4:5]
	s_cbranch_execz .LBB284_801
; %bb.800:                              ;   in Loop: Header=BB284_434 Depth=1
	v_and_b32_e32 v15, 7, v0
	v_ffbh_u32_e32 v8, v15
	v_min_u32_e32 v18, 32, v8
	v_subrev_u32_e32 v8, 28, v18
	v_lshlrev_b64 v[8:9], v8, v[0:1]
	v_lshrrev_b32_e32 v16, 3, v13
	v_sub_u32_e32 v9, 29, v18
	v_cmp_gt_u32_e64 s[4:5], 8, v13
	v_cndmask_b32_e64 v9, v16, v9, s[4:5]
	v_and_b32_e32 v8, 7, v8
	v_lshlrev_b32_e32 v0, 8, v0
	v_lshl_add_u32 v9, v9, 10, v51
	v_cndmask_b32_e64 v8, v15, v8, s[4:5]
	v_and_or_b32 v0, v0, s30, v9
	v_lshl_or_b32 v0, v8, 7, v0
	v_cvt_f32_f16_e32 v15, v0
.LBB284_801:                            ;   in Loop: Header=BB284_434 Depth=1
	s_or_b64 exec, exec, s[22:23]
.LBB284_802:                            ;   in Loop: Header=BB284_434 Depth=1
	s_or_b64 exec, exec, s[20:21]
.LBB284_803:                            ;   in Loop: Header=BB284_434 Depth=1
	s_or_b64 exec, exec, s[18:19]
	v_cmp_lt_u32_e64 s[4:5], s13, v24
	s_and_saveexec_b64 s[18:19], s[4:5]
	s_cbranch_execz .LBB284_809
; %bb.804:                              ;   in Loop: Header=BB284_434 Depth=1
	v_lshrrev_b32_e32 v0, 24, v24
	v_cmp_ne_u32_e64 s[4:5], s7, v0
	v_bfrev_b32_e32 v21, 1
	s_and_saveexec_b64 s[20:21], s[4:5]
	s_cbranch_execz .LBB284_808
; %bb.805:                              ;   in Loop: Header=BB284_434 Depth=1
	v_and_b32_e32 v13, 0x7f, v0
	v_cmp_ne_u32_e64 s[4:5], s15, v13
	v_mov_b32_e32 v21, 0x7fc02000
	s_and_saveexec_b64 s[22:23], s[4:5]
	s_cbranch_execz .LBB284_807
; %bb.806:                              ;   in Loop: Header=BB284_434 Depth=1
	v_and_b32_e32 v16, 7, v0
	v_ffbh_u32_e32 v8, v16
	v_min_u32_e32 v21, 32, v8
	v_subrev_u32_e32 v8, 28, v21
	v_lshlrev_b64 v[8:9], v8, v[0:1]
	v_lshrrev_b32_e32 v18, 3, v13
	v_sub_u32_e32 v9, 29, v21
	v_cmp_gt_u32_e64 s[4:5], 8, v13
	v_cndmask_b32_e64 v9, v18, v9, s[4:5]
	v_and_b32_e32 v8, 7, v8
	v_lshlrev_b32_e32 v0, 8, v0
	v_lshl_add_u32 v9, v9, 10, v51
	v_cndmask_b32_e64 v8, v16, v8, s[4:5]
	v_and_or_b32 v0, v0, s30, v9
	v_lshl_or_b32 v0, v8, 7, v0
	v_cvt_f32_f16_e32 v21, v0
.LBB284_807:                            ;   in Loop: Header=BB284_434 Depth=1
	s_or_b64 exec, exec, s[22:23]
.LBB284_808:                            ;   in Loop: Header=BB284_434 Depth=1
	s_or_b64 exec, exec, s[20:21]
.LBB284_809:                            ;   in Loop: Header=BB284_434 Depth=1
	s_or_b64 exec, exec, s[18:19]
	v_mov_b32_e32 v0, v25
	v_cmp_ne_u16_sdwa s[4:5], v25, v1 src0_sel:BYTE_0 src1_sel:DWORD
	v_mov_b32_e32 v28, 0
	v_mov_b32_e32 v13, 0
	s_and_saveexec_b64 s[18:19], s[4:5]
	s_cbranch_execz .LBB284_815
; %bb.810:                              ;   in Loop: Header=BB284_434 Depth=1
	v_cmp_ne_u16_sdwa s[4:5], v25, s7 src0_sel:BYTE_0 src1_sel:DWORD
	v_bfrev_b32_e32 v13, 1
	s_and_saveexec_b64 s[20:21], s[4:5]
	s_cbranch_execz .LBB284_814
; %bb.811:                              ;   in Loop: Header=BB284_434 Depth=1
	v_and_b32_e32 v29, 0x7f, v25
	v_cmp_ne_u32_e64 s[4:5], s15, v29
	v_mov_b32_e32 v13, 0x7fc02000
	s_and_saveexec_b64 s[22:23], s[4:5]
	s_cbranch_execz .LBB284_813
; %bb.812:                              ;   in Loop: Header=BB284_434 Depth=1
	v_and_b32_e32 v8, 7, v25
	v_ffbh_u32_e32 v8, v8
	v_min_u32_e32 v8, 32, v8
	v_subrev_u32_e32 v9, 28, v8
	v_cmp_gt_u32_e64 s[4:5], 8, v29
	v_sub_u32_e32 v16, 29, v8
	v_cndmask_b32_e64 v8, 0, v9, s[4:5]
	v_lshrrev_b32_e32 v13, 3, v29
	v_lshlrev_b64 v[8:9], v8, v[0:1]
	v_cndmask_b32_e64 v9, v13, v16, s[4:5]
	v_lshlrev_b32_e32 v13, 8, v25
	v_lshl_add_u32 v9, v9, 10, v51
	v_lshlrev_b32_e32 v8, 7, v8
	v_and_or_b32 v9, v13, s30, v9
	v_and_or_b32 v8, v8, s31, v9
	v_cvt_f32_f16_e32 v13, v8
.LBB284_813:                            ;   in Loop: Header=BB284_434 Depth=1
	s_or_b64 exec, exec, s[22:23]
.LBB284_814:                            ;   in Loop: Header=BB284_434 Depth=1
	s_or_b64 exec, exec, s[20:21]
.LBB284_815:                            ;   in Loop: Header=BB284_434 Depth=1
	s_or_b64 exec, exec, s[18:19]
	v_lshrrev_b16_e32 v0, 8, v0
	v_cmp_ne_u16_e64 s[4:5], 0, v0
	s_and_saveexec_b64 s[18:19], s[4:5]
	s_cbranch_execz .LBB284_821
; %bb.816:                              ;   in Loop: Header=BB284_434 Depth=1
	v_cmp_ne_u16_e64 s[4:5], s7, v0
	v_bfrev_b32_e32 v28, 1
	s_and_saveexec_b64 s[20:21], s[4:5]
	s_cbranch_execz .LBB284_820
; %bb.817:                              ;   in Loop: Header=BB284_434 Depth=1
	v_and_b32_e32 v29, 0x7f, v0
	v_cmp_ne_u32_e64 s[4:5], s15, v29
	v_mov_b32_e32 v28, 0x7fc02000
	s_and_saveexec_b64 s[22:23], s[4:5]
	s_cbranch_execz .LBB284_819
; %bb.818:                              ;   in Loop: Header=BB284_434 Depth=1
	v_and_b32_e32 v16, 7, v0
	v_ffbh_u32_e32 v8, v16
	v_min_u32_e32 v23, 32, v8
	v_subrev_u32_e32 v8, 28, v23
	v_lshlrev_b64 v[8:9], v8, v[0:1]
	v_lshrrev_b32_e32 v18, 3, v29
	v_sub_u32_e32 v9, 29, v23
	v_cmp_gt_u32_e64 s[4:5], 8, v29
	v_cndmask_b32_e64 v9, v18, v9, s[4:5]
	v_and_b32_e32 v8, 7, v8
	v_lshlrev_b32_e32 v0, 8, v0
	v_lshl_add_u32 v9, v9, 10, v51
	v_cndmask_b32_e64 v8, v16, v8, s[4:5]
	v_and_or_b32 v0, v0, s30, v9
	v_lshl_or_b32 v0, v8, 7, v0
	v_cvt_f32_f16_e32 v28, v0
.LBB284_819:                            ;   in Loop: Header=BB284_434 Depth=1
	s_or_b64 exec, exec, s[22:23]
.LBB284_820:                            ;   in Loop: Header=BB284_434 Depth=1
	s_or_b64 exec, exec, s[20:21]
.LBB284_821:                            ;   in Loop: Header=BB284_434 Depth=1
	s_or_b64 exec, exec, s[18:19]
	v_lshrrev_b32_e32 v0, 16, v25
	v_cmp_ne_u16_sdwa s[4:5], v0, v1 src0_sel:BYTE_0 src1_sel:DWORD
	v_mov_b32_e32 v29, 0
	v_mov_b32_e32 v31, 0
	s_and_saveexec_b64 s[18:19], s[4:5]
	s_cbranch_execz .LBB284_827
; %bb.822:                              ;   in Loop: Header=BB284_434 Depth=1
	v_cmp_ne_u16_sdwa s[4:5], v0, s7 src0_sel:BYTE_0 src1_sel:DWORD
	v_bfrev_b32_e32 v31, 1
	s_and_saveexec_b64 s[20:21], s[4:5]
	s_cbranch_execz .LBB284_826
; %bb.823:                              ;   in Loop: Header=BB284_434 Depth=1
	v_bfe_u32 v50, v25, 16, 7
	v_cmp_ne_u32_e64 s[4:5], s15, v50
	v_mov_b32_e32 v31, 0x7fc02000
	s_and_saveexec_b64 s[22:23], s[4:5]
	s_cbranch_execz .LBB284_825
; %bb.824:                              ;   in Loop: Header=BB284_434 Depth=1
	v_and_b32_e32 v16, 7, v0
	v_ffbh_u32_e32 v8, v16
	v_min_u32_e32 v23, 32, v8
	v_subrev_u32_e32 v8, 28, v23
	v_lshlrev_b64 v[8:9], v8, v[0:1]
	v_lshrrev_b32_e32 v18, 3, v50
	v_sub_u32_e32 v9, 29, v23
	v_cmp_gt_u32_e64 s[4:5], 8, v50
	v_cndmask_b32_e64 v9, v18, v9, s[4:5]
	v_and_b32_e32 v8, 7, v8
	v_lshlrev_b32_e32 v0, 8, v0
	v_lshl_add_u32 v9, v9, 10, v51
	v_cndmask_b32_e64 v8, v16, v8, s[4:5]
	v_and_or_b32 v0, v0, s30, v9
	v_lshl_or_b32 v0, v8, 7, v0
	v_cvt_f32_f16_e32 v31, v0
.LBB284_825:                            ;   in Loop: Header=BB284_434 Depth=1
	s_or_b64 exec, exec, s[22:23]
.LBB284_826:                            ;   in Loop: Header=BB284_434 Depth=1
	s_or_b64 exec, exec, s[20:21]
.LBB284_827:                            ;   in Loop: Header=BB284_434 Depth=1
	s_or_b64 exec, exec, s[18:19]
	v_cmp_lt_u64_e64 s[4:5], s[12:13], v[24:25]
	s_and_saveexec_b64 s[18:19], s[4:5]
	s_cbranch_execz .LBB284_833
; %bb.828:                              ;   in Loop: Header=BB284_434 Depth=1
	v_lshrrev_b32_e32 v0, 24, v25
	v_cmp_ne_u32_e64 s[4:5], s7, v0
	v_bfrev_b32_e32 v29, 1
	s_and_saveexec_b64 s[20:21], s[4:5]
	s_cbranch_execz .LBB284_832
; %bb.829:                              ;   in Loop: Header=BB284_434 Depth=1
	v_and_b32_e32 v24, 0x7f, v0
	v_cmp_ne_u32_e64 s[4:5], s15, v24
	v_mov_b32_e32 v29, 0x7fc02000
	s_and_saveexec_b64 s[22:23], s[4:5]
	s_cbranch_execz .LBB284_831
; %bb.830:                              ;   in Loop: Header=BB284_434 Depth=1
	v_and_b32_e32 v16, 7, v0
	v_ffbh_u32_e32 v8, v16
	v_min_u32_e32 v23, 32, v8
	v_subrev_u32_e32 v8, 28, v23
	v_lshlrev_b64 v[8:9], v8, v[0:1]
	v_lshrrev_b32_e32 v18, 3, v24
	v_sub_u32_e32 v9, 29, v23
	v_cmp_gt_u32_e64 s[4:5], 8, v24
	v_cndmask_b32_e64 v9, v18, v9, s[4:5]
	v_and_b32_e32 v8, 7, v8
	v_lshlrev_b32_e32 v0, 8, v0
	v_lshl_add_u32 v9, v9, 10, v51
	v_cndmask_b32_e64 v8, v16, v8, s[4:5]
	v_and_or_b32 v0, v0, s30, v9
	v_lshl_or_b32 v0, v8, 7, v0
	v_cvt_f32_f16_e32 v29, v0
.LBB284_831:                            ;   in Loop: Header=BB284_434 Depth=1
	s_or_b64 exec, exec, s[22:23]
.LBB284_832:                            ;   in Loop: Header=BB284_434 Depth=1
	s_or_b64 exec, exec, s[20:21]
.LBB284_833:                            ;   in Loop: Header=BB284_434 Depth=1
	s_or_b64 exec, exec, s[18:19]
	v_pk_mul_f32 v[8:9], v[12:13], v[20:21] op_sel_hi:[0,1]
	v_pk_mul_f32 v[14:15], v[12:13], v[14:15] op_sel_hi:[0,1]
	v_cvt_f16_f32_e32 v0, v9
	v_cvt_f16_f32_e32 v8, v8
	;; [unrolled: 1-line block ×4, first 2 shown]
	v_fma_mixlo_f16 v15, v12, v31, 0
	v_pack_b32_f16 v8, v8, v0
	v_pack_b32_f16 v9, v14, v9
	v_perm_b32 v0, v9, v8, s34
	v_perm_b32 v14, v9, v8, s35
	v_fma_mixlo_f16 v8, v12, v28, 0
	v_lshlrev_b32_e32 v8, 16, v8
	v_fma_mixlo_f16 v9, v12, v13, 0
	v_or_b32_sdwa v13, v8, v9 dst_sel:DWORD dst_unused:UNUSED_PAD src0_sel:DWORD src1_sel:WORD_0
	v_fma_mixlo_f16 v8, v12, v29, 0
	v_lshlrev_b32_e32 v8, 16, v8
	v_or_b32_sdwa v12, v8, v15 dst_sel:DWORD dst_unused:UNUSED_PAD src0_sel:DWORD src1_sel:WORD_0
	s_and_saveexec_b64 s[4:5], vcc
	s_cbranch_execz .LBB284_432
; %bb.834:                              ;   in Loop: Header=BB284_434 Depth=1
	v_lshrrev_b32_e32 v8, 16, v14
	v_cmp_lt_i32_e32 vcc, v56, v3
	v_accvgpr_read_b32 v16, a8
	v_cndmask_b32_e32 v8, 0, v8, vcc
	v_cmp_lt_i32_e32 vcc, v43, v16
	v_cndmask_b32_e32 v9, 0, v14, vcc
	v_perm_b32 v14, v8, v9, s36
	v_lshrrev_b32_e32 v8, 16, v0
	v_cmp_lt_i32_e32 vcc, v47, v3
	v_cndmask_b32_e32 v8, 0, v8, vcc
	v_cmp_lt_i32_e32 vcc, v46, v16
	v_cndmask_b32_e32 v0, 0, v0, vcc
	v_perm_b32 v0, v8, v0, s36
	v_lshrrev_b32_e32 v8, 16, v13
	v_cmp_lt_i32_e32 vcc, v45, v3
	;; [unrolled: 6-line block ×3, first 2 shown]
	v_cndmask_b32_e32 v8, 0, v8, vcc
	v_cmp_lt_i32_e32 vcc, v54, v16
	v_cndmask_b32_e32 v9, 0, v15, vcc
	v_perm_b32 v12, v8, v9, s36
	s_branch .LBB284_432
.LBB284_835:
	s_or_b64 exec, exec, s[28:29]
	v_accvgpr_read_b32 v23, a16
	v_accvgpr_read_b32 v13, a17
.LBB284_836:
	s_or_b64 exec, exec, s[10:11]
	ds_bpermute_b32 v2, v40, v34
	ds_bpermute_b32 v3, v40, v35
	;; [unrolled: 1-line block ×8, first 2 shown]
	s_waitcnt lgkmcnt(0)
	v_pk_add_f32 v[6:7], v[34:35], v[2:3]
	v_pk_add_f32 v[2:3], v[36:37], v[4:5]
	v_accvgpr_read_b32 v4, a2
	v_and_b32_e32 v4, 0x3c1, v4
	v_pk_add_f32 v[8:9], v[32:33], v[0:1]
	v_pk_add_f32 v[0:1], v[38:39], v[10:11]
	v_cmp_eq_u32_e32 vcc, 64, v4
	s_barrier
	s_and_saveexec_b64 s[4:5], vcc
	s_cbranch_execz .LBB284_838
; %bb.837:
	s_load_dword s7, s[8:9], 0x0
	s_waitcnt lgkmcnt(0)
	v_lshl_add_u32 v5, v23, 1, s7
	ds_write2_b32 v5, v8, v9 offset1:32
	ds_write2_b32 v5, v6, v7 offset0:64 offset1:96
	ds_write2_b32 v5, v2, v3 offset0:128 offset1:160
	;; [unrolled: 1-line block ×3, first 2 shown]
.LBB284_838:
	s_or_b64 exec, exec, s[4:5]
	v_accvgpr_read_b32 v5, a2
	s_waitcnt lgkmcnt(0)
	s_barrier
	v_cmp_gt_u32_e32 vcc, 64, v5
	s_mov_b64 s[4:5], exec
	s_and_b64 s[10:11], s[4:5], vcc
	v_accvgpr_read_b32 v11, a0
	v_accvgpr_read_b32 v12, a1
	s_mov_b64 exec, s[10:11]
	s_cbranch_execz .LBB284_849
; %bb.839:
	v_accvgpr_read_b32 v5, a2
	v_cmp_eq_u32_e32 vcc, 0, v13
	v_lshrrev_b32_e32 v5, 1, v5
	s_and_saveexec_b64 s[10:11], vcc
	s_cbranch_execnz .LBB284_852
; %bb.840:
	s_or_b64 exec, exec, s[10:11]
	s_and_saveexec_b64 s[10:11], vcc
	s_cbranch_execnz .LBB284_853
.LBB284_841:
	s_or_b64 exec, exec, s[10:11]
	s_and_saveexec_b64 s[10:11], vcc
	s_cbranch_execnz .LBB284_854
.LBB284_842:
	s_or_b64 exec, exec, s[10:11]
	s_and_saveexec_b64 s[10:11], vcc
	s_cbranch_execnz .LBB284_855
.LBB284_843:
	s_or_b64 exec, exec, s[10:11]
	s_and_saveexec_b64 s[10:11], vcc
	s_cbranch_execnz .LBB284_856
.LBB284_844:
	s_or_b64 exec, exec, s[10:11]
	s_and_saveexec_b64 s[10:11], vcc
	s_cbranch_execnz .LBB284_857
.LBB284_845:
	s_or_b64 exec, exec, s[10:11]
	s_and_saveexec_b64 s[10:11], vcc
	s_cbranch_execnz .LBB284_858
.LBB284_846:
	s_or_b64 exec, exec, s[10:11]
	s_and_saveexec_b64 s[10:11], vcc
	s_cbranch_execz .LBB284_848
.LBB284_847:
	s_load_dword s7, s[8:9], 0x0
	s_waitcnt lgkmcnt(0)
	v_lshl_add_u32 v5, v5, 2, s7
	ds_read_b32 v5, v5 offset:896
	s_waitcnt lgkmcnt(0)
	v_add_f32_e32 v1, v1, v5
.LBB284_848:
	s_or_b64 exec, exec, s[10:11]
.LBB284_849:
	s_or_b64 exec, exec, s[4:5]
	v_cmp_eq_u32_e32 vcc, 0, v4
	s_barrier
	s_and_b64 exec, exec, vcc
	s_cbranch_execz .LBB284_851
; %bb.850:
	s_lshl_b32 s4, s6, 8
	s_mul_i32 s6, s26, s27
	s_lshl_b32 s8, s14, 8
	s_ashr_i32 s5, s4, 31
	s_ashr_i32 s7, s6, 31
	;; [unrolled: 1-line block ×3, first 2 shown]
	s_lshl_b64 s[4:5], s[4:5], 1
	s_lshl_b64 s[6:7], s[6:7], 1
	;; [unrolled: 1-line block ×3, first 2 shown]
	s_add_u32 s6, s8, s6
	s_addc_u32 s7, s9, s7
	s_add_u32 s4, s6, s4
	s_addc_u32 s5, s7, s5
	v_mov_b32_e32 v4, s5
	v_add_co_u32_e32 v5, vcc, s4, v12
	v_addc_co_u32_e32 v10, vcc, v4, v11, vcc
	v_accvgpr_read_b32 v4, a2
	v_add_co_u32_e32 v4, vcc, v5, v4
	v_addc_co_u32_e32 v5, vcc, 0, v10, vcc
	;;#ASMSTART
	v_cvt_f16_f32 v8, v8;

	;;#ASMEND
	flat_store_short v[4:5], v8
	;;#ASMSTART
	v_cvt_f16_f32 v8, v9;

	;;#ASMEND
	flat_store_short v[4:5], v8 offset:64
	;;#ASMSTART
	v_cvt_f16_f32 v6, v6;

	;;#ASMEND
	flat_store_short v[4:5], v6 offset:128
	;;#ASMSTART
	v_cvt_f16_f32 v6, v7;

	;;#ASMEND
	flat_store_short v[4:5], v6 offset:192
	;;#ASMSTART
	v_cvt_f16_f32 v2, v2;

	;;#ASMEND
	flat_store_short v[4:5], v2 offset:256
	;;#ASMSTART
	v_cvt_f16_f32 v2, v3;

	;;#ASMEND
	flat_store_short v[4:5], v2 offset:320
	;;#ASMSTART
	v_cvt_f16_f32 v0, v0;

	;;#ASMEND
	flat_store_short v[4:5], v0 offset:384
	;;#ASMSTART
	v_cvt_f16_f32 v0, v1;

	;;#ASMEND
	flat_store_short v[4:5], v0 offset:448
.LBB284_851:
	s_or_b64 exec, exec, s[24:25]
	buffer_load_dword a54, off, s[0:3], s32 offset:8 ; 4-byte Folded Reload
	buffer_load_dword a53, off, s[0:3], s32 offset:12 ; 4-byte Folded Reload
	buffer_load_dword a52, off, s[0:3], s32 offset:16 ; 4-byte Folded Reload
	buffer_load_dword a51, off, s[0:3], s32 offset:20 ; 4-byte Folded Reload
	buffer_load_dword a50, off, s[0:3], s32 offset:24 ; 4-byte Folded Reload
	buffer_load_dword a49, off, s[0:3], s32 offset:28 ; 4-byte Folded Reload
	buffer_load_dword a48, off, s[0:3], s32 offset:32 ; 4-byte Folded Reload
	buffer_load_dword a47, off, s[0:3], s32 offset:36 ; 4-byte Folded Reload
	buffer_load_dword a46, off, s[0:3], s32 offset:40 ; 4-byte Folded Reload
	buffer_load_dword a45, off, s[0:3], s32 offset:44 ; 4-byte Folded Reload
	buffer_load_dword a44, off, s[0:3], s32 offset:48 ; 4-byte Folded Reload
	buffer_load_dword a43, off, s[0:3], s32 offset:52 ; 4-byte Folded Reload
	buffer_load_dword a42, off, s[0:3], s32 offset:56 ; 4-byte Folded Reload
	buffer_load_dword a41, off, s[0:3], s32 offset:60 ; 4-byte Folded Reload
	buffer_load_dword a40, off, s[0:3], s32 offset:64 ; 4-byte Folded Reload
	buffer_load_dword a39, off, s[0:3], s32 offset:68 ; 4-byte Folded Reload
	buffer_load_dword a38, off, s[0:3], s32 offset:72 ; 4-byte Folded Reload
	buffer_load_dword a37, off, s[0:3], s32 offset:76 ; 4-byte Folded Reload
	buffer_load_dword a36, off, s[0:3], s32 offset:80 ; 4-byte Folded Reload
	buffer_load_dword a35, off, s[0:3], s32 offset:84 ; 4-byte Folded Reload
	buffer_load_dword a34, off, s[0:3], s32 offset:88 ; 4-byte Folded Reload
	buffer_load_dword a33, off, s[0:3], s32 offset:92 ; 4-byte Folded Reload
	buffer_load_dword a32, off, s[0:3], s32 offset:96 ; 4-byte Folded Reload
	buffer_load_dword v62, off, s[0:3], s32 offset:100 ; 4-byte Folded Reload
	buffer_load_dword v61, off, s[0:3], s32 offset:104 ; 4-byte Folded Reload
	buffer_load_dword v60, off, s[0:3], s32 offset:108 ; 4-byte Folded Reload
	buffer_load_dword v59, off, s[0:3], s32 offset:112 ; 4-byte Folded Reload
	buffer_load_dword v58, off, s[0:3], s32 offset:116 ; 4-byte Folded Reload
	buffer_load_dword v57, off, s[0:3], s32 offset:120 ; 4-byte Folded Reload
	buffer_load_dword v56, off, s[0:3], s32 offset:124 ; 4-byte Folded Reload
	buffer_load_dword v47, off, s[0:3], s32 offset:128 ; 4-byte Folded Reload
	buffer_load_dword v46, off, s[0:3], s32 offset:132 ; 4-byte Folded Reload
	buffer_load_dword v45, off, s[0:3], s32 offset:136 ; 4-byte Folded Reload
	buffer_load_dword v44, off, s[0:3], s32 offset:140 ; 4-byte Folded Reload
	buffer_load_dword v43, off, s[0:3], s32 offset:144 ; 4-byte Folded Reload
	buffer_load_dword v42, off, s[0:3], s32 offset:148 ; 4-byte Folded Reload
	buffer_load_dword v41, off, s[0:3], s32 offset:152 ; 4-byte Folded Reload
	buffer_load_dword v40, off, s[0:3], s32 offset:156 ; 4-byte Folded Reload
	v_readlane_b32 s30, v63, 8
	v_readlane_b32 s31, v63, 9
	;; [unrolled: 1-line block ×10, first 2 shown]
	s_or_saveexec_b64 s[4:5], -1
	buffer_load_dword v63, off, s[0:3], s32 offset:200 ; 4-byte Folded Reload
	s_mov_b64 exec, s[4:5]
	s_waitcnt vmcnt(0) lgkmcnt(0)
	s_setpc_b64 s[30:31]
.LBB284_852:
	s_load_dword s7, s[8:9], 0x0
	s_waitcnt lgkmcnt(0)
	v_lshl_add_u32 v10, v5, 2, s7
	ds_read_b32 v10, v10
	s_waitcnt lgkmcnt(0)
	v_add_f32_e32 v8, v8, v10
	s_or_b64 exec, exec, s[10:11]
	s_and_saveexec_b64 s[10:11], vcc
	s_cbranch_execz .LBB284_841
.LBB284_853:
	s_load_dword s7, s[8:9], 0x0
	s_waitcnt lgkmcnt(0)
	v_lshl_add_u32 v10, v5, 2, s7
	ds_read_b32 v10, v10 offset:128
	s_waitcnt lgkmcnt(0)
	v_add_f32_e32 v9, v9, v10
	s_or_b64 exec, exec, s[10:11]
	s_and_saveexec_b64 s[10:11], vcc
	s_cbranch_execz .LBB284_842
.LBB284_854:
	s_load_dword s7, s[8:9], 0x0
	s_waitcnt lgkmcnt(0)
	v_lshl_add_u32 v10, v5, 2, s7
	ds_read_b32 v10, v10 offset:256
	s_waitcnt lgkmcnt(0)
	v_add_f32_e32 v6, v6, v10
	s_or_b64 exec, exec, s[10:11]
	s_and_saveexec_b64 s[10:11], vcc
	s_cbranch_execz .LBB284_843
.LBB284_855:
	s_load_dword s7, s[8:9], 0x0
	s_waitcnt lgkmcnt(0)
	v_lshl_add_u32 v10, v5, 2, s7
	ds_read_b32 v10, v10 offset:384
	s_waitcnt lgkmcnt(0)
	v_add_f32_e32 v7, v7, v10
	s_or_b64 exec, exec, s[10:11]
	s_and_saveexec_b64 s[10:11], vcc
	s_cbranch_execz .LBB284_844
.LBB284_856:
	s_load_dword s7, s[8:9], 0x0
	s_waitcnt lgkmcnt(0)
	v_lshl_add_u32 v10, v5, 2, s7
	ds_read_b32 v10, v10 offset:512
	s_waitcnt lgkmcnt(0)
	v_add_f32_e32 v2, v2, v10
	s_or_b64 exec, exec, s[10:11]
	s_and_saveexec_b64 s[10:11], vcc
	s_cbranch_execz .LBB284_845
.LBB284_857:
	s_load_dword s7, s[8:9], 0x0
	s_waitcnt lgkmcnt(0)
	v_lshl_add_u32 v10, v5, 2, s7
	ds_read_b32 v10, v10 offset:640
	s_waitcnt lgkmcnt(0)
	v_add_f32_e32 v3, v3, v10
	s_or_b64 exec, exec, s[10:11]
	s_and_saveexec_b64 s[10:11], vcc
	s_cbranch_execz .LBB284_846
.LBB284_858:
	s_load_dword s7, s[8:9], 0x0
	s_waitcnt lgkmcnt(0)
	v_lshl_add_u32 v10, v5, 2, s7
	ds_read_b32 v10, v10 offset:768
	s_waitcnt lgkmcnt(0)
	v_add_f32_e32 v0, v0, v10
	s_or_b64 exec, exec, s[10:11]
	s_and_saveexec_b64 s[10:11], vcc
	s_cbranch_execnz .LBB284_847
	s_branch .LBB284_848
.Lfunc_end284:
	.size	_ZN4vllm22paged_attention_kernelIthLi256ELi16ELi128ELNS_18Fp8KVCacheDataTypeE1ELb1ELi512EEEvPfS2_PT_PKS3_PKT0_S9_ifPKiSB_iPKfiiiSD_SD_iiiii, .Lfunc_end284-_ZN4vllm22paged_attention_kernelIthLi256ELi16ELi128ELNS_18Fp8KVCacheDataTypeE1ELb1ELi512EEEvPfS2_PT_PKS3_PKT0_S9_ifPKiSB_iPKfiiiSD_SD_iiiii
                                        ; -- End function
	.section	.AMDGPU.csdata,"",@progbits
; Function info:
; codeLenInByte = 38240
; NumSgprs: 46
; NumVgprs: 64
; NumAgprs: 55
; TotalNumVgprs: 119
; ScratchSize: 208
; MemoryBound: 0
	.section	.text._ZN4vllm25paged_attention_v2_kernelIthLi256ELi16ELi128ELNS_18Fp8KVCacheDataTypeE1ELb1ELi512EEEvPfS2_PT_PKS3_PKT0_S9_ifPKiSB_iPKfiiiSD_SD_iiiii,"axG",@progbits,_ZN4vllm25paged_attention_v2_kernelIthLi256ELi16ELi128ELNS_18Fp8KVCacheDataTypeE1ELb1ELi512EEEvPfS2_PT_PKS3_PKT0_S9_ifPKiSB_iPKfiiiSD_SD_iiiii,comdat
	.protected	_ZN4vllm25paged_attention_v2_kernelIthLi256ELi16ELi128ELNS_18Fp8KVCacheDataTypeE1ELb1ELi512EEEvPfS2_PT_PKS3_PKT0_S9_ifPKiSB_iPKfiiiSD_SD_iiiii ; -- Begin function _ZN4vllm25paged_attention_v2_kernelIthLi256ELi16ELi128ELNS_18Fp8KVCacheDataTypeE1ELb1ELi512EEEvPfS2_PT_PKS3_PKT0_S9_ifPKiSB_iPKfiiiSD_SD_iiiii
	.globl	_ZN4vllm25paged_attention_v2_kernelIthLi256ELi16ELi128ELNS_18Fp8KVCacheDataTypeE1ELb1ELi512EEEvPfS2_PT_PKS3_PKT0_S9_ifPKiSB_iPKfiiiSD_SD_iiiii
	.p2align	8
	.type	_ZN4vllm25paged_attention_v2_kernelIthLi256ELi16ELi128ELNS_18Fp8KVCacheDataTypeE1ELb1ELi512EEEvPfS2_PT_PKS3_PKT0_S9_ifPKiSB_iPKfiiiSD_SD_iiiii,@function
_ZN4vllm25paged_attention_v2_kernelIthLi256ELi16ELi128ELNS_18Fp8KVCacheDataTypeE1ELb1ELi512EEEvPfS2_PT_PKS3_PKT0_S9_ifPKiSB_iPKfiiiSD_SD_iiiii: ; @_ZN4vllm25paged_attention_v2_kernelIthLi256ELi16ELi128ELNS_18Fp8KVCacheDataTypeE1ELb1ELi512EEEvPfS2_PT_PKS3_PKT0_S9_ifPKiSB_iPKfiiiSD_SD_iiiii
; %bb.0:
	s_add_u32 flat_scratch_lo, s6, s11
	s_addc_u32 flat_scratch_hi, s7, 0
	s_add_u32 s0, s0, s11
	s_mov_b32 s12, s8
	s_load_dwordx8 s[24:31], s[4:5], 0x0
	s_load_dwordx8 s[16:23], s[4:5], 0x20
	s_load_dwordx2 s[6:7], s[4:5], 0x40
	s_load_dwordx4 s[44:47], s[4:5], 0x78
	s_load_dwordx2 s[34:35], s[4:5], 0x50
	s_load_dword s11, s[4:5], 0x48
	s_load_dword s8, s[4:5], 0x88
	s_load_dwordx8 s[36:43], s[4:5], 0x58
	s_mov_b32 s32, 0
	s_addc_u32 s1, s1, 0
	s_waitcnt lgkmcnt(0)
	v_mov_b32_e32 v1, s47
	buffer_store_dword v1, off, s[0:3], s32
	v_mov_b32_e32 v1, s8
	s_add_u32 s8, s4, 0x90
	s_mov_b32 s13, s9
	buffer_store_dword v1, off, s[0:3], s32 offset:4
	s_addc_u32 s9, s5, 0
	s_mov_b32 s14, s10
	s_mov_b32 s15, 51
	v_mov_b32_e32 v31, v0
	v_mov_b32_e32 v0, s24
	;; [unrolled: 1-line block ×32, first 2 shown]
	s_getpc_b64 s[4:5]
	s_add_u32 s4, s4, _ZN4vllm22paged_attention_kernelIthLi256ELi16ELi128ELNS_18Fp8KVCacheDataTypeE1ELb1ELi512EEEvPfS2_PT_PKS3_PKT0_S9_ifPKiSB_iPKfiiiSD_SD_iiiii@rel32@lo+4
	s_addc_u32 s5, s5, _ZN4vllm22paged_attention_kernelIthLi256ELi16ELi128ELNS_18Fp8KVCacheDataTypeE1ELb1ELi512EEEvPfS2_PT_PKS3_PKT0_S9_ifPKiSB_iPKfiiiSD_SD_iiiii@rel32@hi+12
	s_swappc_b64 s[30:31], s[4:5]
	s_endpgm
	.section	.rodata,"a",@progbits
	.p2align	6, 0x0
	.amdhsa_kernel _ZN4vllm25paged_attention_v2_kernelIthLi256ELi16ELi128ELNS_18Fp8KVCacheDataTypeE1ELb1ELi512EEEvPfS2_PT_PKS3_PKT0_S9_ifPKiSB_iPKfiiiSD_SD_iiiii
		.amdhsa_group_segment_fixed_size 528
		.amdhsa_private_segment_fixed_size 208
		.amdhsa_kernarg_size 400
		.amdhsa_user_sgpr_count 8
		.amdhsa_user_sgpr_private_segment_buffer 1
		.amdhsa_user_sgpr_dispatch_ptr 0
		.amdhsa_user_sgpr_queue_ptr 0
		.amdhsa_user_sgpr_kernarg_segment_ptr 1
		.amdhsa_user_sgpr_dispatch_id 0
		.amdhsa_user_sgpr_flat_scratch_init 1
		.amdhsa_user_sgpr_kernarg_preload_length 0
		.amdhsa_user_sgpr_kernarg_preload_offset 0
		.amdhsa_user_sgpr_private_segment_size 0
		.amdhsa_uses_dynamic_stack 0
		.amdhsa_system_sgpr_private_segment_wavefront_offset 1
		.amdhsa_system_sgpr_workgroup_id_x 1
		.amdhsa_system_sgpr_workgroup_id_y 1
		.amdhsa_system_sgpr_workgroup_id_z 1
		.amdhsa_system_sgpr_workgroup_info 0
		.amdhsa_system_vgpr_workitem_id 0
		.amdhsa_next_free_vgpr 119
		.amdhsa_next_free_sgpr 48
		.amdhsa_accum_offset 64
		.amdhsa_reserve_vcc 1
		.amdhsa_reserve_flat_scratch 1
		.amdhsa_float_round_mode_32 0
		.amdhsa_float_round_mode_16_64 0
		.amdhsa_float_denorm_mode_32 3
		.amdhsa_float_denorm_mode_16_64 3
		.amdhsa_dx10_clamp 1
		.amdhsa_ieee_mode 1
		.amdhsa_fp16_overflow 0
		.amdhsa_tg_split 0
		.amdhsa_exception_fp_ieee_invalid_op 0
		.amdhsa_exception_fp_denorm_src 0
		.amdhsa_exception_fp_ieee_div_zero 0
		.amdhsa_exception_fp_ieee_overflow 0
		.amdhsa_exception_fp_ieee_underflow 0
		.amdhsa_exception_fp_ieee_inexact 0
		.amdhsa_exception_int_div_zero 0
	.end_amdhsa_kernel
	.section	.text._ZN4vllm25paged_attention_v2_kernelIthLi256ELi16ELi128ELNS_18Fp8KVCacheDataTypeE1ELb1ELi512EEEvPfS2_PT_PKS3_PKT0_S9_ifPKiSB_iPKfiiiSD_SD_iiiii,"axG",@progbits,_ZN4vllm25paged_attention_v2_kernelIthLi256ELi16ELi128ELNS_18Fp8KVCacheDataTypeE1ELb1ELi512EEEvPfS2_PT_PKS3_PKT0_S9_ifPKiSB_iPKfiiiSD_SD_iiiii,comdat
.Lfunc_end285:
	.size	_ZN4vllm25paged_attention_v2_kernelIthLi256ELi16ELi128ELNS_18Fp8KVCacheDataTypeE1ELb1ELi512EEEvPfS2_PT_PKS3_PKT0_S9_ifPKiSB_iPKfiiiSD_SD_iiiii, .Lfunc_end285-_ZN4vllm25paged_attention_v2_kernelIthLi256ELi16ELi128ELNS_18Fp8KVCacheDataTypeE1ELb1ELi512EEEvPfS2_PT_PKS3_PKT0_S9_ifPKiSB_iPKfiiiSD_SD_iiiii
                                        ; -- End function
	.section	.AMDGPU.csdata,"",@progbits
; Kernel info:
; codeLenInByte = 296
; NumSgprs: 54
; NumVgprs: 64
; NumAgprs: 55
; TotalNumVgprs: 119
; ScratchSize: 208
; MemoryBound: 0
; FloatMode: 240
; IeeeMode: 1
; LDSByteSize: 528 bytes/workgroup (compile time only)
; SGPRBlocks: 6
; VGPRBlocks: 14
; NumSGPRsForWavesPerEU: 54
; NumVGPRsForWavesPerEU: 119
; AccumOffset: 64
; Occupancy: 4
; WaveLimiterHint : 1
; COMPUTE_PGM_RSRC2:SCRATCH_EN: 1
; COMPUTE_PGM_RSRC2:USER_SGPR: 8
; COMPUTE_PGM_RSRC2:TRAP_HANDLER: 0
; COMPUTE_PGM_RSRC2:TGID_X_EN: 1
; COMPUTE_PGM_RSRC2:TGID_Y_EN: 1
; COMPUTE_PGM_RSRC2:TGID_Z_EN: 1
; COMPUTE_PGM_RSRC2:TIDIG_COMP_CNT: 0
; COMPUTE_PGM_RSRC3_GFX90A:ACCUM_OFFSET: 15
; COMPUTE_PGM_RSRC3_GFX90A:TG_SPLIT: 0
	.section	.text._ZN4vllm25paged_attention_v2_kernelIthLi32ELi16ELi128ELNS_18Fp8KVCacheDataTypeE1ELb0ELi512EEEvPfS2_PT_PKS3_PKT0_S9_ifPKiSB_iPKfiiiSD_SD_iiiii,"axG",@progbits,_ZN4vllm25paged_attention_v2_kernelIthLi32ELi16ELi128ELNS_18Fp8KVCacheDataTypeE1ELb0ELi512EEEvPfS2_PT_PKS3_PKT0_S9_ifPKiSB_iPKfiiiSD_SD_iiiii,comdat
	.protected	_ZN4vllm25paged_attention_v2_kernelIthLi32ELi16ELi128ELNS_18Fp8KVCacheDataTypeE1ELb0ELi512EEEvPfS2_PT_PKS3_PKT0_S9_ifPKiSB_iPKfiiiSD_SD_iiiii ; -- Begin function _ZN4vllm25paged_attention_v2_kernelIthLi32ELi16ELi128ELNS_18Fp8KVCacheDataTypeE1ELb0ELi512EEEvPfS2_PT_PKS3_PKT0_S9_ifPKiSB_iPKfiiiSD_SD_iiiii
	.globl	_ZN4vllm25paged_attention_v2_kernelIthLi32ELi16ELi128ELNS_18Fp8KVCacheDataTypeE1ELb0ELi512EEEvPfS2_PT_PKS3_PKT0_S9_ifPKiSB_iPKfiiiSD_SD_iiiii
	.p2align	8
	.type	_ZN4vllm25paged_attention_v2_kernelIthLi32ELi16ELi128ELNS_18Fp8KVCacheDataTypeE1ELb0ELi512EEEvPfS2_PT_PKS3_PKT0_S9_ifPKiSB_iPKfiiiSD_SD_iiiii,@function
_ZN4vllm25paged_attention_v2_kernelIthLi32ELi16ELi128ELNS_18Fp8KVCacheDataTypeE1ELb0ELi512EEEvPfS2_PT_PKS3_PKT0_S9_ifPKiSB_iPKfiiiSD_SD_iiiii: ; @_ZN4vllm25paged_attention_v2_kernelIthLi32ELi16ELi128ELNS_18Fp8KVCacheDataTypeE1ELb0ELi512EEEvPfS2_PT_PKS3_PKT0_S9_ifPKiSB_iPKfiiiSD_SD_iiiii
; %bb.0:
	s_load_dwordx2 s[0:1], s[4:5], 0x40
	s_mov_b32 s28, s7
	s_ashr_i32 s29, s7, 31
	s_lshl_b64 s[2:3], s[28:29], 2
	s_waitcnt lgkmcnt(0)
	s_add_u32 s0, s0, s2
	s_addc_u32 s1, s1, s3
	s_load_dword s29, s[0:1], 0x0
	s_lshl_b32 s46, s8, 9
	s_waitcnt lgkmcnt(0)
	s_cmp_ge_i32 s46, s29
	s_cbranch_scc1 .LBB286_148
; %bb.1:
	s_load_dword s9, s[4:5], 0x90
	s_load_dwordx2 s[10:11], s[4:5], 0x30
	s_waitcnt lgkmcnt(0)
	s_abs_i32 s2, s9
	s_abs_i32 s0, s10
	v_cvt_f32_u32_e32 v1, s0
	s_sub_i32 s3, 0, s0
	s_xor_b32 s1, s9, s10
	s_ashr_i32 s1, s1, 31
	v_rcp_iflag_f32_e32 v1, v1
	v_mul_f32_e32 v1, 0x4f7ffffe, v1
	v_cvt_u32_f32_e32 v1, v1
	v_readfirstlane_b32 s7, v1
	s_mul_i32 s3, s3, s7
	s_mul_hi_u32 s3, s7, s3
	s_add_i32 s7, s7, s3
	s_mul_hi_u32 s3, s2, s7
	s_mul_i32 s7, s3, s0
	s_sub_i32 s2, s2, s7
	s_add_i32 s10, s3, 1
	s_sub_i32 s7, s2, s0
	s_cmp_ge_u32 s2, s0
	s_cselect_b32 s3, s10, s3
	s_cselect_b32 s2, s7, s2
	s_add_i32 s7, s3, 1
	s_cmp_ge_u32 s2, s0
	s_cselect_b32 s0, s7, s3
	s_xor_b32 s0, s0, s1
	s_sub_i32 s14, s0, s1
	s_abs_i32 s2, s14
	v_cvt_f32_u32_e32 v1, s2
	s_load_dwordx2 s[0:1], s[4:5], 0x50
	s_sub_i32 s7, 0, s2
	s_abs_i32 s3, s6
	v_rcp_iflag_f32_e32 v1, v1
	s_mov_b32 s10, 0
	v_mul_f32_e32 v1, 0x4f7ffffe, v1
	v_cvt_u32_f32_e32 v1, v1
	v_readfirstlane_b32 s12, v1
	s_mul_i32 s7, s7, s12
	s_mul_hi_u32 s7, s12, s7
	s_add_i32 s12, s12, s7
	s_waitcnt lgkmcnt(0)
	s_cmp_eq_u64 s[0:1], 0
	s_mul_hi_u32 s12, s3, s12
	s_cbranch_scc1 .LBB286_3
; %bb.2:
	s_ashr_i32 s7, s6, 31
	s_lshl_b64 s[16:17], s[6:7], 2
	s_add_u32 s0, s0, s16
	s_addc_u32 s1, s1, s17
	s_load_dword s10, s[0:1], 0x0
.LBB286_3:
	s_load_dwordx4 s[16:19], s[4:5], 0x58
	s_ashr_i32 s13, s6, 31
	s_ashr_i32 s14, s14, 31
	v_and_b32_e32 v8, 3, v0
	s_lshl_b32 s24, s6, 5
	v_cmp_gt_u32_e32 vcc, 16, v0
	s_and_saveexec_b64 s[0:1], vcc
	s_cbranch_execz .LBB286_5
; %bb.4:
	s_load_dwordx2 s[20:21], s[4:5], 0x18
	s_waitcnt lgkmcnt(0)
	s_mul_i32 s22, s28, s16
	s_ashr_i32 s23, s22, 31
	s_lshl_b64 s[22:23], s[22:23], 1
	v_lshlrev_b32_e32 v1, 2, v0
	s_add_u32 s7, s20, s22
	s_addc_u32 s15, s21, s23
	s_ashr_i32 s25, s24, 31
	s_lshl_b64 s[20:21], s[24:25], 1
	s_add_u32 s20, s7, s20
	s_addc_u32 s21, s15, s21
	global_load_dword v1, v1, s[20:21]
	v_and_b32_e32 v2, 0x3fc, v0
	v_lshl_add_u32 v2, v8, 4, v2
	s_waitcnt vmcnt(0)
	ds_write_b32 v2, v1
.LBB286_5:
	s_or_b64 exec, exec, s[0:1]
	s_add_i32 s0, s29, 15
	s_ashr_i32 s1, s0, 31
	s_lshr_b32 s1, s1, 28
	s_add_i32 s0, s0, s1
	s_waitcnt lgkmcnt(0)
	s_lshl_b32 s16, s8, 5
	s_mul_i32 s1, s12, s2
	s_ashr_i32 s7, s0, 4
	s_add_i32 s0, s16, 32
	s_sub_i32 s1, s3, s1
	s_min_i32 s33, s0, s7
	s_xor_b32 s0, s13, s14
	s_add_i32 s3, s12, 1
	s_sub_i32 s13, s1, s2
	s_cmp_ge_u32 s1, s2
	s_cselect_b32 s3, s3, s12
	s_cselect_b32 s1, s13, s1
	s_add_i32 s12, s3, 1
	s_cmp_ge_u32 s1, s2
	s_load_dwordx2 s[30:31], s[4:5], 0x38
	s_load_dword s2, s[4:5], 0x48
	v_lshrrev_b32_e32 v1, 6, v0
	s_cselect_b32 s1, s12, s3
	s_xor_b32 s1, s1, s0
	v_or_b32_e32 v2, s16, v1
	s_waitcnt lgkmcnt(0)
	s_mul_i32 s34, s28, s2
	s_sub_i32 s47, s1, s0
	s_ashr_i32 s35, s34, 31
	v_cmp_gt_i32_e64 s[0:1], s33, v2
	v_cmp_le_i32_e32 vcc, s33, v2
	v_mbcnt_lo_u32_b32 v11, -1, 0
	s_barrier
	s_waitcnt lgkmcnt(0)
                                        ; implicit-def: $sgpr19
                                        ; implicit-def: $vgpr7
                                        ; implicit-def: $vgpr10
	s_and_saveexec_b64 s[2:3], vcc
	s_xor_b64 s[2:3], exec, s[2:3]
; %bb.6:
	v_mbcnt_hi_u32_b32 v7, -1, v11
	v_and_b32_e32 v3, 64, v7
	v_add_u32_e32 v10, 64, v3
	s_mov_b32 s19, 0xff7fffff
                                        ; implicit-def: $vgpr8
                                        ; implicit-def: $vgpr11
; %bb.7:
	s_or_saveexec_b64 s[38:39], s[2:3]
	s_load_dwordx4 s[20:23], s[4:5], 0x0
	s_load_dwordx2 s[26:27], s[4:5], 0x10
	s_load_dword s25, s[4:5], 0x98
	s_load_dwordx2 s[36:37], s[4:5], 0x28
	s_load_dwordx4 s[12:15], s[4:5], 0x68
	v_mov_b32_e32 v14, s19
	s_mul_i32 s47, s47, s18
	v_ashrrev_i32_e32 v3, 31, v2
	v_lshlrev_b32_e32 v13, 4, v1
	s_xor_b64 exec, exec, s[38:39]
	s_cbranch_execz .LBB286_61
; %bb.8:
	s_load_dwordx2 s[2:3], s[4:5], 0x20
	s_ashr_i32 s4, s47, 31
	v_bfe_u32 v7, v0, 2, 4
	v_lshlrev_b32_e32 v4, 4, v7
	v_add3_u32 v17, s46, v13, v7
	s_waitcnt lgkmcnt(0)
	s_add_u32 s2, s2, s47
	s_addc_u32 s3, s3, s4
	v_mov_b32_e32 v5, s3
	v_add_co_u32_e32 v4, vcc, s2, v4
	s_sub_i32 s49, 1, s29
	s_lshl_b64 s[4:5], s[34:35], 2
	v_addc_co_u32_e32 v5, vcc, 0, v5, vcc
	v_lshlrev_b32_e32 v7, 2, v7
	s_add_u32 s4, s30, s4
	v_lshlrev_b32_e32 v6, 1, v8
	v_lshlrev_b32_e32 v16, 4, v8
	v_cmp_eq_u32_e32 vcc, 0, v8
	v_lshl_or_b32 v7, v1, 6, v7
	v_lshlrev_b64 v[8:9], 2, v[2:3]
	s_addc_u32 s5, s31, s5
	v_add_u32_e32 v18, 0x50, v7
	v_mov_b32_e32 v7, s5
	v_add_co_u32_e64 v8, s[4:5], s4, v8
	s_mov_b32 s48, s17
	v_mov_b32_e32 v15, 0
	v_cmp_neq_f32_e64 s[2:3], s10, 0
	v_addc_co_u32_e64 v9, s[4:5], v7, v9, s[4:5]
	s_mov_b64 s[18:19], 0
	v_mov_b32_e32 v14, 0xff7fffff
	s_movk_i32 s50, 0x80
	s_movk_i32 s51, 0x7f
	s_mov_b32 s52, 0x8000
	v_mbcnt_hi_u32_b32 v7, -1, v11
	v_mov_b32_e32 v19, 0x2000
	v_mov_b32_e32 v20, v2
	s_branch .LBB286_10
.LBB286_9:                              ;   in Loop: Header=BB286_10 Depth=1
	s_or_b64 exec, exec, s[40:41]
	v_add_u32_e32 v20, 2, v20
	v_cmp_le_i32_e64 s[4:5], s33, v20
	s_or_b64 s[18:19], s[4:5], s[18:19]
	v_add_co_u32_e64 v8, s[4:5], 8, v8
	v_add_u32_e32 v17, 32, v17
	v_add_u32_e32 v18, 0x80, v18
	v_addc_co_u32_e64 v9, s[4:5], 0, v9, s[4:5]
	s_andn2_b64 exec, exec, s[18:19]
	s_cbranch_execz .LBB286_60
.LBB286_10:                             ; =>This Inner Loop Header: Depth=1
	global_load_dword v10, v[8:9], off
	s_waitcnt vmcnt(0)
	v_mad_i64_i32 v[10:11], s[4:5], v10, s48, v[4:5]
	v_add_co_u32_e64 v10, s[4:5], v10, v6
	v_addc_co_u32_e64 v11, s[4:5], 0, v11, s[4:5]
	global_load_ushort v22, v[10:11], off
	global_load_dword v21, v15, s[12:13]
	s_waitcnt vmcnt(1) lgkmcnt(0)
	v_and_b32_e32 v12, 0xffff, v22
	v_cmp_ne_u16_sdwa s[4:5], v22, v15 src0_sel:BYTE_0 src1_sel:DWORD
	v_mov_b32_e32 v22, 0
	s_and_saveexec_b64 s[40:41], s[4:5]
	s_cbranch_execz .LBB286_16
; %bb.11:                               ;   in Loop: Header=BB286_10 Depth=1
	v_cmp_ne_u16_sdwa s[4:5], v12, s50 src0_sel:BYTE_0 src1_sel:DWORD
	v_bfrev_b32_e32 v22, 1
	s_and_saveexec_b64 s[42:43], s[4:5]
	s_cbranch_execz .LBB286_15
; %bb.12:                               ;   in Loop: Header=BB286_10 Depth=1
	v_and_b32_e32 v23, 0x7f, v12
	v_cmp_ne_u32_e64 s[4:5], s51, v23
	v_mov_b32_e32 v22, 0x7fc02000
	s_and_saveexec_b64 s[44:45], s[4:5]
	s_cbranch_execz .LBB286_14
; %bb.13:                               ;   in Loop: Header=BB286_10 Depth=1
	v_and_b32_e32 v22, 7, v12
	v_ffbh_u32_e32 v24, v22
	v_min_u32_e32 v27, 32, v24
	v_subrev_u32_e32 v24, 28, v27
	v_lshlrev_b64 v[24:25], v24, v[12:13]
	v_lshrrev_b32_e32 v26, 3, v23
	v_sub_u32_e32 v25, 29, v27
	v_cmp_gt_u32_e64 s[4:5], 8, v23
	v_and_b32_e32 v24, 7, v24
	v_cndmask_b32_e64 v23, v26, v25, s[4:5]
	v_cndmask_b32_e64 v22, v22, v24, s[4:5]
	v_lshlrev_b32_e32 v24, 8, v12
	v_lshl_add_u32 v23, v23, 10, v19
	v_and_or_b32 v23, v24, s52, v23
	v_lshl_or_b32 v22, v22, 7, v23
	v_cvt_f32_f16_e32 v22, v22
.LBB286_14:                             ;   in Loop: Header=BB286_10 Depth=1
	s_or_b64 exec, exec, s[44:45]
.LBB286_15:                             ;   in Loop: Header=BB286_10 Depth=1
	s_or_b64 exec, exec, s[42:43]
.LBB286_16:                             ;   in Loop: Header=BB286_10 Depth=1
	s_or_b64 exec, exec, s[40:41]
	v_lshrrev_b16_e32 v12, 8, v12
	v_cmp_ne_u16_e64 s[4:5], 0, v12
	v_mov_b32_e32 v23, 0
	v_mov_b32_e32 v24, 0
	s_and_saveexec_b64 s[40:41], s[4:5]
	s_cbranch_execz .LBB286_22
; %bb.17:                               ;   in Loop: Header=BB286_10 Depth=1
	v_cmp_ne_u16_e64 s[4:5], s50, v12
	v_bfrev_b32_e32 v24, 1
	s_and_saveexec_b64 s[42:43], s[4:5]
	s_cbranch_execz .LBB286_21
; %bb.18:                               ;   in Loop: Header=BB286_10 Depth=1
	v_and_b32_e32 v25, 0x7f, v12
	v_cmp_ne_u32_e64 s[4:5], s51, v25
	v_mov_b32_e32 v24, 0x7fc02000
	s_and_saveexec_b64 s[44:45], s[4:5]
	s_cbranch_execz .LBB286_20
; %bb.19:                               ;   in Loop: Header=BB286_10 Depth=1
	v_and_b32_e32 v24, 7, v12
	v_ffbh_u32_e32 v26, v24
	v_min_u32_e32 v29, 32, v26
	v_subrev_u32_e32 v26, 28, v29
	v_lshlrev_b64 v[26:27], v26, v[12:13]
	v_lshrrev_b32_e32 v28, 3, v25
	v_sub_u32_e32 v27, 29, v29
	v_cmp_gt_u32_e64 s[4:5], 8, v25
	v_cndmask_b32_e64 v25, v28, v27, s[4:5]
	v_and_b32_e32 v26, 7, v26
	v_lshlrev_b32_e32 v12, 8, v12
	v_lshl_add_u32 v25, v25, 10, v19
	v_cndmask_b32_e64 v24, v24, v26, s[4:5]
	v_and_or_b32 v12, v12, s52, v25
	v_lshl_or_b32 v12, v24, 7, v12
	v_cvt_f32_f16_e32 v24, v12
.LBB286_20:                             ;   in Loop: Header=BB286_10 Depth=1
	s_or_b64 exec, exec, s[44:45]
.LBB286_21:                             ;   in Loop: Header=BB286_10 Depth=1
	s_or_b64 exec, exec, s[42:43]
.LBB286_22:                             ;   in Loop: Header=BB286_10 Depth=1
	s_or_b64 exec, exec, s[40:41]
	global_load_ushort v25, v[10:11], off offset:8
	s_waitcnt vmcnt(0)
	v_and_b32_e32 v12, 0xffff, v25
	v_cmp_ne_u16_sdwa s[4:5], v25, v15 src0_sel:BYTE_0 src1_sel:DWORD
	s_and_saveexec_b64 s[40:41], s[4:5]
	s_cbranch_execz .LBB286_28
; %bb.23:                               ;   in Loop: Header=BB286_10 Depth=1
	v_cmp_ne_u16_sdwa s[4:5], v12, s50 src0_sel:BYTE_0 src1_sel:DWORD
	v_bfrev_b32_e32 v23, 1
	s_and_saveexec_b64 s[42:43], s[4:5]
	s_cbranch_execz .LBB286_27
; %bb.24:                               ;   in Loop: Header=BB286_10 Depth=1
	v_and_b32_e32 v25, 0x7f, v12
	v_cmp_ne_u32_e64 s[4:5], s51, v25
	v_mov_b32_e32 v23, 0x7fc02000
	s_and_saveexec_b64 s[44:45], s[4:5]
	s_cbranch_execz .LBB286_26
; %bb.25:                               ;   in Loop: Header=BB286_10 Depth=1
	v_and_b32_e32 v23, 7, v12
	v_ffbh_u32_e32 v26, v23
	v_min_u32_e32 v29, 32, v26
	v_subrev_u32_e32 v26, 28, v29
	v_lshlrev_b64 v[26:27], v26, v[12:13]
	v_lshrrev_b32_e32 v28, 3, v25
	v_sub_u32_e32 v27, 29, v29
	v_cmp_gt_u32_e64 s[4:5], 8, v25
	v_and_b32_e32 v26, 7, v26
	v_cndmask_b32_e64 v25, v28, v27, s[4:5]
	v_cndmask_b32_e64 v23, v23, v26, s[4:5]
	v_lshlrev_b32_e32 v26, 8, v12
	v_lshl_add_u32 v25, v25, 10, v19
	v_and_or_b32 v25, v26, s52, v25
	v_lshl_or_b32 v23, v23, 7, v25
	v_cvt_f32_f16_e32 v23, v23
.LBB286_26:                             ;   in Loop: Header=BB286_10 Depth=1
	s_or_b64 exec, exec, s[44:45]
.LBB286_27:                             ;   in Loop: Header=BB286_10 Depth=1
	s_or_b64 exec, exec, s[42:43]
.LBB286_28:                             ;   in Loop: Header=BB286_10 Depth=1
	s_or_b64 exec, exec, s[40:41]
	v_lshrrev_b16_e32 v12, 8, v12
	v_cmp_ne_u16_e64 s[4:5], 0, v12
	v_mov_b32_e32 v26, 0
	v_mov_b32_e32 v25, 0
	s_and_saveexec_b64 s[40:41], s[4:5]
	s_cbranch_execz .LBB286_34
; %bb.29:                               ;   in Loop: Header=BB286_10 Depth=1
	v_cmp_ne_u16_e64 s[4:5], s50, v12
	v_bfrev_b32_e32 v25, 1
	s_and_saveexec_b64 s[42:43], s[4:5]
	s_cbranch_execz .LBB286_33
; %bb.30:                               ;   in Loop: Header=BB286_10 Depth=1
	v_and_b32_e32 v27, 0x7f, v12
	v_cmp_ne_u32_e64 s[4:5], s51, v27
	v_mov_b32_e32 v25, 0x7fc02000
	s_and_saveexec_b64 s[44:45], s[4:5]
	s_cbranch_execz .LBB286_32
; %bb.31:                               ;   in Loop: Header=BB286_10 Depth=1
	v_and_b32_e32 v25, 7, v12
	v_ffbh_u32_e32 v28, v25
	v_min_u32_e32 v31, 32, v28
	v_subrev_u32_e32 v28, 28, v31
	v_lshlrev_b64 v[28:29], v28, v[12:13]
	v_lshrrev_b32_e32 v30, 3, v27
	v_sub_u32_e32 v29, 29, v31
	v_cmp_gt_u32_e64 s[4:5], 8, v27
	v_cndmask_b32_e64 v27, v30, v29, s[4:5]
	v_and_b32_e32 v28, 7, v28
	v_lshlrev_b32_e32 v12, 8, v12
	v_lshl_add_u32 v27, v27, 10, v19
	v_cndmask_b32_e64 v25, v25, v28, s[4:5]
	v_and_or_b32 v12, v12, s52, v27
	v_lshl_or_b32 v12, v25, 7, v12
	v_cvt_f32_f16_e32 v25, v12
.LBB286_32:                             ;   in Loop: Header=BB286_10 Depth=1
	s_or_b64 exec, exec, s[44:45]
.LBB286_33:                             ;   in Loop: Header=BB286_10 Depth=1
	s_or_b64 exec, exec, s[42:43]
.LBB286_34:                             ;   in Loop: Header=BB286_10 Depth=1
	s_or_b64 exec, exec, s[40:41]
	global_load_ushort v27, v[10:11], off offset:256
	s_waitcnt vmcnt(0)
	v_and_b32_e32 v12, 0xffff, v27
	v_cmp_ne_u16_sdwa s[4:5], v27, v15 src0_sel:BYTE_0 src1_sel:DWORD
	s_and_saveexec_b64 s[40:41], s[4:5]
	s_cbranch_execz .LBB286_40
; %bb.35:                               ;   in Loop: Header=BB286_10 Depth=1
	v_cmp_ne_u16_sdwa s[4:5], v12, s50 src0_sel:BYTE_0 src1_sel:DWORD
	v_bfrev_b32_e32 v26, 1
	s_and_saveexec_b64 s[42:43], s[4:5]
	s_cbranch_execz .LBB286_39
; %bb.36:                               ;   in Loop: Header=BB286_10 Depth=1
	v_and_b32_e32 v27, 0x7f, v12
	v_cmp_ne_u32_e64 s[4:5], s51, v27
	v_mov_b32_e32 v26, 0x7fc02000
	s_and_saveexec_b64 s[44:45], s[4:5]
	s_cbranch_execz .LBB286_38
; %bb.37:                               ;   in Loop: Header=BB286_10 Depth=1
	v_and_b32_e32 v26, 7, v12
	v_ffbh_u32_e32 v28, v26
	v_min_u32_e32 v31, 32, v28
	v_subrev_u32_e32 v28, 28, v31
	v_lshlrev_b64 v[28:29], v28, v[12:13]
	v_lshrrev_b32_e32 v30, 3, v27
	v_sub_u32_e32 v29, 29, v31
	v_cmp_gt_u32_e64 s[4:5], 8, v27
	v_and_b32_e32 v28, 7, v28
	v_cndmask_b32_e64 v27, v30, v29, s[4:5]
	v_cndmask_b32_e64 v26, v26, v28, s[4:5]
	v_lshlrev_b32_e32 v28, 8, v12
	v_lshl_add_u32 v27, v27, 10, v19
	v_and_or_b32 v27, v28, s52, v27
	v_lshl_or_b32 v26, v26, 7, v27
	v_cvt_f32_f16_e32 v26, v26
.LBB286_38:                             ;   in Loop: Header=BB286_10 Depth=1
	s_or_b64 exec, exec, s[44:45]
.LBB286_39:                             ;   in Loop: Header=BB286_10 Depth=1
	s_or_b64 exec, exec, s[42:43]
.LBB286_40:                             ;   in Loop: Header=BB286_10 Depth=1
	s_or_b64 exec, exec, s[40:41]
	v_lshrrev_b16_e32 v12, 8, v12
	v_cmp_ne_u16_e64 s[4:5], 0, v12
	v_mov_b32_e32 v27, 0
	v_mov_b32_e32 v28, 0
	s_and_saveexec_b64 s[40:41], s[4:5]
	s_cbranch_execz .LBB286_46
; %bb.41:                               ;   in Loop: Header=BB286_10 Depth=1
	v_cmp_ne_u16_e64 s[4:5], s50, v12
	v_bfrev_b32_e32 v28, 1
	s_and_saveexec_b64 s[42:43], s[4:5]
	s_cbranch_execz .LBB286_45
; %bb.42:                               ;   in Loop: Header=BB286_10 Depth=1
	v_and_b32_e32 v29, 0x7f, v12
	v_cmp_ne_u32_e64 s[4:5], s51, v29
	v_mov_b32_e32 v28, 0x7fc02000
	s_and_saveexec_b64 s[44:45], s[4:5]
	s_cbranch_execz .LBB286_44
; %bb.43:                               ;   in Loop: Header=BB286_10 Depth=1
	v_and_b32_e32 v28, 7, v12
	v_ffbh_u32_e32 v30, v28
	v_min_u32_e32 v33, 32, v30
	v_subrev_u32_e32 v30, 28, v33
	v_lshlrev_b64 v[30:31], v30, v[12:13]
	v_lshrrev_b32_e32 v32, 3, v29
	v_sub_u32_e32 v31, 29, v33
	v_cmp_gt_u32_e64 s[4:5], 8, v29
	v_cndmask_b32_e64 v29, v32, v31, s[4:5]
	v_and_b32_e32 v30, 7, v30
	v_lshlrev_b32_e32 v12, 8, v12
	v_lshl_add_u32 v29, v29, 10, v19
	v_cndmask_b32_e64 v28, v28, v30, s[4:5]
	v_and_or_b32 v12, v12, s52, v29
	v_lshl_or_b32 v12, v28, 7, v12
	v_cvt_f32_f16_e32 v28, v12
.LBB286_44:                             ;   in Loop: Header=BB286_10 Depth=1
	s_or_b64 exec, exec, s[44:45]
.LBB286_45:                             ;   in Loop: Header=BB286_10 Depth=1
	s_or_b64 exec, exec, s[42:43]
.LBB286_46:                             ;   in Loop: Header=BB286_10 Depth=1
	s_or_b64 exec, exec, s[40:41]
	global_load_ushort v11, v[10:11], off offset:264
	s_waitcnt vmcnt(0)
	v_and_b32_e32 v10, 0xffff, v11
	v_cmp_ne_u16_sdwa s[4:5], v11, v15 src0_sel:BYTE_0 src1_sel:DWORD
	s_and_saveexec_b64 s[40:41], s[4:5]
	s_cbranch_execz .LBB286_52
; %bb.47:                               ;   in Loop: Header=BB286_10 Depth=1
	v_cmp_ne_u16_sdwa s[4:5], v10, s50 src0_sel:BYTE_0 src1_sel:DWORD
	v_bfrev_b32_e32 v27, 1
	s_and_saveexec_b64 s[42:43], s[4:5]
	s_cbranch_execz .LBB286_51
; %bb.48:                               ;   in Loop: Header=BB286_10 Depth=1
	v_and_b32_e32 v11, 0x7f, v10
	v_cmp_ne_u32_e64 s[4:5], s51, v11
	v_mov_b32_e32 v27, 0x7fc02000
	s_and_saveexec_b64 s[44:45], s[4:5]
	s_cbranch_execz .LBB286_50
; %bb.49:                               ;   in Loop: Header=BB286_10 Depth=1
	v_and_b32_e32 v12, 7, v10
	v_ffbh_u32_e32 v29, v12
	v_min_u32_e32 v29, 32, v29
	v_lshrrev_b32_e32 v27, 3, v11
	v_subrev_u32_e32 v30, 28, v29
	v_sub_u32_e32 v29, 29, v29
	v_cmp_gt_u32_e64 s[4:5], 8, v11
	v_lshlrev_b64 v[30:31], v30, v[10:11]
	v_cndmask_b32_e64 v11, v27, v29, s[4:5]
	v_and_b32_e32 v30, 7, v30
	v_lshlrev_b32_e32 v27, 8, v10
	v_lshl_add_u32 v11, v11, 10, v19
	v_cndmask_b32_e64 v12, v12, v30, s[4:5]
	v_and_or_b32 v11, v27, s52, v11
	v_lshl_or_b32 v11, v12, 7, v11
	v_cvt_f32_f16_e32 v27, v11
.LBB286_50:                             ;   in Loop: Header=BB286_10 Depth=1
	s_or_b64 exec, exec, s[44:45]
.LBB286_51:                             ;   in Loop: Header=BB286_10 Depth=1
	s_or_b64 exec, exec, s[42:43]
.LBB286_52:                             ;   in Loop: Header=BB286_10 Depth=1
	s_or_b64 exec, exec, s[40:41]
	v_lshrrev_b16_e32 v10, 8, v10
	v_cmp_ne_u16_e64 s[4:5], 0, v10
	v_mov_b32_e32 v11, 0
	s_and_saveexec_b64 s[40:41], s[4:5]
	s_cbranch_execz .LBB286_58
; %bb.53:                               ;   in Loop: Header=BB286_10 Depth=1
	v_cmp_ne_u16_e64 s[4:5], s50, v10
	v_bfrev_b32_e32 v11, 1
	s_and_saveexec_b64 s[42:43], s[4:5]
	s_cbranch_execz .LBB286_57
; %bb.54:                               ;   in Loop: Header=BB286_10 Depth=1
	v_and_b32_e32 v12, 0x7f, v10
	v_cmp_ne_u32_e64 s[4:5], s51, v12
	v_mov_b32_e32 v11, 0x7fc02000
	s_and_saveexec_b64 s[44:45], s[4:5]
	s_cbranch_execz .LBB286_56
; %bb.55:                               ;   in Loop: Header=BB286_10 Depth=1
	v_and_b32_e32 v11, 7, v10
	v_ffbh_u32_e32 v30, v11
	v_min_u32_e32 v32, 32, v30
	v_subrev_u32_e32 v30, 28, v32
	v_lshlrev_b64 v[30:31], v30, v[10:11]
	v_lshrrev_b32_e32 v29, 3, v12
	v_sub_u32_e32 v31, 29, v32
	v_cmp_gt_u32_e64 s[4:5], 8, v12
	v_cndmask_b32_e64 v12, v29, v31, s[4:5]
	v_and_b32_e32 v30, 7, v30
	v_lshlrev_b32_e32 v10, 8, v10
	v_lshl_add_u32 v12, v12, 10, v19
	v_cndmask_b32_e64 v11, v11, v30, s[4:5]
	v_and_or_b32 v10, v10, s52, v12
	v_lshl_or_b32 v10, v11, 7, v10
	v_cvt_f32_f16_e32 v11, v10
.LBB286_56:                             ;   in Loop: Header=BB286_10 Depth=1
	s_or_b64 exec, exec, s[44:45]
.LBB286_57:                             ;   in Loop: Header=BB286_10 Depth=1
	s_or_b64 exec, exec, s[42:43]
.LBB286_58:                             ;   in Loop: Header=BB286_10 Depth=1
	s_or_b64 exec, exec, s[40:41]
	ds_read_b32 v10, v16
	v_fma_mixlo_f16 v12, v21, v22, 0
	v_fma_mixlo_f16 v22, v21, v24, 0
	v_and_b32_e32 v12, 0xffff, v12
	v_and_b32_e32 v22, 0xffff, v22
	s_waitcnt lgkmcnt(0)
	v_lshrrev_b32_e32 v24, 16, v10
	v_and_b32_e32 v10, 0xffff, v10
	;;#ASMSTART
	v_cvt_f32_f16 v10, v10;
	;;#ASMEND
	;;#ASMSTART
	v_cvt_f32_f16 v24, v24;
	;;#ASMEND
	;;#ASMSTART
	v_cvt_f32_f16 v12, v12;
	;;#ASMEND
	;;#ASMSTART
	v_cvt_f32_f16 v22, v22;
	;;#ASMEND
	ds_read_b32 v29, v16 offset:4
	v_fma_mixlo_f16 v23, v21, v23, 0
	v_fma_mixlo_f16 v25, v21, v25, 0
	v_and_b32_e32 v23, 0xffff, v23
	v_and_b32_e32 v25, 0xffff, v25
	s_waitcnt lgkmcnt(0)
	v_lshrrev_b32_e32 v30, 16, v29
	v_and_b32_e32 v29, 0xffff, v29
	;;#ASMSTART
	v_cvt_f32_f16 v29, v29;
	;;#ASMEND
	;;#ASMSTART
	v_cvt_f32_f16 v30, v30;
	;;#ASMEND
	;; [unrolled: 3-line block ×4, first 2 shown]
	ds_read_b32 v31, v16 offset:8
	v_fma_mixlo_f16 v26, v21, v26, 0
	v_fma_mixlo_f16 v28, v21, v28, 0
	;; [unrolled: 1-line block ×4, first 2 shown]
	v_mul_f32_e32 v21, v29, v23
	v_fmac_f32_e32 v21, v10, v12
	s_waitcnt lgkmcnt(0)
	v_lshrrev_b32_e32 v10, 16, v31
	v_and_b32_e32 v12, 0xffff, v31
	v_and_b32_e32 v23, 0xffff, v26
	;; [unrolled: 1-line block ×3, first 2 shown]
	;;#ASMSTART
	v_cvt_f32_f16 v12, v12;
	;;#ASMEND
	;;#ASMSTART
	v_cvt_f32_f16 v10, v10;
	;;#ASMEND
	;; [unrolled: 3-line block ×4, first 2 shown]
	ds_read_b32 v28, v16 offset:12
	v_mul_f32_e32 v25, v30, v25
	v_fmac_f32_e32 v25, v24, v22
	v_fmac_f32_e32 v21, v12, v23
	;; [unrolled: 1-line block ×3, first 2 shown]
	s_waitcnt lgkmcnt(0)
	v_lshrrev_b32_e32 v10, 16, v28
	v_and_b32_e32 v12, 0xffff, v28
	;;#ASMSTART
	v_cvt_f32_f16 v12, v12;
	;;#ASMEND
	;;#ASMSTART
	v_cvt_f32_f16 v10, v10;
	;;#ASMEND
	v_and_b32_e32 v22, 0xffff, v27
	v_and_b32_e32 v11, 0xffff, v11
	;;#ASMSTART
	v_cvt_f32_f16 v22, v22;
	;;#ASMEND
	;;#ASMSTART
	v_cvt_f32_f16 v11, v11;
	;;#ASMEND
	v_fmac_f32_e32 v25, v10, v11
	v_and_b32_e32 v10, 64, v7
	v_fmac_f32_e32 v21, v12, v22
	v_add_u32_e32 v10, 64, v10
	v_xor_b32_e32 v12, 2, v7
	v_cmp_lt_i32_e64 s[4:5], v12, v10
	v_cndmask_b32_e64 v12, v7, v12, s[4:5]
	v_add_f32_e32 v11, v21, v25
	v_lshlrev_b32_e32 v12, 2, v12
	ds_bpermute_b32 v12, v12, v11
	s_waitcnt lgkmcnt(0)
	v_add_f32_e32 v11, v11, v12
	v_xor_b32_e32 v12, 1, v7
	v_cmp_lt_i32_e64 s[4:5], v12, v10
	v_cndmask_b32_e64 v12, v7, v12, s[4:5]
	v_lshlrev_b32_e32 v12, 2, v12
	ds_bpermute_b32 v12, v12, v11
	s_and_saveexec_b64 s[40:41], vcc
	s_cbranch_execz .LBB286_9
; %bb.59:                               ;   in Loop: Header=BB286_10 Depth=1
	v_add_u32_e32 v21, s49, v17
	v_cvt_f32_i32_e32 v21, v21
	s_waitcnt lgkmcnt(0)
	v_add_f32_e32 v11, v11, v12
	v_cmp_gt_i32_e64 s[4:5], s29, v17
	v_max_f32_e32 v12, v14, v14
	v_mul_f32_e32 v21, s10, v21
	v_cndmask_b32_e64 v21, 0, v21, s[2:3]
	v_fmac_f32_e32 v21, s11, v11
	v_cndmask_b32_e64 v11, 0, v21, s[4:5]
	ds_write_b32 v18, v11
	v_max_f32_e32 v11, v12, v21
	v_cndmask_b32_e64 v14, v14, v11, s[4:5]
	s_branch .LBB286_9
.LBB286_60:
	s_or_b64 exec, exec, s[18:19]
.LBB286_61:
	s_or_b64 exec, exec, s[38:39]
	v_xor_b32_e32 v4, 32, v7
	v_cmp_lt_i32_e32 vcc, v4, v10
	v_cndmask_b32_e32 v4, v7, v4, vcc
	v_lshlrev_b32_e32 v4, 2, v4
	ds_bpermute_b32 v5, v4, v14
	v_xor_b32_e32 v8, 16, v7
	v_max_f32_e32 v6, v14, v14
	v_cmp_lt_i32_e32 vcc, v8, v10
	v_xor_b32_e32 v9, 8, v7
	s_waitcnt lgkmcnt(0)
	v_max_f32_e32 v5, v5, v5
	v_max_f32_e32 v6, v6, v5
	v_cndmask_b32_e32 v5, v7, v8, vcc
	v_lshlrev_b32_e32 v5, 2, v5
	ds_bpermute_b32 v8, v5, v6
	v_cmp_lt_i32_e32 vcc, v9, v10
	v_and_b32_e32 v11, 63, v0
	s_waitcnt lgkmcnt(0)
	v_max_f32_e32 v8, v8, v8
	v_max_f32_e32 v6, v6, v8
	v_cndmask_b32_e32 v8, v7, v9, vcc
	v_lshlrev_b32_e32 v12, 2, v8
	ds_bpermute_b32 v8, v12, v6
	v_xor_b32_e32 v9, 4, v7
	v_cmp_lt_i32_e32 vcc, v9, v10
	s_waitcnt lgkmcnt(0)
	v_max_f32_e32 v8, v8, v8
	v_max_f32_e32 v6, v6, v8
	v_cndmask_b32_e32 v8, v7, v9, vcc
	v_lshlrev_b32_e32 v14, 2, v8
	ds_bpermute_b32 v9, v14, v6
	v_cmp_eq_u32_e32 vcc, 0, v11
	v_lshlrev_b32_e32 v8, 2, v1
	s_and_saveexec_b64 s[2:3], vcc
	s_cbranch_execz .LBB286_63
; %bb.62:
	s_waitcnt lgkmcnt(0)
	v_max_f32_e32 v9, v9, v9
	v_max_f32_e32 v6, v6, v6
	;; [unrolled: 1-line block ×3, first 2 shown]
	ds_write_b32 v8, v6 offset:64
.LBB286_63:
	s_or_b64 exec, exec, s[2:3]
	v_cmp_gt_u32_e64 s[2:3], 2, v11
	v_mov_b32_e32 v6, 0xff7fffff
	s_waitcnt lgkmcnt(0)
	v_lshlrev_b32_e32 v9, 2, v11
	s_barrier
	s_and_saveexec_b64 s[4:5], s[2:3]
	s_cbranch_execz .LBB286_65
; %bb.64:
	ds_read_b32 v6, v9 offset:64
.LBB286_65:
	s_or_b64 exec, exec, s[4:5]
	v_xor_b32_e32 v15, 1, v7
	v_cmp_lt_i32_e64 s[4:5], v15, v10
	v_cndmask_b32_e64 v15, v7, v15, s[4:5]
	v_lshlrev_b32_e32 v18, 2, v15
	s_waitcnt lgkmcnt(0)
	ds_bpermute_b32 v15, v18, v6
	v_max_f32_e32 v6, v6, v6
	s_sub_i32 s4, s33, s16
	s_lshl_b32 s4, s4, 4
	s_add_i32 s4, s4, s46
	s_waitcnt lgkmcnt(0)
	v_max_f32_e32 v15, v15, v15
	v_max_f32_e32 v6, v6, v15
	v_lshlrev_b32_e32 v15, 2, v7
	v_and_b32_e32 v15, 0xffffff00, v15
	ds_bpermute_b32 v6, v15, v6
	s_min_i32 s39, s4, s29
	s_sub_i32 s38, s39, s46
	v_cmp_gt_i32_e64 s[4:5], s38, v0
	v_mov_b32_e32 v16, 0
	s_and_saveexec_b64 s[12:13], s[4:5]
	s_cbranch_execz .LBB286_69
; %bb.66:
	v_mov_b32_e32 v16, 0x50
	v_lshl_add_u32 v17, v0, 2, v16
	s_mov_b64 s[18:19], 0
	v_mov_b32_e32 v16, 0
	v_mov_b32_e32 v19, v0
.LBB286_67:                             ; =>This Inner Loop Header: Depth=1
	ds_read_b32 v20, v17
	v_add_u32_e32 v19, 0x80, v19
	v_cmp_le_i32_e64 s[10:11], s38, v19
	s_or_b64 s[18:19], s[10:11], s[18:19]
	s_waitcnt lgkmcnt(0)
	v_sub_f32_e32 v20, v20, v6
	v_mul_f32_e32 v20, 0x3fb8aa3b, v20
	v_exp_f32_e32 v20, v20
	ds_write_b32 v17, v20
	v_add_f32_e32 v16, v16, v20
	v_add_u32_e32 v17, 0x200, v17
	s_andn2_b64 exec, exec, s[18:19]
	s_cbranch_execnz .LBB286_67
; %bb.68:
	s_or_b64 exec, exec, s[18:19]
.LBB286_69:
	s_or_b64 exec, exec, s[12:13]
	ds_bpermute_b32 v4, v4, v16
	s_waitcnt lgkmcnt(0)
	v_add_f32_e32 v4, v16, v4
	ds_bpermute_b32 v5, v5, v4
	s_waitcnt lgkmcnt(0)
	v_add_f32_e32 v4, v4, v5
	ds_bpermute_b32 v5, v12, v4
	v_xor_b32_e32 v12, 2, v7
	v_cmp_lt_i32_e64 s[10:11], v12, v10
	v_cndmask_b32_e64 v7, v7, v12, s[10:11]
	s_waitcnt lgkmcnt(0)
	v_add_f32_e32 v4, v4, v5
	ds_bpermute_b32 v5, v14, v4
	s_waitcnt lgkmcnt(0)
	v_add_f32_e32 v4, v4, v5
	v_lshlrev_b32_e32 v5, 2, v7
	ds_bpermute_b32 v5, v5, v4
	s_waitcnt lgkmcnt(0)
	v_add_f32_e32 v4, v4, v5
	ds_bpermute_b32 v5, v18, v4
	s_waitcnt lgkmcnt(0)
	v_add_f32_e32 v4, v4, v5
	s_and_saveexec_b64 s[10:11], vcc
	s_cbranch_execz .LBB286_71
; %bb.70:
	ds_write_b32 v8, v4 offset:72
.LBB286_71:
	s_or_b64 exec, exec, s[10:11]
	s_waitcnt lgkmcnt(0)
	s_barrier
	s_and_saveexec_b64 s[10:11], s[2:3]
	s_cbranch_execz .LBB286_73
; %bb.72:
	ds_read_b32 v4, v9 offset:72
.LBB286_73:
	s_or_b64 exec, exec, s[10:11]
	s_waitcnt lgkmcnt(0)
	ds_bpermute_b32 v5, v18, v4
	s_waitcnt lgkmcnt(0)
	v_add_f32_e32 v4, v4, v5
	ds_bpermute_b32 v7, v15, v4
	s_and_saveexec_b64 s[2:3], s[4:5]
	s_cbranch_execz .LBB286_86
; %bb.74:
	s_waitcnt lgkmcnt(0)
	v_add_f32_e32 v4, 0x358637bd, v7
	v_div_scale_f32 v5, s[4:5], v4, v4, 1.0
	v_rcp_f32_e32 v8, v5
	v_div_scale_f32 v9, vcc, 1.0, v4, 1.0
	s_movk_i32 s4, 0x7f
	v_fma_f32 v10, -v5, v8, 1.0
	v_fmac_f32_e32 v8, v10, v8
	v_mul_f32_e32 v10, v9, v8
	v_fma_f32 v12, -v5, v10, v9
	v_fmac_f32_e32 v10, v12, v8
	v_fma_f32 v5, -v5, v10, v9
	v_div_fmas_f32 v5, v5, v8, v10
	v_div_fixup_f32 v4, v5, v4, 1.0
	v_xad_u32 v5, v0, -1, s39
	v_subrev_u32_e32 v8, s46, v5
	v_cmp_lt_u32_e32 vcc, s4, v8
	s_mov_b64 s[10:11], -1
	v_mov_b32_e32 v5, v0
	s_and_saveexec_b64 s[4:5], vcc
	s_cbranch_execz .LBB286_83
; %bb.75:
	v_lshrrev_b32_e32 v8, 7, v8
	v_add_u32_e32 v10, -1, v8
	v_lshrrev_b32_e32 v9, 1, v10
	v_mov_b32_e32 v5, v4
	v_add_u32_e32 v9, 1, v9
	v_cmp_lt_u32_e32 vcc, 13, v10
	v_mov_b32_e32 v14, 0
	s_and_saveexec_b64 s[10:11], vcc
	s_cbranch_execz .LBB286_79
; %bb.76:
	v_mov_b32_e32 v12, 0x50
	v_and_b32_e32 v10, -8, v9
	v_lshl_add_u32 v12, v0, 2, v12
	s_mov_b32 s18, 0
	s_mov_b64 s[12:13], 0
.LBB286_77:                             ; =>This Inner Loop Header: Depth=1
	ds_read2st64_b32 v[14:15], v12 offset1:2
	ds_read2st64_b32 v[16:17], v12 offset0:4 offset1:6
	ds_read2st64_b32 v[20:21], v12 offset0:8 offset1:10
	;; [unrolled: 1-line block ×3, first 2 shown]
	v_add_u32_e32 v10, -8, v10
	s_waitcnt lgkmcnt(3)
	v_pk_mul_f32 v[14:15], v[4:5], v[14:15]
	s_waitcnt lgkmcnt(2)
	v_pk_mul_f32 v[16:17], v[4:5], v[16:17]
	ds_write2st64_b32 v12, v14, v15 offset1:2
	ds_write2st64_b32 v12, v16, v17 offset0:4 offset1:6
	ds_read2st64_b32 v[16:17], v12 offset0:16 offset1:18
	s_waitcnt lgkmcnt(4)
	v_pk_mul_f32 v[14:15], v[4:5], v[20:21]
	ds_write2st64_b32 v12, v14, v15 offset0:8 offset1:10
	s_waitcnt lgkmcnt(4)
	v_pk_mul_f32 v[14:15], v[4:5], v[22:23]
	ds_write2st64_b32 v12, v14, v15 offset0:12 offset1:14
	ds_read2st64_b32 v[14:15], v12 offset0:20 offset1:22
	s_waitcnt lgkmcnt(3)
	v_pk_mul_f32 v[16:17], v[4:5], v[16:17]
	ds_read2st64_b32 v[20:21], v12 offset0:24 offset1:26
	ds_write2st64_b32 v12, v16, v17 offset0:16 offset1:18
	ds_read2st64_b32 v[16:17], v12 offset0:28 offset1:30
	s_waitcnt lgkmcnt(3)
	v_pk_mul_f32 v[14:15], v[4:5], v[14:15]
	ds_write2st64_b32 v12, v14, v15 offset0:20 offset1:22
	s_waitcnt lgkmcnt(3)
	v_pk_mul_f32 v[14:15], v[4:5], v[20:21]
	ds_write2st64_b32 v12, v14, v15 offset0:24 offset1:26
	s_waitcnt lgkmcnt(2)
	v_pk_mul_f32 v[14:15], v[4:5], v[16:17]
	s_add_i32 s18, s18, 16
	v_cmp_eq_u32_e32 vcc, 0, v10
	ds_write2st64_b32 v12, v14, v15 offset0:28 offset1:30
	v_add_u32_e32 v12, 0x2000, v12
	s_or_b64 s[12:13], vcc, s[12:13]
	v_mov_b32_e32 v14, s18
	s_andn2_b64 exec, exec, s[12:13]
	s_cbranch_execnz .LBB286_77
; %bb.78:
	s_or_b64 exec, exec, s[12:13]
.LBB286_79:
	s_or_b64 exec, exec, s[10:11]
	v_and_b32_e32 v9, 7, v9
	v_cmp_ne_u32_e32 vcc, 0, v9
	s_and_saveexec_b64 s[10:11], vcc
	s_cbranch_execz .LBB286_82
; %bb.80:
	v_lshlrev_b32_e32 v10, 9, v14
	v_lshlrev_b32_e32 v12, 2, v0
	s_movk_i32 s12, 0x50
	v_add3_u32 v10, v10, v12, s12
	s_mov_b64 s[12:13], 0
.LBB286_81:                             ; =>This Inner Loop Header: Depth=1
	ds_read2st64_b32 v[14:15], v10 offset1:2
	v_add_u32_e32 v9, -1, v9
	v_cmp_eq_u32_e32 vcc, 0, v9
	s_or_b64 s[12:13], vcc, s[12:13]
	s_waitcnt lgkmcnt(0)
	v_pk_mul_f32 v[14:15], v[4:5], v[14:15]
	ds_write2st64_b32 v10, v14, v15 offset1:2
	v_add_u32_e32 v10, 0x400, v10
	s_andn2_b64 exec, exec, s[12:13]
	s_cbranch_execnz .LBB286_81
.LBB286_82:
	s_or_b64 exec, exec, s[10:11]
	v_add_u32_e32 v8, 1, v8
	v_and_b32_e32 v9, 0x3fffffe, v8
	v_cmp_ne_u32_e32 vcc, v8, v9
	v_lshl_add_u32 v5, v9, 7, v0
	s_orn2_b64 s[10:11], vcc, exec
.LBB286_83:
	s_or_b64 exec, exec, s[4:5]
	s_and_b64 exec, exec, s[10:11]
	s_cbranch_execz .LBB286_86
; %bb.84:
	v_mov_b32_e32 v8, 0x50
	v_lshl_add_u32 v8, v5, 2, v8
	s_mov_b64 s[4:5], 0
.LBB286_85:                             ; =>This Inner Loop Header: Depth=1
	ds_read_b32 v9, v8
	v_add_u32_e32 v5, 0x80, v5
	v_cmp_le_i32_e32 vcc, s38, v5
	s_or_b64 s[4:5], vcc, s[4:5]
	s_waitcnt lgkmcnt(0)
	v_mul_f32_e32 v9, v4, v9
	ds_write_b32 v8, v9
	v_add_u32_e32 v8, 0x200, v8
	s_andn2_b64 exec, exec, s[4:5]
	s_cbranch_execnz .LBB286_85
.LBB286_86:
	s_or_b64 exec, exec, s[2:3]
	s_mul_i32 s2, s25, s28
	v_cmp_eq_u32_e32 vcc, 0, v0
	s_mul_i32 s2, s2, s9
	s_waitcnt lgkmcnt(0)
	s_barrier
	s_and_saveexec_b64 s[4:5], vcc
	s_cbranch_execz .LBB286_88
; %bb.87:
	s_ashr_i32 s3, s2, 31
	s_lshl_b64 s[10:11], s[2:3], 2
	s_add_u32 s3, s22, s10
	s_mul_i32 s12, s25, s6
	s_addc_u32 s9, s23, s11
	s_ashr_i32 s13, s12, 31
	s_lshl_b64 s[12:13], s[12:13], 2
	s_add_u32 s3, s3, s12
	s_addc_u32 s6, s9, s13
	s_ashr_i32 s9, s8, 31
	s_lshl_b64 s[8:9], s[8:9], 2
	s_add_u32 s18, s3, s8
	s_addc_u32 s19, s6, s9
	s_add_u32 s3, s20, s10
	s_addc_u32 s6, s21, s11
	s_add_u32 s3, s3, s12
	s_addc_u32 s6, s6, s13
	s_add_u32 s8, s3, s8
	v_mov_b32_e32 v4, 0
	s_addc_u32 s9, s6, s9
	global_store_dword v4, v6, s[18:19]
	global_store_dword v4, v7, s[8:9]
.LBB286_88:
	s_or_b64 exec, exec, s[4:5]
	v_mov_b32_e32 v20, 0
	s_and_saveexec_b64 s[4:5], s[0:1]
	s_cbranch_execz .LBB286_142
; %bb.89:
	s_ashr_i32 s0, s47, 31
	v_lshlrev_b32_e32 v4, 3, v0
	s_add_u32 s1, s36, s47
	v_and_b32_e32 v8, 8, v4
	s_mov_b32 s3, s17
	s_addc_u32 s0, s37, s0
	v_and_b32_e32 v4, 0x1f8, v4
	s_add_i32 s17, s7, -1
	s_lshl_b64 s[6:7], s[34:35], 2
	v_mov_b32_e32 v7, s0
	v_add_co_u32_e32 v6, vcc, s1, v4
	v_and_b32_e32 v4, 1, v0
	s_add_u32 s6, s30, s6
	v_addc_co_u32_e32 v7, vcc, 0, v7, vcc
	v_add3_u32 v19, s46, v13, v8
	v_lshlrev_b32_e32 v4, 5, v4
	v_lshlrev_b64 v[8:9], 2, v[2:3]
	s_addc_u32 s7, s31, s7
	s_mov_b32 s0, -1
	v_lshl_or_b32 v1, v1, 6, v4
	v_mov_b32_e32 v3, s7
	v_add_co_u32_e32 v8, vcc, s6, v8
	v_mov_b32_e32 v5, 0
	s_mov_b32 s1, 0xffffff
	s_mov_b32 s18, s29
	v_add_u32_e32 v1, 0x50, v1
	v_addc_co_u32_e32 v9, vcc, v3, v9, vcc
	s_mov_b64 s[6:7], 0
	s_movk_i32 s19, 0x80
	s_movk_i32 s20, 0x7f
	s_mov_b32 s21, 0x8000
	s_movk_i32 s22, 0x380
	s_mov_b32 s23, 0x3020706
	s_mov_b32 s28, 0x1000504
	s_mov_b32 s30, 0x5040100
	v_mov_b32_e32 v3, 0x2000
	v_mov_b32_e32 v20, 0
	s_branch .LBB286_91
.LBB286_90:                             ;   in Loop: Header=BB286_91 Depth=1
	s_or_b64 exec, exec, s[8:9]
	v_and_b32_e32 v14, 0xffff, v21
	v_and_b32_e32 v15, 0xffff, v23
	v_lshl_or_b32 v14, v22, 16, v14
	v_lshl_or_b32 v15, v24, 16, v15
	v_and_b32_e32 v16, 0xffff, v25
	v_and_b32_e32 v17, 0xffff, v27
	;;#ASMSTART
	v_pk_mul_f16 v12, v14, v12;

	;;#ASMEND
	;;#ASMSTART
	v_pk_mul_f16 v4, v15, v4;

	;;#ASMEND
	v_lshl_or_b32 v16, v26, 16, v16
	v_lshl_or_b32 v17, v28, 16, v17
	;;#ASMSTART
	v_pk_mul_f16 v13, v16, v13;

	;;#ASMEND
	;;#ASMSTART
	v_pk_mul_f16 v10, v17, v10;

	;;#ASMEND
	;;#ASMSTART
	v_pk_add_f16 v4, v12, v4;

	;;#ASMEND
	;;#ASMSTART
	v_pk_add_f16 v4, v4, v13;
	;; [unrolled: 4-line block ×3, first 2 shown]

	;;#ASMEND
	v_lshrrev_b32_e32 v10, 16, v4
	v_and_b32_e32 v4, 0xffff, v4
	v_add_u32_e32 v2, 2, v2
	;;#ASMSTART
	v_cvt_f32_f16 v4, v4;
	;;#ASMEND
	v_cmp_le_i32_e32 vcc, s33, v2
	;;#ASMSTART
	v_cvt_f32_f16 v10, v10;
	;;#ASMEND
	v_add_f32_e32 v4, v4, v10
	s_or_b64 s[6:7], vcc, s[6:7]
	v_add_co_u32_e32 v8, vcc, 8, v8
	v_add_f32_e32 v20, v20, v4
	v_add_u32_e32 v19, 32, v19
	v_add_u32_e32 v1, 0x80, v1
	v_addc_co_u32_e32 v9, vcc, 0, v9, vcc
	s_andn2_b64 exec, exec, s[6:7]
	s_cbranch_execz .LBB286_141
.LBB286_91:                             ; =>This Inner Loop Header: Depth=1
	global_load_dword v4, v[8:9], off
	ds_read2_b64 v[12:15], v1 offset1:1
	ds_read2_b64 v[26:29], v1 offset0:2 offset1:3
	s_waitcnt lgkmcnt(1)
	;;#ASMSTART
	v_cvt_f16_f32 v21, v12;

	;;#ASMEND
	;;#ASMSTART
	v_cvt_f16_f32 v22, v13;

	;;#ASMEND
	;; [unrolled: 4-line block ×4, first 2 shown]
	s_waitcnt lgkmcnt(0)
	;;#ASMSTART
	v_cvt_f16_f32 v25, v26;

	;;#ASMEND
	;;#ASMSTART
	v_cvt_f16_f32 v26, v27;

	;;#ASMEND
	;; [unrolled: 4-line block ×4, first 2 shown]
	s_waitcnt vmcnt(0)
	v_mad_i64_i32 v[12:13], s[8:9], v4, s3, v[6:7]
	global_load_dwordx2 v[14:15], v[12:13], off
	global_load_dword v10, v5, s[14:15]
	v_mov_b32_e32 v12, 0
	s_waitcnt vmcnt(1)
	v_cmp_ne_u16_sdwa s[10:11], v14, v5 src0_sel:BYTE_0 src1_sel:DWORD
	s_and_saveexec_b64 s[8:9], s[10:11]
	s_cbranch_execz .LBB286_97
; %bb.92:                               ;   in Loop: Header=BB286_91 Depth=1
	v_cmp_ne_u16_sdwa s[12:13], v14, s19 src0_sel:BYTE_0 src1_sel:DWORD
	v_bfrev_b32_e32 v12, 1
	s_and_saveexec_b64 s[10:11], s[12:13]
	s_cbranch_execz .LBB286_96
; %bb.93:                               ;   in Loop: Header=BB286_91 Depth=1
	v_and_b32_e32 v4, 0x7f, v14
	v_cmp_ne_u32_e32 vcc, s20, v4
	v_mov_b32_e32 v12, 0x7fc02000
	s_and_saveexec_b64 s[12:13], vcc
	s_cbranch_execz .LBB286_95
; %bb.94:                               ;   in Loop: Header=BB286_91 Depth=1
	v_and_b32_e32 v12, 7, v14
	v_ffbh_u32_e32 v12, v12
	v_min_u32_e32 v12, 32, v12
	v_subrev_u32_e32 v13, 28, v12
	v_cmp_gt_u32_e32 vcc, 8, v4
	v_lshrrev_b32_e32 v16, 3, v4
	v_sub_u32_e32 v17, 29, v12
	v_cndmask_b32_e32 v4, 0, v13, vcc
	v_lshlrev_b64 v[12:13], v4, v[14:15]
	v_cndmask_b32_e32 v4, v16, v17, vcc
	v_lshlrev_b32_e32 v13, 8, v14
	v_lshl_add_u32 v4, v4, 10, v3
	v_lshlrev_b32_e32 v12, 7, v12
	v_and_or_b32 v4, v13, s21, v4
	v_and_or_b32 v4, v12, s22, v4
	v_cvt_f32_f16_e32 v12, v4
.LBB286_95:                             ;   in Loop: Header=BB286_91 Depth=1
	s_or_b64 exec, exec, s[12:13]
.LBB286_96:                             ;   in Loop: Header=BB286_91 Depth=1
	s_or_b64 exec, exec, s[10:11]
.LBB286_97:                             ;   in Loop: Header=BB286_91 Depth=1
	s_or_b64 exec, exec, s[8:9]
	v_lshrrev_b16_e32 v4, 8, v14
	v_cmp_ne_u16_e32 vcc, 0, v4
	v_mov_b32_e32 v13, 0
	v_mov_b32_e32 v16, 0
	s_and_saveexec_b64 s[8:9], vcc
	s_cbranch_execz .LBB286_103
; %bb.98:                               ;   in Loop: Header=BB286_91 Depth=1
	v_cmp_ne_u16_e32 vcc, s19, v4
	v_bfrev_b32_e32 v16, 1
	s_and_saveexec_b64 s[10:11], vcc
	s_cbranch_execz .LBB286_102
; %bb.99:                               ;   in Loop: Header=BB286_91 Depth=1
	v_and_b32_e32 v17, 0x7f, v4
	v_cmp_ne_u32_e32 vcc, s20, v17
	v_mov_b32_e32 v16, 0x7fc02000
	s_and_saveexec_b64 s[12:13], vcc
	s_cbranch_execz .LBB286_101
; %bb.100:                              ;   in Loop: Header=BB286_91 Depth=1
	v_and_b32_e32 v16, 7, v4
	v_ffbh_u32_e32 v30, v16
	v_min_u32_e32 v32, 32, v30
	v_subrev_u32_e32 v30, 28, v32
	v_lshlrev_b64 v[30:31], v30, v[4:5]
	v_lshrrev_b32_e32 v29, 3, v17
	v_sub_u32_e32 v31, 29, v32
	v_cmp_gt_u32_e32 vcc, 8, v17
	v_cndmask_b32_e32 v17, v29, v31, vcc
	v_and_b32_e32 v30, 7, v30
	v_lshlrev_b32_e32 v4, 8, v4
	v_lshl_add_u32 v17, v17, 10, v3
	v_cndmask_b32_e32 v16, v16, v30, vcc
	v_and_or_b32 v4, v4, s21, v17
	v_lshl_or_b32 v4, v16, 7, v4
	v_cvt_f32_f16_e32 v16, v4
.LBB286_101:                            ;   in Loop: Header=BB286_91 Depth=1
	s_or_b64 exec, exec, s[12:13]
.LBB286_102:                            ;   in Loop: Header=BB286_91 Depth=1
	s_or_b64 exec, exec, s[10:11]
.LBB286_103:                            ;   in Loop: Header=BB286_91 Depth=1
	s_or_b64 exec, exec, s[8:9]
	v_lshrrev_b32_e32 v4, 16, v14
	v_cmp_ne_u16_sdwa s[10:11], v4, v5 src0_sel:BYTE_0 src1_sel:DWORD
	s_and_saveexec_b64 s[8:9], s[10:11]
	s_cbranch_execz .LBB286_109
; %bb.104:                              ;   in Loop: Header=BB286_91 Depth=1
	v_cmp_ne_u16_sdwa s[12:13], v4, s19 src0_sel:BYTE_0 src1_sel:DWORD
	v_bfrev_b32_e32 v13, 1
	s_and_saveexec_b64 s[10:11], s[12:13]
	s_cbranch_execz .LBB286_108
; %bb.105:                              ;   in Loop: Header=BB286_91 Depth=1
	v_bfe_u32 v17, v14, 16, 7
	v_cmp_ne_u32_e32 vcc, s20, v17
	v_mov_b32_e32 v13, 0x7fc02000
	s_and_saveexec_b64 s[12:13], vcc
	s_cbranch_execz .LBB286_107
; %bb.106:                              ;   in Loop: Header=BB286_91 Depth=1
	v_and_b32_e32 v13, 7, v4
	v_ffbh_u32_e32 v30, v13
	v_min_u32_e32 v32, 32, v30
	v_subrev_u32_e32 v30, 28, v32
	v_lshlrev_b64 v[30:31], v30, v[4:5]
	v_lshrrev_b32_e32 v29, 3, v17
	v_sub_u32_e32 v31, 29, v32
	v_cmp_gt_u32_e32 vcc, 8, v17
	v_cndmask_b32_e32 v17, v29, v31, vcc
	v_and_b32_e32 v30, 7, v30
	v_lshlrev_b32_e32 v4, 8, v4
	v_lshl_add_u32 v17, v17, 10, v3
	v_cndmask_b32_e32 v13, v13, v30, vcc
	v_and_or_b32 v4, v4, s21, v17
	v_lshl_or_b32 v4, v13, 7, v4
	v_cvt_f32_f16_e32 v13, v4
.LBB286_107:                            ;   in Loop: Header=BB286_91 Depth=1
	s_or_b64 exec, exec, s[12:13]
.LBB286_108:                            ;   in Loop: Header=BB286_91 Depth=1
	s_or_b64 exec, exec, s[10:11]
.LBB286_109:                            ;   in Loop: Header=BB286_91 Depth=1
	s_or_b64 exec, exec, s[8:9]
	v_cmp_lt_u32_e32 vcc, s1, v14
	v_mov_b32_e32 v29, 0
	v_mov_b32_e32 v17, 0
	s_and_saveexec_b64 s[8:9], vcc
	s_cbranch_execz .LBB286_115
; %bb.110:                              ;   in Loop: Header=BB286_91 Depth=1
	v_lshrrev_b32_e32 v4, 24, v14
	v_cmp_ne_u32_e32 vcc, s19, v4
	v_bfrev_b32_e32 v17, 1
	s_and_saveexec_b64 s[10:11], vcc
	s_cbranch_execz .LBB286_114
; %bb.111:                              ;   in Loop: Header=BB286_91 Depth=1
	v_and_b32_e32 v30, 0x7f, v4
	v_cmp_ne_u32_e32 vcc, s20, v30
	v_mov_b32_e32 v17, 0x7fc02000
	s_and_saveexec_b64 s[12:13], vcc
	s_cbranch_execz .LBB286_113
; %bb.112:                              ;   in Loop: Header=BB286_91 Depth=1
	v_and_b32_e32 v17, 7, v4
	v_ffbh_u32_e32 v32, v17
	v_min_u32_e32 v34, 32, v32
	v_subrev_u32_e32 v32, 28, v34
	v_lshlrev_b64 v[32:33], v32, v[4:5]
	v_lshrrev_b32_e32 v31, 3, v30
	v_sub_u32_e32 v33, 29, v34
	v_cmp_gt_u32_e32 vcc, 8, v30
	v_cndmask_b32_e32 v30, v31, v33, vcc
	v_and_b32_e32 v32, 7, v32
	v_lshlrev_b32_e32 v4, 8, v4
	v_lshl_add_u32 v30, v30, 10, v3
	v_cndmask_b32_e32 v17, v17, v32, vcc
	v_and_or_b32 v4, v4, s21, v30
	v_lshl_or_b32 v4, v17, 7, v4
	v_cvt_f32_f16_e32 v17, v4
.LBB286_113:                            ;   in Loop: Header=BB286_91 Depth=1
	s_or_b64 exec, exec, s[12:13]
.LBB286_114:                            ;   in Loop: Header=BB286_91 Depth=1
	s_or_b64 exec, exec, s[10:11]
.LBB286_115:                            ;   in Loop: Header=BB286_91 Depth=1
	s_or_b64 exec, exec, s[8:9]
	v_mov_b32_e32 v4, v15
	v_cmp_ne_u16_sdwa s[10:11], v15, v5 src0_sel:BYTE_0 src1_sel:DWORD
	s_and_saveexec_b64 s[8:9], s[10:11]
	s_cbranch_execz .LBB286_121
; %bb.116:                              ;   in Loop: Header=BB286_91 Depth=1
	v_cmp_ne_u16_sdwa s[12:13], v15, s19 src0_sel:BYTE_0 src1_sel:DWORD
	v_bfrev_b32_e32 v29, 1
	s_and_saveexec_b64 s[10:11], s[12:13]
	s_cbranch_execz .LBB286_120
; %bb.117:                              ;   in Loop: Header=BB286_91 Depth=1
	v_and_b32_e32 v30, 0x7f, v15
	v_cmp_ne_u32_e32 vcc, s20, v30
	v_mov_b32_e32 v29, 0x7fc02000
	s_and_saveexec_b64 s[12:13], vcc
	s_cbranch_execz .LBB286_119
; %bb.118:                              ;   in Loop: Header=BB286_91 Depth=1
	v_and_b32_e32 v29, 7, v15
	v_ffbh_u32_e32 v29, v29
	v_min_u32_e32 v29, 32, v29
	v_subrev_u32_e32 v31, 28, v29
	v_cmp_gt_u32_e32 vcc, 8, v30
	v_lshrrev_b32_e32 v32, 3, v30
	v_sub_u32_e32 v29, 29, v29
	v_cndmask_b32_e32 v30, 0, v31, vcc
	v_lshlrev_b64 v[30:31], v30, v[4:5]
	v_cndmask_b32_e32 v29, v32, v29, vcc
	v_lshlrev_b32_e32 v31, 8, v15
	v_lshl_add_u32 v29, v29, 10, v3
	v_lshlrev_b32_e32 v30, 7, v30
	v_and_or_b32 v29, v31, s21, v29
	v_and_or_b32 v29, v30, s22, v29
	v_cvt_f32_f16_e32 v29, v29
.LBB286_119:                            ;   in Loop: Header=BB286_91 Depth=1
	s_or_b64 exec, exec, s[12:13]
.LBB286_120:                            ;   in Loop: Header=BB286_91 Depth=1
	s_or_b64 exec, exec, s[10:11]
.LBB286_121:                            ;   in Loop: Header=BB286_91 Depth=1
	s_or_b64 exec, exec, s[8:9]
	v_lshrrev_b16_e32 v4, 8, v4
	v_cmp_ne_u16_e32 vcc, 0, v4
	v_mov_b32_e32 v30, 0
	v_mov_b32_e32 v31, 0
	s_and_saveexec_b64 s[8:9], vcc
	s_cbranch_execz .LBB286_127
; %bb.122:                              ;   in Loop: Header=BB286_91 Depth=1
	v_cmp_ne_u16_e32 vcc, s19, v4
	v_bfrev_b32_e32 v31, 1
	s_and_saveexec_b64 s[10:11], vcc
	s_cbranch_execz .LBB286_126
; %bb.123:                              ;   in Loop: Header=BB286_91 Depth=1
	v_and_b32_e32 v32, 0x7f, v4
	v_cmp_ne_u32_e32 vcc, s20, v32
	v_mov_b32_e32 v31, 0x7fc02000
	s_and_saveexec_b64 s[12:13], vcc
	s_cbranch_execz .LBB286_125
; %bb.124:                              ;   in Loop: Header=BB286_91 Depth=1
	v_and_b32_e32 v31, 7, v4
	v_ffbh_u32_e32 v34, v31
	v_min_u32_e32 v36, 32, v34
	v_subrev_u32_e32 v34, 28, v36
	v_lshlrev_b64 v[34:35], v34, v[4:5]
	v_lshrrev_b32_e32 v33, 3, v32
	v_sub_u32_e32 v35, 29, v36
	v_cmp_gt_u32_e32 vcc, 8, v32
	v_cndmask_b32_e32 v32, v33, v35, vcc
	v_and_b32_e32 v34, 7, v34
	v_lshlrev_b32_e32 v4, 8, v4
	v_lshl_add_u32 v32, v32, 10, v3
	v_cndmask_b32_e32 v31, v31, v34, vcc
	v_and_or_b32 v4, v4, s21, v32
	v_lshl_or_b32 v4, v31, 7, v4
	v_cvt_f32_f16_e32 v31, v4
.LBB286_125:                            ;   in Loop: Header=BB286_91 Depth=1
	s_or_b64 exec, exec, s[12:13]
.LBB286_126:                            ;   in Loop: Header=BB286_91 Depth=1
	s_or_b64 exec, exec, s[10:11]
.LBB286_127:                            ;   in Loop: Header=BB286_91 Depth=1
	s_or_b64 exec, exec, s[8:9]
	v_lshrrev_b32_e32 v4, 16, v15
	v_cmp_ne_u16_sdwa s[10:11], v4, v5 src0_sel:BYTE_0 src1_sel:DWORD
	s_and_saveexec_b64 s[8:9], s[10:11]
	s_cbranch_execz .LBB286_133
; %bb.128:                              ;   in Loop: Header=BB286_91 Depth=1
	v_cmp_ne_u16_sdwa s[12:13], v4, s19 src0_sel:BYTE_0 src1_sel:DWORD
	v_bfrev_b32_e32 v30, 1
	s_and_saveexec_b64 s[10:11], s[12:13]
	s_cbranch_execz .LBB286_132
; %bb.129:                              ;   in Loop: Header=BB286_91 Depth=1
	v_bfe_u32 v32, v15, 16, 7
	v_cmp_ne_u32_e32 vcc, s20, v32
	v_mov_b32_e32 v30, 0x7fc02000
	s_and_saveexec_b64 s[12:13], vcc
	s_cbranch_execz .LBB286_131
; %bb.130:                              ;   in Loop: Header=BB286_91 Depth=1
	v_and_b32_e32 v30, 7, v4
	v_ffbh_u32_e32 v34, v30
	v_min_u32_e32 v36, 32, v34
	v_subrev_u32_e32 v34, 28, v36
	v_lshlrev_b64 v[34:35], v34, v[4:5]
	v_lshrrev_b32_e32 v33, 3, v32
	v_sub_u32_e32 v35, 29, v36
	v_cmp_gt_u32_e32 vcc, 8, v32
	v_cndmask_b32_e32 v32, v33, v35, vcc
	v_and_b32_e32 v34, 7, v34
	v_lshlrev_b32_e32 v4, 8, v4
	v_lshl_add_u32 v32, v32, 10, v3
	v_cndmask_b32_e32 v30, v30, v34, vcc
	v_and_or_b32 v4, v4, s21, v32
	v_lshl_or_b32 v4, v30, 7, v4
	v_cvt_f32_f16_e32 v30, v4
.LBB286_131:                            ;   in Loop: Header=BB286_91 Depth=1
	s_or_b64 exec, exec, s[12:13]
.LBB286_132:                            ;   in Loop: Header=BB286_91 Depth=1
	s_or_b64 exec, exec, s[10:11]
.LBB286_133:                            ;   in Loop: Header=BB286_91 Depth=1
	s_or_b64 exec, exec, s[8:9]
	v_cmp_lt_u64_e32 vcc, s[0:1], v[14:15]
	v_mov_b32_e32 v14, 0
	s_and_saveexec_b64 s[8:9], vcc
	s_cbranch_execz .LBB286_139
; %bb.134:                              ;   in Loop: Header=BB286_91 Depth=1
	v_lshrrev_b32_e32 v4, 24, v15
	v_cmp_ne_u32_e32 vcc, s19, v4
	v_bfrev_b32_e32 v14, 1
	s_and_saveexec_b64 s[10:11], vcc
	s_cbranch_execz .LBB286_138
; %bb.135:                              ;   in Loop: Header=BB286_91 Depth=1
	v_and_b32_e32 v15, 0x7f, v4
	v_cmp_ne_u32_e32 vcc, s20, v15
	v_mov_b32_e32 v14, 0x7fc02000
	s_and_saveexec_b64 s[12:13], vcc
	s_cbranch_execz .LBB286_137
; %bb.136:                              ;   in Loop: Header=BB286_91 Depth=1
	v_and_b32_e32 v14, 7, v4
	v_ffbh_u32_e32 v32, v14
	v_min_u32_e32 v35, 32, v32
	v_subrev_u32_e32 v32, 28, v35
	v_lshlrev_b64 v[32:33], v32, v[4:5]
	v_lshrrev_b32_e32 v34, 3, v15
	v_sub_u32_e32 v33, 29, v35
	v_cmp_gt_u32_e32 vcc, 8, v15
	v_cndmask_b32_e32 v15, v34, v33, vcc
	v_and_b32_e32 v32, 7, v32
	v_lshlrev_b32_e32 v4, 8, v4
	v_lshl_add_u32 v15, v15, 10, v3
	v_cndmask_b32_e32 v14, v14, v32, vcc
	v_and_or_b32 v4, v4, s21, v15
	v_lshl_or_b32 v4, v14, 7, v4
	v_cvt_f32_f16_e32 v14, v4
.LBB286_137:                            ;   in Loop: Header=BB286_91 Depth=1
	s_or_b64 exec, exec, s[12:13]
.LBB286_138:                            ;   in Loop: Header=BB286_91 Depth=1
	s_or_b64 exec, exec, s[10:11]
.LBB286_139:                            ;   in Loop: Header=BB286_91 Depth=1
	s_or_b64 exec, exec, s[8:9]
	s_waitcnt vmcnt(0)
	v_pk_mul_f32 v[16:17], v[10:11], v[16:17] op_sel_hi:[0,1]
	v_pk_mul_f32 v[12:13], v[10:11], v[12:13] op_sel_hi:[0,1]
	v_cvt_f16_f32_e32 v4, v17
	v_cvt_f16_f32_e32 v15, v16
	;; [unrolled: 1-line block ×4, first 2 shown]
	v_cmp_eq_u32_e32 vcc, s17, v2
	v_pack_b32_f16 v15, v15, v4
	v_pack_b32_f16 v12, v12, v13
	v_fma_mixlo_f16 v13, v10, v31, 0
	v_perm_b32 v4, v12, v15, s23
	v_perm_b32 v12, v12, v15, s28
	v_lshlrev_b32_e32 v13, 16, v13
	v_fma_mixlo_f16 v15, v10, v29, 0
	v_or_b32_sdwa v13, v13, v15 dst_sel:DWORD dst_unused:UNUSED_PAD src0_sel:DWORD src1_sel:WORD_0
	v_fma_mixlo_f16 v15, v10, v30, 0
	v_fma_mixlo_f16 v10, v10, v14, 0
	v_lshlrev_b32_e32 v10, 16, v10
	v_or_b32_sdwa v10, v10, v15 dst_sel:DWORD dst_unused:UNUSED_PAD src0_sel:DWORD src1_sel:WORD_0
	s_and_saveexec_b64 s[8:9], vcc
	s_cbranch_execz .LBB286_90
; %bb.140:                              ;   in Loop: Header=BB286_91 Depth=1
	v_add_u32_e32 v14, 1, v19
	v_lshrrev_b32_e32 v16, 16, v12
	v_cmp_gt_i32_e32 vcc, s18, v14
	v_cndmask_b32_e32 v14, 0, v16, vcc
	v_cmp_gt_i32_e32 vcc, s29, v19
	v_cndmask_b32_e32 v12, 0, v12, vcc
	v_perm_b32 v12, v14, v12, s30
	v_or_b32_e32 v14, 3, v19
	v_or_b32_e32 v16, 2, v19
	v_lshrrev_b32_e32 v17, 16, v4
	v_cmp_gt_i32_e32 vcc, s18, v14
	v_cndmask_b32_e32 v14, 0, v17, vcc
	v_cmp_gt_i32_e32 vcc, s29, v16
	v_cndmask_b32_e32 v4, 0, v4, vcc
	v_perm_b32 v4, v14, v4, s30
	v_or_b32_e32 v14, 5, v19
	v_or_b32_e32 v16, 4, v19
	;; [unrolled: 8-line block ×3, first 2 shown]
	v_lshrrev_b32_e32 v10, 16, v10
	v_cmp_gt_i32_e32 vcc, s18, v14
	v_cndmask_b32_e32 v10, 0, v10, vcc
	v_cmp_gt_i32_e32 vcc, s29, v16
	v_cndmask_b32_e32 v14, 0, v15, vcc
	v_perm_b32 v10, v10, v14, s30
	s_branch .LBB286_90
.LBB286_141:
	s_or_b64 exec, exec, s[6:7]
.LBB286_142:
	s_or_b64 exec, exec, s[4:5]
	ds_bpermute_b32 v1, v18, v20
	v_and_b32_e32 v2, 0x3c1, v0
	v_cmp_eq_u32_e32 vcc, 64, v2
	s_waitcnt lgkmcnt(0)
	s_barrier
	v_add_f32_e32 v1, v20, v1
	s_and_saveexec_b64 s[0:1], vcc
	s_cbranch_execz .LBB286_144
; %bb.143:
	v_mov_b32_e32 v3, 0x50
	v_lshl_add_u32 v3, v11, 1, v3
	ds_write_b32 v3, v1
.LBB286_144:
	s_or_b64 exec, exec, s[0:1]
	v_cmp_eq_u32_e32 vcc, 0, v2
	s_waitcnt lgkmcnt(0)
	s_barrier
	s_and_saveexec_b64 s[0:1], vcc
	s_cbranch_execz .LBB286_146
; %bb.145:
	v_mov_b32_e32 v2, 0x50
	v_lshl_add_u32 v2, v0, 1, v2
	ds_read_b32 v2, v2
	s_waitcnt lgkmcnt(0)
	v_add_f32_e32 v1, v1, v2
.LBB286_146:
	s_or_b64 exec, exec, s[0:1]
	s_barrier
	s_and_saveexec_b64 s[0:1], vcc
	s_cbranch_execz .LBB286_148
; %bb.147:
	s_lshl_b32 s0, s2, 5
	s_ashr_i32 s1, s0, 31
	s_lshl_b64 s[0:1], s[0:1], 1
	s_add_u32 s2, s26, s0
	s_mul_i32 s0, s25, s24
	s_addc_u32 s3, s27, s1
	s_ashr_i32 s1, s0, 31
	s_lshl_b64 s[0:1], s[0:1], 1
	s_add_u32 s2, s2, s0
	s_addc_u32 s3, s3, s1
	s_ashr_i32 s17, s16, 31
	s_lshl_b64 s[0:1], s[16:17], 1
	s_add_u32 s0, s2, s0
	s_addc_u32 s1, s3, s1
	;;#ASMSTART
	v_cvt_f16_f32 v1, v1;

	;;#ASMEND
	global_store_short v0, v1, s[0:1]
.LBB286_148:
	s_endpgm
	.section	.rodata,"a",@progbits
	.p2align	6, 0x0
	.amdhsa_kernel _ZN4vllm25paged_attention_v2_kernelIthLi32ELi16ELi128ELNS_18Fp8KVCacheDataTypeE1ELb0ELi512EEEvPfS2_PT_PKS3_PKT0_S9_ifPKiSB_iPKfiiiSD_SD_iiiii
		.amdhsa_group_segment_fixed_size 80
		.amdhsa_private_segment_fixed_size 0
		.amdhsa_kernarg_size 400
		.amdhsa_user_sgpr_count 6
		.amdhsa_user_sgpr_private_segment_buffer 1
		.amdhsa_user_sgpr_dispatch_ptr 0
		.amdhsa_user_sgpr_queue_ptr 0
		.amdhsa_user_sgpr_kernarg_segment_ptr 1
		.amdhsa_user_sgpr_dispatch_id 0
		.amdhsa_user_sgpr_flat_scratch_init 0
		.amdhsa_user_sgpr_kernarg_preload_length 0
		.amdhsa_user_sgpr_kernarg_preload_offset 0
		.amdhsa_user_sgpr_private_segment_size 0
		.amdhsa_uses_dynamic_stack 0
		.amdhsa_system_sgpr_private_segment_wavefront_offset 0
		.amdhsa_system_sgpr_workgroup_id_x 1
		.amdhsa_system_sgpr_workgroup_id_y 1
		.amdhsa_system_sgpr_workgroup_id_z 1
		.amdhsa_system_sgpr_workgroup_info 0
		.amdhsa_system_vgpr_workitem_id 0
		.amdhsa_next_free_vgpr 37
		.amdhsa_next_free_sgpr 53
		.amdhsa_accum_offset 40
		.amdhsa_reserve_vcc 1
		.amdhsa_reserve_flat_scratch 0
		.amdhsa_float_round_mode_32 0
		.amdhsa_float_round_mode_16_64 0
		.amdhsa_float_denorm_mode_32 3
		.amdhsa_float_denorm_mode_16_64 3
		.amdhsa_dx10_clamp 1
		.amdhsa_ieee_mode 1
		.amdhsa_fp16_overflow 0
		.amdhsa_tg_split 0
		.amdhsa_exception_fp_ieee_invalid_op 0
		.amdhsa_exception_fp_denorm_src 0
		.amdhsa_exception_fp_ieee_div_zero 0
		.amdhsa_exception_fp_ieee_overflow 0
		.amdhsa_exception_fp_ieee_underflow 0
		.amdhsa_exception_fp_ieee_inexact 0
		.amdhsa_exception_int_div_zero 0
	.end_amdhsa_kernel
	.section	.text._ZN4vllm25paged_attention_v2_kernelIthLi32ELi16ELi128ELNS_18Fp8KVCacheDataTypeE1ELb0ELi512EEEvPfS2_PT_PKS3_PKT0_S9_ifPKiSB_iPKfiiiSD_SD_iiiii,"axG",@progbits,_ZN4vllm25paged_attention_v2_kernelIthLi32ELi16ELi128ELNS_18Fp8KVCacheDataTypeE1ELb0ELi512EEEvPfS2_PT_PKS3_PKT0_S9_ifPKiSB_iPKfiiiSD_SD_iiiii,comdat
.Lfunc_end286:
	.size	_ZN4vllm25paged_attention_v2_kernelIthLi32ELi16ELi128ELNS_18Fp8KVCacheDataTypeE1ELb0ELi512EEEvPfS2_PT_PKS3_PKT0_S9_ifPKiSB_iPKfiiiSD_SD_iiiii, .Lfunc_end286-_ZN4vllm25paged_attention_v2_kernelIthLi32ELi16ELi128ELNS_18Fp8KVCacheDataTypeE1ELb0ELi512EEEvPfS2_PT_PKS3_PKT0_S9_ifPKiSB_iPKfiiiSD_SD_iiiii
                                        ; -- End function
	.section	.AMDGPU.csdata,"",@progbits
; Kernel info:
; codeLenInByte = 6800
; NumSgprs: 57
; NumVgprs: 37
; NumAgprs: 0
; TotalNumVgprs: 37
; ScratchSize: 0
; MemoryBound: 0
; FloatMode: 240
; IeeeMode: 1
; LDSByteSize: 80 bytes/workgroup (compile time only)
; SGPRBlocks: 7
; VGPRBlocks: 4
; NumSGPRsForWavesPerEU: 57
; NumVGPRsForWavesPerEU: 37
; AccumOffset: 40
; Occupancy: 8
; WaveLimiterHint : 1
; COMPUTE_PGM_RSRC2:SCRATCH_EN: 0
; COMPUTE_PGM_RSRC2:USER_SGPR: 6
; COMPUTE_PGM_RSRC2:TRAP_HANDLER: 0
; COMPUTE_PGM_RSRC2:TGID_X_EN: 1
; COMPUTE_PGM_RSRC2:TGID_Y_EN: 1
; COMPUTE_PGM_RSRC2:TGID_Z_EN: 1
; COMPUTE_PGM_RSRC2:TIDIG_COMP_CNT: 0
; COMPUTE_PGM_RSRC3_GFX90A:ACCUM_OFFSET: 9
; COMPUTE_PGM_RSRC3_GFX90A:TG_SPLIT: 0
	.section	.text._ZN4vllm25paged_attention_v2_kernelIthLi64ELi16ELi128ELNS_18Fp8KVCacheDataTypeE1ELb0ELi512EEEvPfS2_PT_PKS3_PKT0_S9_ifPKiSB_iPKfiiiSD_SD_iiiii,"axG",@progbits,_ZN4vllm25paged_attention_v2_kernelIthLi64ELi16ELi128ELNS_18Fp8KVCacheDataTypeE1ELb0ELi512EEEvPfS2_PT_PKS3_PKT0_S9_ifPKiSB_iPKfiiiSD_SD_iiiii,comdat
	.protected	_ZN4vllm25paged_attention_v2_kernelIthLi64ELi16ELi128ELNS_18Fp8KVCacheDataTypeE1ELb0ELi512EEEvPfS2_PT_PKS3_PKT0_S9_ifPKiSB_iPKfiiiSD_SD_iiiii ; -- Begin function _ZN4vllm25paged_attention_v2_kernelIthLi64ELi16ELi128ELNS_18Fp8KVCacheDataTypeE1ELb0ELi512EEEvPfS2_PT_PKS3_PKT0_S9_ifPKiSB_iPKfiiiSD_SD_iiiii
	.globl	_ZN4vllm25paged_attention_v2_kernelIthLi64ELi16ELi128ELNS_18Fp8KVCacheDataTypeE1ELb0ELi512EEEvPfS2_PT_PKS3_PKT0_S9_ifPKiSB_iPKfiiiSD_SD_iiiii
	.p2align	8
	.type	_ZN4vllm25paged_attention_v2_kernelIthLi64ELi16ELi128ELNS_18Fp8KVCacheDataTypeE1ELb0ELi512EEEvPfS2_PT_PKS3_PKT0_S9_ifPKiSB_iPKfiiiSD_SD_iiiii,@function
_ZN4vllm25paged_attention_v2_kernelIthLi64ELi16ELi128ELNS_18Fp8KVCacheDataTypeE1ELb0ELi512EEEvPfS2_PT_PKS3_PKT0_S9_ifPKiSB_iPKfiiiSD_SD_iiiii: ; @_ZN4vllm25paged_attention_v2_kernelIthLi64ELi16ELi128ELNS_18Fp8KVCacheDataTypeE1ELb0ELi512EEEvPfS2_PT_PKS3_PKT0_S9_ifPKiSB_iPKfiiiSD_SD_iiiii
; %bb.0:
	s_load_dwordx2 s[0:1], s[4:5], 0x40
	s_mov_b32 s28, s7
	s_ashr_i32 s29, s7, 31
	s_lshl_b64 s[2:3], s[28:29], 2
	s_waitcnt lgkmcnt(0)
	s_add_u32 s0, s0, s2
	s_addc_u32 s1, s1, s3
	s_load_dword s29, s[0:1], 0x0
	s_lshl_b32 s46, s8, 9
	s_waitcnt lgkmcnt(0)
	s_cmp_ge_i32 s46, s29
	s_cbranch_scc1 .LBB287_250
; %bb.1:
	s_load_dword s9, s[4:5], 0x90
	s_load_dwordx2 s[10:11], s[4:5], 0x30
	s_mov_b32 s47, 0
	s_waitcnt lgkmcnt(0)
	s_abs_i32 s2, s9
	s_abs_i32 s0, s10
	v_cvt_f32_u32_e32 v1, s0
	s_sub_i32 s3, 0, s0
	s_xor_b32 s1, s9, s10
	s_ashr_i32 s1, s1, 31
	v_rcp_iflag_f32_e32 v1, v1
	v_mul_f32_e32 v1, 0x4f7ffffe, v1
	v_cvt_u32_f32_e32 v1, v1
	v_readfirstlane_b32 s7, v1
	s_mul_i32 s3, s3, s7
	s_mul_hi_u32 s3, s7, s3
	s_add_i32 s7, s7, s3
	s_mul_hi_u32 s3, s2, s7
	s_mul_i32 s7, s3, s0
	s_sub_i32 s2, s2, s7
	s_add_i32 s10, s3, 1
	s_sub_i32 s7, s2, s0
	s_cmp_ge_u32 s2, s0
	s_cselect_b32 s3, s10, s3
	s_cselect_b32 s2, s7, s2
	s_add_i32 s7, s3, 1
	s_cmp_ge_u32 s2, s0
	s_cselect_b32 s0, s7, s3
	s_xor_b32 s0, s0, s1
	s_sub_i32 s10, s0, s1
	s_abs_i32 s2, s10
	v_cvt_f32_u32_e32 v1, s2
	s_load_dwordx2 s[0:1], s[4:5], 0x50
	s_sub_i32 s7, 0, s2
	s_abs_i32 s3, s6
	v_rcp_iflag_f32_e32 v1, v1
	v_mul_f32_e32 v1, 0x4f7ffffe, v1
	v_cvt_u32_f32_e32 v1, v1
	v_readfirstlane_b32 s12, v1
	s_mul_i32 s7, s7, s12
	s_mul_hi_u32 s7, s12, s7
	s_add_i32 s12, s12, s7
	s_waitcnt lgkmcnt(0)
	s_cmp_eq_u64 s[0:1], 0
	s_mul_hi_u32 s12, s3, s12
	s_cbranch_scc1 .LBB287_3
; %bb.2:
	s_ashr_i32 s7, s6, 31
	s_lshl_b64 s[14:15], s[6:7], 2
	s_add_u32 s0, s0, s14
	s_addc_u32 s1, s1, s15
	s_load_dword s47, s[0:1], 0x0
.LBB287_3:
	s_load_dwordx4 s[16:19], s[4:5], 0x58
	s_ashr_i32 s7, s6, 31
	s_ashr_i32 s13, s10, 31
	v_and_b32_e32 v8, 3, v0
	s_lshl_b32 s24, s6, 6
	v_cmp_gt_u32_e32 vcc, 32, v0
	s_and_saveexec_b64 s[0:1], vcc
	s_cbranch_execz .LBB287_5
; %bb.4:
	s_load_dwordx2 s[14:15], s[4:5], 0x18
	s_waitcnt lgkmcnt(0)
	s_mul_i32 s20, s28, s16
	s_ashr_i32 s21, s20, 31
	s_lshl_b64 s[20:21], s[20:21], 1
	v_lshlrev_b32_e32 v1, 2, v0
	s_add_u32 s10, s14, s20
	s_addc_u32 s16, s15, s21
	s_ashr_i32 s25, s24, 31
	s_lshl_b64 s[14:15], s[24:25], 1
	s_add_u32 s14, s10, s14
	s_addc_u32 s15, s16, s15
	global_load_dword v1, v1, s[14:15]
	v_and_b32_e32 v2, 0x3fc, v0
	v_lshl_add_u32 v2, v8, 5, v2
	s_waitcnt vmcnt(0)
	ds_write_b32 v2, v1
.LBB287_5:
	s_or_b64 exec, exec, s[0:1]
	s_add_i32 s0, s29, 15
	s_ashr_i32 s1, s0, 31
	s_lshr_b32 s1, s1, 28
	s_add_i32 s0, s0, s1
	s_lshl_b32 s10, s8, 5
	s_mul_i32 s1, s12, s2
	s_waitcnt lgkmcnt(0)
	s_ashr_i32 s16, s0, 4
	s_add_i32 s0, s10, 32
	s_sub_i32 s1, s3, s1
	s_min_i32 s33, s0, s16
	s_xor_b32 s0, s7, s13
	s_add_i32 s3, s12, 1
	s_sub_i32 s7, s1, s2
	s_cmp_ge_u32 s1, s2
	s_cselect_b32 s3, s3, s12
	s_cselect_b32 s1, s7, s1
	s_add_i32 s7, s3, 1
	s_cmp_ge_u32 s1, s2
	s_load_dwordx2 s[30:31], s[4:5], 0x38
	s_load_dword s2, s[4:5], 0x48
	v_lshrrev_b32_e32 v1, 6, v0
	s_cselect_b32 s1, s7, s3
	s_xor_b32 s1, s1, s0
	v_or_b32_e32 v2, s10, v1
	s_waitcnt lgkmcnt(0)
	s_mul_i32 s34, s28, s2
	s_sub_i32 s7, s1, s0
	s_ashr_i32 s35, s34, 31
	v_cmp_gt_i32_e64 s[0:1], s33, v2
	v_cmp_le_i32_e32 vcc, s33, v2
	v_mbcnt_lo_u32_b32 v11, -1, 0
	s_barrier
	s_waitcnt lgkmcnt(0)
                                        ; implicit-def: $sgpr19
                                        ; implicit-def: $vgpr7
                                        ; implicit-def: $vgpr10
	s_and_saveexec_b64 s[2:3], vcc
	s_xor_b64 s[2:3], exec, s[2:3]
; %bb.6:
	v_mbcnt_hi_u32_b32 v7, -1, v11
	v_and_b32_e32 v3, 64, v7
	v_add_u32_e32 v10, 64, v3
	s_mov_b32 s19, 0xff7fffff
                                        ; implicit-def: $vgpr8
                                        ; implicit-def: $vgpr11
; %bb.7:
	s_or_saveexec_b64 s[38:39], s[2:3]
	s_load_dwordx4 s[20:23], s[4:5], 0x0
	s_load_dwordx2 s[26:27], s[4:5], 0x10
	s_load_dword s25, s[4:5], 0x98
	s_load_dwordx2 s[36:37], s[4:5], 0x28
	s_load_dwordx4 s[12:15], s[4:5], 0x68
	v_mov_b32_e32 v14, s19
	s_mul_i32 s7, s7, s18
	v_ashrrev_i32_e32 v3, 31, v2
	v_lshlrev_b32_e32 v13, 4, v1
	s_xor_b64 exec, exec, s[38:39]
	s_cbranch_execz .LBB287_109
; %bb.8:
	s_load_dwordx2 s[2:3], s[4:5], 0x20
	s_ashr_i32 s4, s7, 31
	v_bfe_u32 v7, v0, 2, 4
	v_lshlrev_b32_e32 v4, 4, v7
	v_add3_u32 v17, s46, v13, v7
	s_waitcnt lgkmcnt(0)
	s_add_u32 s2, s2, s7
	s_addc_u32 s3, s3, s4
	v_mov_b32_e32 v5, s3
	v_add_co_u32_e32 v4, vcc, s2, v4
	s_sub_i32 s49, 1, s29
	s_lshl_b64 s[4:5], s[34:35], 2
	v_addc_co_u32_e32 v5, vcc, 0, v5, vcc
	v_lshlrev_b32_e32 v7, 2, v7
	s_add_u32 s4, s30, s4
	v_lshlrev_b32_e32 v6, 1, v8
	v_lshlrev_b32_e32 v16, 5, v8
	v_cmp_eq_u32_e32 vcc, 0, v8
	v_lshl_or_b32 v7, v1, 6, v7
	v_lshlrev_b64 v[8:9], 2, v[2:3]
	s_addc_u32 s5, s31, s5
	v_add_u32_e32 v18, 0x90, v7
	v_mov_b32_e32 v7, s5
	v_add_co_u32_e64 v8, s[4:5], s4, v8
	s_mov_b32 s48, s17
	v_mov_b32_e32 v15, 0
	v_cmp_neq_f32_e64 s[2:3], s47, 0
	v_addc_co_u32_e64 v9, s[4:5], v7, v9, s[4:5]
	s_mov_b64 s[18:19], 0
	v_mov_b32_e32 v14, 0xff7fffff
	s_movk_i32 s50, 0x80
	s_movk_i32 s51, 0x7f
	s_mov_b32 s52, 0x8000
	v_mbcnt_hi_u32_b32 v7, -1, v11
	v_mov_b32_e32 v19, 0x2000
	v_mov_b32_e32 v20, v2
	s_branch .LBB287_10
.LBB287_9:                              ;   in Loop: Header=BB287_10 Depth=1
	s_or_b64 exec, exec, s[40:41]
	v_add_u32_e32 v20, 2, v20
	v_cmp_le_i32_e64 s[4:5], s33, v20
	s_or_b64 s[18:19], s[4:5], s[18:19]
	v_add_co_u32_e64 v8, s[4:5], 8, v8
	v_add_u32_e32 v17, 32, v17
	v_add_u32_e32 v18, 0x80, v18
	v_addc_co_u32_e64 v9, s[4:5], 0, v9, s[4:5]
	s_andn2_b64 exec, exec, s[18:19]
	s_cbranch_execz .LBB287_108
.LBB287_10:                             ; =>This Inner Loop Header: Depth=1
	global_load_dword v10, v[8:9], off
	s_waitcnt vmcnt(0)
	v_mad_i64_i32 v[10:11], s[4:5], v10, s48, v[4:5]
	v_add_co_u32_e64 v10, s[4:5], v10, v6
	v_addc_co_u32_e64 v11, s[4:5], 0, v11, s[4:5]
	global_load_ushort v22, v[10:11], off
	global_load_dword v21, v15, s[12:13]
	s_waitcnt vmcnt(1) lgkmcnt(0)
	v_and_b32_e32 v12, 0xffff, v22
	v_cmp_ne_u16_sdwa s[4:5], v22, v15 src0_sel:BYTE_0 src1_sel:DWORD
	v_mov_b32_e32 v22, 0
	s_and_saveexec_b64 s[40:41], s[4:5]
	s_cbranch_execz .LBB287_16
; %bb.11:                               ;   in Loop: Header=BB287_10 Depth=1
	v_cmp_ne_u16_sdwa s[4:5], v12, s50 src0_sel:BYTE_0 src1_sel:DWORD
	v_bfrev_b32_e32 v22, 1
	s_and_saveexec_b64 s[42:43], s[4:5]
	s_cbranch_execz .LBB287_15
; %bb.12:                               ;   in Loop: Header=BB287_10 Depth=1
	v_and_b32_e32 v23, 0x7f, v12
	v_cmp_ne_u32_e64 s[4:5], s51, v23
	v_mov_b32_e32 v22, 0x7fc02000
	s_and_saveexec_b64 s[44:45], s[4:5]
	s_cbranch_execz .LBB287_14
; %bb.13:                               ;   in Loop: Header=BB287_10 Depth=1
	v_and_b32_e32 v22, 7, v12
	v_ffbh_u32_e32 v24, v22
	v_min_u32_e32 v27, 32, v24
	v_subrev_u32_e32 v24, 28, v27
	v_lshlrev_b64 v[24:25], v24, v[12:13]
	v_lshrrev_b32_e32 v26, 3, v23
	v_sub_u32_e32 v25, 29, v27
	v_cmp_gt_u32_e64 s[4:5], 8, v23
	v_and_b32_e32 v24, 7, v24
	v_cndmask_b32_e64 v23, v26, v25, s[4:5]
	v_cndmask_b32_e64 v22, v22, v24, s[4:5]
	v_lshlrev_b32_e32 v24, 8, v12
	v_lshl_add_u32 v23, v23, 10, v19
	v_and_or_b32 v23, v24, s52, v23
	v_lshl_or_b32 v22, v22, 7, v23
	v_cvt_f32_f16_e32 v22, v22
.LBB287_14:                             ;   in Loop: Header=BB287_10 Depth=1
	s_or_b64 exec, exec, s[44:45]
.LBB287_15:                             ;   in Loop: Header=BB287_10 Depth=1
	s_or_b64 exec, exec, s[42:43]
.LBB287_16:                             ;   in Loop: Header=BB287_10 Depth=1
	s_or_b64 exec, exec, s[40:41]
	v_lshrrev_b16_e32 v12, 8, v12
	v_cmp_ne_u16_e64 s[4:5], 0, v12
	v_mov_b32_e32 v23, 0
	v_mov_b32_e32 v24, 0
	s_and_saveexec_b64 s[40:41], s[4:5]
	s_cbranch_execz .LBB287_22
; %bb.17:                               ;   in Loop: Header=BB287_10 Depth=1
	v_cmp_ne_u16_e64 s[4:5], s50, v12
	v_bfrev_b32_e32 v24, 1
	s_and_saveexec_b64 s[42:43], s[4:5]
	s_cbranch_execz .LBB287_21
; %bb.18:                               ;   in Loop: Header=BB287_10 Depth=1
	v_and_b32_e32 v25, 0x7f, v12
	v_cmp_ne_u32_e64 s[4:5], s51, v25
	v_mov_b32_e32 v24, 0x7fc02000
	s_and_saveexec_b64 s[44:45], s[4:5]
	s_cbranch_execz .LBB287_20
; %bb.19:                               ;   in Loop: Header=BB287_10 Depth=1
	v_and_b32_e32 v24, 7, v12
	v_ffbh_u32_e32 v26, v24
	v_min_u32_e32 v29, 32, v26
	v_subrev_u32_e32 v26, 28, v29
	v_lshlrev_b64 v[26:27], v26, v[12:13]
	v_lshrrev_b32_e32 v28, 3, v25
	v_sub_u32_e32 v27, 29, v29
	v_cmp_gt_u32_e64 s[4:5], 8, v25
	v_cndmask_b32_e64 v25, v28, v27, s[4:5]
	v_and_b32_e32 v26, 7, v26
	v_lshlrev_b32_e32 v12, 8, v12
	v_lshl_add_u32 v25, v25, 10, v19
	v_cndmask_b32_e64 v24, v24, v26, s[4:5]
	v_and_or_b32 v12, v12, s52, v25
	v_lshl_or_b32 v12, v24, 7, v12
	v_cvt_f32_f16_e32 v24, v12
.LBB287_20:                             ;   in Loop: Header=BB287_10 Depth=1
	s_or_b64 exec, exec, s[44:45]
.LBB287_21:                             ;   in Loop: Header=BB287_10 Depth=1
	s_or_b64 exec, exec, s[42:43]
.LBB287_22:                             ;   in Loop: Header=BB287_10 Depth=1
	s_or_b64 exec, exec, s[40:41]
	global_load_ushort v25, v[10:11], off offset:8
	s_waitcnt vmcnt(0)
	v_and_b32_e32 v12, 0xffff, v25
	v_cmp_ne_u16_sdwa s[4:5], v25, v15 src0_sel:BYTE_0 src1_sel:DWORD
	s_and_saveexec_b64 s[40:41], s[4:5]
	s_cbranch_execz .LBB287_28
; %bb.23:                               ;   in Loop: Header=BB287_10 Depth=1
	v_cmp_ne_u16_sdwa s[4:5], v12, s50 src0_sel:BYTE_0 src1_sel:DWORD
	v_bfrev_b32_e32 v23, 1
	s_and_saveexec_b64 s[42:43], s[4:5]
	s_cbranch_execz .LBB287_27
; %bb.24:                               ;   in Loop: Header=BB287_10 Depth=1
	v_and_b32_e32 v25, 0x7f, v12
	v_cmp_ne_u32_e64 s[4:5], s51, v25
	v_mov_b32_e32 v23, 0x7fc02000
	s_and_saveexec_b64 s[44:45], s[4:5]
	s_cbranch_execz .LBB287_26
; %bb.25:                               ;   in Loop: Header=BB287_10 Depth=1
	v_and_b32_e32 v23, 7, v12
	v_ffbh_u32_e32 v26, v23
	v_min_u32_e32 v29, 32, v26
	v_subrev_u32_e32 v26, 28, v29
	v_lshlrev_b64 v[26:27], v26, v[12:13]
	v_lshrrev_b32_e32 v28, 3, v25
	v_sub_u32_e32 v27, 29, v29
	v_cmp_gt_u32_e64 s[4:5], 8, v25
	v_and_b32_e32 v26, 7, v26
	v_cndmask_b32_e64 v25, v28, v27, s[4:5]
	v_cndmask_b32_e64 v23, v23, v26, s[4:5]
	v_lshlrev_b32_e32 v26, 8, v12
	v_lshl_add_u32 v25, v25, 10, v19
	v_and_or_b32 v25, v26, s52, v25
	v_lshl_or_b32 v23, v23, 7, v25
	v_cvt_f32_f16_e32 v23, v23
.LBB287_26:                             ;   in Loop: Header=BB287_10 Depth=1
	s_or_b64 exec, exec, s[44:45]
.LBB287_27:                             ;   in Loop: Header=BB287_10 Depth=1
	s_or_b64 exec, exec, s[42:43]
.LBB287_28:                             ;   in Loop: Header=BB287_10 Depth=1
	s_or_b64 exec, exec, s[40:41]
	v_lshrrev_b16_e32 v12, 8, v12
	v_cmp_ne_u16_e64 s[4:5], 0, v12
	v_mov_b32_e32 v25, 0
	v_mov_b32_e32 v26, 0
	s_and_saveexec_b64 s[40:41], s[4:5]
	s_cbranch_execz .LBB287_34
; %bb.29:                               ;   in Loop: Header=BB287_10 Depth=1
	v_cmp_ne_u16_e64 s[4:5], s50, v12
	v_bfrev_b32_e32 v26, 1
	s_and_saveexec_b64 s[42:43], s[4:5]
	s_cbranch_execz .LBB287_33
; %bb.30:                               ;   in Loop: Header=BB287_10 Depth=1
	v_and_b32_e32 v27, 0x7f, v12
	v_cmp_ne_u32_e64 s[4:5], s51, v27
	v_mov_b32_e32 v26, 0x7fc02000
	s_and_saveexec_b64 s[44:45], s[4:5]
	s_cbranch_execz .LBB287_32
; %bb.31:                               ;   in Loop: Header=BB287_10 Depth=1
	v_and_b32_e32 v26, 7, v12
	v_ffbh_u32_e32 v28, v26
	v_min_u32_e32 v31, 32, v28
	v_subrev_u32_e32 v28, 28, v31
	v_lshlrev_b64 v[28:29], v28, v[12:13]
	v_lshrrev_b32_e32 v30, 3, v27
	v_sub_u32_e32 v29, 29, v31
	v_cmp_gt_u32_e64 s[4:5], 8, v27
	v_cndmask_b32_e64 v27, v30, v29, s[4:5]
	v_and_b32_e32 v28, 7, v28
	v_lshlrev_b32_e32 v12, 8, v12
	v_lshl_add_u32 v27, v27, 10, v19
	v_cndmask_b32_e64 v26, v26, v28, s[4:5]
	v_and_or_b32 v12, v12, s52, v27
	v_lshl_or_b32 v12, v26, 7, v12
	v_cvt_f32_f16_e32 v26, v12
.LBB287_32:                             ;   in Loop: Header=BB287_10 Depth=1
	s_or_b64 exec, exec, s[44:45]
.LBB287_33:                             ;   in Loop: Header=BB287_10 Depth=1
	s_or_b64 exec, exec, s[42:43]
.LBB287_34:                             ;   in Loop: Header=BB287_10 Depth=1
	s_or_b64 exec, exec, s[40:41]
	global_load_ushort v27, v[10:11], off offset:256
	s_waitcnt vmcnt(0)
	v_and_b32_e32 v12, 0xffff, v27
	v_cmp_ne_u16_sdwa s[4:5], v27, v15 src0_sel:BYTE_0 src1_sel:DWORD
	s_and_saveexec_b64 s[40:41], s[4:5]
	s_cbranch_execz .LBB287_40
; %bb.35:                               ;   in Loop: Header=BB287_10 Depth=1
	v_cmp_ne_u16_sdwa s[4:5], v12, s50 src0_sel:BYTE_0 src1_sel:DWORD
	v_bfrev_b32_e32 v25, 1
	s_and_saveexec_b64 s[42:43], s[4:5]
	s_cbranch_execz .LBB287_39
; %bb.36:                               ;   in Loop: Header=BB287_10 Depth=1
	v_and_b32_e32 v27, 0x7f, v12
	v_cmp_ne_u32_e64 s[4:5], s51, v27
	v_mov_b32_e32 v25, 0x7fc02000
	s_and_saveexec_b64 s[44:45], s[4:5]
	s_cbranch_execz .LBB287_38
; %bb.37:                               ;   in Loop: Header=BB287_10 Depth=1
	v_and_b32_e32 v25, 7, v12
	v_ffbh_u32_e32 v28, v25
	v_min_u32_e32 v31, 32, v28
	v_subrev_u32_e32 v28, 28, v31
	v_lshlrev_b64 v[28:29], v28, v[12:13]
	v_lshrrev_b32_e32 v30, 3, v27
	v_sub_u32_e32 v29, 29, v31
	v_cmp_gt_u32_e64 s[4:5], 8, v27
	v_and_b32_e32 v28, 7, v28
	v_cndmask_b32_e64 v27, v30, v29, s[4:5]
	v_cndmask_b32_e64 v25, v25, v28, s[4:5]
	v_lshlrev_b32_e32 v28, 8, v12
	v_lshl_add_u32 v27, v27, 10, v19
	v_and_or_b32 v27, v28, s52, v27
	v_lshl_or_b32 v25, v25, 7, v27
	v_cvt_f32_f16_e32 v25, v25
.LBB287_38:                             ;   in Loop: Header=BB287_10 Depth=1
	s_or_b64 exec, exec, s[44:45]
.LBB287_39:                             ;   in Loop: Header=BB287_10 Depth=1
	s_or_b64 exec, exec, s[42:43]
.LBB287_40:                             ;   in Loop: Header=BB287_10 Depth=1
	s_or_b64 exec, exec, s[40:41]
	v_lshrrev_b16_e32 v12, 8, v12
	v_cmp_ne_u16_e64 s[4:5], 0, v12
	v_mov_b32_e32 v27, 0
	v_mov_b32_e32 v28, 0
	s_and_saveexec_b64 s[40:41], s[4:5]
	s_cbranch_execz .LBB287_46
; %bb.41:                               ;   in Loop: Header=BB287_10 Depth=1
	v_cmp_ne_u16_e64 s[4:5], s50, v12
	v_bfrev_b32_e32 v28, 1
	s_and_saveexec_b64 s[42:43], s[4:5]
	s_cbranch_execz .LBB287_45
; %bb.42:                               ;   in Loop: Header=BB287_10 Depth=1
	v_and_b32_e32 v29, 0x7f, v12
	v_cmp_ne_u32_e64 s[4:5], s51, v29
	v_mov_b32_e32 v28, 0x7fc02000
	s_and_saveexec_b64 s[44:45], s[4:5]
	s_cbranch_execz .LBB287_44
; %bb.43:                               ;   in Loop: Header=BB287_10 Depth=1
	v_and_b32_e32 v28, 7, v12
	v_ffbh_u32_e32 v30, v28
	v_min_u32_e32 v33, 32, v30
	v_subrev_u32_e32 v30, 28, v33
	v_lshlrev_b64 v[30:31], v30, v[12:13]
	v_lshrrev_b32_e32 v32, 3, v29
	v_sub_u32_e32 v31, 29, v33
	v_cmp_gt_u32_e64 s[4:5], 8, v29
	v_cndmask_b32_e64 v29, v32, v31, s[4:5]
	v_and_b32_e32 v30, 7, v30
	v_lshlrev_b32_e32 v12, 8, v12
	v_lshl_add_u32 v29, v29, 10, v19
	v_cndmask_b32_e64 v28, v28, v30, s[4:5]
	v_and_or_b32 v12, v12, s52, v29
	v_lshl_or_b32 v12, v28, 7, v12
	v_cvt_f32_f16_e32 v28, v12
.LBB287_44:                             ;   in Loop: Header=BB287_10 Depth=1
	s_or_b64 exec, exec, s[44:45]
.LBB287_45:                             ;   in Loop: Header=BB287_10 Depth=1
	s_or_b64 exec, exec, s[42:43]
.LBB287_46:                             ;   in Loop: Header=BB287_10 Depth=1
	s_or_b64 exec, exec, s[40:41]
	global_load_ushort v29, v[10:11], off offset:264
	s_waitcnt vmcnt(0)
	v_and_b32_e32 v12, 0xffff, v29
	v_cmp_ne_u16_sdwa s[4:5], v29, v15 src0_sel:BYTE_0 src1_sel:DWORD
	s_and_saveexec_b64 s[40:41], s[4:5]
	s_cbranch_execz .LBB287_52
; %bb.47:                               ;   in Loop: Header=BB287_10 Depth=1
	v_cmp_ne_u16_sdwa s[4:5], v12, s50 src0_sel:BYTE_0 src1_sel:DWORD
	v_bfrev_b32_e32 v27, 1
	s_and_saveexec_b64 s[42:43], s[4:5]
	s_cbranch_execz .LBB287_51
; %bb.48:                               ;   in Loop: Header=BB287_10 Depth=1
	v_and_b32_e32 v29, 0x7f, v12
	v_cmp_ne_u32_e64 s[4:5], s51, v29
	v_mov_b32_e32 v27, 0x7fc02000
	s_and_saveexec_b64 s[44:45], s[4:5]
	s_cbranch_execz .LBB287_50
; %bb.49:                               ;   in Loop: Header=BB287_10 Depth=1
	v_and_b32_e32 v27, 7, v12
	v_ffbh_u32_e32 v30, v27
	v_min_u32_e32 v33, 32, v30
	v_subrev_u32_e32 v30, 28, v33
	v_lshlrev_b64 v[30:31], v30, v[12:13]
	v_lshrrev_b32_e32 v32, 3, v29
	v_sub_u32_e32 v31, 29, v33
	v_cmp_gt_u32_e64 s[4:5], 8, v29
	v_and_b32_e32 v30, 7, v30
	v_cndmask_b32_e64 v29, v32, v31, s[4:5]
	v_cndmask_b32_e64 v27, v27, v30, s[4:5]
	v_lshlrev_b32_e32 v30, 8, v12
	v_lshl_add_u32 v29, v29, 10, v19
	v_and_or_b32 v29, v30, s52, v29
	v_lshl_or_b32 v27, v27, 7, v29
	v_cvt_f32_f16_e32 v27, v27
.LBB287_50:                             ;   in Loop: Header=BB287_10 Depth=1
	s_or_b64 exec, exec, s[44:45]
.LBB287_51:                             ;   in Loop: Header=BB287_10 Depth=1
	s_or_b64 exec, exec, s[42:43]
.LBB287_52:                             ;   in Loop: Header=BB287_10 Depth=1
	s_or_b64 exec, exec, s[40:41]
	v_lshrrev_b16_e32 v12, 8, v12
	v_cmp_ne_u16_e64 s[4:5], 0, v12
	v_mov_b32_e32 v30, 0
	v_mov_b32_e32 v29, 0
	s_and_saveexec_b64 s[40:41], s[4:5]
	s_cbranch_execz .LBB287_58
; %bb.53:                               ;   in Loop: Header=BB287_10 Depth=1
	v_cmp_ne_u16_e64 s[4:5], s50, v12
	v_bfrev_b32_e32 v29, 1
	s_and_saveexec_b64 s[42:43], s[4:5]
	s_cbranch_execz .LBB287_57
; %bb.54:                               ;   in Loop: Header=BB287_10 Depth=1
	v_and_b32_e32 v31, 0x7f, v12
	v_cmp_ne_u32_e64 s[4:5], s51, v31
	v_mov_b32_e32 v29, 0x7fc02000
	s_and_saveexec_b64 s[44:45], s[4:5]
	s_cbranch_execz .LBB287_56
; %bb.55:                               ;   in Loop: Header=BB287_10 Depth=1
	v_and_b32_e32 v29, 7, v12
	v_ffbh_u32_e32 v32, v29
	v_min_u32_e32 v35, 32, v32
	v_subrev_u32_e32 v32, 28, v35
	v_lshlrev_b64 v[32:33], v32, v[12:13]
	v_lshrrev_b32_e32 v34, 3, v31
	v_sub_u32_e32 v33, 29, v35
	v_cmp_gt_u32_e64 s[4:5], 8, v31
	v_cndmask_b32_e64 v31, v34, v33, s[4:5]
	v_and_b32_e32 v32, 7, v32
	v_lshlrev_b32_e32 v12, 8, v12
	v_lshl_add_u32 v31, v31, 10, v19
	v_cndmask_b32_e64 v29, v29, v32, s[4:5]
	v_and_or_b32 v12, v12, s52, v31
	v_lshl_or_b32 v12, v29, 7, v12
	v_cvt_f32_f16_e32 v29, v12
.LBB287_56:                             ;   in Loop: Header=BB287_10 Depth=1
	s_or_b64 exec, exec, s[44:45]
.LBB287_57:                             ;   in Loop: Header=BB287_10 Depth=1
	s_or_b64 exec, exec, s[42:43]
.LBB287_58:                             ;   in Loop: Header=BB287_10 Depth=1
	s_or_b64 exec, exec, s[40:41]
	global_load_ushort v31, v[10:11], off offset:512
	s_waitcnt vmcnt(0)
	v_and_b32_e32 v12, 0xffff, v31
	v_cmp_ne_u16_sdwa s[4:5], v31, v15 src0_sel:BYTE_0 src1_sel:DWORD
	s_and_saveexec_b64 s[40:41], s[4:5]
	s_cbranch_execz .LBB287_64
; %bb.59:                               ;   in Loop: Header=BB287_10 Depth=1
	v_cmp_ne_u16_sdwa s[4:5], v12, s50 src0_sel:BYTE_0 src1_sel:DWORD
	v_bfrev_b32_e32 v30, 1
	s_and_saveexec_b64 s[42:43], s[4:5]
	s_cbranch_execz .LBB287_63
; %bb.60:                               ;   in Loop: Header=BB287_10 Depth=1
	v_and_b32_e32 v31, 0x7f, v12
	v_cmp_ne_u32_e64 s[4:5], s51, v31
	v_mov_b32_e32 v30, 0x7fc02000
	s_and_saveexec_b64 s[44:45], s[4:5]
	s_cbranch_execz .LBB287_62
; %bb.61:                               ;   in Loop: Header=BB287_10 Depth=1
	v_and_b32_e32 v30, 7, v12
	v_ffbh_u32_e32 v32, v30
	v_min_u32_e32 v35, 32, v32
	v_subrev_u32_e32 v32, 28, v35
	v_lshlrev_b64 v[32:33], v32, v[12:13]
	v_lshrrev_b32_e32 v34, 3, v31
	v_sub_u32_e32 v33, 29, v35
	v_cmp_gt_u32_e64 s[4:5], 8, v31
	v_and_b32_e32 v32, 7, v32
	v_cndmask_b32_e64 v31, v34, v33, s[4:5]
	v_cndmask_b32_e64 v30, v30, v32, s[4:5]
	v_lshlrev_b32_e32 v32, 8, v12
	v_lshl_add_u32 v31, v31, 10, v19
	v_and_or_b32 v31, v32, s52, v31
	v_lshl_or_b32 v30, v30, 7, v31
	v_cvt_f32_f16_e32 v30, v30
.LBB287_62:                             ;   in Loop: Header=BB287_10 Depth=1
	s_or_b64 exec, exec, s[44:45]
.LBB287_63:                             ;   in Loop: Header=BB287_10 Depth=1
	s_or_b64 exec, exec, s[42:43]
.LBB287_64:                             ;   in Loop: Header=BB287_10 Depth=1
	s_or_b64 exec, exec, s[40:41]
	v_lshrrev_b16_e32 v12, 8, v12
	v_cmp_ne_u16_e64 s[4:5], 0, v12
	v_mov_b32_e32 v32, 0
	v_mov_b32_e32 v31, 0
	s_and_saveexec_b64 s[40:41], s[4:5]
	s_cbranch_execz .LBB287_70
; %bb.65:                               ;   in Loop: Header=BB287_10 Depth=1
	v_cmp_ne_u16_e64 s[4:5], s50, v12
	v_bfrev_b32_e32 v31, 1
	s_and_saveexec_b64 s[42:43], s[4:5]
	s_cbranch_execz .LBB287_69
; %bb.66:                               ;   in Loop: Header=BB287_10 Depth=1
	v_and_b32_e32 v33, 0x7f, v12
	v_cmp_ne_u32_e64 s[4:5], s51, v33
	v_mov_b32_e32 v31, 0x7fc02000
	s_and_saveexec_b64 s[44:45], s[4:5]
	s_cbranch_execz .LBB287_68
; %bb.67:                               ;   in Loop: Header=BB287_10 Depth=1
	v_and_b32_e32 v31, 7, v12
	v_ffbh_u32_e32 v34, v31
	v_min_u32_e32 v37, 32, v34
	v_subrev_u32_e32 v34, 28, v37
	v_lshlrev_b64 v[34:35], v34, v[12:13]
	v_lshrrev_b32_e32 v36, 3, v33
	v_sub_u32_e32 v35, 29, v37
	v_cmp_gt_u32_e64 s[4:5], 8, v33
	v_cndmask_b32_e64 v33, v36, v35, s[4:5]
	v_and_b32_e32 v34, 7, v34
	v_lshlrev_b32_e32 v12, 8, v12
	v_lshl_add_u32 v33, v33, 10, v19
	v_cndmask_b32_e64 v31, v31, v34, s[4:5]
	v_and_or_b32 v12, v12, s52, v33
	v_lshl_or_b32 v12, v31, 7, v12
	v_cvt_f32_f16_e32 v31, v12
.LBB287_68:                             ;   in Loop: Header=BB287_10 Depth=1
	s_or_b64 exec, exec, s[44:45]
.LBB287_69:                             ;   in Loop: Header=BB287_10 Depth=1
	s_or_b64 exec, exec, s[42:43]
.LBB287_70:                             ;   in Loop: Header=BB287_10 Depth=1
	s_or_b64 exec, exec, s[40:41]
	global_load_ushort v33, v[10:11], off offset:520
	s_waitcnt vmcnt(0)
	v_and_b32_e32 v12, 0xffff, v33
	v_cmp_ne_u16_sdwa s[4:5], v33, v15 src0_sel:BYTE_0 src1_sel:DWORD
	s_and_saveexec_b64 s[40:41], s[4:5]
	s_cbranch_execz .LBB287_76
; %bb.71:                               ;   in Loop: Header=BB287_10 Depth=1
	v_cmp_ne_u16_sdwa s[4:5], v12, s50 src0_sel:BYTE_0 src1_sel:DWORD
	v_bfrev_b32_e32 v32, 1
	s_and_saveexec_b64 s[42:43], s[4:5]
	s_cbranch_execz .LBB287_75
; %bb.72:                               ;   in Loop: Header=BB287_10 Depth=1
	v_and_b32_e32 v33, 0x7f, v12
	v_cmp_ne_u32_e64 s[4:5], s51, v33
	v_mov_b32_e32 v32, 0x7fc02000
	s_and_saveexec_b64 s[44:45], s[4:5]
	s_cbranch_execz .LBB287_74
; %bb.73:                               ;   in Loop: Header=BB287_10 Depth=1
	v_and_b32_e32 v32, 7, v12
	v_ffbh_u32_e32 v34, v32
	v_min_u32_e32 v37, 32, v34
	v_subrev_u32_e32 v34, 28, v37
	v_lshlrev_b64 v[34:35], v34, v[12:13]
	v_lshrrev_b32_e32 v36, 3, v33
	v_sub_u32_e32 v35, 29, v37
	v_cmp_gt_u32_e64 s[4:5], 8, v33
	v_and_b32_e32 v34, 7, v34
	v_cndmask_b32_e64 v33, v36, v35, s[4:5]
	v_cndmask_b32_e64 v32, v32, v34, s[4:5]
	v_lshlrev_b32_e32 v34, 8, v12
	v_lshl_add_u32 v33, v33, 10, v19
	v_and_or_b32 v33, v34, s52, v33
	v_lshl_or_b32 v32, v32, 7, v33
	v_cvt_f32_f16_e32 v32, v32
.LBB287_74:                             ;   in Loop: Header=BB287_10 Depth=1
	s_or_b64 exec, exec, s[44:45]
.LBB287_75:                             ;   in Loop: Header=BB287_10 Depth=1
	s_or_b64 exec, exec, s[42:43]
.LBB287_76:                             ;   in Loop: Header=BB287_10 Depth=1
	s_or_b64 exec, exec, s[40:41]
	v_lshrrev_b16_e32 v12, 8, v12
	v_cmp_ne_u16_e64 s[4:5], 0, v12
	v_mov_b32_e32 v34, 0
	v_mov_b32_e32 v33, 0
	s_and_saveexec_b64 s[40:41], s[4:5]
	s_cbranch_execz .LBB287_82
; %bb.77:                               ;   in Loop: Header=BB287_10 Depth=1
	v_cmp_ne_u16_e64 s[4:5], s50, v12
	v_bfrev_b32_e32 v33, 1
	s_and_saveexec_b64 s[42:43], s[4:5]
	s_cbranch_execz .LBB287_81
; %bb.78:                               ;   in Loop: Header=BB287_10 Depth=1
	v_and_b32_e32 v35, 0x7f, v12
	v_cmp_ne_u32_e64 s[4:5], s51, v35
	v_mov_b32_e32 v33, 0x7fc02000
	s_and_saveexec_b64 s[44:45], s[4:5]
	s_cbranch_execz .LBB287_80
; %bb.79:                               ;   in Loop: Header=BB287_10 Depth=1
	v_and_b32_e32 v33, 7, v12
	v_ffbh_u32_e32 v36, v33
	v_min_u32_e32 v39, 32, v36
	v_subrev_u32_e32 v36, 28, v39
	v_lshlrev_b64 v[36:37], v36, v[12:13]
	v_lshrrev_b32_e32 v38, 3, v35
	v_sub_u32_e32 v37, 29, v39
	v_cmp_gt_u32_e64 s[4:5], 8, v35
	v_cndmask_b32_e64 v35, v38, v37, s[4:5]
	v_and_b32_e32 v36, 7, v36
	v_lshlrev_b32_e32 v12, 8, v12
	v_lshl_add_u32 v35, v35, 10, v19
	v_cndmask_b32_e64 v33, v33, v36, s[4:5]
	v_and_or_b32 v12, v12, s52, v35
	v_lshl_or_b32 v12, v33, 7, v12
	v_cvt_f32_f16_e32 v33, v12
.LBB287_80:                             ;   in Loop: Header=BB287_10 Depth=1
	s_or_b64 exec, exec, s[44:45]
.LBB287_81:                             ;   in Loop: Header=BB287_10 Depth=1
	s_or_b64 exec, exec, s[42:43]
.LBB287_82:                             ;   in Loop: Header=BB287_10 Depth=1
	s_or_b64 exec, exec, s[40:41]
	global_load_ushort v35, v[10:11], off offset:768
	s_waitcnt vmcnt(0)
	v_and_b32_e32 v12, 0xffff, v35
	v_cmp_ne_u16_sdwa s[4:5], v35, v15 src0_sel:BYTE_0 src1_sel:DWORD
	s_and_saveexec_b64 s[40:41], s[4:5]
	s_cbranch_execz .LBB287_88
; %bb.83:                               ;   in Loop: Header=BB287_10 Depth=1
	v_cmp_ne_u16_sdwa s[4:5], v12, s50 src0_sel:BYTE_0 src1_sel:DWORD
	v_bfrev_b32_e32 v34, 1
	s_and_saveexec_b64 s[42:43], s[4:5]
	s_cbranch_execz .LBB287_87
; %bb.84:                               ;   in Loop: Header=BB287_10 Depth=1
	v_and_b32_e32 v35, 0x7f, v12
	v_cmp_ne_u32_e64 s[4:5], s51, v35
	v_mov_b32_e32 v34, 0x7fc02000
	s_and_saveexec_b64 s[44:45], s[4:5]
	s_cbranch_execz .LBB287_86
; %bb.85:                               ;   in Loop: Header=BB287_10 Depth=1
	v_and_b32_e32 v34, 7, v12
	v_ffbh_u32_e32 v36, v34
	v_min_u32_e32 v39, 32, v36
	v_subrev_u32_e32 v36, 28, v39
	v_lshlrev_b64 v[36:37], v36, v[12:13]
	v_lshrrev_b32_e32 v38, 3, v35
	v_sub_u32_e32 v37, 29, v39
	v_cmp_gt_u32_e64 s[4:5], 8, v35
	v_and_b32_e32 v36, 7, v36
	v_cndmask_b32_e64 v35, v38, v37, s[4:5]
	v_cndmask_b32_e64 v34, v34, v36, s[4:5]
	v_lshlrev_b32_e32 v36, 8, v12
	v_lshl_add_u32 v35, v35, 10, v19
	v_and_or_b32 v35, v36, s52, v35
	v_lshl_or_b32 v34, v34, 7, v35
	v_cvt_f32_f16_e32 v34, v34
.LBB287_86:                             ;   in Loop: Header=BB287_10 Depth=1
	s_or_b64 exec, exec, s[44:45]
.LBB287_87:                             ;   in Loop: Header=BB287_10 Depth=1
	s_or_b64 exec, exec, s[42:43]
.LBB287_88:                             ;   in Loop: Header=BB287_10 Depth=1
	s_or_b64 exec, exec, s[40:41]
	v_lshrrev_b16_e32 v12, 8, v12
	v_cmp_ne_u16_e64 s[4:5], 0, v12
	v_mov_b32_e32 v35, 0
	v_mov_b32_e32 v36, 0
	s_and_saveexec_b64 s[40:41], s[4:5]
	s_cbranch_execz .LBB287_94
; %bb.89:                               ;   in Loop: Header=BB287_10 Depth=1
	v_cmp_ne_u16_e64 s[4:5], s50, v12
	v_bfrev_b32_e32 v36, 1
	s_and_saveexec_b64 s[42:43], s[4:5]
	s_cbranch_execz .LBB287_93
; %bb.90:                               ;   in Loop: Header=BB287_10 Depth=1
	v_and_b32_e32 v37, 0x7f, v12
	v_cmp_ne_u32_e64 s[4:5], s51, v37
	v_mov_b32_e32 v36, 0x7fc02000
	s_and_saveexec_b64 s[44:45], s[4:5]
	s_cbranch_execz .LBB287_92
; %bb.91:                               ;   in Loop: Header=BB287_10 Depth=1
	v_and_b32_e32 v36, 7, v12
	v_ffbh_u32_e32 v38, v36
	v_min_u32_e32 v41, 32, v38
	v_subrev_u32_e32 v38, 28, v41
	v_lshlrev_b64 v[38:39], v38, v[12:13]
	v_lshrrev_b32_e32 v40, 3, v37
	v_sub_u32_e32 v39, 29, v41
	v_cmp_gt_u32_e64 s[4:5], 8, v37
	v_cndmask_b32_e64 v37, v40, v39, s[4:5]
	v_and_b32_e32 v38, 7, v38
	v_lshlrev_b32_e32 v12, 8, v12
	v_lshl_add_u32 v37, v37, 10, v19
	v_cndmask_b32_e64 v36, v36, v38, s[4:5]
	v_and_or_b32 v12, v12, s52, v37
	v_lshl_or_b32 v12, v36, 7, v12
	v_cvt_f32_f16_e32 v36, v12
.LBB287_92:                             ;   in Loop: Header=BB287_10 Depth=1
	s_or_b64 exec, exec, s[44:45]
.LBB287_93:                             ;   in Loop: Header=BB287_10 Depth=1
	s_or_b64 exec, exec, s[42:43]
.LBB287_94:                             ;   in Loop: Header=BB287_10 Depth=1
	s_or_b64 exec, exec, s[40:41]
	global_load_ushort v11, v[10:11], off offset:776
	s_waitcnt vmcnt(0)
	v_and_b32_e32 v10, 0xffff, v11
	v_cmp_ne_u16_sdwa s[4:5], v11, v15 src0_sel:BYTE_0 src1_sel:DWORD
	s_and_saveexec_b64 s[40:41], s[4:5]
	s_cbranch_execz .LBB287_100
; %bb.95:                               ;   in Loop: Header=BB287_10 Depth=1
	v_cmp_ne_u16_sdwa s[4:5], v10, s50 src0_sel:BYTE_0 src1_sel:DWORD
	v_bfrev_b32_e32 v35, 1
	s_and_saveexec_b64 s[42:43], s[4:5]
	s_cbranch_execz .LBB287_99
; %bb.96:                               ;   in Loop: Header=BB287_10 Depth=1
	v_and_b32_e32 v11, 0x7f, v10
	v_cmp_ne_u32_e64 s[4:5], s51, v11
	v_mov_b32_e32 v35, 0x7fc02000
	s_and_saveexec_b64 s[44:45], s[4:5]
	s_cbranch_execz .LBB287_98
; %bb.97:                               ;   in Loop: Header=BB287_10 Depth=1
	v_and_b32_e32 v12, 7, v10
	v_ffbh_u32_e32 v37, v12
	v_min_u32_e32 v37, 32, v37
	v_lshrrev_b32_e32 v35, 3, v11
	v_subrev_u32_e32 v38, 28, v37
	v_sub_u32_e32 v37, 29, v37
	v_cmp_gt_u32_e64 s[4:5], 8, v11
	v_lshlrev_b64 v[38:39], v38, v[10:11]
	v_cndmask_b32_e64 v11, v35, v37, s[4:5]
	v_and_b32_e32 v38, 7, v38
	v_lshlrev_b32_e32 v35, 8, v10
	v_lshl_add_u32 v11, v11, 10, v19
	v_cndmask_b32_e64 v12, v12, v38, s[4:5]
	v_and_or_b32 v11, v35, s52, v11
	v_lshl_or_b32 v11, v12, 7, v11
	v_cvt_f32_f16_e32 v35, v11
.LBB287_98:                             ;   in Loop: Header=BB287_10 Depth=1
	s_or_b64 exec, exec, s[44:45]
.LBB287_99:                             ;   in Loop: Header=BB287_10 Depth=1
	s_or_b64 exec, exec, s[42:43]
.LBB287_100:                            ;   in Loop: Header=BB287_10 Depth=1
	s_or_b64 exec, exec, s[40:41]
	v_lshrrev_b16_e32 v10, 8, v10
	v_cmp_ne_u16_e64 s[4:5], 0, v10
	v_mov_b32_e32 v11, 0
	s_and_saveexec_b64 s[40:41], s[4:5]
	s_cbranch_execz .LBB287_106
; %bb.101:                              ;   in Loop: Header=BB287_10 Depth=1
	v_cmp_ne_u16_e64 s[4:5], s50, v10
	v_bfrev_b32_e32 v11, 1
	s_and_saveexec_b64 s[42:43], s[4:5]
	s_cbranch_execz .LBB287_105
; %bb.102:                              ;   in Loop: Header=BB287_10 Depth=1
	v_and_b32_e32 v12, 0x7f, v10
	v_cmp_ne_u32_e64 s[4:5], s51, v12
	v_mov_b32_e32 v11, 0x7fc02000
	s_and_saveexec_b64 s[44:45], s[4:5]
	s_cbranch_execz .LBB287_104
; %bb.103:                              ;   in Loop: Header=BB287_10 Depth=1
	v_and_b32_e32 v11, 7, v10
	v_ffbh_u32_e32 v38, v11
	v_min_u32_e32 v40, 32, v38
	v_subrev_u32_e32 v38, 28, v40
	v_lshlrev_b64 v[38:39], v38, v[10:11]
	v_lshrrev_b32_e32 v37, 3, v12
	v_sub_u32_e32 v39, 29, v40
	v_cmp_gt_u32_e64 s[4:5], 8, v12
	v_cndmask_b32_e64 v12, v37, v39, s[4:5]
	v_and_b32_e32 v38, 7, v38
	v_lshlrev_b32_e32 v10, 8, v10
	v_lshl_add_u32 v12, v12, 10, v19
	v_cndmask_b32_e64 v11, v11, v38, s[4:5]
	v_and_or_b32 v10, v10, s52, v12
	v_lshl_or_b32 v10, v11, 7, v10
	v_cvt_f32_f16_e32 v11, v10
.LBB287_104:                            ;   in Loop: Header=BB287_10 Depth=1
	s_or_b64 exec, exec, s[44:45]
.LBB287_105:                            ;   in Loop: Header=BB287_10 Depth=1
	s_or_b64 exec, exec, s[42:43]
.LBB287_106:                            ;   in Loop: Header=BB287_10 Depth=1
	s_or_b64 exec, exec, s[40:41]
	ds_read_b32 v10, v16
	v_fma_mixlo_f16 v12, v21, v22, 0
	v_fma_mixlo_f16 v22, v21, v24, 0
	v_and_b32_e32 v12, 0xffff, v12
	v_and_b32_e32 v22, 0xffff, v22
	s_waitcnt lgkmcnt(0)
	v_lshrrev_b32_e32 v24, 16, v10
	v_and_b32_e32 v10, 0xffff, v10
	;;#ASMSTART
	v_cvt_f32_f16 v10, v10;
	;;#ASMEND
	;;#ASMSTART
	v_cvt_f32_f16 v24, v24;
	;;#ASMEND
	;;#ASMSTART
	v_cvt_f32_f16 v12, v12;
	;;#ASMEND
	;;#ASMSTART
	v_cvt_f32_f16 v22, v22;
	;;#ASMEND
	ds_read_b32 v37, v16 offset:4
	v_fma_mixlo_f16 v23, v21, v23, 0
	v_fma_mixlo_f16 v26, v21, v26, 0
	v_and_b32_e32 v23, 0xffff, v23
	v_and_b32_e32 v26, 0xffff, v26
	s_waitcnt lgkmcnt(0)
	v_lshrrev_b32_e32 v38, 16, v37
	v_and_b32_e32 v37, 0xffff, v37
	;;#ASMSTART
	v_cvt_f32_f16 v37, v37;
	;;#ASMEND
	;;#ASMSTART
	v_cvt_f32_f16 v38, v38;
	;;#ASMEND
	;;#ASMSTART
	v_cvt_f32_f16 v23, v23;
	;;#ASMEND
	;;#ASMSTART
	v_cvt_f32_f16 v26, v26;
	;;#ASMEND
	ds_read_b32 v39, v16 offset:8
	;; [unrolled: 20-line block ×4, first 2 shown]
	v_fma_mixlo_f16 v34, v21, v34, 0
	v_fma_mixlo_f16 v36, v21, v36, 0
	;; [unrolled: 1-line block ×8, first 2 shown]
	v_mul_f32_e32 v21, v37, v23
	v_fmac_f32_e32 v21, v10, v12
	s_waitcnt lgkmcnt(0)
	v_lshrrev_b32_e32 v10, 16, v43
	v_and_b32_e32 v12, 0xffff, v43
	v_and_b32_e32 v23, 0xffff, v30
	v_and_b32_e32 v30, 0xffff, v31
	;;#ASMSTART
	v_cvt_f32_f16 v12, v12;
	;;#ASMEND
	;;#ASMSTART
	v_cvt_f32_f16 v10, v10;
	;;#ASMEND
	;; [unrolled: 3-line block ×4, first 2 shown]
	ds_read_b32 v31, v16 offset:20
	v_mul_f32_e32 v26, v38, v26
	v_fmac_f32_e32 v26, v24, v22
	v_fmac_f32_e32 v21, v39, v25
	;; [unrolled: 1-line block ×3, first 2 shown]
	s_waitcnt lgkmcnt(0)
	v_lshrrev_b32_e32 v22, 16, v31
	v_and_b32_e32 v24, 0xffff, v31
	v_and_b32_e32 v25, 0xffff, v32
	;; [unrolled: 1-line block ×3, first 2 shown]
	;;#ASMSTART
	v_cvt_f32_f16 v24, v24;
	;;#ASMEND
	;;#ASMSTART
	v_cvt_f32_f16 v22, v22;
	;;#ASMEND
	;; [unrolled: 3-line block ×4, first 2 shown]
	ds_read_b32 v31, v16 offset:24
	v_fmac_f32_e32 v21, v41, v27
	v_fmac_f32_e32 v26, v42, v29
	;; [unrolled: 1-line block ×4, first 2 shown]
	s_waitcnt lgkmcnt(0)
	v_lshrrev_b32_e32 v10, 16, v31
	v_and_b32_e32 v12, 0xffff, v31
	v_and_b32_e32 v23, 0xffff, v34
	;; [unrolled: 1-line block ×3, first 2 shown]
	;;#ASMSTART
	v_cvt_f32_f16 v12, v12;
	;;#ASMEND
	;;#ASMSTART
	v_cvt_f32_f16 v10, v10;
	;;#ASMEND
	;; [unrolled: 3-line block ×4, first 2 shown]
	ds_read_b32 v29, v16 offset:28
	v_fmac_f32_e32 v21, v24, v25
	v_fmac_f32_e32 v26, v22, v28
	;; [unrolled: 1-line block ×4, first 2 shown]
	s_waitcnt lgkmcnt(0)
	v_lshrrev_b32_e32 v10, 16, v29
	v_and_b32_e32 v12, 0xffff, v29
	;;#ASMSTART
	v_cvt_f32_f16 v12, v12;
	;;#ASMEND
	;;#ASMSTART
	v_cvt_f32_f16 v10, v10;
	;;#ASMEND
	v_and_b32_e32 v22, 0xffff, v35
	v_and_b32_e32 v11, 0xffff, v11
	;;#ASMSTART
	v_cvt_f32_f16 v22, v22;
	;;#ASMEND
	;;#ASMSTART
	v_cvt_f32_f16 v11, v11;
	;;#ASMEND
	v_fmac_f32_e32 v26, v10, v11
	v_and_b32_e32 v10, 64, v7
	v_fmac_f32_e32 v21, v12, v22
	v_add_u32_e32 v10, 64, v10
	v_xor_b32_e32 v12, 2, v7
	v_cmp_lt_i32_e64 s[4:5], v12, v10
	v_cndmask_b32_e64 v12, v7, v12, s[4:5]
	v_add_f32_e32 v11, v21, v26
	v_lshlrev_b32_e32 v12, 2, v12
	ds_bpermute_b32 v12, v12, v11
	s_waitcnt lgkmcnt(0)
	v_add_f32_e32 v11, v11, v12
	v_xor_b32_e32 v12, 1, v7
	v_cmp_lt_i32_e64 s[4:5], v12, v10
	v_cndmask_b32_e64 v12, v7, v12, s[4:5]
	v_lshlrev_b32_e32 v12, 2, v12
	ds_bpermute_b32 v12, v12, v11
	s_and_saveexec_b64 s[40:41], vcc
	s_cbranch_execz .LBB287_9
; %bb.107:                              ;   in Loop: Header=BB287_10 Depth=1
	v_add_u32_e32 v21, s49, v17
	v_cvt_f32_i32_e32 v21, v21
	s_waitcnt lgkmcnt(0)
	v_add_f32_e32 v11, v11, v12
	v_cmp_gt_i32_e64 s[4:5], s29, v17
	v_max_f32_e32 v12, v14, v14
	v_mul_f32_e32 v21, s47, v21
	v_cndmask_b32_e64 v21, 0, v21, s[2:3]
	v_fmac_f32_e32 v21, s11, v11
	v_cndmask_b32_e64 v11, 0, v21, s[4:5]
	ds_write_b32 v18, v11
	v_max_f32_e32 v11, v12, v21
	v_cndmask_b32_e64 v14, v14, v11, s[4:5]
	s_branch .LBB287_9
.LBB287_108:
	s_or_b64 exec, exec, s[18:19]
.LBB287_109:
	s_or_b64 exec, exec, s[38:39]
	v_xor_b32_e32 v4, 32, v7
	v_cmp_lt_i32_e32 vcc, v4, v10
	v_cndmask_b32_e32 v4, v7, v4, vcc
	v_lshlrev_b32_e32 v4, 2, v4
	ds_bpermute_b32 v5, v4, v14
	v_xor_b32_e32 v8, 16, v7
	v_max_f32_e32 v6, v14, v14
	v_cmp_lt_i32_e32 vcc, v8, v10
	v_xor_b32_e32 v9, 8, v7
	s_waitcnt lgkmcnt(0)
	v_max_f32_e32 v5, v5, v5
	v_max_f32_e32 v6, v6, v5
	v_cndmask_b32_e32 v5, v7, v8, vcc
	v_lshlrev_b32_e32 v5, 2, v5
	ds_bpermute_b32 v8, v5, v6
	v_cmp_lt_i32_e32 vcc, v9, v10
	v_and_b32_e32 v15, 63, v0
	s_waitcnt lgkmcnt(0)
	v_max_f32_e32 v8, v8, v8
	v_max_f32_e32 v6, v6, v8
	v_cndmask_b32_e32 v8, v7, v9, vcc
	v_lshlrev_b32_e32 v11, 2, v8
	ds_bpermute_b32 v8, v11, v6
	v_xor_b32_e32 v9, 4, v7
	v_cmp_lt_i32_e32 vcc, v9, v10
	s_waitcnt lgkmcnt(0)
	v_max_f32_e32 v8, v8, v8
	v_max_f32_e32 v6, v6, v8
	v_cndmask_b32_e32 v8, v7, v9, vcc
	v_lshlrev_b32_e32 v12, 2, v8
	ds_bpermute_b32 v9, v12, v6
	v_cmp_eq_u32_e32 vcc, 0, v15
	v_lshlrev_b32_e32 v8, 2, v1
	s_and_saveexec_b64 s[2:3], vcc
	s_cbranch_execz .LBB287_111
; %bb.110:
	s_waitcnt lgkmcnt(0)
	v_max_f32_e32 v9, v9, v9
	v_max_f32_e32 v6, v6, v6
	;; [unrolled: 1-line block ×3, first 2 shown]
	ds_write_b32 v8, v6 offset:128
.LBB287_111:
	s_or_b64 exec, exec, s[2:3]
	v_cmp_gt_u32_e64 s[2:3], 2, v15
	v_mov_b32_e32 v6, 0xff7fffff
	s_waitcnt lgkmcnt(0)
	v_lshlrev_b32_e32 v9, 2, v15
	s_barrier
	s_and_saveexec_b64 s[4:5], s[2:3]
	s_cbranch_execz .LBB287_113
; %bb.112:
	ds_read_b32 v6, v9 offset:128
.LBB287_113:
	s_or_b64 exec, exec, s[4:5]
	v_xor_b32_e32 v14, 1, v7
	v_cmp_lt_i32_e64 s[4:5], v14, v10
	v_cndmask_b32_e64 v14, v7, v14, s[4:5]
	v_lshlrev_b32_e32 v22, 2, v14
	s_waitcnt lgkmcnt(0)
	ds_bpermute_b32 v14, v22, v6
	v_max_f32_e32 v6, v6, v6
	s_sub_i32 s4, s33, s10
	s_lshl_b32 s4, s4, 4
	s_add_i32 s4, s4, s46
	s_waitcnt lgkmcnt(0)
	v_max_f32_e32 v14, v14, v14
	v_max_f32_e32 v6, v6, v14
	v_lshlrev_b32_e32 v14, 2, v7
	v_and_b32_e32 v14, 0xffffff00, v14
	ds_bpermute_b32 v6, v14, v6
	s_min_i32 s39, s4, s29
	s_sub_i32 s38, s39, s46
	v_cmp_gt_i32_e64 s[4:5], s38, v0
	v_mov_b32_e32 v16, 0
	s_and_saveexec_b64 s[12:13], s[4:5]
	s_cbranch_execz .LBB287_117
; %bb.114:
	v_mov_b32_e32 v16, 0x90
	v_lshl_add_u32 v17, v0, 2, v16
	s_mov_b64 s[18:19], 0
	v_mov_b32_e32 v16, 0
	v_mov_b32_e32 v18, v0
.LBB287_115:                            ; =>This Inner Loop Header: Depth=1
	ds_read_b32 v19, v17
	v_add_u32_e32 v18, 0x80, v18
	v_cmp_le_i32_e64 s[10:11], s38, v18
	s_or_b64 s[18:19], s[10:11], s[18:19]
	s_waitcnt lgkmcnt(0)
	v_sub_f32_e32 v19, v19, v6
	v_mul_f32_e32 v19, 0x3fb8aa3b, v19
	v_exp_f32_e32 v19, v19
	ds_write_b32 v17, v19
	v_add_f32_e32 v16, v16, v19
	v_add_u32_e32 v17, 0x200, v17
	s_andn2_b64 exec, exec, s[18:19]
	s_cbranch_execnz .LBB287_115
; %bb.116:
	s_or_b64 exec, exec, s[18:19]
.LBB287_117:
	s_or_b64 exec, exec, s[12:13]
	ds_bpermute_b32 v4, v4, v16
	s_waitcnt lgkmcnt(0)
	v_add_f32_e32 v4, v16, v4
	ds_bpermute_b32 v5, v5, v4
	s_waitcnt lgkmcnt(0)
	v_add_f32_e32 v4, v4, v5
	ds_bpermute_b32 v5, v11, v4
	v_xor_b32_e32 v11, 2, v7
	v_cmp_lt_i32_e64 s[10:11], v11, v10
	v_cndmask_b32_e64 v7, v7, v11, s[10:11]
	s_waitcnt lgkmcnt(0)
	v_add_f32_e32 v4, v4, v5
	ds_bpermute_b32 v5, v12, v4
	s_waitcnt lgkmcnt(0)
	v_add_f32_e32 v4, v4, v5
	v_lshlrev_b32_e32 v5, 2, v7
	ds_bpermute_b32 v5, v5, v4
	s_waitcnt lgkmcnt(0)
	v_add_f32_e32 v4, v4, v5
	ds_bpermute_b32 v5, v22, v4
	s_waitcnt lgkmcnt(0)
	v_add_f32_e32 v4, v4, v5
	s_and_saveexec_b64 s[10:11], vcc
	s_cbranch_execz .LBB287_119
; %bb.118:
	ds_write_b32 v8, v4 offset:136
.LBB287_119:
	s_or_b64 exec, exec, s[10:11]
	s_waitcnt lgkmcnt(0)
	s_barrier
	s_and_saveexec_b64 s[10:11], s[2:3]
	s_cbranch_execz .LBB287_121
; %bb.120:
	ds_read_b32 v4, v9 offset:136
.LBB287_121:
	s_or_b64 exec, exec, s[10:11]
	s_waitcnt lgkmcnt(0)
	ds_bpermute_b32 v5, v22, v4
	s_waitcnt lgkmcnt(0)
	v_add_f32_e32 v4, v4, v5
	ds_bpermute_b32 v7, v14, v4
	s_and_saveexec_b64 s[2:3], s[4:5]
	s_cbranch_execz .LBB287_134
; %bb.122:
	s_waitcnt lgkmcnt(0)
	v_add_f32_e32 v4, 0x358637bd, v7
	v_div_scale_f32 v5, s[4:5], v4, v4, 1.0
	v_rcp_f32_e32 v8, v5
	v_div_scale_f32 v9, vcc, 1.0, v4, 1.0
	s_movk_i32 s4, 0x7f
	v_fma_f32 v10, -v5, v8, 1.0
	v_fmac_f32_e32 v8, v10, v8
	v_mul_f32_e32 v10, v9, v8
	v_fma_f32 v11, -v5, v10, v9
	v_fmac_f32_e32 v10, v11, v8
	v_fma_f32 v5, -v5, v10, v9
	v_div_fmas_f32 v5, v5, v8, v10
	v_div_fixup_f32 v4, v5, v4, 1.0
	v_xad_u32 v5, v0, -1, s39
	v_subrev_u32_e32 v8, s46, v5
	v_cmp_lt_u32_e32 vcc, s4, v8
	s_mov_b64 s[10:11], -1
	v_mov_b32_e32 v5, v0
	s_and_saveexec_b64 s[4:5], vcc
	s_cbranch_execz .LBB287_131
; %bb.123:
	v_lshrrev_b32_e32 v8, 7, v8
	v_add_u32_e32 v10, -1, v8
	v_lshrrev_b32_e32 v9, 1, v10
	v_mov_b32_e32 v5, v4
	v_add_u32_e32 v9, 1, v9
	v_cmp_lt_u32_e32 vcc, 13, v10
	v_mov_b32_e32 v12, 0
	s_and_saveexec_b64 s[10:11], vcc
	s_cbranch_execz .LBB287_127
; %bb.124:
	v_mov_b32_e32 v11, 0x90
	v_and_b32_e32 v10, -8, v9
	v_lshl_add_u32 v11, v0, 2, v11
	s_mov_b32 s18, 0
	s_mov_b64 s[12:13], 0
.LBB287_125:                            ; =>This Inner Loop Header: Depth=1
	ds_read2st64_b32 v[16:17], v11 offset1:2
	ds_read2st64_b32 v[18:19], v11 offset0:4 offset1:6
	ds_read2st64_b32 v[20:21], v11 offset0:8 offset1:10
	;; [unrolled: 1-line block ×3, first 2 shown]
	v_add_u32_e32 v10, -8, v10
	s_waitcnt lgkmcnt(3)
	v_pk_mul_f32 v[16:17], v[4:5], v[16:17]
	s_waitcnt lgkmcnt(2)
	v_pk_mul_f32 v[18:19], v[4:5], v[18:19]
	ds_write2st64_b32 v11, v16, v17 offset1:2
	ds_write2st64_b32 v11, v18, v19 offset0:4 offset1:6
	ds_read2st64_b32 v[18:19], v11 offset0:16 offset1:18
	s_waitcnt lgkmcnt(4)
	v_pk_mul_f32 v[16:17], v[4:5], v[20:21]
	ds_write2st64_b32 v11, v16, v17 offset0:8 offset1:10
	s_waitcnt lgkmcnt(4)
	v_pk_mul_f32 v[16:17], v[4:5], v[24:25]
	ds_write2st64_b32 v11, v16, v17 offset0:12 offset1:14
	ds_read2st64_b32 v[16:17], v11 offset0:20 offset1:22
	s_waitcnt lgkmcnt(3)
	v_pk_mul_f32 v[18:19], v[4:5], v[18:19]
	ds_read2st64_b32 v[20:21], v11 offset0:24 offset1:26
	ds_write2st64_b32 v11, v18, v19 offset0:16 offset1:18
	ds_read2st64_b32 v[18:19], v11 offset0:28 offset1:30
	s_waitcnt lgkmcnt(3)
	v_pk_mul_f32 v[16:17], v[4:5], v[16:17]
	ds_write2st64_b32 v11, v16, v17 offset0:20 offset1:22
	s_waitcnt lgkmcnt(3)
	v_pk_mul_f32 v[16:17], v[4:5], v[20:21]
	ds_write2st64_b32 v11, v16, v17 offset0:24 offset1:26
	s_waitcnt lgkmcnt(2)
	v_pk_mul_f32 v[16:17], v[4:5], v[18:19]
	s_add_i32 s18, s18, 16
	v_cmp_eq_u32_e32 vcc, 0, v10
	ds_write2st64_b32 v11, v16, v17 offset0:28 offset1:30
	v_add_u32_e32 v11, 0x2000, v11
	s_or_b64 s[12:13], vcc, s[12:13]
	v_mov_b32_e32 v12, s18
	s_andn2_b64 exec, exec, s[12:13]
	s_cbranch_execnz .LBB287_125
; %bb.126:
	s_or_b64 exec, exec, s[12:13]
.LBB287_127:
	s_or_b64 exec, exec, s[10:11]
	v_and_b32_e32 v9, 7, v9
	v_cmp_ne_u32_e32 vcc, 0, v9
	s_and_saveexec_b64 s[10:11], vcc
	s_cbranch_execz .LBB287_130
; %bb.128:
	v_lshlrev_b32_e32 v10, 9, v12
	v_lshlrev_b32_e32 v11, 2, v0
	s_movk_i32 s12, 0x90
	v_add3_u32 v10, v10, v11, s12
	s_mov_b64 s[12:13], 0
.LBB287_129:                            ; =>This Inner Loop Header: Depth=1
	ds_read2st64_b32 v[16:17], v10 offset1:2
	v_add_u32_e32 v9, -1, v9
	v_cmp_eq_u32_e32 vcc, 0, v9
	s_or_b64 s[12:13], vcc, s[12:13]
	s_waitcnt lgkmcnt(0)
	v_pk_mul_f32 v[16:17], v[4:5], v[16:17]
	ds_write2st64_b32 v10, v16, v17 offset1:2
	v_add_u32_e32 v10, 0x400, v10
	s_andn2_b64 exec, exec, s[12:13]
	s_cbranch_execnz .LBB287_129
.LBB287_130:
	s_or_b64 exec, exec, s[10:11]
	v_add_u32_e32 v8, 1, v8
	v_and_b32_e32 v9, 0x3fffffe, v8
	v_cmp_ne_u32_e32 vcc, v8, v9
	v_lshl_add_u32 v5, v9, 7, v0
	s_orn2_b64 s[10:11], vcc, exec
.LBB287_131:
	s_or_b64 exec, exec, s[4:5]
	s_and_b64 exec, exec, s[10:11]
	s_cbranch_execz .LBB287_134
; %bb.132:
	v_mov_b32_e32 v8, 0x90
	v_lshl_add_u32 v8, v5, 2, v8
	s_mov_b64 s[4:5], 0
.LBB287_133:                            ; =>This Inner Loop Header: Depth=1
	ds_read_b32 v9, v8
	v_add_u32_e32 v5, 0x80, v5
	v_cmp_le_i32_e32 vcc, s38, v5
	s_or_b64 s[4:5], vcc, s[4:5]
	s_waitcnt lgkmcnt(0)
	v_mul_f32_e32 v9, v4, v9
	ds_write_b32 v8, v9
	v_add_u32_e32 v8, 0x200, v8
	s_andn2_b64 exec, exec, s[4:5]
	s_cbranch_execnz .LBB287_133
.LBB287_134:
	s_or_b64 exec, exec, s[2:3]
	s_mul_i32 s2, s25, s28
	v_cmp_eq_u32_e32 vcc, 0, v0
	s_mul_i32 s2, s2, s9
	s_waitcnt lgkmcnt(0)
	s_barrier
	s_and_saveexec_b64 s[4:5], vcc
	s_cbranch_execz .LBB287_136
; %bb.135:
	s_ashr_i32 s3, s2, 31
	s_lshl_b64 s[10:11], s[2:3], 2
	s_add_u32 s3, s22, s10
	s_mul_i32 s12, s25, s6
	s_addc_u32 s9, s23, s11
	s_ashr_i32 s13, s12, 31
	s_lshl_b64 s[12:13], s[12:13], 2
	s_add_u32 s3, s3, s12
	s_addc_u32 s6, s9, s13
	s_ashr_i32 s9, s8, 31
	s_lshl_b64 s[18:19], s[8:9], 2
	s_add_u32 s22, s3, s18
	s_addc_u32 s23, s6, s19
	s_add_u32 s3, s20, s10
	s_addc_u32 s6, s21, s11
	;; [unrolled: 2-line block ×3, first 2 shown]
	s_add_u32 s10, s3, s18
	v_mov_b32_e32 v4, 0
	s_addc_u32 s11, s6, s19
	global_store_dword v4, v6, s[22:23]
	global_store_dword v4, v7, s[10:11]
.LBB287_136:
	s_or_b64 exec, exec, s[4:5]
	v_mov_b32_e32 v5, 0
	v_and_b32_e32 v23, 1, v0
	v_mov_b32_e32 v4, 0
	s_and_saveexec_b64 s[4:5], s[0:1]
	s_cbranch_execz .LBB287_240
; %bb.137:
	s_ashr_i32 s0, s7, 31
	v_lshlrev_b32_e32 v4, 3, v0
	s_add_u32 s1, s36, s7
	v_and_b32_e32 v5, 8, v4
	s_addc_u32 s0, s37, s0
	v_and_b32_e32 v4, 0x1f8, v4
	s_add_i32 s9, s16, -1
	v_mov_b32_e32 v6, s0
	v_add_co_u32_e32 v8, vcc, s1, v4
	s_lshl_b64 s[0:1], s[34:35], 2
	v_lshlrev_b32_e32 v4, 5, v23
	s_add_u32 s0, s30, s0
	v_addc_co_u32_e32 v9, vcc, 0, v6, vcc
	v_add3_u32 v24, s46, v13, v5
	v_lshl_or_b32 v1, v1, 6, v4
	v_lshlrev_b64 v[4:5], 2, v[2:3]
	s_addc_u32 s1, s31, s1
	v_mov_b32_e32 v3, s1
	v_add_co_u32_e32 v10, vcc, s0, v4
	s_mov_b32 s6, -1
	v_addc_co_u32_e32 v11, vcc, v3, v5, vcc
	v_mov_b32_e32 v5, 0
	s_mov_b32 s3, s17
	s_mov_b32 s7, 0xffffff
	v_mov_b32_e32 v7, 0
	s_mov_b32 s20, s29
	v_add_u32_e32 v1, 0x90, v1
	s_mov_b64 s[10:11], 0
	s_movk_i32 s21, 0x80
	s_movk_i32 s22, 0x7f
	s_mov_b32 s23, 0x8000
	s_movk_i32 s28, 0x380
	s_mov_b32 s30, 0x3020706
	s_mov_b32 s31, 0x1000504
	;; [unrolled: 1-line block ×3, first 2 shown]
	v_mov_b32_e32 v3, 0x2000
	v_mov_b32_e32 v4, v5
	s_branch .LBB287_139
.LBB287_138:                            ;   in Loop: Header=BB287_139 Depth=1
	s_or_b64 exec, exec, s[0:1]
	;;#ASMSTART
	v_pk_mul_f16 v12, v30, v12;

	;;#ASMEND
	;;#ASMSTART
	v_pk_mul_f16 v6, v31, v6;

	;;#ASMEND
	;; [unrolled: 4-line block ×4, first 2 shown]
	;;#ASMSTART
	v_pk_add_f16 v6, v12, v6;

	;;#ASMEND
	;;#ASMSTART
	v_pk_add_f16 v6, v6, v13;

	;;#ASMEND
	;; [unrolled: 4-line block ×3, first 2 shown]
	v_lshrrev_b32_e32 v12, 16, v6
	v_and_b32_e32 v6, 0xffff, v6
	v_add_u32_e32 v2, 2, v2
	;;#ASMSTART
	v_cvt_f32_f16 v6, v6;
	;;#ASMEND
	v_cmp_le_i32_e32 vcc, s33, v2
	v_add_f32_e32 v16, v34, v35
	;;#ASMSTART
	v_cvt_f32_f16 v12, v12;
	;;#ASMEND
	v_add_f32_e32 v6, v6, v12
	s_or_b64 s[10:11], vcc, s[10:11]
	v_add_co_u32_e32 v10, vcc, 8, v10
	v_add_f32_e32 v4, v4, v16
	v_add_f32_e32 v5, v5, v6
	v_add_u32_e32 v24, 32, v24
	v_add_u32_e32 v1, 0x80, v1
	v_addc_co_u32_e32 v11, vcc, 0, v11, vcc
	s_andn2_b64 exec, exec, s[10:11]
	s_cbranch_execz .LBB287_239
.LBB287_139:                            ; =>This Inner Loop Header: Depth=1
	global_load_dword v6, v[10:11], off
	ds_read2_b64 v[16:19], v1 offset1:1
	ds_read2_b64 v[26:29], v1 offset0:2 offset1:3
	s_waitcnt lgkmcnt(1)
	;;#ASMSTART
	v_cvt_f16_f32 v30, v16;

	;;#ASMEND
	;;#ASMSTART
	v_cvt_f16_f32 v31, v17;

	;;#ASMEND
	;; [unrolled: 4-line block ×4, first 2 shown]
	s_waitcnt lgkmcnt(0)
	;;#ASMSTART
	v_cvt_f16_f32 v34, v26;

	;;#ASMEND
	;;#ASMSTART
	v_cvt_f16_f32 v35, v27;

	;;#ASMEND
	;; [unrolled: 4-line block ×4, first 2 shown]
	v_mov_b32_e32 v16, 0
	s_waitcnt vmcnt(0)
	v_mad_i64_i32 v[12:13], s[0:1], v6, s3, v[8:9]
	global_load_dwordx2 v[18:19], v[12:13], off
	global_load_dword v14, v7, s[14:15]
	s_waitcnt vmcnt(1)
	v_cmp_ne_u16_sdwa s[12:13], v18, v7 src0_sel:BYTE_0 src1_sel:DWORD
	s_and_saveexec_b64 s[0:1], s[12:13]
	s_cbranch_execz .LBB287_145
; %bb.140:                              ;   in Loop: Header=BB287_139 Depth=1
	v_cmp_ne_u16_sdwa s[16:17], v18, s21 src0_sel:BYTE_0 src1_sel:DWORD
	v_bfrev_b32_e32 v16, 1
	s_and_saveexec_b64 s[12:13], s[16:17]
	s_cbranch_execz .LBB287_144
; %bb.141:                              ;   in Loop: Header=BB287_139 Depth=1
	v_and_b32_e32 v6, 0x7f, v18
	v_cmp_ne_u32_e32 vcc, s22, v6
	v_mov_b32_e32 v16, 0x7fc02000
	s_and_saveexec_b64 s[16:17], vcc
	s_cbranch_execz .LBB287_143
; %bb.142:                              ;   in Loop: Header=BB287_139 Depth=1
	v_and_b32_e32 v16, 7, v18
	v_ffbh_u32_e32 v16, v16
	v_min_u32_e32 v16, 32, v16
	v_subrev_u32_e32 v17, 28, v16
	v_cmp_gt_u32_e32 vcc, 8, v6
	v_lshrrev_b32_e32 v20, 3, v6
	v_sub_u32_e32 v21, 29, v16
	v_cndmask_b32_e32 v6, 0, v17, vcc
	v_lshlrev_b64 v[16:17], v6, v[18:19]
	v_cndmask_b32_e32 v6, v20, v21, vcc
	v_lshlrev_b32_e32 v17, 8, v18
	v_lshl_add_u32 v6, v6, 10, v3
	v_lshlrev_b32_e32 v16, 7, v16
	v_and_or_b32 v6, v17, s23, v6
	v_and_or_b32 v6, v16, s28, v6
	v_cvt_f32_f16_e32 v16, v6
.LBB287_143:                            ;   in Loop: Header=BB287_139 Depth=1
	s_or_b64 exec, exec, s[16:17]
.LBB287_144:                            ;   in Loop: Header=BB287_139 Depth=1
	s_or_b64 exec, exec, s[12:13]
.LBB287_145:                            ;   in Loop: Header=BB287_139 Depth=1
	s_or_b64 exec, exec, s[0:1]
	v_lshrrev_b16_e32 v6, 8, v18
	v_cmp_ne_u16_e32 vcc, 0, v6
	v_mov_b32_e32 v17, 0
	v_mov_b32_e32 v20, 0
	s_and_saveexec_b64 s[0:1], vcc
	s_cbranch_execz .LBB287_151
; %bb.146:                              ;   in Loop: Header=BB287_139 Depth=1
	v_cmp_ne_u16_e32 vcc, s21, v6
	v_bfrev_b32_e32 v20, 1
	s_and_saveexec_b64 s[12:13], vcc
	s_cbranch_execz .LBB287_150
; %bb.147:                              ;   in Loop: Header=BB287_139 Depth=1
	v_and_b32_e32 v21, 0x7f, v6
	v_cmp_ne_u32_e32 vcc, s22, v21
	v_mov_b32_e32 v20, 0x7fc02000
	s_and_saveexec_b64 s[16:17], vcc
	s_cbranch_execz .LBB287_149
; %bb.148:                              ;   in Loop: Header=BB287_139 Depth=1
	v_and_b32_e32 v20, 7, v6
	v_ffbh_u32_e32 v26, v20
	v_min_u32_e32 v28, 32, v26
	v_subrev_u32_e32 v26, 28, v28
	v_lshlrev_b64 v[26:27], v26, v[6:7]
	v_lshrrev_b32_e32 v25, 3, v21
	v_sub_u32_e32 v27, 29, v28
	v_cmp_gt_u32_e32 vcc, 8, v21
	v_cndmask_b32_e32 v21, v25, v27, vcc
	v_and_b32_e32 v26, 7, v26
	v_lshlrev_b32_e32 v6, 8, v6
	v_lshl_add_u32 v21, v21, 10, v3
	v_cndmask_b32_e32 v20, v20, v26, vcc
	v_and_or_b32 v6, v6, s23, v21
	v_lshl_or_b32 v6, v20, 7, v6
	v_cvt_f32_f16_e32 v20, v6
.LBB287_149:                            ;   in Loop: Header=BB287_139 Depth=1
	s_or_b64 exec, exec, s[16:17]
.LBB287_150:                            ;   in Loop: Header=BB287_139 Depth=1
	s_or_b64 exec, exec, s[12:13]
.LBB287_151:                            ;   in Loop: Header=BB287_139 Depth=1
	s_or_b64 exec, exec, s[0:1]
	v_lshrrev_b32_e32 v6, 16, v18
	v_cmp_ne_u16_sdwa s[12:13], v6, v7 src0_sel:BYTE_0 src1_sel:DWORD
	s_and_saveexec_b64 s[0:1], s[12:13]
	s_cbranch_execz .LBB287_157
; %bb.152:                              ;   in Loop: Header=BB287_139 Depth=1
	v_cmp_ne_u16_sdwa s[16:17], v6, s21 src0_sel:BYTE_0 src1_sel:DWORD
	v_bfrev_b32_e32 v17, 1
	s_and_saveexec_b64 s[12:13], s[16:17]
	s_cbranch_execz .LBB287_156
; %bb.153:                              ;   in Loop: Header=BB287_139 Depth=1
	v_bfe_u32 v21, v18, 16, 7
	v_cmp_ne_u32_e32 vcc, s22, v21
	v_mov_b32_e32 v17, 0x7fc02000
	s_and_saveexec_b64 s[16:17], vcc
	s_cbranch_execz .LBB287_155
; %bb.154:                              ;   in Loop: Header=BB287_139 Depth=1
	v_and_b32_e32 v17, 7, v6
	v_ffbh_u32_e32 v26, v17
	v_min_u32_e32 v28, 32, v26
	v_subrev_u32_e32 v26, 28, v28
	v_lshlrev_b64 v[26:27], v26, v[6:7]
	v_lshrrev_b32_e32 v25, 3, v21
	v_sub_u32_e32 v27, 29, v28
	v_cmp_gt_u32_e32 vcc, 8, v21
	v_cndmask_b32_e32 v21, v25, v27, vcc
	v_and_b32_e32 v26, 7, v26
	v_lshlrev_b32_e32 v6, 8, v6
	v_lshl_add_u32 v21, v21, 10, v3
	v_cndmask_b32_e32 v17, v17, v26, vcc
	v_and_or_b32 v6, v6, s23, v21
	v_lshl_or_b32 v6, v17, 7, v6
	v_cvt_f32_f16_e32 v17, v6
.LBB287_155:                            ;   in Loop: Header=BB287_139 Depth=1
	s_or_b64 exec, exec, s[16:17]
.LBB287_156:                            ;   in Loop: Header=BB287_139 Depth=1
	s_or_b64 exec, exec, s[12:13]
.LBB287_157:                            ;   in Loop: Header=BB287_139 Depth=1
	s_or_b64 exec, exec, s[0:1]
	v_cmp_lt_u32_e32 vcc, s7, v18
	v_mov_b32_e32 v25, 0
	v_mov_b32_e32 v21, 0
	s_and_saveexec_b64 s[0:1], vcc
	s_cbranch_execz .LBB287_163
; %bb.158:                              ;   in Loop: Header=BB287_139 Depth=1
	v_lshrrev_b32_e32 v6, 24, v18
	v_cmp_ne_u32_e32 vcc, s21, v6
	v_bfrev_b32_e32 v21, 1
	s_and_saveexec_b64 s[12:13], vcc
	s_cbranch_execz .LBB287_162
; %bb.159:                              ;   in Loop: Header=BB287_139 Depth=1
	v_and_b32_e32 v26, 0x7f, v6
	v_cmp_ne_u32_e32 vcc, s22, v26
	v_mov_b32_e32 v21, 0x7fc02000
	s_and_saveexec_b64 s[16:17], vcc
	s_cbranch_execz .LBB287_161
; %bb.160:                              ;   in Loop: Header=BB287_139 Depth=1
	v_and_b32_e32 v21, 7, v6
	v_ffbh_u32_e32 v28, v21
	v_min_u32_e32 v38, 32, v28
	v_subrev_u32_e32 v28, 28, v38
	v_lshlrev_b64 v[28:29], v28, v[6:7]
	v_lshrrev_b32_e32 v27, 3, v26
	v_sub_u32_e32 v29, 29, v38
	v_cmp_gt_u32_e32 vcc, 8, v26
	v_cndmask_b32_e32 v26, v27, v29, vcc
	v_and_b32_e32 v28, 7, v28
	v_lshlrev_b32_e32 v6, 8, v6
	v_lshl_add_u32 v26, v26, 10, v3
	v_cndmask_b32_e32 v21, v21, v28, vcc
	v_and_or_b32 v6, v6, s23, v26
	v_lshl_or_b32 v6, v21, 7, v6
	v_cvt_f32_f16_e32 v21, v6
.LBB287_161:                            ;   in Loop: Header=BB287_139 Depth=1
	s_or_b64 exec, exec, s[16:17]
.LBB287_162:                            ;   in Loop: Header=BB287_139 Depth=1
	s_or_b64 exec, exec, s[12:13]
.LBB287_163:                            ;   in Loop: Header=BB287_139 Depth=1
	s_or_b64 exec, exec, s[0:1]
	v_mov_b32_e32 v6, v19
	v_cmp_ne_u16_sdwa s[12:13], v19, v7 src0_sel:BYTE_0 src1_sel:DWORD
	s_and_saveexec_b64 s[0:1], s[12:13]
	s_cbranch_execz .LBB287_169
; %bb.164:                              ;   in Loop: Header=BB287_139 Depth=1
	v_cmp_ne_u16_sdwa s[16:17], v19, s21 src0_sel:BYTE_0 src1_sel:DWORD
	v_bfrev_b32_e32 v25, 1
	s_and_saveexec_b64 s[12:13], s[16:17]
	s_cbranch_execz .LBB287_168
; %bb.165:                              ;   in Loop: Header=BB287_139 Depth=1
	v_and_b32_e32 v26, 0x7f, v19
	v_cmp_ne_u32_e32 vcc, s22, v26
	v_mov_b32_e32 v25, 0x7fc02000
	s_and_saveexec_b64 s[16:17], vcc
	s_cbranch_execz .LBB287_167
; %bb.166:                              ;   in Loop: Header=BB287_139 Depth=1
	v_and_b32_e32 v25, 7, v19
	v_ffbh_u32_e32 v25, v25
	v_min_u32_e32 v25, 32, v25
	v_subrev_u32_e32 v27, 28, v25
	v_cmp_gt_u32_e32 vcc, 8, v26
	v_lshrrev_b32_e32 v28, 3, v26
	v_sub_u32_e32 v25, 29, v25
	v_cndmask_b32_e32 v26, 0, v27, vcc
	v_lshlrev_b64 v[26:27], v26, v[6:7]
	v_cndmask_b32_e32 v25, v28, v25, vcc
	v_lshlrev_b32_e32 v27, 8, v19
	v_lshl_add_u32 v25, v25, 10, v3
	v_lshlrev_b32_e32 v26, 7, v26
	v_and_or_b32 v25, v27, s23, v25
	v_and_or_b32 v25, v26, s28, v25
	v_cvt_f32_f16_e32 v25, v25
.LBB287_167:                            ;   in Loop: Header=BB287_139 Depth=1
	s_or_b64 exec, exec, s[16:17]
.LBB287_168:                            ;   in Loop: Header=BB287_139 Depth=1
	s_or_b64 exec, exec, s[12:13]
.LBB287_169:                            ;   in Loop: Header=BB287_139 Depth=1
	s_or_b64 exec, exec, s[0:1]
	v_lshrrev_b16_e32 v6, 8, v6
	v_cmp_ne_u16_e32 vcc, 0, v6
	v_mov_b32_e32 v26, 0
	v_mov_b32_e32 v27, 0
	s_and_saveexec_b64 s[0:1], vcc
	s_cbranch_execz .LBB287_175
; %bb.170:                              ;   in Loop: Header=BB287_139 Depth=1
	v_cmp_ne_u16_e32 vcc, s21, v6
	v_bfrev_b32_e32 v27, 1
	s_and_saveexec_b64 s[12:13], vcc
	s_cbranch_execz .LBB287_174
; %bb.171:                              ;   in Loop: Header=BB287_139 Depth=1
	v_and_b32_e32 v28, 0x7f, v6
	v_cmp_ne_u32_e32 vcc, s22, v28
	v_mov_b32_e32 v27, 0x7fc02000
	s_and_saveexec_b64 s[16:17], vcc
	s_cbranch_execz .LBB287_173
; %bb.172:                              ;   in Loop: Header=BB287_139 Depth=1
	v_and_b32_e32 v27, 7, v6
	v_ffbh_u32_e32 v38, v27
	v_min_u32_e32 v40, 32, v38
	v_subrev_u32_e32 v38, 28, v40
	v_lshlrev_b64 v[38:39], v38, v[6:7]
	v_lshrrev_b32_e32 v29, 3, v28
	v_sub_u32_e32 v39, 29, v40
	v_cmp_gt_u32_e32 vcc, 8, v28
	v_cndmask_b32_e32 v28, v29, v39, vcc
	v_and_b32_e32 v38, 7, v38
	v_lshlrev_b32_e32 v6, 8, v6
	v_lshl_add_u32 v28, v28, 10, v3
	v_cndmask_b32_e32 v27, v27, v38, vcc
	v_and_or_b32 v6, v6, s23, v28
	v_lshl_or_b32 v6, v27, 7, v6
	v_cvt_f32_f16_e32 v27, v6
.LBB287_173:                            ;   in Loop: Header=BB287_139 Depth=1
	s_or_b64 exec, exec, s[16:17]
.LBB287_174:                            ;   in Loop: Header=BB287_139 Depth=1
	s_or_b64 exec, exec, s[12:13]
.LBB287_175:                            ;   in Loop: Header=BB287_139 Depth=1
	s_or_b64 exec, exec, s[0:1]
	v_lshrrev_b32_e32 v6, 16, v19
	v_cmp_ne_u16_sdwa s[12:13], v6, v7 src0_sel:BYTE_0 src1_sel:DWORD
	s_and_saveexec_b64 s[0:1], s[12:13]
	s_cbranch_execz .LBB287_181
; %bb.176:                              ;   in Loop: Header=BB287_139 Depth=1
	v_cmp_ne_u16_sdwa s[16:17], v6, s21 src0_sel:BYTE_0 src1_sel:DWORD
	v_bfrev_b32_e32 v26, 1
	s_and_saveexec_b64 s[12:13], s[16:17]
	s_cbranch_execz .LBB287_180
; %bb.177:                              ;   in Loop: Header=BB287_139 Depth=1
	v_bfe_u32 v28, v19, 16, 7
	v_cmp_ne_u32_e32 vcc, s22, v28
	v_mov_b32_e32 v26, 0x7fc02000
	s_and_saveexec_b64 s[16:17], vcc
	s_cbranch_execz .LBB287_179
; %bb.178:                              ;   in Loop: Header=BB287_139 Depth=1
	v_and_b32_e32 v26, 7, v6
	v_ffbh_u32_e32 v38, v26
	v_min_u32_e32 v40, 32, v38
	v_subrev_u32_e32 v38, 28, v40
	v_lshlrev_b64 v[38:39], v38, v[6:7]
	v_lshrrev_b32_e32 v29, 3, v28
	v_sub_u32_e32 v39, 29, v40
	v_cmp_gt_u32_e32 vcc, 8, v28
	v_cndmask_b32_e32 v28, v29, v39, vcc
	v_and_b32_e32 v38, 7, v38
	v_lshlrev_b32_e32 v6, 8, v6
	v_lshl_add_u32 v28, v28, 10, v3
	v_cndmask_b32_e32 v26, v26, v38, vcc
	v_and_or_b32 v6, v6, s23, v28
	v_lshl_or_b32 v6, v26, 7, v6
	v_cvt_f32_f16_e32 v26, v6
.LBB287_179:                            ;   in Loop: Header=BB287_139 Depth=1
	s_or_b64 exec, exec, s[16:17]
.LBB287_180:                            ;   in Loop: Header=BB287_139 Depth=1
	s_or_b64 exec, exec, s[12:13]
.LBB287_181:                            ;   in Loop: Header=BB287_139 Depth=1
	s_or_b64 exec, exec, s[0:1]
	v_cmp_lt_u64_e32 vcc, s[6:7], v[18:19]
	v_mov_b32_e32 v18, 0
	s_and_saveexec_b64 s[0:1], vcc
	s_cbranch_execz .LBB287_187
; %bb.182:                              ;   in Loop: Header=BB287_139 Depth=1
	v_lshrrev_b32_e32 v6, 24, v19
	v_cmp_ne_u32_e32 vcc, s21, v6
	v_bfrev_b32_e32 v18, 1
	s_and_saveexec_b64 s[12:13], vcc
	s_cbranch_execz .LBB287_186
; %bb.183:                              ;   in Loop: Header=BB287_139 Depth=1
	v_and_b32_e32 v19, 0x7f, v6
	v_cmp_ne_u32_e32 vcc, s22, v19
	v_mov_b32_e32 v18, 0x7fc02000
	s_and_saveexec_b64 s[16:17], vcc
	s_cbranch_execz .LBB287_185
; %bb.184:                              ;   in Loop: Header=BB287_139 Depth=1
	v_and_b32_e32 v18, 7, v6
	v_ffbh_u32_e32 v28, v18
	v_min_u32_e32 v39, 32, v28
	v_subrev_u32_e32 v28, 28, v39
	v_lshlrev_b64 v[28:29], v28, v[6:7]
	v_lshrrev_b32_e32 v38, 3, v19
	v_sub_u32_e32 v29, 29, v39
	v_cmp_gt_u32_e32 vcc, 8, v19
	v_cndmask_b32_e32 v19, v38, v29, vcc
	v_and_b32_e32 v28, 7, v28
	v_lshlrev_b32_e32 v6, 8, v6
	v_lshl_add_u32 v19, v19, 10, v3
	v_cndmask_b32_e32 v18, v18, v28, vcc
	v_and_or_b32 v6, v6, s23, v19
	v_lshl_or_b32 v6, v18, 7, v6
	v_cvt_f32_f16_e32 v18, v6
.LBB287_185:                            ;   in Loop: Header=BB287_139 Depth=1
	s_or_b64 exec, exec, s[16:17]
.LBB287_186:                            ;   in Loop: Header=BB287_139 Depth=1
	s_or_b64 exec, exec, s[12:13]
.LBB287_187:                            ;   in Loop: Header=BB287_139 Depth=1
	s_or_b64 exec, exec, s[0:1]
	s_waitcnt vmcnt(0)
	v_pk_mul_f32 v[20:21], v[14:15], v[20:21] op_sel_hi:[0,1]
	v_pk_mul_f32 v[16:17], v[14:15], v[16:17] op_sel_hi:[0,1]
	v_cvt_f16_f32_e32 v6, v21
	v_cvt_f16_f32_e32 v19, v20
	;; [unrolled: 1-line block ×4, first 2 shown]
	v_cmp_eq_u32_e32 vcc, s9, v2
	v_pack_b32_f16 v19, v19, v6
	v_add_u32_e32 v29, 1, v24
	v_pack_b32_f16 v16, v16, v17
	v_fma_mixlo_f16 v17, v14, v27, 0
	v_perm_b32 v6, v16, v19, s30
	v_perm_b32 v16, v16, v19, s31
	v_lshlrev_b32_e32 v17, 16, v17
	v_fma_mixlo_f16 v19, v14, v25, 0
	v_or_b32_sdwa v17, v17, v19 dst_sel:DWORD dst_unused:UNUSED_PAD src0_sel:DWORD src1_sel:WORD_0
	v_fma_mixlo_f16 v19, v14, v26, 0
	v_fma_mixlo_f16 v14, v14, v18, 0
	v_lshlrev_b32_e32 v14, 16, v14
	v_or_b32_sdwa v14, v14, v19 dst_sel:DWORD dst_unused:UNUSED_PAD src0_sel:DWORD src1_sel:WORD_0
	v_or_b32_e32 v28, 3, v24
	v_or_b32_e32 v27, 2, v24
	;; [unrolled: 1-line block ×6, first 2 shown]
	s_and_saveexec_b64 s[12:13], vcc
	s_cbranch_execz .LBB287_189
; %bb.188:                              ;   in Loop: Header=BB287_139 Depth=1
	v_lshrrev_b32_e32 v18, 16, v16
	v_cmp_gt_i32_e64 s[0:1], s20, v29
	v_cndmask_b32_e64 v18, 0, v18, s[0:1]
	v_cmp_gt_i32_e64 s[0:1], s29, v24
	v_cndmask_b32_e64 v16, 0, v16, s[0:1]
	v_perm_b32 v16, v18, v16, s34
	v_lshrrev_b32_e32 v18, 16, v6
	v_cmp_gt_i32_e64 s[0:1], s20, v28
	v_cndmask_b32_e64 v18, 0, v18, s[0:1]
	v_cmp_gt_i32_e64 s[0:1], s29, v27
	v_cndmask_b32_e64 v6, 0, v6, s[0:1]
	v_perm_b32 v6, v18, v6, s34
	v_lshrrev_b32_e32 v18, 16, v17
	v_cmp_gt_i32_e64 s[0:1], s20, v26
	v_cndmask_b32_e64 v18, 0, v18, s[0:1]
	v_cmp_gt_i32_e64 s[0:1], s29, v25
	v_cndmask_b32_e64 v17, 0, v17, s[0:1]
	v_lshrrev_b32_e32 v14, 16, v14
	v_cmp_gt_i32_e64 s[0:1], s20, v21
	v_cndmask_b32_e64 v14, 0, v14, s[0:1]
	v_cmp_gt_i32_e64 s[0:1], s29, v20
	v_perm_b32 v17, v18, v17, s34
	v_cndmask_b32_e64 v18, 0, v19, s[0:1]
	v_perm_b32 v14, v14, v18, s34
.LBB287_189:                            ;   in Loop: Header=BB287_139 Depth=1
	s_or_b64 exec, exec, s[12:13]
	v_and_b32_e32 v18, 0xffff, v30
	v_lshl_or_b32 v30, v31, 16, v18
	v_and_b32_e32 v18, 0xffff, v32
	v_lshl_or_b32 v31, v33, 16, v18
	;; [unrolled: 2-line block ×3, first 2 shown]
	v_and_b32_e32 v18, 0xffff, v36
	;;#ASMSTART
	v_pk_mul_f16 v16, v30, v16;

	;;#ASMEND
	;;#ASMSTART
	v_pk_mul_f16 v6, v31, v6;

	;;#ASMEND
	v_lshl_or_b32 v33, v37, 16, v18
	;;#ASMSTART
	v_pk_mul_f16 v17, v32, v17;

	;;#ASMEND
	;;#ASMSTART
	v_pk_mul_f16 v14, v33, v14;

	;;#ASMEND
	;;#ASMSTART
	v_pk_add_f16 v6, v16, v6;

	;;#ASMEND
	;;#ASMSTART
	v_pk_add_f16 v6, v6, v17;
	;; [unrolled: 4-line block ×3, first 2 shown]

	;;#ASMEND
	v_lshrrev_b32_e32 v14, 16, v6
	v_and_b32_e32 v6, 0xffff, v6
	;;#ASMSTART
	v_cvt_f32_f16 v34, v6;
	;;#ASMEND
	;;#ASMSTART
	v_cvt_f32_f16 v35, v14;
	;;#ASMEND
	global_load_dwordx2 v[18:19], v[12:13], off offset:512
	global_load_dword v14, v7, s[14:15]
	v_mov_b32_e32 v16, 0
	v_mov_b32_e32 v12, 0
	s_waitcnt vmcnt(1)
	v_cmp_ne_u16_sdwa s[0:1], v18, v7 src0_sel:BYTE_0 src1_sel:DWORD
	s_and_saveexec_b64 s[12:13], s[0:1]
	s_cbranch_execz .LBB287_195
; %bb.190:                              ;   in Loop: Header=BB287_139 Depth=1
	v_cmp_ne_u16_sdwa s[0:1], v18, s21 src0_sel:BYTE_0 src1_sel:DWORD
	v_bfrev_b32_e32 v12, 1
	s_and_saveexec_b64 s[16:17], s[0:1]
	s_cbranch_execz .LBB287_194
; %bb.191:                              ;   in Loop: Header=BB287_139 Depth=1
	v_and_b32_e32 v6, 0x7f, v18
	v_cmp_ne_u32_e64 s[0:1], s22, v6
	v_mov_b32_e32 v12, 0x7fc02000
	s_and_saveexec_b64 s[18:19], s[0:1]
	s_cbranch_execz .LBB287_193
; %bb.192:                              ;   in Loop: Header=BB287_139 Depth=1
	v_and_b32_e32 v12, 7, v18
	v_ffbh_u32_e32 v12, v12
	v_min_u32_e32 v12, 32, v12
	v_subrev_u32_e32 v13, 28, v12
	v_cmp_gt_u32_e64 s[0:1], 8, v6
	v_lshrrev_b32_e32 v17, 3, v6
	v_sub_u32_e32 v36, 29, v12
	v_cndmask_b32_e64 v6, 0, v13, s[0:1]
	v_lshlrev_b64 v[12:13], v6, v[18:19]
	v_cndmask_b32_e64 v6, v17, v36, s[0:1]
	v_lshlrev_b32_e32 v13, 8, v18
	v_lshl_add_u32 v6, v6, 10, v3
	v_lshlrev_b32_e32 v12, 7, v12
	v_and_or_b32 v6, v13, s23, v6
	v_and_or_b32 v6, v12, s28, v6
	v_cvt_f32_f16_e32 v12, v6
.LBB287_193:                            ;   in Loop: Header=BB287_139 Depth=1
	s_or_b64 exec, exec, s[18:19]
.LBB287_194:                            ;   in Loop: Header=BB287_139 Depth=1
	s_or_b64 exec, exec, s[16:17]
.LBB287_195:                            ;   in Loop: Header=BB287_139 Depth=1
	s_or_b64 exec, exec, s[12:13]
	v_lshrrev_b16_e32 v6, 8, v18
	v_cmp_ne_u16_e64 s[0:1], 0, v6
	s_and_saveexec_b64 s[12:13], s[0:1]
	s_cbranch_execz .LBB287_201
; %bb.196:                              ;   in Loop: Header=BB287_139 Depth=1
	v_cmp_ne_u16_e64 s[0:1], s21, v6
	v_bfrev_b32_e32 v16, 1
	s_and_saveexec_b64 s[16:17], s[0:1]
	s_cbranch_execz .LBB287_200
; %bb.197:                              ;   in Loop: Header=BB287_139 Depth=1
	v_and_b32_e32 v13, 0x7f, v6
	v_cmp_ne_u32_e64 s[0:1], s22, v13
	v_mov_b32_e32 v16, 0x7fc02000
	s_and_saveexec_b64 s[18:19], s[0:1]
	s_cbranch_execz .LBB287_199
; %bb.198:                              ;   in Loop: Header=BB287_139 Depth=1
	v_and_b32_e32 v36, 7, v6
	v_ffbh_u32_e32 v16, v36
	v_min_u32_e32 v38, 32, v16
	v_subrev_u32_e32 v16, 28, v38
	v_lshlrev_b64 v[16:17], v16, v[6:7]
	v_lshrrev_b32_e32 v37, 3, v13
	v_sub_u32_e32 v17, 29, v38
	v_cmp_gt_u32_e64 s[0:1], 8, v13
	v_cndmask_b32_e64 v13, v37, v17, s[0:1]
	v_and_b32_e32 v16, 7, v16
	v_lshlrev_b32_e32 v6, 8, v6
	v_lshl_add_u32 v13, v13, 10, v3
	v_cndmask_b32_e64 v16, v36, v16, s[0:1]
	v_and_or_b32 v6, v6, s23, v13
	v_lshl_or_b32 v6, v16, 7, v6
	v_cvt_f32_f16_e32 v16, v6
.LBB287_199:                            ;   in Loop: Header=BB287_139 Depth=1
	s_or_b64 exec, exec, s[18:19]
.LBB287_200:                            ;   in Loop: Header=BB287_139 Depth=1
	s_or_b64 exec, exec, s[16:17]
.LBB287_201:                            ;   in Loop: Header=BB287_139 Depth=1
	s_or_b64 exec, exec, s[12:13]
	v_lshrrev_b32_e32 v6, 16, v18
	v_cmp_ne_u16_sdwa s[0:1], v6, v7 src0_sel:BYTE_0 src1_sel:DWORD
	v_mov_b32_e32 v17, 0
	v_mov_b32_e32 v13, 0
	s_and_saveexec_b64 s[12:13], s[0:1]
	s_cbranch_execz .LBB287_207
; %bb.202:                              ;   in Loop: Header=BB287_139 Depth=1
	v_cmp_ne_u16_sdwa s[0:1], v6, s21 src0_sel:BYTE_0 src1_sel:DWORD
	v_bfrev_b32_e32 v13, 1
	s_and_saveexec_b64 s[16:17], s[0:1]
	s_cbranch_execz .LBB287_206
; %bb.203:                              ;   in Loop: Header=BB287_139 Depth=1
	v_bfe_u32 v36, v18, 16, 7
	v_cmp_ne_u32_e64 s[0:1], s22, v36
	v_mov_b32_e32 v13, 0x7fc02000
	s_and_saveexec_b64 s[18:19], s[0:1]
	s_cbranch_execz .LBB287_205
; %bb.204:                              ;   in Loop: Header=BB287_139 Depth=1
	v_and_b32_e32 v13, 7, v6
	v_ffbh_u32_e32 v38, v13
	v_min_u32_e32 v40, 32, v38
	v_subrev_u32_e32 v38, 28, v40
	v_lshlrev_b64 v[38:39], v38, v[6:7]
	v_lshrrev_b32_e32 v37, 3, v36
	v_sub_u32_e32 v39, 29, v40
	v_cmp_gt_u32_e64 s[0:1], 8, v36
	v_cndmask_b32_e64 v36, v37, v39, s[0:1]
	v_and_b32_e32 v38, 7, v38
	v_lshlrev_b32_e32 v6, 8, v6
	v_lshl_add_u32 v36, v36, 10, v3
	v_cndmask_b32_e64 v13, v13, v38, s[0:1]
	v_and_or_b32 v6, v6, s23, v36
	v_lshl_or_b32 v6, v13, 7, v6
	v_cvt_f32_f16_e32 v13, v6
.LBB287_205:                            ;   in Loop: Header=BB287_139 Depth=1
	s_or_b64 exec, exec, s[18:19]
.LBB287_206:                            ;   in Loop: Header=BB287_139 Depth=1
	s_or_b64 exec, exec, s[16:17]
.LBB287_207:                            ;   in Loop: Header=BB287_139 Depth=1
	s_or_b64 exec, exec, s[12:13]
	v_cmp_lt_u32_e64 s[0:1], s7, v18
	s_and_saveexec_b64 s[12:13], s[0:1]
	s_cbranch_execz .LBB287_213
; %bb.208:                              ;   in Loop: Header=BB287_139 Depth=1
	v_lshrrev_b32_e32 v6, 24, v18
	v_cmp_ne_u32_e64 s[0:1], s21, v6
	v_bfrev_b32_e32 v17, 1
	s_and_saveexec_b64 s[16:17], s[0:1]
	s_cbranch_execz .LBB287_212
; %bb.209:                              ;   in Loop: Header=BB287_139 Depth=1
	v_and_b32_e32 v36, 0x7f, v6
	v_cmp_ne_u32_e64 s[0:1], s22, v36
	v_mov_b32_e32 v17, 0x7fc02000
	s_and_saveexec_b64 s[18:19], s[0:1]
	s_cbranch_execz .LBB287_211
; %bb.210:                              ;   in Loop: Header=BB287_139 Depth=1
	v_and_b32_e32 v17, 7, v6
	v_ffbh_u32_e32 v38, v17
	v_min_u32_e32 v40, 32, v38
	v_subrev_u32_e32 v38, 28, v40
	v_lshlrev_b64 v[38:39], v38, v[6:7]
	v_lshrrev_b32_e32 v37, 3, v36
	v_sub_u32_e32 v39, 29, v40
	v_cmp_gt_u32_e64 s[0:1], 8, v36
	v_cndmask_b32_e64 v36, v37, v39, s[0:1]
	v_and_b32_e32 v38, 7, v38
	v_lshlrev_b32_e32 v6, 8, v6
	v_lshl_add_u32 v36, v36, 10, v3
	v_cndmask_b32_e64 v17, v17, v38, s[0:1]
	v_and_or_b32 v6, v6, s23, v36
	v_lshl_or_b32 v6, v17, 7, v6
	v_cvt_f32_f16_e32 v17, v6
.LBB287_211:                            ;   in Loop: Header=BB287_139 Depth=1
	s_or_b64 exec, exec, s[18:19]
.LBB287_212:                            ;   in Loop: Header=BB287_139 Depth=1
	s_or_b64 exec, exec, s[16:17]
.LBB287_213:                            ;   in Loop: Header=BB287_139 Depth=1
	s_or_b64 exec, exec, s[12:13]
	v_mov_b32_e32 v6, v19
	v_cmp_ne_u16_sdwa s[0:1], v19, v7 src0_sel:BYTE_0 src1_sel:DWORD
	v_mov_b32_e32 v37, 0
	v_mov_b32_e32 v36, 0
	s_and_saveexec_b64 s[12:13], s[0:1]
	s_cbranch_execz .LBB287_219
; %bb.214:                              ;   in Loop: Header=BB287_139 Depth=1
	v_cmp_ne_u16_sdwa s[0:1], v19, s21 src0_sel:BYTE_0 src1_sel:DWORD
	v_bfrev_b32_e32 v36, 1
	s_and_saveexec_b64 s[16:17], s[0:1]
	s_cbranch_execz .LBB287_218
; %bb.215:                              ;   in Loop: Header=BB287_139 Depth=1
	v_and_b32_e32 v38, 0x7f, v19
	v_cmp_ne_u32_e64 s[0:1], s22, v38
	v_mov_b32_e32 v36, 0x7fc02000
	s_and_saveexec_b64 s[18:19], s[0:1]
	s_cbranch_execz .LBB287_217
; %bb.216:                              ;   in Loop: Header=BB287_139 Depth=1
	v_and_b32_e32 v36, 7, v19
	v_ffbh_u32_e32 v36, v36
	v_min_u32_e32 v36, 32, v36
	v_subrev_u32_e32 v39, 28, v36
	v_cmp_gt_u32_e64 s[0:1], 8, v38
	v_lshrrev_b32_e32 v40, 3, v38
	v_sub_u32_e32 v36, 29, v36
	v_cndmask_b32_e64 v38, 0, v39, s[0:1]
	v_lshlrev_b64 v[38:39], v38, v[6:7]
	v_cndmask_b32_e64 v36, v40, v36, s[0:1]
	v_lshlrev_b32_e32 v39, 8, v19
	v_lshl_add_u32 v36, v36, 10, v3
	v_lshlrev_b32_e32 v38, 7, v38
	v_and_or_b32 v36, v39, s23, v36
	v_and_or_b32 v36, v38, s28, v36
	v_cvt_f32_f16_e32 v36, v36
.LBB287_217:                            ;   in Loop: Header=BB287_139 Depth=1
	s_or_b64 exec, exec, s[18:19]
.LBB287_218:                            ;   in Loop: Header=BB287_139 Depth=1
	s_or_b64 exec, exec, s[16:17]
.LBB287_219:                            ;   in Loop: Header=BB287_139 Depth=1
	s_or_b64 exec, exec, s[12:13]
	v_lshrrev_b16_e32 v6, 8, v6
	v_cmp_ne_u16_e64 s[0:1], 0, v6
	s_and_saveexec_b64 s[12:13], s[0:1]
	s_cbranch_execz .LBB287_225
; %bb.220:                              ;   in Loop: Header=BB287_139 Depth=1
	v_cmp_ne_u16_e64 s[0:1], s21, v6
	v_bfrev_b32_e32 v37, 1
	s_and_saveexec_b64 s[16:17], s[0:1]
	s_cbranch_execz .LBB287_224
; %bb.221:                              ;   in Loop: Header=BB287_139 Depth=1
	v_and_b32_e32 v38, 0x7f, v6
	v_cmp_ne_u32_e64 s[0:1], s22, v38
	v_mov_b32_e32 v37, 0x7fc02000
	s_and_saveexec_b64 s[18:19], s[0:1]
	s_cbranch_execz .LBB287_223
; %bb.222:                              ;   in Loop: Header=BB287_139 Depth=1
	v_and_b32_e32 v37, 7, v6
	v_ffbh_u32_e32 v40, v37
	v_min_u32_e32 v42, 32, v40
	v_subrev_u32_e32 v40, 28, v42
	v_lshlrev_b64 v[40:41], v40, v[6:7]
	v_lshrrev_b32_e32 v39, 3, v38
	v_sub_u32_e32 v41, 29, v42
	v_cmp_gt_u32_e64 s[0:1], 8, v38
	v_cndmask_b32_e64 v38, v39, v41, s[0:1]
	v_and_b32_e32 v40, 7, v40
	v_lshlrev_b32_e32 v6, 8, v6
	v_lshl_add_u32 v38, v38, 10, v3
	v_cndmask_b32_e64 v37, v37, v40, s[0:1]
	v_and_or_b32 v6, v6, s23, v38
	v_lshl_or_b32 v6, v37, 7, v6
	v_cvt_f32_f16_e32 v37, v6
.LBB287_223:                            ;   in Loop: Header=BB287_139 Depth=1
	s_or_b64 exec, exec, s[18:19]
.LBB287_224:                            ;   in Loop: Header=BB287_139 Depth=1
	s_or_b64 exec, exec, s[16:17]
.LBB287_225:                            ;   in Loop: Header=BB287_139 Depth=1
	s_or_b64 exec, exec, s[12:13]
	v_lshrrev_b32_e32 v6, 16, v19
	v_cmp_ne_u16_sdwa s[0:1], v6, v7 src0_sel:BYTE_0 src1_sel:DWORD
	v_mov_b32_e32 v38, 0
	v_mov_b32_e32 v39, 0
	s_and_saveexec_b64 s[12:13], s[0:1]
	s_cbranch_execz .LBB287_231
; %bb.226:                              ;   in Loop: Header=BB287_139 Depth=1
	v_cmp_ne_u16_sdwa s[0:1], v6, s21 src0_sel:BYTE_0 src1_sel:DWORD
	v_bfrev_b32_e32 v39, 1
	s_and_saveexec_b64 s[16:17], s[0:1]
	s_cbranch_execz .LBB287_230
; %bb.227:                              ;   in Loop: Header=BB287_139 Depth=1
	v_bfe_u32 v40, v19, 16, 7
	v_cmp_ne_u32_e64 s[0:1], s22, v40
	v_mov_b32_e32 v39, 0x7fc02000
	s_and_saveexec_b64 s[18:19], s[0:1]
	s_cbranch_execz .LBB287_229
; %bb.228:                              ;   in Loop: Header=BB287_139 Depth=1
	v_and_b32_e32 v39, 7, v6
	v_ffbh_u32_e32 v42, v39
	v_min_u32_e32 v44, 32, v42
	v_subrev_u32_e32 v42, 28, v44
	v_lshlrev_b64 v[42:43], v42, v[6:7]
	v_lshrrev_b32_e32 v41, 3, v40
	v_sub_u32_e32 v43, 29, v44
	v_cmp_gt_u32_e64 s[0:1], 8, v40
	v_cndmask_b32_e64 v40, v41, v43, s[0:1]
	v_and_b32_e32 v42, 7, v42
	v_lshlrev_b32_e32 v6, 8, v6
	v_lshl_add_u32 v40, v40, 10, v3
	v_cndmask_b32_e64 v39, v39, v42, s[0:1]
	v_and_or_b32 v6, v6, s23, v40
	v_lshl_or_b32 v6, v39, 7, v6
	v_cvt_f32_f16_e32 v39, v6
.LBB287_229:                            ;   in Loop: Header=BB287_139 Depth=1
	s_or_b64 exec, exec, s[18:19]
.LBB287_230:                            ;   in Loop: Header=BB287_139 Depth=1
	s_or_b64 exec, exec, s[16:17]
.LBB287_231:                            ;   in Loop: Header=BB287_139 Depth=1
	s_or_b64 exec, exec, s[12:13]
	v_cmp_lt_u64_e64 s[0:1], s[6:7], v[18:19]
	s_and_saveexec_b64 s[12:13], s[0:1]
	s_cbranch_execz .LBB287_237
; %bb.232:                              ;   in Loop: Header=BB287_139 Depth=1
	v_lshrrev_b32_e32 v6, 24, v19
	v_cmp_ne_u32_e64 s[0:1], s21, v6
	v_bfrev_b32_e32 v38, 1
	s_and_saveexec_b64 s[16:17], s[0:1]
	s_cbranch_execz .LBB287_236
; %bb.233:                              ;   in Loop: Header=BB287_139 Depth=1
	v_and_b32_e32 v18, 0x7f, v6
	v_cmp_ne_u32_e64 s[0:1], s22, v18
	v_mov_b32_e32 v38, 0x7fc02000
	s_and_saveexec_b64 s[18:19], s[0:1]
	s_cbranch_execz .LBB287_235
; %bb.234:                              ;   in Loop: Header=BB287_139 Depth=1
	v_and_b32_e32 v19, 7, v6
	v_ffbh_u32_e32 v40, v19
	v_min_u32_e32 v42, 32, v40
	v_subrev_u32_e32 v40, 28, v42
	v_lshlrev_b64 v[40:41], v40, v[6:7]
	v_lshrrev_b32_e32 v38, 3, v18
	v_sub_u32_e32 v41, 29, v42
	v_cmp_gt_u32_e64 s[0:1], 8, v18
	v_cndmask_b32_e64 v18, v38, v41, s[0:1]
	v_and_b32_e32 v40, 7, v40
	v_lshlrev_b32_e32 v6, 8, v6
	v_lshl_add_u32 v18, v18, 10, v3
	v_cndmask_b32_e64 v19, v19, v40, s[0:1]
	v_and_or_b32 v6, v6, s23, v18
	v_lshl_or_b32 v6, v19, 7, v6
	v_cvt_f32_f16_e32 v38, v6
.LBB287_235:                            ;   in Loop: Header=BB287_139 Depth=1
	s_or_b64 exec, exec, s[18:19]
.LBB287_236:                            ;   in Loop: Header=BB287_139 Depth=1
	s_or_b64 exec, exec, s[16:17]
.LBB287_237:                            ;   in Loop: Header=BB287_139 Depth=1
	s_or_b64 exec, exec, s[12:13]
	s_waitcnt vmcnt(0)
	v_pk_mul_f32 v[16:17], v[14:15], v[16:17] op_sel_hi:[0,1]
	v_pk_mul_f32 v[12:13], v[14:15], v[12:13] op_sel_hi:[0,1]
	v_cvt_f16_f32_e32 v6, v17
	v_cvt_f16_f32_e32 v16, v16
	;; [unrolled: 1-line block ×4, first 2 shown]
	v_pack_b32_f16 v16, v16, v6
	v_pack_b32_f16 v12, v12, v13
	v_fma_mixlo_f16 v13, v14, v37, 0
	v_perm_b32 v6, v12, v16, s30
	v_perm_b32 v12, v12, v16, s31
	v_lshlrev_b32_e32 v13, 16, v13
	v_fma_mixlo_f16 v16, v14, v36, 0
	v_or_b32_sdwa v13, v13, v16 dst_sel:DWORD dst_unused:UNUSED_PAD src0_sel:DWORD src1_sel:WORD_0
	v_fma_mixlo_f16 v16, v14, v39, 0
	v_fma_mixlo_f16 v14, v14, v38, 0
	v_lshlrev_b32_e32 v14, 16, v14
	v_or_b32_sdwa v14, v14, v16 dst_sel:DWORD dst_unused:UNUSED_PAD src0_sel:DWORD src1_sel:WORD_0
	s_and_saveexec_b64 s[0:1], vcc
	s_cbranch_execz .LBB287_138
; %bb.238:                              ;   in Loop: Header=BB287_139 Depth=1
	v_lshrrev_b32_e32 v17, 16, v12
	v_cmp_gt_i32_e32 vcc, s20, v29
	v_cndmask_b32_e32 v17, 0, v17, vcc
	v_cmp_gt_i32_e32 vcc, s29, v24
	v_cndmask_b32_e32 v12, 0, v12, vcc
	v_perm_b32 v12, v17, v12, s34
	v_lshrrev_b32_e32 v17, 16, v6
	v_cmp_gt_i32_e32 vcc, s20, v28
	v_cndmask_b32_e32 v17, 0, v17, vcc
	v_cmp_gt_i32_e32 vcc, s29, v27
	v_cndmask_b32_e32 v6, 0, v6, vcc
	v_perm_b32 v6, v17, v6, s34
	v_lshrrev_b32_e32 v17, 16, v13
	v_cmp_gt_i32_e32 vcc, s20, v26
	v_cndmask_b32_e32 v17, 0, v17, vcc
	v_cmp_gt_i32_e32 vcc, s29, v25
	v_cndmask_b32_e32 v13, 0, v13, vcc
	v_lshrrev_b32_e32 v14, 16, v14
	v_cmp_gt_i32_e32 vcc, s20, v21
	v_cndmask_b32_e32 v14, 0, v14, vcc
	v_cmp_gt_i32_e32 vcc, s29, v20
	v_cndmask_b32_e32 v16, 0, v16, vcc
	v_perm_b32 v13, v17, v13, s34
	v_perm_b32 v14, v14, v16, s34
	s_branch .LBB287_138
.LBB287_239:
	s_or_b64 exec, exec, s[10:11]
.LBB287_240:
	s_or_b64 exec, exec, s[4:5]
	ds_bpermute_b32 v2, v22, v4
	ds_bpermute_b32 v3, v22, v5
	v_and_b32_e32 v1, 0x3c1, v0
	v_cmp_eq_u32_e32 vcc, 64, v1
	s_waitcnt lgkmcnt(0)
	s_barrier
	v_pk_add_f32 v[2:3], v[4:5], v[2:3]
	s_and_saveexec_b64 s[0:1], vcc
	s_cbranch_execz .LBB287_242
; %bb.241:
	v_mov_b32_e32 v4, 0x90
	v_lshl_add_u32 v4, v15, 1, v4
	ds_write2_b32 v4, v2, v3 offset1:32
.LBB287_242:
	s_or_b64 exec, exec, s[0:1]
	v_cmp_gt_u32_e32 vcc, 64, v0
	s_waitcnt lgkmcnt(0)
	s_barrier
	s_and_saveexec_b64 s[0:1], vcc
	s_cbranch_execz .LBB287_248
; %bb.243:
	v_cmp_eq_u32_e32 vcc, 0, v23
	v_lshrrev_b32_e32 v4, 1, v0
	s_and_saveexec_b64 s[4:5], vcc
	s_cbranch_execz .LBB287_245
; %bb.244:
	v_mov_b32_e32 v5, 0x90
	v_lshl_add_u32 v5, v4, 2, v5
	ds_read_b32 v5, v5
	s_waitcnt lgkmcnt(0)
	v_add_f32_e32 v2, v2, v5
.LBB287_245:
	s_or_b64 exec, exec, s[4:5]
	s_and_saveexec_b64 s[4:5], vcc
	s_cbranch_execz .LBB287_247
; %bb.246:
	v_mov_b32_e32 v5, 0x90
	v_lshl_add_u32 v4, v4, 2, v5
	ds_read_b32 v4, v4 offset:128
	s_waitcnt lgkmcnt(0)
	v_add_f32_e32 v3, v3, v4
.LBB287_247:
	s_or_b64 exec, exec, s[4:5]
.LBB287_248:
	s_or_b64 exec, exec, s[0:1]
	v_cmp_eq_u32_e32 vcc, 0, v1
	s_barrier
	s_and_saveexec_b64 s[0:1], vcc
	s_cbranch_execz .LBB287_250
; %bb.249:
	s_lshl_b32 s0, s2, 6
	s_ashr_i32 s1, s0, 31
	s_lshl_b64 s[0:1], s[0:1], 1
	s_add_u32 s2, s26, s0
	s_mul_i32 s0, s25, s24
	s_addc_u32 s3, s27, s1
	s_ashr_i32 s1, s0, 31
	s_lshl_b64 s[0:1], s[0:1], 1
	s_add_u32 s2, s2, s0
	s_addc_u32 s3, s3, s1
	s_lshl_b32 s0, s8, 6
	s_ashr_i32 s1, s0, 31
	s_lshl_b64 s[0:1], s[0:1], 1
	s_add_u32 s0, s2, s0
	s_addc_u32 s1, s3, s1
	;;#ASMSTART
	v_cvt_f16_f32 v1, v2;

	;;#ASMEND
	global_store_short v0, v1, s[0:1]
	;;#ASMSTART
	v_cvt_f16_f32 v1, v3;

	;;#ASMEND
	global_store_short v0, v1, s[0:1] offset:64
.LBB287_250:
	s_endpgm
	.section	.rodata,"a",@progbits
	.p2align	6, 0x0
	.amdhsa_kernel _ZN4vllm25paged_attention_v2_kernelIthLi64ELi16ELi128ELNS_18Fp8KVCacheDataTypeE1ELb0ELi512EEEvPfS2_PT_PKS3_PKT0_S9_ifPKiSB_iPKfiiiSD_SD_iiiii
		.amdhsa_group_segment_fixed_size 144
		.amdhsa_private_segment_fixed_size 0
		.amdhsa_kernarg_size 400
		.amdhsa_user_sgpr_count 6
		.amdhsa_user_sgpr_private_segment_buffer 1
		.amdhsa_user_sgpr_dispatch_ptr 0
		.amdhsa_user_sgpr_queue_ptr 0
		.amdhsa_user_sgpr_kernarg_segment_ptr 1
		.amdhsa_user_sgpr_dispatch_id 0
		.amdhsa_user_sgpr_flat_scratch_init 0
		.amdhsa_user_sgpr_kernarg_preload_length 0
		.amdhsa_user_sgpr_kernarg_preload_offset 0
		.amdhsa_user_sgpr_private_segment_size 0
		.amdhsa_uses_dynamic_stack 0
		.amdhsa_system_sgpr_private_segment_wavefront_offset 0
		.amdhsa_system_sgpr_workgroup_id_x 1
		.amdhsa_system_sgpr_workgroup_id_y 1
		.amdhsa_system_sgpr_workgroup_id_z 1
		.amdhsa_system_sgpr_workgroup_info 0
		.amdhsa_system_vgpr_workitem_id 0
		.amdhsa_next_free_vgpr 45
		.amdhsa_next_free_sgpr 53
		.amdhsa_accum_offset 48
		.amdhsa_reserve_vcc 1
		.amdhsa_reserve_flat_scratch 0
		.amdhsa_float_round_mode_32 0
		.amdhsa_float_round_mode_16_64 0
		.amdhsa_float_denorm_mode_32 3
		.amdhsa_float_denorm_mode_16_64 3
		.amdhsa_dx10_clamp 1
		.amdhsa_ieee_mode 1
		.amdhsa_fp16_overflow 0
		.amdhsa_tg_split 0
		.amdhsa_exception_fp_ieee_invalid_op 0
		.amdhsa_exception_fp_denorm_src 0
		.amdhsa_exception_fp_ieee_div_zero 0
		.amdhsa_exception_fp_ieee_overflow 0
		.amdhsa_exception_fp_ieee_underflow 0
		.amdhsa_exception_fp_ieee_inexact 0
		.amdhsa_exception_int_div_zero 0
	.end_amdhsa_kernel
	.section	.text._ZN4vllm25paged_attention_v2_kernelIthLi64ELi16ELi128ELNS_18Fp8KVCacheDataTypeE1ELb0ELi512EEEvPfS2_PT_PKS3_PKT0_S9_ifPKiSB_iPKfiiiSD_SD_iiiii,"axG",@progbits,_ZN4vllm25paged_attention_v2_kernelIthLi64ELi16ELi128ELNS_18Fp8KVCacheDataTypeE1ELb0ELi512EEEvPfS2_PT_PKS3_PKT0_S9_ifPKiSB_iPKfiiiSD_SD_iiiii,comdat
.Lfunc_end287:
	.size	_ZN4vllm25paged_attention_v2_kernelIthLi64ELi16ELi128ELNS_18Fp8KVCacheDataTypeE1ELb0ELi512EEEvPfS2_PT_PKS3_PKT0_S9_ifPKiSB_iPKfiiiSD_SD_iiiii, .Lfunc_end287-_ZN4vllm25paged_attention_v2_kernelIthLi64ELi16ELi128ELNS_18Fp8KVCacheDataTypeE1ELb0ELi512EEEvPfS2_PT_PKS3_PKT0_S9_ifPKiSB_iPKfiiiSD_SD_iiiii
                                        ; -- End function
	.section	.AMDGPU.csdata,"",@progbits
; Kernel info:
; codeLenInByte = 10656
; NumSgprs: 57
; NumVgprs: 45
; NumAgprs: 0
; TotalNumVgprs: 45
; ScratchSize: 0
; MemoryBound: 0
; FloatMode: 240
; IeeeMode: 1
; LDSByteSize: 144 bytes/workgroup (compile time only)
; SGPRBlocks: 7
; VGPRBlocks: 5
; NumSGPRsForWavesPerEU: 57
; NumVGPRsForWavesPerEU: 45
; AccumOffset: 48
; Occupancy: 8
; WaveLimiterHint : 1
; COMPUTE_PGM_RSRC2:SCRATCH_EN: 0
; COMPUTE_PGM_RSRC2:USER_SGPR: 6
; COMPUTE_PGM_RSRC2:TRAP_HANDLER: 0
; COMPUTE_PGM_RSRC2:TGID_X_EN: 1
; COMPUTE_PGM_RSRC2:TGID_Y_EN: 1
; COMPUTE_PGM_RSRC2:TGID_Z_EN: 1
; COMPUTE_PGM_RSRC2:TIDIG_COMP_CNT: 0
; COMPUTE_PGM_RSRC3_GFX90A:ACCUM_OFFSET: 11
; COMPUTE_PGM_RSRC3_GFX90A:TG_SPLIT: 0
	.section	.text._ZN4vllm25paged_attention_v2_kernelIthLi80ELi16ELi128ELNS_18Fp8KVCacheDataTypeE1ELb0ELi512EEEvPfS2_PT_PKS3_PKT0_S9_ifPKiSB_iPKfiiiSD_SD_iiiii,"axG",@progbits,_ZN4vllm25paged_attention_v2_kernelIthLi80ELi16ELi128ELNS_18Fp8KVCacheDataTypeE1ELb0ELi512EEEvPfS2_PT_PKS3_PKT0_S9_ifPKiSB_iPKfiiiSD_SD_iiiii,comdat
	.protected	_ZN4vllm25paged_attention_v2_kernelIthLi80ELi16ELi128ELNS_18Fp8KVCacheDataTypeE1ELb0ELi512EEEvPfS2_PT_PKS3_PKT0_S9_ifPKiSB_iPKfiiiSD_SD_iiiii ; -- Begin function _ZN4vllm25paged_attention_v2_kernelIthLi80ELi16ELi128ELNS_18Fp8KVCacheDataTypeE1ELb0ELi512EEEvPfS2_PT_PKS3_PKT0_S9_ifPKiSB_iPKfiiiSD_SD_iiiii
	.globl	_ZN4vllm25paged_attention_v2_kernelIthLi80ELi16ELi128ELNS_18Fp8KVCacheDataTypeE1ELb0ELi512EEEvPfS2_PT_PKS3_PKT0_S9_ifPKiSB_iPKfiiiSD_SD_iiiii
	.p2align	8
	.type	_ZN4vllm25paged_attention_v2_kernelIthLi80ELi16ELi128ELNS_18Fp8KVCacheDataTypeE1ELb0ELi512EEEvPfS2_PT_PKS3_PKT0_S9_ifPKiSB_iPKfiiiSD_SD_iiiii,@function
_ZN4vllm25paged_attention_v2_kernelIthLi80ELi16ELi128ELNS_18Fp8KVCacheDataTypeE1ELb0ELi512EEEvPfS2_PT_PKS3_PKT0_S9_ifPKiSB_iPKfiiiSD_SD_iiiii: ; @_ZN4vllm25paged_attention_v2_kernelIthLi80ELi16ELi128ELNS_18Fp8KVCacheDataTypeE1ELb0ELi512EEEvPfS2_PT_PKS3_PKT0_S9_ifPKiSB_iPKfiiiSD_SD_iiiii
; %bb.0:
	s_load_dwordx2 s[0:1], s[4:5], 0x40
	s_mov_b32 s28, s7
	s_ashr_i32 s29, s7, 31
	s_lshl_b64 s[2:3], s[28:29], 2
	s_waitcnt lgkmcnt(0)
	s_add_u32 s0, s0, s2
	s_addc_u32 s1, s1, s3
	s_load_dword s29, s[0:1], 0x0
	s_lshl_b32 s46, s8, 9
	s_waitcnt lgkmcnt(0)
	s_cmp_ge_i32 s46, s29
	s_cbranch_scc1 .LBB288_334
; %bb.1:
	s_load_dword s9, s[4:5], 0x90
	s_load_dwordx2 s[10:11], s[4:5], 0x30
	s_waitcnt lgkmcnt(0)
	s_abs_i32 s2, s9
	s_abs_i32 s0, s10
	v_cvt_f32_u32_e32 v1, s0
	s_sub_i32 s3, 0, s0
	s_xor_b32 s1, s9, s10
	s_ashr_i32 s1, s1, 31
	v_rcp_iflag_f32_e32 v1, v1
	v_mul_f32_e32 v1, 0x4f7ffffe, v1
	v_cvt_u32_f32_e32 v1, v1
	v_readfirstlane_b32 s7, v1
	s_mul_i32 s3, s3, s7
	s_mul_hi_u32 s3, s7, s3
	s_add_i32 s7, s7, s3
	s_mul_hi_u32 s3, s2, s7
	s_mul_i32 s7, s3, s0
	s_sub_i32 s2, s2, s7
	s_add_i32 s10, s3, 1
	s_sub_i32 s7, s2, s0
	s_cmp_ge_u32 s2, s0
	s_cselect_b32 s3, s10, s3
	s_cselect_b32 s2, s7, s2
	s_add_i32 s7, s3, 1
	s_cmp_ge_u32 s2, s0
	s_cselect_b32 s0, s7, s3
	s_xor_b32 s0, s0, s1
	s_sub_i32 s14, s0, s1
	s_abs_i32 s2, s14
	v_cvt_f32_u32_e32 v1, s2
	s_load_dwordx2 s[0:1], s[4:5], 0x50
	s_sub_i32 s7, 0, s2
	s_abs_i32 s3, s6
	v_rcp_iflag_f32_e32 v1, v1
	s_mov_b32 s10, 0
	v_mul_f32_e32 v1, 0x4f7ffffe, v1
	v_cvt_u32_f32_e32 v1, v1
	v_readfirstlane_b32 s12, v1
	s_mul_i32 s7, s7, s12
	s_mul_hi_u32 s7, s12, s7
	s_add_i32 s12, s12, s7
	s_waitcnt lgkmcnt(0)
	s_cmp_eq_u64 s[0:1], 0
	s_mul_hi_u32 s12, s3, s12
	s_cbranch_scc1 .LBB288_3
; %bb.2:
	s_ashr_i32 s7, s6, 31
	s_lshl_b64 s[16:17], s[6:7], 2
	s_add_u32 s0, s0, s16
	s_addc_u32 s1, s1, s17
	s_load_dword s10, s[0:1], 0x0
.LBB288_3:
	s_load_dwordx4 s[16:19], s[4:5], 0x58
	s_ashr_i32 s13, s6, 31
	s_ashr_i32 s14, s14, 31
	v_and_b32_e32 v8, 3, v0
	s_mul_i32 s24, s6, 0x50
	v_cmp_gt_u32_e32 vcc, 40, v0
	s_and_saveexec_b64 s[0:1], vcc
	s_cbranch_execz .LBB288_5
; %bb.4:
	s_load_dwordx2 s[20:21], s[4:5], 0x18
	s_waitcnt lgkmcnt(0)
	s_mul_i32 s22, s28, s16
	s_ashr_i32 s23, s22, 31
	s_lshl_b64 s[22:23], s[22:23], 1
	v_lshlrev_b32_e32 v1, 2, v0
	s_add_u32 s7, s20, s22
	s_addc_u32 s15, s21, s23
	s_ashr_i32 s25, s24, 31
	s_lshl_b64 s[20:21], s[24:25], 1
	s_add_u32 s20, s7, s20
	s_addc_u32 s21, s15, s21
	global_load_dword v1, v1, s[20:21]
	v_and_b32_e32 v2, 0x3fc, v0
	v_mad_u32_u24 v2, v8, 40, v2
	s_waitcnt vmcnt(0)
	ds_write_b32 v2, v1
.LBB288_5:
	s_or_b64 exec, exec, s[0:1]
	s_add_i32 s0, s29, 15
	s_ashr_i32 s1, s0, 31
	s_lshr_b32 s1, s1, 28
	s_add_i32 s0, s0, s1
	s_lshl_b32 s7, s8, 5
	s_mul_i32 s1, s12, s2
	s_waitcnt lgkmcnt(0)
	s_ashr_i32 s16, s0, 4
	s_add_i32 s0, s7, 32
	s_sub_i32 s1, s3, s1
	s_min_i32 s33, s0, s16
	s_xor_b32 s0, s13, s14
	s_add_i32 s3, s12, 1
	s_sub_i32 s13, s1, s2
	s_cmp_ge_u32 s1, s2
	s_cselect_b32 s3, s3, s12
	s_cselect_b32 s1, s13, s1
	s_add_i32 s12, s3, 1
	s_cmp_ge_u32 s1, s2
	s_load_dwordx2 s[30:31], s[4:5], 0x38
	s_load_dword s2, s[4:5], 0x48
	v_lshrrev_b32_e32 v7, 6, v0
	s_cselect_b32 s1, s12, s3
	s_xor_b32 s1, s1, s0
	v_or_b32_e32 v4, s7, v7
	s_waitcnt lgkmcnt(0)
	s_mul_i32 s34, s28, s2
	s_sub_i32 s47, s1, s0
	s_ashr_i32 s35, s34, 31
	v_cmp_gt_i32_e64 s[0:1], s33, v4
	v_cmp_le_i32_e32 vcc, s33, v4
	v_mbcnt_lo_u32_b32 v11, -1, 0
	s_barrier
	s_waitcnt lgkmcnt(0)
                                        ; implicit-def: $sgpr19
                                        ; implicit-def: $vgpr13
                                        ; implicit-def: $vgpr10
	s_and_saveexec_b64 s[2:3], vcc
	s_xor_b64 s[2:3], exec, s[2:3]
; %bb.6:
	v_mbcnt_hi_u32_b32 v13, -1, v11
	v_and_b32_e32 v1, 64, v13
	v_add_u32_e32 v10, 64, v1
	s_mov_b32 s19, 0xff7fffff
                                        ; implicit-def: $vgpr8
                                        ; implicit-def: $vgpr11
; %bb.7:
	s_or_saveexec_b64 s[38:39], s[2:3]
	s_load_dwordx4 s[20:23], s[4:5], 0x0
	s_load_dwordx2 s[26:27], s[4:5], 0x10
	s_load_dword s25, s[4:5], 0x98
	s_load_dwordx2 s[36:37], s[4:5], 0x28
	s_load_dwordx4 s[12:15], s[4:5], 0x68
	v_mov_b32_e32 v1, s19
	s_mul_i32 s47, s47, s18
	v_ashrrev_i32_e32 v5, 31, v4
	v_lshlrev_b32_e32 v14, 4, v7
	s_xor_b64 exec, exec, s[38:39]
	s_cbranch_execz .LBB288_133
; %bb.8:
	s_load_dwordx2 s[2:3], s[4:5], 0x20
	s_ashr_i32 s4, s47, 31
	v_bfe_u32 v1, v0, 2, 4
	v_lshlrev_b32_e32 v2, 4, v1
	v_add3_u32 v17, s46, v14, v1
	s_waitcnt lgkmcnt(0)
	s_add_u32 s2, s2, s47
	s_addc_u32 s3, s3, s4
	v_mov_b32_e32 v3, s3
	v_add_co_u32_e32 v2, vcc, s2, v2
	s_sub_i32 s49, 1, s29
	s_lshl_b64 s[4:5], s[34:35], 2
	v_addc_co_u32_e32 v3, vcc, 0, v3, vcc
	v_lshlrev_b32_e32 v1, 2, v1
	s_add_u32 s4, s30, s4
	v_lshlrev_b32_e32 v6, 1, v8
	v_mul_u32_u24_e32 v16, 40, v8
	v_cmp_eq_u32_e32 vcc, 0, v8
	v_lshl_or_b32 v1, v7, 6, v1
	v_lshlrev_b64 v[8:9], 2, v[4:5]
	s_addc_u32 s5, s31, s5
	v_add_u32_e32 v18, 0xb0, v1
	v_mov_b32_e32 v1, s5
	v_add_co_u32_e64 v8, s[4:5], s4, v8
	s_mov_b32 s48, s17
	v_mov_b32_e32 v15, 0
	v_cmp_neq_f32_e64 s[2:3], s10, 0
	v_addc_co_u32_e64 v9, s[4:5], v1, v9, s[4:5]
	s_mov_b64 s[18:19], 0
	v_mov_b32_e32 v1, 0xff7fffff
	s_movk_i32 s50, 0x80
	s_movk_i32 s51, 0x7f
	s_mov_b32 s52, 0x8000
	v_mbcnt_hi_u32_b32 v13, -1, v11
	v_mov_b32_e32 v19, 0x2000
	v_mov_b32_e32 v20, v4
	s_branch .LBB288_10
.LBB288_9:                              ;   in Loop: Header=BB288_10 Depth=1
	s_or_b64 exec, exec, s[40:41]
	v_add_u32_e32 v20, 2, v20
	v_cmp_le_i32_e64 s[4:5], s33, v20
	s_or_b64 s[18:19], s[4:5], s[18:19]
	v_add_co_u32_e64 v8, s[4:5], 8, v8
	v_add_u32_e32 v17, 32, v17
	v_add_u32_e32 v18, 0x80, v18
	v_addc_co_u32_e64 v9, s[4:5], 0, v9, s[4:5]
	s_andn2_b64 exec, exec, s[18:19]
	s_cbranch_execz .LBB288_132
.LBB288_10:                             ; =>This Inner Loop Header: Depth=1
	global_load_dword v10, v[8:9], off
	s_waitcnt vmcnt(0)
	v_mad_i64_i32 v[10:11], s[4:5], v10, s48, v[2:3]
	v_add_co_u32_e64 v10, s[4:5], v10, v6
	v_addc_co_u32_e64 v11, s[4:5], 0, v11, s[4:5]
	global_load_ushort v22, v[10:11], off
	global_load_dword v21, v15, s[12:13]
	s_waitcnt vmcnt(1) lgkmcnt(0)
	v_and_b32_e32 v12, 0xffff, v22
	v_cmp_ne_u16_sdwa s[4:5], v22, v15 src0_sel:BYTE_0 src1_sel:DWORD
	v_mov_b32_e32 v22, 0
	s_and_saveexec_b64 s[40:41], s[4:5]
	s_cbranch_execz .LBB288_16
; %bb.11:                               ;   in Loop: Header=BB288_10 Depth=1
	v_cmp_ne_u16_sdwa s[4:5], v12, s50 src0_sel:BYTE_0 src1_sel:DWORD
	v_bfrev_b32_e32 v22, 1
	s_and_saveexec_b64 s[42:43], s[4:5]
	s_cbranch_execz .LBB288_15
; %bb.12:                               ;   in Loop: Header=BB288_10 Depth=1
	v_and_b32_e32 v23, 0x7f, v12
	v_cmp_ne_u32_e64 s[4:5], s51, v23
	v_mov_b32_e32 v22, 0x7fc02000
	s_and_saveexec_b64 s[44:45], s[4:5]
	s_cbranch_execz .LBB288_14
; %bb.13:                               ;   in Loop: Header=BB288_10 Depth=1
	v_and_b32_e32 v22, 7, v12
	v_ffbh_u32_e32 v24, v22
	v_min_u32_e32 v27, 32, v24
	v_subrev_u32_e32 v24, 28, v27
	v_lshlrev_b64 v[24:25], v24, v[12:13]
	v_lshrrev_b32_e32 v26, 3, v23
	v_sub_u32_e32 v25, 29, v27
	v_cmp_gt_u32_e64 s[4:5], 8, v23
	v_and_b32_e32 v24, 7, v24
	v_cndmask_b32_e64 v23, v26, v25, s[4:5]
	v_cndmask_b32_e64 v22, v22, v24, s[4:5]
	v_lshlrev_b32_e32 v24, 8, v12
	v_lshl_add_u32 v23, v23, 10, v19
	v_and_or_b32 v23, v24, s52, v23
	v_lshl_or_b32 v22, v22, 7, v23
	v_cvt_f32_f16_e32 v22, v22
.LBB288_14:                             ;   in Loop: Header=BB288_10 Depth=1
	s_or_b64 exec, exec, s[44:45]
.LBB288_15:                             ;   in Loop: Header=BB288_10 Depth=1
	s_or_b64 exec, exec, s[42:43]
.LBB288_16:                             ;   in Loop: Header=BB288_10 Depth=1
	s_or_b64 exec, exec, s[40:41]
	v_lshrrev_b16_e32 v12, 8, v12
	v_cmp_ne_u16_e64 s[4:5], 0, v12
	v_mov_b32_e32 v23, 0
	v_mov_b32_e32 v24, 0
	s_and_saveexec_b64 s[40:41], s[4:5]
	s_cbranch_execz .LBB288_22
; %bb.17:                               ;   in Loop: Header=BB288_10 Depth=1
	v_cmp_ne_u16_e64 s[4:5], s50, v12
	v_bfrev_b32_e32 v24, 1
	s_and_saveexec_b64 s[42:43], s[4:5]
	s_cbranch_execz .LBB288_21
; %bb.18:                               ;   in Loop: Header=BB288_10 Depth=1
	v_and_b32_e32 v25, 0x7f, v12
	v_cmp_ne_u32_e64 s[4:5], s51, v25
	v_mov_b32_e32 v24, 0x7fc02000
	s_and_saveexec_b64 s[44:45], s[4:5]
	s_cbranch_execz .LBB288_20
; %bb.19:                               ;   in Loop: Header=BB288_10 Depth=1
	v_and_b32_e32 v24, 7, v12
	v_ffbh_u32_e32 v26, v24
	v_min_u32_e32 v29, 32, v26
	v_subrev_u32_e32 v26, 28, v29
	v_lshlrev_b64 v[26:27], v26, v[12:13]
	v_lshrrev_b32_e32 v28, 3, v25
	v_sub_u32_e32 v27, 29, v29
	v_cmp_gt_u32_e64 s[4:5], 8, v25
	v_cndmask_b32_e64 v25, v28, v27, s[4:5]
	v_and_b32_e32 v26, 7, v26
	v_lshlrev_b32_e32 v12, 8, v12
	v_lshl_add_u32 v25, v25, 10, v19
	v_cndmask_b32_e64 v24, v24, v26, s[4:5]
	v_and_or_b32 v12, v12, s52, v25
	v_lshl_or_b32 v12, v24, 7, v12
	v_cvt_f32_f16_e32 v24, v12
.LBB288_20:                             ;   in Loop: Header=BB288_10 Depth=1
	s_or_b64 exec, exec, s[44:45]
.LBB288_21:                             ;   in Loop: Header=BB288_10 Depth=1
	s_or_b64 exec, exec, s[42:43]
.LBB288_22:                             ;   in Loop: Header=BB288_10 Depth=1
	s_or_b64 exec, exec, s[40:41]
	global_load_ushort v25, v[10:11], off offset:8
	s_waitcnt vmcnt(0)
	v_and_b32_e32 v12, 0xffff, v25
	v_cmp_ne_u16_sdwa s[4:5], v25, v15 src0_sel:BYTE_0 src1_sel:DWORD
	s_and_saveexec_b64 s[40:41], s[4:5]
	s_cbranch_execz .LBB288_28
; %bb.23:                               ;   in Loop: Header=BB288_10 Depth=1
	v_cmp_ne_u16_sdwa s[4:5], v12, s50 src0_sel:BYTE_0 src1_sel:DWORD
	v_bfrev_b32_e32 v23, 1
	s_and_saveexec_b64 s[42:43], s[4:5]
	s_cbranch_execz .LBB288_27
; %bb.24:                               ;   in Loop: Header=BB288_10 Depth=1
	v_and_b32_e32 v25, 0x7f, v12
	v_cmp_ne_u32_e64 s[4:5], s51, v25
	v_mov_b32_e32 v23, 0x7fc02000
	s_and_saveexec_b64 s[44:45], s[4:5]
	s_cbranch_execz .LBB288_26
; %bb.25:                               ;   in Loop: Header=BB288_10 Depth=1
	v_and_b32_e32 v23, 7, v12
	v_ffbh_u32_e32 v26, v23
	v_min_u32_e32 v29, 32, v26
	v_subrev_u32_e32 v26, 28, v29
	v_lshlrev_b64 v[26:27], v26, v[12:13]
	v_lshrrev_b32_e32 v28, 3, v25
	v_sub_u32_e32 v27, 29, v29
	v_cmp_gt_u32_e64 s[4:5], 8, v25
	v_and_b32_e32 v26, 7, v26
	v_cndmask_b32_e64 v25, v28, v27, s[4:5]
	v_cndmask_b32_e64 v23, v23, v26, s[4:5]
	v_lshlrev_b32_e32 v26, 8, v12
	v_lshl_add_u32 v25, v25, 10, v19
	v_and_or_b32 v25, v26, s52, v25
	v_lshl_or_b32 v23, v23, 7, v25
	v_cvt_f32_f16_e32 v23, v23
.LBB288_26:                             ;   in Loop: Header=BB288_10 Depth=1
	s_or_b64 exec, exec, s[44:45]
.LBB288_27:                             ;   in Loop: Header=BB288_10 Depth=1
	s_or_b64 exec, exec, s[42:43]
.LBB288_28:                             ;   in Loop: Header=BB288_10 Depth=1
	s_or_b64 exec, exec, s[40:41]
	v_lshrrev_b16_e32 v12, 8, v12
	v_cmp_ne_u16_e64 s[4:5], 0, v12
	v_mov_b32_e32 v25, 0
	v_mov_b32_e32 v26, 0
	s_and_saveexec_b64 s[40:41], s[4:5]
	s_cbranch_execz .LBB288_34
; %bb.29:                               ;   in Loop: Header=BB288_10 Depth=1
	v_cmp_ne_u16_e64 s[4:5], s50, v12
	v_bfrev_b32_e32 v26, 1
	s_and_saveexec_b64 s[42:43], s[4:5]
	s_cbranch_execz .LBB288_33
; %bb.30:                               ;   in Loop: Header=BB288_10 Depth=1
	v_and_b32_e32 v27, 0x7f, v12
	v_cmp_ne_u32_e64 s[4:5], s51, v27
	v_mov_b32_e32 v26, 0x7fc02000
	s_and_saveexec_b64 s[44:45], s[4:5]
	s_cbranch_execz .LBB288_32
; %bb.31:                               ;   in Loop: Header=BB288_10 Depth=1
	v_and_b32_e32 v26, 7, v12
	v_ffbh_u32_e32 v28, v26
	v_min_u32_e32 v31, 32, v28
	v_subrev_u32_e32 v28, 28, v31
	v_lshlrev_b64 v[28:29], v28, v[12:13]
	v_lshrrev_b32_e32 v30, 3, v27
	v_sub_u32_e32 v29, 29, v31
	v_cmp_gt_u32_e64 s[4:5], 8, v27
	v_cndmask_b32_e64 v27, v30, v29, s[4:5]
	v_and_b32_e32 v28, 7, v28
	v_lshlrev_b32_e32 v12, 8, v12
	v_lshl_add_u32 v27, v27, 10, v19
	v_cndmask_b32_e64 v26, v26, v28, s[4:5]
	v_and_or_b32 v12, v12, s52, v27
	v_lshl_or_b32 v12, v26, 7, v12
	v_cvt_f32_f16_e32 v26, v12
.LBB288_32:                             ;   in Loop: Header=BB288_10 Depth=1
	s_or_b64 exec, exec, s[44:45]
.LBB288_33:                             ;   in Loop: Header=BB288_10 Depth=1
	s_or_b64 exec, exec, s[42:43]
.LBB288_34:                             ;   in Loop: Header=BB288_10 Depth=1
	s_or_b64 exec, exec, s[40:41]
	global_load_ushort v27, v[10:11], off offset:256
	s_waitcnt vmcnt(0)
	v_and_b32_e32 v12, 0xffff, v27
	v_cmp_ne_u16_sdwa s[4:5], v27, v15 src0_sel:BYTE_0 src1_sel:DWORD
	s_and_saveexec_b64 s[40:41], s[4:5]
	s_cbranch_execz .LBB288_40
; %bb.35:                               ;   in Loop: Header=BB288_10 Depth=1
	v_cmp_ne_u16_sdwa s[4:5], v12, s50 src0_sel:BYTE_0 src1_sel:DWORD
	v_bfrev_b32_e32 v25, 1
	s_and_saveexec_b64 s[42:43], s[4:5]
	s_cbranch_execz .LBB288_39
; %bb.36:                               ;   in Loop: Header=BB288_10 Depth=1
	v_and_b32_e32 v27, 0x7f, v12
	v_cmp_ne_u32_e64 s[4:5], s51, v27
	v_mov_b32_e32 v25, 0x7fc02000
	s_and_saveexec_b64 s[44:45], s[4:5]
	s_cbranch_execz .LBB288_38
; %bb.37:                               ;   in Loop: Header=BB288_10 Depth=1
	v_and_b32_e32 v25, 7, v12
	v_ffbh_u32_e32 v28, v25
	v_min_u32_e32 v31, 32, v28
	v_subrev_u32_e32 v28, 28, v31
	v_lshlrev_b64 v[28:29], v28, v[12:13]
	v_lshrrev_b32_e32 v30, 3, v27
	v_sub_u32_e32 v29, 29, v31
	v_cmp_gt_u32_e64 s[4:5], 8, v27
	v_and_b32_e32 v28, 7, v28
	v_cndmask_b32_e64 v27, v30, v29, s[4:5]
	v_cndmask_b32_e64 v25, v25, v28, s[4:5]
	v_lshlrev_b32_e32 v28, 8, v12
	v_lshl_add_u32 v27, v27, 10, v19
	v_and_or_b32 v27, v28, s52, v27
	v_lshl_or_b32 v25, v25, 7, v27
	v_cvt_f32_f16_e32 v25, v25
.LBB288_38:                             ;   in Loop: Header=BB288_10 Depth=1
	s_or_b64 exec, exec, s[44:45]
.LBB288_39:                             ;   in Loop: Header=BB288_10 Depth=1
	s_or_b64 exec, exec, s[42:43]
.LBB288_40:                             ;   in Loop: Header=BB288_10 Depth=1
	s_or_b64 exec, exec, s[40:41]
	v_lshrrev_b16_e32 v12, 8, v12
	v_cmp_ne_u16_e64 s[4:5], 0, v12
	v_mov_b32_e32 v27, 0
	v_mov_b32_e32 v28, 0
	s_and_saveexec_b64 s[40:41], s[4:5]
	s_cbranch_execz .LBB288_46
; %bb.41:                               ;   in Loop: Header=BB288_10 Depth=1
	v_cmp_ne_u16_e64 s[4:5], s50, v12
	v_bfrev_b32_e32 v28, 1
	s_and_saveexec_b64 s[42:43], s[4:5]
	s_cbranch_execz .LBB288_45
; %bb.42:                               ;   in Loop: Header=BB288_10 Depth=1
	v_and_b32_e32 v29, 0x7f, v12
	v_cmp_ne_u32_e64 s[4:5], s51, v29
	v_mov_b32_e32 v28, 0x7fc02000
	s_and_saveexec_b64 s[44:45], s[4:5]
	s_cbranch_execz .LBB288_44
; %bb.43:                               ;   in Loop: Header=BB288_10 Depth=1
	v_and_b32_e32 v28, 7, v12
	v_ffbh_u32_e32 v30, v28
	v_min_u32_e32 v33, 32, v30
	v_subrev_u32_e32 v30, 28, v33
	v_lshlrev_b64 v[30:31], v30, v[12:13]
	v_lshrrev_b32_e32 v32, 3, v29
	v_sub_u32_e32 v31, 29, v33
	v_cmp_gt_u32_e64 s[4:5], 8, v29
	v_cndmask_b32_e64 v29, v32, v31, s[4:5]
	v_and_b32_e32 v30, 7, v30
	v_lshlrev_b32_e32 v12, 8, v12
	v_lshl_add_u32 v29, v29, 10, v19
	v_cndmask_b32_e64 v28, v28, v30, s[4:5]
	v_and_or_b32 v12, v12, s52, v29
	v_lshl_or_b32 v12, v28, 7, v12
	v_cvt_f32_f16_e32 v28, v12
.LBB288_44:                             ;   in Loop: Header=BB288_10 Depth=1
	s_or_b64 exec, exec, s[44:45]
.LBB288_45:                             ;   in Loop: Header=BB288_10 Depth=1
	s_or_b64 exec, exec, s[42:43]
.LBB288_46:                             ;   in Loop: Header=BB288_10 Depth=1
	s_or_b64 exec, exec, s[40:41]
	global_load_ushort v29, v[10:11], off offset:264
	s_waitcnt vmcnt(0)
	v_and_b32_e32 v12, 0xffff, v29
	v_cmp_ne_u16_sdwa s[4:5], v29, v15 src0_sel:BYTE_0 src1_sel:DWORD
	s_and_saveexec_b64 s[40:41], s[4:5]
	s_cbranch_execz .LBB288_52
; %bb.47:                               ;   in Loop: Header=BB288_10 Depth=1
	v_cmp_ne_u16_sdwa s[4:5], v12, s50 src0_sel:BYTE_0 src1_sel:DWORD
	v_bfrev_b32_e32 v27, 1
	s_and_saveexec_b64 s[42:43], s[4:5]
	s_cbranch_execz .LBB288_51
; %bb.48:                               ;   in Loop: Header=BB288_10 Depth=1
	v_and_b32_e32 v29, 0x7f, v12
	v_cmp_ne_u32_e64 s[4:5], s51, v29
	v_mov_b32_e32 v27, 0x7fc02000
	s_and_saveexec_b64 s[44:45], s[4:5]
	s_cbranch_execz .LBB288_50
; %bb.49:                               ;   in Loop: Header=BB288_10 Depth=1
	v_and_b32_e32 v27, 7, v12
	v_ffbh_u32_e32 v30, v27
	v_min_u32_e32 v33, 32, v30
	v_subrev_u32_e32 v30, 28, v33
	v_lshlrev_b64 v[30:31], v30, v[12:13]
	v_lshrrev_b32_e32 v32, 3, v29
	v_sub_u32_e32 v31, 29, v33
	v_cmp_gt_u32_e64 s[4:5], 8, v29
	v_and_b32_e32 v30, 7, v30
	v_cndmask_b32_e64 v29, v32, v31, s[4:5]
	v_cndmask_b32_e64 v27, v27, v30, s[4:5]
	v_lshlrev_b32_e32 v30, 8, v12
	v_lshl_add_u32 v29, v29, 10, v19
	v_and_or_b32 v29, v30, s52, v29
	v_lshl_or_b32 v27, v27, 7, v29
	v_cvt_f32_f16_e32 v27, v27
.LBB288_50:                             ;   in Loop: Header=BB288_10 Depth=1
	s_or_b64 exec, exec, s[44:45]
.LBB288_51:                             ;   in Loop: Header=BB288_10 Depth=1
	s_or_b64 exec, exec, s[42:43]
.LBB288_52:                             ;   in Loop: Header=BB288_10 Depth=1
	s_or_b64 exec, exec, s[40:41]
	v_lshrrev_b16_e32 v12, 8, v12
	v_cmp_ne_u16_e64 s[4:5], 0, v12
	v_mov_b32_e32 v29, 0
	v_mov_b32_e32 v30, 0
	s_and_saveexec_b64 s[40:41], s[4:5]
	s_cbranch_execz .LBB288_58
; %bb.53:                               ;   in Loop: Header=BB288_10 Depth=1
	v_cmp_ne_u16_e64 s[4:5], s50, v12
	v_bfrev_b32_e32 v30, 1
	s_and_saveexec_b64 s[42:43], s[4:5]
	s_cbranch_execz .LBB288_57
; %bb.54:                               ;   in Loop: Header=BB288_10 Depth=1
	v_and_b32_e32 v31, 0x7f, v12
	v_cmp_ne_u32_e64 s[4:5], s51, v31
	v_mov_b32_e32 v30, 0x7fc02000
	s_and_saveexec_b64 s[44:45], s[4:5]
	s_cbranch_execz .LBB288_56
; %bb.55:                               ;   in Loop: Header=BB288_10 Depth=1
	v_and_b32_e32 v30, 7, v12
	v_ffbh_u32_e32 v32, v30
	v_min_u32_e32 v35, 32, v32
	v_subrev_u32_e32 v32, 28, v35
	v_lshlrev_b64 v[32:33], v32, v[12:13]
	v_lshrrev_b32_e32 v34, 3, v31
	v_sub_u32_e32 v33, 29, v35
	v_cmp_gt_u32_e64 s[4:5], 8, v31
	v_cndmask_b32_e64 v31, v34, v33, s[4:5]
	v_and_b32_e32 v32, 7, v32
	v_lshlrev_b32_e32 v12, 8, v12
	v_lshl_add_u32 v31, v31, 10, v19
	v_cndmask_b32_e64 v30, v30, v32, s[4:5]
	v_and_or_b32 v12, v12, s52, v31
	v_lshl_or_b32 v12, v30, 7, v12
	v_cvt_f32_f16_e32 v30, v12
.LBB288_56:                             ;   in Loop: Header=BB288_10 Depth=1
	s_or_b64 exec, exec, s[44:45]
.LBB288_57:                             ;   in Loop: Header=BB288_10 Depth=1
	s_or_b64 exec, exec, s[42:43]
.LBB288_58:                             ;   in Loop: Header=BB288_10 Depth=1
	s_or_b64 exec, exec, s[40:41]
	global_load_ushort v31, v[10:11], off offset:512
	s_waitcnt vmcnt(0)
	v_and_b32_e32 v12, 0xffff, v31
	v_cmp_ne_u16_sdwa s[4:5], v31, v15 src0_sel:BYTE_0 src1_sel:DWORD
	s_and_saveexec_b64 s[40:41], s[4:5]
	s_cbranch_execz .LBB288_64
; %bb.59:                               ;   in Loop: Header=BB288_10 Depth=1
	v_cmp_ne_u16_sdwa s[4:5], v12, s50 src0_sel:BYTE_0 src1_sel:DWORD
	v_bfrev_b32_e32 v29, 1
	s_and_saveexec_b64 s[42:43], s[4:5]
	s_cbranch_execz .LBB288_63
; %bb.60:                               ;   in Loop: Header=BB288_10 Depth=1
	v_and_b32_e32 v31, 0x7f, v12
	v_cmp_ne_u32_e64 s[4:5], s51, v31
	v_mov_b32_e32 v29, 0x7fc02000
	s_and_saveexec_b64 s[44:45], s[4:5]
	s_cbranch_execz .LBB288_62
; %bb.61:                               ;   in Loop: Header=BB288_10 Depth=1
	v_and_b32_e32 v29, 7, v12
	v_ffbh_u32_e32 v32, v29
	v_min_u32_e32 v35, 32, v32
	v_subrev_u32_e32 v32, 28, v35
	v_lshlrev_b64 v[32:33], v32, v[12:13]
	v_lshrrev_b32_e32 v34, 3, v31
	v_sub_u32_e32 v33, 29, v35
	v_cmp_gt_u32_e64 s[4:5], 8, v31
	v_and_b32_e32 v32, 7, v32
	v_cndmask_b32_e64 v31, v34, v33, s[4:5]
	v_cndmask_b32_e64 v29, v29, v32, s[4:5]
	v_lshlrev_b32_e32 v32, 8, v12
	v_lshl_add_u32 v31, v31, 10, v19
	v_and_or_b32 v31, v32, s52, v31
	v_lshl_or_b32 v29, v29, 7, v31
	v_cvt_f32_f16_e32 v29, v29
.LBB288_62:                             ;   in Loop: Header=BB288_10 Depth=1
	s_or_b64 exec, exec, s[44:45]
.LBB288_63:                             ;   in Loop: Header=BB288_10 Depth=1
	s_or_b64 exec, exec, s[42:43]
.LBB288_64:                             ;   in Loop: Header=BB288_10 Depth=1
	s_or_b64 exec, exec, s[40:41]
	v_lshrrev_b16_e32 v12, 8, v12
	v_cmp_ne_u16_e64 s[4:5], 0, v12
	v_mov_b32_e32 v32, 0
	v_mov_b32_e32 v31, 0
	s_and_saveexec_b64 s[40:41], s[4:5]
	s_cbranch_execz .LBB288_70
; %bb.65:                               ;   in Loop: Header=BB288_10 Depth=1
	v_cmp_ne_u16_e64 s[4:5], s50, v12
	v_bfrev_b32_e32 v31, 1
	s_and_saveexec_b64 s[42:43], s[4:5]
	s_cbranch_execz .LBB288_69
; %bb.66:                               ;   in Loop: Header=BB288_10 Depth=1
	v_and_b32_e32 v33, 0x7f, v12
	v_cmp_ne_u32_e64 s[4:5], s51, v33
	v_mov_b32_e32 v31, 0x7fc02000
	s_and_saveexec_b64 s[44:45], s[4:5]
	s_cbranch_execz .LBB288_68
; %bb.67:                               ;   in Loop: Header=BB288_10 Depth=1
	v_and_b32_e32 v31, 7, v12
	v_ffbh_u32_e32 v34, v31
	v_min_u32_e32 v37, 32, v34
	v_subrev_u32_e32 v34, 28, v37
	v_lshlrev_b64 v[34:35], v34, v[12:13]
	v_lshrrev_b32_e32 v36, 3, v33
	v_sub_u32_e32 v35, 29, v37
	v_cmp_gt_u32_e64 s[4:5], 8, v33
	v_cndmask_b32_e64 v33, v36, v35, s[4:5]
	v_and_b32_e32 v34, 7, v34
	v_lshlrev_b32_e32 v12, 8, v12
	v_lshl_add_u32 v33, v33, 10, v19
	v_cndmask_b32_e64 v31, v31, v34, s[4:5]
	v_and_or_b32 v12, v12, s52, v33
	v_lshl_or_b32 v12, v31, 7, v12
	v_cvt_f32_f16_e32 v31, v12
.LBB288_68:                             ;   in Loop: Header=BB288_10 Depth=1
	s_or_b64 exec, exec, s[44:45]
.LBB288_69:                             ;   in Loop: Header=BB288_10 Depth=1
	s_or_b64 exec, exec, s[42:43]
.LBB288_70:                             ;   in Loop: Header=BB288_10 Depth=1
	s_or_b64 exec, exec, s[40:41]
	global_load_ushort v33, v[10:11], off offset:520
	s_waitcnt vmcnt(0)
	v_and_b32_e32 v12, 0xffff, v33
	v_cmp_ne_u16_sdwa s[4:5], v33, v15 src0_sel:BYTE_0 src1_sel:DWORD
	s_and_saveexec_b64 s[40:41], s[4:5]
	s_cbranch_execz .LBB288_76
; %bb.71:                               ;   in Loop: Header=BB288_10 Depth=1
	v_cmp_ne_u16_sdwa s[4:5], v12, s50 src0_sel:BYTE_0 src1_sel:DWORD
	v_bfrev_b32_e32 v32, 1
	s_and_saveexec_b64 s[42:43], s[4:5]
	s_cbranch_execz .LBB288_75
; %bb.72:                               ;   in Loop: Header=BB288_10 Depth=1
	v_and_b32_e32 v33, 0x7f, v12
	v_cmp_ne_u32_e64 s[4:5], s51, v33
	v_mov_b32_e32 v32, 0x7fc02000
	s_and_saveexec_b64 s[44:45], s[4:5]
	s_cbranch_execz .LBB288_74
; %bb.73:                               ;   in Loop: Header=BB288_10 Depth=1
	v_and_b32_e32 v32, 7, v12
	v_ffbh_u32_e32 v34, v32
	v_min_u32_e32 v37, 32, v34
	v_subrev_u32_e32 v34, 28, v37
	v_lshlrev_b64 v[34:35], v34, v[12:13]
	v_lshrrev_b32_e32 v36, 3, v33
	v_sub_u32_e32 v35, 29, v37
	v_cmp_gt_u32_e64 s[4:5], 8, v33
	v_and_b32_e32 v34, 7, v34
	v_cndmask_b32_e64 v33, v36, v35, s[4:5]
	v_cndmask_b32_e64 v32, v32, v34, s[4:5]
	v_lshlrev_b32_e32 v34, 8, v12
	v_lshl_add_u32 v33, v33, 10, v19
	v_and_or_b32 v33, v34, s52, v33
	v_lshl_or_b32 v32, v32, 7, v33
	v_cvt_f32_f16_e32 v32, v32
.LBB288_74:                             ;   in Loop: Header=BB288_10 Depth=1
	s_or_b64 exec, exec, s[44:45]
.LBB288_75:                             ;   in Loop: Header=BB288_10 Depth=1
	s_or_b64 exec, exec, s[42:43]
.LBB288_76:                             ;   in Loop: Header=BB288_10 Depth=1
	s_or_b64 exec, exec, s[40:41]
	v_lshrrev_b16_e32 v12, 8, v12
	v_cmp_ne_u16_e64 s[4:5], 0, v12
	v_mov_b32_e32 v34, 0
	v_mov_b32_e32 v33, 0
	s_and_saveexec_b64 s[40:41], s[4:5]
	s_cbranch_execz .LBB288_82
; %bb.77:                               ;   in Loop: Header=BB288_10 Depth=1
	v_cmp_ne_u16_e64 s[4:5], s50, v12
	v_bfrev_b32_e32 v33, 1
	s_and_saveexec_b64 s[42:43], s[4:5]
	s_cbranch_execz .LBB288_81
; %bb.78:                               ;   in Loop: Header=BB288_10 Depth=1
	v_and_b32_e32 v35, 0x7f, v12
	v_cmp_ne_u32_e64 s[4:5], s51, v35
	v_mov_b32_e32 v33, 0x7fc02000
	s_and_saveexec_b64 s[44:45], s[4:5]
	s_cbranch_execz .LBB288_80
; %bb.79:                               ;   in Loop: Header=BB288_10 Depth=1
	v_and_b32_e32 v33, 7, v12
	v_ffbh_u32_e32 v36, v33
	v_min_u32_e32 v39, 32, v36
	v_subrev_u32_e32 v36, 28, v39
	v_lshlrev_b64 v[36:37], v36, v[12:13]
	v_lshrrev_b32_e32 v38, 3, v35
	v_sub_u32_e32 v37, 29, v39
	v_cmp_gt_u32_e64 s[4:5], 8, v35
	v_cndmask_b32_e64 v35, v38, v37, s[4:5]
	v_and_b32_e32 v36, 7, v36
	v_lshlrev_b32_e32 v12, 8, v12
	v_lshl_add_u32 v35, v35, 10, v19
	v_cndmask_b32_e64 v33, v33, v36, s[4:5]
	v_and_or_b32 v12, v12, s52, v35
	v_lshl_or_b32 v12, v33, 7, v12
	v_cvt_f32_f16_e32 v33, v12
.LBB288_80:                             ;   in Loop: Header=BB288_10 Depth=1
	s_or_b64 exec, exec, s[44:45]
.LBB288_81:                             ;   in Loop: Header=BB288_10 Depth=1
	s_or_b64 exec, exec, s[42:43]
.LBB288_82:                             ;   in Loop: Header=BB288_10 Depth=1
	s_or_b64 exec, exec, s[40:41]
	global_load_ushort v35, v[10:11], off offset:768
	s_waitcnt vmcnt(0)
	v_and_b32_e32 v12, 0xffff, v35
	v_cmp_ne_u16_sdwa s[4:5], v35, v15 src0_sel:BYTE_0 src1_sel:DWORD
	s_and_saveexec_b64 s[40:41], s[4:5]
	s_cbranch_execz .LBB288_88
; %bb.83:                               ;   in Loop: Header=BB288_10 Depth=1
	v_cmp_ne_u16_sdwa s[4:5], v12, s50 src0_sel:BYTE_0 src1_sel:DWORD
	v_bfrev_b32_e32 v34, 1
	s_and_saveexec_b64 s[42:43], s[4:5]
	s_cbranch_execz .LBB288_87
; %bb.84:                               ;   in Loop: Header=BB288_10 Depth=1
	v_and_b32_e32 v35, 0x7f, v12
	v_cmp_ne_u32_e64 s[4:5], s51, v35
	v_mov_b32_e32 v34, 0x7fc02000
	s_and_saveexec_b64 s[44:45], s[4:5]
	s_cbranch_execz .LBB288_86
; %bb.85:                               ;   in Loop: Header=BB288_10 Depth=1
	v_and_b32_e32 v34, 7, v12
	v_ffbh_u32_e32 v36, v34
	v_min_u32_e32 v39, 32, v36
	v_subrev_u32_e32 v36, 28, v39
	v_lshlrev_b64 v[36:37], v36, v[12:13]
	v_lshrrev_b32_e32 v38, 3, v35
	v_sub_u32_e32 v37, 29, v39
	v_cmp_gt_u32_e64 s[4:5], 8, v35
	v_and_b32_e32 v36, 7, v36
	v_cndmask_b32_e64 v35, v38, v37, s[4:5]
	v_cndmask_b32_e64 v34, v34, v36, s[4:5]
	v_lshlrev_b32_e32 v36, 8, v12
	v_lshl_add_u32 v35, v35, 10, v19
	v_and_or_b32 v35, v36, s52, v35
	v_lshl_or_b32 v34, v34, 7, v35
	v_cvt_f32_f16_e32 v34, v34
.LBB288_86:                             ;   in Loop: Header=BB288_10 Depth=1
	s_or_b64 exec, exec, s[44:45]
.LBB288_87:                             ;   in Loop: Header=BB288_10 Depth=1
	s_or_b64 exec, exec, s[42:43]
.LBB288_88:                             ;   in Loop: Header=BB288_10 Depth=1
	s_or_b64 exec, exec, s[40:41]
	v_lshrrev_b16_e32 v12, 8, v12
	v_cmp_ne_u16_e64 s[4:5], 0, v12
	v_mov_b32_e32 v36, 0
	v_mov_b32_e32 v35, 0
	s_and_saveexec_b64 s[40:41], s[4:5]
	s_cbranch_execz .LBB288_94
; %bb.89:                               ;   in Loop: Header=BB288_10 Depth=1
	v_cmp_ne_u16_e64 s[4:5], s50, v12
	v_bfrev_b32_e32 v35, 1
	s_and_saveexec_b64 s[42:43], s[4:5]
	s_cbranch_execz .LBB288_93
; %bb.90:                               ;   in Loop: Header=BB288_10 Depth=1
	v_and_b32_e32 v37, 0x7f, v12
	v_cmp_ne_u32_e64 s[4:5], s51, v37
	v_mov_b32_e32 v35, 0x7fc02000
	s_and_saveexec_b64 s[44:45], s[4:5]
	s_cbranch_execz .LBB288_92
; %bb.91:                               ;   in Loop: Header=BB288_10 Depth=1
	v_and_b32_e32 v35, 7, v12
	v_ffbh_u32_e32 v38, v35
	v_min_u32_e32 v41, 32, v38
	v_subrev_u32_e32 v38, 28, v41
	v_lshlrev_b64 v[38:39], v38, v[12:13]
	v_lshrrev_b32_e32 v40, 3, v37
	v_sub_u32_e32 v39, 29, v41
	v_cmp_gt_u32_e64 s[4:5], 8, v37
	v_cndmask_b32_e64 v37, v40, v39, s[4:5]
	v_and_b32_e32 v38, 7, v38
	v_lshlrev_b32_e32 v12, 8, v12
	v_lshl_add_u32 v37, v37, 10, v19
	v_cndmask_b32_e64 v35, v35, v38, s[4:5]
	v_and_or_b32 v12, v12, s52, v37
	v_lshl_or_b32 v12, v35, 7, v12
	v_cvt_f32_f16_e32 v35, v12
.LBB288_92:                             ;   in Loop: Header=BB288_10 Depth=1
	s_or_b64 exec, exec, s[44:45]
.LBB288_93:                             ;   in Loop: Header=BB288_10 Depth=1
	s_or_b64 exec, exec, s[42:43]
.LBB288_94:                             ;   in Loop: Header=BB288_10 Depth=1
	s_or_b64 exec, exec, s[40:41]
	global_load_ushort v37, v[10:11], off offset:776
	s_waitcnt vmcnt(0)
	v_and_b32_e32 v12, 0xffff, v37
	v_cmp_ne_u16_sdwa s[4:5], v37, v15 src0_sel:BYTE_0 src1_sel:DWORD
	s_and_saveexec_b64 s[40:41], s[4:5]
	s_cbranch_execz .LBB288_100
; %bb.95:                               ;   in Loop: Header=BB288_10 Depth=1
	v_cmp_ne_u16_sdwa s[4:5], v12, s50 src0_sel:BYTE_0 src1_sel:DWORD
	v_bfrev_b32_e32 v36, 1
	s_and_saveexec_b64 s[42:43], s[4:5]
	s_cbranch_execz .LBB288_99
; %bb.96:                               ;   in Loop: Header=BB288_10 Depth=1
	v_and_b32_e32 v37, 0x7f, v12
	v_cmp_ne_u32_e64 s[4:5], s51, v37
	v_mov_b32_e32 v36, 0x7fc02000
	s_and_saveexec_b64 s[44:45], s[4:5]
	s_cbranch_execz .LBB288_98
; %bb.97:                               ;   in Loop: Header=BB288_10 Depth=1
	v_and_b32_e32 v36, 7, v12
	v_ffbh_u32_e32 v38, v36
	v_min_u32_e32 v41, 32, v38
	v_subrev_u32_e32 v38, 28, v41
	v_lshlrev_b64 v[38:39], v38, v[12:13]
	v_lshrrev_b32_e32 v40, 3, v37
	v_sub_u32_e32 v39, 29, v41
	v_cmp_gt_u32_e64 s[4:5], 8, v37
	v_and_b32_e32 v38, 7, v38
	v_cndmask_b32_e64 v37, v40, v39, s[4:5]
	v_cndmask_b32_e64 v36, v36, v38, s[4:5]
	v_lshlrev_b32_e32 v38, 8, v12
	v_lshl_add_u32 v37, v37, 10, v19
	v_and_or_b32 v37, v38, s52, v37
	v_lshl_or_b32 v36, v36, 7, v37
	v_cvt_f32_f16_e32 v36, v36
.LBB288_98:                             ;   in Loop: Header=BB288_10 Depth=1
	s_or_b64 exec, exec, s[44:45]
.LBB288_99:                             ;   in Loop: Header=BB288_10 Depth=1
	s_or_b64 exec, exec, s[42:43]
.LBB288_100:                            ;   in Loop: Header=BB288_10 Depth=1
	s_or_b64 exec, exec, s[40:41]
	v_lshrrev_b16_e32 v12, 8, v12
	v_cmp_ne_u16_e64 s[4:5], 0, v12
	v_mov_b32_e32 v38, 0
	v_mov_b32_e32 v37, 0
	s_and_saveexec_b64 s[40:41], s[4:5]
	s_cbranch_execz .LBB288_106
; %bb.101:                              ;   in Loop: Header=BB288_10 Depth=1
	v_cmp_ne_u16_e64 s[4:5], s50, v12
	v_bfrev_b32_e32 v37, 1
	s_and_saveexec_b64 s[42:43], s[4:5]
	s_cbranch_execz .LBB288_105
; %bb.102:                              ;   in Loop: Header=BB288_10 Depth=1
	v_and_b32_e32 v39, 0x7f, v12
	v_cmp_ne_u32_e64 s[4:5], s51, v39
	v_mov_b32_e32 v37, 0x7fc02000
	s_and_saveexec_b64 s[44:45], s[4:5]
	s_cbranch_execz .LBB288_104
; %bb.103:                              ;   in Loop: Header=BB288_10 Depth=1
	v_and_b32_e32 v37, 7, v12
	v_ffbh_u32_e32 v40, v37
	v_min_u32_e32 v43, 32, v40
	v_subrev_u32_e32 v40, 28, v43
	v_lshlrev_b64 v[40:41], v40, v[12:13]
	v_lshrrev_b32_e32 v42, 3, v39
	v_sub_u32_e32 v41, 29, v43
	v_cmp_gt_u32_e64 s[4:5], 8, v39
	v_cndmask_b32_e64 v39, v42, v41, s[4:5]
	v_and_b32_e32 v40, 7, v40
	v_lshlrev_b32_e32 v12, 8, v12
	v_lshl_add_u32 v39, v39, 10, v19
	v_cndmask_b32_e64 v37, v37, v40, s[4:5]
	v_and_or_b32 v12, v12, s52, v39
	v_lshl_or_b32 v12, v37, 7, v12
	v_cvt_f32_f16_e32 v37, v12
.LBB288_104:                            ;   in Loop: Header=BB288_10 Depth=1
	s_or_b64 exec, exec, s[44:45]
.LBB288_105:                            ;   in Loop: Header=BB288_10 Depth=1
	s_or_b64 exec, exec, s[42:43]
.LBB288_106:                            ;   in Loop: Header=BB288_10 Depth=1
	s_or_b64 exec, exec, s[40:41]
	global_load_ushort v39, v[10:11], off offset:1024
	s_waitcnt vmcnt(0)
	v_and_b32_e32 v12, 0xffff, v39
	v_cmp_ne_u16_sdwa s[4:5], v39, v15 src0_sel:BYTE_0 src1_sel:DWORD
	s_and_saveexec_b64 s[40:41], s[4:5]
	s_cbranch_execz .LBB288_112
; %bb.107:                              ;   in Loop: Header=BB288_10 Depth=1
	v_cmp_ne_u16_sdwa s[4:5], v12, s50 src0_sel:BYTE_0 src1_sel:DWORD
	v_bfrev_b32_e32 v38, 1
	s_and_saveexec_b64 s[42:43], s[4:5]
	s_cbranch_execz .LBB288_111
; %bb.108:                              ;   in Loop: Header=BB288_10 Depth=1
	v_and_b32_e32 v39, 0x7f, v12
	v_cmp_ne_u32_e64 s[4:5], s51, v39
	v_mov_b32_e32 v38, 0x7fc02000
	s_and_saveexec_b64 s[44:45], s[4:5]
	s_cbranch_execz .LBB288_110
; %bb.109:                              ;   in Loop: Header=BB288_10 Depth=1
	v_and_b32_e32 v38, 7, v12
	v_ffbh_u32_e32 v40, v38
	v_min_u32_e32 v43, 32, v40
	v_subrev_u32_e32 v40, 28, v43
	v_lshlrev_b64 v[40:41], v40, v[12:13]
	v_lshrrev_b32_e32 v42, 3, v39
	v_sub_u32_e32 v41, 29, v43
	v_cmp_gt_u32_e64 s[4:5], 8, v39
	v_and_b32_e32 v40, 7, v40
	v_cndmask_b32_e64 v39, v42, v41, s[4:5]
	v_cndmask_b32_e64 v38, v38, v40, s[4:5]
	v_lshlrev_b32_e32 v40, 8, v12
	v_lshl_add_u32 v39, v39, 10, v19
	v_and_or_b32 v39, v40, s52, v39
	v_lshl_or_b32 v38, v38, 7, v39
	v_cvt_f32_f16_e32 v38, v38
.LBB288_110:                            ;   in Loop: Header=BB288_10 Depth=1
	s_or_b64 exec, exec, s[44:45]
.LBB288_111:                            ;   in Loop: Header=BB288_10 Depth=1
	s_or_b64 exec, exec, s[42:43]
.LBB288_112:                            ;   in Loop: Header=BB288_10 Depth=1
	s_or_b64 exec, exec, s[40:41]
	v_lshrrev_b16_e32 v12, 8, v12
	v_cmp_ne_u16_e64 s[4:5], 0, v12
	v_mov_b32_e32 v39, 0
	v_mov_b32_e32 v40, 0
	s_and_saveexec_b64 s[40:41], s[4:5]
	s_cbranch_execz .LBB288_118
; %bb.113:                              ;   in Loop: Header=BB288_10 Depth=1
	v_cmp_ne_u16_e64 s[4:5], s50, v12
	v_bfrev_b32_e32 v40, 1
	s_and_saveexec_b64 s[42:43], s[4:5]
	s_cbranch_execz .LBB288_117
; %bb.114:                              ;   in Loop: Header=BB288_10 Depth=1
	v_and_b32_e32 v41, 0x7f, v12
	v_cmp_ne_u32_e64 s[4:5], s51, v41
	v_mov_b32_e32 v40, 0x7fc02000
	s_and_saveexec_b64 s[44:45], s[4:5]
	s_cbranch_execz .LBB288_116
; %bb.115:                              ;   in Loop: Header=BB288_10 Depth=1
	v_and_b32_e32 v40, 7, v12
	v_ffbh_u32_e32 v42, v40
	v_min_u32_e32 v45, 32, v42
	v_subrev_u32_e32 v42, 28, v45
	v_lshlrev_b64 v[42:43], v42, v[12:13]
	v_lshrrev_b32_e32 v44, 3, v41
	v_sub_u32_e32 v43, 29, v45
	v_cmp_gt_u32_e64 s[4:5], 8, v41
	v_cndmask_b32_e64 v41, v44, v43, s[4:5]
	v_and_b32_e32 v42, 7, v42
	v_lshlrev_b32_e32 v12, 8, v12
	v_lshl_add_u32 v41, v41, 10, v19
	v_cndmask_b32_e64 v40, v40, v42, s[4:5]
	v_and_or_b32 v12, v12, s52, v41
	v_lshl_or_b32 v12, v40, 7, v12
	v_cvt_f32_f16_e32 v40, v12
.LBB288_116:                            ;   in Loop: Header=BB288_10 Depth=1
	s_or_b64 exec, exec, s[44:45]
.LBB288_117:                            ;   in Loop: Header=BB288_10 Depth=1
	s_or_b64 exec, exec, s[42:43]
.LBB288_118:                            ;   in Loop: Header=BB288_10 Depth=1
	s_or_b64 exec, exec, s[40:41]
	global_load_ushort v11, v[10:11], off offset:1032
	s_waitcnt vmcnt(0)
	v_and_b32_e32 v10, 0xffff, v11
	v_cmp_ne_u16_sdwa s[4:5], v11, v15 src0_sel:BYTE_0 src1_sel:DWORD
	s_and_saveexec_b64 s[40:41], s[4:5]
	s_cbranch_execz .LBB288_124
; %bb.119:                              ;   in Loop: Header=BB288_10 Depth=1
	v_cmp_ne_u16_sdwa s[4:5], v10, s50 src0_sel:BYTE_0 src1_sel:DWORD
	v_bfrev_b32_e32 v39, 1
	s_and_saveexec_b64 s[42:43], s[4:5]
	s_cbranch_execz .LBB288_123
; %bb.120:                              ;   in Loop: Header=BB288_10 Depth=1
	v_and_b32_e32 v11, 0x7f, v10
	v_cmp_ne_u32_e64 s[4:5], s51, v11
	v_mov_b32_e32 v39, 0x7fc02000
	s_and_saveexec_b64 s[44:45], s[4:5]
	s_cbranch_execz .LBB288_122
; %bb.121:                              ;   in Loop: Header=BB288_10 Depth=1
	v_and_b32_e32 v12, 7, v10
	v_ffbh_u32_e32 v41, v12
	v_min_u32_e32 v41, 32, v41
	v_lshrrev_b32_e32 v39, 3, v11
	v_subrev_u32_e32 v42, 28, v41
	v_sub_u32_e32 v41, 29, v41
	v_cmp_gt_u32_e64 s[4:5], 8, v11
	v_lshlrev_b64 v[42:43], v42, v[10:11]
	v_cndmask_b32_e64 v11, v39, v41, s[4:5]
	v_and_b32_e32 v42, 7, v42
	v_lshlrev_b32_e32 v39, 8, v10
	v_lshl_add_u32 v11, v11, 10, v19
	v_cndmask_b32_e64 v12, v12, v42, s[4:5]
	v_and_or_b32 v11, v39, s52, v11
	v_lshl_or_b32 v11, v12, 7, v11
	v_cvt_f32_f16_e32 v39, v11
.LBB288_122:                            ;   in Loop: Header=BB288_10 Depth=1
	s_or_b64 exec, exec, s[44:45]
.LBB288_123:                            ;   in Loop: Header=BB288_10 Depth=1
	s_or_b64 exec, exec, s[42:43]
.LBB288_124:                            ;   in Loop: Header=BB288_10 Depth=1
	s_or_b64 exec, exec, s[40:41]
	v_lshrrev_b16_e32 v10, 8, v10
	v_cmp_ne_u16_e64 s[4:5], 0, v10
	v_mov_b32_e32 v11, 0
	s_and_saveexec_b64 s[40:41], s[4:5]
	s_cbranch_execz .LBB288_130
; %bb.125:                              ;   in Loop: Header=BB288_10 Depth=1
	v_cmp_ne_u16_e64 s[4:5], s50, v10
	v_bfrev_b32_e32 v11, 1
	s_and_saveexec_b64 s[42:43], s[4:5]
	s_cbranch_execz .LBB288_129
; %bb.126:                              ;   in Loop: Header=BB288_10 Depth=1
	v_and_b32_e32 v12, 0x7f, v10
	v_cmp_ne_u32_e64 s[4:5], s51, v12
	v_mov_b32_e32 v11, 0x7fc02000
	s_and_saveexec_b64 s[44:45], s[4:5]
	s_cbranch_execz .LBB288_128
; %bb.127:                              ;   in Loop: Header=BB288_10 Depth=1
	v_and_b32_e32 v11, 7, v10
	v_ffbh_u32_e32 v42, v11
	v_min_u32_e32 v44, 32, v42
	v_subrev_u32_e32 v42, 28, v44
	v_lshlrev_b64 v[42:43], v42, v[10:11]
	v_lshrrev_b32_e32 v41, 3, v12
	v_sub_u32_e32 v43, 29, v44
	v_cmp_gt_u32_e64 s[4:5], 8, v12
	v_cndmask_b32_e64 v12, v41, v43, s[4:5]
	v_and_b32_e32 v42, 7, v42
	v_lshlrev_b32_e32 v10, 8, v10
	v_lshl_add_u32 v12, v12, 10, v19
	v_cndmask_b32_e64 v11, v11, v42, s[4:5]
	v_and_or_b32 v10, v10, s52, v12
	v_lshl_or_b32 v10, v11, 7, v10
	v_cvt_f32_f16_e32 v11, v10
.LBB288_128:                            ;   in Loop: Header=BB288_10 Depth=1
	s_or_b64 exec, exec, s[44:45]
.LBB288_129:                            ;   in Loop: Header=BB288_10 Depth=1
	s_or_b64 exec, exec, s[42:43]
.LBB288_130:                            ;   in Loop: Header=BB288_10 Depth=1
	s_or_b64 exec, exec, s[40:41]
	ds_read_b32 v10, v16
	v_fma_mixlo_f16 v12, v21, v22, 0
	v_fma_mixlo_f16 v22, v21, v24, 0
	v_and_b32_e32 v12, 0xffff, v12
	v_and_b32_e32 v22, 0xffff, v22
	s_waitcnt lgkmcnt(0)
	v_lshrrev_b32_e32 v24, 16, v10
	v_and_b32_e32 v10, 0xffff, v10
	;;#ASMSTART
	v_cvt_f32_f16 v10, v10;
	;;#ASMEND
	;;#ASMSTART
	v_cvt_f32_f16 v24, v24;
	;;#ASMEND
	;;#ASMSTART
	v_cvt_f32_f16 v12, v12;
	;;#ASMEND
	;;#ASMSTART
	v_cvt_f32_f16 v22, v22;
	;;#ASMEND
	ds_read_b32 v41, v16 offset:4
	v_fma_mixlo_f16 v23, v21, v23, 0
	v_fma_mixlo_f16 v26, v21, v26, 0
	v_and_b32_e32 v23, 0xffff, v23
	v_and_b32_e32 v26, 0xffff, v26
	s_waitcnt lgkmcnt(0)
	v_lshrrev_b32_e32 v42, 16, v41
	v_and_b32_e32 v41, 0xffff, v41
	;;#ASMSTART
	v_cvt_f32_f16 v41, v41;
	;;#ASMEND
	;;#ASMSTART
	v_cvt_f32_f16 v42, v42;
	;;#ASMEND
	;;#ASMSTART
	v_cvt_f32_f16 v23, v23;
	;;#ASMEND
	;;#ASMSTART
	v_cvt_f32_f16 v26, v26;
	;;#ASMEND
	ds_read_b32 v43, v16 offset:8
	;; [unrolled: 20-line block ×5, first 2 shown]
	v_fma_mixlo_f16 v38, v21, v38, 0
	v_fma_mixlo_f16 v40, v21, v40, 0
	;; [unrolled: 1-line block ×10, first 2 shown]
	v_mul_f32_e32 v21, v41, v23
	v_fmac_f32_e32 v21, v10, v12
	s_waitcnt lgkmcnt(0)
	v_lshrrev_b32_e32 v10, 16, v49
	v_and_b32_e32 v12, 0xffff, v49
	v_and_b32_e32 v23, 0xffff, v32
	;; [unrolled: 1-line block ×3, first 2 shown]
	;;#ASMSTART
	v_cvt_f32_f16 v12, v12;
	;;#ASMEND
	;;#ASMSTART
	v_cvt_f32_f16 v10, v10;
	;;#ASMEND
	;; [unrolled: 3-line block ×4, first 2 shown]
	ds_read_b32 v33, v16 offset:24
	v_mul_f32_e32 v26, v42, v26
	v_fmac_f32_e32 v26, v24, v22
	v_fmac_f32_e32 v21, v43, v25
	;; [unrolled: 1-line block ×3, first 2 shown]
	s_waitcnt lgkmcnt(0)
	v_lshrrev_b32_e32 v22, 16, v33
	v_and_b32_e32 v24, 0xffff, v33
	v_and_b32_e32 v25, 0xffff, v34
	;; [unrolled: 1-line block ×3, first 2 shown]
	;;#ASMSTART
	v_cvt_f32_f16 v24, v24;
	;;#ASMEND
	;;#ASMSTART
	v_cvt_f32_f16 v22, v22;
	;;#ASMEND
	;; [unrolled: 3-line block ×4, first 2 shown]
	ds_read_b32 v33, v16 offset:28
	v_fmac_f32_e32 v21, v45, v27
	v_fmac_f32_e32 v26, v46, v30
	;; [unrolled: 1-line block ×4, first 2 shown]
	s_waitcnt lgkmcnt(0)
	v_lshrrev_b32_e32 v27, 16, v33
	v_and_b32_e32 v29, 0xffff, v33
	v_and_b32_e32 v30, 0xffff, v36
	;; [unrolled: 1-line block ×3, first 2 shown]
	;;#ASMSTART
	v_cvt_f32_f16 v29, v29;
	;;#ASMEND
	;;#ASMSTART
	v_cvt_f32_f16 v27, v27;
	;;#ASMEND
	;; [unrolled: 3-line block ×4, first 2 shown]
	ds_read_b32 v33, v16 offset:32
	v_fmac_f32_e32 v26, v10, v32
	v_fmac_f32_e32 v21, v12, v23
	;; [unrolled: 1-line block ×3, first 2 shown]
	v_and_b32_e32 v22, 0xffff, v38
	s_waitcnt lgkmcnt(0)
	v_lshrrev_b32_e32 v10, 16, v33
	v_and_b32_e32 v12, 0xffff, v33
	v_and_b32_e32 v23, 0xffff, v40
	v_fmac_f32_e32 v21, v24, v25
	;;#ASMSTART
	v_cvt_f32_f16 v12, v12;
	;;#ASMEND
	;;#ASMSTART
	v_cvt_f32_f16 v10, v10;
	;;#ASMEND
	;; [unrolled: 3-line block ×4, first 2 shown]
	ds_read_b32 v24, v16 offset:36
	v_fmac_f32_e32 v21, v29, v30
	v_fmac_f32_e32 v26, v27, v31
	;; [unrolled: 1-line block ×4, first 2 shown]
	s_waitcnt lgkmcnt(0)
	v_lshrrev_b32_e32 v10, 16, v24
	v_and_b32_e32 v12, 0xffff, v24
	;;#ASMSTART
	v_cvt_f32_f16 v12, v12;
	;;#ASMEND
	;;#ASMSTART
	v_cvt_f32_f16 v10, v10;
	;;#ASMEND
	v_and_b32_e32 v22, 0xffff, v39
	v_and_b32_e32 v11, 0xffff, v11
	;;#ASMSTART
	v_cvt_f32_f16 v22, v22;
	;;#ASMEND
	;;#ASMSTART
	v_cvt_f32_f16 v11, v11;
	;;#ASMEND
	v_fmac_f32_e32 v26, v10, v11
	v_and_b32_e32 v10, 64, v13
	v_fmac_f32_e32 v21, v12, v22
	v_add_u32_e32 v10, 64, v10
	v_xor_b32_e32 v12, 2, v13
	v_cmp_lt_i32_e64 s[4:5], v12, v10
	v_cndmask_b32_e64 v12, v13, v12, s[4:5]
	v_add_f32_e32 v11, v21, v26
	v_lshlrev_b32_e32 v12, 2, v12
	ds_bpermute_b32 v12, v12, v11
	s_waitcnt lgkmcnt(0)
	v_add_f32_e32 v11, v11, v12
	v_xor_b32_e32 v12, 1, v13
	v_cmp_lt_i32_e64 s[4:5], v12, v10
	v_cndmask_b32_e64 v12, v13, v12, s[4:5]
	v_lshlrev_b32_e32 v12, 2, v12
	ds_bpermute_b32 v12, v12, v11
	s_and_saveexec_b64 s[40:41], vcc
	s_cbranch_execz .LBB288_9
; %bb.131:                              ;   in Loop: Header=BB288_10 Depth=1
	v_add_u32_e32 v21, s49, v17
	v_cvt_f32_i32_e32 v21, v21
	s_waitcnt lgkmcnt(0)
	v_add_f32_e32 v11, v11, v12
	v_cmp_gt_i32_e64 s[4:5], s29, v17
	v_max_f32_e32 v12, v1, v1
	v_mul_f32_e32 v21, s10, v21
	v_cndmask_b32_e64 v21, 0, v21, s[2:3]
	v_fmac_f32_e32 v21, s11, v11
	v_cndmask_b32_e64 v11, 0, v21, s[4:5]
	ds_write_b32 v18, v11
	v_max_f32_e32 v11, v12, v21
	v_cndmask_b32_e64 v1, v1, v11, s[4:5]
	s_branch .LBB288_9
.LBB288_132:
	s_or_b64 exec, exec, s[18:19]
.LBB288_133:
	s_or_b64 exec, exec, s[38:39]
	v_xor_b32_e32 v2, 32, v13
	v_cmp_lt_i32_e32 vcc, v2, v10
	v_cndmask_b32_e32 v2, v13, v2, vcc
	v_lshlrev_b32_e32 v2, 2, v2
	ds_bpermute_b32 v3, v2, v1
	v_xor_b32_e32 v6, 16, v13
	v_max_f32_e32 v1, v1, v1
	v_cmp_lt_i32_e32 vcc, v6, v10
	v_xor_b32_e32 v8, 8, v13
	s_waitcnt lgkmcnt(0)
	v_max_f32_e32 v3, v3, v3
	v_max_f32_e32 v1, v1, v3
	v_cndmask_b32_e32 v3, v13, v6, vcc
	v_lshlrev_b32_e32 v3, 2, v3
	ds_bpermute_b32 v6, v3, v1
	v_cmp_lt_i32_e32 vcc, v8, v10
	v_lshlrev_b32_e32 v9, 2, v7
	s_waitcnt lgkmcnt(0)
	v_max_f32_e32 v6, v6, v6
	v_max_f32_e32 v1, v1, v6
	v_cndmask_b32_e32 v6, v13, v8, vcc
	v_lshlrev_b32_e32 v12, 2, v6
	ds_bpermute_b32 v6, v12, v1
	v_xor_b32_e32 v8, 4, v13
	v_cmp_lt_i32_e32 vcc, v8, v10
	s_waitcnt lgkmcnt(0)
	v_max_f32_e32 v6, v6, v6
	v_max_f32_e32 v1, v1, v6
	v_cndmask_b32_e32 v6, v13, v8, vcc
	v_lshlrev_b32_e32 v15, 2, v6
	ds_bpermute_b32 v8, v15, v1
	v_and_b32_e32 v6, 63, v0
	v_cmp_eq_u32_e32 vcc, 0, v6
	s_and_saveexec_b64 s[2:3], vcc
	s_cbranch_execz .LBB288_135
; %bb.134:
	s_waitcnt lgkmcnt(0)
	v_max_f32_e32 v8, v8, v8
	v_max_f32_e32 v1, v1, v1
	;; [unrolled: 1-line block ×3, first 2 shown]
	ds_write_b32 v9, v1 offset:160
.LBB288_135:
	s_or_b64 exec, exec, s[2:3]
	v_cmp_gt_u32_e64 s[2:3], 2, v6
	s_waitcnt lgkmcnt(0)
	v_mov_b32_e32 v8, 0xff7fffff
	v_lshlrev_b32_e32 v11, 2, v6
	s_barrier
	s_and_saveexec_b64 s[4:5], s[2:3]
	s_cbranch_execz .LBB288_137
; %bb.136:
	ds_read_b32 v8, v11 offset:160
.LBB288_137:
	s_or_b64 exec, exec, s[4:5]
	v_xor_b32_e32 v1, 1, v13
	v_cmp_lt_i32_e64 s[4:5], v1, v10
	v_cndmask_b32_e64 v1, v13, v1, s[4:5]
	v_lshlrev_b32_e32 v1, 2, v1
	s_waitcnt lgkmcnt(0)
	ds_bpermute_b32 v16, v1, v8
	v_max_f32_e32 v8, v8, v8
	s_sub_i32 s4, s33, s7
	s_lshl_b32 s4, s4, 4
	s_add_i32 s4, s4, s46
	s_waitcnt lgkmcnt(0)
	v_max_f32_e32 v16, v16, v16
	v_max_f32_e32 v8, v8, v16
	v_lshlrev_b32_e32 v16, 2, v13
	v_and_b32_e32 v16, 0xffffff00, v16
	ds_bpermute_b32 v8, v16, v8
	s_min_i32 s38, s4, s29
	s_sub_i32 s7, s38, s46
	v_cmp_gt_i32_e64 s[4:5], s7, v0
	v_mov_b32_e32 v17, 0
	s_and_saveexec_b64 s[12:13], s[4:5]
	s_cbranch_execz .LBB288_141
; %bb.138:
	v_mov_b32_e32 v17, 0xb0
	v_lshl_add_u32 v18, v0, 2, v17
	s_mov_b64 s[18:19], 0
	v_mov_b32_e32 v17, 0
	v_mov_b32_e32 v19, v0
.LBB288_139:                            ; =>This Inner Loop Header: Depth=1
	ds_read_b32 v20, v18
	v_add_u32_e32 v19, 0x80, v19
	v_cmp_le_i32_e64 s[10:11], s7, v19
	s_or_b64 s[18:19], s[10:11], s[18:19]
	s_waitcnt lgkmcnt(0)
	v_sub_f32_e32 v20, v20, v8
	v_mul_f32_e32 v20, 0x3fb8aa3b, v20
	v_exp_f32_e32 v20, v20
	ds_write_b32 v18, v20
	v_add_f32_e32 v17, v17, v20
	v_add_u32_e32 v18, 0x200, v18
	s_andn2_b64 exec, exec, s[18:19]
	s_cbranch_execnz .LBB288_139
; %bb.140:
	s_or_b64 exec, exec, s[18:19]
.LBB288_141:
	s_or_b64 exec, exec, s[12:13]
	ds_bpermute_b32 v2, v2, v17
	s_waitcnt lgkmcnt(0)
	v_add_f32_e32 v2, v17, v2
	ds_bpermute_b32 v3, v3, v2
	s_waitcnt lgkmcnt(0)
	v_add_f32_e32 v2, v2, v3
	ds_bpermute_b32 v3, v12, v2
	v_xor_b32_e32 v12, 2, v13
	v_cmp_lt_i32_e64 s[10:11], v12, v10
	v_cndmask_b32_e64 v10, v13, v12, s[10:11]
	s_waitcnt lgkmcnt(0)
	v_add_f32_e32 v2, v2, v3
	ds_bpermute_b32 v3, v15, v2
	s_waitcnt lgkmcnt(0)
	v_add_f32_e32 v2, v2, v3
	v_lshlrev_b32_e32 v3, 2, v10
	ds_bpermute_b32 v3, v3, v2
	s_waitcnt lgkmcnt(0)
	v_add_f32_e32 v2, v2, v3
	ds_bpermute_b32 v3, v1, v2
	s_waitcnt lgkmcnt(0)
	v_add_f32_e32 v2, v2, v3
	s_and_saveexec_b64 s[10:11], vcc
	s_cbranch_execz .LBB288_143
; %bb.142:
	ds_write_b32 v9, v2 offset:168
.LBB288_143:
	s_or_b64 exec, exec, s[10:11]
	s_waitcnt lgkmcnt(0)
	s_barrier
	s_and_saveexec_b64 s[10:11], s[2:3]
	s_cbranch_execz .LBB288_145
; %bb.144:
	ds_read_b32 v2, v11 offset:168
.LBB288_145:
	s_or_b64 exec, exec, s[10:11]
	s_waitcnt lgkmcnt(0)
	ds_bpermute_b32 v3, v1, v2
	s_waitcnt lgkmcnt(0)
	v_add_f32_e32 v2, v2, v3
	ds_bpermute_b32 v9, v16, v2
	s_and_saveexec_b64 s[2:3], s[4:5]
	s_cbranch_execz .LBB288_158
; %bb.146:
	s_waitcnt lgkmcnt(0)
	v_add_f32_e32 v2, 0x358637bd, v9
	v_div_scale_f32 v3, s[4:5], v2, v2, 1.0
	v_rcp_f32_e32 v10, v3
	v_div_scale_f32 v11, vcc, 1.0, v2, 1.0
	s_movk_i32 s4, 0x7f
	v_fma_f32 v12, -v3, v10, 1.0
	v_fmac_f32_e32 v10, v12, v10
	v_mul_f32_e32 v12, v11, v10
	v_fma_f32 v13, -v3, v12, v11
	v_fmac_f32_e32 v12, v13, v10
	v_fma_f32 v3, -v3, v12, v11
	v_div_fmas_f32 v3, v3, v10, v12
	v_div_fixup_f32 v2, v3, v2, 1.0
	v_xad_u32 v3, v0, -1, s38
	v_subrev_u32_e32 v10, s46, v3
	v_cmp_lt_u32_e32 vcc, s4, v10
	s_mov_b64 s[10:11], -1
	v_mov_b32_e32 v3, v0
	s_and_saveexec_b64 s[4:5], vcc
	s_cbranch_execz .LBB288_155
; %bb.147:
	v_lshrrev_b32_e32 v10, 7, v10
	v_add_u32_e32 v12, -1, v10
	v_lshrrev_b32_e32 v11, 1, v12
	v_mov_b32_e32 v3, v2
	v_add_u32_e32 v11, 1, v11
	v_cmp_lt_u32_e32 vcc, 13, v12
	v_mov_b32_e32 v15, 0
	s_and_saveexec_b64 s[10:11], vcc
	s_cbranch_execz .LBB288_151
; %bb.148:
	v_mov_b32_e32 v13, 0xb0
	v_and_b32_e32 v12, -8, v11
	v_lshl_add_u32 v13, v0, 2, v13
	s_mov_b32 s18, 0
	s_mov_b64 s[12:13], 0
.LBB288_149:                            ; =>This Inner Loop Header: Depth=1
	ds_read2st64_b32 v[16:17], v13 offset1:2
	ds_read2st64_b32 v[18:19], v13 offset0:4 offset1:6
	ds_read2st64_b32 v[20:21], v13 offset0:8 offset1:10
	;; [unrolled: 1-line block ×3, first 2 shown]
	v_add_u32_e32 v12, -8, v12
	s_waitcnt lgkmcnt(3)
	v_pk_mul_f32 v[16:17], v[2:3], v[16:17]
	s_waitcnt lgkmcnt(2)
	v_pk_mul_f32 v[18:19], v[2:3], v[18:19]
	ds_write2st64_b32 v13, v16, v17 offset1:2
	ds_write2st64_b32 v13, v18, v19 offset0:4 offset1:6
	ds_read2st64_b32 v[18:19], v13 offset0:16 offset1:18
	s_waitcnt lgkmcnt(4)
	v_pk_mul_f32 v[16:17], v[2:3], v[20:21]
	ds_write2st64_b32 v13, v16, v17 offset0:8 offset1:10
	s_waitcnt lgkmcnt(4)
	v_pk_mul_f32 v[16:17], v[2:3], v[22:23]
	ds_write2st64_b32 v13, v16, v17 offset0:12 offset1:14
	ds_read2st64_b32 v[16:17], v13 offset0:20 offset1:22
	s_waitcnt lgkmcnt(3)
	v_pk_mul_f32 v[18:19], v[2:3], v[18:19]
	ds_read2st64_b32 v[20:21], v13 offset0:24 offset1:26
	ds_write2st64_b32 v13, v18, v19 offset0:16 offset1:18
	ds_read2st64_b32 v[18:19], v13 offset0:28 offset1:30
	s_waitcnt lgkmcnt(3)
	v_pk_mul_f32 v[16:17], v[2:3], v[16:17]
	ds_write2st64_b32 v13, v16, v17 offset0:20 offset1:22
	s_waitcnt lgkmcnt(3)
	v_pk_mul_f32 v[16:17], v[2:3], v[20:21]
	ds_write2st64_b32 v13, v16, v17 offset0:24 offset1:26
	s_waitcnt lgkmcnt(2)
	v_pk_mul_f32 v[16:17], v[2:3], v[18:19]
	s_add_i32 s18, s18, 16
	v_cmp_eq_u32_e32 vcc, 0, v12
	ds_write2st64_b32 v13, v16, v17 offset0:28 offset1:30
	v_add_u32_e32 v13, 0x2000, v13
	s_or_b64 s[12:13], vcc, s[12:13]
	v_mov_b32_e32 v15, s18
	s_andn2_b64 exec, exec, s[12:13]
	s_cbranch_execnz .LBB288_149
; %bb.150:
	s_or_b64 exec, exec, s[12:13]
.LBB288_151:
	s_or_b64 exec, exec, s[10:11]
	v_and_b32_e32 v11, 7, v11
	v_cmp_ne_u32_e32 vcc, 0, v11
	s_and_saveexec_b64 s[10:11], vcc
	s_cbranch_execz .LBB288_154
; %bb.152:
	v_lshlrev_b32_e32 v12, 9, v15
	v_lshlrev_b32_e32 v13, 2, v0
	s_movk_i32 s12, 0xb0
	v_add3_u32 v12, v12, v13, s12
	s_mov_b64 s[12:13], 0
.LBB288_153:                            ; =>This Inner Loop Header: Depth=1
	ds_read2st64_b32 v[16:17], v12 offset1:2
	v_add_u32_e32 v11, -1, v11
	v_cmp_eq_u32_e32 vcc, 0, v11
	s_or_b64 s[12:13], vcc, s[12:13]
	s_waitcnt lgkmcnt(0)
	v_pk_mul_f32 v[16:17], v[2:3], v[16:17]
	ds_write2st64_b32 v12, v16, v17 offset1:2
	v_add_u32_e32 v12, 0x400, v12
	s_andn2_b64 exec, exec, s[12:13]
	s_cbranch_execnz .LBB288_153
.LBB288_154:
	s_or_b64 exec, exec, s[10:11]
	v_add_u32_e32 v10, 1, v10
	v_and_b32_e32 v11, 0x3fffffe, v10
	v_cmp_ne_u32_e32 vcc, v10, v11
	v_lshl_add_u32 v3, v11, 7, v0
	s_orn2_b64 s[10:11], vcc, exec
.LBB288_155:
	s_or_b64 exec, exec, s[4:5]
	s_and_b64 exec, exec, s[10:11]
	s_cbranch_execz .LBB288_158
; %bb.156:
	v_mov_b32_e32 v10, 0xb0
	v_lshl_add_u32 v10, v3, 2, v10
	s_mov_b64 s[4:5], 0
.LBB288_157:                            ; =>This Inner Loop Header: Depth=1
	ds_read_b32 v11, v10
	v_add_u32_e32 v3, 0x80, v3
	v_cmp_le_i32_e32 vcc, s7, v3
	s_or_b64 s[4:5], vcc, s[4:5]
	s_waitcnt lgkmcnt(0)
	v_mul_f32_e32 v11, v2, v11
	ds_write_b32 v10, v11
	v_add_u32_e32 v10, 0x200, v10
	s_andn2_b64 exec, exec, s[4:5]
	s_cbranch_execnz .LBB288_157
.LBB288_158:
	s_or_b64 exec, exec, s[2:3]
	s_mul_i32 s2, s25, s28
	v_cmp_eq_u32_e32 vcc, 0, v0
	s_mul_i32 s4, s2, s9
	s_waitcnt lgkmcnt(0)
	s_barrier
	s_and_saveexec_b64 s[2:3], vcc
	s_cbranch_execz .LBB288_160
; %bb.159:
	s_ashr_i32 s5, s4, 31
	s_lshl_b64 s[10:11], s[4:5], 2
	s_add_u32 s5, s22, s10
	s_mul_i32 s6, s25, s6
	s_addc_u32 s9, s23, s11
	s_ashr_i32 s7, s6, 31
	s_lshl_b64 s[6:7], s[6:7], 2
	s_add_u32 s5, s5, s6
	s_addc_u32 s19, s9, s7
	s_ashr_i32 s9, s8, 31
	s_lshl_b64 s[12:13], s[8:9], 2
	s_add_u32 s18, s5, s12
	s_addc_u32 s19, s19, s13
	s_add_u32 s5, s20, s10
	s_addc_u32 s9, s21, s11
	;; [unrolled: 2-line block ×3, first 2 shown]
	s_add_u32 s6, s5, s12
	v_mov_b32_e32 v2, 0
	s_addc_u32 s7, s7, s13
	global_store_dword v2, v8, s[18:19]
	global_store_dword v2, v9, s[6:7]
.LBB288_160:
	s_or_b64 exec, exec, s[2:3]
	v_mov_b32_e32 v2, 0
	v_lshrrev_b32_e32 v11, 1, v6
	v_and_b32_e32 v3, 1, v0
	v_mov_b32_e32 v13, v2
	v_mov_b32_e32 v12, v2
	s_and_saveexec_b64 s[6:7], s[0:1]
	s_cbranch_execz .LBB288_316
; %bb.161:
	s_ashr_i32 s0, s47, 31
	s_add_u32 s2, s36, s47
	v_lshlrev_b32_e32 v2, 3, v0
	s_addc_u32 s3, s37, s0
	v_or_b32_e32 v8, 64, v11
	s_movk_i32 s0, 0x50
	v_and_b32_e32 v2, 8, v2
	s_add_i32 s9, s16, -1
	v_cmp_gt_u32_e32 vcc, s0, v8
	s_lshl_b64 s[0:1], s[34:35], 2
	v_lshl_or_b32 v6, v11, 4, v2
	v_lshl_or_b32 v10, v8, 4, v2
	v_add3_u32 v30, s46, v14, v2
	v_lshlrev_b32_e32 v2, 5, v3
	s_add_u32 s0, s30, s0
	v_lshl_or_b32 v2, v7, 6, v2
	v_lshlrev_b64 v[12:13], 2, v[4:5]
	s_addc_u32 s1, s31, s1
	s_mov_b32 s10, -1
	v_mov_b32_e32 v9, 0
	v_add_u32_e32 v7, 0xb0, v2
	v_mov_b32_e32 v2, s1
	v_add_co_u32_e64 v14, s[0:1], s0, v12
	s_mov_b32 s5, s17
	s_mov_b32 s11, 0xffffff
	;; [unrolled: 1-line block ×3, first 2 shown]
	v_addc_co_u32_e64 v15, s[0:1], v2, v13, s[0:1]
	s_mov_b64 s[12:13], 0
	v_pk_mov_b32 v[16:17], s[2:3], s[2:3] op_sel:[0,1]
	s_movk_i32 s30, 0x80
	s_movk_i32 s31, 0x7f
	s_mov_b32 s34, 0x8000
	s_movk_i32 s35, 0x380
	s_mov_b32 s36, 0x3020706
	s_mov_b32 s37, 0x1000504
	;; [unrolled: 1-line block ×3, first 2 shown]
	v_mov_b32_e32 v5, 0x2000
	v_mov_b32_e32 v12, v9
	;; [unrolled: 1-line block ×4, first 2 shown]
	s_branch .LBB288_164
.LBB288_162:                            ;   in Loop: Header=BB288_164 Depth=1
	s_or_b64 exec, exec, s[2:3]
	;;#ASMSTART
	v_pk_mul_f16 v20, v32, v20;

	;;#ASMEND
	;;#ASMSTART
	v_pk_mul_f16 v8, v31, v8;

	;;#ASMEND
	;; [unrolled: 4-line block ×4, first 2 shown]
	;;#ASMSTART
	v_pk_add_f16 v8, v20, v8;

	;;#ASMEND
	;;#ASMSTART
	v_pk_add_f16 v8, v8, v19;

	;;#ASMEND
	;; [unrolled: 4-line block ×3, first 2 shown]
	v_lshrrev_b32_e32 v18, 16, v8
	v_and_b32_e32 v8, 0xffff, v8
	;;#ASMSTART
	v_cvt_f32_f16 v8, v8;
	;;#ASMEND
	;;#ASMSTART
	v_cvt_f32_f16 v18, v18;
	;;#ASMEND
	v_add_f32_e32 v8, v8, v18
	v_add_f32_e32 v2, v2, v8
.LBB288_163:                            ;   in Loop: Header=BB288_164 Depth=1
	s_or_b64 exec, exec, s[16:17]
	v_add_u32_e32 v4, 2, v4
	v_cmp_le_i32_e64 s[0:1], s33, v4
	s_or_b64 s[12:13], s[0:1], s[12:13]
	v_add_co_u32_e64 v14, s[0:1], 8, v14
	v_add_u32_e32 v30, 32, v30
	v_add_u32_e32 v7, 0x80, v7
	v_addc_co_u32_e64 v15, s[0:1], 0, v15, s[0:1]
	s_andn2_b64 exec, exec, s[12:13]
	s_cbranch_execz .LBB288_315
.LBB288_164:                            ; =>This Inner Loop Header: Depth=1
	global_load_dword v8, v[14:15], off
	ds_read2_b64 v[18:21], v7 offset1:1
	ds_read2_b64 v[24:27], v7 offset0:2 offset1:3
	s_waitcnt lgkmcnt(1)
	;;#ASMSTART
	v_cvt_f16_f32 v23, v18;

	;;#ASMEND
	;;#ASMSTART
	v_cvt_f16_f32 v31, v19;

	;;#ASMEND
	;; [unrolled: 4-line block ×4, first 2 shown]
	s_waitcnt lgkmcnt(0)
	;;#ASMSTART
	v_cvt_f16_f32 v35, v24;

	;;#ASMEND
	;;#ASMSTART
	v_cvt_f16_f32 v36, v25;

	;;#ASMEND
	;;#ASMSTART
	v_cvt_f16_f32 v37, v26;

	;;#ASMEND
	;;#ASMSTART
	v_cvt_f16_f32 v38, v27;

	;;#ASMEND
	v_mov_b32_e32 v24, 0
	s_waitcnt vmcnt(0)
	v_mad_i64_i32 v[18:19], s[0:1], v8, s5, v[16:17]
	v_add_co_u32_e64 v20, s[0:1], v18, v6
	v_addc_co_u32_e64 v21, s[0:1], 0, v19, s[0:1]
	global_load_dwordx2 v[26:27], v[20:21], off
	global_load_dword v22, v9, s[14:15]
	s_waitcnt vmcnt(1)
	v_cmp_ne_u16_sdwa s[0:1], v26, v9 src0_sel:BYTE_0 src1_sel:DWORD
	s_and_saveexec_b64 s[2:3], s[0:1]
	s_cbranch_execz .LBB288_170
; %bb.165:                              ;   in Loop: Header=BB288_164 Depth=1
	v_cmp_ne_u16_sdwa s[0:1], v26, s30 src0_sel:BYTE_0 src1_sel:DWORD
	v_bfrev_b32_e32 v24, 1
	s_and_saveexec_b64 s[16:17], s[0:1]
	s_cbranch_execz .LBB288_169
; %bb.166:                              ;   in Loop: Header=BB288_164 Depth=1
	v_and_b32_e32 v8, 0x7f, v26
	v_cmp_ne_u32_e64 s[0:1], s31, v8
	v_mov_b32_e32 v24, 0x7fc02000
	s_and_saveexec_b64 s[18:19], s[0:1]
	s_cbranch_execz .LBB288_168
; %bb.167:                              ;   in Loop: Header=BB288_164 Depth=1
	v_and_b32_e32 v24, 7, v26
	v_ffbh_u32_e32 v24, v24
	v_min_u32_e32 v24, 32, v24
	v_subrev_u32_e32 v25, 28, v24
	v_cmp_gt_u32_e64 s[0:1], 8, v8
	v_lshrrev_b32_e32 v28, 3, v8
	v_sub_u32_e32 v29, 29, v24
	v_cndmask_b32_e64 v8, 0, v25, s[0:1]
	v_lshlrev_b64 v[24:25], v8, v[26:27]
	v_cndmask_b32_e64 v8, v28, v29, s[0:1]
	v_lshlrev_b32_e32 v25, 8, v26
	v_lshl_add_u32 v8, v8, 10, v5
	v_lshlrev_b32_e32 v24, 7, v24
	v_and_or_b32 v8, v25, s34, v8
	v_and_or_b32 v8, v24, s35, v8
	v_cvt_f32_f16_e32 v24, v8
.LBB288_168:                            ;   in Loop: Header=BB288_164 Depth=1
	s_or_b64 exec, exec, s[18:19]
.LBB288_169:                            ;   in Loop: Header=BB288_164 Depth=1
	s_or_b64 exec, exec, s[16:17]
.LBB288_170:                            ;   in Loop: Header=BB288_164 Depth=1
	s_or_b64 exec, exec, s[2:3]
	v_lshrrev_b16_e32 v8, 8, v26
	v_cmp_ne_u16_e64 s[0:1], 0, v8
	v_mov_b32_e32 v25, 0
	v_mov_b32_e32 v28, 0
	s_and_saveexec_b64 s[2:3], s[0:1]
	s_cbranch_execz .LBB288_176
; %bb.171:                              ;   in Loop: Header=BB288_164 Depth=1
	v_cmp_ne_u16_e64 s[0:1], s30, v8
	v_bfrev_b32_e32 v28, 1
	s_and_saveexec_b64 s[16:17], s[0:1]
	s_cbranch_execz .LBB288_175
; %bb.172:                              ;   in Loop: Header=BB288_164 Depth=1
	v_and_b32_e32 v29, 0x7f, v8
	v_cmp_ne_u32_e64 s[0:1], s31, v29
	v_mov_b32_e32 v28, 0x7fc02000
	s_and_saveexec_b64 s[18:19], s[0:1]
	s_cbranch_execz .LBB288_174
; %bb.173:                              ;   in Loop: Header=BB288_164 Depth=1
	v_and_b32_e32 v28, 7, v8
	v_ffbh_u32_e32 v39, v28
	v_min_u32_e32 v39, 32, v39
	v_lshrrev_b32_e32 v32, 3, v29
	v_subrev_u32_e32 v40, 28, v39
	v_sub_u32_e32 v39, 29, v39
	v_cmp_gt_u32_e64 s[0:1], 8, v29
	v_lshlrev_b64 v[40:41], v40, v[8:9]
	v_cndmask_b32_e64 v29, v32, v39, s[0:1]
	v_and_b32_e32 v40, 7, v40
	v_lshlrev_b32_e32 v8, 8, v8
	v_lshl_add_u32 v29, v29, 10, v5
	v_cndmask_b32_e64 v28, v28, v40, s[0:1]
	v_and_or_b32 v8, v8, s34, v29
	v_lshl_or_b32 v8, v28, 7, v8
	v_cvt_f32_f16_e32 v28, v8
.LBB288_174:                            ;   in Loop: Header=BB288_164 Depth=1
	s_or_b64 exec, exec, s[18:19]
.LBB288_175:                            ;   in Loop: Header=BB288_164 Depth=1
	s_or_b64 exec, exec, s[16:17]
.LBB288_176:                            ;   in Loop: Header=BB288_164 Depth=1
	s_or_b64 exec, exec, s[2:3]
	v_lshrrev_b32_e32 v8, 16, v26
	v_cmp_ne_u16_sdwa s[0:1], v8, v9 src0_sel:BYTE_0 src1_sel:DWORD
	s_and_saveexec_b64 s[2:3], s[0:1]
	s_cbranch_execz .LBB288_182
; %bb.177:                              ;   in Loop: Header=BB288_164 Depth=1
	v_cmp_ne_u16_sdwa s[0:1], v8, s30 src0_sel:BYTE_0 src1_sel:DWORD
	v_bfrev_b32_e32 v25, 1
	s_and_saveexec_b64 s[16:17], s[0:1]
	s_cbranch_execz .LBB288_181
; %bb.178:                              ;   in Loop: Header=BB288_164 Depth=1
	v_bfe_u32 v29, v26, 16, 7
	v_cmp_ne_u32_e64 s[0:1], s31, v29
	v_mov_b32_e32 v25, 0x7fc02000
	s_and_saveexec_b64 s[18:19], s[0:1]
	s_cbranch_execz .LBB288_180
; %bb.179:                              ;   in Loop: Header=BB288_164 Depth=1
	v_and_b32_e32 v25, 7, v8
	v_ffbh_u32_e32 v39, v25
	v_min_u32_e32 v39, 32, v39
	v_lshrrev_b32_e32 v32, 3, v29
	v_subrev_u32_e32 v40, 28, v39
	v_sub_u32_e32 v39, 29, v39
	v_cmp_gt_u32_e64 s[0:1], 8, v29
	v_lshlrev_b64 v[40:41], v40, v[8:9]
	v_cndmask_b32_e64 v29, v32, v39, s[0:1]
	v_and_b32_e32 v40, 7, v40
	v_lshlrev_b32_e32 v8, 8, v8
	v_lshl_add_u32 v29, v29, 10, v5
	v_cndmask_b32_e64 v25, v25, v40, s[0:1]
	v_and_or_b32 v8, v8, s34, v29
	v_lshl_or_b32 v8, v25, 7, v8
	v_cvt_f32_f16_e32 v25, v8
.LBB288_180:                            ;   in Loop: Header=BB288_164 Depth=1
	s_or_b64 exec, exec, s[18:19]
.LBB288_181:                            ;   in Loop: Header=BB288_164 Depth=1
	s_or_b64 exec, exec, s[16:17]
.LBB288_182:                            ;   in Loop: Header=BB288_164 Depth=1
	s_or_b64 exec, exec, s[2:3]
	v_cmp_lt_u32_e64 s[0:1], s11, v26
	v_mov_b32_e32 v32, 0
	v_mov_b32_e32 v29, 0
	s_and_saveexec_b64 s[2:3], s[0:1]
	s_cbranch_execz .LBB288_188
; %bb.183:                              ;   in Loop: Header=BB288_164 Depth=1
	v_lshrrev_b32_e32 v8, 24, v26
	v_cmp_ne_u32_e64 s[0:1], s30, v8
	v_bfrev_b32_e32 v29, 1
	s_and_saveexec_b64 s[16:17], s[0:1]
	s_cbranch_execz .LBB288_187
; %bb.184:                              ;   in Loop: Header=BB288_164 Depth=1
	v_and_b32_e32 v39, 0x7f, v8
	v_cmp_ne_u32_e64 s[0:1], s31, v39
	v_mov_b32_e32 v29, 0x7fc02000
	s_and_saveexec_b64 s[18:19], s[0:1]
	s_cbranch_execz .LBB288_186
; %bb.185:                              ;   in Loop: Header=BB288_164 Depth=1
	v_and_b32_e32 v29, 7, v8
	v_ffbh_u32_e32 v40, v29
	v_min_u32_e32 v43, 32, v40
	v_subrev_u32_e32 v40, 28, v43
	v_lshlrev_b64 v[40:41], v40, v[8:9]
	v_lshrrev_b32_e32 v42, 3, v39
	v_sub_u32_e32 v41, 29, v43
	v_cmp_gt_u32_e64 s[0:1], 8, v39
	v_cndmask_b32_e64 v39, v42, v41, s[0:1]
	v_and_b32_e32 v40, 7, v40
	v_lshlrev_b32_e32 v8, 8, v8
	v_lshl_add_u32 v39, v39, 10, v5
	v_cndmask_b32_e64 v29, v29, v40, s[0:1]
	v_and_or_b32 v8, v8, s34, v39
	v_lshl_or_b32 v8, v29, 7, v8
	v_cvt_f32_f16_e32 v29, v8
.LBB288_186:                            ;   in Loop: Header=BB288_164 Depth=1
	s_or_b64 exec, exec, s[18:19]
.LBB288_187:                            ;   in Loop: Header=BB288_164 Depth=1
	s_or_b64 exec, exec, s[16:17]
.LBB288_188:                            ;   in Loop: Header=BB288_164 Depth=1
	s_or_b64 exec, exec, s[2:3]
	v_mov_b32_e32 v8, v27
	v_cmp_ne_u16_sdwa s[0:1], v27, v9 src0_sel:BYTE_0 src1_sel:DWORD
	s_and_saveexec_b64 s[2:3], s[0:1]
	s_cbranch_execz .LBB288_194
; %bb.189:                              ;   in Loop: Header=BB288_164 Depth=1
	v_cmp_ne_u16_sdwa s[0:1], v27, s30 src0_sel:BYTE_0 src1_sel:DWORD
	v_bfrev_b32_e32 v32, 1
	s_and_saveexec_b64 s[16:17], s[0:1]
	s_cbranch_execz .LBB288_193
; %bb.190:                              ;   in Loop: Header=BB288_164 Depth=1
	v_and_b32_e32 v39, 0x7f, v27
	v_cmp_ne_u32_e64 s[0:1], s31, v39
	v_mov_b32_e32 v32, 0x7fc02000
	s_and_saveexec_b64 s[18:19], s[0:1]
	s_cbranch_execz .LBB288_192
; %bb.191:                              ;   in Loop: Header=BB288_164 Depth=1
	v_and_b32_e32 v32, 7, v27
	v_ffbh_u32_e32 v32, v32
	v_min_u32_e32 v32, 32, v32
	v_subrev_u32_e32 v40, 28, v32
	v_cmp_gt_u32_e64 s[0:1], 8, v39
	v_lshrrev_b32_e32 v42, 3, v39
	v_sub_u32_e32 v32, 29, v32
	v_cndmask_b32_e64 v39, 0, v40, s[0:1]
	v_lshlrev_b64 v[40:41], v39, v[8:9]
	v_cndmask_b32_e64 v32, v42, v32, s[0:1]
	v_lshlrev_b32_e32 v39, 7, v40
	v_lshlrev_b32_e32 v40, 8, v27
	v_lshl_add_u32 v32, v32, 10, v5
	v_and_or_b32 v32, v40, s34, v32
	v_and_or_b32 v32, v39, s35, v32
	v_cvt_f32_f16_e32 v32, v32
.LBB288_192:                            ;   in Loop: Header=BB288_164 Depth=1
	s_or_b64 exec, exec, s[18:19]
.LBB288_193:                            ;   in Loop: Header=BB288_164 Depth=1
	s_or_b64 exec, exec, s[16:17]
.LBB288_194:                            ;   in Loop: Header=BB288_164 Depth=1
	s_or_b64 exec, exec, s[2:3]
	v_lshrrev_b16_e32 v8, 8, v8
	v_cmp_ne_u16_e64 s[0:1], 0, v8
	v_mov_b32_e32 v39, 0
	v_mov_b32_e32 v40, 0
	s_and_saveexec_b64 s[2:3], s[0:1]
	s_cbranch_execz .LBB288_200
; %bb.195:                              ;   in Loop: Header=BB288_164 Depth=1
	v_cmp_ne_u16_e64 s[0:1], s30, v8
	v_bfrev_b32_e32 v40, 1
	s_and_saveexec_b64 s[16:17], s[0:1]
	s_cbranch_execz .LBB288_199
; %bb.196:                              ;   in Loop: Header=BB288_164 Depth=1
	v_and_b32_e32 v41, 0x7f, v8
	v_cmp_ne_u32_e64 s[0:1], s31, v41
	v_mov_b32_e32 v40, 0x7fc02000
	s_and_saveexec_b64 s[18:19], s[0:1]
	s_cbranch_execz .LBB288_198
; %bb.197:                              ;   in Loop: Header=BB288_164 Depth=1
	v_and_b32_e32 v40, 7, v8
	v_ffbh_u32_e32 v42, v40
	v_min_u32_e32 v45, 32, v42
	v_subrev_u32_e32 v42, 28, v45
	v_lshlrev_b64 v[42:43], v42, v[8:9]
	v_lshrrev_b32_e32 v44, 3, v41
	v_sub_u32_e32 v43, 29, v45
	v_cmp_gt_u32_e64 s[0:1], 8, v41
	v_cndmask_b32_e64 v41, v44, v43, s[0:1]
	v_and_b32_e32 v42, 7, v42
	v_lshlrev_b32_e32 v8, 8, v8
	v_lshl_add_u32 v41, v41, 10, v5
	v_cndmask_b32_e64 v40, v40, v42, s[0:1]
	v_and_or_b32 v8, v8, s34, v41
	v_lshl_or_b32 v8, v40, 7, v8
	v_cvt_f32_f16_e32 v40, v8
.LBB288_198:                            ;   in Loop: Header=BB288_164 Depth=1
	s_or_b64 exec, exec, s[18:19]
.LBB288_199:                            ;   in Loop: Header=BB288_164 Depth=1
	s_or_b64 exec, exec, s[16:17]
.LBB288_200:                            ;   in Loop: Header=BB288_164 Depth=1
	s_or_b64 exec, exec, s[2:3]
	v_lshrrev_b32_e32 v8, 16, v27
	v_cmp_ne_u16_sdwa s[0:1], v8, v9 src0_sel:BYTE_0 src1_sel:DWORD
	s_and_saveexec_b64 s[2:3], s[0:1]
	s_cbranch_execz .LBB288_206
; %bb.201:                              ;   in Loop: Header=BB288_164 Depth=1
	v_cmp_ne_u16_sdwa s[0:1], v8, s30 src0_sel:BYTE_0 src1_sel:DWORD
	v_bfrev_b32_e32 v39, 1
	s_and_saveexec_b64 s[16:17], s[0:1]
	s_cbranch_execz .LBB288_205
; %bb.202:                              ;   in Loop: Header=BB288_164 Depth=1
	v_bfe_u32 v41, v27, 16, 7
	v_cmp_ne_u32_e64 s[0:1], s31, v41
	v_mov_b32_e32 v39, 0x7fc02000
	s_and_saveexec_b64 s[18:19], s[0:1]
	s_cbranch_execz .LBB288_204
; %bb.203:                              ;   in Loop: Header=BB288_164 Depth=1
	v_and_b32_e32 v39, 7, v8
	v_ffbh_u32_e32 v42, v39
	v_min_u32_e32 v45, 32, v42
	v_subrev_u32_e32 v42, 28, v45
	v_lshlrev_b64 v[42:43], v42, v[8:9]
	v_lshrrev_b32_e32 v44, 3, v41
	v_sub_u32_e32 v43, 29, v45
	v_cmp_gt_u32_e64 s[0:1], 8, v41
	v_cndmask_b32_e64 v41, v44, v43, s[0:1]
	v_and_b32_e32 v42, 7, v42
	v_lshlrev_b32_e32 v8, 8, v8
	v_lshl_add_u32 v41, v41, 10, v5
	v_cndmask_b32_e64 v39, v39, v42, s[0:1]
	v_and_or_b32 v8, v8, s34, v41
	v_lshl_or_b32 v8, v39, 7, v8
	v_cvt_f32_f16_e32 v39, v8
.LBB288_204:                            ;   in Loop: Header=BB288_164 Depth=1
	s_or_b64 exec, exec, s[18:19]
.LBB288_205:                            ;   in Loop: Header=BB288_164 Depth=1
	s_or_b64 exec, exec, s[16:17]
.LBB288_206:                            ;   in Loop: Header=BB288_164 Depth=1
	s_or_b64 exec, exec, s[2:3]
	v_cmp_lt_u64_e64 s[0:1], s[10:11], v[26:27]
	v_mov_b32_e32 v26, 0
	s_and_saveexec_b64 s[2:3], s[0:1]
	s_cbranch_execz .LBB288_212
; %bb.207:                              ;   in Loop: Header=BB288_164 Depth=1
	v_lshrrev_b32_e32 v8, 24, v27
	v_cmp_ne_u32_e64 s[0:1], s30, v8
	v_bfrev_b32_e32 v26, 1
	s_and_saveexec_b64 s[16:17], s[0:1]
	s_cbranch_execz .LBB288_211
; %bb.208:                              ;   in Loop: Header=BB288_164 Depth=1
	v_and_b32_e32 v27, 0x7f, v8
	v_cmp_ne_u32_e64 s[0:1], s31, v27
	v_mov_b32_e32 v26, 0x7fc02000
	s_and_saveexec_b64 s[18:19], s[0:1]
	s_cbranch_execz .LBB288_210
; %bb.209:                              ;   in Loop: Header=BB288_164 Depth=1
	v_and_b32_e32 v26, 7, v8
	v_ffbh_u32_e32 v42, v26
	v_min_u32_e32 v44, 32, v42
	v_subrev_u32_e32 v42, 28, v44
	v_lshlrev_b64 v[42:43], v42, v[8:9]
	v_lshrrev_b32_e32 v41, 3, v27
	v_sub_u32_e32 v43, 29, v44
	v_cmp_gt_u32_e64 s[0:1], 8, v27
	v_cndmask_b32_e64 v27, v41, v43, s[0:1]
	v_and_b32_e32 v42, 7, v42
	v_lshlrev_b32_e32 v8, 8, v8
	v_lshl_add_u32 v27, v27, 10, v5
	v_cndmask_b32_e64 v26, v26, v42, s[0:1]
	v_and_or_b32 v8, v8, s34, v27
	v_lshl_or_b32 v8, v26, 7, v8
	v_cvt_f32_f16_e32 v26, v8
.LBB288_210:                            ;   in Loop: Header=BB288_164 Depth=1
	s_or_b64 exec, exec, s[18:19]
.LBB288_211:                            ;   in Loop: Header=BB288_164 Depth=1
	s_or_b64 exec, exec, s[16:17]
.LBB288_212:                            ;   in Loop: Header=BB288_164 Depth=1
	s_or_b64 exec, exec, s[2:3]
	s_waitcnt vmcnt(0)
	v_pk_mul_f32 v[28:29], v[22:23], v[28:29] op_sel_hi:[0,1]
	v_pk_mul_f32 v[24:25], v[22:23], v[24:25] op_sel_hi:[0,1]
	v_cvt_f16_f32_e32 v8, v29
	v_cvt_f16_f32_e32 v27, v28
	;; [unrolled: 1-line block ×4, first 2 shown]
	v_cmp_eq_u32_e64 s[0:1], s9, v4
	v_pack_b32_f16 v27, v27, v8
	v_pack_b32_f16 v24, v24, v25
	v_fma_mixlo_f16 v25, v22, v40, 0
	v_perm_b32 v8, v24, v27, s36
	v_perm_b32 v24, v24, v27, s37
	v_lshlrev_b32_e32 v25, 16, v25
	v_fma_mixlo_f16 v27, v22, v32, 0
	v_or_b32_sdwa v25, v25, v27 dst_sel:DWORD dst_unused:UNUSED_PAD src0_sel:DWORD src1_sel:WORD_0
	v_fma_mixlo_f16 v27, v22, v39, 0
	v_fma_mixlo_f16 v22, v22, v26, 0
	v_lshlrev_b32_e32 v22, 16, v22
	v_or_b32_sdwa v22, v22, v27 dst_sel:DWORD dst_unused:UNUSED_PAD src0_sel:DWORD src1_sel:WORD_0
	s_and_saveexec_b64 s[16:17], s[0:1]
	s_cbranch_execz .LBB288_214
; %bb.213:                              ;   in Loop: Header=BB288_164 Depth=1
	v_add_u32_e32 v26, 1, v30
	v_lshrrev_b32_e32 v28, 16, v24
	v_cmp_gt_i32_e64 s[2:3], s28, v26
	v_cndmask_b32_e64 v26, 0, v28, s[2:3]
	v_cmp_gt_i32_e64 s[2:3], s29, v30
	v_cndmask_b32_e64 v24, 0, v24, s[2:3]
	v_perm_b32 v24, v26, v24, s38
	v_or_b32_e32 v26, 3, v30
	v_or_b32_e32 v28, 2, v30
	v_lshrrev_b32_e32 v29, 16, v8
	v_cmp_gt_i32_e64 s[2:3], s28, v26
	v_cndmask_b32_e64 v26, 0, v29, s[2:3]
	v_cmp_gt_i32_e64 s[2:3], s29, v28
	v_cndmask_b32_e64 v8, 0, v8, s[2:3]
	v_perm_b32 v8, v26, v8, s38
	v_or_b32_e32 v26, 5, v30
	v_or_b32_e32 v28, 4, v30
	;; [unrolled: 8-line block ×3, first 2 shown]
	v_lshrrev_b32_e32 v22, 16, v22
	v_cmp_gt_i32_e64 s[2:3], s28, v26
	v_cndmask_b32_e64 v22, 0, v22, s[2:3]
	v_cmp_gt_i32_e64 s[2:3], s29, v28
	v_cndmask_b32_e64 v26, 0, v27, s[2:3]
	v_perm_b32 v22, v22, v26, s38
.LBB288_214:                            ;   in Loop: Header=BB288_164 Depth=1
	s_or_b64 exec, exec, s[16:17]
	v_and_b32_e32 v23, 0xffff, v23
	v_lshl_or_b32 v32, v31, 16, v23
	v_and_b32_e32 v23, 0xffff, v33
	v_lshl_or_b32 v31, v34, 16, v23
	;; [unrolled: 2-line block ×4, first 2 shown]
	;;#ASMSTART
	v_pk_mul_f16 v23, v32, v24;

	;;#ASMEND
	;;#ASMSTART
	v_pk_mul_f16 v8, v31, v8;

	;;#ASMEND
	;; [unrolled: 4-line block ×4, first 2 shown]
	;;#ASMSTART
	v_pk_add_f16 v8, v23, v8;

	;;#ASMEND
	;;#ASMSTART
	v_pk_add_f16 v8, v8, v24;

	;;#ASMEND
	;; [unrolled: 4-line block ×3, first 2 shown]
	v_lshrrev_b32_e32 v22, 16, v8
	v_and_b32_e32 v8, 0xffff, v8
	;;#ASMSTART
	v_cvt_f32_f16 v23, v8;
	;;#ASMEND
	;;#ASMSTART
	v_cvt_f32_f16 v33, v22;
	;;#ASMEND
	global_load_dwordx2 v[26:27], v[20:21], off offset:512
	global_load_dword v22, v9, s[14:15]
	v_mov_b32_e32 v24, 0
	v_mov_b32_e32 v20, 0
	s_waitcnt vmcnt(1)
	v_cmp_ne_u16_sdwa s[2:3], v26, v9 src0_sel:BYTE_0 src1_sel:DWORD
	s_and_saveexec_b64 s[16:17], s[2:3]
	s_cbranch_execz .LBB288_220
; %bb.215:                              ;   in Loop: Header=BB288_164 Depth=1
	v_cmp_ne_u16_sdwa s[2:3], v26, s30 src0_sel:BYTE_0 src1_sel:DWORD
	v_bfrev_b32_e32 v20, 1
	s_and_saveexec_b64 s[18:19], s[2:3]
	s_cbranch_execz .LBB288_219
; %bb.216:                              ;   in Loop: Header=BB288_164 Depth=1
	v_and_b32_e32 v8, 0x7f, v26
	v_cmp_ne_u32_e64 s[2:3], s31, v8
	v_mov_b32_e32 v20, 0x7fc02000
	s_and_saveexec_b64 s[20:21], s[2:3]
	s_cbranch_execz .LBB288_218
; %bb.217:                              ;   in Loop: Header=BB288_164 Depth=1
	v_and_b32_e32 v20, 7, v26
	v_ffbh_u32_e32 v20, v20
	v_min_u32_e32 v20, 32, v20
	v_subrev_u32_e32 v21, 28, v20
	v_cmp_gt_u32_e64 s[2:3], 8, v8
	v_lshrrev_b32_e32 v25, 3, v8
	v_sub_u32_e32 v34, 29, v20
	v_cndmask_b32_e64 v8, 0, v21, s[2:3]
	v_lshlrev_b64 v[20:21], v8, v[26:27]
	v_cndmask_b32_e64 v8, v25, v34, s[2:3]
	v_lshlrev_b32_e32 v21, 8, v26
	v_lshl_add_u32 v8, v8, 10, v5
	v_lshlrev_b32_e32 v20, 7, v20
	v_and_or_b32 v8, v21, s34, v8
	v_and_or_b32 v8, v20, s35, v8
	v_cvt_f32_f16_e32 v20, v8
.LBB288_218:                            ;   in Loop: Header=BB288_164 Depth=1
	s_or_b64 exec, exec, s[20:21]
.LBB288_219:                            ;   in Loop: Header=BB288_164 Depth=1
	s_or_b64 exec, exec, s[18:19]
.LBB288_220:                            ;   in Loop: Header=BB288_164 Depth=1
	s_or_b64 exec, exec, s[16:17]
	v_lshrrev_b16_e32 v8, 8, v26
	v_cmp_ne_u16_e64 s[2:3], 0, v8
	s_and_saveexec_b64 s[16:17], s[2:3]
	s_cbranch_execz .LBB288_226
; %bb.221:                              ;   in Loop: Header=BB288_164 Depth=1
	v_cmp_ne_u16_e64 s[2:3], s30, v8
	v_bfrev_b32_e32 v24, 1
	s_and_saveexec_b64 s[18:19], s[2:3]
	s_cbranch_execz .LBB288_225
; %bb.222:                              ;   in Loop: Header=BB288_164 Depth=1
	v_and_b32_e32 v21, 0x7f, v8
	v_cmp_ne_u32_e64 s[2:3], s31, v21
	v_mov_b32_e32 v24, 0x7fc02000
	s_and_saveexec_b64 s[20:21], s[2:3]
	s_cbranch_execz .LBB288_224
; %bb.223:                              ;   in Loop: Header=BB288_164 Depth=1
	v_and_b32_e32 v34, 7, v8
	v_ffbh_u32_e32 v24, v34
	v_min_u32_e32 v36, 32, v24
	v_subrev_u32_e32 v24, 28, v36
	v_lshlrev_b64 v[24:25], v24, v[8:9]
	v_lshrrev_b32_e32 v35, 3, v21
	v_sub_u32_e32 v25, 29, v36
	v_cmp_gt_u32_e64 s[2:3], 8, v21
	v_cndmask_b32_e64 v21, v35, v25, s[2:3]
	v_and_b32_e32 v24, 7, v24
	v_lshlrev_b32_e32 v8, 8, v8
	v_lshl_add_u32 v21, v21, 10, v5
	v_cndmask_b32_e64 v24, v34, v24, s[2:3]
	v_and_or_b32 v8, v8, s34, v21
	v_lshl_or_b32 v8, v24, 7, v8
	v_cvt_f32_f16_e32 v24, v8
.LBB288_224:                            ;   in Loop: Header=BB288_164 Depth=1
	s_or_b64 exec, exec, s[20:21]
.LBB288_225:                            ;   in Loop: Header=BB288_164 Depth=1
	s_or_b64 exec, exec, s[18:19]
.LBB288_226:                            ;   in Loop: Header=BB288_164 Depth=1
	s_or_b64 exec, exec, s[16:17]
	v_lshrrev_b32_e32 v8, 16, v26
	v_cmp_ne_u16_sdwa s[2:3], v8, v9 src0_sel:BYTE_0 src1_sel:DWORD
	v_mov_b32_e32 v25, 0
	v_mov_b32_e32 v21, 0
	s_and_saveexec_b64 s[16:17], s[2:3]
	s_cbranch_execz .LBB288_232
; %bb.227:                              ;   in Loop: Header=BB288_164 Depth=1
	v_cmp_ne_u16_sdwa s[2:3], v8, s30 src0_sel:BYTE_0 src1_sel:DWORD
	v_bfrev_b32_e32 v21, 1
	s_and_saveexec_b64 s[18:19], s[2:3]
	s_cbranch_execz .LBB288_231
; %bb.228:                              ;   in Loop: Header=BB288_164 Depth=1
	v_bfe_u32 v34, v26, 16, 7
	v_cmp_ne_u32_e64 s[2:3], s31, v34
	v_mov_b32_e32 v21, 0x7fc02000
	s_and_saveexec_b64 s[20:21], s[2:3]
	s_cbranch_execz .LBB288_230
; %bb.229:                              ;   in Loop: Header=BB288_164 Depth=1
	v_and_b32_e32 v21, 7, v8
	v_ffbh_u32_e32 v36, v21
	v_min_u32_e32 v38, 32, v36
	v_subrev_u32_e32 v36, 28, v38
	v_lshlrev_b64 v[36:37], v36, v[8:9]
	v_lshrrev_b32_e32 v35, 3, v34
	v_sub_u32_e32 v37, 29, v38
	v_cmp_gt_u32_e64 s[2:3], 8, v34
	v_cndmask_b32_e64 v34, v35, v37, s[2:3]
	v_and_b32_e32 v36, 7, v36
	v_lshlrev_b32_e32 v8, 8, v8
	v_lshl_add_u32 v34, v34, 10, v5
	v_cndmask_b32_e64 v21, v21, v36, s[2:3]
	v_and_or_b32 v8, v8, s34, v34
	v_lshl_or_b32 v8, v21, 7, v8
	v_cvt_f32_f16_e32 v21, v8
.LBB288_230:                            ;   in Loop: Header=BB288_164 Depth=1
	s_or_b64 exec, exec, s[20:21]
.LBB288_231:                            ;   in Loop: Header=BB288_164 Depth=1
	s_or_b64 exec, exec, s[18:19]
.LBB288_232:                            ;   in Loop: Header=BB288_164 Depth=1
	s_or_b64 exec, exec, s[16:17]
	v_cmp_lt_u32_e64 s[2:3], s11, v26
	s_and_saveexec_b64 s[16:17], s[2:3]
	s_cbranch_execz .LBB288_238
; %bb.233:                              ;   in Loop: Header=BB288_164 Depth=1
	v_lshrrev_b32_e32 v8, 24, v26
	v_cmp_ne_u32_e64 s[2:3], s30, v8
	v_bfrev_b32_e32 v25, 1
	s_and_saveexec_b64 s[18:19], s[2:3]
	s_cbranch_execz .LBB288_237
; %bb.234:                              ;   in Loop: Header=BB288_164 Depth=1
	v_and_b32_e32 v34, 0x7f, v8
	v_cmp_ne_u32_e64 s[2:3], s31, v34
	v_mov_b32_e32 v25, 0x7fc02000
	s_and_saveexec_b64 s[20:21], s[2:3]
	s_cbranch_execz .LBB288_236
; %bb.235:                              ;   in Loop: Header=BB288_164 Depth=1
	v_and_b32_e32 v25, 7, v8
	v_ffbh_u32_e32 v36, v25
	v_min_u32_e32 v38, 32, v36
	v_subrev_u32_e32 v36, 28, v38
	v_lshlrev_b64 v[36:37], v36, v[8:9]
	v_lshrrev_b32_e32 v35, 3, v34
	v_sub_u32_e32 v37, 29, v38
	v_cmp_gt_u32_e64 s[2:3], 8, v34
	v_cndmask_b32_e64 v34, v35, v37, s[2:3]
	v_and_b32_e32 v36, 7, v36
	v_lshlrev_b32_e32 v8, 8, v8
	v_lshl_add_u32 v34, v34, 10, v5
	v_cndmask_b32_e64 v25, v25, v36, s[2:3]
	v_and_or_b32 v8, v8, s34, v34
	v_lshl_or_b32 v8, v25, 7, v8
	v_cvt_f32_f16_e32 v25, v8
.LBB288_236:                            ;   in Loop: Header=BB288_164 Depth=1
	s_or_b64 exec, exec, s[20:21]
.LBB288_237:                            ;   in Loop: Header=BB288_164 Depth=1
	s_or_b64 exec, exec, s[18:19]
.LBB288_238:                            ;   in Loop: Header=BB288_164 Depth=1
	s_or_b64 exec, exec, s[16:17]
	v_mov_b32_e32 v8, v27
	v_cmp_ne_u16_sdwa s[2:3], v27, v9 src0_sel:BYTE_0 src1_sel:DWORD
	v_mov_b32_e32 v35, 0
	v_mov_b32_e32 v34, 0
	s_and_saveexec_b64 s[16:17], s[2:3]
	s_cbranch_execz .LBB288_244
; %bb.239:                              ;   in Loop: Header=BB288_164 Depth=1
	v_cmp_ne_u16_sdwa s[2:3], v27, s30 src0_sel:BYTE_0 src1_sel:DWORD
	v_bfrev_b32_e32 v34, 1
	s_and_saveexec_b64 s[18:19], s[2:3]
	s_cbranch_execz .LBB288_243
; %bb.240:                              ;   in Loop: Header=BB288_164 Depth=1
	v_and_b32_e32 v36, 0x7f, v27
	v_cmp_ne_u32_e64 s[2:3], s31, v36
	v_mov_b32_e32 v34, 0x7fc02000
	s_and_saveexec_b64 s[20:21], s[2:3]
	s_cbranch_execz .LBB288_242
; %bb.241:                              ;   in Loop: Header=BB288_164 Depth=1
	v_and_b32_e32 v34, 7, v27
	v_ffbh_u32_e32 v34, v34
	v_min_u32_e32 v34, 32, v34
	v_subrev_u32_e32 v37, 28, v34
	v_cmp_gt_u32_e64 s[2:3], 8, v36
	v_lshrrev_b32_e32 v38, 3, v36
	v_sub_u32_e32 v34, 29, v34
	v_cndmask_b32_e64 v36, 0, v37, s[2:3]
	v_lshlrev_b64 v[36:37], v36, v[8:9]
	v_cndmask_b32_e64 v34, v38, v34, s[2:3]
	v_lshlrev_b32_e32 v37, 8, v27
	v_lshl_add_u32 v34, v34, 10, v5
	v_lshlrev_b32_e32 v36, 7, v36
	v_and_or_b32 v34, v37, s34, v34
	v_and_or_b32 v34, v36, s35, v34
	v_cvt_f32_f16_e32 v34, v34
.LBB288_242:                            ;   in Loop: Header=BB288_164 Depth=1
	s_or_b64 exec, exec, s[20:21]
.LBB288_243:                            ;   in Loop: Header=BB288_164 Depth=1
	s_or_b64 exec, exec, s[18:19]
.LBB288_244:                            ;   in Loop: Header=BB288_164 Depth=1
	s_or_b64 exec, exec, s[16:17]
	v_lshrrev_b16_e32 v8, 8, v8
	v_cmp_ne_u16_e64 s[2:3], 0, v8
	s_and_saveexec_b64 s[16:17], s[2:3]
	s_cbranch_execz .LBB288_250
; %bb.245:                              ;   in Loop: Header=BB288_164 Depth=1
	v_cmp_ne_u16_e64 s[2:3], s30, v8
	v_bfrev_b32_e32 v35, 1
	s_and_saveexec_b64 s[18:19], s[2:3]
	s_cbranch_execz .LBB288_249
; %bb.246:                              ;   in Loop: Header=BB288_164 Depth=1
	v_and_b32_e32 v36, 0x7f, v8
	v_cmp_ne_u32_e64 s[2:3], s31, v36
	v_mov_b32_e32 v35, 0x7fc02000
	s_and_saveexec_b64 s[20:21], s[2:3]
	s_cbranch_execz .LBB288_248
; %bb.247:                              ;   in Loop: Header=BB288_164 Depth=1
	v_and_b32_e32 v35, 7, v8
	v_ffbh_u32_e32 v38, v35
	v_min_u32_e32 v40, 32, v38
	v_subrev_u32_e32 v38, 28, v40
	v_lshlrev_b64 v[38:39], v38, v[8:9]
	v_lshrrev_b32_e32 v37, 3, v36
	v_sub_u32_e32 v39, 29, v40
	v_cmp_gt_u32_e64 s[2:3], 8, v36
	v_cndmask_b32_e64 v36, v37, v39, s[2:3]
	v_and_b32_e32 v38, 7, v38
	v_lshlrev_b32_e32 v8, 8, v8
	v_lshl_add_u32 v36, v36, 10, v5
	v_cndmask_b32_e64 v35, v35, v38, s[2:3]
	v_and_or_b32 v8, v8, s34, v36
	v_lshl_or_b32 v8, v35, 7, v8
	v_cvt_f32_f16_e32 v35, v8
.LBB288_248:                            ;   in Loop: Header=BB288_164 Depth=1
	s_or_b64 exec, exec, s[20:21]
.LBB288_249:                            ;   in Loop: Header=BB288_164 Depth=1
	s_or_b64 exec, exec, s[18:19]
.LBB288_250:                            ;   in Loop: Header=BB288_164 Depth=1
	s_or_b64 exec, exec, s[16:17]
	v_lshrrev_b32_e32 v8, 16, v27
	v_cmp_ne_u16_sdwa s[2:3], v8, v9 src0_sel:BYTE_0 src1_sel:DWORD
	v_mov_b32_e32 v36, 0
	v_mov_b32_e32 v37, 0
	s_and_saveexec_b64 s[16:17], s[2:3]
	s_cbranch_execz .LBB288_256
; %bb.251:                              ;   in Loop: Header=BB288_164 Depth=1
	v_cmp_ne_u16_sdwa s[2:3], v8, s30 src0_sel:BYTE_0 src1_sel:DWORD
	v_bfrev_b32_e32 v37, 1
	s_and_saveexec_b64 s[18:19], s[2:3]
	s_cbranch_execz .LBB288_255
; %bb.252:                              ;   in Loop: Header=BB288_164 Depth=1
	v_bfe_u32 v38, v27, 16, 7
	v_cmp_ne_u32_e64 s[2:3], s31, v38
	v_mov_b32_e32 v37, 0x7fc02000
	s_and_saveexec_b64 s[20:21], s[2:3]
	s_cbranch_execz .LBB288_254
; %bb.253:                              ;   in Loop: Header=BB288_164 Depth=1
	v_and_b32_e32 v37, 7, v8
	v_ffbh_u32_e32 v40, v37
	v_min_u32_e32 v42, 32, v40
	v_subrev_u32_e32 v40, 28, v42
	v_lshlrev_b64 v[40:41], v40, v[8:9]
	v_lshrrev_b32_e32 v39, 3, v38
	v_sub_u32_e32 v41, 29, v42
	v_cmp_gt_u32_e64 s[2:3], 8, v38
	v_cndmask_b32_e64 v38, v39, v41, s[2:3]
	v_and_b32_e32 v40, 7, v40
	v_lshlrev_b32_e32 v8, 8, v8
	v_lshl_add_u32 v38, v38, 10, v5
	v_cndmask_b32_e64 v37, v37, v40, s[2:3]
	v_and_or_b32 v8, v8, s34, v38
	v_lshl_or_b32 v8, v37, 7, v8
	v_cvt_f32_f16_e32 v37, v8
.LBB288_254:                            ;   in Loop: Header=BB288_164 Depth=1
	s_or_b64 exec, exec, s[20:21]
.LBB288_255:                            ;   in Loop: Header=BB288_164 Depth=1
	s_or_b64 exec, exec, s[18:19]
.LBB288_256:                            ;   in Loop: Header=BB288_164 Depth=1
	s_or_b64 exec, exec, s[16:17]
	v_cmp_lt_u64_e64 s[2:3], s[10:11], v[26:27]
	s_and_saveexec_b64 s[16:17], s[2:3]
	s_cbranch_execz .LBB288_262
; %bb.257:                              ;   in Loop: Header=BB288_164 Depth=1
	v_lshrrev_b32_e32 v8, 24, v27
	v_cmp_ne_u32_e64 s[2:3], s30, v8
	v_bfrev_b32_e32 v36, 1
	s_and_saveexec_b64 s[18:19], s[2:3]
	s_cbranch_execz .LBB288_261
; %bb.258:                              ;   in Loop: Header=BB288_164 Depth=1
	v_and_b32_e32 v26, 0x7f, v8
	v_cmp_ne_u32_e64 s[2:3], s31, v26
	v_mov_b32_e32 v36, 0x7fc02000
	s_and_saveexec_b64 s[20:21], s[2:3]
	s_cbranch_execz .LBB288_260
; %bb.259:                              ;   in Loop: Header=BB288_164 Depth=1
	v_and_b32_e32 v27, 7, v8
	v_ffbh_u32_e32 v38, v27
	v_min_u32_e32 v40, 32, v38
	v_subrev_u32_e32 v38, 28, v40
	v_lshlrev_b64 v[38:39], v38, v[8:9]
	v_lshrrev_b32_e32 v36, 3, v26
	v_sub_u32_e32 v39, 29, v40
	v_cmp_gt_u32_e64 s[2:3], 8, v26
	v_cndmask_b32_e64 v26, v36, v39, s[2:3]
	v_and_b32_e32 v38, 7, v38
	v_lshlrev_b32_e32 v8, 8, v8
	v_lshl_add_u32 v26, v26, 10, v5
	v_cndmask_b32_e64 v27, v27, v38, s[2:3]
	v_and_or_b32 v8, v8, s34, v26
	v_lshl_or_b32 v8, v27, 7, v8
	v_cvt_f32_f16_e32 v36, v8
.LBB288_260:                            ;   in Loop: Header=BB288_164 Depth=1
	s_or_b64 exec, exec, s[20:21]
.LBB288_261:                            ;   in Loop: Header=BB288_164 Depth=1
	s_or_b64 exec, exec, s[18:19]
.LBB288_262:                            ;   in Loop: Header=BB288_164 Depth=1
	s_or_b64 exec, exec, s[16:17]
	s_waitcnt vmcnt(0)
	v_pk_mul_f32 v[24:25], v[22:23], v[24:25] op_sel_hi:[0,1]
	v_pk_mul_f32 v[20:21], v[22:23], v[20:21] op_sel_hi:[0,1]
	v_cvt_f16_f32_e32 v8, v25
	v_cvt_f16_f32_e32 v24, v24
	;; [unrolled: 1-line block ×4, first 2 shown]
	v_pack_b32_f16 v24, v24, v8
	v_pack_b32_f16 v20, v20, v21
	v_fma_mixlo_f16 v21, v22, v35, 0
	v_perm_b32 v8, v20, v24, s36
	v_perm_b32 v20, v20, v24, s37
	v_lshlrev_b32_e32 v21, 16, v21
	v_fma_mixlo_f16 v24, v22, v34, 0
	v_or_b32_sdwa v21, v21, v24 dst_sel:DWORD dst_unused:UNUSED_PAD src0_sel:DWORD src1_sel:WORD_0
	v_fma_mixlo_f16 v24, v22, v37, 0
	v_fma_mixlo_f16 v22, v22, v36, 0
	v_lshlrev_b32_e32 v22, 16, v22
	v_or_b32_sdwa v22, v22, v24 dst_sel:DWORD dst_unused:UNUSED_PAD src0_sel:DWORD src1_sel:WORD_0
	s_and_saveexec_b64 s[16:17], s[0:1]
	s_cbranch_execz .LBB288_264
; %bb.263:                              ;   in Loop: Header=BB288_164 Depth=1
	v_add_u32_e32 v25, 1, v30
	v_lshrrev_b32_e32 v26, 16, v20
	v_cmp_gt_i32_e64 s[2:3], s28, v25
	v_cndmask_b32_e64 v25, 0, v26, s[2:3]
	v_cmp_gt_i32_e64 s[2:3], s29, v30
	v_cndmask_b32_e64 v20, 0, v20, s[2:3]
	v_perm_b32 v20, v25, v20, s38
	v_or_b32_e32 v25, 3, v30
	v_or_b32_e32 v26, 2, v30
	v_lshrrev_b32_e32 v27, 16, v8
	v_cmp_gt_i32_e64 s[2:3], s28, v25
	v_cndmask_b32_e64 v25, 0, v27, s[2:3]
	v_cmp_gt_i32_e64 s[2:3], s29, v26
	v_cndmask_b32_e64 v8, 0, v8, s[2:3]
	v_perm_b32 v8, v25, v8, s38
	v_or_b32_e32 v25, 5, v30
	v_or_b32_e32 v26, 4, v30
	;; [unrolled: 8-line block ×3, first 2 shown]
	v_lshrrev_b32_e32 v22, 16, v22
	v_cmp_gt_i32_e64 s[2:3], s28, v25
	v_cndmask_b32_e64 v22, 0, v22, s[2:3]
	v_cmp_gt_i32_e64 s[2:3], s29, v26
	v_cndmask_b32_e64 v24, 0, v24, s[2:3]
	v_perm_b32 v22, v22, v24, s38
.LBB288_264:                            ;   in Loop: Header=BB288_164 Depth=1
	s_or_b64 exec, exec, s[16:17]
	;;#ASMSTART
	v_pk_mul_f16 v20, v32, v20;

	;;#ASMEND
	;;#ASMSTART
	v_pk_mul_f16 v8, v31, v8;

	;;#ASMEND
	;;#ASMSTART
	v_pk_mul_f16 v21, v29, v21;

	;;#ASMEND
	;;#ASMSTART
	v_pk_mul_f16 v22, v28, v22;

	;;#ASMEND
	;;#ASMSTART
	v_pk_add_f16 v8, v20, v8;

	;;#ASMEND
	;;#ASMSTART
	v_pk_add_f16 v8, v8, v21;

	;;#ASMEND
	;; [unrolled: 4-line block ×3, first 2 shown]
	v_lshrrev_b32_e32 v20, 16, v8
	v_and_b32_e32 v8, 0xffff, v8
	;;#ASMSTART
	v_cvt_f32_f16 v8, v8;
	;;#ASMEND
	v_add_f32_e32 v23, v23, v33
	;;#ASMSTART
	v_cvt_f32_f16 v20, v20;
	;;#ASMEND
	v_add_f32_e32 v8, v8, v20
	v_add_f32_e32 v12, v12, v23
	v_add_f32_e32 v13, v13, v8
	s_and_saveexec_b64 s[16:17], vcc
	s_cbranch_execz .LBB288_163
; %bb.265:                              ;   in Loop: Header=BB288_164 Depth=1
	v_add_co_u32_e64 v20, s[2:3], v18, v10
	v_addc_co_u32_e64 v21, s[2:3], 0, v19, s[2:3]
	global_load_dwordx2 v[24:25], v[20:21], off
	global_load_dword v18, v9, s[14:15]
	v_mov_b32_e32 v22, 0
	v_mov_b32_e32 v20, 0
	s_waitcnt vmcnt(1)
	v_cmp_ne_u16_sdwa s[2:3], v24, v9 src0_sel:BYTE_0 src1_sel:DWORD
	s_and_saveexec_b64 s[18:19], s[2:3]
	s_cbranch_execz .LBB288_271
; %bb.266:                              ;   in Loop: Header=BB288_164 Depth=1
	v_cmp_ne_u16_sdwa s[2:3], v24, s30 src0_sel:BYTE_0 src1_sel:DWORD
	v_bfrev_b32_e32 v20, 1
	s_and_saveexec_b64 s[20:21], s[2:3]
	s_cbranch_execz .LBB288_270
; %bb.267:                              ;   in Loop: Header=BB288_164 Depth=1
	v_and_b32_e32 v8, 0x7f, v24
	v_cmp_ne_u32_e64 s[2:3], s31, v8
	v_mov_b32_e32 v20, 0x7fc02000
	s_and_saveexec_b64 s[22:23], s[2:3]
	s_cbranch_execz .LBB288_269
; %bb.268:                              ;   in Loop: Header=BB288_164 Depth=1
	v_and_b32_e32 v19, 7, v24
	v_ffbh_u32_e32 v19, v19
	v_min_u32_e32 v19, 32, v19
	v_subrev_u32_e32 v20, 28, v19
	v_cmp_gt_u32_e64 s[2:3], 8, v8
	v_lshrrev_b32_e32 v23, 3, v8
	v_sub_u32_e32 v19, 29, v19
	v_cndmask_b32_e64 v8, 0, v20, s[2:3]
	v_lshlrev_b64 v[20:21], v8, v[24:25]
	v_cndmask_b32_e64 v8, v23, v19, s[2:3]
	v_lshlrev_b32_e32 v19, 7, v20
	v_lshlrev_b32_e32 v20, 8, v24
	v_lshl_add_u32 v8, v8, 10, v5
	v_and_or_b32 v8, v20, s34, v8
	v_and_or_b32 v8, v19, s35, v8
	v_cvt_f32_f16_e32 v20, v8
.LBB288_269:                            ;   in Loop: Header=BB288_164 Depth=1
	s_or_b64 exec, exec, s[22:23]
.LBB288_270:                            ;   in Loop: Header=BB288_164 Depth=1
	s_or_b64 exec, exec, s[20:21]
.LBB288_271:                            ;   in Loop: Header=BB288_164 Depth=1
	s_or_b64 exec, exec, s[18:19]
	v_lshrrev_b16_e32 v8, 8, v24
	v_cmp_ne_u16_e64 s[2:3], 0, v8
	s_and_saveexec_b64 s[18:19], s[2:3]
	s_cbranch_execz .LBB288_277
; %bb.272:                              ;   in Loop: Header=BB288_164 Depth=1
	v_cmp_ne_u16_e64 s[2:3], s30, v8
	v_bfrev_b32_e32 v22, 1
	s_and_saveexec_b64 s[20:21], s[2:3]
	s_cbranch_execz .LBB288_276
; %bb.273:                              ;   in Loop: Header=BB288_164 Depth=1
	v_and_b32_e32 v19, 0x7f, v8
	v_cmp_ne_u32_e64 s[2:3], s31, v19
	v_mov_b32_e32 v22, 0x7fc02000
	s_and_saveexec_b64 s[22:23], s[2:3]
	s_cbranch_execz .LBB288_275
; %bb.274:                              ;   in Loop: Header=BB288_164 Depth=1
	v_and_b32_e32 v21, 7, v8
	v_ffbh_u32_e32 v22, v21
	v_min_u32_e32 v27, 32, v22
	v_subrev_u32_e32 v22, 28, v27
	v_lshlrev_b64 v[22:23], v22, v[8:9]
	v_lshrrev_b32_e32 v26, 3, v19
	v_sub_u32_e32 v23, 29, v27
	v_cmp_gt_u32_e64 s[2:3], 8, v19
	v_cndmask_b32_e64 v19, v26, v23, s[2:3]
	v_and_b32_e32 v22, 7, v22
	v_lshlrev_b32_e32 v8, 8, v8
	v_lshl_add_u32 v19, v19, 10, v5
	v_cndmask_b32_e64 v21, v21, v22, s[2:3]
	v_and_or_b32 v8, v8, s34, v19
	v_lshl_or_b32 v8, v21, 7, v8
	v_cvt_f32_f16_e32 v22, v8
.LBB288_275:                            ;   in Loop: Header=BB288_164 Depth=1
	s_or_b64 exec, exec, s[22:23]
.LBB288_276:                            ;   in Loop: Header=BB288_164 Depth=1
	s_or_b64 exec, exec, s[20:21]
.LBB288_277:                            ;   in Loop: Header=BB288_164 Depth=1
	s_or_b64 exec, exec, s[18:19]
	v_lshrrev_b32_e32 v8, 16, v24
	v_cmp_ne_u16_sdwa s[2:3], v8, v9 src0_sel:BYTE_0 src1_sel:DWORD
	v_mov_b32_e32 v23, 0
	v_mov_b32_e32 v21, 0
	s_and_saveexec_b64 s[18:19], s[2:3]
	s_cbranch_execz .LBB288_283
; %bb.278:                              ;   in Loop: Header=BB288_164 Depth=1
	v_cmp_ne_u16_sdwa s[2:3], v8, s30 src0_sel:BYTE_0 src1_sel:DWORD
	v_bfrev_b32_e32 v21, 1
	s_and_saveexec_b64 s[20:21], s[2:3]
	s_cbranch_execz .LBB288_282
; %bb.279:                              ;   in Loop: Header=BB288_164 Depth=1
	v_bfe_u32 v19, v24, 16, 7
	v_cmp_ne_u32_e64 s[2:3], s31, v19
	v_mov_b32_e32 v21, 0x7fc02000
	s_and_saveexec_b64 s[22:23], s[2:3]
	s_cbranch_execz .LBB288_281
; %bb.280:                              ;   in Loop: Header=BB288_164 Depth=1
	v_and_b32_e32 v21, 7, v8
	v_ffbh_u32_e32 v26, v21
	v_min_u32_e32 v34, 32, v26
	v_subrev_u32_e32 v26, 28, v34
	v_lshlrev_b64 v[26:27], v26, v[8:9]
	v_lshrrev_b32_e32 v33, 3, v19
	v_sub_u32_e32 v27, 29, v34
	v_cmp_gt_u32_e64 s[2:3], 8, v19
	v_cndmask_b32_e64 v19, v33, v27, s[2:3]
	v_and_b32_e32 v26, 7, v26
	v_lshlrev_b32_e32 v8, 8, v8
	v_lshl_add_u32 v19, v19, 10, v5
	v_cndmask_b32_e64 v21, v21, v26, s[2:3]
	v_and_or_b32 v8, v8, s34, v19
	v_lshl_or_b32 v8, v21, 7, v8
	v_cvt_f32_f16_e32 v21, v8
.LBB288_281:                            ;   in Loop: Header=BB288_164 Depth=1
	s_or_b64 exec, exec, s[22:23]
.LBB288_282:                            ;   in Loop: Header=BB288_164 Depth=1
	s_or_b64 exec, exec, s[20:21]
.LBB288_283:                            ;   in Loop: Header=BB288_164 Depth=1
	s_or_b64 exec, exec, s[18:19]
	v_cmp_lt_u32_e64 s[2:3], s11, v24
	s_and_saveexec_b64 s[18:19], s[2:3]
	s_cbranch_execz .LBB288_289
; %bb.284:                              ;   in Loop: Header=BB288_164 Depth=1
	v_lshrrev_b32_e32 v8, 24, v24
	v_cmp_ne_u32_e64 s[2:3], s30, v8
	v_bfrev_b32_e32 v23, 1
	s_and_saveexec_b64 s[20:21], s[2:3]
	s_cbranch_execz .LBB288_288
; %bb.285:                              ;   in Loop: Header=BB288_164 Depth=1
	v_and_b32_e32 v19, 0x7f, v8
	v_cmp_ne_u32_e64 s[2:3], s31, v19
	v_mov_b32_e32 v23, 0x7fc02000
	s_and_saveexec_b64 s[22:23], s[2:3]
	s_cbranch_execz .LBB288_287
; %bb.286:                              ;   in Loop: Header=BB288_164 Depth=1
	v_and_b32_e32 v23, 7, v8
	v_ffbh_u32_e32 v26, v23
	v_min_u32_e32 v34, 32, v26
	v_subrev_u32_e32 v26, 28, v34
	v_lshlrev_b64 v[26:27], v26, v[8:9]
	v_lshrrev_b32_e32 v33, 3, v19
	v_sub_u32_e32 v27, 29, v34
	v_cmp_gt_u32_e64 s[2:3], 8, v19
	v_cndmask_b32_e64 v19, v33, v27, s[2:3]
	v_and_b32_e32 v26, 7, v26
	v_lshlrev_b32_e32 v8, 8, v8
	v_lshl_add_u32 v19, v19, 10, v5
	v_cndmask_b32_e64 v23, v23, v26, s[2:3]
	v_and_or_b32 v8, v8, s34, v19
	v_lshl_or_b32 v8, v23, 7, v8
	v_cvt_f32_f16_e32 v23, v8
.LBB288_287:                            ;   in Loop: Header=BB288_164 Depth=1
	s_or_b64 exec, exec, s[22:23]
.LBB288_288:                            ;   in Loop: Header=BB288_164 Depth=1
	s_or_b64 exec, exec, s[20:21]
.LBB288_289:                            ;   in Loop: Header=BB288_164 Depth=1
	s_or_b64 exec, exec, s[18:19]
	v_mov_b32_e32 v8, v25
	v_cmp_ne_u16_sdwa s[2:3], v25, v9 src0_sel:BYTE_0 src1_sel:DWORD
	v_mov_b32_e32 v26, 0
	v_mov_b32_e32 v19, 0
	s_and_saveexec_b64 s[18:19], s[2:3]
	s_cbranch_execz .LBB288_295
; %bb.290:                              ;   in Loop: Header=BB288_164 Depth=1
	v_cmp_ne_u16_sdwa s[2:3], v25, s30 src0_sel:BYTE_0 src1_sel:DWORD
	v_bfrev_b32_e32 v19, 1
	s_and_saveexec_b64 s[20:21], s[2:3]
	s_cbranch_execz .LBB288_294
; %bb.291:                              ;   in Loop: Header=BB288_164 Depth=1
	v_and_b32_e32 v27, 0x7f, v25
	v_cmp_ne_u32_e64 s[2:3], s31, v27
	v_mov_b32_e32 v19, 0x7fc02000
	s_and_saveexec_b64 s[22:23], s[2:3]
	s_cbranch_execz .LBB288_293
; %bb.292:                              ;   in Loop: Header=BB288_164 Depth=1
	v_and_b32_e32 v19, 7, v25
	v_ffbh_u32_e32 v19, v19
	v_min_u32_e32 v19, 32, v19
	v_lshrrev_b32_e32 v33, 3, v27
	v_subrev_u32_e32 v34, 28, v19
	v_sub_u32_e32 v19, 29, v19
	v_cmp_gt_u32_e64 s[2:3], 8, v27
	v_cndmask_b32_e64 v27, 0, v34, s[2:3]
	v_cndmask_b32_e64 v19, v33, v19, s[2:3]
	v_lshlrev_b64 v[34:35], v27, v[8:9]
	v_lshlrev_b32_e32 v33, 8, v25
	v_lshl_add_u32 v19, v19, 10, v5
	v_lshlrev_b32_e32 v27, 7, v34
	v_and_or_b32 v19, v33, s34, v19
	v_and_or_b32 v19, v27, s35, v19
	v_cvt_f32_f16_e32 v19, v19
.LBB288_293:                            ;   in Loop: Header=BB288_164 Depth=1
	s_or_b64 exec, exec, s[22:23]
.LBB288_294:                            ;   in Loop: Header=BB288_164 Depth=1
	s_or_b64 exec, exec, s[20:21]
.LBB288_295:                            ;   in Loop: Header=BB288_164 Depth=1
	s_or_b64 exec, exec, s[18:19]
	v_lshrrev_b16_e32 v8, 8, v8
	v_cmp_ne_u16_e64 s[2:3], 0, v8
	s_and_saveexec_b64 s[18:19], s[2:3]
	s_cbranch_execz .LBB288_301
; %bb.296:                              ;   in Loop: Header=BB288_164 Depth=1
	v_cmp_ne_u16_e64 s[2:3], s30, v8
	v_bfrev_b32_e32 v26, 1
	s_and_saveexec_b64 s[20:21], s[2:3]
	s_cbranch_execz .LBB288_300
; %bb.297:                              ;   in Loop: Header=BB288_164 Depth=1
	v_and_b32_e32 v27, 0x7f, v8
	v_cmp_ne_u32_e64 s[2:3], s31, v27
	v_mov_b32_e32 v26, 0x7fc02000
	s_and_saveexec_b64 s[22:23], s[2:3]
	s_cbranch_execz .LBB288_299
; %bb.298:                              ;   in Loop: Header=BB288_164 Depth=1
	v_and_b32_e32 v26, 7, v8
	v_ffbh_u32_e32 v34, v26
	v_min_u32_e32 v36, 32, v34
	v_subrev_u32_e32 v34, 28, v36
	v_lshlrev_b64 v[34:35], v34, v[8:9]
	v_lshrrev_b32_e32 v33, 3, v27
	v_sub_u32_e32 v35, 29, v36
	v_cmp_gt_u32_e64 s[2:3], 8, v27
	v_cndmask_b32_e64 v27, v33, v35, s[2:3]
	v_and_b32_e32 v34, 7, v34
	v_lshlrev_b32_e32 v8, 8, v8
	v_lshl_add_u32 v27, v27, 10, v5
	v_cndmask_b32_e64 v26, v26, v34, s[2:3]
	v_and_or_b32 v8, v8, s34, v27
	v_lshl_or_b32 v8, v26, 7, v8
	v_cvt_f32_f16_e32 v26, v8
.LBB288_299:                            ;   in Loop: Header=BB288_164 Depth=1
	s_or_b64 exec, exec, s[22:23]
.LBB288_300:                            ;   in Loop: Header=BB288_164 Depth=1
	s_or_b64 exec, exec, s[20:21]
.LBB288_301:                            ;   in Loop: Header=BB288_164 Depth=1
	s_or_b64 exec, exec, s[18:19]
	v_lshrrev_b32_e32 v8, 16, v25
	v_cmp_ne_u16_sdwa s[2:3], v8, v9 src0_sel:BYTE_0 src1_sel:DWORD
	v_mov_b32_e32 v27, 0
	v_mov_b32_e32 v33, 0
	s_and_saveexec_b64 s[18:19], s[2:3]
	s_cbranch_execz .LBB288_307
; %bb.302:                              ;   in Loop: Header=BB288_164 Depth=1
	v_cmp_ne_u16_sdwa s[2:3], v8, s30 src0_sel:BYTE_0 src1_sel:DWORD
	v_bfrev_b32_e32 v33, 1
	s_and_saveexec_b64 s[20:21], s[2:3]
	s_cbranch_execz .LBB288_306
; %bb.303:                              ;   in Loop: Header=BB288_164 Depth=1
	v_bfe_u32 v34, v25, 16, 7
	v_cmp_ne_u32_e64 s[2:3], s31, v34
	v_mov_b32_e32 v33, 0x7fc02000
	s_and_saveexec_b64 s[22:23], s[2:3]
	s_cbranch_execz .LBB288_305
; %bb.304:                              ;   in Loop: Header=BB288_164 Depth=1
	v_and_b32_e32 v33, 7, v8
	v_ffbh_u32_e32 v36, v33
	v_min_u32_e32 v38, 32, v36
	v_subrev_u32_e32 v36, 28, v38
	v_lshlrev_b64 v[36:37], v36, v[8:9]
	v_lshrrev_b32_e32 v35, 3, v34
	v_sub_u32_e32 v37, 29, v38
	v_cmp_gt_u32_e64 s[2:3], 8, v34
	v_cndmask_b32_e64 v34, v35, v37, s[2:3]
	v_and_b32_e32 v36, 7, v36
	v_lshlrev_b32_e32 v8, 8, v8
	v_lshl_add_u32 v34, v34, 10, v5
	v_cndmask_b32_e64 v33, v33, v36, s[2:3]
	v_and_or_b32 v8, v8, s34, v34
	v_lshl_or_b32 v8, v33, 7, v8
	v_cvt_f32_f16_e32 v33, v8
.LBB288_305:                            ;   in Loop: Header=BB288_164 Depth=1
	s_or_b64 exec, exec, s[22:23]
.LBB288_306:                            ;   in Loop: Header=BB288_164 Depth=1
	s_or_b64 exec, exec, s[20:21]
.LBB288_307:                            ;   in Loop: Header=BB288_164 Depth=1
	s_or_b64 exec, exec, s[18:19]
	v_cmp_lt_u64_e64 s[2:3], s[10:11], v[24:25]
	s_and_saveexec_b64 s[18:19], s[2:3]
	s_cbranch_execz .LBB288_313
; %bb.308:                              ;   in Loop: Header=BB288_164 Depth=1
	v_lshrrev_b32_e32 v8, 24, v25
	v_cmp_ne_u32_e64 s[2:3], s30, v8
	v_bfrev_b32_e32 v27, 1
	s_and_saveexec_b64 s[20:21], s[2:3]
	s_cbranch_execz .LBB288_312
; %bb.309:                              ;   in Loop: Header=BB288_164 Depth=1
	v_and_b32_e32 v24, 0x7f, v8
	v_cmp_ne_u32_e64 s[2:3], s31, v24
	v_mov_b32_e32 v27, 0x7fc02000
	s_and_saveexec_b64 s[22:23], s[2:3]
	s_cbranch_execz .LBB288_311
; %bb.310:                              ;   in Loop: Header=BB288_164 Depth=1
	v_and_b32_e32 v25, 7, v8
	v_ffbh_u32_e32 v34, v25
	v_min_u32_e32 v36, 32, v34
	v_subrev_u32_e32 v34, 28, v36
	v_lshlrev_b64 v[34:35], v34, v[8:9]
	v_lshrrev_b32_e32 v27, 3, v24
	v_sub_u32_e32 v35, 29, v36
	v_cmp_gt_u32_e64 s[2:3], 8, v24
	v_cndmask_b32_e64 v24, v27, v35, s[2:3]
	v_and_b32_e32 v34, 7, v34
	v_lshlrev_b32_e32 v8, 8, v8
	v_lshl_add_u32 v24, v24, 10, v5
	v_cndmask_b32_e64 v25, v25, v34, s[2:3]
	v_and_or_b32 v8, v8, s34, v24
	v_lshl_or_b32 v8, v25, 7, v8
	v_cvt_f32_f16_e32 v27, v8
.LBB288_311:                            ;   in Loop: Header=BB288_164 Depth=1
	s_or_b64 exec, exec, s[22:23]
.LBB288_312:                            ;   in Loop: Header=BB288_164 Depth=1
	s_or_b64 exec, exec, s[20:21]
.LBB288_313:                            ;   in Loop: Header=BB288_164 Depth=1
	s_or_b64 exec, exec, s[18:19]
	s_waitcnt vmcnt(0)
	v_pk_mul_f32 v[20:21], v[18:19], v[20:21] op_sel_hi:[0,1]
	v_cvt_f16_f32_e32 v21, v21
	v_cvt_f16_f32_e32 v20, v20
	v_pk_mul_f32 v[22:23], v[18:19], v[22:23] op_sel_hi:[0,1]
	v_cvt_f16_f32_e32 v8, v23
	v_cvt_f16_f32_e32 v22, v22
	v_pack_b32_f16 v20, v20, v21
	v_fma_mixlo_f16 v21, v18, v26, 0
	v_lshlrev_b32_e32 v21, 16, v21
	v_fma_mixlo_f16 v19, v18, v19, 0
	v_or_b32_sdwa v19, v21, v19 dst_sel:DWORD dst_unused:UNUSED_PAD src0_sel:DWORD src1_sel:WORD_0
	v_fma_mixlo_f16 v21, v18, v33, 0
	v_fma_mixlo_f16 v18, v18, v27, 0
	v_pack_b32_f16 v22, v22, v8
	v_lshlrev_b32_e32 v18, 16, v18
	v_perm_b32 v8, v20, v22, s36
	v_perm_b32 v20, v20, v22, s37
	v_or_b32_sdwa v18, v18, v21 dst_sel:DWORD dst_unused:UNUSED_PAD src0_sel:DWORD src1_sel:WORD_0
	s_and_saveexec_b64 s[2:3], s[0:1]
	s_cbranch_execz .LBB288_162
; %bb.314:                              ;   in Loop: Header=BB288_164 Depth=1
	v_add_u32_e32 v22, 1, v30
	v_lshrrev_b32_e32 v23, 16, v20
	v_cmp_gt_i32_e64 s[0:1], s28, v22
	v_cndmask_b32_e64 v22, 0, v23, s[0:1]
	v_cmp_gt_i32_e64 s[0:1], s29, v30
	v_cndmask_b32_e64 v20, 0, v20, s[0:1]
	v_perm_b32 v20, v22, v20, s38
	v_or_b32_e32 v22, 3, v30
	v_or_b32_e32 v23, 2, v30
	v_lshrrev_b32_e32 v24, 16, v8
	v_cmp_gt_i32_e64 s[0:1], s28, v22
	v_cndmask_b32_e64 v22, 0, v24, s[0:1]
	v_cmp_gt_i32_e64 s[0:1], s29, v23
	v_cndmask_b32_e64 v8, 0, v8, s[0:1]
	v_perm_b32 v8, v22, v8, s38
	v_or_b32_e32 v22, 5, v30
	v_or_b32_e32 v23, 4, v30
	;; [unrolled: 8-line block ×3, first 2 shown]
	v_lshrrev_b32_e32 v18, 16, v18
	v_cmp_gt_i32_e64 s[0:1], s28, v22
	v_cndmask_b32_e64 v18, 0, v18, s[0:1]
	v_cmp_gt_i32_e64 s[0:1], s29, v23
	v_cndmask_b32_e64 v21, 0, v21, s[0:1]
	v_perm_b32 v18, v18, v21, s38
	s_branch .LBB288_162
.LBB288_315:
	s_or_b64 exec, exec, s[12:13]
.LBB288_316:
	s_or_b64 exec, exec, s[6:7]
	ds_bpermute_b32 v4, v1, v12
	ds_bpermute_b32 v5, v1, v13
	ds_bpermute_b32 v1, v1, v2
	s_waitcnt lgkmcnt(0)
	s_barrier
	v_pk_add_f32 v[4:5], v[12:13], v[4:5]
	v_add_f32_e32 v1, v2, v1
	v_and_b32_e32 v2, 0x3c0, v0
	v_cmp_eq_u32_e32 vcc, 64, v2
	s_and_saveexec_b64 s[2:3], vcc
	s_cbranch_execz .LBB288_321
; %bb.317:
	v_cmp_eq_u32_e32 vcc, 0, v3
	s_and_saveexec_b64 s[0:1], vcc
	s_cbranch_execz .LBB288_319
; %bb.318:
	v_mov_b32_e32 v2, 0xb0
	v_lshl_add_u32 v2, v11, 2, v2
	ds_write2_b32 v2, v4, v5 offset1:32
.LBB288_319:
	s_or_b64 exec, exec, s[0:1]
	v_or_b32_e32 v2, 64, v11
	s_movk_i32 s0, 0x50
	v_cmp_gt_u32_e64 s[0:1], s0, v2
	s_and_b64 s[0:1], vcc, s[0:1]
	s_and_b64 exec, exec, s[0:1]
	s_cbranch_execz .LBB288_321
; %bb.320:
	v_mov_b32_e32 v2, 0xb0
	v_lshl_add_u32 v2, v11, 2, v2
	ds_write_b32 v2, v1 offset:256
.LBB288_321:
	s_or_b64 exec, exec, s[2:3]
	v_cmp_gt_u32_e32 vcc, 64, v0
	v_lshrrev_b32_e32 v0, 1, v0
	s_waitcnt lgkmcnt(0)
	s_barrier
	s_and_saveexec_b64 s[6:7], vcc
	s_cbranch_execz .LBB288_329
; %bb.322:
	v_cmp_eq_u32_e64 s[0:1], 0, v3
	s_and_saveexec_b64 s[2:3], s[0:1]
	s_cbranch_execz .LBB288_324
; %bb.323:
	v_mov_b32_e32 v2, 0xb0
	v_lshl_add_u32 v2, v0, 2, v2
	ds_read_b32 v2, v2
	s_waitcnt lgkmcnt(0)
	v_add_f32_e32 v4, v4, v2
.LBB288_324:
	s_or_b64 exec, exec, s[2:3]
	s_and_saveexec_b64 s[2:3], s[0:1]
	s_cbranch_execz .LBB288_326
; %bb.325:
	v_mov_b32_e32 v2, 0xb0
	v_lshl_add_u32 v2, v0, 2, v2
	ds_read_b32 v2, v2 offset:128
	s_waitcnt lgkmcnt(0)
	v_add_f32_e32 v5, v5, v2
.LBB288_326:
	s_or_b64 exec, exec, s[2:3]
	v_or_b32_e32 v2, 64, v0
	s_movk_i32 s2, 0x50
	v_cmp_gt_u32_e64 s[2:3], s2, v2
	s_and_b64 s[2:3], s[0:1], s[2:3]
	s_and_saveexec_b64 s[0:1], s[2:3]
	s_cbranch_execz .LBB288_328
; %bb.327:
	v_mov_b32_e32 v2, 0xb0
	v_lshl_add_u32 v2, v0, 2, v2
	ds_read_b32 v2, v2 offset:256
	s_waitcnt lgkmcnt(0)
	v_add_f32_e32 v1, v1, v2
.LBB288_328:
	s_or_b64 exec, exec, s[0:1]
.LBB288_329:
	s_or_b64 exec, exec, s[6:7]
	s_barrier
	s_and_saveexec_b64 s[0:1], vcc
	s_cbranch_execz .LBB288_334
; %bb.330:
	s_mul_i32 s0, s4, 0x50
	s_ashr_i32 s1, s0, 31
	s_lshl_b64 s[0:1], s[0:1], 1
	s_add_u32 s2, s26, s0
	s_mul_i32 s0, s25, s24
	s_addc_u32 s3, s27, s1
	s_ashr_i32 s1, s0, 31
	s_lshl_b64 s[0:1], s[0:1], 1
	s_add_u32 s2, s2, s0
	s_mul_i32 s0, s8, 0x50
	s_addc_u32 s3, s3, s1
	s_ashr_i32 s1, s0, 31
	s_lshl_b64 s[0:1], s[0:1], 1
	s_add_u32 s2, s2, s0
	s_movk_i32 s5, 0x50
	s_addc_u32 s3, s3, s1
	v_cmp_eq_u32_e32 vcc, 0, v3
	v_lshlrev_b32_e32 v2, 1, v0
	s_and_saveexec_b64 s[0:1], vcc
	s_cbranch_execz .LBB288_332
; %bb.331:
	;;#ASMSTART
	v_cvt_f16_f32 v3, v4;

	;;#ASMEND
	global_store_short v2, v3, s[2:3]
	;;#ASMSTART
	v_cvt_f16_f32 v3, v5;

	;;#ASMEND
	global_store_short v2, v3, s[2:3] offset:64
.LBB288_332:
	s_or_b64 exec, exec, s[0:1]
	v_or_b32_e32 v0, 64, v0
	v_cmp_gt_u32_e64 s[0:1], s5, v0
	s_and_b64 s[0:1], vcc, s[0:1]
	s_and_b64 exec, exec, s[0:1]
	s_cbranch_execz .LBB288_334
; %bb.333:
	;;#ASMSTART
	v_cvt_f16_f32 v0, v1;

	;;#ASMEND
	global_store_short v2, v0, s[2:3] offset:128
.LBB288_334:
	s_endpgm
	.section	.rodata,"a",@progbits
	.p2align	6, 0x0
	.amdhsa_kernel _ZN4vllm25paged_attention_v2_kernelIthLi80ELi16ELi128ELNS_18Fp8KVCacheDataTypeE1ELb0ELi512EEEvPfS2_PT_PKS3_PKT0_S9_ifPKiSB_iPKfiiiSD_SD_iiiii
		.amdhsa_group_segment_fixed_size 176
		.amdhsa_private_segment_fixed_size 0
		.amdhsa_kernarg_size 400
		.amdhsa_user_sgpr_count 6
		.amdhsa_user_sgpr_private_segment_buffer 1
		.amdhsa_user_sgpr_dispatch_ptr 0
		.amdhsa_user_sgpr_queue_ptr 0
		.amdhsa_user_sgpr_kernarg_segment_ptr 1
		.amdhsa_user_sgpr_dispatch_id 0
		.amdhsa_user_sgpr_flat_scratch_init 0
		.amdhsa_user_sgpr_kernarg_preload_length 0
		.amdhsa_user_sgpr_kernarg_preload_offset 0
		.amdhsa_user_sgpr_private_segment_size 0
		.amdhsa_uses_dynamic_stack 0
		.amdhsa_system_sgpr_private_segment_wavefront_offset 0
		.amdhsa_system_sgpr_workgroup_id_x 1
		.amdhsa_system_sgpr_workgroup_id_y 1
		.amdhsa_system_sgpr_workgroup_id_z 1
		.amdhsa_system_sgpr_workgroup_info 0
		.amdhsa_system_vgpr_workitem_id 0
		.amdhsa_next_free_vgpr 50
		.amdhsa_next_free_sgpr 53
		.amdhsa_accum_offset 52
		.amdhsa_reserve_vcc 1
		.amdhsa_reserve_flat_scratch 0
		.amdhsa_float_round_mode_32 0
		.amdhsa_float_round_mode_16_64 0
		.amdhsa_float_denorm_mode_32 3
		.amdhsa_float_denorm_mode_16_64 3
		.amdhsa_dx10_clamp 1
		.amdhsa_ieee_mode 1
		.amdhsa_fp16_overflow 0
		.amdhsa_tg_split 0
		.amdhsa_exception_fp_ieee_invalid_op 0
		.amdhsa_exception_fp_denorm_src 0
		.amdhsa_exception_fp_ieee_div_zero 0
		.amdhsa_exception_fp_ieee_overflow 0
		.amdhsa_exception_fp_ieee_underflow 0
		.amdhsa_exception_fp_ieee_inexact 0
		.amdhsa_exception_int_div_zero 0
	.end_amdhsa_kernel
	.section	.text._ZN4vllm25paged_attention_v2_kernelIthLi80ELi16ELi128ELNS_18Fp8KVCacheDataTypeE1ELb0ELi512EEEvPfS2_PT_PKS3_PKT0_S9_ifPKiSB_iPKfiiiSD_SD_iiiii,"axG",@progbits,_ZN4vllm25paged_attention_v2_kernelIthLi80ELi16ELi128ELNS_18Fp8KVCacheDataTypeE1ELb0ELi512EEEvPfS2_PT_PKS3_PKT0_S9_ifPKiSB_iPKfiiiSD_SD_iiiii,comdat
.Lfunc_end288:
	.size	_ZN4vllm25paged_attention_v2_kernelIthLi80ELi16ELi128ELNS_18Fp8KVCacheDataTypeE1ELb0ELi512EEEvPfS2_PT_PKS3_PKT0_S9_ifPKiSB_iPKfiiiSD_SD_iiiii, .Lfunc_end288-_ZN4vllm25paged_attention_v2_kernelIthLi80ELi16ELi128ELNS_18Fp8KVCacheDataTypeE1ELb0ELi512EEEvPfS2_PT_PKS3_PKT0_S9_ifPKiSB_iPKfiiiSD_SD_iiiii
                                        ; -- End function
	.section	.AMDGPU.csdata,"",@progbits
; Kernel info:
; codeLenInByte = 14056
; NumSgprs: 57
; NumVgprs: 50
; NumAgprs: 0
; TotalNumVgprs: 50
; ScratchSize: 0
; MemoryBound: 0
; FloatMode: 240
; IeeeMode: 1
; LDSByteSize: 176 bytes/workgroup (compile time only)
; SGPRBlocks: 7
; VGPRBlocks: 6
; NumSGPRsForWavesPerEU: 57
; NumVGPRsForWavesPerEU: 50
; AccumOffset: 52
; Occupancy: 8
; WaveLimiterHint : 1
; COMPUTE_PGM_RSRC2:SCRATCH_EN: 0
; COMPUTE_PGM_RSRC2:USER_SGPR: 6
; COMPUTE_PGM_RSRC2:TRAP_HANDLER: 0
; COMPUTE_PGM_RSRC2:TGID_X_EN: 1
; COMPUTE_PGM_RSRC2:TGID_Y_EN: 1
; COMPUTE_PGM_RSRC2:TGID_Z_EN: 1
; COMPUTE_PGM_RSRC2:TIDIG_COMP_CNT: 0
; COMPUTE_PGM_RSRC3_GFX90A:ACCUM_OFFSET: 12
; COMPUTE_PGM_RSRC3_GFX90A:TG_SPLIT: 0
	.section	.text._ZN4vllm25paged_attention_v2_kernelIthLi96ELi16ELi128ELNS_18Fp8KVCacheDataTypeE1ELb0ELi512EEEvPfS2_PT_PKS3_PKT0_S9_ifPKiSB_iPKfiiiSD_SD_iiiii,"axG",@progbits,_ZN4vllm25paged_attention_v2_kernelIthLi96ELi16ELi128ELNS_18Fp8KVCacheDataTypeE1ELb0ELi512EEEvPfS2_PT_PKS3_PKT0_S9_ifPKiSB_iPKfiiiSD_SD_iiiii,comdat
	.protected	_ZN4vllm25paged_attention_v2_kernelIthLi96ELi16ELi128ELNS_18Fp8KVCacheDataTypeE1ELb0ELi512EEEvPfS2_PT_PKS3_PKT0_S9_ifPKiSB_iPKfiiiSD_SD_iiiii ; -- Begin function _ZN4vllm25paged_attention_v2_kernelIthLi96ELi16ELi128ELNS_18Fp8KVCacheDataTypeE1ELb0ELi512EEEvPfS2_PT_PKS3_PKT0_S9_ifPKiSB_iPKfiiiSD_SD_iiiii
	.globl	_ZN4vllm25paged_attention_v2_kernelIthLi96ELi16ELi128ELNS_18Fp8KVCacheDataTypeE1ELb0ELi512EEEvPfS2_PT_PKS3_PKT0_S9_ifPKiSB_iPKfiiiSD_SD_iiiii
	.p2align	8
	.type	_ZN4vllm25paged_attention_v2_kernelIthLi96ELi16ELi128ELNS_18Fp8KVCacheDataTypeE1ELb0ELi512EEEvPfS2_PT_PKS3_PKT0_S9_ifPKiSB_iPKfiiiSD_SD_iiiii,@function
_ZN4vllm25paged_attention_v2_kernelIthLi96ELi16ELi128ELNS_18Fp8KVCacheDataTypeE1ELb0ELi512EEEvPfS2_PT_PKS3_PKT0_S9_ifPKiSB_iPKfiiiSD_SD_iiiii: ; @_ZN4vllm25paged_attention_v2_kernelIthLi96ELi16ELi128ELNS_18Fp8KVCacheDataTypeE1ELb0ELi512EEEvPfS2_PT_PKS3_PKT0_S9_ifPKiSB_iPKfiiiSD_SD_iiiii
; %bb.0:
	s_load_dwordx2 s[0:1], s[4:5], 0x40
	s_mov_b32 s28, s7
	s_ashr_i32 s29, s7, 31
	s_lshl_b64 s[2:3], s[28:29], 2
	s_waitcnt lgkmcnt(0)
	s_add_u32 s0, s0, s2
	s_addc_u32 s1, s1, s3
	s_load_dword s29, s[0:1], 0x0
	s_lshl_b32 s46, s8, 9
	s_waitcnt lgkmcnt(0)
	s_cmp_ge_i32 s46, s29
	s_cbranch_scc1 .LBB289_348
; %bb.1:
	s_load_dword s9, s[4:5], 0x90
	s_load_dwordx2 s[10:11], s[4:5], 0x30
	s_mov_b32 s47, 0
	s_waitcnt lgkmcnt(0)
	s_abs_i32 s2, s9
	s_abs_i32 s0, s10
	v_cvt_f32_u32_e32 v1, s0
	s_sub_i32 s3, 0, s0
	s_xor_b32 s1, s9, s10
	s_ashr_i32 s1, s1, 31
	v_rcp_iflag_f32_e32 v1, v1
	v_mul_f32_e32 v1, 0x4f7ffffe, v1
	v_cvt_u32_f32_e32 v1, v1
	v_readfirstlane_b32 s7, v1
	s_mul_i32 s3, s3, s7
	s_mul_hi_u32 s3, s7, s3
	s_add_i32 s7, s7, s3
	s_mul_hi_u32 s3, s2, s7
	s_mul_i32 s7, s3, s0
	s_sub_i32 s2, s2, s7
	s_add_i32 s10, s3, 1
	s_sub_i32 s7, s2, s0
	s_cmp_ge_u32 s2, s0
	s_cselect_b32 s3, s10, s3
	s_cselect_b32 s2, s7, s2
	s_add_i32 s7, s3, 1
	s_cmp_ge_u32 s2, s0
	s_cselect_b32 s0, s7, s3
	s_xor_b32 s0, s0, s1
	s_sub_i32 s10, s0, s1
	s_abs_i32 s2, s10
	v_cvt_f32_u32_e32 v1, s2
	s_load_dwordx2 s[0:1], s[4:5], 0x50
	s_sub_i32 s7, 0, s2
	s_abs_i32 s3, s6
	v_rcp_iflag_f32_e32 v1, v1
	v_mul_f32_e32 v1, 0x4f7ffffe, v1
	v_cvt_u32_f32_e32 v1, v1
	v_readfirstlane_b32 s12, v1
	s_mul_i32 s7, s7, s12
	s_mul_hi_u32 s7, s12, s7
	s_add_i32 s12, s12, s7
	s_waitcnt lgkmcnt(0)
	s_cmp_eq_u64 s[0:1], 0
	s_mul_hi_u32 s12, s3, s12
	s_cbranch_scc1 .LBB289_3
; %bb.2:
	s_ashr_i32 s7, s6, 31
	s_lshl_b64 s[14:15], s[6:7], 2
	s_add_u32 s0, s0, s14
	s_addc_u32 s1, s1, s15
	s_load_dword s47, s[0:1], 0x0
.LBB289_3:
	s_load_dwordx4 s[16:19], s[4:5], 0x58
	s_ashr_i32 s7, s6, 31
	s_ashr_i32 s13, s10, 31
	v_and_b32_e32 v8, 3, v0
	s_mul_i32 s24, s6, 0x60
	v_cmp_gt_u32_e32 vcc, 48, v0
	s_and_saveexec_b64 s[0:1], vcc
	s_cbranch_execz .LBB289_5
; %bb.4:
	s_load_dwordx2 s[14:15], s[4:5], 0x18
	s_waitcnt lgkmcnt(0)
	s_mul_i32 s20, s28, s16
	s_ashr_i32 s21, s20, 31
	s_lshl_b64 s[20:21], s[20:21], 1
	v_lshlrev_b32_e32 v1, 2, v0
	s_add_u32 s10, s14, s20
	s_addc_u32 s16, s15, s21
	s_ashr_i32 s25, s24, 31
	s_lshl_b64 s[14:15], s[24:25], 1
	s_add_u32 s14, s10, s14
	s_addc_u32 s15, s16, s15
	global_load_dword v1, v1, s[14:15]
	v_and_b32_e32 v2, 0x3fc, v0
	v_mad_u32_u24 v2, v8, 48, v2
	s_waitcnt vmcnt(0)
	ds_write_b32 v2, v1
.LBB289_5:
	s_or_b64 exec, exec, s[0:1]
	s_add_i32 s0, s29, 15
	s_ashr_i32 s1, s0, 31
	s_lshr_b32 s1, s1, 28
	s_add_i32 s0, s0, s1
	s_lshl_b32 s10, s8, 5
	s_mul_i32 s1, s12, s2
	s_waitcnt lgkmcnt(0)
	s_ashr_i32 s16, s0, 4
	s_add_i32 s0, s10, 32
	s_sub_i32 s1, s3, s1
	s_min_i32 s33, s0, s16
	s_xor_b32 s0, s7, s13
	s_add_i32 s3, s12, 1
	s_sub_i32 s7, s1, s2
	s_cmp_ge_u32 s1, s2
	s_cselect_b32 s3, s3, s12
	s_cselect_b32 s1, s7, s1
	s_add_i32 s7, s3, 1
	s_cmp_ge_u32 s1, s2
	s_load_dwordx2 s[30:31], s[4:5], 0x38
	s_load_dword s2, s[4:5], 0x48
	v_lshrrev_b32_e32 v1, 6, v0
	s_cselect_b32 s1, s7, s3
	s_xor_b32 s1, s1, s0
	v_or_b32_e32 v2, s10, v1
	s_waitcnt lgkmcnt(0)
	s_mul_i32 s34, s28, s2
	s_sub_i32 s7, s1, s0
	s_ashr_i32 s35, s34, 31
	v_cmp_gt_i32_e64 s[0:1], s33, v2
	v_cmp_le_i32_e32 vcc, s33, v2
	v_mbcnt_lo_u32_b32 v11, -1, 0
	s_barrier
	s_waitcnt lgkmcnt(0)
                                        ; implicit-def: $sgpr19
                                        ; implicit-def: $vgpr7
                                        ; implicit-def: $vgpr10
	s_and_saveexec_b64 s[2:3], vcc
	s_xor_b64 s[2:3], exec, s[2:3]
; %bb.6:
	v_mbcnt_hi_u32_b32 v7, -1, v11
	v_and_b32_e32 v3, 64, v7
	v_add_u32_e32 v10, 64, v3
	s_mov_b32 s19, 0xff7fffff
                                        ; implicit-def: $vgpr8
                                        ; implicit-def: $vgpr11
; %bb.7:
	s_or_saveexec_b64 s[38:39], s[2:3]
	s_load_dwordx4 s[20:23], s[4:5], 0x0
	s_load_dwordx2 s[26:27], s[4:5], 0x10
	s_load_dword s25, s[4:5], 0x98
	s_load_dwordx2 s[36:37], s[4:5], 0x28
	s_load_dwordx4 s[12:15], s[4:5], 0x68
	v_mov_b32_e32 v14, s19
	s_mul_i32 s7, s7, s18
	v_ashrrev_i32_e32 v3, 31, v2
	v_lshlrev_b32_e32 v13, 4, v1
	s_xor_b64 exec, exec, s[38:39]
	s_cbranch_execz .LBB289_157
; %bb.8:
	s_load_dwordx2 s[2:3], s[4:5], 0x20
	s_ashr_i32 s4, s7, 31
	v_bfe_u32 v7, v0, 2, 4
	v_lshlrev_b32_e32 v4, 4, v7
	v_add3_u32 v17, s46, v13, v7
	s_waitcnt lgkmcnt(0)
	s_add_u32 s2, s2, s7
	s_addc_u32 s3, s3, s4
	v_mov_b32_e32 v5, s3
	v_add_co_u32_e32 v4, vcc, s2, v4
	s_sub_i32 s49, 1, s29
	s_lshl_b64 s[4:5], s[34:35], 2
	v_addc_co_u32_e32 v5, vcc, 0, v5, vcc
	v_lshlrev_b32_e32 v7, 2, v7
	s_add_u32 s4, s30, s4
	v_lshlrev_b32_e32 v6, 1, v8
	v_mul_u32_u24_e32 v16, 48, v8
	v_cmp_eq_u32_e32 vcc, 0, v8
	v_lshl_or_b32 v7, v1, 6, v7
	v_lshlrev_b64 v[8:9], 2, v[2:3]
	s_addc_u32 s5, s31, s5
	v_add_u32_e32 v18, 0xd0, v7
	v_mov_b32_e32 v7, s5
	v_add_co_u32_e64 v8, s[4:5], s4, v8
	s_mov_b32 s48, s17
	v_mov_b32_e32 v15, 0
	v_cmp_neq_f32_e64 s[2:3], s47, 0
	v_addc_co_u32_e64 v9, s[4:5], v7, v9, s[4:5]
	s_mov_b64 s[18:19], 0
	v_mov_b32_e32 v14, 0xff7fffff
	s_movk_i32 s50, 0x80
	s_movk_i32 s51, 0x7f
	s_mov_b32 s52, 0x8000
	v_mbcnt_hi_u32_b32 v7, -1, v11
	v_mov_b32_e32 v19, 0x2000
	v_mov_b32_e32 v20, v2
	s_branch .LBB289_10
.LBB289_9:                              ;   in Loop: Header=BB289_10 Depth=1
	s_or_b64 exec, exec, s[40:41]
	v_add_u32_e32 v20, 2, v20
	v_cmp_le_i32_e64 s[4:5], s33, v20
	s_or_b64 s[18:19], s[4:5], s[18:19]
	v_add_co_u32_e64 v8, s[4:5], 8, v8
	v_add_u32_e32 v17, 32, v17
	v_add_u32_e32 v18, 0x80, v18
	v_addc_co_u32_e64 v9, s[4:5], 0, v9, s[4:5]
	s_andn2_b64 exec, exec, s[18:19]
	s_cbranch_execz .LBB289_156
.LBB289_10:                             ; =>This Inner Loop Header: Depth=1
	global_load_dword v10, v[8:9], off
	s_waitcnt vmcnt(0)
	v_mad_i64_i32 v[10:11], s[4:5], v10, s48, v[4:5]
	v_add_co_u32_e64 v10, s[4:5], v10, v6
	v_addc_co_u32_e64 v11, s[4:5], 0, v11, s[4:5]
	global_load_ushort v22, v[10:11], off
	global_load_dword v21, v15, s[12:13]
	s_waitcnt vmcnt(1) lgkmcnt(0)
	v_and_b32_e32 v12, 0xffff, v22
	v_cmp_ne_u16_sdwa s[4:5], v22, v15 src0_sel:BYTE_0 src1_sel:DWORD
	v_mov_b32_e32 v22, 0
	s_and_saveexec_b64 s[40:41], s[4:5]
	s_cbranch_execz .LBB289_16
; %bb.11:                               ;   in Loop: Header=BB289_10 Depth=1
	v_cmp_ne_u16_sdwa s[4:5], v12, s50 src0_sel:BYTE_0 src1_sel:DWORD
	v_bfrev_b32_e32 v22, 1
	s_and_saveexec_b64 s[42:43], s[4:5]
	s_cbranch_execz .LBB289_15
; %bb.12:                               ;   in Loop: Header=BB289_10 Depth=1
	v_and_b32_e32 v23, 0x7f, v12
	v_cmp_ne_u32_e64 s[4:5], s51, v23
	v_mov_b32_e32 v22, 0x7fc02000
	s_and_saveexec_b64 s[44:45], s[4:5]
	s_cbranch_execz .LBB289_14
; %bb.13:                               ;   in Loop: Header=BB289_10 Depth=1
	v_and_b32_e32 v22, 7, v12
	v_ffbh_u32_e32 v24, v22
	v_min_u32_e32 v27, 32, v24
	v_subrev_u32_e32 v24, 28, v27
	v_lshlrev_b64 v[24:25], v24, v[12:13]
	v_lshrrev_b32_e32 v26, 3, v23
	v_sub_u32_e32 v25, 29, v27
	v_cmp_gt_u32_e64 s[4:5], 8, v23
	v_and_b32_e32 v24, 7, v24
	v_cndmask_b32_e64 v23, v26, v25, s[4:5]
	v_cndmask_b32_e64 v22, v22, v24, s[4:5]
	v_lshlrev_b32_e32 v24, 8, v12
	v_lshl_add_u32 v23, v23, 10, v19
	v_and_or_b32 v23, v24, s52, v23
	v_lshl_or_b32 v22, v22, 7, v23
	v_cvt_f32_f16_e32 v22, v22
.LBB289_14:                             ;   in Loop: Header=BB289_10 Depth=1
	s_or_b64 exec, exec, s[44:45]
.LBB289_15:                             ;   in Loop: Header=BB289_10 Depth=1
	s_or_b64 exec, exec, s[42:43]
.LBB289_16:                             ;   in Loop: Header=BB289_10 Depth=1
	s_or_b64 exec, exec, s[40:41]
	v_lshrrev_b16_e32 v12, 8, v12
	v_cmp_ne_u16_e64 s[4:5], 0, v12
	v_mov_b32_e32 v23, 0
	v_mov_b32_e32 v24, 0
	s_and_saveexec_b64 s[40:41], s[4:5]
	s_cbranch_execz .LBB289_22
; %bb.17:                               ;   in Loop: Header=BB289_10 Depth=1
	v_cmp_ne_u16_e64 s[4:5], s50, v12
	v_bfrev_b32_e32 v24, 1
	s_and_saveexec_b64 s[42:43], s[4:5]
	s_cbranch_execz .LBB289_21
; %bb.18:                               ;   in Loop: Header=BB289_10 Depth=1
	v_and_b32_e32 v25, 0x7f, v12
	v_cmp_ne_u32_e64 s[4:5], s51, v25
	v_mov_b32_e32 v24, 0x7fc02000
	s_and_saveexec_b64 s[44:45], s[4:5]
	s_cbranch_execz .LBB289_20
; %bb.19:                               ;   in Loop: Header=BB289_10 Depth=1
	v_and_b32_e32 v24, 7, v12
	v_ffbh_u32_e32 v26, v24
	v_min_u32_e32 v29, 32, v26
	v_subrev_u32_e32 v26, 28, v29
	v_lshlrev_b64 v[26:27], v26, v[12:13]
	v_lshrrev_b32_e32 v28, 3, v25
	v_sub_u32_e32 v27, 29, v29
	v_cmp_gt_u32_e64 s[4:5], 8, v25
	v_cndmask_b32_e64 v25, v28, v27, s[4:5]
	v_and_b32_e32 v26, 7, v26
	v_lshlrev_b32_e32 v12, 8, v12
	v_lshl_add_u32 v25, v25, 10, v19
	v_cndmask_b32_e64 v24, v24, v26, s[4:5]
	v_and_or_b32 v12, v12, s52, v25
	v_lshl_or_b32 v12, v24, 7, v12
	v_cvt_f32_f16_e32 v24, v12
.LBB289_20:                             ;   in Loop: Header=BB289_10 Depth=1
	s_or_b64 exec, exec, s[44:45]
.LBB289_21:                             ;   in Loop: Header=BB289_10 Depth=1
	s_or_b64 exec, exec, s[42:43]
.LBB289_22:                             ;   in Loop: Header=BB289_10 Depth=1
	s_or_b64 exec, exec, s[40:41]
	global_load_ushort v25, v[10:11], off offset:8
	s_waitcnt vmcnt(0)
	v_and_b32_e32 v12, 0xffff, v25
	v_cmp_ne_u16_sdwa s[4:5], v25, v15 src0_sel:BYTE_0 src1_sel:DWORD
	s_and_saveexec_b64 s[40:41], s[4:5]
	s_cbranch_execz .LBB289_28
; %bb.23:                               ;   in Loop: Header=BB289_10 Depth=1
	v_cmp_ne_u16_sdwa s[4:5], v12, s50 src0_sel:BYTE_0 src1_sel:DWORD
	v_bfrev_b32_e32 v23, 1
	s_and_saveexec_b64 s[42:43], s[4:5]
	s_cbranch_execz .LBB289_27
; %bb.24:                               ;   in Loop: Header=BB289_10 Depth=1
	v_and_b32_e32 v25, 0x7f, v12
	v_cmp_ne_u32_e64 s[4:5], s51, v25
	v_mov_b32_e32 v23, 0x7fc02000
	s_and_saveexec_b64 s[44:45], s[4:5]
	s_cbranch_execz .LBB289_26
; %bb.25:                               ;   in Loop: Header=BB289_10 Depth=1
	v_and_b32_e32 v23, 7, v12
	v_ffbh_u32_e32 v26, v23
	v_min_u32_e32 v29, 32, v26
	v_subrev_u32_e32 v26, 28, v29
	v_lshlrev_b64 v[26:27], v26, v[12:13]
	v_lshrrev_b32_e32 v28, 3, v25
	v_sub_u32_e32 v27, 29, v29
	v_cmp_gt_u32_e64 s[4:5], 8, v25
	v_and_b32_e32 v26, 7, v26
	v_cndmask_b32_e64 v25, v28, v27, s[4:5]
	v_cndmask_b32_e64 v23, v23, v26, s[4:5]
	v_lshlrev_b32_e32 v26, 8, v12
	v_lshl_add_u32 v25, v25, 10, v19
	v_and_or_b32 v25, v26, s52, v25
	v_lshl_or_b32 v23, v23, 7, v25
	v_cvt_f32_f16_e32 v23, v23
.LBB289_26:                             ;   in Loop: Header=BB289_10 Depth=1
	s_or_b64 exec, exec, s[44:45]
.LBB289_27:                             ;   in Loop: Header=BB289_10 Depth=1
	s_or_b64 exec, exec, s[42:43]
.LBB289_28:                             ;   in Loop: Header=BB289_10 Depth=1
	s_or_b64 exec, exec, s[40:41]
	v_lshrrev_b16_e32 v12, 8, v12
	v_cmp_ne_u16_e64 s[4:5], 0, v12
	v_mov_b32_e32 v25, 0
	v_mov_b32_e32 v26, 0
	s_and_saveexec_b64 s[40:41], s[4:5]
	s_cbranch_execz .LBB289_34
; %bb.29:                               ;   in Loop: Header=BB289_10 Depth=1
	v_cmp_ne_u16_e64 s[4:5], s50, v12
	v_bfrev_b32_e32 v26, 1
	s_and_saveexec_b64 s[42:43], s[4:5]
	s_cbranch_execz .LBB289_33
; %bb.30:                               ;   in Loop: Header=BB289_10 Depth=1
	v_and_b32_e32 v27, 0x7f, v12
	v_cmp_ne_u32_e64 s[4:5], s51, v27
	v_mov_b32_e32 v26, 0x7fc02000
	s_and_saveexec_b64 s[44:45], s[4:5]
	s_cbranch_execz .LBB289_32
; %bb.31:                               ;   in Loop: Header=BB289_10 Depth=1
	v_and_b32_e32 v26, 7, v12
	v_ffbh_u32_e32 v28, v26
	v_min_u32_e32 v31, 32, v28
	v_subrev_u32_e32 v28, 28, v31
	v_lshlrev_b64 v[28:29], v28, v[12:13]
	v_lshrrev_b32_e32 v30, 3, v27
	v_sub_u32_e32 v29, 29, v31
	v_cmp_gt_u32_e64 s[4:5], 8, v27
	v_cndmask_b32_e64 v27, v30, v29, s[4:5]
	v_and_b32_e32 v28, 7, v28
	v_lshlrev_b32_e32 v12, 8, v12
	v_lshl_add_u32 v27, v27, 10, v19
	v_cndmask_b32_e64 v26, v26, v28, s[4:5]
	v_and_or_b32 v12, v12, s52, v27
	v_lshl_or_b32 v12, v26, 7, v12
	v_cvt_f32_f16_e32 v26, v12
.LBB289_32:                             ;   in Loop: Header=BB289_10 Depth=1
	s_or_b64 exec, exec, s[44:45]
.LBB289_33:                             ;   in Loop: Header=BB289_10 Depth=1
	s_or_b64 exec, exec, s[42:43]
.LBB289_34:                             ;   in Loop: Header=BB289_10 Depth=1
	s_or_b64 exec, exec, s[40:41]
	global_load_ushort v27, v[10:11], off offset:256
	s_waitcnt vmcnt(0)
	v_and_b32_e32 v12, 0xffff, v27
	v_cmp_ne_u16_sdwa s[4:5], v27, v15 src0_sel:BYTE_0 src1_sel:DWORD
	s_and_saveexec_b64 s[40:41], s[4:5]
	s_cbranch_execz .LBB289_40
; %bb.35:                               ;   in Loop: Header=BB289_10 Depth=1
	v_cmp_ne_u16_sdwa s[4:5], v12, s50 src0_sel:BYTE_0 src1_sel:DWORD
	v_bfrev_b32_e32 v25, 1
	s_and_saveexec_b64 s[42:43], s[4:5]
	s_cbranch_execz .LBB289_39
; %bb.36:                               ;   in Loop: Header=BB289_10 Depth=1
	v_and_b32_e32 v27, 0x7f, v12
	v_cmp_ne_u32_e64 s[4:5], s51, v27
	v_mov_b32_e32 v25, 0x7fc02000
	s_and_saveexec_b64 s[44:45], s[4:5]
	s_cbranch_execz .LBB289_38
; %bb.37:                               ;   in Loop: Header=BB289_10 Depth=1
	v_and_b32_e32 v25, 7, v12
	v_ffbh_u32_e32 v28, v25
	v_min_u32_e32 v31, 32, v28
	v_subrev_u32_e32 v28, 28, v31
	v_lshlrev_b64 v[28:29], v28, v[12:13]
	v_lshrrev_b32_e32 v30, 3, v27
	v_sub_u32_e32 v29, 29, v31
	v_cmp_gt_u32_e64 s[4:5], 8, v27
	v_and_b32_e32 v28, 7, v28
	v_cndmask_b32_e64 v27, v30, v29, s[4:5]
	v_cndmask_b32_e64 v25, v25, v28, s[4:5]
	v_lshlrev_b32_e32 v28, 8, v12
	v_lshl_add_u32 v27, v27, 10, v19
	v_and_or_b32 v27, v28, s52, v27
	v_lshl_or_b32 v25, v25, 7, v27
	v_cvt_f32_f16_e32 v25, v25
.LBB289_38:                             ;   in Loop: Header=BB289_10 Depth=1
	s_or_b64 exec, exec, s[44:45]
.LBB289_39:                             ;   in Loop: Header=BB289_10 Depth=1
	s_or_b64 exec, exec, s[42:43]
.LBB289_40:                             ;   in Loop: Header=BB289_10 Depth=1
	s_or_b64 exec, exec, s[40:41]
	v_lshrrev_b16_e32 v12, 8, v12
	v_cmp_ne_u16_e64 s[4:5], 0, v12
	v_mov_b32_e32 v27, 0
	v_mov_b32_e32 v28, 0
	s_and_saveexec_b64 s[40:41], s[4:5]
	s_cbranch_execz .LBB289_46
; %bb.41:                               ;   in Loop: Header=BB289_10 Depth=1
	v_cmp_ne_u16_e64 s[4:5], s50, v12
	v_bfrev_b32_e32 v28, 1
	s_and_saveexec_b64 s[42:43], s[4:5]
	s_cbranch_execz .LBB289_45
; %bb.42:                               ;   in Loop: Header=BB289_10 Depth=1
	v_and_b32_e32 v29, 0x7f, v12
	v_cmp_ne_u32_e64 s[4:5], s51, v29
	v_mov_b32_e32 v28, 0x7fc02000
	s_and_saveexec_b64 s[44:45], s[4:5]
	s_cbranch_execz .LBB289_44
; %bb.43:                               ;   in Loop: Header=BB289_10 Depth=1
	v_and_b32_e32 v28, 7, v12
	v_ffbh_u32_e32 v30, v28
	v_min_u32_e32 v33, 32, v30
	v_subrev_u32_e32 v30, 28, v33
	v_lshlrev_b64 v[30:31], v30, v[12:13]
	v_lshrrev_b32_e32 v32, 3, v29
	v_sub_u32_e32 v31, 29, v33
	v_cmp_gt_u32_e64 s[4:5], 8, v29
	v_cndmask_b32_e64 v29, v32, v31, s[4:5]
	v_and_b32_e32 v30, 7, v30
	v_lshlrev_b32_e32 v12, 8, v12
	v_lshl_add_u32 v29, v29, 10, v19
	v_cndmask_b32_e64 v28, v28, v30, s[4:5]
	v_and_or_b32 v12, v12, s52, v29
	v_lshl_or_b32 v12, v28, 7, v12
	v_cvt_f32_f16_e32 v28, v12
.LBB289_44:                             ;   in Loop: Header=BB289_10 Depth=1
	s_or_b64 exec, exec, s[44:45]
.LBB289_45:                             ;   in Loop: Header=BB289_10 Depth=1
	s_or_b64 exec, exec, s[42:43]
.LBB289_46:                             ;   in Loop: Header=BB289_10 Depth=1
	s_or_b64 exec, exec, s[40:41]
	global_load_ushort v29, v[10:11], off offset:264
	s_waitcnt vmcnt(0)
	v_and_b32_e32 v12, 0xffff, v29
	v_cmp_ne_u16_sdwa s[4:5], v29, v15 src0_sel:BYTE_0 src1_sel:DWORD
	s_and_saveexec_b64 s[40:41], s[4:5]
	s_cbranch_execz .LBB289_52
; %bb.47:                               ;   in Loop: Header=BB289_10 Depth=1
	v_cmp_ne_u16_sdwa s[4:5], v12, s50 src0_sel:BYTE_0 src1_sel:DWORD
	v_bfrev_b32_e32 v27, 1
	s_and_saveexec_b64 s[42:43], s[4:5]
	s_cbranch_execz .LBB289_51
; %bb.48:                               ;   in Loop: Header=BB289_10 Depth=1
	v_and_b32_e32 v29, 0x7f, v12
	v_cmp_ne_u32_e64 s[4:5], s51, v29
	v_mov_b32_e32 v27, 0x7fc02000
	s_and_saveexec_b64 s[44:45], s[4:5]
	s_cbranch_execz .LBB289_50
; %bb.49:                               ;   in Loop: Header=BB289_10 Depth=1
	v_and_b32_e32 v27, 7, v12
	v_ffbh_u32_e32 v30, v27
	v_min_u32_e32 v33, 32, v30
	v_subrev_u32_e32 v30, 28, v33
	v_lshlrev_b64 v[30:31], v30, v[12:13]
	v_lshrrev_b32_e32 v32, 3, v29
	v_sub_u32_e32 v31, 29, v33
	v_cmp_gt_u32_e64 s[4:5], 8, v29
	v_and_b32_e32 v30, 7, v30
	v_cndmask_b32_e64 v29, v32, v31, s[4:5]
	v_cndmask_b32_e64 v27, v27, v30, s[4:5]
	v_lshlrev_b32_e32 v30, 8, v12
	v_lshl_add_u32 v29, v29, 10, v19
	v_and_or_b32 v29, v30, s52, v29
	v_lshl_or_b32 v27, v27, 7, v29
	v_cvt_f32_f16_e32 v27, v27
.LBB289_50:                             ;   in Loop: Header=BB289_10 Depth=1
	s_or_b64 exec, exec, s[44:45]
.LBB289_51:                             ;   in Loop: Header=BB289_10 Depth=1
	s_or_b64 exec, exec, s[42:43]
.LBB289_52:                             ;   in Loop: Header=BB289_10 Depth=1
	s_or_b64 exec, exec, s[40:41]
	v_lshrrev_b16_e32 v12, 8, v12
	v_cmp_ne_u16_e64 s[4:5], 0, v12
	v_mov_b32_e32 v29, 0
	v_mov_b32_e32 v30, 0
	s_and_saveexec_b64 s[40:41], s[4:5]
	s_cbranch_execz .LBB289_58
; %bb.53:                               ;   in Loop: Header=BB289_10 Depth=1
	v_cmp_ne_u16_e64 s[4:5], s50, v12
	v_bfrev_b32_e32 v30, 1
	s_and_saveexec_b64 s[42:43], s[4:5]
	s_cbranch_execz .LBB289_57
; %bb.54:                               ;   in Loop: Header=BB289_10 Depth=1
	v_and_b32_e32 v31, 0x7f, v12
	v_cmp_ne_u32_e64 s[4:5], s51, v31
	v_mov_b32_e32 v30, 0x7fc02000
	s_and_saveexec_b64 s[44:45], s[4:5]
	s_cbranch_execz .LBB289_56
; %bb.55:                               ;   in Loop: Header=BB289_10 Depth=1
	v_and_b32_e32 v30, 7, v12
	v_ffbh_u32_e32 v32, v30
	v_min_u32_e32 v35, 32, v32
	v_subrev_u32_e32 v32, 28, v35
	v_lshlrev_b64 v[32:33], v32, v[12:13]
	v_lshrrev_b32_e32 v34, 3, v31
	v_sub_u32_e32 v33, 29, v35
	v_cmp_gt_u32_e64 s[4:5], 8, v31
	v_cndmask_b32_e64 v31, v34, v33, s[4:5]
	v_and_b32_e32 v32, 7, v32
	v_lshlrev_b32_e32 v12, 8, v12
	v_lshl_add_u32 v31, v31, 10, v19
	v_cndmask_b32_e64 v30, v30, v32, s[4:5]
	v_and_or_b32 v12, v12, s52, v31
	v_lshl_or_b32 v12, v30, 7, v12
	v_cvt_f32_f16_e32 v30, v12
.LBB289_56:                             ;   in Loop: Header=BB289_10 Depth=1
	s_or_b64 exec, exec, s[44:45]
.LBB289_57:                             ;   in Loop: Header=BB289_10 Depth=1
	s_or_b64 exec, exec, s[42:43]
.LBB289_58:                             ;   in Loop: Header=BB289_10 Depth=1
	s_or_b64 exec, exec, s[40:41]
	global_load_ushort v31, v[10:11], off offset:512
	s_waitcnt vmcnt(0)
	v_and_b32_e32 v12, 0xffff, v31
	v_cmp_ne_u16_sdwa s[4:5], v31, v15 src0_sel:BYTE_0 src1_sel:DWORD
	s_and_saveexec_b64 s[40:41], s[4:5]
	s_cbranch_execz .LBB289_64
; %bb.59:                               ;   in Loop: Header=BB289_10 Depth=1
	v_cmp_ne_u16_sdwa s[4:5], v12, s50 src0_sel:BYTE_0 src1_sel:DWORD
	v_bfrev_b32_e32 v29, 1
	s_and_saveexec_b64 s[42:43], s[4:5]
	s_cbranch_execz .LBB289_63
; %bb.60:                               ;   in Loop: Header=BB289_10 Depth=1
	v_and_b32_e32 v31, 0x7f, v12
	v_cmp_ne_u32_e64 s[4:5], s51, v31
	v_mov_b32_e32 v29, 0x7fc02000
	s_and_saveexec_b64 s[44:45], s[4:5]
	s_cbranch_execz .LBB289_62
; %bb.61:                               ;   in Loop: Header=BB289_10 Depth=1
	v_and_b32_e32 v29, 7, v12
	v_ffbh_u32_e32 v32, v29
	v_min_u32_e32 v35, 32, v32
	v_subrev_u32_e32 v32, 28, v35
	v_lshlrev_b64 v[32:33], v32, v[12:13]
	v_lshrrev_b32_e32 v34, 3, v31
	v_sub_u32_e32 v33, 29, v35
	v_cmp_gt_u32_e64 s[4:5], 8, v31
	v_and_b32_e32 v32, 7, v32
	v_cndmask_b32_e64 v31, v34, v33, s[4:5]
	v_cndmask_b32_e64 v29, v29, v32, s[4:5]
	v_lshlrev_b32_e32 v32, 8, v12
	v_lshl_add_u32 v31, v31, 10, v19
	v_and_or_b32 v31, v32, s52, v31
	v_lshl_or_b32 v29, v29, 7, v31
	v_cvt_f32_f16_e32 v29, v29
.LBB289_62:                             ;   in Loop: Header=BB289_10 Depth=1
	s_or_b64 exec, exec, s[44:45]
.LBB289_63:                             ;   in Loop: Header=BB289_10 Depth=1
	s_or_b64 exec, exec, s[42:43]
.LBB289_64:                             ;   in Loop: Header=BB289_10 Depth=1
	s_or_b64 exec, exec, s[40:41]
	v_lshrrev_b16_e32 v12, 8, v12
	v_cmp_ne_u16_e64 s[4:5], 0, v12
	v_mov_b32_e32 v31, 0
	v_mov_b32_e32 v32, 0
	s_and_saveexec_b64 s[40:41], s[4:5]
	s_cbranch_execz .LBB289_70
; %bb.65:                               ;   in Loop: Header=BB289_10 Depth=1
	v_cmp_ne_u16_e64 s[4:5], s50, v12
	v_bfrev_b32_e32 v32, 1
	s_and_saveexec_b64 s[42:43], s[4:5]
	s_cbranch_execz .LBB289_69
; %bb.66:                               ;   in Loop: Header=BB289_10 Depth=1
	v_and_b32_e32 v33, 0x7f, v12
	v_cmp_ne_u32_e64 s[4:5], s51, v33
	v_mov_b32_e32 v32, 0x7fc02000
	s_and_saveexec_b64 s[44:45], s[4:5]
	s_cbranch_execz .LBB289_68
; %bb.67:                               ;   in Loop: Header=BB289_10 Depth=1
	v_and_b32_e32 v32, 7, v12
	v_ffbh_u32_e32 v34, v32
	v_min_u32_e32 v37, 32, v34
	v_subrev_u32_e32 v34, 28, v37
	v_lshlrev_b64 v[34:35], v34, v[12:13]
	v_lshrrev_b32_e32 v36, 3, v33
	v_sub_u32_e32 v35, 29, v37
	v_cmp_gt_u32_e64 s[4:5], 8, v33
	v_cndmask_b32_e64 v33, v36, v35, s[4:5]
	v_and_b32_e32 v34, 7, v34
	v_lshlrev_b32_e32 v12, 8, v12
	v_lshl_add_u32 v33, v33, 10, v19
	v_cndmask_b32_e64 v32, v32, v34, s[4:5]
	v_and_or_b32 v12, v12, s52, v33
	v_lshl_or_b32 v12, v32, 7, v12
	v_cvt_f32_f16_e32 v32, v12
.LBB289_68:                             ;   in Loop: Header=BB289_10 Depth=1
	s_or_b64 exec, exec, s[44:45]
.LBB289_69:                             ;   in Loop: Header=BB289_10 Depth=1
	s_or_b64 exec, exec, s[42:43]
.LBB289_70:                             ;   in Loop: Header=BB289_10 Depth=1
	s_or_b64 exec, exec, s[40:41]
	global_load_ushort v33, v[10:11], off offset:520
	s_waitcnt vmcnt(0)
	v_and_b32_e32 v12, 0xffff, v33
	v_cmp_ne_u16_sdwa s[4:5], v33, v15 src0_sel:BYTE_0 src1_sel:DWORD
	s_and_saveexec_b64 s[40:41], s[4:5]
	s_cbranch_execz .LBB289_76
; %bb.71:                               ;   in Loop: Header=BB289_10 Depth=1
	v_cmp_ne_u16_sdwa s[4:5], v12, s50 src0_sel:BYTE_0 src1_sel:DWORD
	v_bfrev_b32_e32 v31, 1
	s_and_saveexec_b64 s[42:43], s[4:5]
	s_cbranch_execz .LBB289_75
; %bb.72:                               ;   in Loop: Header=BB289_10 Depth=1
	v_and_b32_e32 v33, 0x7f, v12
	v_cmp_ne_u32_e64 s[4:5], s51, v33
	v_mov_b32_e32 v31, 0x7fc02000
	s_and_saveexec_b64 s[44:45], s[4:5]
	s_cbranch_execz .LBB289_74
; %bb.73:                               ;   in Loop: Header=BB289_10 Depth=1
	v_and_b32_e32 v31, 7, v12
	v_ffbh_u32_e32 v34, v31
	v_min_u32_e32 v37, 32, v34
	v_subrev_u32_e32 v34, 28, v37
	v_lshlrev_b64 v[34:35], v34, v[12:13]
	v_lshrrev_b32_e32 v36, 3, v33
	v_sub_u32_e32 v35, 29, v37
	v_cmp_gt_u32_e64 s[4:5], 8, v33
	v_and_b32_e32 v34, 7, v34
	v_cndmask_b32_e64 v33, v36, v35, s[4:5]
	v_cndmask_b32_e64 v31, v31, v34, s[4:5]
	v_lshlrev_b32_e32 v34, 8, v12
	v_lshl_add_u32 v33, v33, 10, v19
	v_and_or_b32 v33, v34, s52, v33
	v_lshl_or_b32 v31, v31, 7, v33
	v_cvt_f32_f16_e32 v31, v31
.LBB289_74:                             ;   in Loop: Header=BB289_10 Depth=1
	s_or_b64 exec, exec, s[44:45]
.LBB289_75:                             ;   in Loop: Header=BB289_10 Depth=1
	s_or_b64 exec, exec, s[42:43]
.LBB289_76:                             ;   in Loop: Header=BB289_10 Depth=1
	s_or_b64 exec, exec, s[40:41]
	v_lshrrev_b16_e32 v12, 8, v12
	v_cmp_ne_u16_e64 s[4:5], 0, v12
	v_mov_b32_e32 v34, 0
	v_mov_b32_e32 v33, 0
	s_and_saveexec_b64 s[40:41], s[4:5]
	s_cbranch_execz .LBB289_82
; %bb.77:                               ;   in Loop: Header=BB289_10 Depth=1
	v_cmp_ne_u16_e64 s[4:5], s50, v12
	v_bfrev_b32_e32 v33, 1
	s_and_saveexec_b64 s[42:43], s[4:5]
	s_cbranch_execz .LBB289_81
; %bb.78:                               ;   in Loop: Header=BB289_10 Depth=1
	v_and_b32_e32 v35, 0x7f, v12
	v_cmp_ne_u32_e64 s[4:5], s51, v35
	v_mov_b32_e32 v33, 0x7fc02000
	s_and_saveexec_b64 s[44:45], s[4:5]
	s_cbranch_execz .LBB289_80
; %bb.79:                               ;   in Loop: Header=BB289_10 Depth=1
	v_and_b32_e32 v33, 7, v12
	v_ffbh_u32_e32 v36, v33
	v_min_u32_e32 v39, 32, v36
	v_subrev_u32_e32 v36, 28, v39
	v_lshlrev_b64 v[36:37], v36, v[12:13]
	v_lshrrev_b32_e32 v38, 3, v35
	v_sub_u32_e32 v37, 29, v39
	v_cmp_gt_u32_e64 s[4:5], 8, v35
	v_cndmask_b32_e64 v35, v38, v37, s[4:5]
	v_and_b32_e32 v36, 7, v36
	v_lshlrev_b32_e32 v12, 8, v12
	v_lshl_add_u32 v35, v35, 10, v19
	v_cndmask_b32_e64 v33, v33, v36, s[4:5]
	v_and_or_b32 v12, v12, s52, v35
	v_lshl_or_b32 v12, v33, 7, v12
	v_cvt_f32_f16_e32 v33, v12
.LBB289_80:                             ;   in Loop: Header=BB289_10 Depth=1
	s_or_b64 exec, exec, s[44:45]
.LBB289_81:                             ;   in Loop: Header=BB289_10 Depth=1
	s_or_b64 exec, exec, s[42:43]
.LBB289_82:                             ;   in Loop: Header=BB289_10 Depth=1
	s_or_b64 exec, exec, s[40:41]
	global_load_ushort v35, v[10:11], off offset:768
	s_waitcnt vmcnt(0)
	v_and_b32_e32 v12, 0xffff, v35
	v_cmp_ne_u16_sdwa s[4:5], v35, v15 src0_sel:BYTE_0 src1_sel:DWORD
	s_and_saveexec_b64 s[40:41], s[4:5]
	s_cbranch_execz .LBB289_88
; %bb.83:                               ;   in Loop: Header=BB289_10 Depth=1
	v_cmp_ne_u16_sdwa s[4:5], v12, s50 src0_sel:BYTE_0 src1_sel:DWORD
	v_bfrev_b32_e32 v34, 1
	s_and_saveexec_b64 s[42:43], s[4:5]
	s_cbranch_execz .LBB289_87
; %bb.84:                               ;   in Loop: Header=BB289_10 Depth=1
	v_and_b32_e32 v35, 0x7f, v12
	v_cmp_ne_u32_e64 s[4:5], s51, v35
	v_mov_b32_e32 v34, 0x7fc02000
	s_and_saveexec_b64 s[44:45], s[4:5]
	s_cbranch_execz .LBB289_86
; %bb.85:                               ;   in Loop: Header=BB289_10 Depth=1
	v_and_b32_e32 v34, 7, v12
	v_ffbh_u32_e32 v36, v34
	v_min_u32_e32 v39, 32, v36
	v_subrev_u32_e32 v36, 28, v39
	v_lshlrev_b64 v[36:37], v36, v[12:13]
	v_lshrrev_b32_e32 v38, 3, v35
	v_sub_u32_e32 v37, 29, v39
	v_cmp_gt_u32_e64 s[4:5], 8, v35
	v_and_b32_e32 v36, 7, v36
	v_cndmask_b32_e64 v35, v38, v37, s[4:5]
	v_cndmask_b32_e64 v34, v34, v36, s[4:5]
	v_lshlrev_b32_e32 v36, 8, v12
	v_lshl_add_u32 v35, v35, 10, v19
	v_and_or_b32 v35, v36, s52, v35
	v_lshl_or_b32 v34, v34, 7, v35
	v_cvt_f32_f16_e32 v34, v34
.LBB289_86:                             ;   in Loop: Header=BB289_10 Depth=1
	s_or_b64 exec, exec, s[44:45]
.LBB289_87:                             ;   in Loop: Header=BB289_10 Depth=1
	s_or_b64 exec, exec, s[42:43]
.LBB289_88:                             ;   in Loop: Header=BB289_10 Depth=1
	s_or_b64 exec, exec, s[40:41]
	v_lshrrev_b16_e32 v12, 8, v12
	v_cmp_ne_u16_e64 s[4:5], 0, v12
	v_mov_b32_e32 v36, 0
	v_mov_b32_e32 v35, 0
	s_and_saveexec_b64 s[40:41], s[4:5]
	s_cbranch_execz .LBB289_94
; %bb.89:                               ;   in Loop: Header=BB289_10 Depth=1
	v_cmp_ne_u16_e64 s[4:5], s50, v12
	v_bfrev_b32_e32 v35, 1
	s_and_saveexec_b64 s[42:43], s[4:5]
	s_cbranch_execz .LBB289_93
; %bb.90:                               ;   in Loop: Header=BB289_10 Depth=1
	v_and_b32_e32 v37, 0x7f, v12
	v_cmp_ne_u32_e64 s[4:5], s51, v37
	v_mov_b32_e32 v35, 0x7fc02000
	s_and_saveexec_b64 s[44:45], s[4:5]
	s_cbranch_execz .LBB289_92
; %bb.91:                               ;   in Loop: Header=BB289_10 Depth=1
	v_and_b32_e32 v35, 7, v12
	v_ffbh_u32_e32 v38, v35
	v_min_u32_e32 v41, 32, v38
	v_subrev_u32_e32 v38, 28, v41
	v_lshlrev_b64 v[38:39], v38, v[12:13]
	v_lshrrev_b32_e32 v40, 3, v37
	v_sub_u32_e32 v39, 29, v41
	v_cmp_gt_u32_e64 s[4:5], 8, v37
	v_cndmask_b32_e64 v37, v40, v39, s[4:5]
	v_and_b32_e32 v38, 7, v38
	v_lshlrev_b32_e32 v12, 8, v12
	v_lshl_add_u32 v37, v37, 10, v19
	v_cndmask_b32_e64 v35, v35, v38, s[4:5]
	v_and_or_b32 v12, v12, s52, v37
	v_lshl_or_b32 v12, v35, 7, v12
	v_cvt_f32_f16_e32 v35, v12
.LBB289_92:                             ;   in Loop: Header=BB289_10 Depth=1
	s_or_b64 exec, exec, s[44:45]
.LBB289_93:                             ;   in Loop: Header=BB289_10 Depth=1
	s_or_b64 exec, exec, s[42:43]
.LBB289_94:                             ;   in Loop: Header=BB289_10 Depth=1
	s_or_b64 exec, exec, s[40:41]
	global_load_ushort v37, v[10:11], off offset:776
	s_waitcnt vmcnt(0)
	v_and_b32_e32 v12, 0xffff, v37
	v_cmp_ne_u16_sdwa s[4:5], v37, v15 src0_sel:BYTE_0 src1_sel:DWORD
	s_and_saveexec_b64 s[40:41], s[4:5]
	s_cbranch_execz .LBB289_100
; %bb.95:                               ;   in Loop: Header=BB289_10 Depth=1
	v_cmp_ne_u16_sdwa s[4:5], v12, s50 src0_sel:BYTE_0 src1_sel:DWORD
	v_bfrev_b32_e32 v36, 1
	s_and_saveexec_b64 s[42:43], s[4:5]
	s_cbranch_execz .LBB289_99
; %bb.96:                               ;   in Loop: Header=BB289_10 Depth=1
	v_and_b32_e32 v37, 0x7f, v12
	v_cmp_ne_u32_e64 s[4:5], s51, v37
	v_mov_b32_e32 v36, 0x7fc02000
	s_and_saveexec_b64 s[44:45], s[4:5]
	s_cbranch_execz .LBB289_98
; %bb.97:                               ;   in Loop: Header=BB289_10 Depth=1
	v_and_b32_e32 v36, 7, v12
	v_ffbh_u32_e32 v38, v36
	v_min_u32_e32 v41, 32, v38
	v_subrev_u32_e32 v38, 28, v41
	v_lshlrev_b64 v[38:39], v38, v[12:13]
	v_lshrrev_b32_e32 v40, 3, v37
	v_sub_u32_e32 v39, 29, v41
	v_cmp_gt_u32_e64 s[4:5], 8, v37
	v_and_b32_e32 v38, 7, v38
	v_cndmask_b32_e64 v37, v40, v39, s[4:5]
	v_cndmask_b32_e64 v36, v36, v38, s[4:5]
	v_lshlrev_b32_e32 v38, 8, v12
	v_lshl_add_u32 v37, v37, 10, v19
	v_and_or_b32 v37, v38, s52, v37
	v_lshl_or_b32 v36, v36, 7, v37
	v_cvt_f32_f16_e32 v36, v36
.LBB289_98:                             ;   in Loop: Header=BB289_10 Depth=1
	s_or_b64 exec, exec, s[44:45]
.LBB289_99:                             ;   in Loop: Header=BB289_10 Depth=1
	s_or_b64 exec, exec, s[42:43]
.LBB289_100:                            ;   in Loop: Header=BB289_10 Depth=1
	s_or_b64 exec, exec, s[40:41]
	v_lshrrev_b16_e32 v12, 8, v12
	v_cmp_ne_u16_e64 s[4:5], 0, v12
	v_mov_b32_e32 v38, 0
	v_mov_b32_e32 v37, 0
	s_and_saveexec_b64 s[40:41], s[4:5]
	s_cbranch_execz .LBB289_106
; %bb.101:                              ;   in Loop: Header=BB289_10 Depth=1
	v_cmp_ne_u16_e64 s[4:5], s50, v12
	v_bfrev_b32_e32 v37, 1
	s_and_saveexec_b64 s[42:43], s[4:5]
	s_cbranch_execz .LBB289_105
; %bb.102:                              ;   in Loop: Header=BB289_10 Depth=1
	v_and_b32_e32 v39, 0x7f, v12
	v_cmp_ne_u32_e64 s[4:5], s51, v39
	v_mov_b32_e32 v37, 0x7fc02000
	s_and_saveexec_b64 s[44:45], s[4:5]
	s_cbranch_execz .LBB289_104
; %bb.103:                              ;   in Loop: Header=BB289_10 Depth=1
	v_and_b32_e32 v37, 7, v12
	v_ffbh_u32_e32 v40, v37
	v_min_u32_e32 v43, 32, v40
	v_subrev_u32_e32 v40, 28, v43
	v_lshlrev_b64 v[40:41], v40, v[12:13]
	v_lshrrev_b32_e32 v42, 3, v39
	v_sub_u32_e32 v41, 29, v43
	v_cmp_gt_u32_e64 s[4:5], 8, v39
	v_cndmask_b32_e64 v39, v42, v41, s[4:5]
	v_and_b32_e32 v40, 7, v40
	v_lshlrev_b32_e32 v12, 8, v12
	v_lshl_add_u32 v39, v39, 10, v19
	v_cndmask_b32_e64 v37, v37, v40, s[4:5]
	v_and_or_b32 v12, v12, s52, v39
	v_lshl_or_b32 v12, v37, 7, v12
	v_cvt_f32_f16_e32 v37, v12
.LBB289_104:                            ;   in Loop: Header=BB289_10 Depth=1
	s_or_b64 exec, exec, s[44:45]
.LBB289_105:                            ;   in Loop: Header=BB289_10 Depth=1
	s_or_b64 exec, exec, s[42:43]
.LBB289_106:                            ;   in Loop: Header=BB289_10 Depth=1
	s_or_b64 exec, exec, s[40:41]
	global_load_ushort v39, v[10:11], off offset:1024
	s_waitcnt vmcnt(0)
	v_and_b32_e32 v12, 0xffff, v39
	v_cmp_ne_u16_sdwa s[4:5], v39, v15 src0_sel:BYTE_0 src1_sel:DWORD
	s_and_saveexec_b64 s[40:41], s[4:5]
	s_cbranch_execz .LBB289_112
; %bb.107:                              ;   in Loop: Header=BB289_10 Depth=1
	v_cmp_ne_u16_sdwa s[4:5], v12, s50 src0_sel:BYTE_0 src1_sel:DWORD
	v_bfrev_b32_e32 v38, 1
	s_and_saveexec_b64 s[42:43], s[4:5]
	s_cbranch_execz .LBB289_111
; %bb.108:                              ;   in Loop: Header=BB289_10 Depth=1
	v_and_b32_e32 v39, 0x7f, v12
	v_cmp_ne_u32_e64 s[4:5], s51, v39
	v_mov_b32_e32 v38, 0x7fc02000
	s_and_saveexec_b64 s[44:45], s[4:5]
	s_cbranch_execz .LBB289_110
; %bb.109:                              ;   in Loop: Header=BB289_10 Depth=1
	v_and_b32_e32 v38, 7, v12
	v_ffbh_u32_e32 v40, v38
	v_min_u32_e32 v43, 32, v40
	v_subrev_u32_e32 v40, 28, v43
	v_lshlrev_b64 v[40:41], v40, v[12:13]
	v_lshrrev_b32_e32 v42, 3, v39
	v_sub_u32_e32 v41, 29, v43
	v_cmp_gt_u32_e64 s[4:5], 8, v39
	v_and_b32_e32 v40, 7, v40
	v_cndmask_b32_e64 v39, v42, v41, s[4:5]
	v_cndmask_b32_e64 v38, v38, v40, s[4:5]
	v_lshlrev_b32_e32 v40, 8, v12
	v_lshl_add_u32 v39, v39, 10, v19
	v_and_or_b32 v39, v40, s52, v39
	v_lshl_or_b32 v38, v38, 7, v39
	v_cvt_f32_f16_e32 v38, v38
.LBB289_110:                            ;   in Loop: Header=BB289_10 Depth=1
	s_or_b64 exec, exec, s[44:45]
.LBB289_111:                            ;   in Loop: Header=BB289_10 Depth=1
	s_or_b64 exec, exec, s[42:43]
.LBB289_112:                            ;   in Loop: Header=BB289_10 Depth=1
	s_or_b64 exec, exec, s[40:41]
	v_lshrrev_b16_e32 v12, 8, v12
	v_cmp_ne_u16_e64 s[4:5], 0, v12
	v_mov_b32_e32 v40, 0
	v_mov_b32_e32 v39, 0
	s_and_saveexec_b64 s[40:41], s[4:5]
	s_cbranch_execz .LBB289_118
; %bb.113:                              ;   in Loop: Header=BB289_10 Depth=1
	v_cmp_ne_u16_e64 s[4:5], s50, v12
	v_bfrev_b32_e32 v39, 1
	s_and_saveexec_b64 s[42:43], s[4:5]
	s_cbranch_execz .LBB289_117
; %bb.114:                              ;   in Loop: Header=BB289_10 Depth=1
	v_and_b32_e32 v41, 0x7f, v12
	v_cmp_ne_u32_e64 s[4:5], s51, v41
	v_mov_b32_e32 v39, 0x7fc02000
	s_and_saveexec_b64 s[44:45], s[4:5]
	s_cbranch_execz .LBB289_116
; %bb.115:                              ;   in Loop: Header=BB289_10 Depth=1
	v_and_b32_e32 v39, 7, v12
	v_ffbh_u32_e32 v42, v39
	v_min_u32_e32 v45, 32, v42
	v_subrev_u32_e32 v42, 28, v45
	v_lshlrev_b64 v[42:43], v42, v[12:13]
	v_lshrrev_b32_e32 v44, 3, v41
	v_sub_u32_e32 v43, 29, v45
	v_cmp_gt_u32_e64 s[4:5], 8, v41
	v_cndmask_b32_e64 v41, v44, v43, s[4:5]
	v_and_b32_e32 v42, 7, v42
	v_lshlrev_b32_e32 v12, 8, v12
	v_lshl_add_u32 v41, v41, 10, v19
	v_cndmask_b32_e64 v39, v39, v42, s[4:5]
	v_and_or_b32 v12, v12, s52, v41
	v_lshl_or_b32 v12, v39, 7, v12
	v_cvt_f32_f16_e32 v39, v12
.LBB289_116:                            ;   in Loop: Header=BB289_10 Depth=1
	s_or_b64 exec, exec, s[44:45]
.LBB289_117:                            ;   in Loop: Header=BB289_10 Depth=1
	s_or_b64 exec, exec, s[42:43]
.LBB289_118:                            ;   in Loop: Header=BB289_10 Depth=1
	s_or_b64 exec, exec, s[40:41]
	global_load_ushort v41, v[10:11], off offset:1032
	s_waitcnt vmcnt(0)
	v_and_b32_e32 v12, 0xffff, v41
	v_cmp_ne_u16_sdwa s[4:5], v41, v15 src0_sel:BYTE_0 src1_sel:DWORD
	s_and_saveexec_b64 s[40:41], s[4:5]
	s_cbranch_execz .LBB289_124
; %bb.119:                              ;   in Loop: Header=BB289_10 Depth=1
	v_cmp_ne_u16_sdwa s[4:5], v12, s50 src0_sel:BYTE_0 src1_sel:DWORD
	v_bfrev_b32_e32 v40, 1
	s_and_saveexec_b64 s[42:43], s[4:5]
	s_cbranch_execz .LBB289_123
; %bb.120:                              ;   in Loop: Header=BB289_10 Depth=1
	v_and_b32_e32 v41, 0x7f, v12
	v_cmp_ne_u32_e64 s[4:5], s51, v41
	v_mov_b32_e32 v40, 0x7fc02000
	s_and_saveexec_b64 s[44:45], s[4:5]
	s_cbranch_execz .LBB289_122
; %bb.121:                              ;   in Loop: Header=BB289_10 Depth=1
	v_and_b32_e32 v40, 7, v12
	v_ffbh_u32_e32 v42, v40
	v_min_u32_e32 v45, 32, v42
	v_subrev_u32_e32 v42, 28, v45
	v_lshlrev_b64 v[42:43], v42, v[12:13]
	v_lshrrev_b32_e32 v44, 3, v41
	v_sub_u32_e32 v43, 29, v45
	v_cmp_gt_u32_e64 s[4:5], 8, v41
	v_and_b32_e32 v42, 7, v42
	v_cndmask_b32_e64 v41, v44, v43, s[4:5]
	v_cndmask_b32_e64 v40, v40, v42, s[4:5]
	v_lshlrev_b32_e32 v42, 8, v12
	v_lshl_add_u32 v41, v41, 10, v19
	v_and_or_b32 v41, v42, s52, v41
	v_lshl_or_b32 v40, v40, 7, v41
	v_cvt_f32_f16_e32 v40, v40
.LBB289_122:                            ;   in Loop: Header=BB289_10 Depth=1
	s_or_b64 exec, exec, s[44:45]
.LBB289_123:                            ;   in Loop: Header=BB289_10 Depth=1
	s_or_b64 exec, exec, s[42:43]
.LBB289_124:                            ;   in Loop: Header=BB289_10 Depth=1
	s_or_b64 exec, exec, s[40:41]
	v_lshrrev_b16_e32 v12, 8, v12
	v_cmp_ne_u16_e64 s[4:5], 0, v12
	v_mov_b32_e32 v42, 0
	v_mov_b32_e32 v41, 0
	s_and_saveexec_b64 s[40:41], s[4:5]
	s_cbranch_execz .LBB289_130
; %bb.125:                              ;   in Loop: Header=BB289_10 Depth=1
	v_cmp_ne_u16_e64 s[4:5], s50, v12
	v_bfrev_b32_e32 v41, 1
	s_and_saveexec_b64 s[42:43], s[4:5]
	s_cbranch_execz .LBB289_129
; %bb.126:                              ;   in Loop: Header=BB289_10 Depth=1
	v_and_b32_e32 v43, 0x7f, v12
	v_cmp_ne_u32_e64 s[4:5], s51, v43
	v_mov_b32_e32 v41, 0x7fc02000
	s_and_saveexec_b64 s[44:45], s[4:5]
	s_cbranch_execz .LBB289_128
; %bb.127:                              ;   in Loop: Header=BB289_10 Depth=1
	v_and_b32_e32 v41, 7, v12
	v_ffbh_u32_e32 v44, v41
	v_min_u32_e32 v47, 32, v44
	v_subrev_u32_e32 v44, 28, v47
	v_lshlrev_b64 v[44:45], v44, v[12:13]
	v_lshrrev_b32_e32 v46, 3, v43
	v_sub_u32_e32 v45, 29, v47
	v_cmp_gt_u32_e64 s[4:5], 8, v43
	v_cndmask_b32_e64 v43, v46, v45, s[4:5]
	v_and_b32_e32 v44, 7, v44
	v_lshlrev_b32_e32 v12, 8, v12
	v_lshl_add_u32 v43, v43, 10, v19
	v_cndmask_b32_e64 v41, v41, v44, s[4:5]
	v_and_or_b32 v12, v12, s52, v43
	v_lshl_or_b32 v12, v41, 7, v12
	v_cvt_f32_f16_e32 v41, v12
.LBB289_128:                            ;   in Loop: Header=BB289_10 Depth=1
	s_or_b64 exec, exec, s[44:45]
.LBB289_129:                            ;   in Loop: Header=BB289_10 Depth=1
	s_or_b64 exec, exec, s[42:43]
.LBB289_130:                            ;   in Loop: Header=BB289_10 Depth=1
	s_or_b64 exec, exec, s[40:41]
	global_load_ushort v43, v[10:11], off offset:1280
	s_waitcnt vmcnt(0)
	v_and_b32_e32 v12, 0xffff, v43
	v_cmp_ne_u16_sdwa s[4:5], v43, v15 src0_sel:BYTE_0 src1_sel:DWORD
	s_and_saveexec_b64 s[40:41], s[4:5]
	s_cbranch_execz .LBB289_136
; %bb.131:                              ;   in Loop: Header=BB289_10 Depth=1
	v_cmp_ne_u16_sdwa s[4:5], v12, s50 src0_sel:BYTE_0 src1_sel:DWORD
	v_bfrev_b32_e32 v42, 1
	s_and_saveexec_b64 s[42:43], s[4:5]
	s_cbranch_execz .LBB289_135
; %bb.132:                              ;   in Loop: Header=BB289_10 Depth=1
	v_and_b32_e32 v43, 0x7f, v12
	v_cmp_ne_u32_e64 s[4:5], s51, v43
	v_mov_b32_e32 v42, 0x7fc02000
	s_and_saveexec_b64 s[44:45], s[4:5]
	s_cbranch_execz .LBB289_134
; %bb.133:                              ;   in Loop: Header=BB289_10 Depth=1
	v_and_b32_e32 v42, 7, v12
	v_ffbh_u32_e32 v44, v42
	v_min_u32_e32 v47, 32, v44
	v_subrev_u32_e32 v44, 28, v47
	v_lshlrev_b64 v[44:45], v44, v[12:13]
	v_lshrrev_b32_e32 v46, 3, v43
	v_sub_u32_e32 v45, 29, v47
	v_cmp_gt_u32_e64 s[4:5], 8, v43
	v_and_b32_e32 v44, 7, v44
	v_cndmask_b32_e64 v43, v46, v45, s[4:5]
	v_cndmask_b32_e64 v42, v42, v44, s[4:5]
	v_lshlrev_b32_e32 v44, 8, v12
	v_lshl_add_u32 v43, v43, 10, v19
	v_and_or_b32 v43, v44, s52, v43
	v_lshl_or_b32 v42, v42, 7, v43
	v_cvt_f32_f16_e32 v42, v42
.LBB289_134:                            ;   in Loop: Header=BB289_10 Depth=1
	s_or_b64 exec, exec, s[44:45]
.LBB289_135:                            ;   in Loop: Header=BB289_10 Depth=1
	s_or_b64 exec, exec, s[42:43]
.LBB289_136:                            ;   in Loop: Header=BB289_10 Depth=1
	s_or_b64 exec, exec, s[40:41]
	v_lshrrev_b16_e32 v12, 8, v12
	v_cmp_ne_u16_e64 s[4:5], 0, v12
	v_mov_b32_e32 v43, 0
	v_mov_b32_e32 v44, 0
	s_and_saveexec_b64 s[40:41], s[4:5]
	s_cbranch_execz .LBB289_142
; %bb.137:                              ;   in Loop: Header=BB289_10 Depth=1
	v_cmp_ne_u16_e64 s[4:5], s50, v12
	v_bfrev_b32_e32 v44, 1
	s_and_saveexec_b64 s[42:43], s[4:5]
	s_cbranch_execz .LBB289_141
; %bb.138:                              ;   in Loop: Header=BB289_10 Depth=1
	v_and_b32_e32 v45, 0x7f, v12
	v_cmp_ne_u32_e64 s[4:5], s51, v45
	v_mov_b32_e32 v44, 0x7fc02000
	s_and_saveexec_b64 s[44:45], s[4:5]
	s_cbranch_execz .LBB289_140
; %bb.139:                              ;   in Loop: Header=BB289_10 Depth=1
	v_and_b32_e32 v44, 7, v12
	v_ffbh_u32_e32 v46, v44
	v_min_u32_e32 v49, 32, v46
	v_subrev_u32_e32 v46, 28, v49
	v_lshlrev_b64 v[46:47], v46, v[12:13]
	v_lshrrev_b32_e32 v48, 3, v45
	v_sub_u32_e32 v47, 29, v49
	v_cmp_gt_u32_e64 s[4:5], 8, v45
	v_cndmask_b32_e64 v45, v48, v47, s[4:5]
	v_and_b32_e32 v46, 7, v46
	v_lshlrev_b32_e32 v12, 8, v12
	v_lshl_add_u32 v45, v45, 10, v19
	v_cndmask_b32_e64 v44, v44, v46, s[4:5]
	v_and_or_b32 v12, v12, s52, v45
	v_lshl_or_b32 v12, v44, 7, v12
	v_cvt_f32_f16_e32 v44, v12
.LBB289_140:                            ;   in Loop: Header=BB289_10 Depth=1
	s_or_b64 exec, exec, s[44:45]
.LBB289_141:                            ;   in Loop: Header=BB289_10 Depth=1
	s_or_b64 exec, exec, s[42:43]
.LBB289_142:                            ;   in Loop: Header=BB289_10 Depth=1
	s_or_b64 exec, exec, s[40:41]
	global_load_ushort v11, v[10:11], off offset:1288
	s_waitcnt vmcnt(0)
	v_and_b32_e32 v10, 0xffff, v11
	v_cmp_ne_u16_sdwa s[4:5], v11, v15 src0_sel:BYTE_0 src1_sel:DWORD
	s_and_saveexec_b64 s[40:41], s[4:5]
	s_cbranch_execz .LBB289_148
; %bb.143:                              ;   in Loop: Header=BB289_10 Depth=1
	v_cmp_ne_u16_sdwa s[4:5], v10, s50 src0_sel:BYTE_0 src1_sel:DWORD
	v_bfrev_b32_e32 v43, 1
	s_and_saveexec_b64 s[42:43], s[4:5]
	s_cbranch_execz .LBB289_147
; %bb.144:                              ;   in Loop: Header=BB289_10 Depth=1
	v_and_b32_e32 v11, 0x7f, v10
	v_cmp_ne_u32_e64 s[4:5], s51, v11
	v_mov_b32_e32 v43, 0x7fc02000
	s_and_saveexec_b64 s[44:45], s[4:5]
	s_cbranch_execz .LBB289_146
; %bb.145:                              ;   in Loop: Header=BB289_10 Depth=1
	v_and_b32_e32 v12, 7, v10
	v_ffbh_u32_e32 v45, v12
	v_min_u32_e32 v45, 32, v45
	v_lshrrev_b32_e32 v43, 3, v11
	v_subrev_u32_e32 v46, 28, v45
	v_sub_u32_e32 v45, 29, v45
	v_cmp_gt_u32_e64 s[4:5], 8, v11
	v_lshlrev_b64 v[46:47], v46, v[10:11]
	v_cndmask_b32_e64 v11, v43, v45, s[4:5]
	v_and_b32_e32 v46, 7, v46
	v_lshlrev_b32_e32 v43, 8, v10
	v_lshl_add_u32 v11, v11, 10, v19
	v_cndmask_b32_e64 v12, v12, v46, s[4:5]
	v_and_or_b32 v11, v43, s52, v11
	v_lshl_or_b32 v11, v12, 7, v11
	v_cvt_f32_f16_e32 v43, v11
.LBB289_146:                            ;   in Loop: Header=BB289_10 Depth=1
	s_or_b64 exec, exec, s[44:45]
.LBB289_147:                            ;   in Loop: Header=BB289_10 Depth=1
	s_or_b64 exec, exec, s[42:43]
.LBB289_148:                            ;   in Loop: Header=BB289_10 Depth=1
	s_or_b64 exec, exec, s[40:41]
	v_lshrrev_b16_e32 v10, 8, v10
	v_cmp_ne_u16_e64 s[4:5], 0, v10
	v_mov_b32_e32 v11, 0
	s_and_saveexec_b64 s[40:41], s[4:5]
	s_cbranch_execz .LBB289_154
; %bb.149:                              ;   in Loop: Header=BB289_10 Depth=1
	v_cmp_ne_u16_e64 s[4:5], s50, v10
	v_bfrev_b32_e32 v11, 1
	s_and_saveexec_b64 s[42:43], s[4:5]
	s_cbranch_execz .LBB289_153
; %bb.150:                              ;   in Loop: Header=BB289_10 Depth=1
	v_and_b32_e32 v12, 0x7f, v10
	v_cmp_ne_u32_e64 s[4:5], s51, v12
	v_mov_b32_e32 v11, 0x7fc02000
	s_and_saveexec_b64 s[44:45], s[4:5]
	s_cbranch_execz .LBB289_152
; %bb.151:                              ;   in Loop: Header=BB289_10 Depth=1
	v_and_b32_e32 v11, 7, v10
	v_ffbh_u32_e32 v46, v11
	v_min_u32_e32 v48, 32, v46
	v_subrev_u32_e32 v46, 28, v48
	v_lshlrev_b64 v[46:47], v46, v[10:11]
	v_lshrrev_b32_e32 v45, 3, v12
	v_sub_u32_e32 v47, 29, v48
	v_cmp_gt_u32_e64 s[4:5], 8, v12
	v_cndmask_b32_e64 v12, v45, v47, s[4:5]
	v_and_b32_e32 v46, 7, v46
	v_lshlrev_b32_e32 v10, 8, v10
	v_lshl_add_u32 v12, v12, 10, v19
	v_cndmask_b32_e64 v11, v11, v46, s[4:5]
	v_and_or_b32 v10, v10, s52, v12
	v_lshl_or_b32 v10, v11, 7, v10
	v_cvt_f32_f16_e32 v11, v10
.LBB289_152:                            ;   in Loop: Header=BB289_10 Depth=1
	s_or_b64 exec, exec, s[44:45]
.LBB289_153:                            ;   in Loop: Header=BB289_10 Depth=1
	s_or_b64 exec, exec, s[42:43]
.LBB289_154:                            ;   in Loop: Header=BB289_10 Depth=1
	s_or_b64 exec, exec, s[40:41]
	ds_read_b32 v10, v16
	v_fma_mixlo_f16 v12, v21, v22, 0
	v_fma_mixlo_f16 v22, v21, v24, 0
	v_and_b32_e32 v12, 0xffff, v12
	v_and_b32_e32 v22, 0xffff, v22
	s_waitcnt lgkmcnt(0)
	v_lshrrev_b32_e32 v24, 16, v10
	v_and_b32_e32 v10, 0xffff, v10
	;;#ASMSTART
	v_cvt_f32_f16 v10, v10;
	;;#ASMEND
	;;#ASMSTART
	v_cvt_f32_f16 v24, v24;
	;;#ASMEND
	;;#ASMSTART
	v_cvt_f32_f16 v12, v12;
	;;#ASMEND
	;;#ASMSTART
	v_cvt_f32_f16 v22, v22;
	;;#ASMEND
	ds_read_b32 v45, v16 offset:4
	v_fma_mixlo_f16 v23, v21, v23, 0
	v_fma_mixlo_f16 v26, v21, v26, 0
	v_and_b32_e32 v23, 0xffff, v23
	v_and_b32_e32 v26, 0xffff, v26
	s_waitcnt lgkmcnt(0)
	v_lshrrev_b32_e32 v46, 16, v45
	v_and_b32_e32 v45, 0xffff, v45
	;;#ASMSTART
	v_cvt_f32_f16 v45, v45;
	;;#ASMEND
	;;#ASMSTART
	v_cvt_f32_f16 v46, v46;
	;;#ASMEND
	;;#ASMSTART
	v_cvt_f32_f16 v23, v23;
	;;#ASMEND
	;;#ASMSTART
	v_cvt_f32_f16 v26, v26;
	;;#ASMEND
	ds_read_b32 v47, v16 offset:8
	;; [unrolled: 20-line block ×6, first 2 shown]
	v_fma_mixlo_f16 v42, v21, v42, 0
	v_fma_mixlo_f16 v44, v21, v44, 0
	;; [unrolled: 1-line block ×12, first 2 shown]
	v_mul_f32_e32 v21, v45, v23
	v_fmac_f32_e32 v21, v10, v12
	s_waitcnt lgkmcnt(0)
	v_lshrrev_b32_e32 v10, 16, v55
	v_and_b32_e32 v12, 0xffff, v55
	v_and_b32_e32 v23, 0xffff, v34
	;; [unrolled: 1-line block ×3, first 2 shown]
	;;#ASMSTART
	v_cvt_f32_f16 v12, v12;
	;;#ASMEND
	;;#ASMSTART
	v_cvt_f32_f16 v10, v10;
	;;#ASMEND
	;; [unrolled: 3-line block ×4, first 2 shown]
	ds_read_b32 v35, v16 offset:28
	v_mul_f32_e32 v26, v46, v26
	v_fmac_f32_e32 v26, v24, v22
	v_fmac_f32_e32 v21, v47, v25
	v_fmac_f32_e32 v26, v48, v28
	s_waitcnt lgkmcnt(0)
	v_lshrrev_b32_e32 v22, 16, v35
	v_and_b32_e32 v24, 0xffff, v35
	v_and_b32_e32 v25, 0xffff, v36
	v_and_b32_e32 v28, 0xffff, v37
	;;#ASMSTART
	v_cvt_f32_f16 v24, v24;
	;;#ASMEND
	;;#ASMSTART
	v_cvt_f32_f16 v22, v22;
	;;#ASMEND
	;;#ASMSTART
	v_cvt_f32_f16 v25, v25;
	;;#ASMEND
	;;#ASMSTART
	v_cvt_f32_f16 v28, v28;
	;;#ASMEND
	ds_read_b32 v35, v16 offset:32
	v_fmac_f32_e32 v21, v49, v27
	v_fmac_f32_e32 v26, v50, v30
	v_fmac_f32_e32 v21, v51, v29
	v_fmac_f32_e32 v26, v52, v32
	s_waitcnt lgkmcnt(0)
	v_lshrrev_b32_e32 v27, 16, v35
	v_and_b32_e32 v29, 0xffff, v35
	v_and_b32_e32 v30, 0xffff, v38
	v_and_b32_e32 v32, 0xffff, v39
	;;#ASMSTART
	v_cvt_f32_f16 v29, v29;
	;;#ASMEND
	;;#ASMSTART
	v_cvt_f32_f16 v27, v27;
	;;#ASMEND
	;;#ASMSTART
	v_cvt_f32_f16 v30, v30;
	;;#ASMEND
	;;#ASMSTART
	v_cvt_f32_f16 v32, v32;
	;;#ASMEND
	ds_read_b32 v35, v16 offset:36
	v_fmac_f32_e32 v21, v53, v31
	;; [unrolled: 22-line block ×3, first 2 shown]
	v_fmac_f32_e32 v21, v24, v25
	v_fmac_f32_e32 v26, v27, v32
	v_and_b32_e32 v25, 0xffff, v42
	s_waitcnt lgkmcnt(0)
	v_lshrrev_b32_e32 v22, 16, v33
	v_and_b32_e32 v24, 0xffff, v33
	v_and_b32_e32 v27, 0xffff, v44
	;;#ASMSTART
	v_cvt_f32_f16 v24, v24;
	;;#ASMEND
	;;#ASMSTART
	v_cvt_f32_f16 v22, v22;
	;;#ASMEND
	;; [unrolled: 3-line block ×4, first 2 shown]
	ds_read_b32 v28, v16 offset:44
	v_fmac_f32_e32 v21, v29, v30
	v_fmac_f32_e32 v21, v12, v23
	;; [unrolled: 1-line block ×4, first 2 shown]
	s_waitcnt lgkmcnt(0)
	v_lshrrev_b32_e32 v10, 16, v28
	v_and_b32_e32 v12, 0xffff, v28
	;;#ASMSTART
	v_cvt_f32_f16 v12, v12;
	;;#ASMEND
	;;#ASMSTART
	v_cvt_f32_f16 v10, v10;
	;;#ASMEND
	v_and_b32_e32 v22, 0xffff, v43
	v_and_b32_e32 v11, 0xffff, v11
	v_fmac_f32_e32 v21, v24, v25
	;;#ASMSTART
	v_cvt_f32_f16 v22, v22;
	;;#ASMEND
	;;#ASMSTART
	v_cvt_f32_f16 v11, v11;
	;;#ASMEND
	v_fmac_f32_e32 v26, v10, v11
	v_and_b32_e32 v10, 64, v7
	v_fmac_f32_e32 v21, v12, v22
	v_add_u32_e32 v10, 64, v10
	v_xor_b32_e32 v12, 2, v7
	v_cmp_lt_i32_e64 s[4:5], v12, v10
	v_cndmask_b32_e64 v12, v7, v12, s[4:5]
	v_add_f32_e32 v11, v21, v26
	v_lshlrev_b32_e32 v12, 2, v12
	ds_bpermute_b32 v12, v12, v11
	s_waitcnt lgkmcnt(0)
	v_add_f32_e32 v11, v11, v12
	v_xor_b32_e32 v12, 1, v7
	v_cmp_lt_i32_e64 s[4:5], v12, v10
	v_cndmask_b32_e64 v12, v7, v12, s[4:5]
	v_lshlrev_b32_e32 v12, 2, v12
	ds_bpermute_b32 v12, v12, v11
	s_and_saveexec_b64 s[40:41], vcc
	s_cbranch_execz .LBB289_9
; %bb.155:                              ;   in Loop: Header=BB289_10 Depth=1
	v_add_u32_e32 v21, s49, v17
	v_cvt_f32_i32_e32 v21, v21
	s_waitcnt lgkmcnt(0)
	v_add_f32_e32 v11, v11, v12
	v_cmp_gt_i32_e64 s[4:5], s29, v17
	v_max_f32_e32 v12, v14, v14
	v_mul_f32_e32 v21, s47, v21
	v_cndmask_b32_e64 v21, 0, v21, s[2:3]
	v_fmac_f32_e32 v21, s11, v11
	v_cndmask_b32_e64 v11, 0, v21, s[4:5]
	ds_write_b32 v18, v11
	v_max_f32_e32 v11, v12, v21
	v_cndmask_b32_e64 v14, v14, v11, s[4:5]
	s_branch .LBB289_9
.LBB289_156:
	s_or_b64 exec, exec, s[18:19]
.LBB289_157:
	s_or_b64 exec, exec, s[38:39]
	v_xor_b32_e32 v4, 32, v7
	v_cmp_lt_i32_e32 vcc, v4, v10
	v_cndmask_b32_e32 v4, v7, v4, vcc
	v_lshlrev_b32_e32 v4, 2, v4
	ds_bpermute_b32 v5, v4, v14
	v_xor_b32_e32 v8, 16, v7
	v_max_f32_e32 v6, v14, v14
	v_cmp_lt_i32_e32 vcc, v8, v10
	v_xor_b32_e32 v9, 8, v7
	s_waitcnt lgkmcnt(0)
	v_max_f32_e32 v5, v5, v5
	v_max_f32_e32 v6, v6, v5
	v_cndmask_b32_e32 v5, v7, v8, vcc
	v_lshlrev_b32_e32 v5, 2, v5
	ds_bpermute_b32 v8, v5, v6
	v_cmp_lt_i32_e32 vcc, v9, v10
	v_and_b32_e32 v15, 63, v0
	s_waitcnt lgkmcnt(0)
	v_max_f32_e32 v8, v8, v8
	v_max_f32_e32 v6, v6, v8
	v_cndmask_b32_e32 v8, v7, v9, vcc
	v_lshlrev_b32_e32 v11, 2, v8
	ds_bpermute_b32 v8, v11, v6
	v_xor_b32_e32 v9, 4, v7
	v_cmp_lt_i32_e32 vcc, v9, v10
	s_waitcnt lgkmcnt(0)
	v_max_f32_e32 v8, v8, v8
	v_max_f32_e32 v6, v6, v8
	v_cndmask_b32_e32 v8, v7, v9, vcc
	v_lshlrev_b32_e32 v12, 2, v8
	ds_bpermute_b32 v9, v12, v6
	v_cmp_eq_u32_e32 vcc, 0, v15
	v_lshlrev_b32_e32 v8, 2, v1
	s_and_saveexec_b64 s[2:3], vcc
	s_cbranch_execz .LBB289_159
; %bb.158:
	s_waitcnt lgkmcnt(0)
	v_max_f32_e32 v9, v9, v9
	v_max_f32_e32 v6, v6, v6
	;; [unrolled: 1-line block ×3, first 2 shown]
	ds_write_b32 v8, v6 offset:192
.LBB289_159:
	s_or_b64 exec, exec, s[2:3]
	v_cmp_gt_u32_e64 s[2:3], 2, v15
	v_mov_b32_e32 v6, 0xff7fffff
	s_waitcnt lgkmcnt(0)
	v_lshlrev_b32_e32 v9, 2, v15
	s_barrier
	s_and_saveexec_b64 s[4:5], s[2:3]
	s_cbranch_execz .LBB289_161
; %bb.160:
	ds_read_b32 v6, v9 offset:192
.LBB289_161:
	s_or_b64 exec, exec, s[4:5]
	v_xor_b32_e32 v14, 1, v7
	v_cmp_lt_i32_e64 s[4:5], v14, v10
	v_cndmask_b32_e64 v14, v7, v14, s[4:5]
	v_lshlrev_b32_e32 v22, 2, v14
	s_waitcnt lgkmcnt(0)
	ds_bpermute_b32 v14, v22, v6
	v_max_f32_e32 v6, v6, v6
	s_sub_i32 s4, s33, s10
	s_lshl_b32 s4, s4, 4
	s_add_i32 s4, s4, s46
	s_waitcnt lgkmcnt(0)
	v_max_f32_e32 v14, v14, v14
	v_max_f32_e32 v6, v6, v14
	v_lshlrev_b32_e32 v14, 2, v7
	v_and_b32_e32 v14, 0xffffff00, v14
	ds_bpermute_b32 v6, v14, v6
	s_min_i32 s39, s4, s29
	s_sub_i32 s38, s39, s46
	v_cmp_gt_i32_e64 s[4:5], s38, v0
	v_mov_b32_e32 v16, 0
	s_and_saveexec_b64 s[12:13], s[4:5]
	s_cbranch_execz .LBB289_165
; %bb.162:
	v_mov_b32_e32 v16, 0xd0
	v_lshl_add_u32 v17, v0, 2, v16
	s_mov_b64 s[18:19], 0
	v_mov_b32_e32 v16, 0
	v_mov_b32_e32 v18, v0
.LBB289_163:                            ; =>This Inner Loop Header: Depth=1
	ds_read_b32 v19, v17
	v_add_u32_e32 v18, 0x80, v18
	v_cmp_le_i32_e64 s[10:11], s38, v18
	s_or_b64 s[18:19], s[10:11], s[18:19]
	s_waitcnt lgkmcnt(0)
	v_sub_f32_e32 v19, v19, v6
	v_mul_f32_e32 v19, 0x3fb8aa3b, v19
	v_exp_f32_e32 v19, v19
	ds_write_b32 v17, v19
	v_add_f32_e32 v16, v16, v19
	v_add_u32_e32 v17, 0x200, v17
	s_andn2_b64 exec, exec, s[18:19]
	s_cbranch_execnz .LBB289_163
; %bb.164:
	s_or_b64 exec, exec, s[18:19]
.LBB289_165:
	s_or_b64 exec, exec, s[12:13]
	ds_bpermute_b32 v4, v4, v16
	s_waitcnt lgkmcnt(0)
	v_add_f32_e32 v4, v16, v4
	ds_bpermute_b32 v5, v5, v4
	s_waitcnt lgkmcnt(0)
	v_add_f32_e32 v4, v4, v5
	ds_bpermute_b32 v5, v11, v4
	v_xor_b32_e32 v11, 2, v7
	v_cmp_lt_i32_e64 s[10:11], v11, v10
	v_cndmask_b32_e64 v7, v7, v11, s[10:11]
	s_waitcnt lgkmcnt(0)
	v_add_f32_e32 v4, v4, v5
	ds_bpermute_b32 v5, v12, v4
	s_waitcnt lgkmcnt(0)
	v_add_f32_e32 v4, v4, v5
	v_lshlrev_b32_e32 v5, 2, v7
	ds_bpermute_b32 v5, v5, v4
	s_waitcnt lgkmcnt(0)
	v_add_f32_e32 v4, v4, v5
	ds_bpermute_b32 v5, v22, v4
	s_waitcnt lgkmcnt(0)
	v_add_f32_e32 v4, v4, v5
	s_and_saveexec_b64 s[10:11], vcc
	s_cbranch_execz .LBB289_167
; %bb.166:
	ds_write_b32 v8, v4 offset:200
.LBB289_167:
	s_or_b64 exec, exec, s[10:11]
	s_waitcnt lgkmcnt(0)
	s_barrier
	s_and_saveexec_b64 s[10:11], s[2:3]
	s_cbranch_execz .LBB289_169
; %bb.168:
	ds_read_b32 v4, v9 offset:200
.LBB289_169:
	s_or_b64 exec, exec, s[10:11]
	s_waitcnt lgkmcnt(0)
	ds_bpermute_b32 v5, v22, v4
	s_waitcnt lgkmcnt(0)
	v_add_f32_e32 v4, v4, v5
	ds_bpermute_b32 v7, v14, v4
	s_and_saveexec_b64 s[2:3], s[4:5]
	s_cbranch_execz .LBB289_182
; %bb.170:
	s_waitcnt lgkmcnt(0)
	v_add_f32_e32 v4, 0x358637bd, v7
	v_div_scale_f32 v5, s[4:5], v4, v4, 1.0
	v_rcp_f32_e32 v8, v5
	v_div_scale_f32 v9, vcc, 1.0, v4, 1.0
	s_movk_i32 s4, 0x7f
	v_fma_f32 v10, -v5, v8, 1.0
	v_fmac_f32_e32 v8, v10, v8
	v_mul_f32_e32 v10, v9, v8
	v_fma_f32 v11, -v5, v10, v9
	v_fmac_f32_e32 v10, v11, v8
	v_fma_f32 v5, -v5, v10, v9
	v_div_fmas_f32 v5, v5, v8, v10
	v_div_fixup_f32 v4, v5, v4, 1.0
	v_xad_u32 v5, v0, -1, s39
	v_subrev_u32_e32 v8, s46, v5
	v_cmp_lt_u32_e32 vcc, s4, v8
	s_mov_b64 s[10:11], -1
	v_mov_b32_e32 v5, v0
	s_and_saveexec_b64 s[4:5], vcc
	s_cbranch_execz .LBB289_179
; %bb.171:
	v_lshrrev_b32_e32 v8, 7, v8
	v_add_u32_e32 v10, -1, v8
	v_lshrrev_b32_e32 v9, 1, v10
	v_mov_b32_e32 v5, v4
	v_add_u32_e32 v9, 1, v9
	v_cmp_lt_u32_e32 vcc, 13, v10
	v_mov_b32_e32 v12, 0
	s_and_saveexec_b64 s[10:11], vcc
	s_cbranch_execz .LBB289_175
; %bb.172:
	v_mov_b32_e32 v11, 0xd0
	v_and_b32_e32 v10, -8, v9
	v_lshl_add_u32 v11, v0, 2, v11
	s_mov_b32 s18, 0
	s_mov_b64 s[12:13], 0
.LBB289_173:                            ; =>This Inner Loop Header: Depth=1
	ds_read2st64_b32 v[16:17], v11 offset1:2
	ds_read2st64_b32 v[18:19], v11 offset0:4 offset1:6
	ds_read2st64_b32 v[20:21], v11 offset0:8 offset1:10
	;; [unrolled: 1-line block ×3, first 2 shown]
	v_add_u32_e32 v10, -8, v10
	s_waitcnt lgkmcnt(3)
	v_pk_mul_f32 v[16:17], v[4:5], v[16:17]
	s_waitcnt lgkmcnt(2)
	v_pk_mul_f32 v[18:19], v[4:5], v[18:19]
	ds_write2st64_b32 v11, v16, v17 offset1:2
	ds_write2st64_b32 v11, v18, v19 offset0:4 offset1:6
	ds_read2st64_b32 v[18:19], v11 offset0:16 offset1:18
	s_waitcnt lgkmcnt(4)
	v_pk_mul_f32 v[16:17], v[4:5], v[20:21]
	ds_write2st64_b32 v11, v16, v17 offset0:8 offset1:10
	s_waitcnt lgkmcnt(4)
	v_pk_mul_f32 v[16:17], v[4:5], v[24:25]
	ds_write2st64_b32 v11, v16, v17 offset0:12 offset1:14
	ds_read2st64_b32 v[16:17], v11 offset0:20 offset1:22
	s_waitcnt lgkmcnt(3)
	v_pk_mul_f32 v[18:19], v[4:5], v[18:19]
	ds_read2st64_b32 v[20:21], v11 offset0:24 offset1:26
	ds_write2st64_b32 v11, v18, v19 offset0:16 offset1:18
	ds_read2st64_b32 v[18:19], v11 offset0:28 offset1:30
	s_waitcnt lgkmcnt(3)
	v_pk_mul_f32 v[16:17], v[4:5], v[16:17]
	ds_write2st64_b32 v11, v16, v17 offset0:20 offset1:22
	s_waitcnt lgkmcnt(3)
	v_pk_mul_f32 v[16:17], v[4:5], v[20:21]
	ds_write2st64_b32 v11, v16, v17 offset0:24 offset1:26
	s_waitcnt lgkmcnt(2)
	v_pk_mul_f32 v[16:17], v[4:5], v[18:19]
	s_add_i32 s18, s18, 16
	v_cmp_eq_u32_e32 vcc, 0, v10
	ds_write2st64_b32 v11, v16, v17 offset0:28 offset1:30
	v_add_u32_e32 v11, 0x2000, v11
	s_or_b64 s[12:13], vcc, s[12:13]
	v_mov_b32_e32 v12, s18
	s_andn2_b64 exec, exec, s[12:13]
	s_cbranch_execnz .LBB289_173
; %bb.174:
	s_or_b64 exec, exec, s[12:13]
.LBB289_175:
	s_or_b64 exec, exec, s[10:11]
	v_and_b32_e32 v9, 7, v9
	v_cmp_ne_u32_e32 vcc, 0, v9
	s_and_saveexec_b64 s[10:11], vcc
	s_cbranch_execz .LBB289_178
; %bb.176:
	v_lshlrev_b32_e32 v10, 9, v12
	v_lshlrev_b32_e32 v11, 2, v0
	s_movk_i32 s12, 0xd0
	v_add3_u32 v10, v10, v11, s12
	s_mov_b64 s[12:13], 0
.LBB289_177:                            ; =>This Inner Loop Header: Depth=1
	ds_read2st64_b32 v[16:17], v10 offset1:2
	v_add_u32_e32 v9, -1, v9
	v_cmp_eq_u32_e32 vcc, 0, v9
	s_or_b64 s[12:13], vcc, s[12:13]
	s_waitcnt lgkmcnt(0)
	v_pk_mul_f32 v[16:17], v[4:5], v[16:17]
	ds_write2st64_b32 v10, v16, v17 offset1:2
	v_add_u32_e32 v10, 0x400, v10
	s_andn2_b64 exec, exec, s[12:13]
	s_cbranch_execnz .LBB289_177
.LBB289_178:
	s_or_b64 exec, exec, s[10:11]
	v_add_u32_e32 v8, 1, v8
	v_and_b32_e32 v9, 0x3fffffe, v8
	v_cmp_ne_u32_e32 vcc, v8, v9
	v_lshl_add_u32 v5, v9, 7, v0
	s_orn2_b64 s[10:11], vcc, exec
.LBB289_179:
	s_or_b64 exec, exec, s[4:5]
	s_and_b64 exec, exec, s[10:11]
	s_cbranch_execz .LBB289_182
; %bb.180:
	v_mov_b32_e32 v8, 0xd0
	v_lshl_add_u32 v8, v5, 2, v8
	s_mov_b64 s[4:5], 0
.LBB289_181:                            ; =>This Inner Loop Header: Depth=1
	ds_read_b32 v9, v8
	v_add_u32_e32 v5, 0x80, v5
	v_cmp_le_i32_e32 vcc, s38, v5
	s_or_b64 s[4:5], vcc, s[4:5]
	s_waitcnt lgkmcnt(0)
	v_mul_f32_e32 v9, v4, v9
	ds_write_b32 v8, v9
	v_add_u32_e32 v8, 0x200, v8
	s_andn2_b64 exec, exec, s[4:5]
	s_cbranch_execnz .LBB289_181
.LBB289_182:
	s_or_b64 exec, exec, s[2:3]
	s_mul_i32 s2, s25, s28
	v_cmp_eq_u32_e32 vcc, 0, v0
	s_mul_i32 s2, s2, s9
	s_waitcnt lgkmcnt(0)
	s_barrier
	s_and_saveexec_b64 s[4:5], vcc
	s_cbranch_execz .LBB289_184
; %bb.183:
	s_ashr_i32 s3, s2, 31
	s_lshl_b64 s[10:11], s[2:3], 2
	s_add_u32 s3, s22, s10
	s_mul_i32 s12, s25, s6
	s_addc_u32 s9, s23, s11
	s_ashr_i32 s13, s12, 31
	s_lshl_b64 s[12:13], s[12:13], 2
	s_add_u32 s3, s3, s12
	s_addc_u32 s6, s9, s13
	s_ashr_i32 s9, s8, 31
	s_lshl_b64 s[18:19], s[8:9], 2
	s_add_u32 s22, s3, s18
	s_addc_u32 s23, s6, s19
	s_add_u32 s3, s20, s10
	s_addc_u32 s6, s21, s11
	;; [unrolled: 2-line block ×3, first 2 shown]
	s_add_u32 s10, s3, s18
	v_mov_b32_e32 v4, 0
	s_addc_u32 s11, s6, s19
	global_store_dword v4, v6, s[22:23]
	global_store_dword v4, v7, s[10:11]
.LBB289_184:
	s_or_b64 exec, exec, s[4:5]
	v_mov_b32_e32 v25, 0
	v_and_b32_e32 v23, 1, v0
	v_mov_b32_e32 v5, 0
	v_mov_b32_e32 v4, 0
	s_and_saveexec_b64 s[4:5], s[0:1]
	s_cbranch_execz .LBB289_338
; %bb.185:
	s_ashr_i32 s0, s7, 31
	v_lshlrev_b32_e32 v4, 3, v0
	s_add_u32 s1, s36, s7
	v_and_b32_e32 v5, 8, v4
	s_addc_u32 s0, s37, s0
	v_and_b32_e32 v4, 0x1f8, v4
	s_add_i32 s9, s16, -1
	v_mov_b32_e32 v6, s0
	v_add_co_u32_e32 v8, vcc, s1, v4
	s_lshl_b64 s[0:1], s[34:35], 2
	v_lshlrev_b32_e32 v4, 5, v23
	s_add_u32 s0, s30, s0
	v_addc_co_u32_e32 v9, vcc, 0, v6, vcc
	v_add3_u32 v24, s46, v13, v5
	v_lshl_or_b32 v1, v1, 6, v4
	v_lshlrev_b64 v[4:5], 2, v[2:3]
	s_addc_u32 s1, s31, s1
	s_mov_b32 s6, -1
	v_mov_b32_e32 v3, s1
	v_add_co_u32_e32 v10, vcc, s0, v4
	v_mov_b32_e32 v4, 0
	s_mov_b32 s3, s17
	s_mov_b32 s7, 0xffffff
	v_mov_b32_e32 v7, 0
	s_mov_b32 s20, s29
	v_add_u32_e32 v1, 0xd0, v1
	v_addc_co_u32_e32 v11, vcc, v3, v5, vcc
	s_mov_b64 s[10:11], 0
	s_movk_i32 s21, 0x80
	s_movk_i32 s22, 0x7f
	s_mov_b32 s23, 0x8000
	s_movk_i32 s28, 0x380
	s_mov_b32 s30, 0x3020706
	s_mov_b32 s31, 0x1000504
	;; [unrolled: 1-line block ×3, first 2 shown]
	v_mov_b32_e32 v3, 0x2000
	v_mov_b32_e32 v5, v4
	;; [unrolled: 1-line block ×3, first 2 shown]
	s_branch .LBB289_187
.LBB289_186:                            ;   in Loop: Header=BB289_187 Depth=1
	s_or_b64 exec, exec, s[0:1]
	;;#ASMSTART
	v_pk_mul_f16 v12, v33, v12;

	;;#ASMEND
	;;#ASMSTART
	v_pk_mul_f16 v6, v34, v6;

	;;#ASMEND
	;; [unrolled: 4-line block ×4, first 2 shown]
	;;#ASMSTART
	v_pk_add_f16 v6, v12, v6;

	;;#ASMEND
	;;#ASMSTART
	v_pk_add_f16 v6, v6, v13;

	;;#ASMEND
	;;#ASMSTART
	v_pk_add_f16 v6, v6, v14;

	;;#ASMEND
	v_lshrrev_b32_e32 v12, 16, v6
	v_and_b32_e32 v6, 0xffff, v6
	v_add_u32_e32 v2, 2, v2
	v_add_f32_e32 v16, v37, v38
	;;#ASMSTART
	v_cvt_f32_f16 v6, v6;
	;;#ASMEND
	v_cmp_le_i32_e32 vcc, s33, v2
	v_add_f32_e32 v4, v4, v16
	v_add_f32_e32 v16, v20, v21
	;;#ASMSTART
	v_cvt_f32_f16 v12, v12;
	;;#ASMEND
	v_add_f32_e32 v6, v6, v12
	s_or_b64 s[10:11], vcc, s[10:11]
	v_add_co_u32_e32 v10, vcc, 8, v10
	v_add_f32_e32 v5, v5, v16
	v_add_f32_e32 v25, v25, v6
	v_add_u32_e32 v24, 32, v24
	v_add_u32_e32 v1, 0x80, v1
	v_addc_co_u32_e32 v11, vcc, 0, v11, vcc
	s_andn2_b64 exec, exec, s[10:11]
	s_cbranch_execz .LBB289_337
.LBB289_187:                            ; =>This Inner Loop Header: Depth=1
	global_load_dword v6, v[10:11], off
	ds_read2_b64 v[16:19], v1 offset1:1
	ds_read2_b64 v[26:29], v1 offset0:2 offset1:3
	s_waitcnt lgkmcnt(1)
	;;#ASMSTART
	v_cvt_f16_f32 v33, v16;

	;;#ASMEND
	;;#ASMSTART
	v_cvt_f16_f32 v34, v17;

	;;#ASMEND
	;; [unrolled: 4-line block ×4, first 2 shown]
	s_waitcnt lgkmcnt(0)
	;;#ASMSTART
	v_cvt_f16_f32 v37, v26;

	;;#ASMEND
	;;#ASMSTART
	v_cvt_f16_f32 v38, v27;

	;;#ASMEND
	;; [unrolled: 4-line block ×4, first 2 shown]
	v_mov_b32_e32 v16, 0
	s_waitcnt vmcnt(0)
	v_mad_i64_i32 v[12:13], s[0:1], v6, s3, v[8:9]
	global_load_dwordx2 v[18:19], v[12:13], off
	global_load_dword v14, v7, s[14:15]
	s_waitcnt vmcnt(1)
	v_cmp_ne_u16_sdwa s[12:13], v18, v7 src0_sel:BYTE_0 src1_sel:DWORD
	s_and_saveexec_b64 s[0:1], s[12:13]
	s_cbranch_execz .LBB289_193
; %bb.188:                              ;   in Loop: Header=BB289_187 Depth=1
	v_cmp_ne_u16_sdwa s[16:17], v18, s21 src0_sel:BYTE_0 src1_sel:DWORD
	v_bfrev_b32_e32 v16, 1
	s_and_saveexec_b64 s[12:13], s[16:17]
	s_cbranch_execz .LBB289_192
; %bb.189:                              ;   in Loop: Header=BB289_187 Depth=1
	v_and_b32_e32 v6, 0x7f, v18
	v_cmp_ne_u32_e32 vcc, s22, v6
	v_mov_b32_e32 v16, 0x7fc02000
	s_and_saveexec_b64 s[16:17], vcc
	s_cbranch_execz .LBB289_191
; %bb.190:                              ;   in Loop: Header=BB289_187 Depth=1
	v_and_b32_e32 v16, 7, v18
	v_ffbh_u32_e32 v16, v16
	v_min_u32_e32 v16, 32, v16
	v_subrev_u32_e32 v17, 28, v16
	v_cmp_gt_u32_e32 vcc, 8, v6
	v_lshrrev_b32_e32 v20, 3, v6
	v_sub_u32_e32 v21, 29, v16
	v_cndmask_b32_e32 v6, 0, v17, vcc
	v_lshlrev_b64 v[16:17], v6, v[18:19]
	v_cndmask_b32_e32 v6, v20, v21, vcc
	v_lshlrev_b32_e32 v17, 8, v18
	v_lshl_add_u32 v6, v6, 10, v3
	v_lshlrev_b32_e32 v16, 7, v16
	v_and_or_b32 v6, v17, s23, v6
	v_and_or_b32 v6, v16, s28, v6
	v_cvt_f32_f16_e32 v16, v6
.LBB289_191:                            ;   in Loop: Header=BB289_187 Depth=1
	s_or_b64 exec, exec, s[16:17]
.LBB289_192:                            ;   in Loop: Header=BB289_187 Depth=1
	s_or_b64 exec, exec, s[12:13]
.LBB289_193:                            ;   in Loop: Header=BB289_187 Depth=1
	s_or_b64 exec, exec, s[0:1]
	v_lshrrev_b16_e32 v6, 8, v18
	v_cmp_ne_u16_e32 vcc, 0, v6
	v_mov_b32_e32 v17, 0
	v_mov_b32_e32 v20, 0
	s_and_saveexec_b64 s[0:1], vcc
	s_cbranch_execz .LBB289_199
; %bb.194:                              ;   in Loop: Header=BB289_187 Depth=1
	v_cmp_ne_u16_e32 vcc, s21, v6
	v_bfrev_b32_e32 v20, 1
	s_and_saveexec_b64 s[12:13], vcc
	s_cbranch_execz .LBB289_198
; %bb.195:                              ;   in Loop: Header=BB289_187 Depth=1
	v_and_b32_e32 v21, 0x7f, v6
	v_cmp_ne_u32_e32 vcc, s22, v21
	v_mov_b32_e32 v20, 0x7fc02000
	s_and_saveexec_b64 s[16:17], vcc
	s_cbranch_execz .LBB289_197
; %bb.196:                              ;   in Loop: Header=BB289_187 Depth=1
	v_and_b32_e32 v20, 7, v6
	v_ffbh_u32_e32 v26, v20
	v_min_u32_e32 v29, 32, v26
	v_subrev_u32_e32 v26, 28, v29
	v_lshlrev_b64 v[26:27], v26, v[6:7]
	v_lshrrev_b32_e32 v28, 3, v21
	v_sub_u32_e32 v27, 29, v29
	v_cmp_gt_u32_e32 vcc, 8, v21
	v_cndmask_b32_e32 v21, v28, v27, vcc
	v_and_b32_e32 v26, 7, v26
	v_lshlrev_b32_e32 v6, 8, v6
	v_lshl_add_u32 v21, v21, 10, v3
	v_cndmask_b32_e32 v20, v20, v26, vcc
	v_and_or_b32 v6, v6, s23, v21
	v_lshl_or_b32 v6, v20, 7, v6
	v_cvt_f32_f16_e32 v20, v6
.LBB289_197:                            ;   in Loop: Header=BB289_187 Depth=1
	s_or_b64 exec, exec, s[16:17]
.LBB289_198:                            ;   in Loop: Header=BB289_187 Depth=1
	s_or_b64 exec, exec, s[12:13]
.LBB289_199:                            ;   in Loop: Header=BB289_187 Depth=1
	s_or_b64 exec, exec, s[0:1]
	v_lshrrev_b32_e32 v6, 16, v18
	v_cmp_ne_u16_sdwa s[12:13], v6, v7 src0_sel:BYTE_0 src1_sel:DWORD
	s_and_saveexec_b64 s[0:1], s[12:13]
	s_cbranch_execz .LBB289_205
; %bb.200:                              ;   in Loop: Header=BB289_187 Depth=1
	v_cmp_ne_u16_sdwa s[16:17], v6, s21 src0_sel:BYTE_0 src1_sel:DWORD
	v_bfrev_b32_e32 v17, 1
	s_and_saveexec_b64 s[12:13], s[16:17]
	s_cbranch_execz .LBB289_204
; %bb.201:                              ;   in Loop: Header=BB289_187 Depth=1
	v_bfe_u32 v21, v18, 16, 7
	v_cmp_ne_u32_e32 vcc, s22, v21
	v_mov_b32_e32 v17, 0x7fc02000
	s_and_saveexec_b64 s[16:17], vcc
	s_cbranch_execz .LBB289_203
; %bb.202:                              ;   in Loop: Header=BB289_187 Depth=1
	v_and_b32_e32 v17, 7, v6
	v_ffbh_u32_e32 v26, v17
	v_min_u32_e32 v29, 32, v26
	v_subrev_u32_e32 v26, 28, v29
	v_lshlrev_b64 v[26:27], v26, v[6:7]
	v_lshrrev_b32_e32 v28, 3, v21
	v_sub_u32_e32 v27, 29, v29
	v_cmp_gt_u32_e32 vcc, 8, v21
	v_cndmask_b32_e32 v21, v28, v27, vcc
	v_and_b32_e32 v26, 7, v26
	v_lshlrev_b32_e32 v6, 8, v6
	v_lshl_add_u32 v21, v21, 10, v3
	v_cndmask_b32_e32 v17, v17, v26, vcc
	v_and_or_b32 v6, v6, s23, v21
	v_lshl_or_b32 v6, v17, 7, v6
	v_cvt_f32_f16_e32 v17, v6
.LBB289_203:                            ;   in Loop: Header=BB289_187 Depth=1
	s_or_b64 exec, exec, s[16:17]
.LBB289_204:                            ;   in Loop: Header=BB289_187 Depth=1
	s_or_b64 exec, exec, s[12:13]
.LBB289_205:                            ;   in Loop: Header=BB289_187 Depth=1
	s_or_b64 exec, exec, s[0:1]
	v_cmp_lt_u32_e32 vcc, s7, v18
	v_mov_b32_e32 v26, 0
	v_mov_b32_e32 v21, 0
	s_and_saveexec_b64 s[0:1], vcc
	s_cbranch_execz .LBB289_211
; %bb.206:                              ;   in Loop: Header=BB289_187 Depth=1
	v_lshrrev_b32_e32 v6, 24, v18
	v_cmp_ne_u32_e32 vcc, s21, v6
	v_bfrev_b32_e32 v21, 1
	s_and_saveexec_b64 s[12:13], vcc
	s_cbranch_execz .LBB289_210
; %bb.207:                              ;   in Loop: Header=BB289_187 Depth=1
	v_and_b32_e32 v27, 0x7f, v6
	v_cmp_ne_u32_e32 vcc, s22, v27
	v_mov_b32_e32 v21, 0x7fc02000
	s_and_saveexec_b64 s[16:17], vcc
	s_cbranch_execz .LBB289_209
; %bb.208:                              ;   in Loop: Header=BB289_187 Depth=1
	v_and_b32_e32 v21, 7, v6
	v_ffbh_u32_e32 v28, v21
	v_min_u32_e32 v31, 32, v28
	v_subrev_u32_e32 v28, 28, v31
	v_lshlrev_b64 v[28:29], v28, v[6:7]
	v_lshrrev_b32_e32 v30, 3, v27
	v_sub_u32_e32 v29, 29, v31
	v_cmp_gt_u32_e32 vcc, 8, v27
	v_cndmask_b32_e32 v27, v30, v29, vcc
	v_and_b32_e32 v28, 7, v28
	v_lshlrev_b32_e32 v6, 8, v6
	v_lshl_add_u32 v27, v27, 10, v3
	v_cndmask_b32_e32 v21, v21, v28, vcc
	v_and_or_b32 v6, v6, s23, v27
	v_lshl_or_b32 v6, v21, 7, v6
	v_cvt_f32_f16_e32 v21, v6
.LBB289_209:                            ;   in Loop: Header=BB289_187 Depth=1
	s_or_b64 exec, exec, s[16:17]
.LBB289_210:                            ;   in Loop: Header=BB289_187 Depth=1
	s_or_b64 exec, exec, s[12:13]
.LBB289_211:                            ;   in Loop: Header=BB289_187 Depth=1
	s_or_b64 exec, exec, s[0:1]
	v_mov_b32_e32 v6, v19
	v_cmp_ne_u16_sdwa s[12:13], v19, v7 src0_sel:BYTE_0 src1_sel:DWORD
	s_and_saveexec_b64 s[0:1], s[12:13]
	s_cbranch_execz .LBB289_217
; %bb.212:                              ;   in Loop: Header=BB289_187 Depth=1
	v_cmp_ne_u16_sdwa s[16:17], v19, s21 src0_sel:BYTE_0 src1_sel:DWORD
	v_bfrev_b32_e32 v26, 1
	s_and_saveexec_b64 s[12:13], s[16:17]
	s_cbranch_execz .LBB289_216
; %bb.213:                              ;   in Loop: Header=BB289_187 Depth=1
	v_and_b32_e32 v27, 0x7f, v19
	v_cmp_ne_u32_e32 vcc, s22, v27
	v_mov_b32_e32 v26, 0x7fc02000
	s_and_saveexec_b64 s[16:17], vcc
	s_cbranch_execz .LBB289_215
; %bb.214:                              ;   in Loop: Header=BB289_187 Depth=1
	v_and_b32_e32 v26, 7, v19
	v_ffbh_u32_e32 v26, v26
	v_min_u32_e32 v26, 32, v26
	v_subrev_u32_e32 v29, 28, v26
	v_cmp_gt_u32_e32 vcc, 8, v27
	v_sub_u32_e32 v30, 29, v26
	v_cndmask_b32_e32 v26, 0, v29, vcc
	v_lshrrev_b32_e32 v28, 3, v27
	v_lshlrev_b64 v[26:27], v26, v[6:7]
	v_cndmask_b32_e32 v27, v28, v30, vcc
	v_lshlrev_b32_e32 v28, 8, v19
	v_lshl_add_u32 v27, v27, 10, v3
	v_lshlrev_b32_e32 v26, 7, v26
	v_and_or_b32 v27, v28, s23, v27
	v_and_or_b32 v26, v26, s28, v27
	v_cvt_f32_f16_e32 v26, v26
.LBB289_215:                            ;   in Loop: Header=BB289_187 Depth=1
	s_or_b64 exec, exec, s[16:17]
.LBB289_216:                            ;   in Loop: Header=BB289_187 Depth=1
	s_or_b64 exec, exec, s[12:13]
.LBB289_217:                            ;   in Loop: Header=BB289_187 Depth=1
	s_or_b64 exec, exec, s[0:1]
	v_lshrrev_b16_e32 v6, 8, v6
	v_cmp_ne_u16_e32 vcc, 0, v6
	v_mov_b32_e32 v27, 0
	v_mov_b32_e32 v28, 0
	s_and_saveexec_b64 s[0:1], vcc
	s_cbranch_execz .LBB289_223
; %bb.218:                              ;   in Loop: Header=BB289_187 Depth=1
	v_cmp_ne_u16_e32 vcc, s21, v6
	v_bfrev_b32_e32 v28, 1
	s_and_saveexec_b64 s[12:13], vcc
	s_cbranch_execz .LBB289_222
; %bb.219:                              ;   in Loop: Header=BB289_187 Depth=1
	v_and_b32_e32 v29, 0x7f, v6
	v_cmp_ne_u32_e32 vcc, s22, v29
	v_mov_b32_e32 v28, 0x7fc02000
	s_and_saveexec_b64 s[16:17], vcc
	s_cbranch_execz .LBB289_221
; %bb.220:                              ;   in Loop: Header=BB289_187 Depth=1
	v_and_b32_e32 v28, 7, v6
	v_ffbh_u32_e32 v30, v28
	v_min_u32_e32 v41, 32, v30
	v_subrev_u32_e32 v30, 28, v41
	v_lshlrev_b64 v[30:31], v30, v[6:7]
	v_lshrrev_b32_e32 v32, 3, v29
	v_sub_u32_e32 v31, 29, v41
	v_cmp_gt_u32_e32 vcc, 8, v29
	v_cndmask_b32_e32 v29, v32, v31, vcc
	v_and_b32_e32 v30, 7, v30
	v_lshlrev_b32_e32 v6, 8, v6
	v_lshl_add_u32 v29, v29, 10, v3
	v_cndmask_b32_e32 v28, v28, v30, vcc
	v_and_or_b32 v6, v6, s23, v29
	v_lshl_or_b32 v6, v28, 7, v6
	v_cvt_f32_f16_e32 v28, v6
.LBB289_221:                            ;   in Loop: Header=BB289_187 Depth=1
	s_or_b64 exec, exec, s[16:17]
.LBB289_222:                            ;   in Loop: Header=BB289_187 Depth=1
	s_or_b64 exec, exec, s[12:13]
.LBB289_223:                            ;   in Loop: Header=BB289_187 Depth=1
	s_or_b64 exec, exec, s[0:1]
	v_lshrrev_b32_e32 v6, 16, v19
	v_cmp_ne_u16_sdwa s[12:13], v6, v7 src0_sel:BYTE_0 src1_sel:DWORD
	s_and_saveexec_b64 s[0:1], s[12:13]
	s_cbranch_execz .LBB289_229
; %bb.224:                              ;   in Loop: Header=BB289_187 Depth=1
	v_cmp_ne_u16_sdwa s[16:17], v6, s21 src0_sel:BYTE_0 src1_sel:DWORD
	v_bfrev_b32_e32 v27, 1
	s_and_saveexec_b64 s[12:13], s[16:17]
	s_cbranch_execz .LBB289_228
; %bb.225:                              ;   in Loop: Header=BB289_187 Depth=1
	v_bfe_u32 v29, v19, 16, 7
	v_cmp_ne_u32_e32 vcc, s22, v29
	v_mov_b32_e32 v27, 0x7fc02000
	s_and_saveexec_b64 s[16:17], vcc
	s_cbranch_execz .LBB289_227
; %bb.226:                              ;   in Loop: Header=BB289_187 Depth=1
	v_and_b32_e32 v27, 7, v6
	v_ffbh_u32_e32 v30, v27
	v_min_u32_e32 v41, 32, v30
	v_subrev_u32_e32 v30, 28, v41
	v_lshlrev_b64 v[30:31], v30, v[6:7]
	v_lshrrev_b32_e32 v32, 3, v29
	v_sub_u32_e32 v31, 29, v41
	v_cmp_gt_u32_e32 vcc, 8, v29
	v_cndmask_b32_e32 v29, v32, v31, vcc
	v_and_b32_e32 v30, 7, v30
	v_lshlrev_b32_e32 v6, 8, v6
	v_lshl_add_u32 v29, v29, 10, v3
	v_cndmask_b32_e32 v27, v27, v30, vcc
	v_and_or_b32 v6, v6, s23, v29
	v_lshl_or_b32 v6, v27, 7, v6
	v_cvt_f32_f16_e32 v27, v6
.LBB289_227:                            ;   in Loop: Header=BB289_187 Depth=1
	s_or_b64 exec, exec, s[16:17]
.LBB289_228:                            ;   in Loop: Header=BB289_187 Depth=1
	s_or_b64 exec, exec, s[12:13]
.LBB289_229:                            ;   in Loop: Header=BB289_187 Depth=1
	s_or_b64 exec, exec, s[0:1]
	v_cmp_lt_u64_e32 vcc, s[6:7], v[18:19]
	v_mov_b32_e32 v18, 0
	s_and_saveexec_b64 s[0:1], vcc
	s_cbranch_execz .LBB289_235
; %bb.230:                              ;   in Loop: Header=BB289_187 Depth=1
	v_lshrrev_b32_e32 v6, 24, v19
	v_cmp_ne_u32_e32 vcc, s21, v6
	v_bfrev_b32_e32 v18, 1
	s_and_saveexec_b64 s[12:13], vcc
	s_cbranch_execz .LBB289_234
; %bb.231:                              ;   in Loop: Header=BB289_187 Depth=1
	v_and_b32_e32 v19, 0x7f, v6
	v_cmp_ne_u32_e32 vcc, s22, v19
	v_mov_b32_e32 v18, 0x7fc02000
	s_and_saveexec_b64 s[16:17], vcc
	s_cbranch_execz .LBB289_233
; %bb.232:                              ;   in Loop: Header=BB289_187 Depth=1
	v_and_b32_e32 v18, 7, v6
	v_ffbh_u32_e32 v30, v18
	v_min_u32_e32 v32, 32, v30
	v_subrev_u32_e32 v30, 28, v32
	v_lshlrev_b64 v[30:31], v30, v[6:7]
	v_lshrrev_b32_e32 v29, 3, v19
	v_sub_u32_e32 v31, 29, v32
	v_cmp_gt_u32_e32 vcc, 8, v19
	v_cndmask_b32_e32 v19, v29, v31, vcc
	v_and_b32_e32 v30, 7, v30
	v_lshlrev_b32_e32 v6, 8, v6
	v_lshl_add_u32 v19, v19, 10, v3
	v_cndmask_b32_e32 v18, v18, v30, vcc
	v_and_or_b32 v6, v6, s23, v19
	v_lshl_or_b32 v6, v18, 7, v6
	v_cvt_f32_f16_e32 v18, v6
.LBB289_233:                            ;   in Loop: Header=BB289_187 Depth=1
	s_or_b64 exec, exec, s[16:17]
.LBB289_234:                            ;   in Loop: Header=BB289_187 Depth=1
	s_or_b64 exec, exec, s[12:13]
.LBB289_235:                            ;   in Loop: Header=BB289_187 Depth=1
	s_or_b64 exec, exec, s[0:1]
	s_waitcnt vmcnt(0)
	v_pk_mul_f32 v[20:21], v[14:15], v[20:21] op_sel_hi:[0,1]
	v_pk_mul_f32 v[16:17], v[14:15], v[16:17] op_sel_hi:[0,1]
	v_cvt_f16_f32_e32 v6, v21
	v_cvt_f16_f32_e32 v19, v20
	;; [unrolled: 1-line block ×4, first 2 shown]
	v_cmp_eq_u32_e32 vcc, s9, v2
	v_pack_b32_f16 v19, v19, v6
	v_add_u32_e32 v32, 1, v24
	v_pack_b32_f16 v16, v16, v17
	v_fma_mixlo_f16 v17, v14, v28, 0
	v_perm_b32 v6, v16, v19, s30
	v_perm_b32 v16, v16, v19, s31
	v_lshlrev_b32_e32 v17, 16, v17
	v_fma_mixlo_f16 v19, v14, v26, 0
	v_or_b32_sdwa v17, v17, v19 dst_sel:DWORD dst_unused:UNUSED_PAD src0_sel:DWORD src1_sel:WORD_0
	v_fma_mixlo_f16 v19, v14, v27, 0
	v_fma_mixlo_f16 v14, v14, v18, 0
	v_lshlrev_b32_e32 v14, 16, v14
	v_or_b32_sdwa v14, v14, v19 dst_sel:DWORD dst_unused:UNUSED_PAD src0_sel:DWORD src1_sel:WORD_0
	v_or_b32_e32 v31, 3, v24
	v_or_b32_e32 v30, 2, v24
	v_or_b32_e32 v29, 5, v24
	v_or_b32_e32 v28, 4, v24
	v_or_b32_e32 v27, 7, v24
	v_or_b32_e32 v26, 6, v24
	s_and_saveexec_b64 s[12:13], vcc
	s_cbranch_execz .LBB289_237
; %bb.236:                              ;   in Loop: Header=BB289_187 Depth=1
	v_lshrrev_b32_e32 v18, 16, v16
	v_cmp_gt_i32_e64 s[0:1], s20, v32
	v_cndmask_b32_e64 v18, 0, v18, s[0:1]
	v_cmp_gt_i32_e64 s[0:1], s29, v24
	v_cndmask_b32_e64 v16, 0, v16, s[0:1]
	v_perm_b32 v16, v18, v16, s34
	v_lshrrev_b32_e32 v18, 16, v6
	v_cmp_gt_i32_e64 s[0:1], s20, v31
	v_cndmask_b32_e64 v18, 0, v18, s[0:1]
	v_cmp_gt_i32_e64 s[0:1], s29, v30
	v_cndmask_b32_e64 v6, 0, v6, s[0:1]
	v_perm_b32 v6, v18, v6, s34
	v_lshrrev_b32_e32 v18, 16, v17
	v_cmp_gt_i32_e64 s[0:1], s20, v29
	v_cndmask_b32_e64 v18, 0, v18, s[0:1]
	v_cmp_gt_i32_e64 s[0:1], s29, v28
	v_cndmask_b32_e64 v17, 0, v17, s[0:1]
	v_lshrrev_b32_e32 v14, 16, v14
	v_cmp_gt_i32_e64 s[0:1], s20, v27
	v_cndmask_b32_e64 v14, 0, v14, s[0:1]
	v_cmp_gt_i32_e64 s[0:1], s29, v26
	v_perm_b32 v17, v18, v17, s34
	v_cndmask_b32_e64 v18, 0, v19, s[0:1]
	v_perm_b32 v14, v14, v18, s34
.LBB289_237:                            ;   in Loop: Header=BB289_187 Depth=1
	s_or_b64 exec, exec, s[12:13]
	v_and_b32_e32 v18, 0xffff, v33
	v_lshl_or_b32 v33, v34, 16, v18
	v_and_b32_e32 v18, 0xffff, v35
	v_lshl_or_b32 v34, v36, 16, v18
	;; [unrolled: 2-line block ×3, first 2 shown]
	v_and_b32_e32 v18, 0xffff, v39
	;;#ASMSTART
	v_pk_mul_f16 v16, v33, v16;

	;;#ASMEND
	;;#ASMSTART
	v_pk_mul_f16 v6, v34, v6;

	;;#ASMEND
	v_lshl_or_b32 v36, v40, 16, v18
	;;#ASMSTART
	v_pk_mul_f16 v17, v35, v17;

	;;#ASMEND
	;;#ASMSTART
	v_pk_mul_f16 v14, v36, v14;

	;;#ASMEND
	;;#ASMSTART
	v_pk_add_f16 v6, v16, v6;

	;;#ASMEND
	;;#ASMSTART
	v_pk_add_f16 v6, v6, v17;
	;; [unrolled: 4-line block ×3, first 2 shown]

	;;#ASMEND
	v_lshrrev_b32_e32 v14, 16, v6
	v_and_b32_e32 v6, 0xffff, v6
	;;#ASMSTART
	v_cvt_f32_f16 v37, v6;
	;;#ASMEND
	;;#ASMSTART
	v_cvt_f32_f16 v38, v14;
	;;#ASMEND
	global_load_dwordx2 v[20:21], v[12:13], off offset:512
	global_load_dword v14, v7, s[14:15]
	v_mov_b32_e32 v18, 0
	v_mov_b32_e32 v16, 0
	s_waitcnt vmcnt(1)
	v_cmp_ne_u16_sdwa s[0:1], v20, v7 src0_sel:BYTE_0 src1_sel:DWORD
	s_and_saveexec_b64 s[12:13], s[0:1]
	s_cbranch_execz .LBB289_243
; %bb.238:                              ;   in Loop: Header=BB289_187 Depth=1
	v_cmp_ne_u16_sdwa s[0:1], v20, s21 src0_sel:BYTE_0 src1_sel:DWORD
	v_bfrev_b32_e32 v16, 1
	s_and_saveexec_b64 s[16:17], s[0:1]
	s_cbranch_execz .LBB289_242
; %bb.239:                              ;   in Loop: Header=BB289_187 Depth=1
	v_and_b32_e32 v6, 0x7f, v20
	v_cmp_ne_u32_e64 s[0:1], s22, v6
	v_mov_b32_e32 v16, 0x7fc02000
	s_and_saveexec_b64 s[18:19], s[0:1]
	s_cbranch_execz .LBB289_241
; %bb.240:                              ;   in Loop: Header=BB289_187 Depth=1
	v_and_b32_e32 v16, 7, v20
	v_ffbh_u32_e32 v16, v16
	v_min_u32_e32 v16, 32, v16
	v_subrev_u32_e32 v17, 28, v16
	v_cmp_gt_u32_e64 s[0:1], 8, v6
	v_lshrrev_b32_e32 v19, 3, v6
	v_sub_u32_e32 v39, 29, v16
	v_cndmask_b32_e64 v6, 0, v17, s[0:1]
	v_lshlrev_b64 v[16:17], v6, v[20:21]
	v_cndmask_b32_e64 v6, v19, v39, s[0:1]
	v_lshlrev_b32_e32 v17, 8, v20
	v_lshl_add_u32 v6, v6, 10, v3
	v_lshlrev_b32_e32 v16, 7, v16
	v_and_or_b32 v6, v17, s23, v6
	v_and_or_b32 v6, v16, s28, v6
	v_cvt_f32_f16_e32 v16, v6
.LBB289_241:                            ;   in Loop: Header=BB289_187 Depth=1
	s_or_b64 exec, exec, s[18:19]
.LBB289_242:                            ;   in Loop: Header=BB289_187 Depth=1
	s_or_b64 exec, exec, s[16:17]
.LBB289_243:                            ;   in Loop: Header=BB289_187 Depth=1
	s_or_b64 exec, exec, s[12:13]
	v_lshrrev_b16_e32 v6, 8, v20
	v_cmp_ne_u16_e64 s[0:1], 0, v6
	s_and_saveexec_b64 s[12:13], s[0:1]
	s_cbranch_execz .LBB289_249
; %bb.244:                              ;   in Loop: Header=BB289_187 Depth=1
	v_cmp_ne_u16_e64 s[0:1], s21, v6
	v_bfrev_b32_e32 v18, 1
	s_and_saveexec_b64 s[16:17], s[0:1]
	s_cbranch_execz .LBB289_248
; %bb.245:                              ;   in Loop: Header=BB289_187 Depth=1
	v_and_b32_e32 v17, 0x7f, v6
	v_cmp_ne_u32_e64 s[0:1], s22, v17
	v_mov_b32_e32 v18, 0x7fc02000
	s_and_saveexec_b64 s[18:19], s[0:1]
	s_cbranch_execz .LBB289_247
; %bb.246:                              ;   in Loop: Header=BB289_187 Depth=1
	v_and_b32_e32 v39, 7, v6
	v_ffbh_u32_e32 v18, v39
	v_min_u32_e32 v41, 32, v18
	v_subrev_u32_e32 v18, 28, v41
	v_lshlrev_b64 v[18:19], v18, v[6:7]
	v_lshrrev_b32_e32 v40, 3, v17
	v_sub_u32_e32 v19, 29, v41
	v_cmp_gt_u32_e64 s[0:1], 8, v17
	v_cndmask_b32_e64 v17, v40, v19, s[0:1]
	v_and_b32_e32 v18, 7, v18
	v_lshlrev_b32_e32 v6, 8, v6
	v_lshl_add_u32 v17, v17, 10, v3
	v_cndmask_b32_e64 v18, v39, v18, s[0:1]
	v_and_or_b32 v6, v6, s23, v17
	v_lshl_or_b32 v6, v18, 7, v6
	v_cvt_f32_f16_e32 v18, v6
.LBB289_247:                            ;   in Loop: Header=BB289_187 Depth=1
	s_or_b64 exec, exec, s[18:19]
.LBB289_248:                            ;   in Loop: Header=BB289_187 Depth=1
	s_or_b64 exec, exec, s[16:17]
.LBB289_249:                            ;   in Loop: Header=BB289_187 Depth=1
	s_or_b64 exec, exec, s[12:13]
	v_lshrrev_b32_e32 v6, 16, v20
	v_cmp_ne_u16_sdwa s[0:1], v6, v7 src0_sel:BYTE_0 src1_sel:DWORD
	v_mov_b32_e32 v19, 0
	v_mov_b32_e32 v17, 0
	s_and_saveexec_b64 s[12:13], s[0:1]
	s_cbranch_execz .LBB289_255
; %bb.250:                              ;   in Loop: Header=BB289_187 Depth=1
	v_cmp_ne_u16_sdwa s[0:1], v6, s21 src0_sel:BYTE_0 src1_sel:DWORD
	v_bfrev_b32_e32 v17, 1
	s_and_saveexec_b64 s[16:17], s[0:1]
	s_cbranch_execz .LBB289_254
; %bb.251:                              ;   in Loop: Header=BB289_187 Depth=1
	v_bfe_u32 v39, v20, 16, 7
	v_cmp_ne_u32_e64 s[0:1], s22, v39
	v_mov_b32_e32 v17, 0x7fc02000
	s_and_saveexec_b64 s[18:19], s[0:1]
	s_cbranch_execz .LBB289_253
; %bb.252:                              ;   in Loop: Header=BB289_187 Depth=1
	v_and_b32_e32 v17, 7, v6
	v_ffbh_u32_e32 v40, v17
	v_min_u32_e32 v43, 32, v40
	v_subrev_u32_e32 v40, 28, v43
	v_lshlrev_b64 v[40:41], v40, v[6:7]
	v_lshrrev_b32_e32 v42, 3, v39
	v_sub_u32_e32 v41, 29, v43
	v_cmp_gt_u32_e64 s[0:1], 8, v39
	v_cndmask_b32_e64 v39, v42, v41, s[0:1]
	v_and_b32_e32 v40, 7, v40
	v_lshlrev_b32_e32 v6, 8, v6
	v_lshl_add_u32 v39, v39, 10, v3
	v_cndmask_b32_e64 v17, v17, v40, s[0:1]
	v_and_or_b32 v6, v6, s23, v39
	v_lshl_or_b32 v6, v17, 7, v6
	v_cvt_f32_f16_e32 v17, v6
.LBB289_253:                            ;   in Loop: Header=BB289_187 Depth=1
	s_or_b64 exec, exec, s[18:19]
.LBB289_254:                            ;   in Loop: Header=BB289_187 Depth=1
	s_or_b64 exec, exec, s[16:17]
.LBB289_255:                            ;   in Loop: Header=BB289_187 Depth=1
	s_or_b64 exec, exec, s[12:13]
	v_cmp_lt_u32_e64 s[0:1], s7, v20
	s_and_saveexec_b64 s[12:13], s[0:1]
	s_cbranch_execz .LBB289_261
; %bb.256:                              ;   in Loop: Header=BB289_187 Depth=1
	v_lshrrev_b32_e32 v6, 24, v20
	v_cmp_ne_u32_e64 s[0:1], s21, v6
	v_bfrev_b32_e32 v19, 1
	s_and_saveexec_b64 s[16:17], s[0:1]
	s_cbranch_execz .LBB289_260
; %bb.257:                              ;   in Loop: Header=BB289_187 Depth=1
	v_and_b32_e32 v39, 0x7f, v6
	v_cmp_ne_u32_e64 s[0:1], s22, v39
	v_mov_b32_e32 v19, 0x7fc02000
	s_and_saveexec_b64 s[18:19], s[0:1]
	s_cbranch_execz .LBB289_259
; %bb.258:                              ;   in Loop: Header=BB289_187 Depth=1
	v_and_b32_e32 v19, 7, v6
	v_ffbh_u32_e32 v40, v19
	v_min_u32_e32 v43, 32, v40
	v_subrev_u32_e32 v40, 28, v43
	v_lshlrev_b64 v[40:41], v40, v[6:7]
	v_lshrrev_b32_e32 v42, 3, v39
	v_sub_u32_e32 v41, 29, v43
	v_cmp_gt_u32_e64 s[0:1], 8, v39
	v_cndmask_b32_e64 v39, v42, v41, s[0:1]
	v_and_b32_e32 v40, 7, v40
	v_lshlrev_b32_e32 v6, 8, v6
	v_lshl_add_u32 v39, v39, 10, v3
	v_cndmask_b32_e64 v19, v19, v40, s[0:1]
	v_and_or_b32 v6, v6, s23, v39
	v_lshl_or_b32 v6, v19, 7, v6
	v_cvt_f32_f16_e32 v19, v6
.LBB289_259:                            ;   in Loop: Header=BB289_187 Depth=1
	s_or_b64 exec, exec, s[18:19]
.LBB289_260:                            ;   in Loop: Header=BB289_187 Depth=1
	s_or_b64 exec, exec, s[16:17]
.LBB289_261:                            ;   in Loop: Header=BB289_187 Depth=1
	s_or_b64 exec, exec, s[12:13]
	v_mov_b32_e32 v6, v21
	v_cmp_ne_u16_sdwa s[0:1], v21, v7 src0_sel:BYTE_0 src1_sel:DWORD
	v_mov_b32_e32 v40, 0
	v_mov_b32_e32 v39, 0
	s_and_saveexec_b64 s[12:13], s[0:1]
	s_cbranch_execz .LBB289_267
; %bb.262:                              ;   in Loop: Header=BB289_187 Depth=1
	v_cmp_ne_u16_sdwa s[0:1], v21, s21 src0_sel:BYTE_0 src1_sel:DWORD
	v_bfrev_b32_e32 v39, 1
	s_and_saveexec_b64 s[16:17], s[0:1]
	s_cbranch_execz .LBB289_266
; %bb.263:                              ;   in Loop: Header=BB289_187 Depth=1
	v_and_b32_e32 v41, 0x7f, v21
	v_cmp_ne_u32_e64 s[0:1], s22, v41
	v_mov_b32_e32 v39, 0x7fc02000
	s_and_saveexec_b64 s[18:19], s[0:1]
	s_cbranch_execz .LBB289_265
; %bb.264:                              ;   in Loop: Header=BB289_187 Depth=1
	v_and_b32_e32 v39, 7, v21
	v_ffbh_u32_e32 v39, v39
	v_min_u32_e32 v39, 32, v39
	v_subrev_u32_e32 v42, 28, v39
	v_cmp_gt_u32_e64 s[0:1], 8, v41
	v_lshrrev_b32_e32 v44, 3, v41
	v_sub_u32_e32 v39, 29, v39
	v_cndmask_b32_e64 v41, 0, v42, s[0:1]
	v_lshlrev_b64 v[42:43], v41, v[6:7]
	v_cndmask_b32_e64 v39, v44, v39, s[0:1]
	v_lshlrev_b32_e32 v41, 7, v42
	v_lshlrev_b32_e32 v42, 8, v21
	v_lshl_add_u32 v39, v39, 10, v3
	v_and_or_b32 v39, v42, s23, v39
	v_and_or_b32 v39, v41, s28, v39
	v_cvt_f32_f16_e32 v39, v39
.LBB289_265:                            ;   in Loop: Header=BB289_187 Depth=1
	s_or_b64 exec, exec, s[18:19]
.LBB289_266:                            ;   in Loop: Header=BB289_187 Depth=1
	s_or_b64 exec, exec, s[16:17]
.LBB289_267:                            ;   in Loop: Header=BB289_187 Depth=1
	s_or_b64 exec, exec, s[12:13]
	v_lshrrev_b16_e32 v6, 8, v6
	v_cmp_ne_u16_e64 s[0:1], 0, v6
	s_and_saveexec_b64 s[12:13], s[0:1]
	s_cbranch_execz .LBB289_273
; %bb.268:                              ;   in Loop: Header=BB289_187 Depth=1
	v_cmp_ne_u16_e64 s[0:1], s21, v6
	v_bfrev_b32_e32 v40, 1
	s_and_saveexec_b64 s[16:17], s[0:1]
	s_cbranch_execz .LBB289_272
; %bb.269:                              ;   in Loop: Header=BB289_187 Depth=1
	v_and_b32_e32 v41, 0x7f, v6
	v_cmp_ne_u32_e64 s[0:1], s22, v41
	v_mov_b32_e32 v40, 0x7fc02000
	s_and_saveexec_b64 s[18:19], s[0:1]
	s_cbranch_execz .LBB289_271
; %bb.270:                              ;   in Loop: Header=BB289_187 Depth=1
	v_and_b32_e32 v40, 7, v6
	v_ffbh_u32_e32 v42, v40
	v_min_u32_e32 v45, 32, v42
	v_subrev_u32_e32 v42, 28, v45
	v_lshlrev_b64 v[42:43], v42, v[6:7]
	v_lshrrev_b32_e32 v44, 3, v41
	v_sub_u32_e32 v43, 29, v45
	v_cmp_gt_u32_e64 s[0:1], 8, v41
	v_cndmask_b32_e64 v41, v44, v43, s[0:1]
	v_and_b32_e32 v42, 7, v42
	v_lshlrev_b32_e32 v6, 8, v6
	v_lshl_add_u32 v41, v41, 10, v3
	v_cndmask_b32_e64 v40, v40, v42, s[0:1]
	v_and_or_b32 v6, v6, s23, v41
	v_lshl_or_b32 v6, v40, 7, v6
	v_cvt_f32_f16_e32 v40, v6
.LBB289_271:                            ;   in Loop: Header=BB289_187 Depth=1
	s_or_b64 exec, exec, s[18:19]
.LBB289_272:                            ;   in Loop: Header=BB289_187 Depth=1
	s_or_b64 exec, exec, s[16:17]
.LBB289_273:                            ;   in Loop: Header=BB289_187 Depth=1
	s_or_b64 exec, exec, s[12:13]
	v_lshrrev_b32_e32 v6, 16, v21
	v_cmp_ne_u16_sdwa s[0:1], v6, v7 src0_sel:BYTE_0 src1_sel:DWORD
	v_mov_b32_e32 v41, 0
	v_mov_b32_e32 v42, 0
	s_and_saveexec_b64 s[12:13], s[0:1]
	s_cbranch_execz .LBB289_279
; %bb.274:                              ;   in Loop: Header=BB289_187 Depth=1
	v_cmp_ne_u16_sdwa s[0:1], v6, s21 src0_sel:BYTE_0 src1_sel:DWORD
	v_bfrev_b32_e32 v42, 1
	s_and_saveexec_b64 s[16:17], s[0:1]
	s_cbranch_execz .LBB289_278
; %bb.275:                              ;   in Loop: Header=BB289_187 Depth=1
	v_bfe_u32 v43, v21, 16, 7
	v_cmp_ne_u32_e64 s[0:1], s22, v43
	v_mov_b32_e32 v42, 0x7fc02000
	s_and_saveexec_b64 s[18:19], s[0:1]
	s_cbranch_execz .LBB289_277
; %bb.276:                              ;   in Loop: Header=BB289_187 Depth=1
	v_and_b32_e32 v42, 7, v6
	v_ffbh_u32_e32 v44, v42
	v_min_u32_e32 v47, 32, v44
	v_subrev_u32_e32 v44, 28, v47
	v_lshlrev_b64 v[44:45], v44, v[6:7]
	v_lshrrev_b32_e32 v46, 3, v43
	v_sub_u32_e32 v45, 29, v47
	v_cmp_gt_u32_e64 s[0:1], 8, v43
	v_cndmask_b32_e64 v43, v46, v45, s[0:1]
	v_and_b32_e32 v44, 7, v44
	v_lshlrev_b32_e32 v6, 8, v6
	v_lshl_add_u32 v43, v43, 10, v3
	v_cndmask_b32_e64 v42, v42, v44, s[0:1]
	v_and_or_b32 v6, v6, s23, v43
	v_lshl_or_b32 v6, v42, 7, v6
	v_cvt_f32_f16_e32 v42, v6
.LBB289_277:                            ;   in Loop: Header=BB289_187 Depth=1
	s_or_b64 exec, exec, s[18:19]
.LBB289_278:                            ;   in Loop: Header=BB289_187 Depth=1
	s_or_b64 exec, exec, s[16:17]
.LBB289_279:                            ;   in Loop: Header=BB289_187 Depth=1
	s_or_b64 exec, exec, s[12:13]
	v_cmp_lt_u64_e64 s[0:1], s[6:7], v[20:21]
	s_and_saveexec_b64 s[12:13], s[0:1]
	s_cbranch_execz .LBB289_285
; %bb.280:                              ;   in Loop: Header=BB289_187 Depth=1
	v_lshrrev_b32_e32 v6, 24, v21
	v_cmp_ne_u32_e64 s[0:1], s21, v6
	v_bfrev_b32_e32 v41, 1
	s_and_saveexec_b64 s[16:17], s[0:1]
	s_cbranch_execz .LBB289_284
; %bb.281:                              ;   in Loop: Header=BB289_187 Depth=1
	v_and_b32_e32 v20, 0x7f, v6
	v_cmp_ne_u32_e64 s[0:1], s22, v20
	v_mov_b32_e32 v41, 0x7fc02000
	s_and_saveexec_b64 s[18:19], s[0:1]
	s_cbranch_execz .LBB289_283
; %bb.282:                              ;   in Loop: Header=BB289_187 Depth=1
	v_and_b32_e32 v21, 7, v6
	v_ffbh_u32_e32 v43, v21
	v_min_u32_e32 v43, 32, v43
	v_lshrrev_b32_e32 v41, 3, v20
	v_subrev_u32_e32 v44, 28, v43
	v_sub_u32_e32 v43, 29, v43
	v_cmp_gt_u32_e64 s[0:1], 8, v20
	v_lshlrev_b64 v[44:45], v44, v[6:7]
	v_cndmask_b32_e64 v20, v41, v43, s[0:1]
	v_and_b32_e32 v44, 7, v44
	v_lshlrev_b32_e32 v6, 8, v6
	v_lshl_add_u32 v20, v20, 10, v3
	v_cndmask_b32_e64 v21, v21, v44, s[0:1]
	v_and_or_b32 v6, v6, s23, v20
	v_lshl_or_b32 v6, v21, 7, v6
	v_cvt_f32_f16_e32 v41, v6
.LBB289_283:                            ;   in Loop: Header=BB289_187 Depth=1
	s_or_b64 exec, exec, s[18:19]
.LBB289_284:                            ;   in Loop: Header=BB289_187 Depth=1
	s_or_b64 exec, exec, s[16:17]
.LBB289_285:                            ;   in Loop: Header=BB289_187 Depth=1
	s_or_b64 exec, exec, s[12:13]
	s_waitcnt vmcnt(0)
	v_pk_mul_f32 v[18:19], v[14:15], v[18:19] op_sel_hi:[0,1]
	v_pk_mul_f32 v[16:17], v[14:15], v[16:17] op_sel_hi:[0,1]
	v_cvt_f16_f32_e32 v6, v19
	v_cvt_f16_f32_e32 v18, v18
	;; [unrolled: 1-line block ×4, first 2 shown]
	v_pack_b32_f16 v18, v18, v6
	v_pack_b32_f16 v16, v16, v17
	v_fma_mixlo_f16 v17, v14, v40, 0
	v_perm_b32 v6, v16, v18, s30
	v_perm_b32 v16, v16, v18, s31
	v_lshlrev_b32_e32 v17, 16, v17
	v_fma_mixlo_f16 v18, v14, v39, 0
	v_or_b32_sdwa v17, v17, v18 dst_sel:DWORD dst_unused:UNUSED_PAD src0_sel:DWORD src1_sel:WORD_0
	v_fma_mixlo_f16 v18, v14, v42, 0
	v_fma_mixlo_f16 v14, v14, v41, 0
	v_lshlrev_b32_e32 v14, 16, v14
	v_or_b32_sdwa v14, v14, v18 dst_sel:DWORD dst_unused:UNUSED_PAD src0_sel:DWORD src1_sel:WORD_0
	s_and_saveexec_b64 s[12:13], vcc
	s_cbranch_execz .LBB289_287
; %bb.286:                              ;   in Loop: Header=BB289_187 Depth=1
	v_lshrrev_b32_e32 v19, 16, v16
	v_cmp_gt_i32_e64 s[0:1], s20, v32
	v_cndmask_b32_e64 v19, 0, v19, s[0:1]
	v_cmp_gt_i32_e64 s[0:1], s29, v24
	v_cndmask_b32_e64 v16, 0, v16, s[0:1]
	v_perm_b32 v16, v19, v16, s34
	v_lshrrev_b32_e32 v19, 16, v6
	v_cmp_gt_i32_e64 s[0:1], s20, v31
	v_cndmask_b32_e64 v19, 0, v19, s[0:1]
	v_cmp_gt_i32_e64 s[0:1], s29, v30
	v_cndmask_b32_e64 v6, 0, v6, s[0:1]
	v_perm_b32 v6, v19, v6, s34
	v_lshrrev_b32_e32 v19, 16, v17
	v_cmp_gt_i32_e64 s[0:1], s20, v29
	v_cndmask_b32_e64 v19, 0, v19, s[0:1]
	v_cmp_gt_i32_e64 s[0:1], s29, v28
	v_cndmask_b32_e64 v17, 0, v17, s[0:1]
	v_lshrrev_b32_e32 v14, 16, v14
	v_cmp_gt_i32_e64 s[0:1], s20, v27
	v_cndmask_b32_e64 v14, 0, v14, s[0:1]
	v_cmp_gt_i32_e64 s[0:1], s29, v26
	v_cndmask_b32_e64 v18, 0, v18, s[0:1]
	v_perm_b32 v17, v19, v17, s34
	v_perm_b32 v14, v14, v18, s34
.LBB289_287:                            ;   in Loop: Header=BB289_187 Depth=1
	s_or_b64 exec, exec, s[12:13]
	;;#ASMSTART
	v_pk_mul_f16 v16, v33, v16;

	;;#ASMEND
	;;#ASMSTART
	v_pk_mul_f16 v6, v34, v6;

	;;#ASMEND
	;; [unrolled: 4-line block ×4, first 2 shown]
	;;#ASMSTART
	v_pk_add_f16 v6, v16, v6;

	;;#ASMEND
	;;#ASMSTART
	v_pk_add_f16 v6, v6, v17;

	;;#ASMEND
	;; [unrolled: 4-line block ×3, first 2 shown]
	v_lshrrev_b32_e32 v14, 16, v6
	v_and_b32_e32 v6, 0xffff, v6
	;;#ASMSTART
	v_cvt_f32_f16 v20, v6;
	;;#ASMEND
	;;#ASMSTART
	v_cvt_f32_f16 v21, v14;
	;;#ASMEND
	global_load_dwordx2 v[18:19], v[12:13], off offset:1024
	global_load_dword v14, v7, s[14:15]
	v_mov_b32_e32 v16, 0
	v_mov_b32_e32 v12, 0
	s_waitcnt vmcnt(1)
	v_cmp_ne_u16_sdwa s[0:1], v18, v7 src0_sel:BYTE_0 src1_sel:DWORD
	s_and_saveexec_b64 s[12:13], s[0:1]
	s_cbranch_execz .LBB289_293
; %bb.288:                              ;   in Loop: Header=BB289_187 Depth=1
	v_cmp_ne_u16_sdwa s[0:1], v18, s21 src0_sel:BYTE_0 src1_sel:DWORD
	v_bfrev_b32_e32 v12, 1
	s_and_saveexec_b64 s[16:17], s[0:1]
	s_cbranch_execz .LBB289_292
; %bb.289:                              ;   in Loop: Header=BB289_187 Depth=1
	v_and_b32_e32 v6, 0x7f, v18
	v_cmp_ne_u32_e64 s[0:1], s22, v6
	v_mov_b32_e32 v12, 0x7fc02000
	s_and_saveexec_b64 s[18:19], s[0:1]
	s_cbranch_execz .LBB289_291
; %bb.290:                              ;   in Loop: Header=BB289_187 Depth=1
	v_and_b32_e32 v12, 7, v18
	v_ffbh_u32_e32 v12, v12
	v_min_u32_e32 v12, 32, v12
	v_subrev_u32_e32 v13, 28, v12
	v_cmp_gt_u32_e64 s[0:1], 8, v6
	v_lshrrev_b32_e32 v17, 3, v6
	v_sub_u32_e32 v39, 29, v12
	v_cndmask_b32_e64 v6, 0, v13, s[0:1]
	v_lshlrev_b64 v[12:13], v6, v[18:19]
	v_cndmask_b32_e64 v6, v17, v39, s[0:1]
	v_lshlrev_b32_e32 v13, 8, v18
	v_lshl_add_u32 v6, v6, 10, v3
	v_lshlrev_b32_e32 v12, 7, v12
	v_and_or_b32 v6, v13, s23, v6
	v_and_or_b32 v6, v12, s28, v6
	v_cvt_f32_f16_e32 v12, v6
.LBB289_291:                            ;   in Loop: Header=BB289_187 Depth=1
	s_or_b64 exec, exec, s[18:19]
.LBB289_292:                            ;   in Loop: Header=BB289_187 Depth=1
	s_or_b64 exec, exec, s[16:17]
.LBB289_293:                            ;   in Loop: Header=BB289_187 Depth=1
	s_or_b64 exec, exec, s[12:13]
	v_lshrrev_b16_e32 v6, 8, v18
	v_cmp_ne_u16_e64 s[0:1], 0, v6
	s_and_saveexec_b64 s[12:13], s[0:1]
	s_cbranch_execz .LBB289_299
; %bb.294:                              ;   in Loop: Header=BB289_187 Depth=1
	v_cmp_ne_u16_e64 s[0:1], s21, v6
	v_bfrev_b32_e32 v16, 1
	s_and_saveexec_b64 s[16:17], s[0:1]
	s_cbranch_execz .LBB289_298
; %bb.295:                              ;   in Loop: Header=BB289_187 Depth=1
	v_and_b32_e32 v13, 0x7f, v6
	v_cmp_ne_u32_e64 s[0:1], s22, v13
	v_mov_b32_e32 v16, 0x7fc02000
	s_and_saveexec_b64 s[18:19], s[0:1]
	s_cbranch_execz .LBB289_297
; %bb.296:                              ;   in Loop: Header=BB289_187 Depth=1
	v_and_b32_e32 v39, 7, v6
	v_ffbh_u32_e32 v16, v39
	v_min_u32_e32 v41, 32, v16
	v_subrev_u32_e32 v16, 28, v41
	v_lshlrev_b64 v[16:17], v16, v[6:7]
	v_lshrrev_b32_e32 v40, 3, v13
	v_sub_u32_e32 v17, 29, v41
	v_cmp_gt_u32_e64 s[0:1], 8, v13
	v_cndmask_b32_e64 v13, v40, v17, s[0:1]
	v_and_b32_e32 v16, 7, v16
	v_lshlrev_b32_e32 v6, 8, v6
	v_lshl_add_u32 v13, v13, 10, v3
	v_cndmask_b32_e64 v16, v39, v16, s[0:1]
	v_and_or_b32 v6, v6, s23, v13
	v_lshl_or_b32 v6, v16, 7, v6
	v_cvt_f32_f16_e32 v16, v6
.LBB289_297:                            ;   in Loop: Header=BB289_187 Depth=1
	s_or_b64 exec, exec, s[18:19]
.LBB289_298:                            ;   in Loop: Header=BB289_187 Depth=1
	s_or_b64 exec, exec, s[16:17]
.LBB289_299:                            ;   in Loop: Header=BB289_187 Depth=1
	s_or_b64 exec, exec, s[12:13]
	v_lshrrev_b32_e32 v6, 16, v18
	v_cmp_ne_u16_sdwa s[0:1], v6, v7 src0_sel:BYTE_0 src1_sel:DWORD
	v_mov_b32_e32 v17, 0
	v_mov_b32_e32 v13, 0
	s_and_saveexec_b64 s[12:13], s[0:1]
	s_cbranch_execz .LBB289_305
; %bb.300:                              ;   in Loop: Header=BB289_187 Depth=1
	v_cmp_ne_u16_sdwa s[0:1], v6, s21 src0_sel:BYTE_0 src1_sel:DWORD
	v_bfrev_b32_e32 v13, 1
	s_and_saveexec_b64 s[16:17], s[0:1]
	s_cbranch_execz .LBB289_304
; %bb.301:                              ;   in Loop: Header=BB289_187 Depth=1
	v_bfe_u32 v39, v18, 16, 7
	v_cmp_ne_u32_e64 s[0:1], s22, v39
	v_mov_b32_e32 v13, 0x7fc02000
	s_and_saveexec_b64 s[18:19], s[0:1]
	s_cbranch_execz .LBB289_303
; %bb.302:                              ;   in Loop: Header=BB289_187 Depth=1
	v_and_b32_e32 v13, 7, v6
	v_ffbh_u32_e32 v40, v13
	v_min_u32_e32 v43, 32, v40
	v_subrev_u32_e32 v40, 28, v43
	v_lshlrev_b64 v[40:41], v40, v[6:7]
	v_lshrrev_b32_e32 v42, 3, v39
	v_sub_u32_e32 v41, 29, v43
	v_cmp_gt_u32_e64 s[0:1], 8, v39
	v_cndmask_b32_e64 v39, v42, v41, s[0:1]
	v_and_b32_e32 v40, 7, v40
	v_lshlrev_b32_e32 v6, 8, v6
	v_lshl_add_u32 v39, v39, 10, v3
	v_cndmask_b32_e64 v13, v13, v40, s[0:1]
	v_and_or_b32 v6, v6, s23, v39
	v_lshl_or_b32 v6, v13, 7, v6
	v_cvt_f32_f16_e32 v13, v6
.LBB289_303:                            ;   in Loop: Header=BB289_187 Depth=1
	s_or_b64 exec, exec, s[18:19]
.LBB289_304:                            ;   in Loop: Header=BB289_187 Depth=1
	s_or_b64 exec, exec, s[16:17]
.LBB289_305:                            ;   in Loop: Header=BB289_187 Depth=1
	s_or_b64 exec, exec, s[12:13]
	v_cmp_lt_u32_e64 s[0:1], s7, v18
	s_and_saveexec_b64 s[12:13], s[0:1]
	s_cbranch_execz .LBB289_311
; %bb.306:                              ;   in Loop: Header=BB289_187 Depth=1
	v_lshrrev_b32_e32 v6, 24, v18
	v_cmp_ne_u32_e64 s[0:1], s21, v6
	v_bfrev_b32_e32 v17, 1
	s_and_saveexec_b64 s[16:17], s[0:1]
	s_cbranch_execz .LBB289_310
; %bb.307:                              ;   in Loop: Header=BB289_187 Depth=1
	v_and_b32_e32 v39, 0x7f, v6
	v_cmp_ne_u32_e64 s[0:1], s22, v39
	v_mov_b32_e32 v17, 0x7fc02000
	s_and_saveexec_b64 s[18:19], s[0:1]
	s_cbranch_execz .LBB289_309
; %bb.308:                              ;   in Loop: Header=BB289_187 Depth=1
	v_and_b32_e32 v17, 7, v6
	v_ffbh_u32_e32 v40, v17
	v_min_u32_e32 v43, 32, v40
	v_subrev_u32_e32 v40, 28, v43
	v_lshlrev_b64 v[40:41], v40, v[6:7]
	v_lshrrev_b32_e32 v42, 3, v39
	v_sub_u32_e32 v41, 29, v43
	v_cmp_gt_u32_e64 s[0:1], 8, v39
	v_cndmask_b32_e64 v39, v42, v41, s[0:1]
	v_and_b32_e32 v40, 7, v40
	v_lshlrev_b32_e32 v6, 8, v6
	v_lshl_add_u32 v39, v39, 10, v3
	v_cndmask_b32_e64 v17, v17, v40, s[0:1]
	v_and_or_b32 v6, v6, s23, v39
	v_lshl_or_b32 v6, v17, 7, v6
	v_cvt_f32_f16_e32 v17, v6
.LBB289_309:                            ;   in Loop: Header=BB289_187 Depth=1
	s_or_b64 exec, exec, s[18:19]
.LBB289_310:                            ;   in Loop: Header=BB289_187 Depth=1
	s_or_b64 exec, exec, s[16:17]
.LBB289_311:                            ;   in Loop: Header=BB289_187 Depth=1
	s_or_b64 exec, exec, s[12:13]
	v_mov_b32_e32 v6, v19
	v_cmp_ne_u16_sdwa s[0:1], v19, v7 src0_sel:BYTE_0 src1_sel:DWORD
	v_mov_b32_e32 v40, 0
	v_mov_b32_e32 v39, 0
	s_and_saveexec_b64 s[12:13], s[0:1]
	s_cbranch_execz .LBB289_317
; %bb.312:                              ;   in Loop: Header=BB289_187 Depth=1
	v_cmp_ne_u16_sdwa s[0:1], v19, s21 src0_sel:BYTE_0 src1_sel:DWORD
	v_bfrev_b32_e32 v39, 1
	s_and_saveexec_b64 s[16:17], s[0:1]
	s_cbranch_execz .LBB289_316
; %bb.313:                              ;   in Loop: Header=BB289_187 Depth=1
	v_and_b32_e32 v41, 0x7f, v19
	v_cmp_ne_u32_e64 s[0:1], s22, v41
	v_mov_b32_e32 v39, 0x7fc02000
	s_and_saveexec_b64 s[18:19], s[0:1]
	s_cbranch_execz .LBB289_315
; %bb.314:                              ;   in Loop: Header=BB289_187 Depth=1
	v_and_b32_e32 v39, 7, v19
	v_ffbh_u32_e32 v39, v39
	v_min_u32_e32 v39, 32, v39
	v_subrev_u32_e32 v42, 28, v39
	v_cmp_gt_u32_e64 s[0:1], 8, v41
	v_lshrrev_b32_e32 v44, 3, v41
	v_sub_u32_e32 v39, 29, v39
	v_cndmask_b32_e64 v41, 0, v42, s[0:1]
	v_lshlrev_b64 v[42:43], v41, v[6:7]
	v_cndmask_b32_e64 v39, v44, v39, s[0:1]
	v_lshlrev_b32_e32 v41, 7, v42
	v_lshlrev_b32_e32 v42, 8, v19
	v_lshl_add_u32 v39, v39, 10, v3
	v_and_or_b32 v39, v42, s23, v39
	v_and_or_b32 v39, v41, s28, v39
	v_cvt_f32_f16_e32 v39, v39
.LBB289_315:                            ;   in Loop: Header=BB289_187 Depth=1
	s_or_b64 exec, exec, s[18:19]
.LBB289_316:                            ;   in Loop: Header=BB289_187 Depth=1
	s_or_b64 exec, exec, s[16:17]
.LBB289_317:                            ;   in Loop: Header=BB289_187 Depth=1
	s_or_b64 exec, exec, s[12:13]
	v_lshrrev_b16_e32 v6, 8, v6
	v_cmp_ne_u16_e64 s[0:1], 0, v6
	s_and_saveexec_b64 s[12:13], s[0:1]
	s_cbranch_execz .LBB289_323
; %bb.318:                              ;   in Loop: Header=BB289_187 Depth=1
	v_cmp_ne_u16_e64 s[0:1], s21, v6
	v_bfrev_b32_e32 v40, 1
	s_and_saveexec_b64 s[16:17], s[0:1]
	s_cbranch_execz .LBB289_322
; %bb.319:                              ;   in Loop: Header=BB289_187 Depth=1
	v_and_b32_e32 v41, 0x7f, v6
	v_cmp_ne_u32_e64 s[0:1], s22, v41
	v_mov_b32_e32 v40, 0x7fc02000
	s_and_saveexec_b64 s[18:19], s[0:1]
	s_cbranch_execz .LBB289_321
; %bb.320:                              ;   in Loop: Header=BB289_187 Depth=1
	v_and_b32_e32 v40, 7, v6
	v_ffbh_u32_e32 v42, v40
	v_min_u32_e32 v45, 32, v42
	v_subrev_u32_e32 v42, 28, v45
	v_lshlrev_b64 v[42:43], v42, v[6:7]
	v_lshrrev_b32_e32 v44, 3, v41
	v_sub_u32_e32 v43, 29, v45
	v_cmp_gt_u32_e64 s[0:1], 8, v41
	v_cndmask_b32_e64 v41, v44, v43, s[0:1]
	v_and_b32_e32 v42, 7, v42
	v_lshlrev_b32_e32 v6, 8, v6
	v_lshl_add_u32 v41, v41, 10, v3
	v_cndmask_b32_e64 v40, v40, v42, s[0:1]
	v_and_or_b32 v6, v6, s23, v41
	v_lshl_or_b32 v6, v40, 7, v6
	v_cvt_f32_f16_e32 v40, v6
.LBB289_321:                            ;   in Loop: Header=BB289_187 Depth=1
	s_or_b64 exec, exec, s[18:19]
.LBB289_322:                            ;   in Loop: Header=BB289_187 Depth=1
	s_or_b64 exec, exec, s[16:17]
.LBB289_323:                            ;   in Loop: Header=BB289_187 Depth=1
	s_or_b64 exec, exec, s[12:13]
	v_lshrrev_b32_e32 v6, 16, v19
	v_cmp_ne_u16_sdwa s[0:1], v6, v7 src0_sel:BYTE_0 src1_sel:DWORD
	v_mov_b32_e32 v41, 0
	v_mov_b32_e32 v42, 0
	s_and_saveexec_b64 s[12:13], s[0:1]
	s_cbranch_execz .LBB289_329
; %bb.324:                              ;   in Loop: Header=BB289_187 Depth=1
	v_cmp_ne_u16_sdwa s[0:1], v6, s21 src0_sel:BYTE_0 src1_sel:DWORD
	v_bfrev_b32_e32 v42, 1
	s_and_saveexec_b64 s[16:17], s[0:1]
	s_cbranch_execz .LBB289_328
; %bb.325:                              ;   in Loop: Header=BB289_187 Depth=1
	v_bfe_u32 v43, v19, 16, 7
	v_cmp_ne_u32_e64 s[0:1], s22, v43
	v_mov_b32_e32 v42, 0x7fc02000
	s_and_saveexec_b64 s[18:19], s[0:1]
	s_cbranch_execz .LBB289_327
; %bb.326:                              ;   in Loop: Header=BB289_187 Depth=1
	v_and_b32_e32 v42, 7, v6
	v_ffbh_u32_e32 v44, v42
	v_min_u32_e32 v47, 32, v44
	v_subrev_u32_e32 v44, 28, v47
	v_lshlrev_b64 v[44:45], v44, v[6:7]
	v_lshrrev_b32_e32 v46, 3, v43
	v_sub_u32_e32 v45, 29, v47
	v_cmp_gt_u32_e64 s[0:1], 8, v43
	v_cndmask_b32_e64 v43, v46, v45, s[0:1]
	v_and_b32_e32 v44, 7, v44
	v_lshlrev_b32_e32 v6, 8, v6
	v_lshl_add_u32 v43, v43, 10, v3
	v_cndmask_b32_e64 v42, v42, v44, s[0:1]
	v_and_or_b32 v6, v6, s23, v43
	v_lshl_or_b32 v6, v42, 7, v6
	v_cvt_f32_f16_e32 v42, v6
.LBB289_327:                            ;   in Loop: Header=BB289_187 Depth=1
	s_or_b64 exec, exec, s[18:19]
.LBB289_328:                            ;   in Loop: Header=BB289_187 Depth=1
	s_or_b64 exec, exec, s[16:17]
.LBB289_329:                            ;   in Loop: Header=BB289_187 Depth=1
	s_or_b64 exec, exec, s[12:13]
	v_cmp_lt_u64_e64 s[0:1], s[6:7], v[18:19]
	s_and_saveexec_b64 s[12:13], s[0:1]
	s_cbranch_execz .LBB289_335
; %bb.330:                              ;   in Loop: Header=BB289_187 Depth=1
	v_lshrrev_b32_e32 v6, 24, v19
	v_cmp_ne_u32_e64 s[0:1], s21, v6
	v_bfrev_b32_e32 v41, 1
	s_and_saveexec_b64 s[16:17], s[0:1]
	s_cbranch_execz .LBB289_334
; %bb.331:                              ;   in Loop: Header=BB289_187 Depth=1
	v_and_b32_e32 v18, 0x7f, v6
	v_cmp_ne_u32_e64 s[0:1], s22, v18
	v_mov_b32_e32 v41, 0x7fc02000
	s_and_saveexec_b64 s[18:19], s[0:1]
	s_cbranch_execz .LBB289_333
; %bb.332:                              ;   in Loop: Header=BB289_187 Depth=1
	v_and_b32_e32 v19, 7, v6
	v_ffbh_u32_e32 v43, v19
	v_min_u32_e32 v43, 32, v43
	v_lshrrev_b32_e32 v41, 3, v18
	v_subrev_u32_e32 v44, 28, v43
	v_sub_u32_e32 v43, 29, v43
	v_cmp_gt_u32_e64 s[0:1], 8, v18
	v_lshlrev_b64 v[44:45], v44, v[6:7]
	v_cndmask_b32_e64 v18, v41, v43, s[0:1]
	v_and_b32_e32 v44, 7, v44
	v_lshlrev_b32_e32 v6, 8, v6
	v_lshl_add_u32 v18, v18, 10, v3
	v_cndmask_b32_e64 v19, v19, v44, s[0:1]
	v_and_or_b32 v6, v6, s23, v18
	v_lshl_or_b32 v6, v19, 7, v6
	v_cvt_f32_f16_e32 v41, v6
.LBB289_333:                            ;   in Loop: Header=BB289_187 Depth=1
	s_or_b64 exec, exec, s[18:19]
.LBB289_334:                            ;   in Loop: Header=BB289_187 Depth=1
	s_or_b64 exec, exec, s[16:17]
.LBB289_335:                            ;   in Loop: Header=BB289_187 Depth=1
	s_or_b64 exec, exec, s[12:13]
	s_waitcnt vmcnt(0)
	v_pk_mul_f32 v[16:17], v[14:15], v[16:17] op_sel_hi:[0,1]
	v_pk_mul_f32 v[12:13], v[14:15], v[12:13] op_sel_hi:[0,1]
	v_cvt_f16_f32_e32 v6, v17
	v_cvt_f16_f32_e32 v16, v16
	;; [unrolled: 1-line block ×4, first 2 shown]
	v_pack_b32_f16 v16, v16, v6
	v_pack_b32_f16 v12, v12, v13
	v_fma_mixlo_f16 v13, v14, v40, 0
	v_perm_b32 v6, v12, v16, s30
	v_perm_b32 v12, v12, v16, s31
	v_lshlrev_b32_e32 v13, 16, v13
	v_fma_mixlo_f16 v16, v14, v39, 0
	v_or_b32_sdwa v13, v13, v16 dst_sel:DWORD dst_unused:UNUSED_PAD src0_sel:DWORD src1_sel:WORD_0
	v_fma_mixlo_f16 v16, v14, v42, 0
	v_fma_mixlo_f16 v14, v14, v41, 0
	v_lshlrev_b32_e32 v14, 16, v14
	v_or_b32_sdwa v14, v14, v16 dst_sel:DWORD dst_unused:UNUSED_PAD src0_sel:DWORD src1_sel:WORD_0
	s_and_saveexec_b64 s[0:1], vcc
	s_cbranch_execz .LBB289_186
; %bb.336:                              ;   in Loop: Header=BB289_187 Depth=1
	v_lshrrev_b32_e32 v17, 16, v12
	v_cmp_gt_i32_e32 vcc, s20, v32
	v_cndmask_b32_e32 v17, 0, v17, vcc
	v_cmp_gt_i32_e32 vcc, s29, v24
	v_cndmask_b32_e32 v12, 0, v12, vcc
	v_perm_b32 v12, v17, v12, s34
	v_lshrrev_b32_e32 v17, 16, v6
	v_cmp_gt_i32_e32 vcc, s20, v31
	v_cndmask_b32_e32 v17, 0, v17, vcc
	v_cmp_gt_i32_e32 vcc, s29, v30
	v_cndmask_b32_e32 v6, 0, v6, vcc
	v_perm_b32 v6, v17, v6, s34
	v_lshrrev_b32_e32 v17, 16, v13
	v_cmp_gt_i32_e32 vcc, s20, v29
	v_cndmask_b32_e32 v17, 0, v17, vcc
	v_cmp_gt_i32_e32 vcc, s29, v28
	v_cndmask_b32_e32 v13, 0, v13, vcc
	v_lshrrev_b32_e32 v14, 16, v14
	v_cmp_gt_i32_e32 vcc, s20, v27
	v_cndmask_b32_e32 v14, 0, v14, vcc
	v_cmp_gt_i32_e32 vcc, s29, v26
	v_cndmask_b32_e32 v16, 0, v16, vcc
	v_perm_b32 v13, v17, v13, s34
	v_perm_b32 v14, v14, v16, s34
	s_branch .LBB289_186
.LBB289_337:
	s_or_b64 exec, exec, s[10:11]
.LBB289_338:
	s_or_b64 exec, exec, s[4:5]
	ds_bpermute_b32 v2, v22, v4
	ds_bpermute_b32 v3, v22, v5
	;; [unrolled: 1-line block ×3, first 2 shown]
	s_waitcnt lgkmcnt(0)
	s_barrier
	v_pk_add_f32 v[2:3], v[4:5], v[2:3]
	v_and_b32_e32 v4, 0x3c1, v0
	v_add_f32_e32 v1, v25, v1
	v_cmp_eq_u32_e32 vcc, 64, v4
	s_and_saveexec_b64 s[0:1], vcc
	s_cbranch_execz .LBB289_340
; %bb.339:
	v_mov_b32_e32 v5, 0xd0
	v_lshl_add_u32 v5, v15, 1, v5
	ds_write2_b32 v5, v2, v3 offset1:32
	ds_write_b32 v5, v1 offset:256
.LBB289_340:
	s_or_b64 exec, exec, s[0:1]
	v_cmp_gt_u32_e32 vcc, 64, v0
	s_waitcnt lgkmcnt(0)
	s_barrier
	s_and_saveexec_b64 s[0:1], vcc
	s_cbranch_execz .LBB289_346
; %bb.341:
	v_cmp_eq_u32_e32 vcc, 0, v23
	v_lshrrev_b32_e32 v5, 1, v0
	s_and_saveexec_b64 s[4:5], vcc
	s_cbranch_execnz .LBB289_349
; %bb.342:
	s_or_b64 exec, exec, s[4:5]
	s_and_saveexec_b64 s[4:5], vcc
	s_cbranch_execnz .LBB289_350
.LBB289_343:
	s_or_b64 exec, exec, s[4:5]
	s_and_saveexec_b64 s[4:5], vcc
	s_cbranch_execz .LBB289_345
.LBB289_344:
	v_mov_b32_e32 v6, 0xd0
	v_lshl_add_u32 v5, v5, 2, v6
	ds_read_b32 v5, v5 offset:256
	s_waitcnt lgkmcnt(0)
	v_add_f32_e32 v1, v1, v5
.LBB289_345:
	s_or_b64 exec, exec, s[4:5]
.LBB289_346:
	s_or_b64 exec, exec, s[0:1]
	v_cmp_eq_u32_e32 vcc, 0, v4
	s_barrier
	s_and_saveexec_b64 s[0:1], vcc
	s_cbranch_execz .LBB289_348
; %bb.347:
	s_mul_i32 s0, s2, 0x60
	s_ashr_i32 s1, s0, 31
	s_lshl_b64 s[0:1], s[0:1], 1
	s_add_u32 s2, s26, s0
	s_mul_i32 s0, s25, s24
	s_addc_u32 s3, s27, s1
	s_ashr_i32 s1, s0, 31
	s_lshl_b64 s[0:1], s[0:1], 1
	s_add_u32 s2, s2, s0
	s_mul_i32 s0, s8, 0x60
	s_addc_u32 s3, s3, s1
	s_ashr_i32 s1, s0, 31
	s_lshl_b64 s[0:1], s[0:1], 1
	s_add_u32 s0, s2, s0
	s_addc_u32 s1, s3, s1
	;;#ASMSTART
	v_cvt_f16_f32 v2, v2;

	;;#ASMEND
	global_store_short v0, v2, s[0:1]
	;;#ASMSTART
	v_cvt_f16_f32 v2, v3;

	;;#ASMEND
	global_store_short v0, v2, s[0:1] offset:64
	;;#ASMSTART
	v_cvt_f16_f32 v1, v1;

	;;#ASMEND
	global_store_short v0, v1, s[0:1] offset:128
.LBB289_348:
	s_endpgm
.LBB289_349:
	v_mov_b32_e32 v6, 0xd0
	v_lshl_add_u32 v6, v5, 2, v6
	ds_read_b32 v6, v6
	s_waitcnt lgkmcnt(0)
	v_add_f32_e32 v2, v2, v6
	s_or_b64 exec, exec, s[4:5]
	s_and_saveexec_b64 s[4:5], vcc
	s_cbranch_execz .LBB289_343
.LBB289_350:
	v_mov_b32_e32 v6, 0xd0
	v_lshl_add_u32 v6, v5, 2, v6
	ds_read_b32 v6, v6 offset:128
	s_waitcnt lgkmcnt(0)
	v_add_f32_e32 v3, v3, v6
	s_or_b64 exec, exec, s[4:5]
	s_and_saveexec_b64 s[4:5], vcc
	s_cbranch_execnz .LBB289_344
	s_branch .LBB289_345
	.section	.rodata,"a",@progbits
	.p2align	6, 0x0
	.amdhsa_kernel _ZN4vllm25paged_attention_v2_kernelIthLi96ELi16ELi128ELNS_18Fp8KVCacheDataTypeE1ELb0ELi512EEEvPfS2_PT_PKS3_PKT0_S9_ifPKiSB_iPKfiiiSD_SD_iiiii
		.amdhsa_group_segment_fixed_size 208
		.amdhsa_private_segment_fixed_size 0
		.amdhsa_kernarg_size 400
		.amdhsa_user_sgpr_count 6
		.amdhsa_user_sgpr_private_segment_buffer 1
		.amdhsa_user_sgpr_dispatch_ptr 0
		.amdhsa_user_sgpr_queue_ptr 0
		.amdhsa_user_sgpr_kernarg_segment_ptr 1
		.amdhsa_user_sgpr_dispatch_id 0
		.amdhsa_user_sgpr_flat_scratch_init 0
		.amdhsa_user_sgpr_kernarg_preload_length 0
		.amdhsa_user_sgpr_kernarg_preload_offset 0
		.amdhsa_user_sgpr_private_segment_size 0
		.amdhsa_uses_dynamic_stack 0
		.amdhsa_system_sgpr_private_segment_wavefront_offset 0
		.amdhsa_system_sgpr_workgroup_id_x 1
		.amdhsa_system_sgpr_workgroup_id_y 1
		.amdhsa_system_sgpr_workgroup_id_z 1
		.amdhsa_system_sgpr_workgroup_info 0
		.amdhsa_system_vgpr_workitem_id 0
		.amdhsa_next_free_vgpr 56
		.amdhsa_next_free_sgpr 53
		.amdhsa_accum_offset 56
		.amdhsa_reserve_vcc 1
		.amdhsa_reserve_flat_scratch 0
		.amdhsa_float_round_mode_32 0
		.amdhsa_float_round_mode_16_64 0
		.amdhsa_float_denorm_mode_32 3
		.amdhsa_float_denorm_mode_16_64 3
		.amdhsa_dx10_clamp 1
		.amdhsa_ieee_mode 1
		.amdhsa_fp16_overflow 0
		.amdhsa_tg_split 0
		.amdhsa_exception_fp_ieee_invalid_op 0
		.amdhsa_exception_fp_denorm_src 0
		.amdhsa_exception_fp_ieee_div_zero 0
		.amdhsa_exception_fp_ieee_overflow 0
		.amdhsa_exception_fp_ieee_underflow 0
		.amdhsa_exception_fp_ieee_inexact 0
		.amdhsa_exception_int_div_zero 0
	.end_amdhsa_kernel
	.section	.text._ZN4vllm25paged_attention_v2_kernelIthLi96ELi16ELi128ELNS_18Fp8KVCacheDataTypeE1ELb0ELi512EEEvPfS2_PT_PKS3_PKT0_S9_ifPKiSB_iPKfiiiSD_SD_iiiii,"axG",@progbits,_ZN4vllm25paged_attention_v2_kernelIthLi96ELi16ELi128ELNS_18Fp8KVCacheDataTypeE1ELb0ELi512EEEvPfS2_PT_PKS3_PKT0_S9_ifPKiSB_iPKfiiiSD_SD_iiiii,comdat
.Lfunc_end289:
	.size	_ZN4vllm25paged_attention_v2_kernelIthLi96ELi16ELi128ELNS_18Fp8KVCacheDataTypeE1ELb0ELi512EEEvPfS2_PT_PKS3_PKT0_S9_ifPKiSB_iPKfiiiSD_SD_iiiii, .Lfunc_end289-_ZN4vllm25paged_attention_v2_kernelIthLi96ELi16ELi128ELNS_18Fp8KVCacheDataTypeE1ELb0ELi512EEEvPfS2_PT_PKS3_PKT0_S9_ifPKiSB_iPKfiiiSD_SD_iiiii
                                        ; -- End function
	.section	.AMDGPU.csdata,"",@progbits
; Kernel info:
; codeLenInByte = 14532
; NumSgprs: 57
; NumVgprs: 56
; NumAgprs: 0
; TotalNumVgprs: 56
; ScratchSize: 0
; MemoryBound: 0
; FloatMode: 240
; IeeeMode: 1
; LDSByteSize: 208 bytes/workgroup (compile time only)
; SGPRBlocks: 7
; VGPRBlocks: 6
; NumSGPRsForWavesPerEU: 57
; NumVGPRsForWavesPerEU: 56
; AccumOffset: 56
; Occupancy: 8
; WaveLimiterHint : 1
; COMPUTE_PGM_RSRC2:SCRATCH_EN: 0
; COMPUTE_PGM_RSRC2:USER_SGPR: 6
; COMPUTE_PGM_RSRC2:TRAP_HANDLER: 0
; COMPUTE_PGM_RSRC2:TGID_X_EN: 1
; COMPUTE_PGM_RSRC2:TGID_Y_EN: 1
; COMPUTE_PGM_RSRC2:TGID_Z_EN: 1
; COMPUTE_PGM_RSRC2:TIDIG_COMP_CNT: 0
; COMPUTE_PGM_RSRC3_GFX90A:ACCUM_OFFSET: 13
; COMPUTE_PGM_RSRC3_GFX90A:TG_SPLIT: 0
	.section	.text._ZN4vllm25paged_attention_v2_kernelIthLi112ELi16ELi128ELNS_18Fp8KVCacheDataTypeE1ELb0ELi512EEEvPfS2_PT_PKS3_PKT0_S9_ifPKiSB_iPKfiiiSD_SD_iiiii,"axG",@progbits,_ZN4vllm25paged_attention_v2_kernelIthLi112ELi16ELi128ELNS_18Fp8KVCacheDataTypeE1ELb0ELi512EEEvPfS2_PT_PKS3_PKT0_S9_ifPKiSB_iPKfiiiSD_SD_iiiii,comdat
	.protected	_ZN4vllm25paged_attention_v2_kernelIthLi112ELi16ELi128ELNS_18Fp8KVCacheDataTypeE1ELb0ELi512EEEvPfS2_PT_PKS3_PKT0_S9_ifPKiSB_iPKfiiiSD_SD_iiiii ; -- Begin function _ZN4vllm25paged_attention_v2_kernelIthLi112ELi16ELi128ELNS_18Fp8KVCacheDataTypeE1ELb0ELi512EEEvPfS2_PT_PKS3_PKT0_S9_ifPKiSB_iPKfiiiSD_SD_iiiii
	.globl	_ZN4vllm25paged_attention_v2_kernelIthLi112ELi16ELi128ELNS_18Fp8KVCacheDataTypeE1ELb0ELi512EEEvPfS2_PT_PKS3_PKT0_S9_ifPKiSB_iPKfiiiSD_SD_iiiii
	.p2align	8
	.type	_ZN4vllm25paged_attention_v2_kernelIthLi112ELi16ELi128ELNS_18Fp8KVCacheDataTypeE1ELb0ELi512EEEvPfS2_PT_PKS3_PKT0_S9_ifPKiSB_iPKfiiiSD_SD_iiiii,@function
_ZN4vllm25paged_attention_v2_kernelIthLi112ELi16ELi128ELNS_18Fp8KVCacheDataTypeE1ELb0ELi512EEEvPfS2_PT_PKS3_PKT0_S9_ifPKiSB_iPKfiiiSD_SD_iiiii: ; @_ZN4vllm25paged_attention_v2_kernelIthLi112ELi16ELi128ELNS_18Fp8KVCacheDataTypeE1ELb0ELi512EEEvPfS2_PT_PKS3_PKT0_S9_ifPKiSB_iPKfiiiSD_SD_iiiii
; %bb.0:
	s_load_dwordx2 s[0:1], s[4:5], 0x40
	s_mov_b32 s28, s7
	s_ashr_i32 s29, s7, 31
	s_lshl_b64 s[2:3], s[28:29], 2
	s_waitcnt lgkmcnt(0)
	s_add_u32 s0, s0, s2
	s_addc_u32 s1, s1, s3
	s_load_dword s29, s[0:1], 0x0
	s_lshl_b32 s46, s8, 9
	s_waitcnt lgkmcnt(0)
	s_cmp_ge_i32 s46, s29
	s_cbranch_scc1 .LBB290_432
; %bb.1:
	s_load_dword s9, s[4:5], 0x90
	s_load_dwordx2 s[10:11], s[4:5], 0x30
	s_waitcnt lgkmcnt(0)
	s_abs_i32 s2, s9
	s_abs_i32 s0, s10
	v_cvt_f32_u32_e32 v1, s0
	s_sub_i32 s3, 0, s0
	s_xor_b32 s1, s9, s10
	s_ashr_i32 s1, s1, 31
	v_rcp_iflag_f32_e32 v1, v1
	v_mul_f32_e32 v1, 0x4f7ffffe, v1
	v_cvt_u32_f32_e32 v1, v1
	v_readfirstlane_b32 s7, v1
	s_mul_i32 s3, s3, s7
	s_mul_hi_u32 s3, s7, s3
	s_add_i32 s7, s7, s3
	s_mul_hi_u32 s3, s2, s7
	s_mul_i32 s7, s3, s0
	s_sub_i32 s2, s2, s7
	s_add_i32 s10, s3, 1
	s_sub_i32 s7, s2, s0
	s_cmp_ge_u32 s2, s0
	s_cselect_b32 s3, s10, s3
	s_cselect_b32 s2, s7, s2
	s_add_i32 s7, s3, 1
	s_cmp_ge_u32 s2, s0
	s_cselect_b32 s0, s7, s3
	s_xor_b32 s0, s0, s1
	s_sub_i32 s14, s0, s1
	s_abs_i32 s2, s14
	v_cvt_f32_u32_e32 v1, s2
	s_load_dwordx2 s[0:1], s[4:5], 0x50
	s_sub_i32 s7, 0, s2
	s_abs_i32 s3, s6
	v_rcp_iflag_f32_e32 v1, v1
	s_mov_b32 s10, 0
	v_mul_f32_e32 v1, 0x4f7ffffe, v1
	v_cvt_u32_f32_e32 v1, v1
	v_readfirstlane_b32 s12, v1
	s_mul_i32 s7, s7, s12
	s_mul_hi_u32 s7, s12, s7
	s_add_i32 s12, s12, s7
	s_waitcnt lgkmcnt(0)
	s_cmp_eq_u64 s[0:1], 0
	s_mul_hi_u32 s12, s3, s12
	s_cbranch_scc1 .LBB290_3
; %bb.2:
	s_ashr_i32 s7, s6, 31
	s_lshl_b64 s[16:17], s[6:7], 2
	s_add_u32 s0, s0, s16
	s_addc_u32 s1, s1, s17
	s_load_dword s10, s[0:1], 0x0
.LBB290_3:
	s_load_dwordx4 s[16:19], s[4:5], 0x58
	s_ashr_i32 s13, s6, 31
	s_ashr_i32 s14, s14, 31
	v_and_b32_e32 v8, 3, v0
	s_mul_i32 s24, s6, 0x70
	v_cmp_gt_u32_e32 vcc, 56, v0
	s_and_saveexec_b64 s[0:1], vcc
	s_cbranch_execz .LBB290_5
; %bb.4:
	s_load_dwordx2 s[20:21], s[4:5], 0x18
	s_waitcnt lgkmcnt(0)
	s_mul_i32 s22, s28, s16
	s_ashr_i32 s23, s22, 31
	s_lshl_b64 s[22:23], s[22:23], 1
	v_lshlrev_b32_e32 v1, 2, v0
	s_add_u32 s7, s20, s22
	s_addc_u32 s15, s21, s23
	s_ashr_i32 s25, s24, 31
	s_lshl_b64 s[20:21], s[24:25], 1
	s_add_u32 s20, s7, s20
	s_addc_u32 s21, s15, s21
	global_load_dword v1, v1, s[20:21]
	v_and_b32_e32 v2, 0x3fc, v0
	v_mad_u32_u24 v2, v8, 56, v2
	s_waitcnt vmcnt(0)
	ds_write_b32 v2, v1
.LBB290_5:
	s_or_b64 exec, exec, s[0:1]
	s_add_i32 s0, s29, 15
	s_ashr_i32 s1, s0, 31
	s_lshr_b32 s1, s1, 28
	s_add_i32 s0, s0, s1
	s_lshl_b32 s7, s8, 5
	s_mul_i32 s1, s12, s2
	s_waitcnt lgkmcnt(0)
	s_ashr_i32 s16, s0, 4
	s_add_i32 s0, s7, 32
	s_sub_i32 s1, s3, s1
	s_min_i32 s33, s0, s16
	s_xor_b32 s0, s13, s14
	s_add_i32 s3, s12, 1
	s_sub_i32 s13, s1, s2
	s_cmp_ge_u32 s1, s2
	s_cselect_b32 s3, s3, s12
	s_cselect_b32 s1, s13, s1
	s_add_i32 s12, s3, 1
	s_cmp_ge_u32 s1, s2
	s_load_dwordx2 s[30:31], s[4:5], 0x38
	s_load_dword s2, s[4:5], 0x48
	v_lshrrev_b32_e32 v14, 6, v0
	s_cselect_b32 s1, s12, s3
	s_xor_b32 s1, s1, s0
	v_or_b32_e32 v2, s7, v14
	s_waitcnt lgkmcnt(0)
	s_mul_i32 s34, s28, s2
	s_sub_i32 s47, s1, s0
	s_ashr_i32 s35, s34, 31
	v_cmp_gt_i32_e64 s[0:1], s33, v2
	v_cmp_le_i32_e32 vcc, s33, v2
	v_mbcnt_lo_u32_b32 v11, -1, 0
	s_barrier
	s_waitcnt lgkmcnt(0)
                                        ; implicit-def: $sgpr19
                                        ; implicit-def: $vgpr7
                                        ; implicit-def: $vgpr10
	s_and_saveexec_b64 s[2:3], vcc
	s_xor_b64 s[2:3], exec, s[2:3]
; %bb.6:
	v_mbcnt_hi_u32_b32 v7, -1, v11
	v_and_b32_e32 v1, 64, v7
	v_add_u32_e32 v10, 64, v1
	s_mov_b32 s19, 0xff7fffff
                                        ; implicit-def: $vgpr8
                                        ; implicit-def: $vgpr11
; %bb.7:
	s_or_saveexec_b64 s[38:39], s[2:3]
	s_load_dwordx4 s[20:23], s[4:5], 0x0
	s_load_dwordx2 s[26:27], s[4:5], 0x10
	s_load_dword s25, s[4:5], 0x98
	s_load_dwordx2 s[36:37], s[4:5], 0x28
	s_load_dwordx4 s[12:15], s[4:5], 0x68
	v_mov_b32_e32 v1, s19
	s_mul_i32 s47, s47, s18
	v_ashrrev_i32_e32 v3, 31, v2
	v_lshlrev_b32_e32 v15, 4, v14
	s_xor_b64 exec, exec, s[38:39]
	s_cbranch_execz .LBB290_181
; %bb.8:
	s_load_dwordx2 s[2:3], s[4:5], 0x20
	s_ashr_i32 s4, s47, 31
	v_bfe_u32 v1, v0, 2, 4
	v_lshlrev_b32_e32 v4, 4, v1
	v_add3_u32 v17, s46, v15, v1
	s_waitcnt lgkmcnt(0)
	s_add_u32 s2, s2, s47
	s_addc_u32 s3, s3, s4
	v_mov_b32_e32 v5, s3
	v_add_co_u32_e32 v4, vcc, s2, v4
	s_sub_i32 s49, 1, s29
	s_lshl_b64 s[4:5], s[34:35], 2
	v_addc_co_u32_e32 v5, vcc, 0, v5, vcc
	v_lshlrev_b32_e32 v1, 2, v1
	s_add_u32 s4, s30, s4
	v_lshlrev_b32_e32 v6, 1, v8
	v_mul_u32_u24_e32 v16, 56, v8
	v_cmp_eq_u32_e32 vcc, 0, v8
	v_lshl_or_b32 v1, v14, 6, v1
	v_lshlrev_b64 v[8:9], 2, v[2:3]
	s_addc_u32 s5, s31, s5
	v_add_u32_e32 v18, 0xf0, v1
	v_mov_b32_e32 v1, s5
	v_add_co_u32_e64 v8, s[4:5], s4, v8
	s_mov_b32 s48, s17
	v_mov_b32_e32 v13, 0
	v_cmp_neq_f32_e64 s[2:3], s10, 0
	v_addc_co_u32_e64 v9, s[4:5], v1, v9, s[4:5]
	s_mov_b64 s[18:19], 0
	v_mov_b32_e32 v1, 0xff7fffff
	s_movk_i32 s50, 0x80
	s_movk_i32 s51, 0x7f
	s_mov_b32 s52, 0x8000
	v_mbcnt_hi_u32_b32 v7, -1, v11
	v_mov_b32_e32 v19, 0x2000
	v_mov_b32_e32 v20, v2
	s_branch .LBB290_10
.LBB290_9:                              ;   in Loop: Header=BB290_10 Depth=1
	s_or_b64 exec, exec, s[40:41]
	v_add_u32_e32 v20, 2, v20
	v_cmp_le_i32_e64 s[4:5], s33, v20
	s_or_b64 s[18:19], s[4:5], s[18:19]
	v_add_co_u32_e64 v8, s[4:5], 8, v8
	v_add_u32_e32 v17, 32, v17
	v_add_u32_e32 v18, 0x80, v18
	v_addc_co_u32_e64 v9, s[4:5], 0, v9, s[4:5]
	s_andn2_b64 exec, exec, s[18:19]
	s_cbranch_execz .LBB290_180
.LBB290_10:                             ; =>This Inner Loop Header: Depth=1
	global_load_dword v10, v[8:9], off
	s_waitcnt vmcnt(0)
	v_mad_i64_i32 v[10:11], s[4:5], v10, s48, v[4:5]
	v_add_co_u32_e64 v10, s[4:5], v10, v6
	v_addc_co_u32_e64 v11, s[4:5], 0, v11, s[4:5]
	global_load_ushort v22, v[10:11], off
	global_load_dword v21, v13, s[12:13]
	s_waitcnt vmcnt(1) lgkmcnt(0)
	v_and_b32_e32 v12, 0xffff, v22
	v_cmp_ne_u16_sdwa s[4:5], v22, v13 src0_sel:BYTE_0 src1_sel:DWORD
	v_mov_b32_e32 v22, 0
	s_and_saveexec_b64 s[40:41], s[4:5]
	s_cbranch_execz .LBB290_16
; %bb.11:                               ;   in Loop: Header=BB290_10 Depth=1
	v_cmp_ne_u16_sdwa s[4:5], v12, s50 src0_sel:BYTE_0 src1_sel:DWORD
	v_bfrev_b32_e32 v22, 1
	s_and_saveexec_b64 s[42:43], s[4:5]
	s_cbranch_execz .LBB290_15
; %bb.12:                               ;   in Loop: Header=BB290_10 Depth=1
	v_and_b32_e32 v23, 0x7f, v12
	v_cmp_ne_u32_e64 s[4:5], s51, v23
	v_mov_b32_e32 v22, 0x7fc02000
	s_and_saveexec_b64 s[44:45], s[4:5]
	s_cbranch_execz .LBB290_14
; %bb.13:                               ;   in Loop: Header=BB290_10 Depth=1
	v_and_b32_e32 v22, 7, v12
	v_ffbh_u32_e32 v24, v22
	v_min_u32_e32 v27, 32, v24
	v_subrev_u32_e32 v24, 28, v27
	v_lshlrev_b64 v[24:25], v24, v[12:13]
	v_lshrrev_b32_e32 v26, 3, v23
	v_sub_u32_e32 v25, 29, v27
	v_cmp_gt_u32_e64 s[4:5], 8, v23
	v_and_b32_e32 v24, 7, v24
	v_cndmask_b32_e64 v23, v26, v25, s[4:5]
	v_cndmask_b32_e64 v22, v22, v24, s[4:5]
	v_lshlrev_b32_e32 v24, 8, v12
	v_lshl_add_u32 v23, v23, 10, v19
	v_and_or_b32 v23, v24, s52, v23
	v_lshl_or_b32 v22, v22, 7, v23
	v_cvt_f32_f16_e32 v22, v22
.LBB290_14:                             ;   in Loop: Header=BB290_10 Depth=1
	s_or_b64 exec, exec, s[44:45]
.LBB290_15:                             ;   in Loop: Header=BB290_10 Depth=1
	s_or_b64 exec, exec, s[42:43]
.LBB290_16:                             ;   in Loop: Header=BB290_10 Depth=1
	s_or_b64 exec, exec, s[40:41]
	v_lshrrev_b16_e32 v12, 8, v12
	v_cmp_ne_u16_e64 s[4:5], 0, v12
	v_mov_b32_e32 v23, 0
	v_mov_b32_e32 v24, 0
	s_and_saveexec_b64 s[40:41], s[4:5]
	s_cbranch_execz .LBB290_22
; %bb.17:                               ;   in Loop: Header=BB290_10 Depth=1
	v_cmp_ne_u16_e64 s[4:5], s50, v12
	v_bfrev_b32_e32 v24, 1
	s_and_saveexec_b64 s[42:43], s[4:5]
	s_cbranch_execz .LBB290_21
; %bb.18:                               ;   in Loop: Header=BB290_10 Depth=1
	v_and_b32_e32 v25, 0x7f, v12
	v_cmp_ne_u32_e64 s[4:5], s51, v25
	v_mov_b32_e32 v24, 0x7fc02000
	s_and_saveexec_b64 s[44:45], s[4:5]
	s_cbranch_execz .LBB290_20
; %bb.19:                               ;   in Loop: Header=BB290_10 Depth=1
	v_and_b32_e32 v24, 7, v12
	v_ffbh_u32_e32 v26, v24
	v_min_u32_e32 v29, 32, v26
	v_subrev_u32_e32 v26, 28, v29
	v_lshlrev_b64 v[26:27], v26, v[12:13]
	v_lshrrev_b32_e32 v28, 3, v25
	v_sub_u32_e32 v27, 29, v29
	v_cmp_gt_u32_e64 s[4:5], 8, v25
	v_cndmask_b32_e64 v25, v28, v27, s[4:5]
	v_and_b32_e32 v26, 7, v26
	v_lshlrev_b32_e32 v12, 8, v12
	v_lshl_add_u32 v25, v25, 10, v19
	v_cndmask_b32_e64 v24, v24, v26, s[4:5]
	v_and_or_b32 v12, v12, s52, v25
	v_lshl_or_b32 v12, v24, 7, v12
	v_cvt_f32_f16_e32 v24, v12
.LBB290_20:                             ;   in Loop: Header=BB290_10 Depth=1
	s_or_b64 exec, exec, s[44:45]
.LBB290_21:                             ;   in Loop: Header=BB290_10 Depth=1
	s_or_b64 exec, exec, s[42:43]
.LBB290_22:                             ;   in Loop: Header=BB290_10 Depth=1
	s_or_b64 exec, exec, s[40:41]
	global_load_ushort v25, v[10:11], off offset:8
	s_waitcnt vmcnt(0)
	v_and_b32_e32 v12, 0xffff, v25
	v_cmp_ne_u16_sdwa s[4:5], v25, v13 src0_sel:BYTE_0 src1_sel:DWORD
	s_and_saveexec_b64 s[40:41], s[4:5]
	s_cbranch_execz .LBB290_28
; %bb.23:                               ;   in Loop: Header=BB290_10 Depth=1
	v_cmp_ne_u16_sdwa s[4:5], v12, s50 src0_sel:BYTE_0 src1_sel:DWORD
	v_bfrev_b32_e32 v23, 1
	s_and_saveexec_b64 s[42:43], s[4:5]
	s_cbranch_execz .LBB290_27
; %bb.24:                               ;   in Loop: Header=BB290_10 Depth=1
	v_and_b32_e32 v25, 0x7f, v12
	v_cmp_ne_u32_e64 s[4:5], s51, v25
	v_mov_b32_e32 v23, 0x7fc02000
	s_and_saveexec_b64 s[44:45], s[4:5]
	s_cbranch_execz .LBB290_26
; %bb.25:                               ;   in Loop: Header=BB290_10 Depth=1
	v_and_b32_e32 v23, 7, v12
	v_ffbh_u32_e32 v26, v23
	v_min_u32_e32 v29, 32, v26
	v_subrev_u32_e32 v26, 28, v29
	v_lshlrev_b64 v[26:27], v26, v[12:13]
	v_lshrrev_b32_e32 v28, 3, v25
	v_sub_u32_e32 v27, 29, v29
	v_cmp_gt_u32_e64 s[4:5], 8, v25
	v_and_b32_e32 v26, 7, v26
	v_cndmask_b32_e64 v25, v28, v27, s[4:5]
	v_cndmask_b32_e64 v23, v23, v26, s[4:5]
	v_lshlrev_b32_e32 v26, 8, v12
	v_lshl_add_u32 v25, v25, 10, v19
	v_and_or_b32 v25, v26, s52, v25
	v_lshl_or_b32 v23, v23, 7, v25
	v_cvt_f32_f16_e32 v23, v23
.LBB290_26:                             ;   in Loop: Header=BB290_10 Depth=1
	s_or_b64 exec, exec, s[44:45]
.LBB290_27:                             ;   in Loop: Header=BB290_10 Depth=1
	s_or_b64 exec, exec, s[42:43]
.LBB290_28:                             ;   in Loop: Header=BB290_10 Depth=1
	s_or_b64 exec, exec, s[40:41]
	v_lshrrev_b16_e32 v12, 8, v12
	v_cmp_ne_u16_e64 s[4:5], 0, v12
	v_mov_b32_e32 v25, 0
	v_mov_b32_e32 v26, 0
	s_and_saveexec_b64 s[40:41], s[4:5]
	s_cbranch_execz .LBB290_34
; %bb.29:                               ;   in Loop: Header=BB290_10 Depth=1
	v_cmp_ne_u16_e64 s[4:5], s50, v12
	v_bfrev_b32_e32 v26, 1
	s_and_saveexec_b64 s[42:43], s[4:5]
	s_cbranch_execz .LBB290_33
; %bb.30:                               ;   in Loop: Header=BB290_10 Depth=1
	v_and_b32_e32 v27, 0x7f, v12
	v_cmp_ne_u32_e64 s[4:5], s51, v27
	v_mov_b32_e32 v26, 0x7fc02000
	s_and_saveexec_b64 s[44:45], s[4:5]
	s_cbranch_execz .LBB290_32
; %bb.31:                               ;   in Loop: Header=BB290_10 Depth=1
	v_and_b32_e32 v26, 7, v12
	v_ffbh_u32_e32 v28, v26
	v_min_u32_e32 v31, 32, v28
	v_subrev_u32_e32 v28, 28, v31
	v_lshlrev_b64 v[28:29], v28, v[12:13]
	v_lshrrev_b32_e32 v30, 3, v27
	v_sub_u32_e32 v29, 29, v31
	v_cmp_gt_u32_e64 s[4:5], 8, v27
	v_cndmask_b32_e64 v27, v30, v29, s[4:5]
	v_and_b32_e32 v28, 7, v28
	v_lshlrev_b32_e32 v12, 8, v12
	v_lshl_add_u32 v27, v27, 10, v19
	v_cndmask_b32_e64 v26, v26, v28, s[4:5]
	v_and_or_b32 v12, v12, s52, v27
	v_lshl_or_b32 v12, v26, 7, v12
	v_cvt_f32_f16_e32 v26, v12
.LBB290_32:                             ;   in Loop: Header=BB290_10 Depth=1
	s_or_b64 exec, exec, s[44:45]
.LBB290_33:                             ;   in Loop: Header=BB290_10 Depth=1
	s_or_b64 exec, exec, s[42:43]
.LBB290_34:                             ;   in Loop: Header=BB290_10 Depth=1
	s_or_b64 exec, exec, s[40:41]
	global_load_ushort v27, v[10:11], off offset:256
	s_waitcnt vmcnt(0)
	v_and_b32_e32 v12, 0xffff, v27
	v_cmp_ne_u16_sdwa s[4:5], v27, v13 src0_sel:BYTE_0 src1_sel:DWORD
	s_and_saveexec_b64 s[40:41], s[4:5]
	s_cbranch_execz .LBB290_40
; %bb.35:                               ;   in Loop: Header=BB290_10 Depth=1
	v_cmp_ne_u16_sdwa s[4:5], v12, s50 src0_sel:BYTE_0 src1_sel:DWORD
	v_bfrev_b32_e32 v25, 1
	s_and_saveexec_b64 s[42:43], s[4:5]
	s_cbranch_execz .LBB290_39
; %bb.36:                               ;   in Loop: Header=BB290_10 Depth=1
	v_and_b32_e32 v27, 0x7f, v12
	v_cmp_ne_u32_e64 s[4:5], s51, v27
	v_mov_b32_e32 v25, 0x7fc02000
	s_and_saveexec_b64 s[44:45], s[4:5]
	s_cbranch_execz .LBB290_38
; %bb.37:                               ;   in Loop: Header=BB290_10 Depth=1
	v_and_b32_e32 v25, 7, v12
	v_ffbh_u32_e32 v28, v25
	v_min_u32_e32 v31, 32, v28
	v_subrev_u32_e32 v28, 28, v31
	v_lshlrev_b64 v[28:29], v28, v[12:13]
	v_lshrrev_b32_e32 v30, 3, v27
	v_sub_u32_e32 v29, 29, v31
	v_cmp_gt_u32_e64 s[4:5], 8, v27
	v_and_b32_e32 v28, 7, v28
	v_cndmask_b32_e64 v27, v30, v29, s[4:5]
	v_cndmask_b32_e64 v25, v25, v28, s[4:5]
	v_lshlrev_b32_e32 v28, 8, v12
	v_lshl_add_u32 v27, v27, 10, v19
	v_and_or_b32 v27, v28, s52, v27
	v_lshl_or_b32 v25, v25, 7, v27
	v_cvt_f32_f16_e32 v25, v25
.LBB290_38:                             ;   in Loop: Header=BB290_10 Depth=1
	s_or_b64 exec, exec, s[44:45]
.LBB290_39:                             ;   in Loop: Header=BB290_10 Depth=1
	s_or_b64 exec, exec, s[42:43]
.LBB290_40:                             ;   in Loop: Header=BB290_10 Depth=1
	s_or_b64 exec, exec, s[40:41]
	v_lshrrev_b16_e32 v12, 8, v12
	v_cmp_ne_u16_e64 s[4:5], 0, v12
	v_mov_b32_e32 v27, 0
	v_mov_b32_e32 v28, 0
	s_and_saveexec_b64 s[40:41], s[4:5]
	s_cbranch_execz .LBB290_46
; %bb.41:                               ;   in Loop: Header=BB290_10 Depth=1
	v_cmp_ne_u16_e64 s[4:5], s50, v12
	v_bfrev_b32_e32 v28, 1
	s_and_saveexec_b64 s[42:43], s[4:5]
	s_cbranch_execz .LBB290_45
; %bb.42:                               ;   in Loop: Header=BB290_10 Depth=1
	v_and_b32_e32 v29, 0x7f, v12
	v_cmp_ne_u32_e64 s[4:5], s51, v29
	v_mov_b32_e32 v28, 0x7fc02000
	s_and_saveexec_b64 s[44:45], s[4:5]
	s_cbranch_execz .LBB290_44
; %bb.43:                               ;   in Loop: Header=BB290_10 Depth=1
	v_and_b32_e32 v28, 7, v12
	v_ffbh_u32_e32 v30, v28
	v_min_u32_e32 v33, 32, v30
	v_subrev_u32_e32 v30, 28, v33
	v_lshlrev_b64 v[30:31], v30, v[12:13]
	v_lshrrev_b32_e32 v32, 3, v29
	v_sub_u32_e32 v31, 29, v33
	v_cmp_gt_u32_e64 s[4:5], 8, v29
	v_cndmask_b32_e64 v29, v32, v31, s[4:5]
	v_and_b32_e32 v30, 7, v30
	v_lshlrev_b32_e32 v12, 8, v12
	v_lshl_add_u32 v29, v29, 10, v19
	v_cndmask_b32_e64 v28, v28, v30, s[4:5]
	v_and_or_b32 v12, v12, s52, v29
	v_lshl_or_b32 v12, v28, 7, v12
	v_cvt_f32_f16_e32 v28, v12
.LBB290_44:                             ;   in Loop: Header=BB290_10 Depth=1
	s_or_b64 exec, exec, s[44:45]
.LBB290_45:                             ;   in Loop: Header=BB290_10 Depth=1
	s_or_b64 exec, exec, s[42:43]
.LBB290_46:                             ;   in Loop: Header=BB290_10 Depth=1
	s_or_b64 exec, exec, s[40:41]
	global_load_ushort v29, v[10:11], off offset:264
	s_waitcnt vmcnt(0)
	v_and_b32_e32 v12, 0xffff, v29
	v_cmp_ne_u16_sdwa s[4:5], v29, v13 src0_sel:BYTE_0 src1_sel:DWORD
	s_and_saveexec_b64 s[40:41], s[4:5]
	s_cbranch_execz .LBB290_52
; %bb.47:                               ;   in Loop: Header=BB290_10 Depth=1
	v_cmp_ne_u16_sdwa s[4:5], v12, s50 src0_sel:BYTE_0 src1_sel:DWORD
	v_bfrev_b32_e32 v27, 1
	s_and_saveexec_b64 s[42:43], s[4:5]
	s_cbranch_execz .LBB290_51
; %bb.48:                               ;   in Loop: Header=BB290_10 Depth=1
	v_and_b32_e32 v29, 0x7f, v12
	v_cmp_ne_u32_e64 s[4:5], s51, v29
	v_mov_b32_e32 v27, 0x7fc02000
	s_and_saveexec_b64 s[44:45], s[4:5]
	s_cbranch_execz .LBB290_50
; %bb.49:                               ;   in Loop: Header=BB290_10 Depth=1
	v_and_b32_e32 v27, 7, v12
	v_ffbh_u32_e32 v30, v27
	v_min_u32_e32 v33, 32, v30
	v_subrev_u32_e32 v30, 28, v33
	v_lshlrev_b64 v[30:31], v30, v[12:13]
	v_lshrrev_b32_e32 v32, 3, v29
	v_sub_u32_e32 v31, 29, v33
	v_cmp_gt_u32_e64 s[4:5], 8, v29
	v_and_b32_e32 v30, 7, v30
	v_cndmask_b32_e64 v29, v32, v31, s[4:5]
	v_cndmask_b32_e64 v27, v27, v30, s[4:5]
	v_lshlrev_b32_e32 v30, 8, v12
	v_lshl_add_u32 v29, v29, 10, v19
	v_and_or_b32 v29, v30, s52, v29
	v_lshl_or_b32 v27, v27, 7, v29
	v_cvt_f32_f16_e32 v27, v27
.LBB290_50:                             ;   in Loop: Header=BB290_10 Depth=1
	s_or_b64 exec, exec, s[44:45]
.LBB290_51:                             ;   in Loop: Header=BB290_10 Depth=1
	s_or_b64 exec, exec, s[42:43]
.LBB290_52:                             ;   in Loop: Header=BB290_10 Depth=1
	s_or_b64 exec, exec, s[40:41]
	v_lshrrev_b16_e32 v12, 8, v12
	v_cmp_ne_u16_e64 s[4:5], 0, v12
	v_mov_b32_e32 v29, 0
	v_mov_b32_e32 v30, 0
	s_and_saveexec_b64 s[40:41], s[4:5]
	s_cbranch_execz .LBB290_58
; %bb.53:                               ;   in Loop: Header=BB290_10 Depth=1
	v_cmp_ne_u16_e64 s[4:5], s50, v12
	v_bfrev_b32_e32 v30, 1
	s_and_saveexec_b64 s[42:43], s[4:5]
	s_cbranch_execz .LBB290_57
; %bb.54:                               ;   in Loop: Header=BB290_10 Depth=1
	v_and_b32_e32 v31, 0x7f, v12
	v_cmp_ne_u32_e64 s[4:5], s51, v31
	v_mov_b32_e32 v30, 0x7fc02000
	s_and_saveexec_b64 s[44:45], s[4:5]
	s_cbranch_execz .LBB290_56
; %bb.55:                               ;   in Loop: Header=BB290_10 Depth=1
	v_and_b32_e32 v30, 7, v12
	v_ffbh_u32_e32 v32, v30
	v_min_u32_e32 v35, 32, v32
	v_subrev_u32_e32 v32, 28, v35
	v_lshlrev_b64 v[32:33], v32, v[12:13]
	v_lshrrev_b32_e32 v34, 3, v31
	v_sub_u32_e32 v33, 29, v35
	v_cmp_gt_u32_e64 s[4:5], 8, v31
	v_cndmask_b32_e64 v31, v34, v33, s[4:5]
	v_and_b32_e32 v32, 7, v32
	v_lshlrev_b32_e32 v12, 8, v12
	v_lshl_add_u32 v31, v31, 10, v19
	v_cndmask_b32_e64 v30, v30, v32, s[4:5]
	v_and_or_b32 v12, v12, s52, v31
	v_lshl_or_b32 v12, v30, 7, v12
	v_cvt_f32_f16_e32 v30, v12
.LBB290_56:                             ;   in Loop: Header=BB290_10 Depth=1
	s_or_b64 exec, exec, s[44:45]
.LBB290_57:                             ;   in Loop: Header=BB290_10 Depth=1
	s_or_b64 exec, exec, s[42:43]
.LBB290_58:                             ;   in Loop: Header=BB290_10 Depth=1
	s_or_b64 exec, exec, s[40:41]
	global_load_ushort v31, v[10:11], off offset:512
	s_waitcnt vmcnt(0)
	v_and_b32_e32 v12, 0xffff, v31
	v_cmp_ne_u16_sdwa s[4:5], v31, v13 src0_sel:BYTE_0 src1_sel:DWORD
	s_and_saveexec_b64 s[40:41], s[4:5]
	s_cbranch_execz .LBB290_64
; %bb.59:                               ;   in Loop: Header=BB290_10 Depth=1
	v_cmp_ne_u16_sdwa s[4:5], v12, s50 src0_sel:BYTE_0 src1_sel:DWORD
	v_bfrev_b32_e32 v29, 1
	s_and_saveexec_b64 s[42:43], s[4:5]
	s_cbranch_execz .LBB290_63
; %bb.60:                               ;   in Loop: Header=BB290_10 Depth=1
	v_and_b32_e32 v31, 0x7f, v12
	v_cmp_ne_u32_e64 s[4:5], s51, v31
	v_mov_b32_e32 v29, 0x7fc02000
	s_and_saveexec_b64 s[44:45], s[4:5]
	s_cbranch_execz .LBB290_62
; %bb.61:                               ;   in Loop: Header=BB290_10 Depth=1
	v_and_b32_e32 v29, 7, v12
	v_ffbh_u32_e32 v32, v29
	v_min_u32_e32 v35, 32, v32
	v_subrev_u32_e32 v32, 28, v35
	v_lshlrev_b64 v[32:33], v32, v[12:13]
	v_lshrrev_b32_e32 v34, 3, v31
	v_sub_u32_e32 v33, 29, v35
	v_cmp_gt_u32_e64 s[4:5], 8, v31
	v_and_b32_e32 v32, 7, v32
	v_cndmask_b32_e64 v31, v34, v33, s[4:5]
	v_cndmask_b32_e64 v29, v29, v32, s[4:5]
	v_lshlrev_b32_e32 v32, 8, v12
	v_lshl_add_u32 v31, v31, 10, v19
	v_and_or_b32 v31, v32, s52, v31
	v_lshl_or_b32 v29, v29, 7, v31
	v_cvt_f32_f16_e32 v29, v29
.LBB290_62:                             ;   in Loop: Header=BB290_10 Depth=1
	s_or_b64 exec, exec, s[44:45]
.LBB290_63:                             ;   in Loop: Header=BB290_10 Depth=1
	s_or_b64 exec, exec, s[42:43]
.LBB290_64:                             ;   in Loop: Header=BB290_10 Depth=1
	s_or_b64 exec, exec, s[40:41]
	v_lshrrev_b16_e32 v12, 8, v12
	v_cmp_ne_u16_e64 s[4:5], 0, v12
	v_mov_b32_e32 v31, 0
	v_mov_b32_e32 v32, 0
	s_and_saveexec_b64 s[40:41], s[4:5]
	s_cbranch_execz .LBB290_70
; %bb.65:                               ;   in Loop: Header=BB290_10 Depth=1
	v_cmp_ne_u16_e64 s[4:5], s50, v12
	v_bfrev_b32_e32 v32, 1
	s_and_saveexec_b64 s[42:43], s[4:5]
	s_cbranch_execz .LBB290_69
; %bb.66:                               ;   in Loop: Header=BB290_10 Depth=1
	v_and_b32_e32 v33, 0x7f, v12
	v_cmp_ne_u32_e64 s[4:5], s51, v33
	v_mov_b32_e32 v32, 0x7fc02000
	s_and_saveexec_b64 s[44:45], s[4:5]
	s_cbranch_execz .LBB290_68
; %bb.67:                               ;   in Loop: Header=BB290_10 Depth=1
	v_and_b32_e32 v32, 7, v12
	v_ffbh_u32_e32 v34, v32
	v_min_u32_e32 v37, 32, v34
	v_subrev_u32_e32 v34, 28, v37
	v_lshlrev_b64 v[34:35], v34, v[12:13]
	v_lshrrev_b32_e32 v36, 3, v33
	v_sub_u32_e32 v35, 29, v37
	v_cmp_gt_u32_e64 s[4:5], 8, v33
	v_cndmask_b32_e64 v33, v36, v35, s[4:5]
	v_and_b32_e32 v34, 7, v34
	v_lshlrev_b32_e32 v12, 8, v12
	v_lshl_add_u32 v33, v33, 10, v19
	v_cndmask_b32_e64 v32, v32, v34, s[4:5]
	v_and_or_b32 v12, v12, s52, v33
	v_lshl_or_b32 v12, v32, 7, v12
	v_cvt_f32_f16_e32 v32, v12
.LBB290_68:                             ;   in Loop: Header=BB290_10 Depth=1
	s_or_b64 exec, exec, s[44:45]
.LBB290_69:                             ;   in Loop: Header=BB290_10 Depth=1
	s_or_b64 exec, exec, s[42:43]
.LBB290_70:                             ;   in Loop: Header=BB290_10 Depth=1
	s_or_b64 exec, exec, s[40:41]
	global_load_ushort v33, v[10:11], off offset:520
	s_waitcnt vmcnt(0)
	v_and_b32_e32 v12, 0xffff, v33
	v_cmp_ne_u16_sdwa s[4:5], v33, v13 src0_sel:BYTE_0 src1_sel:DWORD
	s_and_saveexec_b64 s[40:41], s[4:5]
	s_cbranch_execz .LBB290_76
; %bb.71:                               ;   in Loop: Header=BB290_10 Depth=1
	v_cmp_ne_u16_sdwa s[4:5], v12, s50 src0_sel:BYTE_0 src1_sel:DWORD
	v_bfrev_b32_e32 v31, 1
	s_and_saveexec_b64 s[42:43], s[4:5]
	s_cbranch_execz .LBB290_75
; %bb.72:                               ;   in Loop: Header=BB290_10 Depth=1
	v_and_b32_e32 v33, 0x7f, v12
	v_cmp_ne_u32_e64 s[4:5], s51, v33
	v_mov_b32_e32 v31, 0x7fc02000
	s_and_saveexec_b64 s[44:45], s[4:5]
	s_cbranch_execz .LBB290_74
; %bb.73:                               ;   in Loop: Header=BB290_10 Depth=1
	v_and_b32_e32 v31, 7, v12
	v_ffbh_u32_e32 v34, v31
	v_min_u32_e32 v37, 32, v34
	v_subrev_u32_e32 v34, 28, v37
	v_lshlrev_b64 v[34:35], v34, v[12:13]
	v_lshrrev_b32_e32 v36, 3, v33
	v_sub_u32_e32 v35, 29, v37
	v_cmp_gt_u32_e64 s[4:5], 8, v33
	v_and_b32_e32 v34, 7, v34
	v_cndmask_b32_e64 v33, v36, v35, s[4:5]
	v_cndmask_b32_e64 v31, v31, v34, s[4:5]
	v_lshlrev_b32_e32 v34, 8, v12
	v_lshl_add_u32 v33, v33, 10, v19
	v_and_or_b32 v33, v34, s52, v33
	v_lshl_or_b32 v31, v31, 7, v33
	v_cvt_f32_f16_e32 v31, v31
.LBB290_74:                             ;   in Loop: Header=BB290_10 Depth=1
	s_or_b64 exec, exec, s[44:45]
.LBB290_75:                             ;   in Loop: Header=BB290_10 Depth=1
	s_or_b64 exec, exec, s[42:43]
.LBB290_76:                             ;   in Loop: Header=BB290_10 Depth=1
	s_or_b64 exec, exec, s[40:41]
	v_lshrrev_b16_e32 v12, 8, v12
	v_cmp_ne_u16_e64 s[4:5], 0, v12
	v_mov_b32_e32 v33, 0
	v_mov_b32_e32 v34, 0
	s_and_saveexec_b64 s[40:41], s[4:5]
	s_cbranch_execz .LBB290_82
; %bb.77:                               ;   in Loop: Header=BB290_10 Depth=1
	v_cmp_ne_u16_e64 s[4:5], s50, v12
	v_bfrev_b32_e32 v34, 1
	s_and_saveexec_b64 s[42:43], s[4:5]
	s_cbranch_execz .LBB290_81
; %bb.78:                               ;   in Loop: Header=BB290_10 Depth=1
	v_and_b32_e32 v35, 0x7f, v12
	v_cmp_ne_u32_e64 s[4:5], s51, v35
	v_mov_b32_e32 v34, 0x7fc02000
	s_and_saveexec_b64 s[44:45], s[4:5]
	s_cbranch_execz .LBB290_80
; %bb.79:                               ;   in Loop: Header=BB290_10 Depth=1
	v_and_b32_e32 v34, 7, v12
	v_ffbh_u32_e32 v36, v34
	v_min_u32_e32 v39, 32, v36
	v_subrev_u32_e32 v36, 28, v39
	v_lshlrev_b64 v[36:37], v36, v[12:13]
	v_lshrrev_b32_e32 v38, 3, v35
	v_sub_u32_e32 v37, 29, v39
	v_cmp_gt_u32_e64 s[4:5], 8, v35
	v_cndmask_b32_e64 v35, v38, v37, s[4:5]
	v_and_b32_e32 v36, 7, v36
	v_lshlrev_b32_e32 v12, 8, v12
	v_lshl_add_u32 v35, v35, 10, v19
	v_cndmask_b32_e64 v34, v34, v36, s[4:5]
	v_and_or_b32 v12, v12, s52, v35
	v_lshl_or_b32 v12, v34, 7, v12
	v_cvt_f32_f16_e32 v34, v12
.LBB290_80:                             ;   in Loop: Header=BB290_10 Depth=1
	s_or_b64 exec, exec, s[44:45]
.LBB290_81:                             ;   in Loop: Header=BB290_10 Depth=1
	s_or_b64 exec, exec, s[42:43]
.LBB290_82:                             ;   in Loop: Header=BB290_10 Depth=1
	s_or_b64 exec, exec, s[40:41]
	global_load_ushort v35, v[10:11], off offset:768
	s_waitcnt vmcnt(0)
	v_and_b32_e32 v12, 0xffff, v35
	v_cmp_ne_u16_sdwa s[4:5], v35, v13 src0_sel:BYTE_0 src1_sel:DWORD
	s_and_saveexec_b64 s[40:41], s[4:5]
	s_cbranch_execz .LBB290_88
; %bb.83:                               ;   in Loop: Header=BB290_10 Depth=1
	v_cmp_ne_u16_sdwa s[4:5], v12, s50 src0_sel:BYTE_0 src1_sel:DWORD
	v_bfrev_b32_e32 v33, 1
	s_and_saveexec_b64 s[42:43], s[4:5]
	s_cbranch_execz .LBB290_87
; %bb.84:                               ;   in Loop: Header=BB290_10 Depth=1
	v_and_b32_e32 v35, 0x7f, v12
	v_cmp_ne_u32_e64 s[4:5], s51, v35
	v_mov_b32_e32 v33, 0x7fc02000
	s_and_saveexec_b64 s[44:45], s[4:5]
	s_cbranch_execz .LBB290_86
; %bb.85:                               ;   in Loop: Header=BB290_10 Depth=1
	v_and_b32_e32 v33, 7, v12
	v_ffbh_u32_e32 v36, v33
	v_min_u32_e32 v39, 32, v36
	v_subrev_u32_e32 v36, 28, v39
	v_lshlrev_b64 v[36:37], v36, v[12:13]
	v_lshrrev_b32_e32 v38, 3, v35
	v_sub_u32_e32 v37, 29, v39
	v_cmp_gt_u32_e64 s[4:5], 8, v35
	v_and_b32_e32 v36, 7, v36
	v_cndmask_b32_e64 v35, v38, v37, s[4:5]
	v_cndmask_b32_e64 v33, v33, v36, s[4:5]
	v_lshlrev_b32_e32 v36, 8, v12
	v_lshl_add_u32 v35, v35, 10, v19
	v_and_or_b32 v35, v36, s52, v35
	v_lshl_or_b32 v33, v33, 7, v35
	v_cvt_f32_f16_e32 v33, v33
.LBB290_86:                             ;   in Loop: Header=BB290_10 Depth=1
	s_or_b64 exec, exec, s[44:45]
.LBB290_87:                             ;   in Loop: Header=BB290_10 Depth=1
	s_or_b64 exec, exec, s[42:43]
.LBB290_88:                             ;   in Loop: Header=BB290_10 Depth=1
	s_or_b64 exec, exec, s[40:41]
	v_lshrrev_b16_e32 v12, 8, v12
	v_cmp_ne_u16_e64 s[4:5], 0, v12
	v_mov_b32_e32 v36, 0
	v_mov_b32_e32 v35, 0
	s_and_saveexec_b64 s[40:41], s[4:5]
	s_cbranch_execz .LBB290_94
; %bb.89:                               ;   in Loop: Header=BB290_10 Depth=1
	v_cmp_ne_u16_e64 s[4:5], s50, v12
	v_bfrev_b32_e32 v35, 1
	s_and_saveexec_b64 s[42:43], s[4:5]
	s_cbranch_execz .LBB290_93
; %bb.90:                               ;   in Loop: Header=BB290_10 Depth=1
	v_and_b32_e32 v37, 0x7f, v12
	v_cmp_ne_u32_e64 s[4:5], s51, v37
	v_mov_b32_e32 v35, 0x7fc02000
	s_and_saveexec_b64 s[44:45], s[4:5]
	s_cbranch_execz .LBB290_92
; %bb.91:                               ;   in Loop: Header=BB290_10 Depth=1
	v_and_b32_e32 v35, 7, v12
	v_ffbh_u32_e32 v38, v35
	v_min_u32_e32 v41, 32, v38
	v_subrev_u32_e32 v38, 28, v41
	v_lshlrev_b64 v[38:39], v38, v[12:13]
	v_lshrrev_b32_e32 v40, 3, v37
	v_sub_u32_e32 v39, 29, v41
	v_cmp_gt_u32_e64 s[4:5], 8, v37
	v_cndmask_b32_e64 v37, v40, v39, s[4:5]
	v_and_b32_e32 v38, 7, v38
	v_lshlrev_b32_e32 v12, 8, v12
	v_lshl_add_u32 v37, v37, 10, v19
	v_cndmask_b32_e64 v35, v35, v38, s[4:5]
	v_and_or_b32 v12, v12, s52, v37
	v_lshl_or_b32 v12, v35, 7, v12
	v_cvt_f32_f16_e32 v35, v12
.LBB290_92:                             ;   in Loop: Header=BB290_10 Depth=1
	s_or_b64 exec, exec, s[44:45]
.LBB290_93:                             ;   in Loop: Header=BB290_10 Depth=1
	s_or_b64 exec, exec, s[42:43]
.LBB290_94:                             ;   in Loop: Header=BB290_10 Depth=1
	s_or_b64 exec, exec, s[40:41]
	global_load_ushort v37, v[10:11], off offset:776
	s_waitcnt vmcnt(0)
	v_and_b32_e32 v12, 0xffff, v37
	v_cmp_ne_u16_sdwa s[4:5], v37, v13 src0_sel:BYTE_0 src1_sel:DWORD
	s_and_saveexec_b64 s[40:41], s[4:5]
	s_cbranch_execz .LBB290_100
; %bb.95:                               ;   in Loop: Header=BB290_10 Depth=1
	v_cmp_ne_u16_sdwa s[4:5], v12, s50 src0_sel:BYTE_0 src1_sel:DWORD
	v_bfrev_b32_e32 v36, 1
	s_and_saveexec_b64 s[42:43], s[4:5]
	s_cbranch_execz .LBB290_99
; %bb.96:                               ;   in Loop: Header=BB290_10 Depth=1
	v_and_b32_e32 v37, 0x7f, v12
	v_cmp_ne_u32_e64 s[4:5], s51, v37
	v_mov_b32_e32 v36, 0x7fc02000
	s_and_saveexec_b64 s[44:45], s[4:5]
	s_cbranch_execz .LBB290_98
; %bb.97:                               ;   in Loop: Header=BB290_10 Depth=1
	v_and_b32_e32 v36, 7, v12
	v_ffbh_u32_e32 v38, v36
	v_min_u32_e32 v41, 32, v38
	v_subrev_u32_e32 v38, 28, v41
	v_lshlrev_b64 v[38:39], v38, v[12:13]
	v_lshrrev_b32_e32 v40, 3, v37
	v_sub_u32_e32 v39, 29, v41
	v_cmp_gt_u32_e64 s[4:5], 8, v37
	v_and_b32_e32 v38, 7, v38
	v_cndmask_b32_e64 v37, v40, v39, s[4:5]
	v_cndmask_b32_e64 v36, v36, v38, s[4:5]
	v_lshlrev_b32_e32 v38, 8, v12
	v_lshl_add_u32 v37, v37, 10, v19
	v_and_or_b32 v37, v38, s52, v37
	v_lshl_or_b32 v36, v36, 7, v37
	v_cvt_f32_f16_e32 v36, v36
.LBB290_98:                             ;   in Loop: Header=BB290_10 Depth=1
	s_or_b64 exec, exec, s[44:45]
.LBB290_99:                             ;   in Loop: Header=BB290_10 Depth=1
	s_or_b64 exec, exec, s[42:43]
.LBB290_100:                            ;   in Loop: Header=BB290_10 Depth=1
	s_or_b64 exec, exec, s[40:41]
	v_lshrrev_b16_e32 v12, 8, v12
	v_cmp_ne_u16_e64 s[4:5], 0, v12
	v_mov_b32_e32 v38, 0
	v_mov_b32_e32 v37, 0
	s_and_saveexec_b64 s[40:41], s[4:5]
	s_cbranch_execz .LBB290_106
; %bb.101:                              ;   in Loop: Header=BB290_10 Depth=1
	v_cmp_ne_u16_e64 s[4:5], s50, v12
	v_bfrev_b32_e32 v37, 1
	s_and_saveexec_b64 s[42:43], s[4:5]
	s_cbranch_execz .LBB290_105
; %bb.102:                              ;   in Loop: Header=BB290_10 Depth=1
	v_and_b32_e32 v39, 0x7f, v12
	v_cmp_ne_u32_e64 s[4:5], s51, v39
	v_mov_b32_e32 v37, 0x7fc02000
	s_and_saveexec_b64 s[44:45], s[4:5]
	s_cbranch_execz .LBB290_104
; %bb.103:                              ;   in Loop: Header=BB290_10 Depth=1
	v_and_b32_e32 v37, 7, v12
	v_ffbh_u32_e32 v40, v37
	v_min_u32_e32 v43, 32, v40
	v_subrev_u32_e32 v40, 28, v43
	v_lshlrev_b64 v[40:41], v40, v[12:13]
	v_lshrrev_b32_e32 v42, 3, v39
	v_sub_u32_e32 v41, 29, v43
	v_cmp_gt_u32_e64 s[4:5], 8, v39
	v_cndmask_b32_e64 v39, v42, v41, s[4:5]
	v_and_b32_e32 v40, 7, v40
	v_lshlrev_b32_e32 v12, 8, v12
	v_lshl_add_u32 v39, v39, 10, v19
	v_cndmask_b32_e64 v37, v37, v40, s[4:5]
	v_and_or_b32 v12, v12, s52, v39
	v_lshl_or_b32 v12, v37, 7, v12
	v_cvt_f32_f16_e32 v37, v12
.LBB290_104:                            ;   in Loop: Header=BB290_10 Depth=1
	s_or_b64 exec, exec, s[44:45]
.LBB290_105:                            ;   in Loop: Header=BB290_10 Depth=1
	s_or_b64 exec, exec, s[42:43]
.LBB290_106:                            ;   in Loop: Header=BB290_10 Depth=1
	s_or_b64 exec, exec, s[40:41]
	global_load_ushort v39, v[10:11], off offset:1024
	s_waitcnt vmcnt(0)
	v_and_b32_e32 v12, 0xffff, v39
	v_cmp_ne_u16_sdwa s[4:5], v39, v13 src0_sel:BYTE_0 src1_sel:DWORD
	s_and_saveexec_b64 s[40:41], s[4:5]
	s_cbranch_execz .LBB290_112
; %bb.107:                              ;   in Loop: Header=BB290_10 Depth=1
	v_cmp_ne_u16_sdwa s[4:5], v12, s50 src0_sel:BYTE_0 src1_sel:DWORD
	v_bfrev_b32_e32 v38, 1
	s_and_saveexec_b64 s[42:43], s[4:5]
	s_cbranch_execz .LBB290_111
; %bb.108:                              ;   in Loop: Header=BB290_10 Depth=1
	v_and_b32_e32 v39, 0x7f, v12
	v_cmp_ne_u32_e64 s[4:5], s51, v39
	v_mov_b32_e32 v38, 0x7fc02000
	s_and_saveexec_b64 s[44:45], s[4:5]
	s_cbranch_execz .LBB290_110
; %bb.109:                              ;   in Loop: Header=BB290_10 Depth=1
	v_and_b32_e32 v38, 7, v12
	v_ffbh_u32_e32 v40, v38
	v_min_u32_e32 v43, 32, v40
	v_subrev_u32_e32 v40, 28, v43
	v_lshlrev_b64 v[40:41], v40, v[12:13]
	v_lshrrev_b32_e32 v42, 3, v39
	v_sub_u32_e32 v41, 29, v43
	v_cmp_gt_u32_e64 s[4:5], 8, v39
	v_and_b32_e32 v40, 7, v40
	v_cndmask_b32_e64 v39, v42, v41, s[4:5]
	v_cndmask_b32_e64 v38, v38, v40, s[4:5]
	v_lshlrev_b32_e32 v40, 8, v12
	v_lshl_add_u32 v39, v39, 10, v19
	v_and_or_b32 v39, v40, s52, v39
	v_lshl_or_b32 v38, v38, 7, v39
	v_cvt_f32_f16_e32 v38, v38
.LBB290_110:                            ;   in Loop: Header=BB290_10 Depth=1
	s_or_b64 exec, exec, s[44:45]
.LBB290_111:                            ;   in Loop: Header=BB290_10 Depth=1
	s_or_b64 exec, exec, s[42:43]
.LBB290_112:                            ;   in Loop: Header=BB290_10 Depth=1
	s_or_b64 exec, exec, s[40:41]
	v_lshrrev_b16_e32 v12, 8, v12
	v_cmp_ne_u16_e64 s[4:5], 0, v12
	v_mov_b32_e32 v40, 0
	v_mov_b32_e32 v39, 0
	s_and_saveexec_b64 s[40:41], s[4:5]
	s_cbranch_execz .LBB290_118
; %bb.113:                              ;   in Loop: Header=BB290_10 Depth=1
	v_cmp_ne_u16_e64 s[4:5], s50, v12
	v_bfrev_b32_e32 v39, 1
	s_and_saveexec_b64 s[42:43], s[4:5]
	s_cbranch_execz .LBB290_117
; %bb.114:                              ;   in Loop: Header=BB290_10 Depth=1
	v_and_b32_e32 v41, 0x7f, v12
	v_cmp_ne_u32_e64 s[4:5], s51, v41
	v_mov_b32_e32 v39, 0x7fc02000
	s_and_saveexec_b64 s[44:45], s[4:5]
	s_cbranch_execz .LBB290_116
; %bb.115:                              ;   in Loop: Header=BB290_10 Depth=1
	v_and_b32_e32 v39, 7, v12
	v_ffbh_u32_e32 v42, v39
	v_min_u32_e32 v45, 32, v42
	v_subrev_u32_e32 v42, 28, v45
	v_lshlrev_b64 v[42:43], v42, v[12:13]
	v_lshrrev_b32_e32 v44, 3, v41
	v_sub_u32_e32 v43, 29, v45
	v_cmp_gt_u32_e64 s[4:5], 8, v41
	v_cndmask_b32_e64 v41, v44, v43, s[4:5]
	v_and_b32_e32 v42, 7, v42
	v_lshlrev_b32_e32 v12, 8, v12
	v_lshl_add_u32 v41, v41, 10, v19
	v_cndmask_b32_e64 v39, v39, v42, s[4:5]
	v_and_or_b32 v12, v12, s52, v41
	v_lshl_or_b32 v12, v39, 7, v12
	v_cvt_f32_f16_e32 v39, v12
.LBB290_116:                            ;   in Loop: Header=BB290_10 Depth=1
	s_or_b64 exec, exec, s[44:45]
.LBB290_117:                            ;   in Loop: Header=BB290_10 Depth=1
	s_or_b64 exec, exec, s[42:43]
.LBB290_118:                            ;   in Loop: Header=BB290_10 Depth=1
	s_or_b64 exec, exec, s[40:41]
	global_load_ushort v41, v[10:11], off offset:1032
	s_waitcnt vmcnt(0)
	v_and_b32_e32 v12, 0xffff, v41
	v_cmp_ne_u16_sdwa s[4:5], v41, v13 src0_sel:BYTE_0 src1_sel:DWORD
	s_and_saveexec_b64 s[40:41], s[4:5]
	s_cbranch_execz .LBB290_124
; %bb.119:                              ;   in Loop: Header=BB290_10 Depth=1
	v_cmp_ne_u16_sdwa s[4:5], v12, s50 src0_sel:BYTE_0 src1_sel:DWORD
	v_bfrev_b32_e32 v40, 1
	s_and_saveexec_b64 s[42:43], s[4:5]
	s_cbranch_execz .LBB290_123
; %bb.120:                              ;   in Loop: Header=BB290_10 Depth=1
	v_and_b32_e32 v41, 0x7f, v12
	v_cmp_ne_u32_e64 s[4:5], s51, v41
	v_mov_b32_e32 v40, 0x7fc02000
	s_and_saveexec_b64 s[44:45], s[4:5]
	s_cbranch_execz .LBB290_122
; %bb.121:                              ;   in Loop: Header=BB290_10 Depth=1
	v_and_b32_e32 v40, 7, v12
	v_ffbh_u32_e32 v42, v40
	v_min_u32_e32 v45, 32, v42
	v_subrev_u32_e32 v42, 28, v45
	v_lshlrev_b64 v[42:43], v42, v[12:13]
	v_lshrrev_b32_e32 v44, 3, v41
	v_sub_u32_e32 v43, 29, v45
	v_cmp_gt_u32_e64 s[4:5], 8, v41
	v_and_b32_e32 v42, 7, v42
	v_cndmask_b32_e64 v41, v44, v43, s[4:5]
	v_cndmask_b32_e64 v40, v40, v42, s[4:5]
	v_lshlrev_b32_e32 v42, 8, v12
	v_lshl_add_u32 v41, v41, 10, v19
	v_and_or_b32 v41, v42, s52, v41
	v_lshl_or_b32 v40, v40, 7, v41
	v_cvt_f32_f16_e32 v40, v40
.LBB290_122:                            ;   in Loop: Header=BB290_10 Depth=1
	s_or_b64 exec, exec, s[44:45]
.LBB290_123:                            ;   in Loop: Header=BB290_10 Depth=1
	s_or_b64 exec, exec, s[42:43]
.LBB290_124:                            ;   in Loop: Header=BB290_10 Depth=1
	s_or_b64 exec, exec, s[40:41]
	v_lshrrev_b16_e32 v12, 8, v12
	v_cmp_ne_u16_e64 s[4:5], 0, v12
	v_mov_b32_e32 v42, 0
	v_mov_b32_e32 v41, 0
	s_and_saveexec_b64 s[40:41], s[4:5]
	s_cbranch_execz .LBB290_130
; %bb.125:                              ;   in Loop: Header=BB290_10 Depth=1
	v_cmp_ne_u16_e64 s[4:5], s50, v12
	v_bfrev_b32_e32 v41, 1
	s_and_saveexec_b64 s[42:43], s[4:5]
	s_cbranch_execz .LBB290_129
; %bb.126:                              ;   in Loop: Header=BB290_10 Depth=1
	v_and_b32_e32 v43, 0x7f, v12
	v_cmp_ne_u32_e64 s[4:5], s51, v43
	v_mov_b32_e32 v41, 0x7fc02000
	s_and_saveexec_b64 s[44:45], s[4:5]
	s_cbranch_execz .LBB290_128
; %bb.127:                              ;   in Loop: Header=BB290_10 Depth=1
	v_and_b32_e32 v41, 7, v12
	v_ffbh_u32_e32 v44, v41
	v_min_u32_e32 v47, 32, v44
	v_subrev_u32_e32 v44, 28, v47
	v_lshlrev_b64 v[44:45], v44, v[12:13]
	v_lshrrev_b32_e32 v46, 3, v43
	v_sub_u32_e32 v45, 29, v47
	v_cmp_gt_u32_e64 s[4:5], 8, v43
	v_cndmask_b32_e64 v43, v46, v45, s[4:5]
	v_and_b32_e32 v44, 7, v44
	v_lshlrev_b32_e32 v12, 8, v12
	v_lshl_add_u32 v43, v43, 10, v19
	v_cndmask_b32_e64 v41, v41, v44, s[4:5]
	v_and_or_b32 v12, v12, s52, v43
	v_lshl_or_b32 v12, v41, 7, v12
	v_cvt_f32_f16_e32 v41, v12
.LBB290_128:                            ;   in Loop: Header=BB290_10 Depth=1
	s_or_b64 exec, exec, s[44:45]
.LBB290_129:                            ;   in Loop: Header=BB290_10 Depth=1
	s_or_b64 exec, exec, s[42:43]
.LBB290_130:                            ;   in Loop: Header=BB290_10 Depth=1
	s_or_b64 exec, exec, s[40:41]
	global_load_ushort v43, v[10:11], off offset:1280
	s_waitcnt vmcnt(0)
	v_and_b32_e32 v12, 0xffff, v43
	v_cmp_ne_u16_sdwa s[4:5], v43, v13 src0_sel:BYTE_0 src1_sel:DWORD
	s_and_saveexec_b64 s[40:41], s[4:5]
	s_cbranch_execz .LBB290_136
; %bb.131:                              ;   in Loop: Header=BB290_10 Depth=1
	v_cmp_ne_u16_sdwa s[4:5], v12, s50 src0_sel:BYTE_0 src1_sel:DWORD
	v_bfrev_b32_e32 v42, 1
	s_and_saveexec_b64 s[42:43], s[4:5]
	s_cbranch_execz .LBB290_135
; %bb.132:                              ;   in Loop: Header=BB290_10 Depth=1
	v_and_b32_e32 v43, 0x7f, v12
	v_cmp_ne_u32_e64 s[4:5], s51, v43
	v_mov_b32_e32 v42, 0x7fc02000
	s_and_saveexec_b64 s[44:45], s[4:5]
	s_cbranch_execz .LBB290_134
; %bb.133:                              ;   in Loop: Header=BB290_10 Depth=1
	v_and_b32_e32 v42, 7, v12
	v_ffbh_u32_e32 v44, v42
	v_min_u32_e32 v47, 32, v44
	v_subrev_u32_e32 v44, 28, v47
	v_lshlrev_b64 v[44:45], v44, v[12:13]
	v_lshrrev_b32_e32 v46, 3, v43
	v_sub_u32_e32 v45, 29, v47
	v_cmp_gt_u32_e64 s[4:5], 8, v43
	v_and_b32_e32 v44, 7, v44
	v_cndmask_b32_e64 v43, v46, v45, s[4:5]
	v_cndmask_b32_e64 v42, v42, v44, s[4:5]
	v_lshlrev_b32_e32 v44, 8, v12
	v_lshl_add_u32 v43, v43, 10, v19
	v_and_or_b32 v43, v44, s52, v43
	v_lshl_or_b32 v42, v42, 7, v43
	v_cvt_f32_f16_e32 v42, v42
.LBB290_134:                            ;   in Loop: Header=BB290_10 Depth=1
	s_or_b64 exec, exec, s[44:45]
.LBB290_135:                            ;   in Loop: Header=BB290_10 Depth=1
	s_or_b64 exec, exec, s[42:43]
.LBB290_136:                            ;   in Loop: Header=BB290_10 Depth=1
	s_or_b64 exec, exec, s[40:41]
	v_lshrrev_b16_e32 v12, 8, v12
	v_cmp_ne_u16_e64 s[4:5], 0, v12
	v_mov_b32_e32 v44, 0
	v_mov_b32_e32 v43, 0
	s_and_saveexec_b64 s[40:41], s[4:5]
	s_cbranch_execz .LBB290_142
; %bb.137:                              ;   in Loop: Header=BB290_10 Depth=1
	v_cmp_ne_u16_e64 s[4:5], s50, v12
	v_bfrev_b32_e32 v43, 1
	s_and_saveexec_b64 s[42:43], s[4:5]
	s_cbranch_execz .LBB290_141
; %bb.138:                              ;   in Loop: Header=BB290_10 Depth=1
	v_and_b32_e32 v45, 0x7f, v12
	v_cmp_ne_u32_e64 s[4:5], s51, v45
	v_mov_b32_e32 v43, 0x7fc02000
	s_and_saveexec_b64 s[44:45], s[4:5]
	s_cbranch_execz .LBB290_140
; %bb.139:                              ;   in Loop: Header=BB290_10 Depth=1
	v_and_b32_e32 v43, 7, v12
	v_ffbh_u32_e32 v46, v43
	v_min_u32_e32 v49, 32, v46
	v_subrev_u32_e32 v46, 28, v49
	v_lshlrev_b64 v[46:47], v46, v[12:13]
	v_lshrrev_b32_e32 v48, 3, v45
	v_sub_u32_e32 v47, 29, v49
	v_cmp_gt_u32_e64 s[4:5], 8, v45
	v_cndmask_b32_e64 v45, v48, v47, s[4:5]
	v_and_b32_e32 v46, 7, v46
	v_lshlrev_b32_e32 v12, 8, v12
	v_lshl_add_u32 v45, v45, 10, v19
	v_cndmask_b32_e64 v43, v43, v46, s[4:5]
	v_and_or_b32 v12, v12, s52, v45
	v_lshl_or_b32 v12, v43, 7, v12
	v_cvt_f32_f16_e32 v43, v12
.LBB290_140:                            ;   in Loop: Header=BB290_10 Depth=1
	s_or_b64 exec, exec, s[44:45]
.LBB290_141:                            ;   in Loop: Header=BB290_10 Depth=1
	s_or_b64 exec, exec, s[42:43]
.LBB290_142:                            ;   in Loop: Header=BB290_10 Depth=1
	s_or_b64 exec, exec, s[40:41]
	global_load_ushort v45, v[10:11], off offset:1288
	s_waitcnt vmcnt(0)
	v_and_b32_e32 v12, 0xffff, v45
	v_cmp_ne_u16_sdwa s[4:5], v45, v13 src0_sel:BYTE_0 src1_sel:DWORD
	s_and_saveexec_b64 s[40:41], s[4:5]
	s_cbranch_execz .LBB290_148
; %bb.143:                              ;   in Loop: Header=BB290_10 Depth=1
	v_cmp_ne_u16_sdwa s[4:5], v12, s50 src0_sel:BYTE_0 src1_sel:DWORD
	v_bfrev_b32_e32 v44, 1
	s_and_saveexec_b64 s[42:43], s[4:5]
	s_cbranch_execz .LBB290_147
; %bb.144:                              ;   in Loop: Header=BB290_10 Depth=1
	v_and_b32_e32 v45, 0x7f, v12
	v_cmp_ne_u32_e64 s[4:5], s51, v45
	v_mov_b32_e32 v44, 0x7fc02000
	s_and_saveexec_b64 s[44:45], s[4:5]
	s_cbranch_execz .LBB290_146
; %bb.145:                              ;   in Loop: Header=BB290_10 Depth=1
	v_and_b32_e32 v44, 7, v12
	v_ffbh_u32_e32 v46, v44
	v_min_u32_e32 v49, 32, v46
	v_subrev_u32_e32 v46, 28, v49
	v_lshlrev_b64 v[46:47], v46, v[12:13]
	v_lshrrev_b32_e32 v48, 3, v45
	v_sub_u32_e32 v47, 29, v49
	v_cmp_gt_u32_e64 s[4:5], 8, v45
	v_and_b32_e32 v46, 7, v46
	v_cndmask_b32_e64 v45, v48, v47, s[4:5]
	v_cndmask_b32_e64 v44, v44, v46, s[4:5]
	v_lshlrev_b32_e32 v46, 8, v12
	v_lshl_add_u32 v45, v45, 10, v19
	v_and_or_b32 v45, v46, s52, v45
	v_lshl_or_b32 v44, v44, 7, v45
	v_cvt_f32_f16_e32 v44, v44
.LBB290_146:                            ;   in Loop: Header=BB290_10 Depth=1
	s_or_b64 exec, exec, s[44:45]
.LBB290_147:                            ;   in Loop: Header=BB290_10 Depth=1
	s_or_b64 exec, exec, s[42:43]
.LBB290_148:                            ;   in Loop: Header=BB290_10 Depth=1
	s_or_b64 exec, exec, s[40:41]
	v_lshrrev_b16_e32 v12, 8, v12
	v_cmp_ne_u16_e64 s[4:5], 0, v12
	v_mov_b32_e32 v46, 0
	v_mov_b32_e32 v45, 0
	s_and_saveexec_b64 s[40:41], s[4:5]
	s_cbranch_execz .LBB290_154
; %bb.149:                              ;   in Loop: Header=BB290_10 Depth=1
	v_cmp_ne_u16_e64 s[4:5], s50, v12
	v_bfrev_b32_e32 v45, 1
	s_and_saveexec_b64 s[42:43], s[4:5]
	s_cbranch_execz .LBB290_153
; %bb.150:                              ;   in Loop: Header=BB290_10 Depth=1
	v_and_b32_e32 v47, 0x7f, v12
	v_cmp_ne_u32_e64 s[4:5], s51, v47
	v_mov_b32_e32 v45, 0x7fc02000
	s_and_saveexec_b64 s[44:45], s[4:5]
	s_cbranch_execz .LBB290_152
; %bb.151:                              ;   in Loop: Header=BB290_10 Depth=1
	v_and_b32_e32 v45, 7, v12
	v_ffbh_u32_e32 v48, v45
	v_min_u32_e32 v51, 32, v48
	v_subrev_u32_e32 v48, 28, v51
	v_lshlrev_b64 v[48:49], v48, v[12:13]
	v_lshrrev_b32_e32 v50, 3, v47
	v_sub_u32_e32 v49, 29, v51
	v_cmp_gt_u32_e64 s[4:5], 8, v47
	v_cndmask_b32_e64 v47, v50, v49, s[4:5]
	v_and_b32_e32 v48, 7, v48
	v_lshlrev_b32_e32 v12, 8, v12
	v_lshl_add_u32 v47, v47, 10, v19
	v_cndmask_b32_e64 v45, v45, v48, s[4:5]
	v_and_or_b32 v12, v12, s52, v47
	v_lshl_or_b32 v12, v45, 7, v12
	v_cvt_f32_f16_e32 v45, v12
.LBB290_152:                            ;   in Loop: Header=BB290_10 Depth=1
	s_or_b64 exec, exec, s[44:45]
.LBB290_153:                            ;   in Loop: Header=BB290_10 Depth=1
	s_or_b64 exec, exec, s[42:43]
.LBB290_154:                            ;   in Loop: Header=BB290_10 Depth=1
	s_or_b64 exec, exec, s[40:41]
	global_load_ushort v47, v[10:11], off offset:1536
	s_waitcnt vmcnt(0)
	v_and_b32_e32 v12, 0xffff, v47
	v_cmp_ne_u16_sdwa s[4:5], v47, v13 src0_sel:BYTE_0 src1_sel:DWORD
	s_and_saveexec_b64 s[40:41], s[4:5]
	s_cbranch_execz .LBB290_160
; %bb.155:                              ;   in Loop: Header=BB290_10 Depth=1
	v_cmp_ne_u16_sdwa s[4:5], v12, s50 src0_sel:BYTE_0 src1_sel:DWORD
	v_bfrev_b32_e32 v46, 1
	s_and_saveexec_b64 s[42:43], s[4:5]
	s_cbranch_execz .LBB290_159
; %bb.156:                              ;   in Loop: Header=BB290_10 Depth=1
	v_and_b32_e32 v47, 0x7f, v12
	v_cmp_ne_u32_e64 s[4:5], s51, v47
	v_mov_b32_e32 v46, 0x7fc02000
	s_and_saveexec_b64 s[44:45], s[4:5]
	s_cbranch_execz .LBB290_158
; %bb.157:                              ;   in Loop: Header=BB290_10 Depth=1
	v_and_b32_e32 v46, 7, v12
	v_ffbh_u32_e32 v48, v46
	v_min_u32_e32 v51, 32, v48
	v_subrev_u32_e32 v48, 28, v51
	v_lshlrev_b64 v[48:49], v48, v[12:13]
	v_lshrrev_b32_e32 v50, 3, v47
	v_sub_u32_e32 v49, 29, v51
	v_cmp_gt_u32_e64 s[4:5], 8, v47
	v_and_b32_e32 v48, 7, v48
	v_cndmask_b32_e64 v47, v50, v49, s[4:5]
	v_cndmask_b32_e64 v46, v46, v48, s[4:5]
	v_lshlrev_b32_e32 v48, 8, v12
	v_lshl_add_u32 v47, v47, 10, v19
	v_and_or_b32 v47, v48, s52, v47
	v_lshl_or_b32 v46, v46, 7, v47
	v_cvt_f32_f16_e32 v46, v46
.LBB290_158:                            ;   in Loop: Header=BB290_10 Depth=1
	s_or_b64 exec, exec, s[44:45]
.LBB290_159:                            ;   in Loop: Header=BB290_10 Depth=1
	s_or_b64 exec, exec, s[42:43]
.LBB290_160:                            ;   in Loop: Header=BB290_10 Depth=1
	s_or_b64 exec, exec, s[40:41]
	v_lshrrev_b16_e32 v12, 8, v12
	v_cmp_ne_u16_e64 s[4:5], 0, v12
	v_mov_b32_e32 v47, 0
	v_mov_b32_e32 v48, 0
	s_and_saveexec_b64 s[40:41], s[4:5]
	s_cbranch_execz .LBB290_166
; %bb.161:                              ;   in Loop: Header=BB290_10 Depth=1
	v_cmp_ne_u16_e64 s[4:5], s50, v12
	v_bfrev_b32_e32 v48, 1
	s_and_saveexec_b64 s[42:43], s[4:5]
	s_cbranch_execz .LBB290_165
; %bb.162:                              ;   in Loop: Header=BB290_10 Depth=1
	v_and_b32_e32 v49, 0x7f, v12
	v_cmp_ne_u32_e64 s[4:5], s51, v49
	v_mov_b32_e32 v48, 0x7fc02000
	s_and_saveexec_b64 s[44:45], s[4:5]
	s_cbranch_execz .LBB290_164
; %bb.163:                              ;   in Loop: Header=BB290_10 Depth=1
	v_and_b32_e32 v48, 7, v12
	v_ffbh_u32_e32 v50, v48
	v_min_u32_e32 v53, 32, v50
	v_subrev_u32_e32 v50, 28, v53
	v_lshlrev_b64 v[50:51], v50, v[12:13]
	v_lshrrev_b32_e32 v52, 3, v49
	v_sub_u32_e32 v51, 29, v53
	v_cmp_gt_u32_e64 s[4:5], 8, v49
	v_cndmask_b32_e64 v49, v52, v51, s[4:5]
	v_and_b32_e32 v50, 7, v50
	v_lshlrev_b32_e32 v12, 8, v12
	v_lshl_add_u32 v49, v49, 10, v19
	v_cndmask_b32_e64 v48, v48, v50, s[4:5]
	v_and_or_b32 v12, v12, s52, v49
	v_lshl_or_b32 v12, v48, 7, v12
	v_cvt_f32_f16_e32 v48, v12
.LBB290_164:                            ;   in Loop: Header=BB290_10 Depth=1
	s_or_b64 exec, exec, s[44:45]
.LBB290_165:                            ;   in Loop: Header=BB290_10 Depth=1
	s_or_b64 exec, exec, s[42:43]
.LBB290_166:                            ;   in Loop: Header=BB290_10 Depth=1
	s_or_b64 exec, exec, s[40:41]
	global_load_ushort v11, v[10:11], off offset:1544
	s_waitcnt vmcnt(0)
	v_and_b32_e32 v10, 0xffff, v11
	v_cmp_ne_u16_sdwa s[4:5], v11, v13 src0_sel:BYTE_0 src1_sel:DWORD
	s_and_saveexec_b64 s[40:41], s[4:5]
	s_cbranch_execz .LBB290_172
; %bb.167:                              ;   in Loop: Header=BB290_10 Depth=1
	v_cmp_ne_u16_sdwa s[4:5], v10, s50 src0_sel:BYTE_0 src1_sel:DWORD
	v_bfrev_b32_e32 v47, 1
	s_and_saveexec_b64 s[42:43], s[4:5]
	s_cbranch_execz .LBB290_171
; %bb.168:                              ;   in Loop: Header=BB290_10 Depth=1
	v_and_b32_e32 v11, 0x7f, v10
	v_cmp_ne_u32_e64 s[4:5], s51, v11
	v_mov_b32_e32 v47, 0x7fc02000
	s_and_saveexec_b64 s[44:45], s[4:5]
	s_cbranch_execz .LBB290_170
; %bb.169:                              ;   in Loop: Header=BB290_10 Depth=1
	v_and_b32_e32 v12, 7, v10
	v_ffbh_u32_e32 v49, v12
	v_min_u32_e32 v49, 32, v49
	v_lshrrev_b32_e32 v47, 3, v11
	v_subrev_u32_e32 v50, 28, v49
	v_sub_u32_e32 v49, 29, v49
	v_cmp_gt_u32_e64 s[4:5], 8, v11
	v_lshlrev_b64 v[50:51], v50, v[10:11]
	v_cndmask_b32_e64 v11, v47, v49, s[4:5]
	v_and_b32_e32 v50, 7, v50
	v_lshlrev_b32_e32 v47, 8, v10
	v_lshl_add_u32 v11, v11, 10, v19
	v_cndmask_b32_e64 v12, v12, v50, s[4:5]
	v_and_or_b32 v11, v47, s52, v11
	v_lshl_or_b32 v11, v12, 7, v11
	v_cvt_f32_f16_e32 v47, v11
.LBB290_170:                            ;   in Loop: Header=BB290_10 Depth=1
	s_or_b64 exec, exec, s[44:45]
.LBB290_171:                            ;   in Loop: Header=BB290_10 Depth=1
	s_or_b64 exec, exec, s[42:43]
.LBB290_172:                            ;   in Loop: Header=BB290_10 Depth=1
	s_or_b64 exec, exec, s[40:41]
	v_lshrrev_b16_e32 v10, 8, v10
	v_cmp_ne_u16_e64 s[4:5], 0, v10
	v_mov_b32_e32 v11, 0
	s_and_saveexec_b64 s[40:41], s[4:5]
	s_cbranch_execz .LBB290_178
; %bb.173:                              ;   in Loop: Header=BB290_10 Depth=1
	v_cmp_ne_u16_e64 s[4:5], s50, v10
	v_bfrev_b32_e32 v11, 1
	s_and_saveexec_b64 s[42:43], s[4:5]
	s_cbranch_execz .LBB290_177
; %bb.174:                              ;   in Loop: Header=BB290_10 Depth=1
	v_and_b32_e32 v12, 0x7f, v10
	v_cmp_ne_u32_e64 s[4:5], s51, v12
	v_mov_b32_e32 v11, 0x7fc02000
	s_and_saveexec_b64 s[44:45], s[4:5]
	s_cbranch_execz .LBB290_176
; %bb.175:                              ;   in Loop: Header=BB290_10 Depth=1
	v_and_b32_e32 v11, 7, v10
	v_ffbh_u32_e32 v50, v11
	v_min_u32_e32 v52, 32, v50
	v_subrev_u32_e32 v50, 28, v52
	v_lshlrev_b64 v[50:51], v50, v[10:11]
	v_lshrrev_b32_e32 v49, 3, v12
	v_sub_u32_e32 v51, 29, v52
	v_cmp_gt_u32_e64 s[4:5], 8, v12
	v_cndmask_b32_e64 v12, v49, v51, s[4:5]
	v_and_b32_e32 v50, 7, v50
	v_lshlrev_b32_e32 v10, 8, v10
	v_lshl_add_u32 v12, v12, 10, v19
	v_cndmask_b32_e64 v11, v11, v50, s[4:5]
	v_and_or_b32 v10, v10, s52, v12
	v_lshl_or_b32 v10, v11, 7, v10
	v_cvt_f32_f16_e32 v11, v10
.LBB290_176:                            ;   in Loop: Header=BB290_10 Depth=1
	s_or_b64 exec, exec, s[44:45]
.LBB290_177:                            ;   in Loop: Header=BB290_10 Depth=1
	s_or_b64 exec, exec, s[42:43]
.LBB290_178:                            ;   in Loop: Header=BB290_10 Depth=1
	s_or_b64 exec, exec, s[40:41]
	ds_read_b32 v10, v16
	v_fma_mixlo_f16 v12, v21, v22, 0
	v_fma_mixlo_f16 v22, v21, v24, 0
	v_and_b32_e32 v12, 0xffff, v12
	v_and_b32_e32 v22, 0xffff, v22
	s_waitcnt lgkmcnt(0)
	v_lshrrev_b32_e32 v24, 16, v10
	v_and_b32_e32 v10, 0xffff, v10
	;;#ASMSTART
	v_cvt_f32_f16 v10, v10;
	;;#ASMEND
	;;#ASMSTART
	v_cvt_f32_f16 v24, v24;
	;;#ASMEND
	;;#ASMSTART
	v_cvt_f32_f16 v12, v12;
	;;#ASMEND
	;;#ASMSTART
	v_cvt_f32_f16 v22, v22;
	;;#ASMEND
	ds_read_b32 v49, v16 offset:4
	v_fma_mixlo_f16 v23, v21, v23, 0
	v_fma_mixlo_f16 v26, v21, v26, 0
	v_and_b32_e32 v23, 0xffff, v23
	v_and_b32_e32 v26, 0xffff, v26
	s_waitcnt lgkmcnt(0)
	v_lshrrev_b32_e32 v50, 16, v49
	v_and_b32_e32 v49, 0xffff, v49
	;;#ASMSTART
	v_cvt_f32_f16 v49, v49;
	;;#ASMEND
	;;#ASMSTART
	v_cvt_f32_f16 v50, v50;
	;;#ASMEND
	;;#ASMSTART
	v_cvt_f32_f16 v23, v23;
	;;#ASMEND
	;;#ASMSTART
	v_cvt_f32_f16 v26, v26;
	;;#ASMEND
	ds_read_b32 v51, v16 offset:8
	v_fma_mixlo_f16 v25, v21, v25, 0
	v_fma_mixlo_f16 v28, v21, v28, 0
	v_and_b32_e32 v25, 0xffff, v25
	v_and_b32_e32 v28, 0xffff, v28
	s_waitcnt lgkmcnt(0)
	v_lshrrev_b32_e32 v52, 16, v51
	v_and_b32_e32 v51, 0xffff, v51
	;;#ASMSTART
	v_cvt_f32_f16 v51, v51;
	;;#ASMEND
	;;#ASMSTART
	v_cvt_f32_f16 v52, v52;
	;;#ASMEND
	;;#ASMSTART
	v_cvt_f32_f16 v25, v25;
	;;#ASMEND
	;;#ASMSTART
	v_cvt_f32_f16 v28, v28;
	;;#ASMEND
	ds_read_b32 v53, v16 offset:12
	v_fma_mixlo_f16 v27, v21, v27, 0
	v_fma_mixlo_f16 v30, v21, v30, 0
	v_and_b32_e32 v27, 0xffff, v27
	v_and_b32_e32 v30, 0xffff, v30
	s_waitcnt lgkmcnt(0)
	v_lshrrev_b32_e32 v54, 16, v53
	v_and_b32_e32 v53, 0xffff, v53
	;;#ASMSTART
	v_cvt_f32_f16 v53, v53;
	;;#ASMEND
	;;#ASMSTART
	v_cvt_f32_f16 v54, v54;
	;;#ASMEND
	;;#ASMSTART
	v_cvt_f32_f16 v27, v27;
	;;#ASMEND
	;;#ASMSTART
	v_cvt_f32_f16 v30, v30;
	;;#ASMEND
	ds_read_b32 v55, v16 offset:16
	v_fma_mixlo_f16 v29, v21, v29, 0
	v_fma_mixlo_f16 v32, v21, v32, 0
	v_and_b32_e32 v29, 0xffff, v29
	v_and_b32_e32 v32, 0xffff, v32
	s_waitcnt lgkmcnt(0)
	v_lshrrev_b32_e32 v56, 16, v55
	v_and_b32_e32 v55, 0xffff, v55
	;;#ASMSTART
	v_cvt_f32_f16 v55, v55;
	;;#ASMEND
	;;#ASMSTART
	v_cvt_f32_f16 v56, v56;
	;;#ASMEND
	;;#ASMSTART
	v_cvt_f32_f16 v29, v29;
	;;#ASMEND
	;;#ASMSTART
	v_cvt_f32_f16 v32, v32;
	;;#ASMEND
	ds_read_b32 v57, v16 offset:20
	v_fma_mixlo_f16 v31, v21, v31, 0
	v_fma_mixlo_f16 v34, v21, v34, 0
	v_and_b32_e32 v31, 0xffff, v31
	v_and_b32_e32 v34, 0xffff, v34
	s_waitcnt lgkmcnt(0)
	v_lshrrev_b32_e32 v58, 16, v57
	v_and_b32_e32 v57, 0xffff, v57
	;;#ASMSTART
	v_cvt_f32_f16 v57, v57;
	;;#ASMEND
	;;#ASMSTART
	v_cvt_f32_f16 v58, v58;
	;;#ASMEND
	;;#ASMSTART
	v_cvt_f32_f16 v31, v31;
	;;#ASMEND
	;;#ASMSTART
	v_cvt_f32_f16 v34, v34;
	;;#ASMEND
	ds_read_b32 v59, v16 offset:24
	v_fma_mixlo_f16 v33, v21, v33, 0
	v_fma_mixlo_f16 v35, v21, v35, 0
	v_and_b32_e32 v33, 0xffff, v33
	v_and_b32_e32 v35, 0xffff, v35
	s_waitcnt lgkmcnt(0)
	v_lshrrev_b32_e32 v60, 16, v59
	v_and_b32_e32 v59, 0xffff, v59
	;;#ASMSTART
	v_cvt_f32_f16 v59, v59;
	;;#ASMEND
	;;#ASMSTART
	v_cvt_f32_f16 v60, v60;
	;;#ASMEND
	;;#ASMSTART
	v_cvt_f32_f16 v33, v33;
	;;#ASMEND
	;;#ASMSTART
	v_cvt_f32_f16 v35, v35;
	;;#ASMEND
	ds_read_b32 v61, v16 offset:28
	v_fma_mixlo_f16 v46, v21, v46, 0
	v_fma_mixlo_f16 v48, v21, v48, 0
	;; [unrolled: 1-line block ×14, first 2 shown]
	v_mul_f32_e32 v21, v49, v23
	v_fmac_f32_e32 v21, v10, v12
	s_waitcnt lgkmcnt(0)
	v_lshrrev_b32_e32 v10, 16, v61
	v_and_b32_e32 v12, 0xffff, v61
	v_and_b32_e32 v23, 0xffff, v36
	;; [unrolled: 1-line block ×3, first 2 shown]
	;;#ASMSTART
	v_cvt_f32_f16 v12, v12;
	;;#ASMEND
	;;#ASMSTART
	v_cvt_f32_f16 v10, v10;
	;;#ASMEND
	;; [unrolled: 3-line block ×4, first 2 shown]
	ds_read_b32 v37, v16 offset:32
	v_mul_f32_e32 v26, v50, v26
	v_fmac_f32_e32 v26, v24, v22
	v_fmac_f32_e32 v21, v51, v25
	v_fmac_f32_e32 v26, v52, v28
	s_waitcnt lgkmcnt(0)
	v_lshrrev_b32_e32 v22, 16, v37
	v_and_b32_e32 v24, 0xffff, v37
	v_and_b32_e32 v25, 0xffff, v38
	v_and_b32_e32 v28, 0xffff, v39
	;;#ASMSTART
	v_cvt_f32_f16 v24, v24;
	;;#ASMEND
	;;#ASMSTART
	v_cvt_f32_f16 v22, v22;
	;;#ASMEND
	;;#ASMSTART
	v_cvt_f32_f16 v25, v25;
	;;#ASMEND
	;;#ASMSTART
	v_cvt_f32_f16 v28, v28;
	;;#ASMEND
	ds_read_b32 v37, v16 offset:36
	v_fmac_f32_e32 v21, v53, v27
	v_fmac_f32_e32 v26, v54, v30
	v_fmac_f32_e32 v21, v55, v29
	v_fmac_f32_e32 v26, v56, v32
	s_waitcnt lgkmcnt(0)
	v_lshrrev_b32_e32 v27, 16, v37
	v_and_b32_e32 v29, 0xffff, v37
	v_and_b32_e32 v30, 0xffff, v40
	v_and_b32_e32 v32, 0xffff, v41
	;;#ASMSTART
	v_cvt_f32_f16 v29, v29;
	;;#ASMEND
	;;#ASMSTART
	v_cvt_f32_f16 v27, v27;
	;;#ASMEND
	;;#ASMSTART
	v_cvt_f32_f16 v30, v30;
	;;#ASMEND
	;;#ASMSTART
	v_cvt_f32_f16 v32, v32;
	;;#ASMEND
	ds_read_b32 v37, v16 offset:40
	v_fmac_f32_e32 v21, v57, v31
	;; [unrolled: 22-line block ×3, first 2 shown]
	v_fmac_f32_e32 v21, v12, v23
	v_fmac_f32_e32 v26, v22, v28
	v_and_b32_e32 v22, 0xffff, v44
	s_waitcnt lgkmcnt(0)
	v_lshrrev_b32_e32 v10, 16, v37
	v_and_b32_e32 v12, 0xffff, v37
	v_and_b32_e32 v23, 0xffff, v45
	v_fmac_f32_e32 v21, v24, v25
	;;#ASMSTART
	v_cvt_f32_f16 v12, v12;
	;;#ASMEND
	;;#ASMSTART
	v_cvt_f32_f16 v10, v10;
	;;#ASMEND
	;; [unrolled: 3-line block ×4, first 2 shown]
	ds_read_b32 v24, v16 offset:48
	v_fmac_f32_e32 v26, v27, v32
	v_and_b32_e32 v27, 0xffff, v46
	v_and_b32_e32 v28, 0xffff, v48
	v_fmac_f32_e32 v21, v29, v30
	s_waitcnt lgkmcnt(0)
	v_lshrrev_b32_e32 v25, 16, v24
	v_and_b32_e32 v24, 0xffff, v24
	;;#ASMSTART
	v_cvt_f32_f16 v24, v24;
	;;#ASMEND
	;;#ASMSTART
	v_cvt_f32_f16 v25, v25;
	;;#ASMEND
	;; [unrolled: 3-line block ×4, first 2 shown]
	ds_read_b32 v29, v16 offset:52
	v_fmac_f32_e32 v21, v33, v34
	v_fmac_f32_e32 v26, v31, v35
	;; [unrolled: 1-line block ×4, first 2 shown]
	s_waitcnt lgkmcnt(0)
	v_lshrrev_b32_e32 v10, 16, v29
	v_and_b32_e32 v12, 0xffff, v29
	v_fmac_f32_e32 v26, v25, v28
	;;#ASMSTART
	v_cvt_f32_f16 v12, v12;
	;;#ASMEND
	;;#ASMSTART
	v_cvt_f32_f16 v10, v10;
	;;#ASMEND
	v_and_b32_e32 v22, 0xffff, v47
	v_and_b32_e32 v11, 0xffff, v11
	v_fmac_f32_e32 v21, v24, v27
	;;#ASMSTART
	v_cvt_f32_f16 v22, v22;
	;;#ASMEND
	;;#ASMSTART
	v_cvt_f32_f16 v11, v11;
	;;#ASMEND
	v_fmac_f32_e32 v26, v10, v11
	v_and_b32_e32 v10, 64, v7
	v_fmac_f32_e32 v21, v12, v22
	v_add_u32_e32 v10, 64, v10
	v_xor_b32_e32 v12, 2, v7
	v_cmp_lt_i32_e64 s[4:5], v12, v10
	v_cndmask_b32_e64 v12, v7, v12, s[4:5]
	v_add_f32_e32 v11, v21, v26
	v_lshlrev_b32_e32 v12, 2, v12
	ds_bpermute_b32 v12, v12, v11
	s_waitcnt lgkmcnt(0)
	v_add_f32_e32 v11, v11, v12
	v_xor_b32_e32 v12, 1, v7
	v_cmp_lt_i32_e64 s[4:5], v12, v10
	v_cndmask_b32_e64 v12, v7, v12, s[4:5]
	v_lshlrev_b32_e32 v12, 2, v12
	ds_bpermute_b32 v12, v12, v11
	s_and_saveexec_b64 s[40:41], vcc
	s_cbranch_execz .LBB290_9
; %bb.179:                              ;   in Loop: Header=BB290_10 Depth=1
	v_add_u32_e32 v21, s49, v17
	v_cvt_f32_i32_e32 v21, v21
	s_waitcnt lgkmcnt(0)
	v_add_f32_e32 v11, v11, v12
	v_cmp_gt_i32_e64 s[4:5], s29, v17
	v_max_f32_e32 v12, v1, v1
	v_mul_f32_e32 v21, s10, v21
	v_cndmask_b32_e64 v21, 0, v21, s[2:3]
	v_fmac_f32_e32 v21, s11, v11
	v_cndmask_b32_e64 v11, 0, v21, s[4:5]
	ds_write_b32 v18, v11
	v_max_f32_e32 v11, v12, v21
	v_cndmask_b32_e64 v1, v1, v11, s[4:5]
	s_branch .LBB290_9
.LBB290_180:
	s_or_b64 exec, exec, s[18:19]
.LBB290_181:
	s_or_b64 exec, exec, s[38:39]
	v_xor_b32_e32 v4, 32, v7
	v_cmp_lt_i32_e32 vcc, v4, v10
	v_cndmask_b32_e32 v4, v7, v4, vcc
	v_lshlrev_b32_e32 v4, 2, v4
	ds_bpermute_b32 v5, v4, v1
	v_xor_b32_e32 v6, 16, v7
	v_max_f32_e32 v1, v1, v1
	v_cmp_lt_i32_e32 vcc, v6, v10
	v_xor_b32_e32 v8, 8, v7
	s_waitcnt lgkmcnt(0)
	v_max_f32_e32 v5, v5, v5
	v_max_f32_e32 v1, v1, v5
	v_cndmask_b32_e32 v5, v7, v6, vcc
	v_lshlrev_b32_e32 v5, 2, v5
	ds_bpermute_b32 v6, v5, v1
	v_cmp_lt_i32_e32 vcc, v8, v10
	v_lshlrev_b32_e32 v9, 2, v14
	s_waitcnt lgkmcnt(0)
	v_max_f32_e32 v6, v6, v6
	v_max_f32_e32 v1, v1, v6
	v_cndmask_b32_e32 v6, v7, v8, vcc
	v_lshlrev_b32_e32 v12, 2, v6
	ds_bpermute_b32 v6, v12, v1
	v_xor_b32_e32 v8, 4, v7
	v_cmp_lt_i32_e32 vcc, v8, v10
	s_waitcnt lgkmcnt(0)
	v_max_f32_e32 v6, v6, v6
	v_max_f32_e32 v1, v1, v6
	v_cndmask_b32_e32 v6, v7, v8, vcc
	v_lshlrev_b32_e32 v13, 2, v6
	ds_bpermute_b32 v8, v13, v1
	v_and_b32_e32 v6, 63, v0
	v_cmp_eq_u32_e32 vcc, 0, v6
	s_and_saveexec_b64 s[2:3], vcc
	s_cbranch_execz .LBB290_183
; %bb.182:
	s_waitcnt lgkmcnt(0)
	v_max_f32_e32 v8, v8, v8
	v_max_f32_e32 v1, v1, v1
	;; [unrolled: 1-line block ×3, first 2 shown]
	ds_write_b32 v9, v1 offset:224
.LBB290_183:
	s_or_b64 exec, exec, s[2:3]
	v_cmp_gt_u32_e64 s[2:3], 2, v6
	s_waitcnt lgkmcnt(0)
	v_mov_b32_e32 v8, 0xff7fffff
	v_lshlrev_b32_e32 v11, 2, v6
	s_barrier
	s_and_saveexec_b64 s[4:5], s[2:3]
	s_cbranch_execz .LBB290_185
; %bb.184:
	ds_read_b32 v8, v11 offset:224
.LBB290_185:
	s_or_b64 exec, exec, s[4:5]
	v_xor_b32_e32 v1, 1, v7
	v_cmp_lt_i32_e64 s[4:5], v1, v10
	v_cndmask_b32_e64 v1, v7, v1, s[4:5]
	v_lshlrev_b32_e32 v1, 2, v1
	s_waitcnt lgkmcnt(0)
	ds_bpermute_b32 v16, v1, v8
	v_max_f32_e32 v8, v8, v8
	s_sub_i32 s4, s33, s7
	s_lshl_b32 s4, s4, 4
	s_add_i32 s4, s4, s46
	s_waitcnt lgkmcnt(0)
	v_max_f32_e32 v16, v16, v16
	v_max_f32_e32 v8, v8, v16
	v_lshlrev_b32_e32 v16, 2, v7
	v_and_b32_e32 v16, 0xffffff00, v16
	ds_bpermute_b32 v8, v16, v8
	s_min_i32 s38, s4, s29
	s_sub_i32 s7, s38, s46
	v_cmp_gt_i32_e64 s[4:5], s7, v0
	v_mov_b32_e32 v17, 0
	s_and_saveexec_b64 s[12:13], s[4:5]
	s_cbranch_execz .LBB290_189
; %bb.186:
	v_mov_b32_e32 v17, 0xf0
	v_lshl_add_u32 v18, v0, 2, v17
	s_mov_b64 s[18:19], 0
	v_mov_b32_e32 v17, 0
	v_mov_b32_e32 v19, v0
.LBB290_187:                            ; =>This Inner Loop Header: Depth=1
	ds_read_b32 v20, v18
	v_add_u32_e32 v19, 0x80, v19
	v_cmp_le_i32_e64 s[10:11], s7, v19
	s_or_b64 s[18:19], s[10:11], s[18:19]
	s_waitcnt lgkmcnt(0)
	v_sub_f32_e32 v20, v20, v8
	v_mul_f32_e32 v20, 0x3fb8aa3b, v20
	v_exp_f32_e32 v20, v20
	ds_write_b32 v18, v20
	v_add_f32_e32 v17, v17, v20
	v_add_u32_e32 v18, 0x200, v18
	s_andn2_b64 exec, exec, s[18:19]
	s_cbranch_execnz .LBB290_187
; %bb.188:
	s_or_b64 exec, exec, s[18:19]
.LBB290_189:
	s_or_b64 exec, exec, s[12:13]
	ds_bpermute_b32 v4, v4, v17
	s_waitcnt lgkmcnt(0)
	v_add_f32_e32 v4, v17, v4
	ds_bpermute_b32 v5, v5, v4
	s_waitcnt lgkmcnt(0)
	v_add_f32_e32 v4, v4, v5
	ds_bpermute_b32 v5, v12, v4
	v_xor_b32_e32 v12, 2, v7
	v_cmp_lt_i32_e64 s[10:11], v12, v10
	v_cndmask_b32_e64 v7, v7, v12, s[10:11]
	s_waitcnt lgkmcnt(0)
	v_add_f32_e32 v4, v4, v5
	ds_bpermute_b32 v5, v13, v4
	s_waitcnt lgkmcnt(0)
	v_add_f32_e32 v4, v4, v5
	v_lshlrev_b32_e32 v5, 2, v7
	ds_bpermute_b32 v5, v5, v4
	s_waitcnt lgkmcnt(0)
	v_add_f32_e32 v4, v4, v5
	ds_bpermute_b32 v5, v1, v4
	s_waitcnt lgkmcnt(0)
	v_add_f32_e32 v4, v4, v5
	s_and_saveexec_b64 s[10:11], vcc
	s_cbranch_execz .LBB290_191
; %bb.190:
	ds_write_b32 v9, v4 offset:232
.LBB290_191:
	s_or_b64 exec, exec, s[10:11]
	s_waitcnt lgkmcnt(0)
	s_barrier
	s_and_saveexec_b64 s[10:11], s[2:3]
	s_cbranch_execz .LBB290_193
; %bb.192:
	ds_read_b32 v4, v11 offset:232
.LBB290_193:
	s_or_b64 exec, exec, s[10:11]
	s_waitcnt lgkmcnt(0)
	ds_bpermute_b32 v5, v1, v4
	s_waitcnt lgkmcnt(0)
	v_add_f32_e32 v4, v4, v5
	ds_bpermute_b32 v7, v16, v4
	s_and_saveexec_b64 s[2:3], s[4:5]
	s_cbranch_execz .LBB290_206
; %bb.194:
	s_waitcnt lgkmcnt(0)
	v_add_f32_e32 v4, 0x358637bd, v7
	v_div_scale_f32 v5, s[4:5], v4, v4, 1.0
	v_rcp_f32_e32 v9, v5
	v_div_scale_f32 v10, vcc, 1.0, v4, 1.0
	s_movk_i32 s4, 0x7f
	v_fma_f32 v11, -v5, v9, 1.0
	v_fmac_f32_e32 v9, v11, v9
	v_mul_f32_e32 v11, v10, v9
	v_fma_f32 v12, -v5, v11, v10
	v_fmac_f32_e32 v11, v12, v9
	v_fma_f32 v5, -v5, v11, v10
	v_div_fmas_f32 v5, v5, v9, v11
	v_div_fixup_f32 v4, v5, v4, 1.0
	v_xad_u32 v5, v0, -1, s38
	v_subrev_u32_e32 v9, s46, v5
	v_cmp_lt_u32_e32 vcc, s4, v9
	s_mov_b64 s[10:11], -1
	v_mov_b32_e32 v5, v0
	s_and_saveexec_b64 s[4:5], vcc
	s_cbranch_execz .LBB290_203
; %bb.195:
	v_lshrrev_b32_e32 v9, 7, v9
	v_add_u32_e32 v11, -1, v9
	v_lshrrev_b32_e32 v10, 1, v11
	v_mov_b32_e32 v5, v4
	v_add_u32_e32 v10, 1, v10
	v_cmp_lt_u32_e32 vcc, 13, v11
	v_mov_b32_e32 v13, 0
	s_and_saveexec_b64 s[10:11], vcc
	s_cbranch_execz .LBB290_199
; %bb.196:
	v_mov_b32_e32 v12, 0xf0
	v_and_b32_e32 v11, -8, v10
	v_lshl_add_u32 v12, v0, 2, v12
	s_mov_b32 s18, 0
	s_mov_b64 s[12:13], 0
.LBB290_197:                            ; =>This Inner Loop Header: Depth=1
	ds_read2st64_b32 v[16:17], v12 offset1:2
	ds_read2st64_b32 v[18:19], v12 offset0:4 offset1:6
	ds_read2st64_b32 v[20:21], v12 offset0:8 offset1:10
	;; [unrolled: 1-line block ×3, first 2 shown]
	v_add_u32_e32 v11, -8, v11
	s_waitcnt lgkmcnt(3)
	v_pk_mul_f32 v[16:17], v[4:5], v[16:17]
	s_waitcnt lgkmcnt(2)
	v_pk_mul_f32 v[18:19], v[4:5], v[18:19]
	ds_write2st64_b32 v12, v16, v17 offset1:2
	ds_write2st64_b32 v12, v18, v19 offset0:4 offset1:6
	ds_read2st64_b32 v[18:19], v12 offset0:16 offset1:18
	s_waitcnt lgkmcnt(4)
	v_pk_mul_f32 v[16:17], v[4:5], v[20:21]
	ds_write2st64_b32 v12, v16, v17 offset0:8 offset1:10
	s_waitcnt lgkmcnt(4)
	v_pk_mul_f32 v[16:17], v[4:5], v[22:23]
	ds_write2st64_b32 v12, v16, v17 offset0:12 offset1:14
	ds_read2st64_b32 v[16:17], v12 offset0:20 offset1:22
	s_waitcnt lgkmcnt(3)
	v_pk_mul_f32 v[18:19], v[4:5], v[18:19]
	ds_read2st64_b32 v[20:21], v12 offset0:24 offset1:26
	ds_write2st64_b32 v12, v18, v19 offset0:16 offset1:18
	ds_read2st64_b32 v[18:19], v12 offset0:28 offset1:30
	s_waitcnt lgkmcnt(3)
	v_pk_mul_f32 v[16:17], v[4:5], v[16:17]
	ds_write2st64_b32 v12, v16, v17 offset0:20 offset1:22
	s_waitcnt lgkmcnt(3)
	v_pk_mul_f32 v[16:17], v[4:5], v[20:21]
	ds_write2st64_b32 v12, v16, v17 offset0:24 offset1:26
	s_waitcnt lgkmcnt(2)
	v_pk_mul_f32 v[16:17], v[4:5], v[18:19]
	s_add_i32 s18, s18, 16
	v_cmp_eq_u32_e32 vcc, 0, v11
	ds_write2st64_b32 v12, v16, v17 offset0:28 offset1:30
	v_add_u32_e32 v12, 0x2000, v12
	s_or_b64 s[12:13], vcc, s[12:13]
	v_mov_b32_e32 v13, s18
	s_andn2_b64 exec, exec, s[12:13]
	s_cbranch_execnz .LBB290_197
; %bb.198:
	s_or_b64 exec, exec, s[12:13]
.LBB290_199:
	s_or_b64 exec, exec, s[10:11]
	v_and_b32_e32 v10, 7, v10
	v_cmp_ne_u32_e32 vcc, 0, v10
	s_and_saveexec_b64 s[10:11], vcc
	s_cbranch_execz .LBB290_202
; %bb.200:
	v_lshlrev_b32_e32 v11, 9, v13
	v_lshlrev_b32_e32 v12, 2, v0
	s_movk_i32 s12, 0xf0
	v_add3_u32 v11, v11, v12, s12
	s_mov_b64 s[12:13], 0
.LBB290_201:                            ; =>This Inner Loop Header: Depth=1
	ds_read2st64_b32 v[12:13], v11 offset1:2
	v_add_u32_e32 v10, -1, v10
	v_cmp_eq_u32_e32 vcc, 0, v10
	s_or_b64 s[12:13], vcc, s[12:13]
	s_waitcnt lgkmcnt(0)
	v_pk_mul_f32 v[12:13], v[4:5], v[12:13]
	ds_write2st64_b32 v11, v12, v13 offset1:2
	v_add_u32_e32 v11, 0x400, v11
	s_andn2_b64 exec, exec, s[12:13]
	s_cbranch_execnz .LBB290_201
.LBB290_202:
	s_or_b64 exec, exec, s[10:11]
	v_add_u32_e32 v9, 1, v9
	v_and_b32_e32 v10, 0x3fffffe, v9
	v_cmp_ne_u32_e32 vcc, v9, v10
	v_lshl_add_u32 v5, v10, 7, v0
	s_orn2_b64 s[10:11], vcc, exec
.LBB290_203:
	s_or_b64 exec, exec, s[4:5]
	s_and_b64 exec, exec, s[10:11]
	s_cbranch_execz .LBB290_206
; %bb.204:
	v_mov_b32_e32 v9, 0xf0
	v_lshl_add_u32 v9, v5, 2, v9
	s_mov_b64 s[4:5], 0
.LBB290_205:                            ; =>This Inner Loop Header: Depth=1
	ds_read_b32 v10, v9
	v_add_u32_e32 v5, 0x80, v5
	v_cmp_le_i32_e32 vcc, s7, v5
	s_or_b64 s[4:5], vcc, s[4:5]
	s_waitcnt lgkmcnt(0)
	v_mul_f32_e32 v10, v4, v10
	ds_write_b32 v9, v10
	v_add_u32_e32 v9, 0x200, v9
	s_andn2_b64 exec, exec, s[4:5]
	s_cbranch_execnz .LBB290_205
.LBB290_206:
	s_or_b64 exec, exec, s[2:3]
	s_mul_i32 s2, s25, s28
	v_cmp_eq_u32_e32 vcc, 0, v0
	s_mul_i32 s4, s2, s9
	s_waitcnt lgkmcnt(0)
	s_barrier
	s_and_saveexec_b64 s[2:3], vcc
	s_cbranch_execz .LBB290_208
; %bb.207:
	s_ashr_i32 s5, s4, 31
	s_lshl_b64 s[10:11], s[4:5], 2
	s_add_u32 s5, s22, s10
	s_mul_i32 s6, s25, s6
	s_addc_u32 s9, s23, s11
	s_ashr_i32 s7, s6, 31
	s_lshl_b64 s[6:7], s[6:7], 2
	s_add_u32 s5, s5, s6
	s_addc_u32 s19, s9, s7
	s_ashr_i32 s9, s8, 31
	s_lshl_b64 s[12:13], s[8:9], 2
	s_add_u32 s18, s5, s12
	s_addc_u32 s19, s19, s13
	s_add_u32 s5, s20, s10
	s_addc_u32 s9, s21, s11
	;; [unrolled: 2-line block ×3, first 2 shown]
	s_add_u32 s6, s5, s12
	v_mov_b32_e32 v4, 0
	s_addc_u32 s7, s7, s13
	global_store_dword v4, v8, s[18:19]
	global_store_dword v4, v7, s[6:7]
.LBB290_208:
	s_or_b64 exec, exec, s[2:3]
	v_mov_b32_e32 v9, 0
	v_lshrrev_b32_e32 v30, 1, v6
	v_and_b32_e32 v11, 1, v0
	v_mov_b32_e32 v8, v9
	v_mov_b32_e32 v13, v9
	;; [unrolled: 1-line block ×3, first 2 shown]
	s_and_saveexec_b64 s[6:7], s[0:1]
	s_cbranch_execz .LBB290_414
; %bb.209:
	s_ashr_i32 s0, s47, 31
	s_add_u32 s2, s36, s47
	s_addc_u32 s3, s37, s0
	v_or_b32_e32 v6, 0x60, v30
	s_movk_i32 s0, 0x70
	v_lshlrev_b32_e32 v4, 3, v0
	s_add_i32 s9, s16, -1
	v_cmp_gt_u32_e32 vcc, s0, v6
	s_lshl_b64 s[0:1], s[34:35], 2
	v_and_b32_e32 v5, 8, v4
	s_add_u32 s0, s30, s0
	v_lshl_or_b32 v10, v6, 4, v5
	v_lshlrev_b32_e32 v6, 5, v11
	v_lshlrev_b64 v[8:9], 2, v[2:3]
	s_addc_u32 s1, s31, s1
	s_mov_b32 s10, -1
	v_mov_b32_e32 v7, 0
	v_lshl_or_b32 v6, v14, 6, v6
	v_mov_b32_e32 v3, s1
	v_add_co_u32_e64 v14, s[0:1], s0, v8
	s_mov_b32 s5, s17
	s_mov_b32 s11, 0xffffff
	v_lshl_or_b32 v4, v30, 4, v5
	s_mov_b32 s28, s29
	v_add3_u32 v5, s46, v15, v5
	v_add_u32_e32 v31, 0xf0, v6
	v_addc_co_u32_e64 v15, s[0:1], v3, v9, s[0:1]
	s_mov_b64 s[12:13], 0
	v_pk_mov_b32 v[16:17], s[2:3], s[2:3] op_sel:[0,1]
	s_movk_i32 s30, 0x80
	s_movk_i32 s31, 0x7f
	s_mov_b32 s34, 0x8000
	s_movk_i32 s35, 0x380
	s_mov_b32 s36, 0x3020706
	s_mov_b32 s37, 0x1000504
	;; [unrolled: 1-line block ×3, first 2 shown]
	v_mov_b32_e32 v3, 0x2000
	v_mov_b32_e32 v12, v7
	v_mov_b32_e32 v13, v7
	v_mov_b32_e32 v8, v7
	v_mov_b32_e32 v9, v7
	s_branch .LBB290_212
.LBB290_210:                            ;   in Loop: Header=BB290_212 Depth=1
	s_or_b64 exec, exec, s[2:3]
	;;#ASMSTART
	v_pk_mul_f16 v20, v35, v20;

	;;#ASMEND
	;;#ASMSTART
	v_pk_mul_f16 v6, v34, v6;

	;;#ASMEND
	;; [unrolled: 4-line block ×4, first 2 shown]
	;;#ASMSTART
	v_pk_add_f16 v6, v20, v6;

	;;#ASMEND
	;;#ASMSTART
	v_pk_add_f16 v6, v6, v19;

	;;#ASMEND
	;;#ASMSTART
	v_pk_add_f16 v6, v6, v18;

	;;#ASMEND
	v_lshrrev_b32_e32 v18, 16, v6
	v_and_b32_e32 v6, 0xffff, v6
	;;#ASMSTART
	v_cvt_f32_f16 v6, v6;
	;;#ASMEND
	;;#ASMSTART
	v_cvt_f32_f16 v18, v18;
	;;#ASMEND
	v_add_f32_e32 v6, v6, v18
	v_add_f32_e32 v9, v9, v6
.LBB290_211:                            ;   in Loop: Header=BB290_212 Depth=1
	s_or_b64 exec, exec, s[16:17]
	v_add_u32_e32 v2, 2, v2
	v_cmp_le_i32_e64 s[0:1], s33, v2
	s_or_b64 s[12:13], s[0:1], s[12:13]
	v_add_co_u32_e64 v14, s[0:1], 8, v14
	v_add_u32_e32 v5, 32, v5
	v_add_u32_e32 v31, 0x80, v31
	v_addc_co_u32_e64 v15, s[0:1], 0, v15, s[0:1]
	s_andn2_b64 exec, exec, s[12:13]
	s_cbranch_execz .LBB290_413
.LBB290_212:                            ; =>This Inner Loop Header: Depth=1
	global_load_dword v6, v[14:15], off
	ds_read2_b64 v[18:21], v31 offset1:1
	ds_read2_b64 v[24:27], v31 offset0:2 offset1:3
	s_waitcnt lgkmcnt(1)
	;;#ASMSTART
	v_cvt_f16_f32 v23, v18;

	;;#ASMEND
	;;#ASMSTART
	v_cvt_f16_f32 v32, v19;

	;;#ASMEND
	;; [unrolled: 4-line block ×4, first 2 shown]
	s_waitcnt lgkmcnt(0)
	;;#ASMSTART
	v_cvt_f16_f32 v36, v24;

	;;#ASMEND
	;;#ASMSTART
	v_cvt_f16_f32 v37, v25;

	;;#ASMEND
	;; [unrolled: 4-line block ×4, first 2 shown]
	v_mov_b32_e32 v24, 0
	s_waitcnt vmcnt(0)
	v_mad_i64_i32 v[18:19], s[0:1], v6, s5, v[16:17]
	v_add_co_u32_e64 v20, s[0:1], v18, v4
	v_addc_co_u32_e64 v21, s[0:1], 0, v19, s[0:1]
	global_load_dwordx2 v[26:27], v[20:21], off
	global_load_dword v22, v7, s[14:15]
	s_waitcnt vmcnt(1)
	v_cmp_ne_u16_sdwa s[0:1], v26, v7 src0_sel:BYTE_0 src1_sel:DWORD
	s_and_saveexec_b64 s[2:3], s[0:1]
	s_cbranch_execz .LBB290_218
; %bb.213:                              ;   in Loop: Header=BB290_212 Depth=1
	v_cmp_ne_u16_sdwa s[0:1], v26, s30 src0_sel:BYTE_0 src1_sel:DWORD
	v_bfrev_b32_e32 v24, 1
	s_and_saveexec_b64 s[16:17], s[0:1]
	s_cbranch_execz .LBB290_217
; %bb.214:                              ;   in Loop: Header=BB290_212 Depth=1
	v_and_b32_e32 v6, 0x7f, v26
	v_cmp_ne_u32_e64 s[0:1], s31, v6
	v_mov_b32_e32 v24, 0x7fc02000
	s_and_saveexec_b64 s[18:19], s[0:1]
	s_cbranch_execz .LBB290_216
; %bb.215:                              ;   in Loop: Header=BB290_212 Depth=1
	v_and_b32_e32 v24, 7, v26
	v_ffbh_u32_e32 v24, v24
	v_min_u32_e32 v24, 32, v24
	v_subrev_u32_e32 v25, 28, v24
	v_cmp_gt_u32_e64 s[0:1], 8, v6
	v_lshrrev_b32_e32 v28, 3, v6
	v_sub_u32_e32 v29, 29, v24
	v_cndmask_b32_e64 v6, 0, v25, s[0:1]
	v_lshlrev_b64 v[24:25], v6, v[26:27]
	v_cndmask_b32_e64 v6, v28, v29, s[0:1]
	v_lshlrev_b32_e32 v25, 8, v26
	v_lshl_add_u32 v6, v6, 10, v3
	v_lshlrev_b32_e32 v24, 7, v24
	v_and_or_b32 v6, v25, s34, v6
	v_and_or_b32 v6, v24, s35, v6
	v_cvt_f32_f16_e32 v24, v6
.LBB290_216:                            ;   in Loop: Header=BB290_212 Depth=1
	s_or_b64 exec, exec, s[18:19]
.LBB290_217:                            ;   in Loop: Header=BB290_212 Depth=1
	s_or_b64 exec, exec, s[16:17]
.LBB290_218:                            ;   in Loop: Header=BB290_212 Depth=1
	s_or_b64 exec, exec, s[2:3]
	v_lshrrev_b16_e32 v6, 8, v26
	v_cmp_ne_u16_e64 s[0:1], 0, v6
	v_mov_b32_e32 v25, 0
	v_mov_b32_e32 v28, 0
	s_and_saveexec_b64 s[2:3], s[0:1]
	s_cbranch_execz .LBB290_224
; %bb.219:                              ;   in Loop: Header=BB290_212 Depth=1
	v_cmp_ne_u16_e64 s[0:1], s30, v6
	v_bfrev_b32_e32 v28, 1
	s_and_saveexec_b64 s[16:17], s[0:1]
	s_cbranch_execz .LBB290_223
; %bb.220:                              ;   in Loop: Header=BB290_212 Depth=1
	v_and_b32_e32 v29, 0x7f, v6
	v_cmp_ne_u32_e64 s[0:1], s31, v29
	v_mov_b32_e32 v28, 0x7fc02000
	s_and_saveexec_b64 s[18:19], s[0:1]
	s_cbranch_execz .LBB290_222
; %bb.221:                              ;   in Loop: Header=BB290_212 Depth=1
	v_and_b32_e32 v28, 7, v6
	v_ffbh_u32_e32 v40, v28
	v_min_u32_e32 v42, 32, v40
	v_subrev_u32_e32 v40, 28, v42
	v_lshlrev_b64 v[40:41], v40, v[6:7]
	v_lshrrev_b32_e32 v35, 3, v29
	v_sub_u32_e32 v41, 29, v42
	v_cmp_gt_u32_e64 s[0:1], 8, v29
	v_cndmask_b32_e64 v29, v35, v41, s[0:1]
	v_and_b32_e32 v40, 7, v40
	v_lshlrev_b32_e32 v6, 8, v6
	v_lshl_add_u32 v29, v29, 10, v3
	v_cndmask_b32_e64 v28, v28, v40, s[0:1]
	v_and_or_b32 v6, v6, s34, v29
	v_lshl_or_b32 v6, v28, 7, v6
	v_cvt_f32_f16_e32 v28, v6
.LBB290_222:                            ;   in Loop: Header=BB290_212 Depth=1
	s_or_b64 exec, exec, s[18:19]
.LBB290_223:                            ;   in Loop: Header=BB290_212 Depth=1
	s_or_b64 exec, exec, s[16:17]
.LBB290_224:                            ;   in Loop: Header=BB290_212 Depth=1
	s_or_b64 exec, exec, s[2:3]
	v_lshrrev_b32_e32 v6, 16, v26
	v_cmp_ne_u16_sdwa s[0:1], v6, v7 src0_sel:BYTE_0 src1_sel:DWORD
	s_and_saveexec_b64 s[2:3], s[0:1]
	s_cbranch_execz .LBB290_230
; %bb.225:                              ;   in Loop: Header=BB290_212 Depth=1
	v_cmp_ne_u16_sdwa s[0:1], v6, s30 src0_sel:BYTE_0 src1_sel:DWORD
	v_bfrev_b32_e32 v25, 1
	s_and_saveexec_b64 s[16:17], s[0:1]
	s_cbranch_execz .LBB290_229
; %bb.226:                              ;   in Loop: Header=BB290_212 Depth=1
	v_bfe_u32 v29, v26, 16, 7
	v_cmp_ne_u32_e64 s[0:1], s31, v29
	v_mov_b32_e32 v25, 0x7fc02000
	s_and_saveexec_b64 s[18:19], s[0:1]
	s_cbranch_execz .LBB290_228
; %bb.227:                              ;   in Loop: Header=BB290_212 Depth=1
	v_and_b32_e32 v25, 7, v6
	v_ffbh_u32_e32 v40, v25
	v_min_u32_e32 v42, 32, v40
	v_subrev_u32_e32 v40, 28, v42
	v_lshlrev_b64 v[40:41], v40, v[6:7]
	v_lshrrev_b32_e32 v35, 3, v29
	v_sub_u32_e32 v41, 29, v42
	v_cmp_gt_u32_e64 s[0:1], 8, v29
	v_cndmask_b32_e64 v29, v35, v41, s[0:1]
	v_and_b32_e32 v40, 7, v40
	v_lshlrev_b32_e32 v6, 8, v6
	v_lshl_add_u32 v29, v29, 10, v3
	v_cndmask_b32_e64 v25, v25, v40, s[0:1]
	v_and_or_b32 v6, v6, s34, v29
	v_lshl_or_b32 v6, v25, 7, v6
	v_cvt_f32_f16_e32 v25, v6
.LBB290_228:                            ;   in Loop: Header=BB290_212 Depth=1
	s_or_b64 exec, exec, s[18:19]
.LBB290_229:                            ;   in Loop: Header=BB290_212 Depth=1
	s_or_b64 exec, exec, s[16:17]
.LBB290_230:                            ;   in Loop: Header=BB290_212 Depth=1
	s_or_b64 exec, exec, s[2:3]
	v_cmp_lt_u32_e64 s[0:1], s11, v26
	v_mov_b32_e32 v35, 0
	v_mov_b32_e32 v29, 0
	s_and_saveexec_b64 s[2:3], s[0:1]
	s_cbranch_execz .LBB290_236
; %bb.231:                              ;   in Loop: Header=BB290_212 Depth=1
	v_lshrrev_b32_e32 v6, 24, v26
	v_cmp_ne_u32_e64 s[0:1], s30, v6
	v_bfrev_b32_e32 v29, 1
	s_and_saveexec_b64 s[16:17], s[0:1]
	s_cbranch_execz .LBB290_235
; %bb.232:                              ;   in Loop: Header=BB290_212 Depth=1
	v_and_b32_e32 v40, 0x7f, v6
	v_cmp_ne_u32_e64 s[0:1], s31, v40
	v_mov_b32_e32 v29, 0x7fc02000
	s_and_saveexec_b64 s[18:19], s[0:1]
	s_cbranch_execz .LBB290_234
; %bb.233:                              ;   in Loop: Header=BB290_212 Depth=1
	v_and_b32_e32 v29, 7, v6
	v_ffbh_u32_e32 v42, v29
	v_min_u32_e32 v44, 32, v42
	v_subrev_u32_e32 v42, 28, v44
	v_lshlrev_b64 v[42:43], v42, v[6:7]
	v_lshrrev_b32_e32 v41, 3, v40
	v_sub_u32_e32 v43, 29, v44
	v_cmp_gt_u32_e64 s[0:1], 8, v40
	v_cndmask_b32_e64 v40, v41, v43, s[0:1]
	v_and_b32_e32 v42, 7, v42
	v_lshlrev_b32_e32 v6, 8, v6
	v_lshl_add_u32 v40, v40, 10, v3
	v_cndmask_b32_e64 v29, v29, v42, s[0:1]
	v_and_or_b32 v6, v6, s34, v40
	v_lshl_or_b32 v6, v29, 7, v6
	v_cvt_f32_f16_e32 v29, v6
.LBB290_234:                            ;   in Loop: Header=BB290_212 Depth=1
	s_or_b64 exec, exec, s[18:19]
.LBB290_235:                            ;   in Loop: Header=BB290_212 Depth=1
	s_or_b64 exec, exec, s[16:17]
.LBB290_236:                            ;   in Loop: Header=BB290_212 Depth=1
	s_or_b64 exec, exec, s[2:3]
	v_mov_b32_e32 v6, v27
	v_cmp_ne_u16_sdwa s[0:1], v27, v7 src0_sel:BYTE_0 src1_sel:DWORD
	s_and_saveexec_b64 s[2:3], s[0:1]
	s_cbranch_execz .LBB290_242
; %bb.237:                              ;   in Loop: Header=BB290_212 Depth=1
	v_cmp_ne_u16_sdwa s[0:1], v27, s30 src0_sel:BYTE_0 src1_sel:DWORD
	v_bfrev_b32_e32 v35, 1
	s_and_saveexec_b64 s[16:17], s[0:1]
	s_cbranch_execz .LBB290_241
; %bb.238:                              ;   in Loop: Header=BB290_212 Depth=1
	v_and_b32_e32 v40, 0x7f, v27
	v_cmp_ne_u32_e64 s[0:1], s31, v40
	v_mov_b32_e32 v35, 0x7fc02000
	s_and_saveexec_b64 s[18:19], s[0:1]
	s_cbranch_execz .LBB290_240
; %bb.239:                              ;   in Loop: Header=BB290_212 Depth=1
	v_and_b32_e32 v35, 7, v27
	v_ffbh_u32_e32 v35, v35
	v_min_u32_e32 v35, 32, v35
	v_subrev_u32_e32 v41, 28, v35
	v_cmp_gt_u32_e64 s[0:1], 8, v40
	v_lshrrev_b32_e32 v42, 3, v40
	v_sub_u32_e32 v35, 29, v35
	v_cndmask_b32_e64 v40, 0, v41, s[0:1]
	v_lshlrev_b64 v[40:41], v40, v[6:7]
	v_cndmask_b32_e64 v35, v42, v35, s[0:1]
	v_lshlrev_b32_e32 v41, 8, v27
	v_lshl_add_u32 v35, v35, 10, v3
	v_lshlrev_b32_e32 v40, 7, v40
	v_and_or_b32 v35, v41, s34, v35
	v_and_or_b32 v35, v40, s35, v35
	v_cvt_f32_f16_e32 v35, v35
.LBB290_240:                            ;   in Loop: Header=BB290_212 Depth=1
	s_or_b64 exec, exec, s[18:19]
.LBB290_241:                            ;   in Loop: Header=BB290_212 Depth=1
	s_or_b64 exec, exec, s[16:17]
.LBB290_242:                            ;   in Loop: Header=BB290_212 Depth=1
	s_or_b64 exec, exec, s[2:3]
	v_lshrrev_b16_e32 v6, 8, v6
	v_cmp_ne_u16_e64 s[0:1], 0, v6
	v_mov_b32_e32 v40, 0
	v_mov_b32_e32 v41, 0
	s_and_saveexec_b64 s[2:3], s[0:1]
	s_cbranch_execz .LBB290_248
; %bb.243:                              ;   in Loop: Header=BB290_212 Depth=1
	v_cmp_ne_u16_e64 s[0:1], s30, v6
	v_bfrev_b32_e32 v41, 1
	s_and_saveexec_b64 s[16:17], s[0:1]
	s_cbranch_execz .LBB290_247
; %bb.244:                              ;   in Loop: Header=BB290_212 Depth=1
	v_and_b32_e32 v42, 0x7f, v6
	v_cmp_ne_u32_e64 s[0:1], s31, v42
	v_mov_b32_e32 v41, 0x7fc02000
	s_and_saveexec_b64 s[18:19], s[0:1]
	s_cbranch_execz .LBB290_246
; %bb.245:                              ;   in Loop: Header=BB290_212 Depth=1
	v_and_b32_e32 v41, 7, v6
	v_ffbh_u32_e32 v44, v41
	v_min_u32_e32 v46, 32, v44
	v_subrev_u32_e32 v44, 28, v46
	v_lshlrev_b64 v[44:45], v44, v[6:7]
	v_lshrrev_b32_e32 v43, 3, v42
	v_sub_u32_e32 v45, 29, v46
	v_cmp_gt_u32_e64 s[0:1], 8, v42
	v_cndmask_b32_e64 v42, v43, v45, s[0:1]
	v_and_b32_e32 v44, 7, v44
	v_lshlrev_b32_e32 v6, 8, v6
	v_lshl_add_u32 v42, v42, 10, v3
	v_cndmask_b32_e64 v41, v41, v44, s[0:1]
	v_and_or_b32 v6, v6, s34, v42
	v_lshl_or_b32 v6, v41, 7, v6
	v_cvt_f32_f16_e32 v41, v6
.LBB290_246:                            ;   in Loop: Header=BB290_212 Depth=1
	s_or_b64 exec, exec, s[18:19]
.LBB290_247:                            ;   in Loop: Header=BB290_212 Depth=1
	s_or_b64 exec, exec, s[16:17]
.LBB290_248:                            ;   in Loop: Header=BB290_212 Depth=1
	s_or_b64 exec, exec, s[2:3]
	v_lshrrev_b32_e32 v6, 16, v27
	v_cmp_ne_u16_sdwa s[0:1], v6, v7 src0_sel:BYTE_0 src1_sel:DWORD
	s_and_saveexec_b64 s[2:3], s[0:1]
	s_cbranch_execz .LBB290_254
; %bb.249:                              ;   in Loop: Header=BB290_212 Depth=1
	v_cmp_ne_u16_sdwa s[0:1], v6, s30 src0_sel:BYTE_0 src1_sel:DWORD
	v_bfrev_b32_e32 v40, 1
	s_and_saveexec_b64 s[16:17], s[0:1]
	s_cbranch_execz .LBB290_253
; %bb.250:                              ;   in Loop: Header=BB290_212 Depth=1
	v_bfe_u32 v42, v27, 16, 7
	v_cmp_ne_u32_e64 s[0:1], s31, v42
	v_mov_b32_e32 v40, 0x7fc02000
	s_and_saveexec_b64 s[18:19], s[0:1]
	s_cbranch_execz .LBB290_252
; %bb.251:                              ;   in Loop: Header=BB290_212 Depth=1
	v_and_b32_e32 v40, 7, v6
	v_ffbh_u32_e32 v44, v40
	v_min_u32_e32 v46, 32, v44
	v_subrev_u32_e32 v44, 28, v46
	v_lshlrev_b64 v[44:45], v44, v[6:7]
	v_lshrrev_b32_e32 v43, 3, v42
	v_sub_u32_e32 v45, 29, v46
	v_cmp_gt_u32_e64 s[0:1], 8, v42
	v_cndmask_b32_e64 v42, v43, v45, s[0:1]
	v_and_b32_e32 v44, 7, v44
	v_lshlrev_b32_e32 v6, 8, v6
	v_lshl_add_u32 v42, v42, 10, v3
	v_cndmask_b32_e64 v40, v40, v44, s[0:1]
	v_and_or_b32 v6, v6, s34, v42
	v_lshl_or_b32 v6, v40, 7, v6
	v_cvt_f32_f16_e32 v40, v6
.LBB290_252:                            ;   in Loop: Header=BB290_212 Depth=1
	s_or_b64 exec, exec, s[18:19]
.LBB290_253:                            ;   in Loop: Header=BB290_212 Depth=1
	s_or_b64 exec, exec, s[16:17]
.LBB290_254:                            ;   in Loop: Header=BB290_212 Depth=1
	s_or_b64 exec, exec, s[2:3]
	v_cmp_lt_u64_e64 s[0:1], s[10:11], v[26:27]
	v_mov_b32_e32 v26, 0
	s_and_saveexec_b64 s[2:3], s[0:1]
	s_cbranch_execz .LBB290_260
; %bb.255:                              ;   in Loop: Header=BB290_212 Depth=1
	v_lshrrev_b32_e32 v6, 24, v27
	v_cmp_ne_u32_e64 s[0:1], s30, v6
	v_bfrev_b32_e32 v26, 1
	s_and_saveexec_b64 s[16:17], s[0:1]
	s_cbranch_execz .LBB290_259
; %bb.256:                              ;   in Loop: Header=BB290_212 Depth=1
	v_and_b32_e32 v27, 0x7f, v6
	v_cmp_ne_u32_e64 s[0:1], s31, v27
	v_mov_b32_e32 v26, 0x7fc02000
	s_and_saveexec_b64 s[18:19], s[0:1]
	s_cbranch_execz .LBB290_258
; %bb.257:                              ;   in Loop: Header=BB290_212 Depth=1
	v_and_b32_e32 v26, 7, v6
	v_ffbh_u32_e32 v42, v26
	v_min_u32_e32 v45, 32, v42
	v_subrev_u32_e32 v42, 28, v45
	v_lshlrev_b64 v[42:43], v42, v[6:7]
	v_lshrrev_b32_e32 v44, 3, v27
	v_sub_u32_e32 v43, 29, v45
	v_cmp_gt_u32_e64 s[0:1], 8, v27
	v_cndmask_b32_e64 v27, v44, v43, s[0:1]
	v_and_b32_e32 v42, 7, v42
	v_lshlrev_b32_e32 v6, 8, v6
	v_lshl_add_u32 v27, v27, 10, v3
	v_cndmask_b32_e64 v26, v26, v42, s[0:1]
	v_and_or_b32 v6, v6, s34, v27
	v_lshl_or_b32 v6, v26, 7, v6
	v_cvt_f32_f16_e32 v26, v6
.LBB290_258:                            ;   in Loop: Header=BB290_212 Depth=1
	s_or_b64 exec, exec, s[18:19]
.LBB290_259:                            ;   in Loop: Header=BB290_212 Depth=1
	s_or_b64 exec, exec, s[16:17]
.LBB290_260:                            ;   in Loop: Header=BB290_212 Depth=1
	s_or_b64 exec, exec, s[2:3]
	s_waitcnt vmcnt(0)
	v_pk_mul_f32 v[28:29], v[22:23], v[28:29] op_sel_hi:[0,1]
	v_pk_mul_f32 v[24:25], v[22:23], v[24:25] op_sel_hi:[0,1]
	v_cvt_f16_f32_e32 v6, v29
	v_cvt_f16_f32_e32 v27, v28
	;; [unrolled: 1-line block ×4, first 2 shown]
	v_cmp_eq_u32_e64 s[0:1], s9, v2
	v_pack_b32_f16 v27, v27, v6
	v_pack_b32_f16 v24, v24, v25
	v_fma_mixlo_f16 v25, v22, v41, 0
	v_perm_b32 v6, v24, v27, s36
	v_perm_b32 v24, v24, v27, s37
	v_lshlrev_b32_e32 v25, 16, v25
	v_fma_mixlo_f16 v27, v22, v35, 0
	v_or_b32_sdwa v25, v25, v27 dst_sel:DWORD dst_unused:UNUSED_PAD src0_sel:DWORD src1_sel:WORD_0
	v_fma_mixlo_f16 v27, v22, v40, 0
	v_fma_mixlo_f16 v22, v22, v26, 0
	v_lshlrev_b32_e32 v22, 16, v22
	v_or_b32_sdwa v22, v22, v27 dst_sel:DWORD dst_unused:UNUSED_PAD src0_sel:DWORD src1_sel:WORD_0
	s_and_saveexec_b64 s[16:17], s[0:1]
	s_cbranch_execz .LBB290_262
; %bb.261:                              ;   in Loop: Header=BB290_212 Depth=1
	v_add_u32_e32 v26, 1, v5
	v_lshrrev_b32_e32 v28, 16, v24
	v_cmp_gt_i32_e64 s[2:3], s28, v26
	v_cndmask_b32_e64 v26, 0, v28, s[2:3]
	v_cmp_gt_i32_e64 s[2:3], s29, v5
	v_cndmask_b32_e64 v24, 0, v24, s[2:3]
	v_perm_b32 v24, v26, v24, s38
	v_or_b32_e32 v26, 3, v5
	v_or_b32_e32 v28, 2, v5
	v_lshrrev_b32_e32 v29, 16, v6
	v_cmp_gt_i32_e64 s[2:3], s28, v26
	v_cndmask_b32_e64 v26, 0, v29, s[2:3]
	v_cmp_gt_i32_e64 s[2:3], s29, v28
	v_cndmask_b32_e64 v6, 0, v6, s[2:3]
	v_perm_b32 v6, v26, v6, s38
	v_or_b32_e32 v26, 5, v5
	v_or_b32_e32 v28, 4, v5
	;; [unrolled: 8-line block ×3, first 2 shown]
	v_lshrrev_b32_e32 v22, 16, v22
	v_cmp_gt_i32_e64 s[2:3], s28, v26
	v_cndmask_b32_e64 v22, 0, v22, s[2:3]
	v_cmp_gt_i32_e64 s[2:3], s29, v28
	v_cndmask_b32_e64 v26, 0, v27, s[2:3]
	v_perm_b32 v22, v22, v26, s38
.LBB290_262:                            ;   in Loop: Header=BB290_212 Depth=1
	s_or_b64 exec, exec, s[16:17]
	v_and_b32_e32 v23, 0xffff, v23
	v_lshl_or_b32 v35, v32, 16, v23
	v_and_b32_e32 v23, 0xffff, v33
	v_lshl_or_b32 v34, v34, 16, v23
	;; [unrolled: 2-line block ×4, first 2 shown]
	;;#ASMSTART
	v_pk_mul_f16 v23, v35, v24;

	;;#ASMEND
	;;#ASMSTART
	v_pk_mul_f16 v6, v34, v6;

	;;#ASMEND
	;; [unrolled: 4-line block ×4, first 2 shown]
	;;#ASMSTART
	v_pk_add_f16 v6, v23, v6;

	;;#ASMEND
	;;#ASMSTART
	v_pk_add_f16 v6, v6, v24;

	;;#ASMEND
	;; [unrolled: 4-line block ×3, first 2 shown]
	v_lshrrev_b32_e32 v22, 16, v6
	v_and_b32_e32 v6, 0xffff, v6
	;;#ASMSTART
	v_cvt_f32_f16 v23, v6;
	;;#ASMEND
	;;#ASMSTART
	v_cvt_f32_f16 v36, v22;
	;;#ASMEND
	global_load_dwordx2 v[28:29], v[20:21], off offset:512
	global_load_dword v22, v7, s[14:15]
	v_mov_b32_e32 v26, 0
	v_mov_b32_e32 v24, 0
	s_waitcnt vmcnt(1)
	v_cmp_ne_u16_sdwa s[2:3], v28, v7 src0_sel:BYTE_0 src1_sel:DWORD
	s_and_saveexec_b64 s[16:17], s[2:3]
	s_cbranch_execz .LBB290_268
; %bb.263:                              ;   in Loop: Header=BB290_212 Depth=1
	v_cmp_ne_u16_sdwa s[2:3], v28, s30 src0_sel:BYTE_0 src1_sel:DWORD
	v_bfrev_b32_e32 v24, 1
	s_and_saveexec_b64 s[18:19], s[2:3]
	s_cbranch_execz .LBB290_267
; %bb.264:                              ;   in Loop: Header=BB290_212 Depth=1
	v_and_b32_e32 v6, 0x7f, v28
	v_cmp_ne_u32_e64 s[2:3], s31, v6
	v_mov_b32_e32 v24, 0x7fc02000
	s_and_saveexec_b64 s[20:21], s[2:3]
	s_cbranch_execz .LBB290_266
; %bb.265:                              ;   in Loop: Header=BB290_212 Depth=1
	v_and_b32_e32 v24, 7, v28
	v_ffbh_u32_e32 v24, v24
	v_min_u32_e32 v24, 32, v24
	v_subrev_u32_e32 v25, 28, v24
	v_cmp_gt_u32_e64 s[2:3], 8, v6
	v_lshrrev_b32_e32 v27, 3, v6
	v_sub_u32_e32 v37, 29, v24
	v_cndmask_b32_e64 v6, 0, v25, s[2:3]
	v_lshlrev_b64 v[24:25], v6, v[28:29]
	v_cndmask_b32_e64 v6, v27, v37, s[2:3]
	v_lshlrev_b32_e32 v25, 8, v28
	v_lshl_add_u32 v6, v6, 10, v3
	v_lshlrev_b32_e32 v24, 7, v24
	v_and_or_b32 v6, v25, s34, v6
	v_and_or_b32 v6, v24, s35, v6
	v_cvt_f32_f16_e32 v24, v6
.LBB290_266:                            ;   in Loop: Header=BB290_212 Depth=1
	s_or_b64 exec, exec, s[20:21]
.LBB290_267:                            ;   in Loop: Header=BB290_212 Depth=1
	s_or_b64 exec, exec, s[18:19]
.LBB290_268:                            ;   in Loop: Header=BB290_212 Depth=1
	s_or_b64 exec, exec, s[16:17]
	v_lshrrev_b16_e32 v6, 8, v28
	v_cmp_ne_u16_e64 s[2:3], 0, v6
	s_and_saveexec_b64 s[16:17], s[2:3]
	s_cbranch_execz .LBB290_274
; %bb.269:                              ;   in Loop: Header=BB290_212 Depth=1
	v_cmp_ne_u16_e64 s[2:3], s30, v6
	v_bfrev_b32_e32 v26, 1
	s_and_saveexec_b64 s[18:19], s[2:3]
	s_cbranch_execz .LBB290_273
; %bb.270:                              ;   in Loop: Header=BB290_212 Depth=1
	v_and_b32_e32 v25, 0x7f, v6
	v_cmp_ne_u32_e64 s[2:3], s31, v25
	v_mov_b32_e32 v26, 0x7fc02000
	s_and_saveexec_b64 s[20:21], s[2:3]
	s_cbranch_execz .LBB290_272
; %bb.271:                              ;   in Loop: Header=BB290_212 Depth=1
	v_and_b32_e32 v37, 7, v6
	v_ffbh_u32_e32 v26, v37
	v_min_u32_e32 v39, 32, v26
	v_subrev_u32_e32 v26, 28, v39
	v_lshlrev_b64 v[26:27], v26, v[6:7]
	v_lshrrev_b32_e32 v38, 3, v25
	v_sub_u32_e32 v27, 29, v39
	v_cmp_gt_u32_e64 s[2:3], 8, v25
	v_cndmask_b32_e64 v25, v38, v27, s[2:3]
	v_and_b32_e32 v26, 7, v26
	v_lshlrev_b32_e32 v6, 8, v6
	v_lshl_add_u32 v25, v25, 10, v3
	v_cndmask_b32_e64 v26, v37, v26, s[2:3]
	v_and_or_b32 v6, v6, s34, v25
	v_lshl_or_b32 v6, v26, 7, v6
	v_cvt_f32_f16_e32 v26, v6
.LBB290_272:                            ;   in Loop: Header=BB290_212 Depth=1
	s_or_b64 exec, exec, s[20:21]
.LBB290_273:                            ;   in Loop: Header=BB290_212 Depth=1
	s_or_b64 exec, exec, s[18:19]
.LBB290_274:                            ;   in Loop: Header=BB290_212 Depth=1
	s_or_b64 exec, exec, s[16:17]
	v_lshrrev_b32_e32 v6, 16, v28
	v_cmp_ne_u16_sdwa s[2:3], v6, v7 src0_sel:BYTE_0 src1_sel:DWORD
	v_mov_b32_e32 v27, 0
	v_mov_b32_e32 v25, 0
	s_and_saveexec_b64 s[16:17], s[2:3]
	s_cbranch_execz .LBB290_280
; %bb.275:                              ;   in Loop: Header=BB290_212 Depth=1
	v_cmp_ne_u16_sdwa s[2:3], v6, s30 src0_sel:BYTE_0 src1_sel:DWORD
	v_bfrev_b32_e32 v25, 1
	s_and_saveexec_b64 s[18:19], s[2:3]
	s_cbranch_execz .LBB290_279
; %bb.276:                              ;   in Loop: Header=BB290_212 Depth=1
	v_bfe_u32 v37, v28, 16, 7
	v_cmp_ne_u32_e64 s[2:3], s31, v37
	v_mov_b32_e32 v25, 0x7fc02000
	s_and_saveexec_b64 s[20:21], s[2:3]
	s_cbranch_execz .LBB290_278
; %bb.277:                              ;   in Loop: Header=BB290_212 Depth=1
	v_and_b32_e32 v25, 7, v6
	v_ffbh_u32_e32 v38, v25
	v_min_u32_e32 v41, 32, v38
	v_subrev_u32_e32 v38, 28, v41
	v_lshlrev_b64 v[38:39], v38, v[6:7]
	v_lshrrev_b32_e32 v40, 3, v37
	v_sub_u32_e32 v39, 29, v41
	v_cmp_gt_u32_e64 s[2:3], 8, v37
	v_cndmask_b32_e64 v37, v40, v39, s[2:3]
	v_and_b32_e32 v38, 7, v38
	v_lshlrev_b32_e32 v6, 8, v6
	v_lshl_add_u32 v37, v37, 10, v3
	v_cndmask_b32_e64 v25, v25, v38, s[2:3]
	v_and_or_b32 v6, v6, s34, v37
	v_lshl_or_b32 v6, v25, 7, v6
	v_cvt_f32_f16_e32 v25, v6
.LBB290_278:                            ;   in Loop: Header=BB290_212 Depth=1
	s_or_b64 exec, exec, s[20:21]
.LBB290_279:                            ;   in Loop: Header=BB290_212 Depth=1
	s_or_b64 exec, exec, s[18:19]
.LBB290_280:                            ;   in Loop: Header=BB290_212 Depth=1
	s_or_b64 exec, exec, s[16:17]
	v_cmp_lt_u32_e64 s[2:3], s11, v28
	s_and_saveexec_b64 s[16:17], s[2:3]
	s_cbranch_execz .LBB290_286
; %bb.281:                              ;   in Loop: Header=BB290_212 Depth=1
	v_lshrrev_b32_e32 v6, 24, v28
	v_cmp_ne_u32_e64 s[2:3], s30, v6
	v_bfrev_b32_e32 v27, 1
	s_and_saveexec_b64 s[18:19], s[2:3]
	s_cbranch_execz .LBB290_285
; %bb.282:                              ;   in Loop: Header=BB290_212 Depth=1
	v_and_b32_e32 v37, 0x7f, v6
	v_cmp_ne_u32_e64 s[2:3], s31, v37
	v_mov_b32_e32 v27, 0x7fc02000
	s_and_saveexec_b64 s[20:21], s[2:3]
	s_cbranch_execz .LBB290_284
; %bb.283:                              ;   in Loop: Header=BB290_212 Depth=1
	v_and_b32_e32 v27, 7, v6
	v_ffbh_u32_e32 v38, v27
	v_min_u32_e32 v41, 32, v38
	v_subrev_u32_e32 v38, 28, v41
	v_lshlrev_b64 v[38:39], v38, v[6:7]
	v_lshrrev_b32_e32 v40, 3, v37
	v_sub_u32_e32 v39, 29, v41
	v_cmp_gt_u32_e64 s[2:3], 8, v37
	v_cndmask_b32_e64 v37, v40, v39, s[2:3]
	v_and_b32_e32 v38, 7, v38
	v_lshlrev_b32_e32 v6, 8, v6
	v_lshl_add_u32 v37, v37, 10, v3
	v_cndmask_b32_e64 v27, v27, v38, s[2:3]
	v_and_or_b32 v6, v6, s34, v37
	v_lshl_or_b32 v6, v27, 7, v6
	v_cvt_f32_f16_e32 v27, v6
.LBB290_284:                            ;   in Loop: Header=BB290_212 Depth=1
	s_or_b64 exec, exec, s[20:21]
.LBB290_285:                            ;   in Loop: Header=BB290_212 Depth=1
	s_or_b64 exec, exec, s[18:19]
.LBB290_286:                            ;   in Loop: Header=BB290_212 Depth=1
	s_or_b64 exec, exec, s[16:17]
	v_mov_b32_e32 v6, v29
	v_cmp_ne_u16_sdwa s[2:3], v29, v7 src0_sel:BYTE_0 src1_sel:DWORD
	v_mov_b32_e32 v38, 0
	v_mov_b32_e32 v37, 0
	s_and_saveexec_b64 s[16:17], s[2:3]
	s_cbranch_execz .LBB290_292
; %bb.287:                              ;   in Loop: Header=BB290_212 Depth=1
	v_cmp_ne_u16_sdwa s[2:3], v29, s30 src0_sel:BYTE_0 src1_sel:DWORD
	v_bfrev_b32_e32 v37, 1
	s_and_saveexec_b64 s[18:19], s[2:3]
	s_cbranch_execz .LBB290_291
; %bb.288:                              ;   in Loop: Header=BB290_212 Depth=1
	v_and_b32_e32 v39, 0x7f, v29
	v_cmp_ne_u32_e64 s[2:3], s31, v39
	v_mov_b32_e32 v37, 0x7fc02000
	s_and_saveexec_b64 s[20:21], s[2:3]
	s_cbranch_execz .LBB290_290
; %bb.289:                              ;   in Loop: Header=BB290_212 Depth=1
	v_and_b32_e32 v37, 7, v29
	v_ffbh_u32_e32 v37, v37
	v_min_u32_e32 v37, 32, v37
	v_subrev_u32_e32 v40, 28, v37
	v_cmp_gt_u32_e64 s[2:3], 8, v39
	v_lshrrev_b32_e32 v42, 3, v39
	v_sub_u32_e32 v37, 29, v37
	v_cndmask_b32_e64 v39, 0, v40, s[2:3]
	v_lshlrev_b64 v[40:41], v39, v[6:7]
	v_cndmask_b32_e64 v37, v42, v37, s[2:3]
	v_lshlrev_b32_e32 v39, 7, v40
	v_lshlrev_b32_e32 v40, 8, v29
	v_lshl_add_u32 v37, v37, 10, v3
	v_and_or_b32 v37, v40, s34, v37
	v_and_or_b32 v37, v39, s35, v37
	v_cvt_f32_f16_e32 v37, v37
.LBB290_290:                            ;   in Loop: Header=BB290_212 Depth=1
	s_or_b64 exec, exec, s[20:21]
.LBB290_291:                            ;   in Loop: Header=BB290_212 Depth=1
	s_or_b64 exec, exec, s[18:19]
.LBB290_292:                            ;   in Loop: Header=BB290_212 Depth=1
	s_or_b64 exec, exec, s[16:17]
	v_lshrrev_b16_e32 v6, 8, v6
	v_cmp_ne_u16_e64 s[2:3], 0, v6
	s_and_saveexec_b64 s[16:17], s[2:3]
	s_cbranch_execz .LBB290_298
; %bb.293:                              ;   in Loop: Header=BB290_212 Depth=1
	v_cmp_ne_u16_e64 s[2:3], s30, v6
	v_bfrev_b32_e32 v38, 1
	s_and_saveexec_b64 s[18:19], s[2:3]
	s_cbranch_execz .LBB290_297
; %bb.294:                              ;   in Loop: Header=BB290_212 Depth=1
	v_and_b32_e32 v39, 0x7f, v6
	v_cmp_ne_u32_e64 s[2:3], s31, v39
	v_mov_b32_e32 v38, 0x7fc02000
	s_and_saveexec_b64 s[20:21], s[2:3]
	s_cbranch_execz .LBB290_296
; %bb.295:                              ;   in Loop: Header=BB290_212 Depth=1
	v_and_b32_e32 v38, 7, v6
	v_ffbh_u32_e32 v40, v38
	v_min_u32_e32 v43, 32, v40
	v_subrev_u32_e32 v40, 28, v43
	v_lshlrev_b64 v[40:41], v40, v[6:7]
	v_lshrrev_b32_e32 v42, 3, v39
	v_sub_u32_e32 v41, 29, v43
	v_cmp_gt_u32_e64 s[2:3], 8, v39
	v_cndmask_b32_e64 v39, v42, v41, s[2:3]
	v_and_b32_e32 v40, 7, v40
	v_lshlrev_b32_e32 v6, 8, v6
	v_lshl_add_u32 v39, v39, 10, v3
	v_cndmask_b32_e64 v38, v38, v40, s[2:3]
	v_and_or_b32 v6, v6, s34, v39
	v_lshl_or_b32 v6, v38, 7, v6
	v_cvt_f32_f16_e32 v38, v6
.LBB290_296:                            ;   in Loop: Header=BB290_212 Depth=1
	s_or_b64 exec, exec, s[20:21]
.LBB290_297:                            ;   in Loop: Header=BB290_212 Depth=1
	s_or_b64 exec, exec, s[18:19]
.LBB290_298:                            ;   in Loop: Header=BB290_212 Depth=1
	s_or_b64 exec, exec, s[16:17]
	v_lshrrev_b32_e32 v6, 16, v29
	v_cmp_ne_u16_sdwa s[2:3], v6, v7 src0_sel:BYTE_0 src1_sel:DWORD
	v_mov_b32_e32 v39, 0
	v_mov_b32_e32 v40, 0
	s_and_saveexec_b64 s[16:17], s[2:3]
	s_cbranch_execz .LBB290_304
; %bb.299:                              ;   in Loop: Header=BB290_212 Depth=1
	v_cmp_ne_u16_sdwa s[2:3], v6, s30 src0_sel:BYTE_0 src1_sel:DWORD
	v_bfrev_b32_e32 v40, 1
	s_and_saveexec_b64 s[18:19], s[2:3]
	s_cbranch_execz .LBB290_303
; %bb.300:                              ;   in Loop: Header=BB290_212 Depth=1
	v_bfe_u32 v41, v29, 16, 7
	v_cmp_ne_u32_e64 s[2:3], s31, v41
	v_mov_b32_e32 v40, 0x7fc02000
	s_and_saveexec_b64 s[20:21], s[2:3]
	s_cbranch_execz .LBB290_302
; %bb.301:                              ;   in Loop: Header=BB290_212 Depth=1
	v_and_b32_e32 v40, 7, v6
	v_ffbh_u32_e32 v42, v40
	v_min_u32_e32 v45, 32, v42
	v_subrev_u32_e32 v42, 28, v45
	v_lshlrev_b64 v[42:43], v42, v[6:7]
	v_lshrrev_b32_e32 v44, 3, v41
	v_sub_u32_e32 v43, 29, v45
	v_cmp_gt_u32_e64 s[2:3], 8, v41
	v_cndmask_b32_e64 v41, v44, v43, s[2:3]
	v_and_b32_e32 v42, 7, v42
	v_lshlrev_b32_e32 v6, 8, v6
	v_lshl_add_u32 v41, v41, 10, v3
	v_cndmask_b32_e64 v40, v40, v42, s[2:3]
	v_and_or_b32 v6, v6, s34, v41
	v_lshl_or_b32 v6, v40, 7, v6
	v_cvt_f32_f16_e32 v40, v6
.LBB290_302:                            ;   in Loop: Header=BB290_212 Depth=1
	s_or_b64 exec, exec, s[20:21]
.LBB290_303:                            ;   in Loop: Header=BB290_212 Depth=1
	s_or_b64 exec, exec, s[18:19]
.LBB290_304:                            ;   in Loop: Header=BB290_212 Depth=1
	s_or_b64 exec, exec, s[16:17]
	v_cmp_lt_u64_e64 s[2:3], s[10:11], v[28:29]
	s_and_saveexec_b64 s[16:17], s[2:3]
	s_cbranch_execz .LBB290_310
; %bb.305:                              ;   in Loop: Header=BB290_212 Depth=1
	v_lshrrev_b32_e32 v6, 24, v29
	v_cmp_ne_u32_e64 s[2:3], s30, v6
	v_bfrev_b32_e32 v39, 1
	s_and_saveexec_b64 s[18:19], s[2:3]
	s_cbranch_execz .LBB290_309
; %bb.306:                              ;   in Loop: Header=BB290_212 Depth=1
	v_and_b32_e32 v28, 0x7f, v6
	v_cmp_ne_u32_e64 s[2:3], s31, v28
	v_mov_b32_e32 v39, 0x7fc02000
	s_and_saveexec_b64 s[20:21], s[2:3]
	s_cbranch_execz .LBB290_308
; %bb.307:                              ;   in Loop: Header=BB290_212 Depth=1
	v_and_b32_e32 v29, 7, v6
	v_ffbh_u32_e32 v41, v29
	v_min_u32_e32 v41, 32, v41
	v_lshrrev_b32_e32 v39, 3, v28
	v_subrev_u32_e32 v42, 28, v41
	v_sub_u32_e32 v41, 29, v41
	v_cmp_gt_u32_e64 s[2:3], 8, v28
	v_lshlrev_b64 v[42:43], v42, v[6:7]
	v_cndmask_b32_e64 v28, v39, v41, s[2:3]
	v_and_b32_e32 v42, 7, v42
	v_lshlrev_b32_e32 v6, 8, v6
	v_lshl_add_u32 v28, v28, 10, v3
	v_cndmask_b32_e64 v29, v29, v42, s[2:3]
	v_and_or_b32 v6, v6, s34, v28
	v_lshl_or_b32 v6, v29, 7, v6
	v_cvt_f32_f16_e32 v39, v6
.LBB290_308:                            ;   in Loop: Header=BB290_212 Depth=1
	s_or_b64 exec, exec, s[20:21]
.LBB290_309:                            ;   in Loop: Header=BB290_212 Depth=1
	s_or_b64 exec, exec, s[18:19]
.LBB290_310:                            ;   in Loop: Header=BB290_212 Depth=1
	s_or_b64 exec, exec, s[16:17]
	s_waitcnt vmcnt(0)
	v_pk_mul_f32 v[26:27], v[22:23], v[26:27] op_sel_hi:[0,1]
	v_pk_mul_f32 v[24:25], v[22:23], v[24:25] op_sel_hi:[0,1]
	v_cvt_f16_f32_e32 v6, v27
	v_cvt_f16_f32_e32 v26, v26
	;; [unrolled: 1-line block ×4, first 2 shown]
	v_pack_b32_f16 v26, v26, v6
	v_pack_b32_f16 v24, v24, v25
	v_fma_mixlo_f16 v25, v22, v38, 0
	v_perm_b32 v6, v24, v26, s36
	v_perm_b32 v24, v24, v26, s37
	v_lshlrev_b32_e32 v25, 16, v25
	v_fma_mixlo_f16 v26, v22, v37, 0
	v_or_b32_sdwa v25, v25, v26 dst_sel:DWORD dst_unused:UNUSED_PAD src0_sel:DWORD src1_sel:WORD_0
	v_fma_mixlo_f16 v26, v22, v40, 0
	v_fma_mixlo_f16 v22, v22, v39, 0
	v_lshlrev_b32_e32 v22, 16, v22
	v_or_b32_sdwa v22, v22, v26 dst_sel:DWORD dst_unused:UNUSED_PAD src0_sel:DWORD src1_sel:WORD_0
	s_and_saveexec_b64 s[16:17], s[0:1]
	s_cbranch_execz .LBB290_312
; %bb.311:                              ;   in Loop: Header=BB290_212 Depth=1
	v_add_u32_e32 v27, 1, v5
	v_lshrrev_b32_e32 v28, 16, v24
	v_cmp_gt_i32_e64 s[2:3], s28, v27
	v_cndmask_b32_e64 v27, 0, v28, s[2:3]
	v_cmp_gt_i32_e64 s[2:3], s29, v5
	v_cndmask_b32_e64 v24, 0, v24, s[2:3]
	v_perm_b32 v24, v27, v24, s38
	v_or_b32_e32 v27, 3, v5
	v_or_b32_e32 v28, 2, v5
	v_lshrrev_b32_e32 v29, 16, v6
	v_cmp_gt_i32_e64 s[2:3], s28, v27
	v_cndmask_b32_e64 v27, 0, v29, s[2:3]
	v_cmp_gt_i32_e64 s[2:3], s29, v28
	v_cndmask_b32_e64 v6, 0, v6, s[2:3]
	v_perm_b32 v6, v27, v6, s38
	v_or_b32_e32 v27, 5, v5
	v_or_b32_e32 v28, 4, v5
	;; [unrolled: 8-line block ×3, first 2 shown]
	v_lshrrev_b32_e32 v22, 16, v22
	v_cmp_gt_i32_e64 s[2:3], s28, v27
	v_cndmask_b32_e64 v22, 0, v22, s[2:3]
	v_cmp_gt_i32_e64 s[2:3], s29, v28
	v_cndmask_b32_e64 v26, 0, v26, s[2:3]
	v_perm_b32 v22, v22, v26, s38
.LBB290_312:                            ;   in Loop: Header=BB290_212 Depth=1
	s_or_b64 exec, exec, s[16:17]
	;;#ASMSTART
	v_pk_mul_f16 v24, v35, v24;

	;;#ASMEND
	;;#ASMSTART
	v_pk_mul_f16 v6, v34, v6;

	;;#ASMEND
	;; [unrolled: 4-line block ×4, first 2 shown]
	;;#ASMSTART
	v_pk_add_f16 v6, v24, v6;

	;;#ASMEND
	;;#ASMSTART
	v_pk_add_f16 v6, v6, v25;

	;;#ASMEND
	;; [unrolled: 4-line block ×3, first 2 shown]
	v_lshrrev_b32_e32 v22, 16, v6
	v_and_b32_e32 v6, 0xffff, v6
	;;#ASMSTART
	v_cvt_f32_f16 v28, v6;
	;;#ASMEND
	;;#ASMSTART
	v_cvt_f32_f16 v29, v22;
	;;#ASMEND
	global_load_dwordx2 v[26:27], v[20:21], off offset:1024
	global_load_dword v22, v7, s[14:15]
	v_mov_b32_e32 v24, 0
	v_mov_b32_e32 v20, 0
	s_waitcnt vmcnt(1)
	v_cmp_ne_u16_sdwa s[2:3], v26, v7 src0_sel:BYTE_0 src1_sel:DWORD
	s_and_saveexec_b64 s[16:17], s[2:3]
	s_cbranch_execz .LBB290_318
; %bb.313:                              ;   in Loop: Header=BB290_212 Depth=1
	v_cmp_ne_u16_sdwa s[2:3], v26, s30 src0_sel:BYTE_0 src1_sel:DWORD
	v_bfrev_b32_e32 v20, 1
	s_and_saveexec_b64 s[18:19], s[2:3]
	s_cbranch_execz .LBB290_317
; %bb.314:                              ;   in Loop: Header=BB290_212 Depth=1
	v_and_b32_e32 v6, 0x7f, v26
	v_cmp_ne_u32_e64 s[2:3], s31, v6
	v_mov_b32_e32 v20, 0x7fc02000
	s_and_saveexec_b64 s[20:21], s[2:3]
	s_cbranch_execz .LBB290_316
; %bb.315:                              ;   in Loop: Header=BB290_212 Depth=1
	v_and_b32_e32 v20, 7, v26
	v_ffbh_u32_e32 v20, v20
	v_min_u32_e32 v20, 32, v20
	v_subrev_u32_e32 v21, 28, v20
	v_cmp_gt_u32_e64 s[2:3], 8, v6
	v_lshrrev_b32_e32 v25, 3, v6
	v_sub_u32_e32 v37, 29, v20
	v_cndmask_b32_e64 v6, 0, v21, s[2:3]
	v_lshlrev_b64 v[20:21], v6, v[26:27]
	v_cndmask_b32_e64 v6, v25, v37, s[2:3]
	v_lshlrev_b32_e32 v21, 8, v26
	v_lshl_add_u32 v6, v6, 10, v3
	v_lshlrev_b32_e32 v20, 7, v20
	v_and_or_b32 v6, v21, s34, v6
	v_and_or_b32 v6, v20, s35, v6
	v_cvt_f32_f16_e32 v20, v6
.LBB290_316:                            ;   in Loop: Header=BB290_212 Depth=1
	s_or_b64 exec, exec, s[20:21]
.LBB290_317:                            ;   in Loop: Header=BB290_212 Depth=1
	s_or_b64 exec, exec, s[18:19]
.LBB290_318:                            ;   in Loop: Header=BB290_212 Depth=1
	s_or_b64 exec, exec, s[16:17]
	v_lshrrev_b16_e32 v6, 8, v26
	v_cmp_ne_u16_e64 s[2:3], 0, v6
	s_and_saveexec_b64 s[16:17], s[2:3]
	s_cbranch_execz .LBB290_324
; %bb.319:                              ;   in Loop: Header=BB290_212 Depth=1
	v_cmp_ne_u16_e64 s[2:3], s30, v6
	v_bfrev_b32_e32 v24, 1
	s_and_saveexec_b64 s[18:19], s[2:3]
	s_cbranch_execz .LBB290_323
; %bb.320:                              ;   in Loop: Header=BB290_212 Depth=1
	v_and_b32_e32 v21, 0x7f, v6
	v_cmp_ne_u32_e64 s[2:3], s31, v21
	v_mov_b32_e32 v24, 0x7fc02000
	s_and_saveexec_b64 s[20:21], s[2:3]
	s_cbranch_execz .LBB290_322
; %bb.321:                              ;   in Loop: Header=BB290_212 Depth=1
	v_and_b32_e32 v37, 7, v6
	v_ffbh_u32_e32 v24, v37
	v_min_u32_e32 v39, 32, v24
	v_subrev_u32_e32 v24, 28, v39
	v_lshlrev_b64 v[24:25], v24, v[6:7]
	v_lshrrev_b32_e32 v38, 3, v21
	v_sub_u32_e32 v25, 29, v39
	v_cmp_gt_u32_e64 s[2:3], 8, v21
	v_cndmask_b32_e64 v21, v38, v25, s[2:3]
	v_and_b32_e32 v24, 7, v24
	v_lshlrev_b32_e32 v6, 8, v6
	v_lshl_add_u32 v21, v21, 10, v3
	v_cndmask_b32_e64 v24, v37, v24, s[2:3]
	v_and_or_b32 v6, v6, s34, v21
	v_lshl_or_b32 v6, v24, 7, v6
	v_cvt_f32_f16_e32 v24, v6
.LBB290_322:                            ;   in Loop: Header=BB290_212 Depth=1
	s_or_b64 exec, exec, s[20:21]
.LBB290_323:                            ;   in Loop: Header=BB290_212 Depth=1
	s_or_b64 exec, exec, s[18:19]
.LBB290_324:                            ;   in Loop: Header=BB290_212 Depth=1
	s_or_b64 exec, exec, s[16:17]
	v_lshrrev_b32_e32 v6, 16, v26
	v_cmp_ne_u16_sdwa s[2:3], v6, v7 src0_sel:BYTE_0 src1_sel:DWORD
	v_mov_b32_e32 v25, 0
	v_mov_b32_e32 v21, 0
	s_and_saveexec_b64 s[16:17], s[2:3]
	s_cbranch_execz .LBB290_330
; %bb.325:                              ;   in Loop: Header=BB290_212 Depth=1
	v_cmp_ne_u16_sdwa s[2:3], v6, s30 src0_sel:BYTE_0 src1_sel:DWORD
	v_bfrev_b32_e32 v21, 1
	s_and_saveexec_b64 s[18:19], s[2:3]
	s_cbranch_execz .LBB290_329
; %bb.326:                              ;   in Loop: Header=BB290_212 Depth=1
	v_bfe_u32 v37, v26, 16, 7
	v_cmp_ne_u32_e64 s[2:3], s31, v37
	v_mov_b32_e32 v21, 0x7fc02000
	s_and_saveexec_b64 s[20:21], s[2:3]
	s_cbranch_execz .LBB290_328
; %bb.327:                              ;   in Loop: Header=BB290_212 Depth=1
	v_and_b32_e32 v21, 7, v6
	v_ffbh_u32_e32 v38, v21
	v_min_u32_e32 v41, 32, v38
	v_subrev_u32_e32 v38, 28, v41
	v_lshlrev_b64 v[38:39], v38, v[6:7]
	v_lshrrev_b32_e32 v40, 3, v37
	v_sub_u32_e32 v39, 29, v41
	v_cmp_gt_u32_e64 s[2:3], 8, v37
	v_cndmask_b32_e64 v37, v40, v39, s[2:3]
	v_and_b32_e32 v38, 7, v38
	v_lshlrev_b32_e32 v6, 8, v6
	v_lshl_add_u32 v37, v37, 10, v3
	v_cndmask_b32_e64 v21, v21, v38, s[2:3]
	v_and_or_b32 v6, v6, s34, v37
	v_lshl_or_b32 v6, v21, 7, v6
	v_cvt_f32_f16_e32 v21, v6
.LBB290_328:                            ;   in Loop: Header=BB290_212 Depth=1
	s_or_b64 exec, exec, s[20:21]
.LBB290_329:                            ;   in Loop: Header=BB290_212 Depth=1
	s_or_b64 exec, exec, s[18:19]
.LBB290_330:                            ;   in Loop: Header=BB290_212 Depth=1
	s_or_b64 exec, exec, s[16:17]
	v_cmp_lt_u32_e64 s[2:3], s11, v26
	s_and_saveexec_b64 s[16:17], s[2:3]
	s_cbranch_execz .LBB290_336
; %bb.331:                              ;   in Loop: Header=BB290_212 Depth=1
	v_lshrrev_b32_e32 v6, 24, v26
	v_cmp_ne_u32_e64 s[2:3], s30, v6
	v_bfrev_b32_e32 v25, 1
	s_and_saveexec_b64 s[18:19], s[2:3]
	s_cbranch_execz .LBB290_335
; %bb.332:                              ;   in Loop: Header=BB290_212 Depth=1
	v_and_b32_e32 v37, 0x7f, v6
	v_cmp_ne_u32_e64 s[2:3], s31, v37
	v_mov_b32_e32 v25, 0x7fc02000
	s_and_saveexec_b64 s[20:21], s[2:3]
	s_cbranch_execz .LBB290_334
; %bb.333:                              ;   in Loop: Header=BB290_212 Depth=1
	v_and_b32_e32 v25, 7, v6
	v_ffbh_u32_e32 v38, v25
	v_min_u32_e32 v41, 32, v38
	v_subrev_u32_e32 v38, 28, v41
	v_lshlrev_b64 v[38:39], v38, v[6:7]
	v_lshrrev_b32_e32 v40, 3, v37
	v_sub_u32_e32 v39, 29, v41
	v_cmp_gt_u32_e64 s[2:3], 8, v37
	v_cndmask_b32_e64 v37, v40, v39, s[2:3]
	v_and_b32_e32 v38, 7, v38
	v_lshlrev_b32_e32 v6, 8, v6
	v_lshl_add_u32 v37, v37, 10, v3
	v_cndmask_b32_e64 v25, v25, v38, s[2:3]
	v_and_or_b32 v6, v6, s34, v37
	v_lshl_or_b32 v6, v25, 7, v6
	v_cvt_f32_f16_e32 v25, v6
.LBB290_334:                            ;   in Loop: Header=BB290_212 Depth=1
	s_or_b64 exec, exec, s[20:21]
.LBB290_335:                            ;   in Loop: Header=BB290_212 Depth=1
	s_or_b64 exec, exec, s[18:19]
.LBB290_336:                            ;   in Loop: Header=BB290_212 Depth=1
	s_or_b64 exec, exec, s[16:17]
	v_mov_b32_e32 v6, v27
	v_cmp_ne_u16_sdwa s[2:3], v27, v7 src0_sel:BYTE_0 src1_sel:DWORD
	v_mov_b32_e32 v38, 0
	v_mov_b32_e32 v37, 0
	s_and_saveexec_b64 s[16:17], s[2:3]
	s_cbranch_execz .LBB290_342
; %bb.337:                              ;   in Loop: Header=BB290_212 Depth=1
	v_cmp_ne_u16_sdwa s[2:3], v27, s30 src0_sel:BYTE_0 src1_sel:DWORD
	v_bfrev_b32_e32 v37, 1
	s_and_saveexec_b64 s[18:19], s[2:3]
	s_cbranch_execz .LBB290_341
; %bb.338:                              ;   in Loop: Header=BB290_212 Depth=1
	v_and_b32_e32 v39, 0x7f, v27
	v_cmp_ne_u32_e64 s[2:3], s31, v39
	v_mov_b32_e32 v37, 0x7fc02000
	s_and_saveexec_b64 s[20:21], s[2:3]
	s_cbranch_execz .LBB290_340
; %bb.339:                              ;   in Loop: Header=BB290_212 Depth=1
	v_and_b32_e32 v37, 7, v27
	v_ffbh_u32_e32 v37, v37
	v_min_u32_e32 v37, 32, v37
	v_subrev_u32_e32 v40, 28, v37
	v_cmp_gt_u32_e64 s[2:3], 8, v39
	v_lshrrev_b32_e32 v42, 3, v39
	v_sub_u32_e32 v37, 29, v37
	v_cndmask_b32_e64 v39, 0, v40, s[2:3]
	v_lshlrev_b64 v[40:41], v39, v[6:7]
	v_cndmask_b32_e64 v37, v42, v37, s[2:3]
	v_lshlrev_b32_e32 v39, 7, v40
	v_lshlrev_b32_e32 v40, 8, v27
	v_lshl_add_u32 v37, v37, 10, v3
	v_and_or_b32 v37, v40, s34, v37
	v_and_or_b32 v37, v39, s35, v37
	v_cvt_f32_f16_e32 v37, v37
.LBB290_340:                            ;   in Loop: Header=BB290_212 Depth=1
	s_or_b64 exec, exec, s[20:21]
.LBB290_341:                            ;   in Loop: Header=BB290_212 Depth=1
	s_or_b64 exec, exec, s[18:19]
.LBB290_342:                            ;   in Loop: Header=BB290_212 Depth=1
	s_or_b64 exec, exec, s[16:17]
	v_lshrrev_b16_e32 v6, 8, v6
	v_cmp_ne_u16_e64 s[2:3], 0, v6
	s_and_saveexec_b64 s[16:17], s[2:3]
	s_cbranch_execz .LBB290_348
; %bb.343:                              ;   in Loop: Header=BB290_212 Depth=1
	v_cmp_ne_u16_e64 s[2:3], s30, v6
	v_bfrev_b32_e32 v38, 1
	s_and_saveexec_b64 s[18:19], s[2:3]
	s_cbranch_execz .LBB290_347
; %bb.344:                              ;   in Loop: Header=BB290_212 Depth=1
	v_and_b32_e32 v39, 0x7f, v6
	v_cmp_ne_u32_e64 s[2:3], s31, v39
	v_mov_b32_e32 v38, 0x7fc02000
	s_and_saveexec_b64 s[20:21], s[2:3]
	s_cbranch_execz .LBB290_346
; %bb.345:                              ;   in Loop: Header=BB290_212 Depth=1
	v_and_b32_e32 v38, 7, v6
	v_ffbh_u32_e32 v40, v38
	v_min_u32_e32 v43, 32, v40
	v_subrev_u32_e32 v40, 28, v43
	v_lshlrev_b64 v[40:41], v40, v[6:7]
	v_lshrrev_b32_e32 v42, 3, v39
	v_sub_u32_e32 v41, 29, v43
	v_cmp_gt_u32_e64 s[2:3], 8, v39
	v_cndmask_b32_e64 v39, v42, v41, s[2:3]
	v_and_b32_e32 v40, 7, v40
	v_lshlrev_b32_e32 v6, 8, v6
	v_lshl_add_u32 v39, v39, 10, v3
	v_cndmask_b32_e64 v38, v38, v40, s[2:3]
	v_and_or_b32 v6, v6, s34, v39
	v_lshl_or_b32 v6, v38, 7, v6
	v_cvt_f32_f16_e32 v38, v6
.LBB290_346:                            ;   in Loop: Header=BB290_212 Depth=1
	s_or_b64 exec, exec, s[20:21]
.LBB290_347:                            ;   in Loop: Header=BB290_212 Depth=1
	s_or_b64 exec, exec, s[18:19]
.LBB290_348:                            ;   in Loop: Header=BB290_212 Depth=1
	s_or_b64 exec, exec, s[16:17]
	v_lshrrev_b32_e32 v6, 16, v27
	v_cmp_ne_u16_sdwa s[2:3], v6, v7 src0_sel:BYTE_0 src1_sel:DWORD
	v_mov_b32_e32 v39, 0
	v_mov_b32_e32 v40, 0
	s_and_saveexec_b64 s[16:17], s[2:3]
	s_cbranch_execz .LBB290_354
; %bb.349:                              ;   in Loop: Header=BB290_212 Depth=1
	v_cmp_ne_u16_sdwa s[2:3], v6, s30 src0_sel:BYTE_0 src1_sel:DWORD
	v_bfrev_b32_e32 v40, 1
	s_and_saveexec_b64 s[18:19], s[2:3]
	s_cbranch_execz .LBB290_353
; %bb.350:                              ;   in Loop: Header=BB290_212 Depth=1
	v_bfe_u32 v41, v27, 16, 7
	v_cmp_ne_u32_e64 s[2:3], s31, v41
	v_mov_b32_e32 v40, 0x7fc02000
	s_and_saveexec_b64 s[20:21], s[2:3]
	s_cbranch_execz .LBB290_352
; %bb.351:                              ;   in Loop: Header=BB290_212 Depth=1
	v_and_b32_e32 v40, 7, v6
	v_ffbh_u32_e32 v42, v40
	v_min_u32_e32 v45, 32, v42
	v_subrev_u32_e32 v42, 28, v45
	v_lshlrev_b64 v[42:43], v42, v[6:7]
	v_lshrrev_b32_e32 v44, 3, v41
	v_sub_u32_e32 v43, 29, v45
	v_cmp_gt_u32_e64 s[2:3], 8, v41
	v_cndmask_b32_e64 v41, v44, v43, s[2:3]
	v_and_b32_e32 v42, 7, v42
	v_lshlrev_b32_e32 v6, 8, v6
	v_lshl_add_u32 v41, v41, 10, v3
	v_cndmask_b32_e64 v40, v40, v42, s[2:3]
	v_and_or_b32 v6, v6, s34, v41
	v_lshl_or_b32 v6, v40, 7, v6
	v_cvt_f32_f16_e32 v40, v6
.LBB290_352:                            ;   in Loop: Header=BB290_212 Depth=1
	s_or_b64 exec, exec, s[20:21]
.LBB290_353:                            ;   in Loop: Header=BB290_212 Depth=1
	s_or_b64 exec, exec, s[18:19]
.LBB290_354:                            ;   in Loop: Header=BB290_212 Depth=1
	s_or_b64 exec, exec, s[16:17]
	v_cmp_lt_u64_e64 s[2:3], s[10:11], v[26:27]
	s_and_saveexec_b64 s[16:17], s[2:3]
	s_cbranch_execz .LBB290_360
; %bb.355:                              ;   in Loop: Header=BB290_212 Depth=1
	v_lshrrev_b32_e32 v6, 24, v27
	v_cmp_ne_u32_e64 s[2:3], s30, v6
	v_bfrev_b32_e32 v39, 1
	s_and_saveexec_b64 s[18:19], s[2:3]
	s_cbranch_execz .LBB290_359
; %bb.356:                              ;   in Loop: Header=BB290_212 Depth=1
	v_and_b32_e32 v26, 0x7f, v6
	v_cmp_ne_u32_e64 s[2:3], s31, v26
	v_mov_b32_e32 v39, 0x7fc02000
	s_and_saveexec_b64 s[20:21], s[2:3]
	s_cbranch_execz .LBB290_358
; %bb.357:                              ;   in Loop: Header=BB290_212 Depth=1
	v_and_b32_e32 v27, 7, v6
	v_ffbh_u32_e32 v41, v27
	v_min_u32_e32 v41, 32, v41
	v_lshrrev_b32_e32 v39, 3, v26
	v_subrev_u32_e32 v42, 28, v41
	v_sub_u32_e32 v41, 29, v41
	v_cmp_gt_u32_e64 s[2:3], 8, v26
	v_lshlrev_b64 v[42:43], v42, v[6:7]
	v_cndmask_b32_e64 v26, v39, v41, s[2:3]
	v_and_b32_e32 v42, 7, v42
	v_lshlrev_b32_e32 v6, 8, v6
	v_lshl_add_u32 v26, v26, 10, v3
	v_cndmask_b32_e64 v27, v27, v42, s[2:3]
	v_and_or_b32 v6, v6, s34, v26
	v_lshl_or_b32 v6, v27, 7, v6
	v_cvt_f32_f16_e32 v39, v6
.LBB290_358:                            ;   in Loop: Header=BB290_212 Depth=1
	s_or_b64 exec, exec, s[20:21]
.LBB290_359:                            ;   in Loop: Header=BB290_212 Depth=1
	s_or_b64 exec, exec, s[18:19]
.LBB290_360:                            ;   in Loop: Header=BB290_212 Depth=1
	s_or_b64 exec, exec, s[16:17]
	s_waitcnt vmcnt(0)
	v_pk_mul_f32 v[24:25], v[22:23], v[24:25] op_sel_hi:[0,1]
	v_pk_mul_f32 v[20:21], v[22:23], v[20:21] op_sel_hi:[0,1]
	v_cvt_f16_f32_e32 v6, v25
	v_cvt_f16_f32_e32 v24, v24
	;; [unrolled: 1-line block ×4, first 2 shown]
	v_pack_b32_f16 v24, v24, v6
	v_pack_b32_f16 v20, v20, v21
	v_fma_mixlo_f16 v21, v22, v38, 0
	v_perm_b32 v6, v20, v24, s36
	v_perm_b32 v20, v20, v24, s37
	v_lshlrev_b32_e32 v21, 16, v21
	v_fma_mixlo_f16 v24, v22, v37, 0
	v_or_b32_sdwa v21, v21, v24 dst_sel:DWORD dst_unused:UNUSED_PAD src0_sel:DWORD src1_sel:WORD_0
	v_fma_mixlo_f16 v24, v22, v40, 0
	v_fma_mixlo_f16 v22, v22, v39, 0
	v_lshlrev_b32_e32 v22, 16, v22
	v_or_b32_sdwa v22, v22, v24 dst_sel:DWORD dst_unused:UNUSED_PAD src0_sel:DWORD src1_sel:WORD_0
	s_and_saveexec_b64 s[16:17], s[0:1]
	s_cbranch_execz .LBB290_362
; %bb.361:                              ;   in Loop: Header=BB290_212 Depth=1
	v_add_u32_e32 v25, 1, v5
	v_lshrrev_b32_e32 v26, 16, v20
	v_cmp_gt_i32_e64 s[2:3], s28, v25
	v_cndmask_b32_e64 v25, 0, v26, s[2:3]
	v_cmp_gt_i32_e64 s[2:3], s29, v5
	v_cndmask_b32_e64 v20, 0, v20, s[2:3]
	v_perm_b32 v20, v25, v20, s38
	v_or_b32_e32 v25, 3, v5
	v_or_b32_e32 v26, 2, v5
	v_lshrrev_b32_e32 v27, 16, v6
	v_cmp_gt_i32_e64 s[2:3], s28, v25
	v_cndmask_b32_e64 v25, 0, v27, s[2:3]
	v_cmp_gt_i32_e64 s[2:3], s29, v26
	v_cndmask_b32_e64 v6, 0, v6, s[2:3]
	v_perm_b32 v6, v25, v6, s38
	v_or_b32_e32 v25, 5, v5
	v_or_b32_e32 v26, 4, v5
	;; [unrolled: 8-line block ×3, first 2 shown]
	v_lshrrev_b32_e32 v22, 16, v22
	v_cmp_gt_i32_e64 s[2:3], s28, v25
	v_cndmask_b32_e64 v22, 0, v22, s[2:3]
	v_cmp_gt_i32_e64 s[2:3], s29, v26
	v_cndmask_b32_e64 v24, 0, v24, s[2:3]
	v_perm_b32 v22, v22, v24, s38
.LBB290_362:                            ;   in Loop: Header=BB290_212 Depth=1
	s_or_b64 exec, exec, s[16:17]
	;;#ASMSTART
	v_pk_mul_f16 v20, v35, v20;

	;;#ASMEND
	;;#ASMSTART
	v_pk_mul_f16 v6, v34, v6;

	;;#ASMEND
	;; [unrolled: 4-line block ×4, first 2 shown]
	;;#ASMSTART
	v_pk_add_f16 v6, v20, v6;

	;;#ASMEND
	;;#ASMSTART
	v_pk_add_f16 v6, v6, v21;

	;;#ASMEND
	;; [unrolled: 4-line block ×3, first 2 shown]
	v_lshrrev_b32_e32 v20, 16, v6
	v_and_b32_e32 v6, 0xffff, v6
	v_add_f32_e32 v23, v23, v36
	;;#ASMSTART
	v_cvt_f32_f16 v6, v6;
	;;#ASMEND
	v_add_f32_e32 v12, v12, v23
	v_add_f32_e32 v23, v28, v29
	;;#ASMSTART
	v_cvt_f32_f16 v20, v20;
	;;#ASMEND
	v_add_f32_e32 v6, v6, v20
	v_add_f32_e32 v13, v13, v23
	;; [unrolled: 1-line block ×3, first 2 shown]
	s_and_saveexec_b64 s[16:17], vcc
	s_cbranch_execz .LBB290_211
; %bb.363:                              ;   in Loop: Header=BB290_212 Depth=1
	v_add_co_u32_e64 v20, s[2:3], v18, v10
	v_addc_co_u32_e64 v21, s[2:3], 0, v19, s[2:3]
	global_load_dwordx2 v[24:25], v[20:21], off
	global_load_dword v18, v7, s[14:15]
	v_mov_b32_e32 v22, 0
	v_mov_b32_e32 v20, 0
	s_waitcnt vmcnt(1)
	v_cmp_ne_u16_sdwa s[2:3], v24, v7 src0_sel:BYTE_0 src1_sel:DWORD
	s_and_saveexec_b64 s[18:19], s[2:3]
	s_cbranch_execz .LBB290_369
; %bb.364:                              ;   in Loop: Header=BB290_212 Depth=1
	v_cmp_ne_u16_sdwa s[2:3], v24, s30 src0_sel:BYTE_0 src1_sel:DWORD
	v_bfrev_b32_e32 v20, 1
	s_and_saveexec_b64 s[20:21], s[2:3]
	s_cbranch_execz .LBB290_368
; %bb.365:                              ;   in Loop: Header=BB290_212 Depth=1
	v_and_b32_e32 v6, 0x7f, v24
	v_cmp_ne_u32_e64 s[2:3], s31, v6
	v_mov_b32_e32 v20, 0x7fc02000
	s_and_saveexec_b64 s[22:23], s[2:3]
	s_cbranch_execz .LBB290_367
; %bb.366:                              ;   in Loop: Header=BB290_212 Depth=1
	v_and_b32_e32 v19, 7, v24
	v_ffbh_u32_e32 v19, v19
	v_min_u32_e32 v19, 32, v19
	v_subrev_u32_e32 v20, 28, v19
	v_cmp_gt_u32_e64 s[2:3], 8, v6
	v_lshrrev_b32_e32 v23, 3, v6
	v_sub_u32_e32 v19, 29, v19
	v_cndmask_b32_e64 v6, 0, v20, s[2:3]
	v_lshlrev_b64 v[20:21], v6, v[24:25]
	v_cndmask_b32_e64 v6, v23, v19, s[2:3]
	v_lshlrev_b32_e32 v19, 7, v20
	v_lshlrev_b32_e32 v20, 8, v24
	v_lshl_add_u32 v6, v6, 10, v3
	v_and_or_b32 v6, v20, s34, v6
	v_and_or_b32 v6, v19, s35, v6
	v_cvt_f32_f16_e32 v20, v6
.LBB290_367:                            ;   in Loop: Header=BB290_212 Depth=1
	s_or_b64 exec, exec, s[22:23]
.LBB290_368:                            ;   in Loop: Header=BB290_212 Depth=1
	s_or_b64 exec, exec, s[20:21]
.LBB290_369:                            ;   in Loop: Header=BB290_212 Depth=1
	s_or_b64 exec, exec, s[18:19]
	v_lshrrev_b16_e32 v6, 8, v24
	v_cmp_ne_u16_e64 s[2:3], 0, v6
	s_and_saveexec_b64 s[18:19], s[2:3]
	s_cbranch_execz .LBB290_375
; %bb.370:                              ;   in Loop: Header=BB290_212 Depth=1
	v_cmp_ne_u16_e64 s[2:3], s30, v6
	v_bfrev_b32_e32 v22, 1
	s_and_saveexec_b64 s[20:21], s[2:3]
	s_cbranch_execz .LBB290_374
; %bb.371:                              ;   in Loop: Header=BB290_212 Depth=1
	v_and_b32_e32 v19, 0x7f, v6
	v_cmp_ne_u32_e64 s[2:3], s31, v19
	v_mov_b32_e32 v22, 0x7fc02000
	s_and_saveexec_b64 s[22:23], s[2:3]
	s_cbranch_execz .LBB290_373
; %bb.372:                              ;   in Loop: Header=BB290_212 Depth=1
	v_and_b32_e32 v21, 7, v6
	v_ffbh_u32_e32 v22, v21
	v_min_u32_e32 v27, 32, v22
	v_subrev_u32_e32 v22, 28, v27
	v_lshlrev_b64 v[22:23], v22, v[6:7]
	v_lshrrev_b32_e32 v26, 3, v19
	v_sub_u32_e32 v23, 29, v27
	v_cmp_gt_u32_e64 s[2:3], 8, v19
	v_cndmask_b32_e64 v19, v26, v23, s[2:3]
	v_and_b32_e32 v22, 7, v22
	v_lshlrev_b32_e32 v6, 8, v6
	v_lshl_add_u32 v19, v19, 10, v3
	v_cndmask_b32_e64 v21, v21, v22, s[2:3]
	v_and_or_b32 v6, v6, s34, v19
	v_lshl_or_b32 v6, v21, 7, v6
	v_cvt_f32_f16_e32 v22, v6
.LBB290_373:                            ;   in Loop: Header=BB290_212 Depth=1
	s_or_b64 exec, exec, s[22:23]
.LBB290_374:                            ;   in Loop: Header=BB290_212 Depth=1
	s_or_b64 exec, exec, s[20:21]
.LBB290_375:                            ;   in Loop: Header=BB290_212 Depth=1
	s_or_b64 exec, exec, s[18:19]
	v_lshrrev_b32_e32 v6, 16, v24
	v_cmp_ne_u16_sdwa s[2:3], v6, v7 src0_sel:BYTE_0 src1_sel:DWORD
	v_mov_b32_e32 v23, 0
	v_mov_b32_e32 v21, 0
	s_and_saveexec_b64 s[18:19], s[2:3]
	s_cbranch_execz .LBB290_381
; %bb.376:                              ;   in Loop: Header=BB290_212 Depth=1
	v_cmp_ne_u16_sdwa s[2:3], v6, s30 src0_sel:BYTE_0 src1_sel:DWORD
	v_bfrev_b32_e32 v21, 1
	s_and_saveexec_b64 s[20:21], s[2:3]
	s_cbranch_execz .LBB290_380
; %bb.377:                              ;   in Loop: Header=BB290_212 Depth=1
	v_bfe_u32 v19, v24, 16, 7
	v_cmp_ne_u32_e64 s[2:3], s31, v19
	v_mov_b32_e32 v21, 0x7fc02000
	s_and_saveexec_b64 s[22:23], s[2:3]
	s_cbranch_execz .LBB290_379
; %bb.378:                              ;   in Loop: Header=BB290_212 Depth=1
	v_and_b32_e32 v21, 7, v6
	v_ffbh_u32_e32 v26, v21
	v_min_u32_e32 v29, 32, v26
	v_subrev_u32_e32 v26, 28, v29
	v_lshlrev_b64 v[26:27], v26, v[6:7]
	v_lshrrev_b32_e32 v28, 3, v19
	v_sub_u32_e32 v27, 29, v29
	v_cmp_gt_u32_e64 s[2:3], 8, v19
	v_cndmask_b32_e64 v19, v28, v27, s[2:3]
	v_and_b32_e32 v26, 7, v26
	v_lshlrev_b32_e32 v6, 8, v6
	v_lshl_add_u32 v19, v19, 10, v3
	v_cndmask_b32_e64 v21, v21, v26, s[2:3]
	v_and_or_b32 v6, v6, s34, v19
	v_lshl_or_b32 v6, v21, 7, v6
	v_cvt_f32_f16_e32 v21, v6
.LBB290_379:                            ;   in Loop: Header=BB290_212 Depth=1
	s_or_b64 exec, exec, s[22:23]
.LBB290_380:                            ;   in Loop: Header=BB290_212 Depth=1
	s_or_b64 exec, exec, s[20:21]
.LBB290_381:                            ;   in Loop: Header=BB290_212 Depth=1
	s_or_b64 exec, exec, s[18:19]
	v_cmp_lt_u32_e64 s[2:3], s11, v24
	s_and_saveexec_b64 s[18:19], s[2:3]
	s_cbranch_execz .LBB290_387
; %bb.382:                              ;   in Loop: Header=BB290_212 Depth=1
	v_lshrrev_b32_e32 v6, 24, v24
	v_cmp_ne_u32_e64 s[2:3], s30, v6
	v_bfrev_b32_e32 v23, 1
	s_and_saveexec_b64 s[20:21], s[2:3]
	s_cbranch_execz .LBB290_386
; %bb.383:                              ;   in Loop: Header=BB290_212 Depth=1
	v_and_b32_e32 v19, 0x7f, v6
	v_cmp_ne_u32_e64 s[2:3], s31, v19
	v_mov_b32_e32 v23, 0x7fc02000
	s_and_saveexec_b64 s[22:23], s[2:3]
	s_cbranch_execz .LBB290_385
; %bb.384:                              ;   in Loop: Header=BB290_212 Depth=1
	v_and_b32_e32 v23, 7, v6
	v_ffbh_u32_e32 v26, v23
	v_min_u32_e32 v29, 32, v26
	v_subrev_u32_e32 v26, 28, v29
	v_lshlrev_b64 v[26:27], v26, v[6:7]
	v_lshrrev_b32_e32 v28, 3, v19
	v_sub_u32_e32 v27, 29, v29
	v_cmp_gt_u32_e64 s[2:3], 8, v19
	v_cndmask_b32_e64 v19, v28, v27, s[2:3]
	v_and_b32_e32 v26, 7, v26
	v_lshlrev_b32_e32 v6, 8, v6
	v_lshl_add_u32 v19, v19, 10, v3
	v_cndmask_b32_e64 v23, v23, v26, s[2:3]
	v_and_or_b32 v6, v6, s34, v19
	v_lshl_or_b32 v6, v23, 7, v6
	v_cvt_f32_f16_e32 v23, v6
.LBB290_385:                            ;   in Loop: Header=BB290_212 Depth=1
	s_or_b64 exec, exec, s[22:23]
.LBB290_386:                            ;   in Loop: Header=BB290_212 Depth=1
	s_or_b64 exec, exec, s[20:21]
.LBB290_387:                            ;   in Loop: Header=BB290_212 Depth=1
	s_or_b64 exec, exec, s[18:19]
	v_mov_b32_e32 v6, v25
	v_cmp_ne_u16_sdwa s[2:3], v25, v7 src0_sel:BYTE_0 src1_sel:DWORD
	v_mov_b32_e32 v26, 0
	v_mov_b32_e32 v19, 0
	s_and_saveexec_b64 s[18:19], s[2:3]
	s_cbranch_execz .LBB290_393
; %bb.388:                              ;   in Loop: Header=BB290_212 Depth=1
	v_cmp_ne_u16_sdwa s[2:3], v25, s30 src0_sel:BYTE_0 src1_sel:DWORD
	v_bfrev_b32_e32 v19, 1
	s_and_saveexec_b64 s[20:21], s[2:3]
	s_cbranch_execz .LBB290_392
; %bb.389:                              ;   in Loop: Header=BB290_212 Depth=1
	v_and_b32_e32 v27, 0x7f, v25
	v_cmp_ne_u32_e64 s[2:3], s31, v27
	v_mov_b32_e32 v19, 0x7fc02000
	s_and_saveexec_b64 s[22:23], s[2:3]
	s_cbranch_execz .LBB290_391
; %bb.390:                              ;   in Loop: Header=BB290_212 Depth=1
	v_and_b32_e32 v19, 7, v25
	v_ffbh_u32_e32 v19, v19
	v_min_u32_e32 v19, 32, v19
	v_subrev_u32_e32 v28, 28, v19
	v_cmp_gt_u32_e64 s[2:3], 8, v27
	v_lshrrev_b32_e32 v36, 3, v27
	v_sub_u32_e32 v19, 29, v19
	v_cndmask_b32_e64 v27, 0, v28, s[2:3]
	v_lshlrev_b64 v[28:29], v27, v[6:7]
	v_cndmask_b32_e64 v19, v36, v19, s[2:3]
	v_lshlrev_b32_e32 v27, 7, v28
	v_lshlrev_b32_e32 v28, 8, v25
	v_lshl_add_u32 v19, v19, 10, v3
	v_and_or_b32 v19, v28, s34, v19
	v_and_or_b32 v19, v27, s35, v19
	v_cvt_f32_f16_e32 v19, v19
.LBB290_391:                            ;   in Loop: Header=BB290_212 Depth=1
	s_or_b64 exec, exec, s[22:23]
.LBB290_392:                            ;   in Loop: Header=BB290_212 Depth=1
	s_or_b64 exec, exec, s[20:21]
.LBB290_393:                            ;   in Loop: Header=BB290_212 Depth=1
	s_or_b64 exec, exec, s[18:19]
	v_lshrrev_b16_e32 v6, 8, v6
	v_cmp_ne_u16_e64 s[2:3], 0, v6
	s_and_saveexec_b64 s[18:19], s[2:3]
	s_cbranch_execz .LBB290_399
; %bb.394:                              ;   in Loop: Header=BB290_212 Depth=1
	v_cmp_ne_u16_e64 s[2:3], s30, v6
	v_bfrev_b32_e32 v26, 1
	s_and_saveexec_b64 s[20:21], s[2:3]
	s_cbranch_execz .LBB290_398
; %bb.395:                              ;   in Loop: Header=BB290_212 Depth=1
	v_and_b32_e32 v27, 0x7f, v6
	v_cmp_ne_u32_e64 s[2:3], s31, v27
	v_mov_b32_e32 v26, 0x7fc02000
	s_and_saveexec_b64 s[22:23], s[2:3]
	s_cbranch_execz .LBB290_397
; %bb.396:                              ;   in Loop: Header=BB290_212 Depth=1
	v_and_b32_e32 v26, 7, v6
	v_ffbh_u32_e32 v28, v26
	v_min_u32_e32 v37, 32, v28
	v_subrev_u32_e32 v28, 28, v37
	v_lshlrev_b64 v[28:29], v28, v[6:7]
	v_lshrrev_b32_e32 v36, 3, v27
	v_sub_u32_e32 v29, 29, v37
	v_cmp_gt_u32_e64 s[2:3], 8, v27
	v_cndmask_b32_e64 v27, v36, v29, s[2:3]
	v_and_b32_e32 v28, 7, v28
	v_lshlrev_b32_e32 v6, 8, v6
	v_lshl_add_u32 v27, v27, 10, v3
	v_cndmask_b32_e64 v26, v26, v28, s[2:3]
	v_and_or_b32 v6, v6, s34, v27
	v_lshl_or_b32 v6, v26, 7, v6
	v_cvt_f32_f16_e32 v26, v6
.LBB290_397:                            ;   in Loop: Header=BB290_212 Depth=1
	s_or_b64 exec, exec, s[22:23]
.LBB290_398:                            ;   in Loop: Header=BB290_212 Depth=1
	s_or_b64 exec, exec, s[20:21]
.LBB290_399:                            ;   in Loop: Header=BB290_212 Depth=1
	s_or_b64 exec, exec, s[18:19]
	v_lshrrev_b32_e32 v6, 16, v25
	v_cmp_ne_u16_sdwa s[2:3], v6, v7 src0_sel:BYTE_0 src1_sel:DWORD
	v_mov_b32_e32 v27, 0
	v_mov_b32_e32 v28, 0
	s_and_saveexec_b64 s[18:19], s[2:3]
	s_cbranch_execz .LBB290_405
; %bb.400:                              ;   in Loop: Header=BB290_212 Depth=1
	v_cmp_ne_u16_sdwa s[2:3], v6, s30 src0_sel:BYTE_0 src1_sel:DWORD
	v_bfrev_b32_e32 v28, 1
	s_and_saveexec_b64 s[20:21], s[2:3]
	s_cbranch_execz .LBB290_404
; %bb.401:                              ;   in Loop: Header=BB290_212 Depth=1
	v_bfe_u32 v29, v25, 16, 7
	v_cmp_ne_u32_e64 s[2:3], s31, v29
	v_mov_b32_e32 v28, 0x7fc02000
	s_and_saveexec_b64 s[22:23], s[2:3]
	s_cbranch_execz .LBB290_403
; %bb.402:                              ;   in Loop: Header=BB290_212 Depth=1
	v_and_b32_e32 v28, 7, v6
	v_ffbh_u32_e32 v36, v28
	v_min_u32_e32 v39, 32, v36
	v_subrev_u32_e32 v36, 28, v39
	v_lshlrev_b64 v[36:37], v36, v[6:7]
	v_lshrrev_b32_e32 v38, 3, v29
	v_sub_u32_e32 v37, 29, v39
	v_cmp_gt_u32_e64 s[2:3], 8, v29
	v_cndmask_b32_e64 v29, v38, v37, s[2:3]
	v_and_b32_e32 v36, 7, v36
	v_lshlrev_b32_e32 v6, 8, v6
	v_lshl_add_u32 v29, v29, 10, v3
	v_cndmask_b32_e64 v28, v28, v36, s[2:3]
	v_and_or_b32 v6, v6, s34, v29
	v_lshl_or_b32 v6, v28, 7, v6
	v_cvt_f32_f16_e32 v28, v6
.LBB290_403:                            ;   in Loop: Header=BB290_212 Depth=1
	s_or_b64 exec, exec, s[22:23]
.LBB290_404:                            ;   in Loop: Header=BB290_212 Depth=1
	s_or_b64 exec, exec, s[20:21]
.LBB290_405:                            ;   in Loop: Header=BB290_212 Depth=1
	s_or_b64 exec, exec, s[18:19]
	v_cmp_lt_u64_e64 s[2:3], s[10:11], v[24:25]
	s_and_saveexec_b64 s[18:19], s[2:3]
	s_cbranch_execz .LBB290_411
; %bb.406:                              ;   in Loop: Header=BB290_212 Depth=1
	v_lshrrev_b32_e32 v6, 24, v25
	v_cmp_ne_u32_e64 s[2:3], s30, v6
	v_bfrev_b32_e32 v27, 1
	s_and_saveexec_b64 s[20:21], s[2:3]
	s_cbranch_execz .LBB290_410
; %bb.407:                              ;   in Loop: Header=BB290_212 Depth=1
	v_and_b32_e32 v24, 0x7f, v6
	v_cmp_ne_u32_e64 s[2:3], s31, v24
	v_mov_b32_e32 v27, 0x7fc02000
	s_and_saveexec_b64 s[22:23], s[2:3]
	s_cbranch_execz .LBB290_409
; %bb.408:                              ;   in Loop: Header=BB290_212 Depth=1
	v_and_b32_e32 v25, 7, v6
	v_ffbh_u32_e32 v29, v25
	v_min_u32_e32 v29, 32, v29
	v_lshrrev_b32_e32 v27, 3, v24
	v_subrev_u32_e32 v36, 28, v29
	v_sub_u32_e32 v29, 29, v29
	v_cmp_gt_u32_e64 s[2:3], 8, v24
	v_lshlrev_b64 v[36:37], v36, v[6:7]
	v_cndmask_b32_e64 v24, v27, v29, s[2:3]
	v_and_b32_e32 v36, 7, v36
	v_lshlrev_b32_e32 v6, 8, v6
	v_lshl_add_u32 v24, v24, 10, v3
	v_cndmask_b32_e64 v25, v25, v36, s[2:3]
	v_and_or_b32 v6, v6, s34, v24
	v_lshl_or_b32 v6, v25, 7, v6
	v_cvt_f32_f16_e32 v27, v6
.LBB290_409:                            ;   in Loop: Header=BB290_212 Depth=1
	s_or_b64 exec, exec, s[22:23]
.LBB290_410:                            ;   in Loop: Header=BB290_212 Depth=1
	s_or_b64 exec, exec, s[20:21]
.LBB290_411:                            ;   in Loop: Header=BB290_212 Depth=1
	s_or_b64 exec, exec, s[18:19]
	s_waitcnt vmcnt(0)
	v_pk_mul_f32 v[20:21], v[18:19], v[20:21] op_sel_hi:[0,1]
	v_cvt_f16_f32_e32 v21, v21
	v_cvt_f16_f32_e32 v20, v20
	v_pk_mul_f32 v[22:23], v[18:19], v[22:23] op_sel_hi:[0,1]
	v_cvt_f16_f32_e32 v6, v23
	v_cvt_f16_f32_e32 v22, v22
	v_pack_b32_f16 v20, v20, v21
	v_fma_mixlo_f16 v21, v18, v26, 0
	v_lshlrev_b32_e32 v21, 16, v21
	v_fma_mixlo_f16 v19, v18, v19, 0
	v_or_b32_sdwa v19, v21, v19 dst_sel:DWORD dst_unused:UNUSED_PAD src0_sel:DWORD src1_sel:WORD_0
	v_fma_mixlo_f16 v21, v18, v28, 0
	v_fma_mixlo_f16 v18, v18, v27, 0
	v_pack_b32_f16 v22, v22, v6
	v_lshlrev_b32_e32 v18, 16, v18
	v_perm_b32 v6, v20, v22, s36
	v_perm_b32 v20, v20, v22, s37
	v_or_b32_sdwa v18, v18, v21 dst_sel:DWORD dst_unused:UNUSED_PAD src0_sel:DWORD src1_sel:WORD_0
	s_and_saveexec_b64 s[2:3], s[0:1]
	s_cbranch_execz .LBB290_210
; %bb.412:                              ;   in Loop: Header=BB290_212 Depth=1
	v_add_u32_e32 v22, 1, v5
	v_lshrrev_b32_e32 v23, 16, v20
	v_cmp_gt_i32_e64 s[0:1], s28, v22
	v_cndmask_b32_e64 v22, 0, v23, s[0:1]
	v_cmp_gt_i32_e64 s[0:1], s29, v5
	v_cndmask_b32_e64 v20, 0, v20, s[0:1]
	v_perm_b32 v20, v22, v20, s38
	v_or_b32_e32 v22, 3, v5
	v_or_b32_e32 v23, 2, v5
	v_lshrrev_b32_e32 v24, 16, v6
	v_cmp_gt_i32_e64 s[0:1], s28, v22
	v_cndmask_b32_e64 v22, 0, v24, s[0:1]
	v_cmp_gt_i32_e64 s[0:1], s29, v23
	v_cndmask_b32_e64 v6, 0, v6, s[0:1]
	v_perm_b32 v6, v22, v6, s38
	v_or_b32_e32 v22, 5, v5
	v_or_b32_e32 v23, 4, v5
	;; [unrolled: 8-line block ×3, first 2 shown]
	v_lshrrev_b32_e32 v18, 16, v18
	v_cmp_gt_i32_e64 s[0:1], s28, v22
	v_cndmask_b32_e64 v18, 0, v18, s[0:1]
	v_cmp_gt_i32_e64 s[0:1], s29, v23
	v_cndmask_b32_e64 v21, 0, v21, s[0:1]
	v_perm_b32 v18, v18, v21, s38
	s_branch .LBB290_210
.LBB290_413:
	s_or_b64 exec, exec, s[12:13]
.LBB290_414:
	s_or_b64 exec, exec, s[6:7]
	ds_bpermute_b32 v2, v1, v12
	ds_bpermute_b32 v3, v1, v13
	;; [unrolled: 1-line block ×4, first 2 shown]
	v_and_b32_e32 v1, 0x3c0, v0
	v_cmp_eq_u32_e32 vcc, 64, v1
	s_waitcnt lgkmcnt(2)
	v_pk_add_f32 v[4:5], v[12:13], v[2:3]
	s_waitcnt lgkmcnt(0)
	v_pk_add_f32 v[2:3], v[8:9], v[6:7]
	s_barrier
	s_and_saveexec_b64 s[2:3], vcc
	s_cbranch_execz .LBB290_419
; %bb.415:
	v_cmp_eq_u32_e32 vcc, 0, v11
	s_and_saveexec_b64 s[0:1], vcc
	s_cbranch_execz .LBB290_417
; %bb.416:
	v_mov_b32_e32 v1, 0xf0
	v_lshl_add_u32 v1, v30, 2, v1
	ds_write2_b32 v1, v4, v5 offset1:32
	ds_write_b32 v1, v2 offset:256
.LBB290_417:
	s_or_b64 exec, exec, s[0:1]
	v_or_b32_e32 v1, 0x60, v30
	s_movk_i32 s0, 0x70
	v_cmp_gt_u32_e64 s[0:1], s0, v1
	s_and_b64 s[0:1], vcc, s[0:1]
	s_and_b64 exec, exec, s[0:1]
	s_cbranch_execz .LBB290_419
; %bb.418:
	v_mov_b32_e32 v1, 0xf0
	v_lshl_add_u32 v1, v30, 2, v1
	ds_write_b32 v1, v3 offset:384
.LBB290_419:
	s_or_b64 exec, exec, s[2:3]
	v_cmp_gt_u32_e32 vcc, 64, v0
	v_lshrrev_b32_e32 v0, 1, v0
	s_waitcnt lgkmcnt(0)
	s_barrier
	s_and_saveexec_b64 s[6:7], vcc
	s_cbranch_execz .LBB290_427
; %bb.420:
	v_cmp_eq_u32_e64 s[0:1], 0, v11
	s_and_saveexec_b64 s[2:3], s[0:1]
	s_cbranch_execnz .LBB290_433
; %bb.421:
	s_or_b64 exec, exec, s[2:3]
	s_and_saveexec_b64 s[2:3], s[0:1]
	s_cbranch_execnz .LBB290_434
.LBB290_422:
	s_or_b64 exec, exec, s[2:3]
	s_and_saveexec_b64 s[2:3], s[0:1]
	s_cbranch_execz .LBB290_424
.LBB290_423:
	v_mov_b32_e32 v1, 0xf0
	v_lshl_add_u32 v1, v0, 2, v1
	ds_read_b32 v1, v1 offset:256
	s_waitcnt lgkmcnt(0)
	v_add_f32_e32 v2, v2, v1
.LBB290_424:
	s_or_b64 exec, exec, s[2:3]
	v_or_b32_e32 v1, 0x60, v0
	s_movk_i32 s2, 0x70
	v_cmp_gt_u32_e64 s[2:3], s2, v1
	s_and_b64 s[2:3], s[0:1], s[2:3]
	s_and_saveexec_b64 s[0:1], s[2:3]
	s_cbranch_execz .LBB290_426
; %bb.425:
	v_mov_b32_e32 v1, 0xf0
	v_lshl_add_u32 v1, v0, 2, v1
	ds_read_b32 v1, v1 offset:384
	s_waitcnt lgkmcnt(0)
	v_add_f32_e32 v3, v3, v1
.LBB290_426:
	s_or_b64 exec, exec, s[0:1]
.LBB290_427:
	s_or_b64 exec, exec, s[6:7]
	s_barrier
	s_and_saveexec_b64 s[0:1], vcc
	s_cbranch_execz .LBB290_432
; %bb.428:
	s_mul_i32 s0, s4, 0x70
	s_ashr_i32 s1, s0, 31
	s_lshl_b64 s[0:1], s[0:1], 1
	s_add_u32 s2, s26, s0
	s_mul_i32 s0, s25, s24
	s_addc_u32 s3, s27, s1
	s_ashr_i32 s1, s0, 31
	s_lshl_b64 s[0:1], s[0:1], 1
	s_add_u32 s2, s2, s0
	s_mul_i32 s0, s8, 0x70
	s_addc_u32 s3, s3, s1
	s_ashr_i32 s1, s0, 31
	s_lshl_b64 s[0:1], s[0:1], 1
	s_add_u32 s2, s2, s0
	s_movk_i32 s5, 0x70
	s_addc_u32 s3, s3, s1
	v_cmp_eq_u32_e32 vcc, 0, v11
	v_lshlrev_b32_e32 v1, 1, v0
	s_and_saveexec_b64 s[0:1], vcc
	s_cbranch_execz .LBB290_430
; %bb.429:
	;;#ASMSTART
	v_cvt_f16_f32 v4, v4;

	;;#ASMEND
	global_store_short v1, v4, s[2:3]
	;;#ASMSTART
	v_cvt_f16_f32 v4, v5;

	;;#ASMEND
	global_store_short v1, v4, s[2:3] offset:64
	;;#ASMSTART
	v_cvt_f16_f32 v2, v2;

	;;#ASMEND
	global_store_short v1, v2, s[2:3] offset:128
.LBB290_430:
	s_or_b64 exec, exec, s[0:1]
	v_or_b32_e32 v0, 0x60, v0
	v_cmp_gt_u32_e64 s[0:1], s5, v0
	s_and_b64 s[0:1], vcc, s[0:1]
	s_and_b64 exec, exec, s[0:1]
	s_cbranch_execz .LBB290_432
; %bb.431:
	;;#ASMSTART
	v_cvt_f16_f32 v0, v3;

	;;#ASMEND
	global_store_short v1, v0, s[2:3] offset:192
.LBB290_432:
	s_endpgm
.LBB290_433:
	v_mov_b32_e32 v1, 0xf0
	v_lshl_add_u32 v1, v0, 2, v1
	ds_read_b32 v1, v1
	s_waitcnt lgkmcnt(0)
	v_add_f32_e32 v4, v4, v1
	s_or_b64 exec, exec, s[2:3]
	s_and_saveexec_b64 s[2:3], s[0:1]
	s_cbranch_execz .LBB290_422
.LBB290_434:
	v_mov_b32_e32 v1, 0xf0
	v_lshl_add_u32 v1, v0, 2, v1
	ds_read_b32 v1, v1 offset:128
	s_waitcnt lgkmcnt(0)
	v_add_f32_e32 v5, v5, v1
	s_or_b64 exec, exec, s[2:3]
	s_and_saveexec_b64 s[2:3], s[0:1]
	s_cbranch_execnz .LBB290_423
	s_branch .LBB290_424
	.section	.rodata,"a",@progbits
	.p2align	6, 0x0
	.amdhsa_kernel _ZN4vllm25paged_attention_v2_kernelIthLi112ELi16ELi128ELNS_18Fp8KVCacheDataTypeE1ELb0ELi512EEEvPfS2_PT_PKS3_PKT0_S9_ifPKiSB_iPKfiiiSD_SD_iiiii
		.amdhsa_group_segment_fixed_size 240
		.amdhsa_private_segment_fixed_size 0
		.amdhsa_kernarg_size 400
		.amdhsa_user_sgpr_count 6
		.amdhsa_user_sgpr_private_segment_buffer 1
		.amdhsa_user_sgpr_dispatch_ptr 0
		.amdhsa_user_sgpr_queue_ptr 0
		.amdhsa_user_sgpr_kernarg_segment_ptr 1
		.amdhsa_user_sgpr_dispatch_id 0
		.amdhsa_user_sgpr_flat_scratch_init 0
		.amdhsa_user_sgpr_kernarg_preload_length 0
		.amdhsa_user_sgpr_kernarg_preload_offset 0
		.amdhsa_user_sgpr_private_segment_size 0
		.amdhsa_uses_dynamic_stack 0
		.amdhsa_system_sgpr_private_segment_wavefront_offset 0
		.amdhsa_system_sgpr_workgroup_id_x 1
		.amdhsa_system_sgpr_workgroup_id_y 1
		.amdhsa_system_sgpr_workgroup_id_z 1
		.amdhsa_system_sgpr_workgroup_info 0
		.amdhsa_system_vgpr_workitem_id 0
		.amdhsa_next_free_vgpr 62
		.amdhsa_next_free_sgpr 53
		.amdhsa_accum_offset 64
		.amdhsa_reserve_vcc 1
		.amdhsa_reserve_flat_scratch 0
		.amdhsa_float_round_mode_32 0
		.amdhsa_float_round_mode_16_64 0
		.amdhsa_float_denorm_mode_32 3
		.amdhsa_float_denorm_mode_16_64 3
		.amdhsa_dx10_clamp 1
		.amdhsa_ieee_mode 1
		.amdhsa_fp16_overflow 0
		.amdhsa_tg_split 0
		.amdhsa_exception_fp_ieee_invalid_op 0
		.amdhsa_exception_fp_denorm_src 0
		.amdhsa_exception_fp_ieee_div_zero 0
		.amdhsa_exception_fp_ieee_overflow 0
		.amdhsa_exception_fp_ieee_underflow 0
		.amdhsa_exception_fp_ieee_inexact 0
		.amdhsa_exception_int_div_zero 0
	.end_amdhsa_kernel
	.section	.text._ZN4vllm25paged_attention_v2_kernelIthLi112ELi16ELi128ELNS_18Fp8KVCacheDataTypeE1ELb0ELi512EEEvPfS2_PT_PKS3_PKT0_S9_ifPKiSB_iPKfiiiSD_SD_iiiii,"axG",@progbits,_ZN4vllm25paged_attention_v2_kernelIthLi112ELi16ELi128ELNS_18Fp8KVCacheDataTypeE1ELb0ELi512EEEvPfS2_PT_PKS3_PKT0_S9_ifPKiSB_iPKfiiiSD_SD_iiiii,comdat
.Lfunc_end290:
	.size	_ZN4vllm25paged_attention_v2_kernelIthLi112ELi16ELi128ELNS_18Fp8KVCacheDataTypeE1ELb0ELi512EEEvPfS2_PT_PKS3_PKT0_S9_ifPKiSB_iPKfiiiSD_SD_iiiii, .Lfunc_end290-_ZN4vllm25paged_attention_v2_kernelIthLi112ELi16ELi128ELNS_18Fp8KVCacheDataTypeE1ELb0ELi512EEEvPfS2_PT_PKS3_PKT0_S9_ifPKiSB_iPKfiiiSD_SD_iiiii
                                        ; -- End function
	.section	.AMDGPU.csdata,"",@progbits
; Kernel info:
; codeLenInByte = 17968
; NumSgprs: 57
; NumVgprs: 62
; NumAgprs: 0
; TotalNumVgprs: 62
; ScratchSize: 0
; MemoryBound: 0
; FloatMode: 240
; IeeeMode: 1
; LDSByteSize: 240 bytes/workgroup (compile time only)
; SGPRBlocks: 7
; VGPRBlocks: 7
; NumSGPRsForWavesPerEU: 57
; NumVGPRsForWavesPerEU: 62
; AccumOffset: 64
; Occupancy: 8
; WaveLimiterHint : 1
; COMPUTE_PGM_RSRC2:SCRATCH_EN: 0
; COMPUTE_PGM_RSRC2:USER_SGPR: 6
; COMPUTE_PGM_RSRC2:TRAP_HANDLER: 0
; COMPUTE_PGM_RSRC2:TGID_X_EN: 1
; COMPUTE_PGM_RSRC2:TGID_Y_EN: 1
; COMPUTE_PGM_RSRC2:TGID_Z_EN: 1
; COMPUTE_PGM_RSRC2:TIDIG_COMP_CNT: 0
; COMPUTE_PGM_RSRC3_GFX90A:ACCUM_OFFSET: 15
; COMPUTE_PGM_RSRC3_GFX90A:TG_SPLIT: 0
	.section	.text._ZN4vllm25paged_attention_v2_kernelIthLi120ELi16ELi128ELNS_18Fp8KVCacheDataTypeE1ELb0ELi512EEEvPfS2_PT_PKS3_PKT0_S9_ifPKiSB_iPKfiiiSD_SD_iiiii,"axG",@progbits,_ZN4vllm25paged_attention_v2_kernelIthLi120ELi16ELi128ELNS_18Fp8KVCacheDataTypeE1ELb0ELi512EEEvPfS2_PT_PKS3_PKT0_S9_ifPKiSB_iPKfiiiSD_SD_iiiii,comdat
	.protected	_ZN4vllm25paged_attention_v2_kernelIthLi120ELi16ELi128ELNS_18Fp8KVCacheDataTypeE1ELb0ELi512EEEvPfS2_PT_PKS3_PKT0_S9_ifPKiSB_iPKfiiiSD_SD_iiiii ; -- Begin function _ZN4vllm25paged_attention_v2_kernelIthLi120ELi16ELi128ELNS_18Fp8KVCacheDataTypeE1ELb0ELi512EEEvPfS2_PT_PKS3_PKT0_S9_ifPKiSB_iPKfiiiSD_SD_iiiii
	.globl	_ZN4vllm25paged_attention_v2_kernelIthLi120ELi16ELi128ELNS_18Fp8KVCacheDataTypeE1ELb0ELi512EEEvPfS2_PT_PKS3_PKT0_S9_ifPKiSB_iPKfiiiSD_SD_iiiii
	.p2align	8
	.type	_ZN4vllm25paged_attention_v2_kernelIthLi120ELi16ELi128ELNS_18Fp8KVCacheDataTypeE1ELb0ELi512EEEvPfS2_PT_PKS3_PKT0_S9_ifPKiSB_iPKfiiiSD_SD_iiiii,@function
_ZN4vllm25paged_attention_v2_kernelIthLi120ELi16ELi128ELNS_18Fp8KVCacheDataTypeE1ELb0ELi512EEEvPfS2_PT_PKS3_PKT0_S9_ifPKiSB_iPKfiiiSD_SD_iiiii: ; @_ZN4vllm25paged_attention_v2_kernelIthLi120ELi16ELi128ELNS_18Fp8KVCacheDataTypeE1ELb0ELi512EEEvPfS2_PT_PKS3_PKT0_S9_ifPKiSB_iPKfiiiSD_SD_iiiii
; %bb.0:
	s_load_dwordx2 s[0:1], s[4:5], 0x40
	s_mov_b32 s28, s7
	s_ashr_i32 s29, s7, 31
	s_lshl_b64 s[2:3], s[28:29], 2
	s_waitcnt lgkmcnt(0)
	s_add_u32 s0, s0, s2
	s_addc_u32 s1, s1, s3
	s_load_dword s29, s[0:1], 0x0
	s_lshl_b32 s46, s8, 9
	s_waitcnt lgkmcnt(0)
	s_cmp_ge_i32 s46, s29
	s_cbranch_scc1 .LBB291_444
; %bb.1:
	s_load_dword s9, s[4:5], 0x90
	s_load_dwordx2 s[10:11], s[4:5], 0x30
	s_waitcnt lgkmcnt(0)
	s_abs_i32 s2, s9
	s_abs_i32 s0, s10
	v_cvt_f32_u32_e32 v1, s0
	s_sub_i32 s3, 0, s0
	s_xor_b32 s1, s9, s10
	s_ashr_i32 s1, s1, 31
	v_rcp_iflag_f32_e32 v1, v1
	v_mul_f32_e32 v1, 0x4f7ffffe, v1
	v_cvt_u32_f32_e32 v1, v1
	v_readfirstlane_b32 s7, v1
	s_mul_i32 s3, s3, s7
	s_mul_hi_u32 s3, s7, s3
	s_add_i32 s7, s7, s3
	s_mul_hi_u32 s3, s2, s7
	s_mul_i32 s7, s3, s0
	s_sub_i32 s2, s2, s7
	s_add_i32 s10, s3, 1
	s_sub_i32 s7, s2, s0
	s_cmp_ge_u32 s2, s0
	s_cselect_b32 s3, s10, s3
	s_cselect_b32 s2, s7, s2
	s_add_i32 s7, s3, 1
	s_cmp_ge_u32 s2, s0
	s_cselect_b32 s0, s7, s3
	s_xor_b32 s0, s0, s1
	s_sub_i32 s14, s0, s1
	s_abs_i32 s2, s14
	v_cvt_f32_u32_e32 v1, s2
	s_load_dwordx2 s[0:1], s[4:5], 0x50
	s_sub_i32 s7, 0, s2
	s_abs_i32 s3, s6
	v_rcp_iflag_f32_e32 v1, v1
	s_mov_b32 s10, 0
	v_mul_f32_e32 v1, 0x4f7ffffe, v1
	v_cvt_u32_f32_e32 v1, v1
	v_readfirstlane_b32 s12, v1
	s_mul_i32 s7, s7, s12
	s_mul_hi_u32 s7, s12, s7
	s_add_i32 s12, s12, s7
	s_waitcnt lgkmcnt(0)
	s_cmp_eq_u64 s[0:1], 0
	s_mul_hi_u32 s12, s3, s12
	s_cbranch_scc1 .LBB291_3
; %bb.2:
	s_ashr_i32 s7, s6, 31
	s_lshl_b64 s[16:17], s[6:7], 2
	s_add_u32 s0, s0, s16
	s_addc_u32 s1, s1, s17
	s_load_dword s10, s[0:1], 0x0
.LBB291_3:
	s_load_dwordx4 s[16:19], s[4:5], 0x58
	s_ashr_i32 s13, s6, 31
	s_ashr_i32 s14, s14, 31
	v_and_b32_e32 v8, 3, v0
	s_mul_i32 s24, s6, 0x78
	v_cmp_gt_u32_e32 vcc, 60, v0
	s_and_saveexec_b64 s[0:1], vcc
	s_cbranch_execz .LBB291_5
; %bb.4:
	s_load_dwordx2 s[20:21], s[4:5], 0x18
	s_waitcnt lgkmcnt(0)
	s_mul_i32 s22, s28, s16
	s_ashr_i32 s23, s22, 31
	s_lshl_b64 s[22:23], s[22:23], 1
	v_lshlrev_b32_e32 v1, 2, v0
	s_add_u32 s7, s20, s22
	s_addc_u32 s15, s21, s23
	s_ashr_i32 s25, s24, 31
	s_lshl_b64 s[20:21], s[24:25], 1
	s_add_u32 s20, s7, s20
	s_addc_u32 s21, s15, s21
	global_load_dword v1, v1, s[20:21]
	v_and_b32_e32 v2, 0x3fc, v0
	v_mad_u32_u24 v2, v8, 60, v2
	s_waitcnt vmcnt(0)
	ds_write_b32 v2, v1
.LBB291_5:
	s_or_b64 exec, exec, s[0:1]
	s_add_i32 s0, s29, 15
	s_ashr_i32 s1, s0, 31
	s_lshr_b32 s1, s1, 28
	s_add_i32 s0, s0, s1
	s_lshl_b32 s7, s8, 5
	s_mul_i32 s1, s12, s2
	s_waitcnt lgkmcnt(0)
	s_ashr_i32 s16, s0, 4
	s_add_i32 s0, s7, 32
	s_sub_i32 s1, s3, s1
	s_min_i32 s33, s0, s16
	s_xor_b32 s0, s13, s14
	s_add_i32 s3, s12, 1
	s_sub_i32 s13, s1, s2
	s_cmp_ge_u32 s1, s2
	s_cselect_b32 s3, s3, s12
	s_cselect_b32 s1, s13, s1
	s_add_i32 s12, s3, 1
	s_cmp_ge_u32 s1, s2
	s_load_dwordx2 s[30:31], s[4:5], 0x38
	s_load_dword s2, s[4:5], 0x48
	v_lshrrev_b32_e32 v14, 6, v0
	s_cselect_b32 s1, s12, s3
	s_xor_b32 s1, s1, s0
	v_or_b32_e32 v2, s7, v14
	s_waitcnt lgkmcnt(0)
	s_mul_i32 s34, s28, s2
	s_sub_i32 s47, s1, s0
	s_ashr_i32 s35, s34, 31
	v_cmp_gt_i32_e64 s[0:1], s33, v2
	v_cmp_le_i32_e32 vcc, s33, v2
	v_mbcnt_lo_u32_b32 v11, -1, 0
	s_barrier
	s_waitcnt lgkmcnt(0)
                                        ; implicit-def: $sgpr19
                                        ; implicit-def: $vgpr7
                                        ; implicit-def: $vgpr10
	s_and_saveexec_b64 s[2:3], vcc
	s_xor_b64 s[2:3], exec, s[2:3]
; %bb.6:
	v_mbcnt_hi_u32_b32 v7, -1, v11
	v_and_b32_e32 v1, 64, v7
	v_add_u32_e32 v10, 64, v1
	s_mov_b32 s19, 0xff7fffff
                                        ; implicit-def: $vgpr8
                                        ; implicit-def: $vgpr11
; %bb.7:
	s_or_saveexec_b64 s[38:39], s[2:3]
	s_load_dwordx4 s[20:23], s[4:5], 0x0
	s_load_dwordx2 s[26:27], s[4:5], 0x10
	s_load_dword s25, s[4:5], 0x98
	s_load_dwordx2 s[36:37], s[4:5], 0x28
	s_load_dwordx4 s[12:15], s[4:5], 0x68
	v_mov_b32_e32 v1, s19
	s_mul_i32 s47, s47, s18
	v_ashrrev_i32_e32 v3, 31, v2
	v_lshlrev_b32_e32 v15, 4, v14
	s_xor_b64 exec, exec, s[38:39]
	s_cbranch_execz .LBB291_193
; %bb.8:
	s_load_dwordx2 s[2:3], s[4:5], 0x20
	s_ashr_i32 s4, s47, 31
	v_bfe_u32 v1, v0, 2, 4
	v_lshlrev_b32_e32 v4, 4, v1
	v_add3_u32 v17, s46, v15, v1
	s_waitcnt lgkmcnt(0)
	s_add_u32 s2, s2, s47
	s_addc_u32 s3, s3, s4
	v_mov_b32_e32 v5, s3
	v_add_co_u32_e32 v4, vcc, s2, v4
	s_sub_i32 s49, 1, s29
	s_lshl_b64 s[4:5], s[34:35], 2
	v_addc_co_u32_e32 v5, vcc, 0, v5, vcc
	v_lshlrev_b32_e32 v1, 2, v1
	s_add_u32 s4, s30, s4
	v_lshlrev_b32_e32 v6, 1, v8
	v_mul_u32_u24_e32 v16, 60, v8
	v_cmp_eq_u32_e32 vcc, 0, v8
	v_lshl_or_b32 v1, v14, 6, v1
	v_lshlrev_b64 v[8:9], 2, v[2:3]
	s_addc_u32 s5, s31, s5
	v_add_u32_e32 v18, 0x100, v1
	v_mov_b32_e32 v1, s5
	v_add_co_u32_e64 v8, s[4:5], s4, v8
	s_mov_b32 s48, s17
	v_mov_b32_e32 v13, 0
	v_cmp_neq_f32_e64 s[2:3], s10, 0
	v_addc_co_u32_e64 v9, s[4:5], v1, v9, s[4:5]
	s_mov_b64 s[18:19], 0
	v_mov_b32_e32 v1, 0xff7fffff
	s_movk_i32 s50, 0x80
	s_movk_i32 s51, 0x7f
	s_mov_b32 s52, 0x8000
	v_mbcnt_hi_u32_b32 v7, -1, v11
	v_mov_b32_e32 v19, 0x2000
	v_mov_b32_e32 v20, v2
	s_branch .LBB291_10
.LBB291_9:                              ;   in Loop: Header=BB291_10 Depth=1
	s_or_b64 exec, exec, s[40:41]
	v_add_u32_e32 v20, 2, v20
	v_cmp_le_i32_e64 s[4:5], s33, v20
	s_or_b64 s[18:19], s[4:5], s[18:19]
	v_add_co_u32_e64 v8, s[4:5], 8, v8
	v_add_u32_e32 v17, 32, v17
	v_add_u32_e32 v18, 0x80, v18
	v_addc_co_u32_e64 v9, s[4:5], 0, v9, s[4:5]
	s_andn2_b64 exec, exec, s[18:19]
	s_cbranch_execz .LBB291_192
.LBB291_10:                             ; =>This Inner Loop Header: Depth=1
	global_load_dword v10, v[8:9], off
	s_waitcnt vmcnt(0)
	v_mad_i64_i32 v[10:11], s[4:5], v10, s48, v[4:5]
	v_add_co_u32_e64 v10, s[4:5], v10, v6
	v_addc_co_u32_e64 v11, s[4:5], 0, v11, s[4:5]
	global_load_ushort v22, v[10:11], off
	global_load_dword v21, v13, s[12:13]
	s_waitcnt vmcnt(1) lgkmcnt(0)
	v_and_b32_e32 v12, 0xffff, v22
	v_cmp_ne_u16_sdwa s[4:5], v22, v13 src0_sel:BYTE_0 src1_sel:DWORD
	v_mov_b32_e32 v22, 0
	s_and_saveexec_b64 s[40:41], s[4:5]
	s_cbranch_execz .LBB291_16
; %bb.11:                               ;   in Loop: Header=BB291_10 Depth=1
	v_cmp_ne_u16_sdwa s[4:5], v12, s50 src0_sel:BYTE_0 src1_sel:DWORD
	v_bfrev_b32_e32 v22, 1
	s_and_saveexec_b64 s[42:43], s[4:5]
	s_cbranch_execz .LBB291_15
; %bb.12:                               ;   in Loop: Header=BB291_10 Depth=1
	v_and_b32_e32 v23, 0x7f, v12
	v_cmp_ne_u32_e64 s[4:5], s51, v23
	v_mov_b32_e32 v22, 0x7fc02000
	s_and_saveexec_b64 s[44:45], s[4:5]
	s_cbranch_execz .LBB291_14
; %bb.13:                               ;   in Loop: Header=BB291_10 Depth=1
	v_and_b32_e32 v22, 7, v12
	v_ffbh_u32_e32 v24, v22
	v_min_u32_e32 v27, 32, v24
	v_subrev_u32_e32 v24, 28, v27
	v_lshlrev_b64 v[24:25], v24, v[12:13]
	v_lshrrev_b32_e32 v26, 3, v23
	v_sub_u32_e32 v25, 29, v27
	v_cmp_gt_u32_e64 s[4:5], 8, v23
	v_and_b32_e32 v24, 7, v24
	v_cndmask_b32_e64 v23, v26, v25, s[4:5]
	v_cndmask_b32_e64 v22, v22, v24, s[4:5]
	v_lshlrev_b32_e32 v24, 8, v12
	v_lshl_add_u32 v23, v23, 10, v19
	v_and_or_b32 v23, v24, s52, v23
	v_lshl_or_b32 v22, v22, 7, v23
	v_cvt_f32_f16_e32 v22, v22
.LBB291_14:                             ;   in Loop: Header=BB291_10 Depth=1
	s_or_b64 exec, exec, s[44:45]
.LBB291_15:                             ;   in Loop: Header=BB291_10 Depth=1
	s_or_b64 exec, exec, s[42:43]
.LBB291_16:                             ;   in Loop: Header=BB291_10 Depth=1
	s_or_b64 exec, exec, s[40:41]
	v_lshrrev_b16_e32 v12, 8, v12
	v_cmp_ne_u16_e64 s[4:5], 0, v12
	v_mov_b32_e32 v23, 0
	v_mov_b32_e32 v24, 0
	s_and_saveexec_b64 s[40:41], s[4:5]
	s_cbranch_execz .LBB291_22
; %bb.17:                               ;   in Loop: Header=BB291_10 Depth=1
	v_cmp_ne_u16_e64 s[4:5], s50, v12
	v_bfrev_b32_e32 v24, 1
	s_and_saveexec_b64 s[42:43], s[4:5]
	s_cbranch_execz .LBB291_21
; %bb.18:                               ;   in Loop: Header=BB291_10 Depth=1
	v_and_b32_e32 v25, 0x7f, v12
	v_cmp_ne_u32_e64 s[4:5], s51, v25
	v_mov_b32_e32 v24, 0x7fc02000
	s_and_saveexec_b64 s[44:45], s[4:5]
	s_cbranch_execz .LBB291_20
; %bb.19:                               ;   in Loop: Header=BB291_10 Depth=1
	v_and_b32_e32 v24, 7, v12
	v_ffbh_u32_e32 v26, v24
	v_min_u32_e32 v29, 32, v26
	v_subrev_u32_e32 v26, 28, v29
	v_lshlrev_b64 v[26:27], v26, v[12:13]
	v_lshrrev_b32_e32 v28, 3, v25
	v_sub_u32_e32 v27, 29, v29
	v_cmp_gt_u32_e64 s[4:5], 8, v25
	v_cndmask_b32_e64 v25, v28, v27, s[4:5]
	v_and_b32_e32 v26, 7, v26
	v_lshlrev_b32_e32 v12, 8, v12
	v_lshl_add_u32 v25, v25, 10, v19
	v_cndmask_b32_e64 v24, v24, v26, s[4:5]
	v_and_or_b32 v12, v12, s52, v25
	v_lshl_or_b32 v12, v24, 7, v12
	v_cvt_f32_f16_e32 v24, v12
.LBB291_20:                             ;   in Loop: Header=BB291_10 Depth=1
	s_or_b64 exec, exec, s[44:45]
.LBB291_21:                             ;   in Loop: Header=BB291_10 Depth=1
	s_or_b64 exec, exec, s[42:43]
.LBB291_22:                             ;   in Loop: Header=BB291_10 Depth=1
	s_or_b64 exec, exec, s[40:41]
	global_load_ushort v25, v[10:11], off offset:8
	s_waitcnt vmcnt(0)
	v_and_b32_e32 v12, 0xffff, v25
	v_cmp_ne_u16_sdwa s[4:5], v25, v13 src0_sel:BYTE_0 src1_sel:DWORD
	s_and_saveexec_b64 s[40:41], s[4:5]
	s_cbranch_execz .LBB291_28
; %bb.23:                               ;   in Loop: Header=BB291_10 Depth=1
	v_cmp_ne_u16_sdwa s[4:5], v12, s50 src0_sel:BYTE_0 src1_sel:DWORD
	v_bfrev_b32_e32 v23, 1
	s_and_saveexec_b64 s[42:43], s[4:5]
	s_cbranch_execz .LBB291_27
; %bb.24:                               ;   in Loop: Header=BB291_10 Depth=1
	v_and_b32_e32 v25, 0x7f, v12
	v_cmp_ne_u32_e64 s[4:5], s51, v25
	v_mov_b32_e32 v23, 0x7fc02000
	s_and_saveexec_b64 s[44:45], s[4:5]
	s_cbranch_execz .LBB291_26
; %bb.25:                               ;   in Loop: Header=BB291_10 Depth=1
	v_and_b32_e32 v23, 7, v12
	v_ffbh_u32_e32 v26, v23
	v_min_u32_e32 v29, 32, v26
	v_subrev_u32_e32 v26, 28, v29
	v_lshlrev_b64 v[26:27], v26, v[12:13]
	v_lshrrev_b32_e32 v28, 3, v25
	v_sub_u32_e32 v27, 29, v29
	v_cmp_gt_u32_e64 s[4:5], 8, v25
	v_and_b32_e32 v26, 7, v26
	v_cndmask_b32_e64 v25, v28, v27, s[4:5]
	v_cndmask_b32_e64 v23, v23, v26, s[4:5]
	v_lshlrev_b32_e32 v26, 8, v12
	v_lshl_add_u32 v25, v25, 10, v19
	v_and_or_b32 v25, v26, s52, v25
	v_lshl_or_b32 v23, v23, 7, v25
	v_cvt_f32_f16_e32 v23, v23
.LBB291_26:                             ;   in Loop: Header=BB291_10 Depth=1
	s_or_b64 exec, exec, s[44:45]
.LBB291_27:                             ;   in Loop: Header=BB291_10 Depth=1
	s_or_b64 exec, exec, s[42:43]
.LBB291_28:                             ;   in Loop: Header=BB291_10 Depth=1
	s_or_b64 exec, exec, s[40:41]
	v_lshrrev_b16_e32 v12, 8, v12
	v_cmp_ne_u16_e64 s[4:5], 0, v12
	v_mov_b32_e32 v25, 0
	v_mov_b32_e32 v26, 0
	s_and_saveexec_b64 s[40:41], s[4:5]
	s_cbranch_execz .LBB291_34
; %bb.29:                               ;   in Loop: Header=BB291_10 Depth=1
	v_cmp_ne_u16_e64 s[4:5], s50, v12
	v_bfrev_b32_e32 v26, 1
	s_and_saveexec_b64 s[42:43], s[4:5]
	s_cbranch_execz .LBB291_33
; %bb.30:                               ;   in Loop: Header=BB291_10 Depth=1
	v_and_b32_e32 v27, 0x7f, v12
	v_cmp_ne_u32_e64 s[4:5], s51, v27
	v_mov_b32_e32 v26, 0x7fc02000
	s_and_saveexec_b64 s[44:45], s[4:5]
	s_cbranch_execz .LBB291_32
; %bb.31:                               ;   in Loop: Header=BB291_10 Depth=1
	v_and_b32_e32 v26, 7, v12
	v_ffbh_u32_e32 v28, v26
	v_min_u32_e32 v31, 32, v28
	v_subrev_u32_e32 v28, 28, v31
	v_lshlrev_b64 v[28:29], v28, v[12:13]
	v_lshrrev_b32_e32 v30, 3, v27
	v_sub_u32_e32 v29, 29, v31
	v_cmp_gt_u32_e64 s[4:5], 8, v27
	v_cndmask_b32_e64 v27, v30, v29, s[4:5]
	v_and_b32_e32 v28, 7, v28
	v_lshlrev_b32_e32 v12, 8, v12
	v_lshl_add_u32 v27, v27, 10, v19
	v_cndmask_b32_e64 v26, v26, v28, s[4:5]
	v_and_or_b32 v12, v12, s52, v27
	v_lshl_or_b32 v12, v26, 7, v12
	v_cvt_f32_f16_e32 v26, v12
.LBB291_32:                             ;   in Loop: Header=BB291_10 Depth=1
	s_or_b64 exec, exec, s[44:45]
.LBB291_33:                             ;   in Loop: Header=BB291_10 Depth=1
	s_or_b64 exec, exec, s[42:43]
.LBB291_34:                             ;   in Loop: Header=BB291_10 Depth=1
	s_or_b64 exec, exec, s[40:41]
	global_load_ushort v27, v[10:11], off offset:256
	s_waitcnt vmcnt(0)
	v_and_b32_e32 v12, 0xffff, v27
	v_cmp_ne_u16_sdwa s[4:5], v27, v13 src0_sel:BYTE_0 src1_sel:DWORD
	s_and_saveexec_b64 s[40:41], s[4:5]
	s_cbranch_execz .LBB291_40
; %bb.35:                               ;   in Loop: Header=BB291_10 Depth=1
	v_cmp_ne_u16_sdwa s[4:5], v12, s50 src0_sel:BYTE_0 src1_sel:DWORD
	v_bfrev_b32_e32 v25, 1
	s_and_saveexec_b64 s[42:43], s[4:5]
	s_cbranch_execz .LBB291_39
; %bb.36:                               ;   in Loop: Header=BB291_10 Depth=1
	v_and_b32_e32 v27, 0x7f, v12
	v_cmp_ne_u32_e64 s[4:5], s51, v27
	v_mov_b32_e32 v25, 0x7fc02000
	s_and_saveexec_b64 s[44:45], s[4:5]
	s_cbranch_execz .LBB291_38
; %bb.37:                               ;   in Loop: Header=BB291_10 Depth=1
	v_and_b32_e32 v25, 7, v12
	v_ffbh_u32_e32 v28, v25
	v_min_u32_e32 v31, 32, v28
	v_subrev_u32_e32 v28, 28, v31
	v_lshlrev_b64 v[28:29], v28, v[12:13]
	v_lshrrev_b32_e32 v30, 3, v27
	v_sub_u32_e32 v29, 29, v31
	v_cmp_gt_u32_e64 s[4:5], 8, v27
	v_and_b32_e32 v28, 7, v28
	v_cndmask_b32_e64 v27, v30, v29, s[4:5]
	v_cndmask_b32_e64 v25, v25, v28, s[4:5]
	v_lshlrev_b32_e32 v28, 8, v12
	v_lshl_add_u32 v27, v27, 10, v19
	v_and_or_b32 v27, v28, s52, v27
	v_lshl_or_b32 v25, v25, 7, v27
	v_cvt_f32_f16_e32 v25, v25
.LBB291_38:                             ;   in Loop: Header=BB291_10 Depth=1
	s_or_b64 exec, exec, s[44:45]
.LBB291_39:                             ;   in Loop: Header=BB291_10 Depth=1
	s_or_b64 exec, exec, s[42:43]
.LBB291_40:                             ;   in Loop: Header=BB291_10 Depth=1
	s_or_b64 exec, exec, s[40:41]
	v_lshrrev_b16_e32 v12, 8, v12
	v_cmp_ne_u16_e64 s[4:5], 0, v12
	v_mov_b32_e32 v27, 0
	v_mov_b32_e32 v28, 0
	s_and_saveexec_b64 s[40:41], s[4:5]
	s_cbranch_execz .LBB291_46
; %bb.41:                               ;   in Loop: Header=BB291_10 Depth=1
	v_cmp_ne_u16_e64 s[4:5], s50, v12
	v_bfrev_b32_e32 v28, 1
	s_and_saveexec_b64 s[42:43], s[4:5]
	s_cbranch_execz .LBB291_45
; %bb.42:                               ;   in Loop: Header=BB291_10 Depth=1
	v_and_b32_e32 v29, 0x7f, v12
	v_cmp_ne_u32_e64 s[4:5], s51, v29
	v_mov_b32_e32 v28, 0x7fc02000
	s_and_saveexec_b64 s[44:45], s[4:5]
	s_cbranch_execz .LBB291_44
; %bb.43:                               ;   in Loop: Header=BB291_10 Depth=1
	v_and_b32_e32 v28, 7, v12
	v_ffbh_u32_e32 v30, v28
	v_min_u32_e32 v33, 32, v30
	v_subrev_u32_e32 v30, 28, v33
	v_lshlrev_b64 v[30:31], v30, v[12:13]
	v_lshrrev_b32_e32 v32, 3, v29
	v_sub_u32_e32 v31, 29, v33
	v_cmp_gt_u32_e64 s[4:5], 8, v29
	v_cndmask_b32_e64 v29, v32, v31, s[4:5]
	v_and_b32_e32 v30, 7, v30
	v_lshlrev_b32_e32 v12, 8, v12
	v_lshl_add_u32 v29, v29, 10, v19
	v_cndmask_b32_e64 v28, v28, v30, s[4:5]
	v_and_or_b32 v12, v12, s52, v29
	v_lshl_or_b32 v12, v28, 7, v12
	v_cvt_f32_f16_e32 v28, v12
.LBB291_44:                             ;   in Loop: Header=BB291_10 Depth=1
	s_or_b64 exec, exec, s[44:45]
.LBB291_45:                             ;   in Loop: Header=BB291_10 Depth=1
	s_or_b64 exec, exec, s[42:43]
.LBB291_46:                             ;   in Loop: Header=BB291_10 Depth=1
	s_or_b64 exec, exec, s[40:41]
	global_load_ushort v29, v[10:11], off offset:264
	s_waitcnt vmcnt(0)
	v_and_b32_e32 v12, 0xffff, v29
	v_cmp_ne_u16_sdwa s[4:5], v29, v13 src0_sel:BYTE_0 src1_sel:DWORD
	s_and_saveexec_b64 s[40:41], s[4:5]
	s_cbranch_execz .LBB291_52
; %bb.47:                               ;   in Loop: Header=BB291_10 Depth=1
	v_cmp_ne_u16_sdwa s[4:5], v12, s50 src0_sel:BYTE_0 src1_sel:DWORD
	v_bfrev_b32_e32 v27, 1
	s_and_saveexec_b64 s[42:43], s[4:5]
	s_cbranch_execz .LBB291_51
; %bb.48:                               ;   in Loop: Header=BB291_10 Depth=1
	v_and_b32_e32 v29, 0x7f, v12
	v_cmp_ne_u32_e64 s[4:5], s51, v29
	v_mov_b32_e32 v27, 0x7fc02000
	s_and_saveexec_b64 s[44:45], s[4:5]
	s_cbranch_execz .LBB291_50
; %bb.49:                               ;   in Loop: Header=BB291_10 Depth=1
	v_and_b32_e32 v27, 7, v12
	v_ffbh_u32_e32 v30, v27
	v_min_u32_e32 v33, 32, v30
	v_subrev_u32_e32 v30, 28, v33
	v_lshlrev_b64 v[30:31], v30, v[12:13]
	v_lshrrev_b32_e32 v32, 3, v29
	v_sub_u32_e32 v31, 29, v33
	v_cmp_gt_u32_e64 s[4:5], 8, v29
	v_and_b32_e32 v30, 7, v30
	v_cndmask_b32_e64 v29, v32, v31, s[4:5]
	v_cndmask_b32_e64 v27, v27, v30, s[4:5]
	v_lshlrev_b32_e32 v30, 8, v12
	v_lshl_add_u32 v29, v29, 10, v19
	v_and_or_b32 v29, v30, s52, v29
	v_lshl_or_b32 v27, v27, 7, v29
	v_cvt_f32_f16_e32 v27, v27
.LBB291_50:                             ;   in Loop: Header=BB291_10 Depth=1
	s_or_b64 exec, exec, s[44:45]
.LBB291_51:                             ;   in Loop: Header=BB291_10 Depth=1
	s_or_b64 exec, exec, s[42:43]
.LBB291_52:                             ;   in Loop: Header=BB291_10 Depth=1
	s_or_b64 exec, exec, s[40:41]
	v_lshrrev_b16_e32 v12, 8, v12
	v_cmp_ne_u16_e64 s[4:5], 0, v12
	v_mov_b32_e32 v29, 0
	v_mov_b32_e32 v30, 0
	s_and_saveexec_b64 s[40:41], s[4:5]
	s_cbranch_execz .LBB291_58
; %bb.53:                               ;   in Loop: Header=BB291_10 Depth=1
	v_cmp_ne_u16_e64 s[4:5], s50, v12
	v_bfrev_b32_e32 v30, 1
	s_and_saveexec_b64 s[42:43], s[4:5]
	s_cbranch_execz .LBB291_57
; %bb.54:                               ;   in Loop: Header=BB291_10 Depth=1
	v_and_b32_e32 v31, 0x7f, v12
	v_cmp_ne_u32_e64 s[4:5], s51, v31
	v_mov_b32_e32 v30, 0x7fc02000
	s_and_saveexec_b64 s[44:45], s[4:5]
	s_cbranch_execz .LBB291_56
; %bb.55:                               ;   in Loop: Header=BB291_10 Depth=1
	v_and_b32_e32 v30, 7, v12
	v_ffbh_u32_e32 v32, v30
	v_min_u32_e32 v35, 32, v32
	v_subrev_u32_e32 v32, 28, v35
	v_lshlrev_b64 v[32:33], v32, v[12:13]
	v_lshrrev_b32_e32 v34, 3, v31
	v_sub_u32_e32 v33, 29, v35
	v_cmp_gt_u32_e64 s[4:5], 8, v31
	v_cndmask_b32_e64 v31, v34, v33, s[4:5]
	v_and_b32_e32 v32, 7, v32
	v_lshlrev_b32_e32 v12, 8, v12
	v_lshl_add_u32 v31, v31, 10, v19
	v_cndmask_b32_e64 v30, v30, v32, s[4:5]
	v_and_or_b32 v12, v12, s52, v31
	v_lshl_or_b32 v12, v30, 7, v12
	v_cvt_f32_f16_e32 v30, v12
.LBB291_56:                             ;   in Loop: Header=BB291_10 Depth=1
	s_or_b64 exec, exec, s[44:45]
.LBB291_57:                             ;   in Loop: Header=BB291_10 Depth=1
	s_or_b64 exec, exec, s[42:43]
.LBB291_58:                             ;   in Loop: Header=BB291_10 Depth=1
	s_or_b64 exec, exec, s[40:41]
	global_load_ushort v31, v[10:11], off offset:512
	s_waitcnt vmcnt(0)
	v_and_b32_e32 v12, 0xffff, v31
	v_cmp_ne_u16_sdwa s[4:5], v31, v13 src0_sel:BYTE_0 src1_sel:DWORD
	s_and_saveexec_b64 s[40:41], s[4:5]
	s_cbranch_execz .LBB291_64
; %bb.59:                               ;   in Loop: Header=BB291_10 Depth=1
	v_cmp_ne_u16_sdwa s[4:5], v12, s50 src0_sel:BYTE_0 src1_sel:DWORD
	v_bfrev_b32_e32 v29, 1
	s_and_saveexec_b64 s[42:43], s[4:5]
	s_cbranch_execz .LBB291_63
; %bb.60:                               ;   in Loop: Header=BB291_10 Depth=1
	v_and_b32_e32 v31, 0x7f, v12
	v_cmp_ne_u32_e64 s[4:5], s51, v31
	v_mov_b32_e32 v29, 0x7fc02000
	s_and_saveexec_b64 s[44:45], s[4:5]
	s_cbranch_execz .LBB291_62
; %bb.61:                               ;   in Loop: Header=BB291_10 Depth=1
	v_and_b32_e32 v29, 7, v12
	v_ffbh_u32_e32 v32, v29
	v_min_u32_e32 v35, 32, v32
	v_subrev_u32_e32 v32, 28, v35
	v_lshlrev_b64 v[32:33], v32, v[12:13]
	v_lshrrev_b32_e32 v34, 3, v31
	v_sub_u32_e32 v33, 29, v35
	v_cmp_gt_u32_e64 s[4:5], 8, v31
	v_and_b32_e32 v32, 7, v32
	v_cndmask_b32_e64 v31, v34, v33, s[4:5]
	v_cndmask_b32_e64 v29, v29, v32, s[4:5]
	v_lshlrev_b32_e32 v32, 8, v12
	v_lshl_add_u32 v31, v31, 10, v19
	v_and_or_b32 v31, v32, s52, v31
	v_lshl_or_b32 v29, v29, 7, v31
	v_cvt_f32_f16_e32 v29, v29
.LBB291_62:                             ;   in Loop: Header=BB291_10 Depth=1
	s_or_b64 exec, exec, s[44:45]
.LBB291_63:                             ;   in Loop: Header=BB291_10 Depth=1
	s_or_b64 exec, exec, s[42:43]
.LBB291_64:                             ;   in Loop: Header=BB291_10 Depth=1
	s_or_b64 exec, exec, s[40:41]
	v_lshrrev_b16_e32 v12, 8, v12
	v_cmp_ne_u16_e64 s[4:5], 0, v12
	v_mov_b32_e32 v31, 0
	v_mov_b32_e32 v32, 0
	s_and_saveexec_b64 s[40:41], s[4:5]
	s_cbranch_execz .LBB291_70
; %bb.65:                               ;   in Loop: Header=BB291_10 Depth=1
	v_cmp_ne_u16_e64 s[4:5], s50, v12
	v_bfrev_b32_e32 v32, 1
	s_and_saveexec_b64 s[42:43], s[4:5]
	s_cbranch_execz .LBB291_69
; %bb.66:                               ;   in Loop: Header=BB291_10 Depth=1
	v_and_b32_e32 v33, 0x7f, v12
	v_cmp_ne_u32_e64 s[4:5], s51, v33
	v_mov_b32_e32 v32, 0x7fc02000
	s_and_saveexec_b64 s[44:45], s[4:5]
	s_cbranch_execz .LBB291_68
; %bb.67:                               ;   in Loop: Header=BB291_10 Depth=1
	v_and_b32_e32 v32, 7, v12
	v_ffbh_u32_e32 v34, v32
	v_min_u32_e32 v37, 32, v34
	v_subrev_u32_e32 v34, 28, v37
	v_lshlrev_b64 v[34:35], v34, v[12:13]
	v_lshrrev_b32_e32 v36, 3, v33
	v_sub_u32_e32 v35, 29, v37
	v_cmp_gt_u32_e64 s[4:5], 8, v33
	v_cndmask_b32_e64 v33, v36, v35, s[4:5]
	v_and_b32_e32 v34, 7, v34
	v_lshlrev_b32_e32 v12, 8, v12
	v_lshl_add_u32 v33, v33, 10, v19
	v_cndmask_b32_e64 v32, v32, v34, s[4:5]
	v_and_or_b32 v12, v12, s52, v33
	v_lshl_or_b32 v12, v32, 7, v12
	v_cvt_f32_f16_e32 v32, v12
.LBB291_68:                             ;   in Loop: Header=BB291_10 Depth=1
	s_or_b64 exec, exec, s[44:45]
.LBB291_69:                             ;   in Loop: Header=BB291_10 Depth=1
	s_or_b64 exec, exec, s[42:43]
.LBB291_70:                             ;   in Loop: Header=BB291_10 Depth=1
	s_or_b64 exec, exec, s[40:41]
	global_load_ushort v33, v[10:11], off offset:520
	s_waitcnt vmcnt(0)
	v_and_b32_e32 v12, 0xffff, v33
	v_cmp_ne_u16_sdwa s[4:5], v33, v13 src0_sel:BYTE_0 src1_sel:DWORD
	s_and_saveexec_b64 s[40:41], s[4:5]
	s_cbranch_execz .LBB291_76
; %bb.71:                               ;   in Loop: Header=BB291_10 Depth=1
	v_cmp_ne_u16_sdwa s[4:5], v12, s50 src0_sel:BYTE_0 src1_sel:DWORD
	v_bfrev_b32_e32 v31, 1
	s_and_saveexec_b64 s[42:43], s[4:5]
	s_cbranch_execz .LBB291_75
; %bb.72:                               ;   in Loop: Header=BB291_10 Depth=1
	v_and_b32_e32 v33, 0x7f, v12
	v_cmp_ne_u32_e64 s[4:5], s51, v33
	v_mov_b32_e32 v31, 0x7fc02000
	s_and_saveexec_b64 s[44:45], s[4:5]
	s_cbranch_execz .LBB291_74
; %bb.73:                               ;   in Loop: Header=BB291_10 Depth=1
	v_and_b32_e32 v31, 7, v12
	v_ffbh_u32_e32 v34, v31
	v_min_u32_e32 v37, 32, v34
	v_subrev_u32_e32 v34, 28, v37
	v_lshlrev_b64 v[34:35], v34, v[12:13]
	v_lshrrev_b32_e32 v36, 3, v33
	v_sub_u32_e32 v35, 29, v37
	v_cmp_gt_u32_e64 s[4:5], 8, v33
	v_and_b32_e32 v34, 7, v34
	v_cndmask_b32_e64 v33, v36, v35, s[4:5]
	v_cndmask_b32_e64 v31, v31, v34, s[4:5]
	v_lshlrev_b32_e32 v34, 8, v12
	v_lshl_add_u32 v33, v33, 10, v19
	v_and_or_b32 v33, v34, s52, v33
	v_lshl_or_b32 v31, v31, 7, v33
	v_cvt_f32_f16_e32 v31, v31
.LBB291_74:                             ;   in Loop: Header=BB291_10 Depth=1
	s_or_b64 exec, exec, s[44:45]
.LBB291_75:                             ;   in Loop: Header=BB291_10 Depth=1
	s_or_b64 exec, exec, s[42:43]
.LBB291_76:                             ;   in Loop: Header=BB291_10 Depth=1
	s_or_b64 exec, exec, s[40:41]
	v_lshrrev_b16_e32 v12, 8, v12
	v_cmp_ne_u16_e64 s[4:5], 0, v12
	v_mov_b32_e32 v33, 0
	v_mov_b32_e32 v34, 0
	s_and_saveexec_b64 s[40:41], s[4:5]
	s_cbranch_execz .LBB291_82
; %bb.77:                               ;   in Loop: Header=BB291_10 Depth=1
	v_cmp_ne_u16_e64 s[4:5], s50, v12
	v_bfrev_b32_e32 v34, 1
	s_and_saveexec_b64 s[42:43], s[4:5]
	s_cbranch_execz .LBB291_81
; %bb.78:                               ;   in Loop: Header=BB291_10 Depth=1
	v_and_b32_e32 v35, 0x7f, v12
	v_cmp_ne_u32_e64 s[4:5], s51, v35
	v_mov_b32_e32 v34, 0x7fc02000
	s_and_saveexec_b64 s[44:45], s[4:5]
	s_cbranch_execz .LBB291_80
; %bb.79:                               ;   in Loop: Header=BB291_10 Depth=1
	v_and_b32_e32 v34, 7, v12
	v_ffbh_u32_e32 v36, v34
	v_min_u32_e32 v39, 32, v36
	v_subrev_u32_e32 v36, 28, v39
	v_lshlrev_b64 v[36:37], v36, v[12:13]
	v_lshrrev_b32_e32 v38, 3, v35
	v_sub_u32_e32 v37, 29, v39
	v_cmp_gt_u32_e64 s[4:5], 8, v35
	v_cndmask_b32_e64 v35, v38, v37, s[4:5]
	v_and_b32_e32 v36, 7, v36
	v_lshlrev_b32_e32 v12, 8, v12
	v_lshl_add_u32 v35, v35, 10, v19
	v_cndmask_b32_e64 v34, v34, v36, s[4:5]
	v_and_or_b32 v12, v12, s52, v35
	v_lshl_or_b32 v12, v34, 7, v12
	v_cvt_f32_f16_e32 v34, v12
.LBB291_80:                             ;   in Loop: Header=BB291_10 Depth=1
	s_or_b64 exec, exec, s[44:45]
.LBB291_81:                             ;   in Loop: Header=BB291_10 Depth=1
	s_or_b64 exec, exec, s[42:43]
.LBB291_82:                             ;   in Loop: Header=BB291_10 Depth=1
	s_or_b64 exec, exec, s[40:41]
	global_load_ushort v35, v[10:11], off offset:768
	s_waitcnt vmcnt(0)
	v_and_b32_e32 v12, 0xffff, v35
	v_cmp_ne_u16_sdwa s[4:5], v35, v13 src0_sel:BYTE_0 src1_sel:DWORD
	s_and_saveexec_b64 s[40:41], s[4:5]
	s_cbranch_execz .LBB291_88
; %bb.83:                               ;   in Loop: Header=BB291_10 Depth=1
	v_cmp_ne_u16_sdwa s[4:5], v12, s50 src0_sel:BYTE_0 src1_sel:DWORD
	v_bfrev_b32_e32 v33, 1
	s_and_saveexec_b64 s[42:43], s[4:5]
	s_cbranch_execz .LBB291_87
; %bb.84:                               ;   in Loop: Header=BB291_10 Depth=1
	v_and_b32_e32 v35, 0x7f, v12
	v_cmp_ne_u32_e64 s[4:5], s51, v35
	v_mov_b32_e32 v33, 0x7fc02000
	s_and_saveexec_b64 s[44:45], s[4:5]
	s_cbranch_execz .LBB291_86
; %bb.85:                               ;   in Loop: Header=BB291_10 Depth=1
	v_and_b32_e32 v33, 7, v12
	v_ffbh_u32_e32 v36, v33
	v_min_u32_e32 v39, 32, v36
	v_subrev_u32_e32 v36, 28, v39
	v_lshlrev_b64 v[36:37], v36, v[12:13]
	v_lshrrev_b32_e32 v38, 3, v35
	v_sub_u32_e32 v37, 29, v39
	v_cmp_gt_u32_e64 s[4:5], 8, v35
	v_and_b32_e32 v36, 7, v36
	v_cndmask_b32_e64 v35, v38, v37, s[4:5]
	v_cndmask_b32_e64 v33, v33, v36, s[4:5]
	v_lshlrev_b32_e32 v36, 8, v12
	v_lshl_add_u32 v35, v35, 10, v19
	v_and_or_b32 v35, v36, s52, v35
	v_lshl_or_b32 v33, v33, 7, v35
	v_cvt_f32_f16_e32 v33, v33
.LBB291_86:                             ;   in Loop: Header=BB291_10 Depth=1
	s_or_b64 exec, exec, s[44:45]
.LBB291_87:                             ;   in Loop: Header=BB291_10 Depth=1
	s_or_b64 exec, exec, s[42:43]
.LBB291_88:                             ;   in Loop: Header=BB291_10 Depth=1
	s_or_b64 exec, exec, s[40:41]
	v_lshrrev_b16_e32 v12, 8, v12
	v_cmp_ne_u16_e64 s[4:5], 0, v12
	v_mov_b32_e32 v35, 0
	v_mov_b32_e32 v36, 0
	s_and_saveexec_b64 s[40:41], s[4:5]
	s_cbranch_execz .LBB291_94
; %bb.89:                               ;   in Loop: Header=BB291_10 Depth=1
	v_cmp_ne_u16_e64 s[4:5], s50, v12
	v_bfrev_b32_e32 v36, 1
	s_and_saveexec_b64 s[42:43], s[4:5]
	s_cbranch_execz .LBB291_93
; %bb.90:                               ;   in Loop: Header=BB291_10 Depth=1
	v_and_b32_e32 v37, 0x7f, v12
	v_cmp_ne_u32_e64 s[4:5], s51, v37
	v_mov_b32_e32 v36, 0x7fc02000
	s_and_saveexec_b64 s[44:45], s[4:5]
	s_cbranch_execz .LBB291_92
; %bb.91:                               ;   in Loop: Header=BB291_10 Depth=1
	v_and_b32_e32 v36, 7, v12
	v_ffbh_u32_e32 v38, v36
	v_min_u32_e32 v41, 32, v38
	v_subrev_u32_e32 v38, 28, v41
	v_lshlrev_b64 v[38:39], v38, v[12:13]
	v_lshrrev_b32_e32 v40, 3, v37
	v_sub_u32_e32 v39, 29, v41
	v_cmp_gt_u32_e64 s[4:5], 8, v37
	v_cndmask_b32_e64 v37, v40, v39, s[4:5]
	v_and_b32_e32 v38, 7, v38
	v_lshlrev_b32_e32 v12, 8, v12
	v_lshl_add_u32 v37, v37, 10, v19
	v_cndmask_b32_e64 v36, v36, v38, s[4:5]
	v_and_or_b32 v12, v12, s52, v37
	v_lshl_or_b32 v12, v36, 7, v12
	v_cvt_f32_f16_e32 v36, v12
.LBB291_92:                             ;   in Loop: Header=BB291_10 Depth=1
	s_or_b64 exec, exec, s[44:45]
.LBB291_93:                             ;   in Loop: Header=BB291_10 Depth=1
	s_or_b64 exec, exec, s[42:43]
.LBB291_94:                             ;   in Loop: Header=BB291_10 Depth=1
	s_or_b64 exec, exec, s[40:41]
	global_load_ushort v37, v[10:11], off offset:776
	s_waitcnt vmcnt(0)
	v_and_b32_e32 v12, 0xffff, v37
	v_cmp_ne_u16_sdwa s[4:5], v37, v13 src0_sel:BYTE_0 src1_sel:DWORD
	s_and_saveexec_b64 s[40:41], s[4:5]
	s_cbranch_execz .LBB291_100
; %bb.95:                               ;   in Loop: Header=BB291_10 Depth=1
	v_cmp_ne_u16_sdwa s[4:5], v12, s50 src0_sel:BYTE_0 src1_sel:DWORD
	v_bfrev_b32_e32 v35, 1
	s_and_saveexec_b64 s[42:43], s[4:5]
	s_cbranch_execz .LBB291_99
; %bb.96:                               ;   in Loop: Header=BB291_10 Depth=1
	v_and_b32_e32 v37, 0x7f, v12
	v_cmp_ne_u32_e64 s[4:5], s51, v37
	v_mov_b32_e32 v35, 0x7fc02000
	s_and_saveexec_b64 s[44:45], s[4:5]
	s_cbranch_execz .LBB291_98
; %bb.97:                               ;   in Loop: Header=BB291_10 Depth=1
	v_and_b32_e32 v35, 7, v12
	v_ffbh_u32_e32 v38, v35
	v_min_u32_e32 v41, 32, v38
	v_subrev_u32_e32 v38, 28, v41
	v_lshlrev_b64 v[38:39], v38, v[12:13]
	v_lshrrev_b32_e32 v40, 3, v37
	v_sub_u32_e32 v39, 29, v41
	v_cmp_gt_u32_e64 s[4:5], 8, v37
	v_and_b32_e32 v38, 7, v38
	v_cndmask_b32_e64 v37, v40, v39, s[4:5]
	v_cndmask_b32_e64 v35, v35, v38, s[4:5]
	v_lshlrev_b32_e32 v38, 8, v12
	v_lshl_add_u32 v37, v37, 10, v19
	v_and_or_b32 v37, v38, s52, v37
	v_lshl_or_b32 v35, v35, 7, v37
	v_cvt_f32_f16_e32 v35, v35
.LBB291_98:                             ;   in Loop: Header=BB291_10 Depth=1
	s_or_b64 exec, exec, s[44:45]
.LBB291_99:                             ;   in Loop: Header=BB291_10 Depth=1
	s_or_b64 exec, exec, s[42:43]
.LBB291_100:                            ;   in Loop: Header=BB291_10 Depth=1
	s_or_b64 exec, exec, s[40:41]
	v_lshrrev_b16_e32 v12, 8, v12
	v_cmp_ne_u16_e64 s[4:5], 0, v12
	v_mov_b32_e32 v38, 0
	v_mov_b32_e32 v37, 0
	s_and_saveexec_b64 s[40:41], s[4:5]
	s_cbranch_execz .LBB291_106
; %bb.101:                              ;   in Loop: Header=BB291_10 Depth=1
	v_cmp_ne_u16_e64 s[4:5], s50, v12
	v_bfrev_b32_e32 v37, 1
	s_and_saveexec_b64 s[42:43], s[4:5]
	s_cbranch_execz .LBB291_105
; %bb.102:                              ;   in Loop: Header=BB291_10 Depth=1
	v_and_b32_e32 v39, 0x7f, v12
	v_cmp_ne_u32_e64 s[4:5], s51, v39
	v_mov_b32_e32 v37, 0x7fc02000
	s_and_saveexec_b64 s[44:45], s[4:5]
	s_cbranch_execz .LBB291_104
; %bb.103:                              ;   in Loop: Header=BB291_10 Depth=1
	v_and_b32_e32 v37, 7, v12
	v_ffbh_u32_e32 v40, v37
	v_min_u32_e32 v43, 32, v40
	v_subrev_u32_e32 v40, 28, v43
	v_lshlrev_b64 v[40:41], v40, v[12:13]
	v_lshrrev_b32_e32 v42, 3, v39
	v_sub_u32_e32 v41, 29, v43
	v_cmp_gt_u32_e64 s[4:5], 8, v39
	v_cndmask_b32_e64 v39, v42, v41, s[4:5]
	v_and_b32_e32 v40, 7, v40
	v_lshlrev_b32_e32 v12, 8, v12
	v_lshl_add_u32 v39, v39, 10, v19
	v_cndmask_b32_e64 v37, v37, v40, s[4:5]
	v_and_or_b32 v12, v12, s52, v39
	v_lshl_or_b32 v12, v37, 7, v12
	v_cvt_f32_f16_e32 v37, v12
.LBB291_104:                            ;   in Loop: Header=BB291_10 Depth=1
	s_or_b64 exec, exec, s[44:45]
.LBB291_105:                            ;   in Loop: Header=BB291_10 Depth=1
	s_or_b64 exec, exec, s[42:43]
.LBB291_106:                            ;   in Loop: Header=BB291_10 Depth=1
	s_or_b64 exec, exec, s[40:41]
	global_load_ushort v39, v[10:11], off offset:1024
	s_waitcnt vmcnt(0)
	v_and_b32_e32 v12, 0xffff, v39
	v_cmp_ne_u16_sdwa s[4:5], v39, v13 src0_sel:BYTE_0 src1_sel:DWORD
	s_and_saveexec_b64 s[40:41], s[4:5]
	s_cbranch_execz .LBB291_112
; %bb.107:                              ;   in Loop: Header=BB291_10 Depth=1
	v_cmp_ne_u16_sdwa s[4:5], v12, s50 src0_sel:BYTE_0 src1_sel:DWORD
	v_bfrev_b32_e32 v38, 1
	s_and_saveexec_b64 s[42:43], s[4:5]
	s_cbranch_execz .LBB291_111
; %bb.108:                              ;   in Loop: Header=BB291_10 Depth=1
	v_and_b32_e32 v39, 0x7f, v12
	v_cmp_ne_u32_e64 s[4:5], s51, v39
	v_mov_b32_e32 v38, 0x7fc02000
	s_and_saveexec_b64 s[44:45], s[4:5]
	s_cbranch_execz .LBB291_110
; %bb.109:                              ;   in Loop: Header=BB291_10 Depth=1
	v_and_b32_e32 v38, 7, v12
	v_ffbh_u32_e32 v40, v38
	v_min_u32_e32 v43, 32, v40
	v_subrev_u32_e32 v40, 28, v43
	v_lshlrev_b64 v[40:41], v40, v[12:13]
	v_lshrrev_b32_e32 v42, 3, v39
	v_sub_u32_e32 v41, 29, v43
	v_cmp_gt_u32_e64 s[4:5], 8, v39
	v_and_b32_e32 v40, 7, v40
	v_cndmask_b32_e64 v39, v42, v41, s[4:5]
	v_cndmask_b32_e64 v38, v38, v40, s[4:5]
	v_lshlrev_b32_e32 v40, 8, v12
	v_lshl_add_u32 v39, v39, 10, v19
	v_and_or_b32 v39, v40, s52, v39
	v_lshl_or_b32 v38, v38, 7, v39
	v_cvt_f32_f16_e32 v38, v38
.LBB291_110:                            ;   in Loop: Header=BB291_10 Depth=1
	s_or_b64 exec, exec, s[44:45]
.LBB291_111:                            ;   in Loop: Header=BB291_10 Depth=1
	s_or_b64 exec, exec, s[42:43]
.LBB291_112:                            ;   in Loop: Header=BB291_10 Depth=1
	s_or_b64 exec, exec, s[40:41]
	v_lshrrev_b16_e32 v12, 8, v12
	v_cmp_ne_u16_e64 s[4:5], 0, v12
	v_mov_b32_e32 v40, 0
	v_mov_b32_e32 v39, 0
	s_and_saveexec_b64 s[40:41], s[4:5]
	s_cbranch_execz .LBB291_118
; %bb.113:                              ;   in Loop: Header=BB291_10 Depth=1
	v_cmp_ne_u16_e64 s[4:5], s50, v12
	v_bfrev_b32_e32 v39, 1
	s_and_saveexec_b64 s[42:43], s[4:5]
	s_cbranch_execz .LBB291_117
; %bb.114:                              ;   in Loop: Header=BB291_10 Depth=1
	v_and_b32_e32 v41, 0x7f, v12
	v_cmp_ne_u32_e64 s[4:5], s51, v41
	v_mov_b32_e32 v39, 0x7fc02000
	s_and_saveexec_b64 s[44:45], s[4:5]
	s_cbranch_execz .LBB291_116
; %bb.115:                              ;   in Loop: Header=BB291_10 Depth=1
	v_and_b32_e32 v39, 7, v12
	v_ffbh_u32_e32 v42, v39
	v_min_u32_e32 v45, 32, v42
	v_subrev_u32_e32 v42, 28, v45
	v_lshlrev_b64 v[42:43], v42, v[12:13]
	v_lshrrev_b32_e32 v44, 3, v41
	v_sub_u32_e32 v43, 29, v45
	v_cmp_gt_u32_e64 s[4:5], 8, v41
	v_cndmask_b32_e64 v41, v44, v43, s[4:5]
	v_and_b32_e32 v42, 7, v42
	v_lshlrev_b32_e32 v12, 8, v12
	v_lshl_add_u32 v41, v41, 10, v19
	v_cndmask_b32_e64 v39, v39, v42, s[4:5]
	v_and_or_b32 v12, v12, s52, v41
	v_lshl_or_b32 v12, v39, 7, v12
	v_cvt_f32_f16_e32 v39, v12
.LBB291_116:                            ;   in Loop: Header=BB291_10 Depth=1
	s_or_b64 exec, exec, s[44:45]
.LBB291_117:                            ;   in Loop: Header=BB291_10 Depth=1
	s_or_b64 exec, exec, s[42:43]
.LBB291_118:                            ;   in Loop: Header=BB291_10 Depth=1
	s_or_b64 exec, exec, s[40:41]
	global_load_ushort v41, v[10:11], off offset:1032
	s_waitcnt vmcnt(0)
	v_and_b32_e32 v12, 0xffff, v41
	v_cmp_ne_u16_sdwa s[4:5], v41, v13 src0_sel:BYTE_0 src1_sel:DWORD
	s_and_saveexec_b64 s[40:41], s[4:5]
	s_cbranch_execz .LBB291_124
; %bb.119:                              ;   in Loop: Header=BB291_10 Depth=1
	v_cmp_ne_u16_sdwa s[4:5], v12, s50 src0_sel:BYTE_0 src1_sel:DWORD
	v_bfrev_b32_e32 v40, 1
	s_and_saveexec_b64 s[42:43], s[4:5]
	s_cbranch_execz .LBB291_123
; %bb.120:                              ;   in Loop: Header=BB291_10 Depth=1
	v_and_b32_e32 v41, 0x7f, v12
	v_cmp_ne_u32_e64 s[4:5], s51, v41
	v_mov_b32_e32 v40, 0x7fc02000
	s_and_saveexec_b64 s[44:45], s[4:5]
	s_cbranch_execz .LBB291_122
; %bb.121:                              ;   in Loop: Header=BB291_10 Depth=1
	v_and_b32_e32 v40, 7, v12
	v_ffbh_u32_e32 v42, v40
	v_min_u32_e32 v45, 32, v42
	v_subrev_u32_e32 v42, 28, v45
	v_lshlrev_b64 v[42:43], v42, v[12:13]
	v_lshrrev_b32_e32 v44, 3, v41
	v_sub_u32_e32 v43, 29, v45
	v_cmp_gt_u32_e64 s[4:5], 8, v41
	v_and_b32_e32 v42, 7, v42
	v_cndmask_b32_e64 v41, v44, v43, s[4:5]
	v_cndmask_b32_e64 v40, v40, v42, s[4:5]
	v_lshlrev_b32_e32 v42, 8, v12
	v_lshl_add_u32 v41, v41, 10, v19
	v_and_or_b32 v41, v42, s52, v41
	v_lshl_or_b32 v40, v40, 7, v41
	v_cvt_f32_f16_e32 v40, v40
.LBB291_122:                            ;   in Loop: Header=BB291_10 Depth=1
	s_or_b64 exec, exec, s[44:45]
.LBB291_123:                            ;   in Loop: Header=BB291_10 Depth=1
	s_or_b64 exec, exec, s[42:43]
.LBB291_124:                            ;   in Loop: Header=BB291_10 Depth=1
	s_or_b64 exec, exec, s[40:41]
	v_lshrrev_b16_e32 v12, 8, v12
	v_cmp_ne_u16_e64 s[4:5], 0, v12
	v_mov_b32_e32 v42, 0
	v_mov_b32_e32 v41, 0
	s_and_saveexec_b64 s[40:41], s[4:5]
	s_cbranch_execz .LBB291_130
; %bb.125:                              ;   in Loop: Header=BB291_10 Depth=1
	v_cmp_ne_u16_e64 s[4:5], s50, v12
	v_bfrev_b32_e32 v41, 1
	s_and_saveexec_b64 s[42:43], s[4:5]
	s_cbranch_execz .LBB291_129
; %bb.126:                              ;   in Loop: Header=BB291_10 Depth=1
	v_and_b32_e32 v43, 0x7f, v12
	v_cmp_ne_u32_e64 s[4:5], s51, v43
	v_mov_b32_e32 v41, 0x7fc02000
	s_and_saveexec_b64 s[44:45], s[4:5]
	s_cbranch_execz .LBB291_128
; %bb.127:                              ;   in Loop: Header=BB291_10 Depth=1
	v_and_b32_e32 v41, 7, v12
	v_ffbh_u32_e32 v44, v41
	v_min_u32_e32 v47, 32, v44
	v_subrev_u32_e32 v44, 28, v47
	v_lshlrev_b64 v[44:45], v44, v[12:13]
	v_lshrrev_b32_e32 v46, 3, v43
	v_sub_u32_e32 v45, 29, v47
	v_cmp_gt_u32_e64 s[4:5], 8, v43
	v_cndmask_b32_e64 v43, v46, v45, s[4:5]
	v_and_b32_e32 v44, 7, v44
	v_lshlrev_b32_e32 v12, 8, v12
	v_lshl_add_u32 v43, v43, 10, v19
	v_cndmask_b32_e64 v41, v41, v44, s[4:5]
	v_and_or_b32 v12, v12, s52, v43
	v_lshl_or_b32 v12, v41, 7, v12
	v_cvt_f32_f16_e32 v41, v12
.LBB291_128:                            ;   in Loop: Header=BB291_10 Depth=1
	s_or_b64 exec, exec, s[44:45]
.LBB291_129:                            ;   in Loop: Header=BB291_10 Depth=1
	s_or_b64 exec, exec, s[42:43]
.LBB291_130:                            ;   in Loop: Header=BB291_10 Depth=1
	s_or_b64 exec, exec, s[40:41]
	global_load_ushort v43, v[10:11], off offset:1280
	s_waitcnt vmcnt(0)
	v_and_b32_e32 v12, 0xffff, v43
	v_cmp_ne_u16_sdwa s[4:5], v43, v13 src0_sel:BYTE_0 src1_sel:DWORD
	s_and_saveexec_b64 s[40:41], s[4:5]
	s_cbranch_execz .LBB291_136
; %bb.131:                              ;   in Loop: Header=BB291_10 Depth=1
	v_cmp_ne_u16_sdwa s[4:5], v12, s50 src0_sel:BYTE_0 src1_sel:DWORD
	v_bfrev_b32_e32 v42, 1
	s_and_saveexec_b64 s[42:43], s[4:5]
	s_cbranch_execz .LBB291_135
; %bb.132:                              ;   in Loop: Header=BB291_10 Depth=1
	v_and_b32_e32 v43, 0x7f, v12
	v_cmp_ne_u32_e64 s[4:5], s51, v43
	v_mov_b32_e32 v42, 0x7fc02000
	s_and_saveexec_b64 s[44:45], s[4:5]
	s_cbranch_execz .LBB291_134
; %bb.133:                              ;   in Loop: Header=BB291_10 Depth=1
	v_and_b32_e32 v42, 7, v12
	v_ffbh_u32_e32 v44, v42
	v_min_u32_e32 v47, 32, v44
	v_subrev_u32_e32 v44, 28, v47
	v_lshlrev_b64 v[44:45], v44, v[12:13]
	v_lshrrev_b32_e32 v46, 3, v43
	v_sub_u32_e32 v45, 29, v47
	v_cmp_gt_u32_e64 s[4:5], 8, v43
	v_and_b32_e32 v44, 7, v44
	v_cndmask_b32_e64 v43, v46, v45, s[4:5]
	v_cndmask_b32_e64 v42, v42, v44, s[4:5]
	v_lshlrev_b32_e32 v44, 8, v12
	v_lshl_add_u32 v43, v43, 10, v19
	v_and_or_b32 v43, v44, s52, v43
	v_lshl_or_b32 v42, v42, 7, v43
	v_cvt_f32_f16_e32 v42, v42
.LBB291_134:                            ;   in Loop: Header=BB291_10 Depth=1
	s_or_b64 exec, exec, s[44:45]
.LBB291_135:                            ;   in Loop: Header=BB291_10 Depth=1
	s_or_b64 exec, exec, s[42:43]
.LBB291_136:                            ;   in Loop: Header=BB291_10 Depth=1
	s_or_b64 exec, exec, s[40:41]
	v_lshrrev_b16_e32 v12, 8, v12
	v_cmp_ne_u16_e64 s[4:5], 0, v12
	v_mov_b32_e32 v44, 0
	v_mov_b32_e32 v43, 0
	s_and_saveexec_b64 s[40:41], s[4:5]
	s_cbranch_execz .LBB291_142
; %bb.137:                              ;   in Loop: Header=BB291_10 Depth=1
	v_cmp_ne_u16_e64 s[4:5], s50, v12
	v_bfrev_b32_e32 v43, 1
	s_and_saveexec_b64 s[42:43], s[4:5]
	s_cbranch_execz .LBB291_141
; %bb.138:                              ;   in Loop: Header=BB291_10 Depth=1
	v_and_b32_e32 v45, 0x7f, v12
	v_cmp_ne_u32_e64 s[4:5], s51, v45
	v_mov_b32_e32 v43, 0x7fc02000
	s_and_saveexec_b64 s[44:45], s[4:5]
	s_cbranch_execz .LBB291_140
; %bb.139:                              ;   in Loop: Header=BB291_10 Depth=1
	v_and_b32_e32 v43, 7, v12
	v_ffbh_u32_e32 v46, v43
	v_min_u32_e32 v49, 32, v46
	v_subrev_u32_e32 v46, 28, v49
	v_lshlrev_b64 v[46:47], v46, v[12:13]
	v_lshrrev_b32_e32 v48, 3, v45
	v_sub_u32_e32 v47, 29, v49
	v_cmp_gt_u32_e64 s[4:5], 8, v45
	v_cndmask_b32_e64 v45, v48, v47, s[4:5]
	v_and_b32_e32 v46, 7, v46
	v_lshlrev_b32_e32 v12, 8, v12
	v_lshl_add_u32 v45, v45, 10, v19
	v_cndmask_b32_e64 v43, v43, v46, s[4:5]
	v_and_or_b32 v12, v12, s52, v45
	v_lshl_or_b32 v12, v43, 7, v12
	v_cvt_f32_f16_e32 v43, v12
.LBB291_140:                            ;   in Loop: Header=BB291_10 Depth=1
	s_or_b64 exec, exec, s[44:45]
.LBB291_141:                            ;   in Loop: Header=BB291_10 Depth=1
	s_or_b64 exec, exec, s[42:43]
.LBB291_142:                            ;   in Loop: Header=BB291_10 Depth=1
	s_or_b64 exec, exec, s[40:41]
	global_load_ushort v45, v[10:11], off offset:1288
	s_waitcnt vmcnt(0)
	v_and_b32_e32 v12, 0xffff, v45
	v_cmp_ne_u16_sdwa s[4:5], v45, v13 src0_sel:BYTE_0 src1_sel:DWORD
	s_and_saveexec_b64 s[40:41], s[4:5]
	s_cbranch_execz .LBB291_148
; %bb.143:                              ;   in Loop: Header=BB291_10 Depth=1
	v_cmp_ne_u16_sdwa s[4:5], v12, s50 src0_sel:BYTE_0 src1_sel:DWORD
	v_bfrev_b32_e32 v44, 1
	s_and_saveexec_b64 s[42:43], s[4:5]
	s_cbranch_execz .LBB291_147
; %bb.144:                              ;   in Loop: Header=BB291_10 Depth=1
	v_and_b32_e32 v45, 0x7f, v12
	v_cmp_ne_u32_e64 s[4:5], s51, v45
	v_mov_b32_e32 v44, 0x7fc02000
	s_and_saveexec_b64 s[44:45], s[4:5]
	s_cbranch_execz .LBB291_146
; %bb.145:                              ;   in Loop: Header=BB291_10 Depth=1
	v_and_b32_e32 v44, 7, v12
	v_ffbh_u32_e32 v46, v44
	v_min_u32_e32 v49, 32, v46
	v_subrev_u32_e32 v46, 28, v49
	v_lshlrev_b64 v[46:47], v46, v[12:13]
	v_lshrrev_b32_e32 v48, 3, v45
	v_sub_u32_e32 v47, 29, v49
	v_cmp_gt_u32_e64 s[4:5], 8, v45
	v_and_b32_e32 v46, 7, v46
	v_cndmask_b32_e64 v45, v48, v47, s[4:5]
	v_cndmask_b32_e64 v44, v44, v46, s[4:5]
	v_lshlrev_b32_e32 v46, 8, v12
	v_lshl_add_u32 v45, v45, 10, v19
	v_and_or_b32 v45, v46, s52, v45
	v_lshl_or_b32 v44, v44, 7, v45
	v_cvt_f32_f16_e32 v44, v44
.LBB291_146:                            ;   in Loop: Header=BB291_10 Depth=1
	s_or_b64 exec, exec, s[44:45]
.LBB291_147:                            ;   in Loop: Header=BB291_10 Depth=1
	s_or_b64 exec, exec, s[42:43]
.LBB291_148:                            ;   in Loop: Header=BB291_10 Depth=1
	s_or_b64 exec, exec, s[40:41]
	v_lshrrev_b16_e32 v12, 8, v12
	v_cmp_ne_u16_e64 s[4:5], 0, v12
	v_mov_b32_e32 v46, 0
	v_mov_b32_e32 v45, 0
	s_and_saveexec_b64 s[40:41], s[4:5]
	s_cbranch_execz .LBB291_154
; %bb.149:                              ;   in Loop: Header=BB291_10 Depth=1
	v_cmp_ne_u16_e64 s[4:5], s50, v12
	v_bfrev_b32_e32 v45, 1
	s_and_saveexec_b64 s[42:43], s[4:5]
	s_cbranch_execz .LBB291_153
; %bb.150:                              ;   in Loop: Header=BB291_10 Depth=1
	v_and_b32_e32 v47, 0x7f, v12
	v_cmp_ne_u32_e64 s[4:5], s51, v47
	v_mov_b32_e32 v45, 0x7fc02000
	s_and_saveexec_b64 s[44:45], s[4:5]
	s_cbranch_execz .LBB291_152
; %bb.151:                              ;   in Loop: Header=BB291_10 Depth=1
	v_and_b32_e32 v45, 7, v12
	v_ffbh_u32_e32 v48, v45
	v_min_u32_e32 v51, 32, v48
	v_subrev_u32_e32 v48, 28, v51
	v_lshlrev_b64 v[48:49], v48, v[12:13]
	v_lshrrev_b32_e32 v50, 3, v47
	v_sub_u32_e32 v49, 29, v51
	v_cmp_gt_u32_e64 s[4:5], 8, v47
	v_cndmask_b32_e64 v47, v50, v49, s[4:5]
	v_and_b32_e32 v48, 7, v48
	v_lshlrev_b32_e32 v12, 8, v12
	v_lshl_add_u32 v47, v47, 10, v19
	v_cndmask_b32_e64 v45, v45, v48, s[4:5]
	v_and_or_b32 v12, v12, s52, v47
	v_lshl_or_b32 v12, v45, 7, v12
	v_cvt_f32_f16_e32 v45, v12
.LBB291_152:                            ;   in Loop: Header=BB291_10 Depth=1
	s_or_b64 exec, exec, s[44:45]
.LBB291_153:                            ;   in Loop: Header=BB291_10 Depth=1
	s_or_b64 exec, exec, s[42:43]
.LBB291_154:                            ;   in Loop: Header=BB291_10 Depth=1
	s_or_b64 exec, exec, s[40:41]
	global_load_ushort v47, v[10:11], off offset:1536
	s_waitcnt vmcnt(0)
	v_and_b32_e32 v12, 0xffff, v47
	v_cmp_ne_u16_sdwa s[4:5], v47, v13 src0_sel:BYTE_0 src1_sel:DWORD
	s_and_saveexec_b64 s[40:41], s[4:5]
	s_cbranch_execz .LBB291_160
; %bb.155:                              ;   in Loop: Header=BB291_10 Depth=1
	v_cmp_ne_u16_sdwa s[4:5], v12, s50 src0_sel:BYTE_0 src1_sel:DWORD
	v_bfrev_b32_e32 v46, 1
	s_and_saveexec_b64 s[42:43], s[4:5]
	s_cbranch_execz .LBB291_159
; %bb.156:                              ;   in Loop: Header=BB291_10 Depth=1
	v_and_b32_e32 v47, 0x7f, v12
	v_cmp_ne_u32_e64 s[4:5], s51, v47
	v_mov_b32_e32 v46, 0x7fc02000
	s_and_saveexec_b64 s[44:45], s[4:5]
	s_cbranch_execz .LBB291_158
; %bb.157:                              ;   in Loop: Header=BB291_10 Depth=1
	v_and_b32_e32 v46, 7, v12
	v_ffbh_u32_e32 v48, v46
	v_min_u32_e32 v51, 32, v48
	v_subrev_u32_e32 v48, 28, v51
	v_lshlrev_b64 v[48:49], v48, v[12:13]
	v_lshrrev_b32_e32 v50, 3, v47
	v_sub_u32_e32 v49, 29, v51
	v_cmp_gt_u32_e64 s[4:5], 8, v47
	v_and_b32_e32 v48, 7, v48
	v_cndmask_b32_e64 v47, v50, v49, s[4:5]
	v_cndmask_b32_e64 v46, v46, v48, s[4:5]
	v_lshlrev_b32_e32 v48, 8, v12
	v_lshl_add_u32 v47, v47, 10, v19
	v_and_or_b32 v47, v48, s52, v47
	v_lshl_or_b32 v46, v46, 7, v47
	v_cvt_f32_f16_e32 v46, v46
.LBB291_158:                            ;   in Loop: Header=BB291_10 Depth=1
	s_or_b64 exec, exec, s[44:45]
.LBB291_159:                            ;   in Loop: Header=BB291_10 Depth=1
	s_or_b64 exec, exec, s[42:43]
.LBB291_160:                            ;   in Loop: Header=BB291_10 Depth=1
	s_or_b64 exec, exec, s[40:41]
	v_lshrrev_b16_e32 v12, 8, v12
	v_cmp_ne_u16_e64 s[4:5], 0, v12
	v_mov_b32_e32 v48, 0
	v_mov_b32_e32 v47, 0
	s_and_saveexec_b64 s[40:41], s[4:5]
	s_cbranch_execz .LBB291_166
; %bb.161:                              ;   in Loop: Header=BB291_10 Depth=1
	v_cmp_ne_u16_e64 s[4:5], s50, v12
	v_bfrev_b32_e32 v47, 1
	s_and_saveexec_b64 s[42:43], s[4:5]
	s_cbranch_execz .LBB291_165
; %bb.162:                              ;   in Loop: Header=BB291_10 Depth=1
	v_and_b32_e32 v49, 0x7f, v12
	v_cmp_ne_u32_e64 s[4:5], s51, v49
	v_mov_b32_e32 v47, 0x7fc02000
	s_and_saveexec_b64 s[44:45], s[4:5]
	s_cbranch_execz .LBB291_164
; %bb.163:                              ;   in Loop: Header=BB291_10 Depth=1
	v_and_b32_e32 v47, 7, v12
	v_ffbh_u32_e32 v50, v47
	v_min_u32_e32 v53, 32, v50
	v_subrev_u32_e32 v50, 28, v53
	v_lshlrev_b64 v[50:51], v50, v[12:13]
	v_lshrrev_b32_e32 v52, 3, v49
	v_sub_u32_e32 v51, 29, v53
	v_cmp_gt_u32_e64 s[4:5], 8, v49
	v_cndmask_b32_e64 v49, v52, v51, s[4:5]
	v_and_b32_e32 v50, 7, v50
	v_lshlrev_b32_e32 v12, 8, v12
	v_lshl_add_u32 v49, v49, 10, v19
	v_cndmask_b32_e64 v47, v47, v50, s[4:5]
	v_and_or_b32 v12, v12, s52, v49
	v_lshl_or_b32 v12, v47, 7, v12
	v_cvt_f32_f16_e32 v47, v12
.LBB291_164:                            ;   in Loop: Header=BB291_10 Depth=1
	s_or_b64 exec, exec, s[44:45]
.LBB291_165:                            ;   in Loop: Header=BB291_10 Depth=1
	s_or_b64 exec, exec, s[42:43]
.LBB291_166:                            ;   in Loop: Header=BB291_10 Depth=1
	s_or_b64 exec, exec, s[40:41]
	global_load_ushort v49, v[10:11], off offset:1544
	s_waitcnt vmcnt(0)
	v_and_b32_e32 v12, 0xffff, v49
	v_cmp_ne_u16_sdwa s[4:5], v49, v13 src0_sel:BYTE_0 src1_sel:DWORD
	s_and_saveexec_b64 s[40:41], s[4:5]
	s_cbranch_execz .LBB291_172
; %bb.167:                              ;   in Loop: Header=BB291_10 Depth=1
	v_cmp_ne_u16_sdwa s[4:5], v12, s50 src0_sel:BYTE_0 src1_sel:DWORD
	v_bfrev_b32_e32 v48, 1
	s_and_saveexec_b64 s[42:43], s[4:5]
	s_cbranch_execz .LBB291_171
; %bb.168:                              ;   in Loop: Header=BB291_10 Depth=1
	v_and_b32_e32 v49, 0x7f, v12
	v_cmp_ne_u32_e64 s[4:5], s51, v49
	v_mov_b32_e32 v48, 0x7fc02000
	s_and_saveexec_b64 s[44:45], s[4:5]
	s_cbranch_execz .LBB291_170
; %bb.169:                              ;   in Loop: Header=BB291_10 Depth=1
	v_and_b32_e32 v48, 7, v12
	v_ffbh_u32_e32 v50, v48
	v_min_u32_e32 v53, 32, v50
	v_subrev_u32_e32 v50, 28, v53
	v_lshlrev_b64 v[50:51], v50, v[12:13]
	v_lshrrev_b32_e32 v52, 3, v49
	v_sub_u32_e32 v51, 29, v53
	v_cmp_gt_u32_e64 s[4:5], 8, v49
	v_and_b32_e32 v50, 7, v50
	v_cndmask_b32_e64 v49, v52, v51, s[4:5]
	v_cndmask_b32_e64 v48, v48, v50, s[4:5]
	v_lshlrev_b32_e32 v50, 8, v12
	v_lshl_add_u32 v49, v49, 10, v19
	v_and_or_b32 v49, v50, s52, v49
	v_lshl_or_b32 v48, v48, 7, v49
	v_cvt_f32_f16_e32 v48, v48
.LBB291_170:                            ;   in Loop: Header=BB291_10 Depth=1
	s_or_b64 exec, exec, s[44:45]
.LBB291_171:                            ;   in Loop: Header=BB291_10 Depth=1
	s_or_b64 exec, exec, s[42:43]
.LBB291_172:                            ;   in Loop: Header=BB291_10 Depth=1
	s_or_b64 exec, exec, s[40:41]
	v_lshrrev_b16_e32 v12, 8, v12
	v_cmp_ne_u16_e64 s[4:5], 0, v12
	v_mov_b32_e32 v49, 0
	v_mov_b32_e32 v50, 0
	s_and_saveexec_b64 s[40:41], s[4:5]
	s_cbranch_execz .LBB291_178
; %bb.173:                              ;   in Loop: Header=BB291_10 Depth=1
	v_cmp_ne_u16_e64 s[4:5], s50, v12
	v_bfrev_b32_e32 v50, 1
	s_and_saveexec_b64 s[42:43], s[4:5]
	s_cbranch_execz .LBB291_177
; %bb.174:                              ;   in Loop: Header=BB291_10 Depth=1
	v_and_b32_e32 v51, 0x7f, v12
	v_cmp_ne_u32_e64 s[4:5], s51, v51
	v_mov_b32_e32 v50, 0x7fc02000
	s_and_saveexec_b64 s[44:45], s[4:5]
	s_cbranch_execz .LBB291_176
; %bb.175:                              ;   in Loop: Header=BB291_10 Depth=1
	v_and_b32_e32 v50, 7, v12
	v_ffbh_u32_e32 v52, v50
	v_min_u32_e32 v55, 32, v52
	v_subrev_u32_e32 v52, 28, v55
	v_lshlrev_b64 v[52:53], v52, v[12:13]
	v_lshrrev_b32_e32 v54, 3, v51
	v_sub_u32_e32 v53, 29, v55
	v_cmp_gt_u32_e64 s[4:5], 8, v51
	v_cndmask_b32_e64 v51, v54, v53, s[4:5]
	v_and_b32_e32 v52, 7, v52
	v_lshlrev_b32_e32 v12, 8, v12
	v_lshl_add_u32 v51, v51, 10, v19
	v_cndmask_b32_e64 v50, v50, v52, s[4:5]
	v_and_or_b32 v12, v12, s52, v51
	v_lshl_or_b32 v12, v50, 7, v12
	v_cvt_f32_f16_e32 v50, v12
.LBB291_176:                            ;   in Loop: Header=BB291_10 Depth=1
	s_or_b64 exec, exec, s[44:45]
.LBB291_177:                            ;   in Loop: Header=BB291_10 Depth=1
	s_or_b64 exec, exec, s[42:43]
.LBB291_178:                            ;   in Loop: Header=BB291_10 Depth=1
	s_or_b64 exec, exec, s[40:41]
	global_load_ushort v11, v[10:11], off offset:1792
	s_waitcnt vmcnt(0)
	v_and_b32_e32 v10, 0xffff, v11
	v_cmp_ne_u16_sdwa s[4:5], v11, v13 src0_sel:BYTE_0 src1_sel:DWORD
	s_and_saveexec_b64 s[40:41], s[4:5]
	s_cbranch_execz .LBB291_184
; %bb.179:                              ;   in Loop: Header=BB291_10 Depth=1
	v_cmp_ne_u16_sdwa s[4:5], v10, s50 src0_sel:BYTE_0 src1_sel:DWORD
	v_bfrev_b32_e32 v49, 1
	s_and_saveexec_b64 s[42:43], s[4:5]
	s_cbranch_execz .LBB291_183
; %bb.180:                              ;   in Loop: Header=BB291_10 Depth=1
	v_and_b32_e32 v11, 0x7f, v10
	v_cmp_ne_u32_e64 s[4:5], s51, v11
	v_mov_b32_e32 v49, 0x7fc02000
	s_and_saveexec_b64 s[44:45], s[4:5]
	s_cbranch_execz .LBB291_182
; %bb.181:                              ;   in Loop: Header=BB291_10 Depth=1
	v_and_b32_e32 v12, 7, v10
	v_ffbh_u32_e32 v51, v12
	v_min_u32_e32 v51, 32, v51
	v_lshrrev_b32_e32 v49, 3, v11
	v_subrev_u32_e32 v52, 28, v51
	v_sub_u32_e32 v51, 29, v51
	v_cmp_gt_u32_e64 s[4:5], 8, v11
	v_lshlrev_b64 v[52:53], v52, v[10:11]
	v_cndmask_b32_e64 v11, v49, v51, s[4:5]
	v_and_b32_e32 v52, 7, v52
	v_lshlrev_b32_e32 v49, 8, v10
	v_lshl_add_u32 v11, v11, 10, v19
	v_cndmask_b32_e64 v12, v12, v52, s[4:5]
	v_and_or_b32 v11, v49, s52, v11
	v_lshl_or_b32 v11, v12, 7, v11
	v_cvt_f32_f16_e32 v49, v11
.LBB291_182:                            ;   in Loop: Header=BB291_10 Depth=1
	s_or_b64 exec, exec, s[44:45]
.LBB291_183:                            ;   in Loop: Header=BB291_10 Depth=1
	s_or_b64 exec, exec, s[42:43]
.LBB291_184:                            ;   in Loop: Header=BB291_10 Depth=1
	s_or_b64 exec, exec, s[40:41]
	v_lshrrev_b16_e32 v10, 8, v10
	v_cmp_ne_u16_e64 s[4:5], 0, v10
	v_mov_b32_e32 v11, 0
	s_and_saveexec_b64 s[40:41], s[4:5]
	s_cbranch_execz .LBB291_190
; %bb.185:                              ;   in Loop: Header=BB291_10 Depth=1
	v_cmp_ne_u16_e64 s[4:5], s50, v10
	v_bfrev_b32_e32 v11, 1
	s_and_saveexec_b64 s[42:43], s[4:5]
	s_cbranch_execz .LBB291_189
; %bb.186:                              ;   in Loop: Header=BB291_10 Depth=1
	v_and_b32_e32 v12, 0x7f, v10
	v_cmp_ne_u32_e64 s[4:5], s51, v12
	v_mov_b32_e32 v11, 0x7fc02000
	s_and_saveexec_b64 s[44:45], s[4:5]
	s_cbranch_execz .LBB291_188
; %bb.187:                              ;   in Loop: Header=BB291_10 Depth=1
	v_and_b32_e32 v11, 7, v10
	v_ffbh_u32_e32 v52, v11
	v_min_u32_e32 v54, 32, v52
	v_subrev_u32_e32 v52, 28, v54
	v_lshlrev_b64 v[52:53], v52, v[10:11]
	v_lshrrev_b32_e32 v51, 3, v12
	v_sub_u32_e32 v53, 29, v54
	v_cmp_gt_u32_e64 s[4:5], 8, v12
	v_cndmask_b32_e64 v12, v51, v53, s[4:5]
	v_and_b32_e32 v52, 7, v52
	v_lshlrev_b32_e32 v10, 8, v10
	v_lshl_add_u32 v12, v12, 10, v19
	v_cndmask_b32_e64 v11, v11, v52, s[4:5]
	v_and_or_b32 v10, v10, s52, v12
	v_lshl_or_b32 v10, v11, 7, v10
	v_cvt_f32_f16_e32 v11, v10
.LBB291_188:                            ;   in Loop: Header=BB291_10 Depth=1
	s_or_b64 exec, exec, s[44:45]
.LBB291_189:                            ;   in Loop: Header=BB291_10 Depth=1
	s_or_b64 exec, exec, s[42:43]
.LBB291_190:                            ;   in Loop: Header=BB291_10 Depth=1
	s_or_b64 exec, exec, s[40:41]
	ds_read_b32 v10, v16
	v_fma_mixlo_f16 v12, v21, v22, 0
	v_fma_mixlo_f16 v22, v21, v24, 0
	v_and_b32_e32 v12, 0xffff, v12
	v_and_b32_e32 v22, 0xffff, v22
	s_waitcnt lgkmcnt(0)
	v_lshrrev_b32_e32 v24, 16, v10
	v_and_b32_e32 v10, 0xffff, v10
	;;#ASMSTART
	v_cvt_f32_f16 v10, v10;
	;;#ASMEND
	;;#ASMSTART
	v_cvt_f32_f16 v24, v24;
	;;#ASMEND
	;;#ASMSTART
	v_cvt_f32_f16 v12, v12;
	;;#ASMEND
	;;#ASMSTART
	v_cvt_f32_f16 v22, v22;
	;;#ASMEND
	ds_read_b32 v51, v16 offset:4
	v_fma_mixlo_f16 v23, v21, v23, 0
	v_fma_mixlo_f16 v26, v21, v26, 0
	v_and_b32_e32 v23, 0xffff, v23
	v_and_b32_e32 v26, 0xffff, v26
	s_waitcnt lgkmcnt(0)
	v_lshrrev_b32_e32 v52, 16, v51
	v_and_b32_e32 v51, 0xffff, v51
	;;#ASMSTART
	v_cvt_f32_f16 v51, v51;
	;;#ASMEND
	;;#ASMSTART
	v_cvt_f32_f16 v52, v52;
	;;#ASMEND
	;;#ASMSTART
	v_cvt_f32_f16 v23, v23;
	;;#ASMEND
	;;#ASMSTART
	v_cvt_f32_f16 v26, v26;
	;;#ASMEND
	ds_read_b32 v53, v16 offset:8
	;; [unrolled: 20-line block ×7, first 2 shown]
	v_fma_mixlo_f16 v35, v21, v35, 0
	v_fma_mixlo_f16 v37, v21, v37, 0
	;; [unrolled: 1-line block ×16, first 2 shown]
	s_waitcnt lgkmcnt(0)
	v_lshrrev_b32_e32 v21, 16, v63
	v_and_b32_e32 v63, 0xffff, v63
	v_and_b32_e32 v35, 0xffff, v35
	;; [unrolled: 1-line block ×3, first 2 shown]
	;;#ASMSTART
	v_cvt_f32_f16 v63, v63;
	;;#ASMEND
	;;#ASMSTART
	v_cvt_f32_f16 v21, v21;
	;;#ASMEND
	;; [unrolled: 3-line block ×4, first 2 shown]
	ds_read_b32 v64, v16 offset:32
	v_mul_f32_e32 v23, v51, v23
	v_fmac_f32_e32 v23, v10, v12
	v_mul_f32_e32 v10, v52, v26
	v_fmac_f32_e32 v10, v24, v22
	s_waitcnt lgkmcnt(0)
	v_lshrrev_b32_e32 v12, 16, v64
	v_and_b32_e32 v22, 0xffff, v64
	v_and_b32_e32 v24, 0xffff, v38
	v_and_b32_e32 v26, 0xffff, v39
	;;#ASMSTART
	v_cvt_f32_f16 v22, v22;
	;;#ASMEND
	;;#ASMSTART
	v_cvt_f32_f16 v12, v12;
	;;#ASMEND
	;;#ASMSTART
	v_cvt_f32_f16 v24, v24;
	;;#ASMEND
	;;#ASMSTART
	v_cvt_f32_f16 v26, v26;
	;;#ASMEND
	ds_read_b32 v38, v16 offset:36
	v_fmac_f32_e32 v23, v53, v25
	v_fmac_f32_e32 v10, v54, v28
	v_fmac_f32_e32 v23, v55, v27
	v_fmac_f32_e32 v10, v56, v30
	s_waitcnt lgkmcnt(0)
	v_lshrrev_b32_e32 v25, 16, v38
	v_and_b32_e32 v27, 0xffff, v38
	v_and_b32_e32 v28, 0xffff, v40
	v_and_b32_e32 v30, 0xffff, v41
	;;#ASMSTART
	v_cvt_f32_f16 v27, v27;
	;;#ASMEND
	;;#ASMSTART
	v_cvt_f32_f16 v25, v25;
	;;#ASMEND
	;;#ASMSTART
	v_cvt_f32_f16 v28, v28;
	;;#ASMEND
	;;#ASMSTART
	v_cvt_f32_f16 v30, v30;
	;;#ASMEND
	ds_read_b32 v38, v16 offset:40
	v_fmac_f32_e32 v23, v57, v29
	v_fmac_f32_e32 v10, v58, v32
	v_fmac_f32_e32 v23, v59, v31
	;; [unrolled: 22-line block ×4, first 2 shown]
	v_and_b32_e32 v24, 0xffff, v46
	s_waitcnt lgkmcnt(0)
	v_lshrrev_b32_e32 v12, 16, v37
	v_and_b32_e32 v22, 0xffff, v37
	v_and_b32_e32 v25, 0xffff, v47
	;;#ASMSTART
	v_cvt_f32_f16 v22, v22;
	;;#ASMEND
	;;#ASMSTART
	v_cvt_f32_f16 v12, v12;
	;;#ASMEND
	;; [unrolled: 3-line block ×4, first 2 shown]
	ds_read_b32 v26, v16 offset:52
	v_fmac_f32_e32 v10, v29, v34
	v_fmac_f32_e32 v23, v27, v28
	;; [unrolled: 1-line block ×3, first 2 shown]
	v_and_b32_e32 v27, 0xffff, v48
	s_waitcnt lgkmcnt(0)
	v_lshrrev_b32_e32 v21, 16, v26
	v_and_b32_e32 v26, 0xffff, v26
	v_and_b32_e32 v28, 0xffff, v50
	;;#ASMSTART
	v_cvt_f32_f16 v26, v26;
	;;#ASMEND
	;;#ASMSTART
	v_cvt_f32_f16 v21, v21;
	;;#ASMEND
	;; [unrolled: 3-line block ×4, first 2 shown]
	ds_read_b32 v29, v16 offset:56
	v_fmac_f32_e32 v23, v31, v32
	v_fmac_f32_e32 v23, v33, v35
	v_fmac_f32_e32 v23, v22, v24
	v_fmac_f32_e32 v10, v12, v25
	v_fmac_f32_e32 v23, v26, v27
	v_fmac_f32_e32 v10, v21, v28
	s_waitcnt lgkmcnt(0)
	v_lshrrev_b32_e32 v12, 16, v29
	v_and_b32_e32 v21, 0xffff, v29
	v_and_b32_e32 v22, 0xffff, v49
	;; [unrolled: 1-line block ×3, first 2 shown]
	;;#ASMSTART
	v_cvt_f32_f16 v21, v21;
	;;#ASMEND
	;;#ASMSTART
	v_cvt_f32_f16 v12, v12;
	;;#ASMEND
	;; [unrolled: 3-line block ×4, first 2 shown]
	v_fmac_f32_e32 v23, v21, v22
	v_fmac_f32_e32 v10, v12, v11
	v_add_f32_e32 v11, v23, v10
	v_and_b32_e32 v10, 64, v7
	v_add_u32_e32 v10, 64, v10
	v_xor_b32_e32 v12, 2, v7
	v_cmp_lt_i32_e64 s[4:5], v12, v10
	v_cndmask_b32_e64 v12, v7, v12, s[4:5]
	v_lshlrev_b32_e32 v12, 2, v12
	ds_bpermute_b32 v12, v12, v11
	s_waitcnt lgkmcnt(0)
	v_add_f32_e32 v11, v11, v12
	v_xor_b32_e32 v12, 1, v7
	v_cmp_lt_i32_e64 s[4:5], v12, v10
	v_cndmask_b32_e64 v12, v7, v12, s[4:5]
	v_lshlrev_b32_e32 v12, 2, v12
	ds_bpermute_b32 v12, v12, v11
	s_and_saveexec_b64 s[40:41], vcc
	s_cbranch_execz .LBB291_9
; %bb.191:                              ;   in Loop: Header=BB291_10 Depth=1
	v_add_u32_e32 v21, s49, v17
	v_cvt_f32_i32_e32 v21, v21
	s_waitcnt lgkmcnt(0)
	v_add_f32_e32 v11, v11, v12
	v_cmp_gt_i32_e64 s[4:5], s29, v17
	v_max_f32_e32 v12, v1, v1
	v_mul_f32_e32 v21, s10, v21
	v_cndmask_b32_e64 v21, 0, v21, s[2:3]
	v_fmac_f32_e32 v21, s11, v11
	v_cndmask_b32_e64 v11, 0, v21, s[4:5]
	ds_write_b32 v18, v11
	v_max_f32_e32 v11, v12, v21
	v_cndmask_b32_e64 v1, v1, v11, s[4:5]
	s_branch .LBB291_9
.LBB291_192:
	s_or_b64 exec, exec, s[18:19]
.LBB291_193:
	s_or_b64 exec, exec, s[38:39]
	v_xor_b32_e32 v4, 32, v7
	v_cmp_lt_i32_e32 vcc, v4, v10
	v_cndmask_b32_e32 v4, v7, v4, vcc
	v_lshlrev_b32_e32 v4, 2, v4
	ds_bpermute_b32 v5, v4, v1
	v_xor_b32_e32 v6, 16, v7
	v_max_f32_e32 v1, v1, v1
	v_cmp_lt_i32_e32 vcc, v6, v10
	v_xor_b32_e32 v8, 8, v7
	s_waitcnt lgkmcnt(0)
	v_max_f32_e32 v5, v5, v5
	v_max_f32_e32 v1, v1, v5
	v_cndmask_b32_e32 v5, v7, v6, vcc
	v_lshlrev_b32_e32 v5, 2, v5
	ds_bpermute_b32 v6, v5, v1
	v_cmp_lt_i32_e32 vcc, v8, v10
	v_lshlrev_b32_e32 v9, 2, v14
	s_waitcnt lgkmcnt(0)
	v_max_f32_e32 v6, v6, v6
	v_max_f32_e32 v1, v1, v6
	v_cndmask_b32_e32 v6, v7, v8, vcc
	v_lshlrev_b32_e32 v12, 2, v6
	ds_bpermute_b32 v6, v12, v1
	v_xor_b32_e32 v8, 4, v7
	v_cmp_lt_i32_e32 vcc, v8, v10
	s_waitcnt lgkmcnt(0)
	v_max_f32_e32 v6, v6, v6
	v_max_f32_e32 v1, v1, v6
	v_cndmask_b32_e32 v6, v7, v8, vcc
	v_lshlrev_b32_e32 v13, 2, v6
	ds_bpermute_b32 v8, v13, v1
	v_and_b32_e32 v6, 63, v0
	v_cmp_eq_u32_e32 vcc, 0, v6
	s_and_saveexec_b64 s[2:3], vcc
	s_cbranch_execz .LBB291_195
; %bb.194:
	s_waitcnt lgkmcnt(0)
	v_max_f32_e32 v8, v8, v8
	v_max_f32_e32 v1, v1, v1
	;; [unrolled: 1-line block ×3, first 2 shown]
	ds_write_b32 v9, v1 offset:240
.LBB291_195:
	s_or_b64 exec, exec, s[2:3]
	v_cmp_gt_u32_e64 s[2:3], 2, v6
	s_waitcnt lgkmcnt(0)
	v_mov_b32_e32 v8, 0xff7fffff
	v_lshlrev_b32_e32 v11, 2, v6
	s_barrier
	s_and_saveexec_b64 s[4:5], s[2:3]
	s_cbranch_execz .LBB291_197
; %bb.196:
	ds_read_b32 v8, v11 offset:240
.LBB291_197:
	s_or_b64 exec, exec, s[4:5]
	v_xor_b32_e32 v1, 1, v7
	v_cmp_lt_i32_e64 s[4:5], v1, v10
	v_cndmask_b32_e64 v1, v7, v1, s[4:5]
	v_lshlrev_b32_e32 v1, 2, v1
	s_waitcnt lgkmcnt(0)
	ds_bpermute_b32 v16, v1, v8
	v_max_f32_e32 v8, v8, v8
	s_sub_i32 s4, s33, s7
	s_lshl_b32 s4, s4, 4
	s_add_i32 s4, s4, s46
	s_waitcnt lgkmcnt(0)
	v_max_f32_e32 v16, v16, v16
	v_max_f32_e32 v8, v8, v16
	v_lshlrev_b32_e32 v16, 2, v7
	v_and_b32_e32 v16, 0xffffff00, v16
	ds_bpermute_b32 v8, v16, v8
	s_min_i32 s38, s4, s29
	s_sub_i32 s7, s38, s46
	v_cmp_gt_i32_e64 s[4:5], s7, v0
	v_mov_b32_e32 v17, 0
	s_and_saveexec_b64 s[12:13], s[4:5]
	s_cbranch_execz .LBB291_201
; %bb.198:
	v_mov_b32_e32 v17, 0x100
	v_lshl_add_u32 v18, v0, 2, v17
	s_mov_b64 s[18:19], 0
	v_mov_b32_e32 v17, 0
	v_mov_b32_e32 v19, v0
.LBB291_199:                            ; =>This Inner Loop Header: Depth=1
	ds_read_b32 v20, v18
	v_add_u32_e32 v19, 0x80, v19
	v_cmp_le_i32_e64 s[10:11], s7, v19
	s_or_b64 s[18:19], s[10:11], s[18:19]
	s_waitcnt lgkmcnt(0)
	v_sub_f32_e32 v20, v20, v8
	v_mul_f32_e32 v20, 0x3fb8aa3b, v20
	v_exp_f32_e32 v20, v20
	ds_write_b32 v18, v20
	v_add_f32_e32 v17, v17, v20
	v_add_u32_e32 v18, 0x200, v18
	s_andn2_b64 exec, exec, s[18:19]
	s_cbranch_execnz .LBB291_199
; %bb.200:
	s_or_b64 exec, exec, s[18:19]
.LBB291_201:
	s_or_b64 exec, exec, s[12:13]
	ds_bpermute_b32 v4, v4, v17
	s_waitcnt lgkmcnt(0)
	v_add_f32_e32 v4, v17, v4
	ds_bpermute_b32 v5, v5, v4
	s_waitcnt lgkmcnt(0)
	v_add_f32_e32 v4, v4, v5
	ds_bpermute_b32 v5, v12, v4
	v_xor_b32_e32 v12, 2, v7
	v_cmp_lt_i32_e64 s[10:11], v12, v10
	v_cndmask_b32_e64 v7, v7, v12, s[10:11]
	s_waitcnt lgkmcnt(0)
	v_add_f32_e32 v4, v4, v5
	ds_bpermute_b32 v5, v13, v4
	s_waitcnt lgkmcnt(0)
	v_add_f32_e32 v4, v4, v5
	v_lshlrev_b32_e32 v5, 2, v7
	ds_bpermute_b32 v5, v5, v4
	s_waitcnt lgkmcnt(0)
	v_add_f32_e32 v4, v4, v5
	ds_bpermute_b32 v5, v1, v4
	s_waitcnt lgkmcnt(0)
	v_add_f32_e32 v4, v4, v5
	s_and_saveexec_b64 s[10:11], vcc
	s_cbranch_execz .LBB291_203
; %bb.202:
	ds_write_b32 v9, v4 offset:248
.LBB291_203:
	s_or_b64 exec, exec, s[10:11]
	s_waitcnt lgkmcnt(0)
	s_barrier
	s_and_saveexec_b64 s[10:11], s[2:3]
	s_cbranch_execz .LBB291_205
; %bb.204:
	ds_read_b32 v4, v11 offset:248
.LBB291_205:
	s_or_b64 exec, exec, s[10:11]
	s_waitcnt lgkmcnt(0)
	ds_bpermute_b32 v5, v1, v4
	s_waitcnt lgkmcnt(0)
	v_add_f32_e32 v4, v4, v5
	ds_bpermute_b32 v7, v16, v4
	s_and_saveexec_b64 s[2:3], s[4:5]
	s_cbranch_execz .LBB291_218
; %bb.206:
	s_waitcnt lgkmcnt(0)
	v_add_f32_e32 v4, 0x358637bd, v7
	v_div_scale_f32 v5, s[4:5], v4, v4, 1.0
	v_rcp_f32_e32 v9, v5
	v_div_scale_f32 v10, vcc, 1.0, v4, 1.0
	s_movk_i32 s4, 0x7f
	v_fma_f32 v11, -v5, v9, 1.0
	v_fmac_f32_e32 v9, v11, v9
	v_mul_f32_e32 v11, v10, v9
	v_fma_f32 v12, -v5, v11, v10
	v_fmac_f32_e32 v11, v12, v9
	v_fma_f32 v5, -v5, v11, v10
	v_div_fmas_f32 v5, v5, v9, v11
	v_div_fixup_f32 v4, v5, v4, 1.0
	v_xad_u32 v5, v0, -1, s38
	v_subrev_u32_e32 v9, s46, v5
	v_cmp_lt_u32_e32 vcc, s4, v9
	s_mov_b64 s[10:11], -1
	v_mov_b32_e32 v5, v0
	s_and_saveexec_b64 s[4:5], vcc
	s_cbranch_execz .LBB291_215
; %bb.207:
	v_lshrrev_b32_e32 v9, 7, v9
	v_add_u32_e32 v11, -1, v9
	v_lshrrev_b32_e32 v10, 1, v11
	v_mov_b32_e32 v5, v4
	v_add_u32_e32 v10, 1, v10
	v_cmp_lt_u32_e32 vcc, 13, v11
	v_mov_b32_e32 v13, 0
	s_and_saveexec_b64 s[10:11], vcc
	s_cbranch_execz .LBB291_211
; %bb.208:
	v_mov_b32_e32 v12, 0x100
	v_and_b32_e32 v11, -8, v10
	v_lshl_add_u32 v12, v0, 2, v12
	s_mov_b32 s18, 0
	s_mov_b64 s[12:13], 0
.LBB291_209:                            ; =>This Inner Loop Header: Depth=1
	ds_read2st64_b32 v[16:17], v12 offset1:2
	ds_read2st64_b32 v[18:19], v12 offset0:4 offset1:6
	ds_read2st64_b32 v[20:21], v12 offset0:8 offset1:10
	;; [unrolled: 1-line block ×3, first 2 shown]
	v_add_u32_e32 v11, -8, v11
	s_waitcnt lgkmcnt(3)
	v_pk_mul_f32 v[16:17], v[4:5], v[16:17]
	s_waitcnt lgkmcnt(2)
	v_pk_mul_f32 v[18:19], v[4:5], v[18:19]
	ds_write2st64_b32 v12, v16, v17 offset1:2
	ds_write2st64_b32 v12, v18, v19 offset0:4 offset1:6
	ds_read2st64_b32 v[18:19], v12 offset0:16 offset1:18
	s_waitcnt lgkmcnt(4)
	v_pk_mul_f32 v[16:17], v[4:5], v[20:21]
	ds_write2st64_b32 v12, v16, v17 offset0:8 offset1:10
	s_waitcnt lgkmcnt(4)
	v_pk_mul_f32 v[16:17], v[4:5], v[22:23]
	ds_write2st64_b32 v12, v16, v17 offset0:12 offset1:14
	ds_read2st64_b32 v[16:17], v12 offset0:20 offset1:22
	s_waitcnt lgkmcnt(3)
	v_pk_mul_f32 v[18:19], v[4:5], v[18:19]
	ds_read2st64_b32 v[20:21], v12 offset0:24 offset1:26
	ds_write2st64_b32 v12, v18, v19 offset0:16 offset1:18
	ds_read2st64_b32 v[18:19], v12 offset0:28 offset1:30
	s_waitcnt lgkmcnt(3)
	v_pk_mul_f32 v[16:17], v[4:5], v[16:17]
	ds_write2st64_b32 v12, v16, v17 offset0:20 offset1:22
	s_waitcnt lgkmcnt(3)
	v_pk_mul_f32 v[16:17], v[4:5], v[20:21]
	ds_write2st64_b32 v12, v16, v17 offset0:24 offset1:26
	s_waitcnt lgkmcnt(2)
	v_pk_mul_f32 v[16:17], v[4:5], v[18:19]
	s_add_i32 s18, s18, 16
	v_cmp_eq_u32_e32 vcc, 0, v11
	ds_write2st64_b32 v12, v16, v17 offset0:28 offset1:30
	v_add_u32_e32 v12, 0x2000, v12
	s_or_b64 s[12:13], vcc, s[12:13]
	v_mov_b32_e32 v13, s18
	s_andn2_b64 exec, exec, s[12:13]
	s_cbranch_execnz .LBB291_209
; %bb.210:
	s_or_b64 exec, exec, s[12:13]
.LBB291_211:
	s_or_b64 exec, exec, s[10:11]
	v_and_b32_e32 v10, 7, v10
	v_cmp_ne_u32_e32 vcc, 0, v10
	s_and_saveexec_b64 s[10:11], vcc
	s_cbranch_execz .LBB291_214
; %bb.212:
	v_lshlrev_b32_e32 v11, 9, v13
	v_lshlrev_b32_e32 v12, 2, v0
	s_movk_i32 s12, 0x100
	v_add3_u32 v11, v11, v12, s12
	s_mov_b64 s[12:13], 0
.LBB291_213:                            ; =>This Inner Loop Header: Depth=1
	ds_read2st64_b32 v[12:13], v11 offset1:2
	v_add_u32_e32 v10, -1, v10
	v_cmp_eq_u32_e32 vcc, 0, v10
	s_or_b64 s[12:13], vcc, s[12:13]
	s_waitcnt lgkmcnt(0)
	v_pk_mul_f32 v[12:13], v[4:5], v[12:13]
	ds_write2st64_b32 v11, v12, v13 offset1:2
	v_add_u32_e32 v11, 0x400, v11
	s_andn2_b64 exec, exec, s[12:13]
	s_cbranch_execnz .LBB291_213
.LBB291_214:
	s_or_b64 exec, exec, s[10:11]
	v_add_u32_e32 v9, 1, v9
	v_and_b32_e32 v10, 0x3fffffe, v9
	v_cmp_ne_u32_e32 vcc, v9, v10
	v_lshl_add_u32 v5, v10, 7, v0
	s_orn2_b64 s[10:11], vcc, exec
.LBB291_215:
	s_or_b64 exec, exec, s[4:5]
	s_and_b64 exec, exec, s[10:11]
	s_cbranch_execz .LBB291_218
; %bb.216:
	v_mov_b32_e32 v9, 0x100
	v_lshl_add_u32 v9, v5, 2, v9
	s_mov_b64 s[4:5], 0
.LBB291_217:                            ; =>This Inner Loop Header: Depth=1
	ds_read_b32 v10, v9
	v_add_u32_e32 v5, 0x80, v5
	v_cmp_le_i32_e32 vcc, s7, v5
	s_or_b64 s[4:5], vcc, s[4:5]
	s_waitcnt lgkmcnt(0)
	v_mul_f32_e32 v10, v4, v10
	ds_write_b32 v9, v10
	v_add_u32_e32 v9, 0x200, v9
	s_andn2_b64 exec, exec, s[4:5]
	s_cbranch_execnz .LBB291_217
.LBB291_218:
	s_or_b64 exec, exec, s[2:3]
	s_mul_i32 s2, s25, s28
	v_cmp_eq_u32_e32 vcc, 0, v0
	s_mul_i32 s4, s2, s9
	s_waitcnt lgkmcnt(0)
	s_barrier
	s_and_saveexec_b64 s[2:3], vcc
	s_cbranch_execz .LBB291_220
; %bb.219:
	s_ashr_i32 s5, s4, 31
	s_lshl_b64 s[10:11], s[4:5], 2
	s_add_u32 s5, s22, s10
	s_mul_i32 s6, s25, s6
	s_addc_u32 s9, s23, s11
	s_ashr_i32 s7, s6, 31
	s_lshl_b64 s[6:7], s[6:7], 2
	s_add_u32 s5, s5, s6
	s_addc_u32 s19, s9, s7
	s_ashr_i32 s9, s8, 31
	s_lshl_b64 s[12:13], s[8:9], 2
	s_add_u32 s18, s5, s12
	s_addc_u32 s19, s19, s13
	s_add_u32 s5, s20, s10
	s_addc_u32 s9, s21, s11
	;; [unrolled: 2-line block ×3, first 2 shown]
	s_add_u32 s6, s5, s12
	v_mov_b32_e32 v4, 0
	s_addc_u32 s7, s7, s13
	global_store_dword v4, v8, s[18:19]
	global_store_dword v4, v7, s[6:7]
.LBB291_220:
	s_or_b64 exec, exec, s[2:3]
	v_mov_b32_e32 v9, 0
	v_lshrrev_b32_e32 v30, 1, v6
	v_and_b32_e32 v11, 1, v0
	v_mov_b32_e32 v8, v9
	v_mov_b32_e32 v13, v9
	;; [unrolled: 1-line block ×3, first 2 shown]
	s_and_saveexec_b64 s[6:7], s[0:1]
	s_cbranch_execz .LBB291_426
; %bb.221:
	s_ashr_i32 s0, s47, 31
	s_add_u32 s2, s36, s47
	s_addc_u32 s3, s37, s0
	v_or_b32_e32 v6, 0x60, v30
	s_movk_i32 s0, 0x78
	v_lshlrev_b32_e32 v4, 3, v0
	s_add_i32 s9, s16, -1
	v_cmp_gt_u32_e32 vcc, s0, v6
	s_lshl_b64 s[0:1], s[34:35], 2
	v_and_b32_e32 v5, 8, v4
	s_add_u32 s0, s30, s0
	v_lshl_or_b32 v10, v6, 4, v5
	v_lshlrev_b32_e32 v6, 5, v11
	v_lshlrev_b64 v[8:9], 2, v[2:3]
	s_addc_u32 s1, s31, s1
	s_mov_b32 s10, -1
	v_mov_b32_e32 v7, 0
	v_lshl_or_b32 v6, v14, 6, v6
	v_mov_b32_e32 v3, s1
	v_add_co_u32_e64 v14, s[0:1], s0, v8
	s_mov_b32 s5, s17
	s_mov_b32 s11, 0xffffff
	v_lshl_or_b32 v4, v30, 4, v5
	s_mov_b32 s28, s29
	v_add3_u32 v5, s46, v15, v5
	v_add_u32_e32 v31, 0x100, v6
	v_addc_co_u32_e64 v15, s[0:1], v3, v9, s[0:1]
	s_mov_b64 s[12:13], 0
	v_pk_mov_b32 v[16:17], s[2:3], s[2:3] op_sel:[0,1]
	s_movk_i32 s30, 0x80
	s_movk_i32 s31, 0x7f
	s_mov_b32 s34, 0x8000
	s_movk_i32 s35, 0x380
	s_mov_b32 s36, 0x3020706
	s_mov_b32 s37, 0x1000504
	;; [unrolled: 1-line block ×3, first 2 shown]
	v_mov_b32_e32 v3, 0x2000
	v_mov_b32_e32 v12, v7
	;; [unrolled: 1-line block ×5, first 2 shown]
	s_branch .LBB291_224
.LBB291_222:                            ;   in Loop: Header=BB291_224 Depth=1
	s_or_b64 exec, exec, s[2:3]
	;;#ASMSTART
	v_pk_mul_f16 v20, v35, v20;

	;;#ASMEND
	;;#ASMSTART
	v_pk_mul_f16 v6, v34, v6;

	;;#ASMEND
	;; [unrolled: 4-line block ×4, first 2 shown]
	;;#ASMSTART
	v_pk_add_f16 v6, v20, v6;

	;;#ASMEND
	;;#ASMSTART
	v_pk_add_f16 v6, v6, v19;

	;;#ASMEND
	;; [unrolled: 4-line block ×3, first 2 shown]
	v_lshrrev_b32_e32 v18, 16, v6
	v_and_b32_e32 v6, 0xffff, v6
	;;#ASMSTART
	v_cvt_f32_f16 v6, v6;
	;;#ASMEND
	;;#ASMSTART
	v_cvt_f32_f16 v18, v18;
	;;#ASMEND
	v_add_f32_e32 v6, v6, v18
	v_add_f32_e32 v9, v9, v6
.LBB291_223:                            ;   in Loop: Header=BB291_224 Depth=1
	s_or_b64 exec, exec, s[16:17]
	v_add_u32_e32 v2, 2, v2
	v_cmp_le_i32_e64 s[0:1], s33, v2
	s_or_b64 s[12:13], s[0:1], s[12:13]
	v_add_co_u32_e64 v14, s[0:1], 8, v14
	v_add_u32_e32 v5, 32, v5
	v_add_u32_e32 v31, 0x80, v31
	v_addc_co_u32_e64 v15, s[0:1], 0, v15, s[0:1]
	s_andn2_b64 exec, exec, s[12:13]
	s_cbranch_execz .LBB291_425
.LBB291_224:                            ; =>This Inner Loop Header: Depth=1
	global_load_dword v6, v[14:15], off
	ds_read2_b64 v[18:21], v31 offset1:1
	ds_read2_b64 v[24:27], v31 offset0:2 offset1:3
	s_waitcnt lgkmcnt(1)
	;;#ASMSTART
	v_cvt_f16_f32 v23, v18;

	;;#ASMEND
	;;#ASMSTART
	v_cvt_f16_f32 v32, v19;

	;;#ASMEND
	;; [unrolled: 4-line block ×4, first 2 shown]
	s_waitcnt lgkmcnt(0)
	;;#ASMSTART
	v_cvt_f16_f32 v36, v24;

	;;#ASMEND
	;;#ASMSTART
	v_cvt_f16_f32 v37, v25;

	;;#ASMEND
	;; [unrolled: 4-line block ×4, first 2 shown]
	v_mov_b32_e32 v24, 0
	s_waitcnt vmcnt(0)
	v_mad_i64_i32 v[18:19], s[0:1], v6, s5, v[16:17]
	v_add_co_u32_e64 v20, s[0:1], v18, v4
	v_addc_co_u32_e64 v21, s[0:1], 0, v19, s[0:1]
	global_load_dwordx2 v[26:27], v[20:21], off
	global_load_dword v22, v7, s[14:15]
	s_waitcnt vmcnt(1)
	v_cmp_ne_u16_sdwa s[0:1], v26, v7 src0_sel:BYTE_0 src1_sel:DWORD
	s_and_saveexec_b64 s[2:3], s[0:1]
	s_cbranch_execz .LBB291_230
; %bb.225:                              ;   in Loop: Header=BB291_224 Depth=1
	v_cmp_ne_u16_sdwa s[0:1], v26, s30 src0_sel:BYTE_0 src1_sel:DWORD
	v_bfrev_b32_e32 v24, 1
	s_and_saveexec_b64 s[16:17], s[0:1]
	s_cbranch_execz .LBB291_229
; %bb.226:                              ;   in Loop: Header=BB291_224 Depth=1
	v_and_b32_e32 v6, 0x7f, v26
	v_cmp_ne_u32_e64 s[0:1], s31, v6
	v_mov_b32_e32 v24, 0x7fc02000
	s_and_saveexec_b64 s[18:19], s[0:1]
	s_cbranch_execz .LBB291_228
; %bb.227:                              ;   in Loop: Header=BB291_224 Depth=1
	v_and_b32_e32 v24, 7, v26
	v_ffbh_u32_e32 v24, v24
	v_min_u32_e32 v24, 32, v24
	v_subrev_u32_e32 v25, 28, v24
	v_cmp_gt_u32_e64 s[0:1], 8, v6
	v_lshrrev_b32_e32 v28, 3, v6
	v_sub_u32_e32 v29, 29, v24
	v_cndmask_b32_e64 v6, 0, v25, s[0:1]
	v_lshlrev_b64 v[24:25], v6, v[26:27]
	v_cndmask_b32_e64 v6, v28, v29, s[0:1]
	v_lshlrev_b32_e32 v25, 8, v26
	v_lshl_add_u32 v6, v6, 10, v3
	v_lshlrev_b32_e32 v24, 7, v24
	v_and_or_b32 v6, v25, s34, v6
	v_and_or_b32 v6, v24, s35, v6
	v_cvt_f32_f16_e32 v24, v6
.LBB291_228:                            ;   in Loop: Header=BB291_224 Depth=1
	s_or_b64 exec, exec, s[18:19]
.LBB291_229:                            ;   in Loop: Header=BB291_224 Depth=1
	s_or_b64 exec, exec, s[16:17]
.LBB291_230:                            ;   in Loop: Header=BB291_224 Depth=1
	s_or_b64 exec, exec, s[2:3]
	v_lshrrev_b16_e32 v6, 8, v26
	v_cmp_ne_u16_e64 s[0:1], 0, v6
	v_mov_b32_e32 v25, 0
	v_mov_b32_e32 v28, 0
	s_and_saveexec_b64 s[2:3], s[0:1]
	s_cbranch_execz .LBB291_236
; %bb.231:                              ;   in Loop: Header=BB291_224 Depth=1
	v_cmp_ne_u16_e64 s[0:1], s30, v6
	v_bfrev_b32_e32 v28, 1
	s_and_saveexec_b64 s[16:17], s[0:1]
	s_cbranch_execz .LBB291_235
; %bb.232:                              ;   in Loop: Header=BB291_224 Depth=1
	v_and_b32_e32 v29, 0x7f, v6
	v_cmp_ne_u32_e64 s[0:1], s31, v29
	v_mov_b32_e32 v28, 0x7fc02000
	s_and_saveexec_b64 s[18:19], s[0:1]
	s_cbranch_execz .LBB291_234
; %bb.233:                              ;   in Loop: Header=BB291_224 Depth=1
	v_and_b32_e32 v28, 7, v6
	v_ffbh_u32_e32 v40, v28
	v_min_u32_e32 v42, 32, v40
	v_subrev_u32_e32 v40, 28, v42
	v_lshlrev_b64 v[40:41], v40, v[6:7]
	v_lshrrev_b32_e32 v35, 3, v29
	v_sub_u32_e32 v41, 29, v42
	v_cmp_gt_u32_e64 s[0:1], 8, v29
	v_cndmask_b32_e64 v29, v35, v41, s[0:1]
	v_and_b32_e32 v40, 7, v40
	v_lshlrev_b32_e32 v6, 8, v6
	v_lshl_add_u32 v29, v29, 10, v3
	v_cndmask_b32_e64 v28, v28, v40, s[0:1]
	v_and_or_b32 v6, v6, s34, v29
	v_lshl_or_b32 v6, v28, 7, v6
	v_cvt_f32_f16_e32 v28, v6
.LBB291_234:                            ;   in Loop: Header=BB291_224 Depth=1
	s_or_b64 exec, exec, s[18:19]
.LBB291_235:                            ;   in Loop: Header=BB291_224 Depth=1
	s_or_b64 exec, exec, s[16:17]
.LBB291_236:                            ;   in Loop: Header=BB291_224 Depth=1
	s_or_b64 exec, exec, s[2:3]
	v_lshrrev_b32_e32 v6, 16, v26
	v_cmp_ne_u16_sdwa s[0:1], v6, v7 src0_sel:BYTE_0 src1_sel:DWORD
	s_and_saveexec_b64 s[2:3], s[0:1]
	s_cbranch_execz .LBB291_242
; %bb.237:                              ;   in Loop: Header=BB291_224 Depth=1
	v_cmp_ne_u16_sdwa s[0:1], v6, s30 src0_sel:BYTE_0 src1_sel:DWORD
	v_bfrev_b32_e32 v25, 1
	s_and_saveexec_b64 s[16:17], s[0:1]
	s_cbranch_execz .LBB291_241
; %bb.238:                              ;   in Loop: Header=BB291_224 Depth=1
	v_bfe_u32 v29, v26, 16, 7
	v_cmp_ne_u32_e64 s[0:1], s31, v29
	v_mov_b32_e32 v25, 0x7fc02000
	s_and_saveexec_b64 s[18:19], s[0:1]
	s_cbranch_execz .LBB291_240
; %bb.239:                              ;   in Loop: Header=BB291_224 Depth=1
	v_and_b32_e32 v25, 7, v6
	v_ffbh_u32_e32 v40, v25
	v_min_u32_e32 v42, 32, v40
	v_subrev_u32_e32 v40, 28, v42
	v_lshlrev_b64 v[40:41], v40, v[6:7]
	v_lshrrev_b32_e32 v35, 3, v29
	v_sub_u32_e32 v41, 29, v42
	v_cmp_gt_u32_e64 s[0:1], 8, v29
	v_cndmask_b32_e64 v29, v35, v41, s[0:1]
	v_and_b32_e32 v40, 7, v40
	v_lshlrev_b32_e32 v6, 8, v6
	v_lshl_add_u32 v29, v29, 10, v3
	v_cndmask_b32_e64 v25, v25, v40, s[0:1]
	v_and_or_b32 v6, v6, s34, v29
	v_lshl_or_b32 v6, v25, 7, v6
	v_cvt_f32_f16_e32 v25, v6
.LBB291_240:                            ;   in Loop: Header=BB291_224 Depth=1
	s_or_b64 exec, exec, s[18:19]
.LBB291_241:                            ;   in Loop: Header=BB291_224 Depth=1
	s_or_b64 exec, exec, s[16:17]
.LBB291_242:                            ;   in Loop: Header=BB291_224 Depth=1
	s_or_b64 exec, exec, s[2:3]
	v_cmp_lt_u32_e64 s[0:1], s11, v26
	v_mov_b32_e32 v35, 0
	v_mov_b32_e32 v29, 0
	s_and_saveexec_b64 s[2:3], s[0:1]
	s_cbranch_execz .LBB291_248
; %bb.243:                              ;   in Loop: Header=BB291_224 Depth=1
	v_lshrrev_b32_e32 v6, 24, v26
	v_cmp_ne_u32_e64 s[0:1], s30, v6
	v_bfrev_b32_e32 v29, 1
	s_and_saveexec_b64 s[16:17], s[0:1]
	s_cbranch_execz .LBB291_247
; %bb.244:                              ;   in Loop: Header=BB291_224 Depth=1
	v_and_b32_e32 v40, 0x7f, v6
	v_cmp_ne_u32_e64 s[0:1], s31, v40
	v_mov_b32_e32 v29, 0x7fc02000
	s_and_saveexec_b64 s[18:19], s[0:1]
	s_cbranch_execz .LBB291_246
; %bb.245:                              ;   in Loop: Header=BB291_224 Depth=1
	v_and_b32_e32 v29, 7, v6
	v_ffbh_u32_e32 v42, v29
	v_min_u32_e32 v44, 32, v42
	v_subrev_u32_e32 v42, 28, v44
	v_lshlrev_b64 v[42:43], v42, v[6:7]
	v_lshrrev_b32_e32 v41, 3, v40
	v_sub_u32_e32 v43, 29, v44
	v_cmp_gt_u32_e64 s[0:1], 8, v40
	v_cndmask_b32_e64 v40, v41, v43, s[0:1]
	v_and_b32_e32 v42, 7, v42
	v_lshlrev_b32_e32 v6, 8, v6
	v_lshl_add_u32 v40, v40, 10, v3
	v_cndmask_b32_e64 v29, v29, v42, s[0:1]
	v_and_or_b32 v6, v6, s34, v40
	v_lshl_or_b32 v6, v29, 7, v6
	v_cvt_f32_f16_e32 v29, v6
.LBB291_246:                            ;   in Loop: Header=BB291_224 Depth=1
	s_or_b64 exec, exec, s[18:19]
.LBB291_247:                            ;   in Loop: Header=BB291_224 Depth=1
	s_or_b64 exec, exec, s[16:17]
.LBB291_248:                            ;   in Loop: Header=BB291_224 Depth=1
	s_or_b64 exec, exec, s[2:3]
	v_mov_b32_e32 v6, v27
	v_cmp_ne_u16_sdwa s[0:1], v27, v7 src0_sel:BYTE_0 src1_sel:DWORD
	s_and_saveexec_b64 s[2:3], s[0:1]
	s_cbranch_execz .LBB291_254
; %bb.249:                              ;   in Loop: Header=BB291_224 Depth=1
	v_cmp_ne_u16_sdwa s[0:1], v27, s30 src0_sel:BYTE_0 src1_sel:DWORD
	v_bfrev_b32_e32 v35, 1
	s_and_saveexec_b64 s[16:17], s[0:1]
	s_cbranch_execz .LBB291_253
; %bb.250:                              ;   in Loop: Header=BB291_224 Depth=1
	v_and_b32_e32 v40, 0x7f, v27
	v_cmp_ne_u32_e64 s[0:1], s31, v40
	v_mov_b32_e32 v35, 0x7fc02000
	s_and_saveexec_b64 s[18:19], s[0:1]
	s_cbranch_execz .LBB291_252
; %bb.251:                              ;   in Loop: Header=BB291_224 Depth=1
	v_and_b32_e32 v35, 7, v27
	v_ffbh_u32_e32 v35, v35
	v_min_u32_e32 v35, 32, v35
	v_subrev_u32_e32 v41, 28, v35
	v_cmp_gt_u32_e64 s[0:1], 8, v40
	v_lshrrev_b32_e32 v42, 3, v40
	v_sub_u32_e32 v35, 29, v35
	v_cndmask_b32_e64 v40, 0, v41, s[0:1]
	v_lshlrev_b64 v[40:41], v40, v[6:7]
	v_cndmask_b32_e64 v35, v42, v35, s[0:1]
	v_lshlrev_b32_e32 v41, 8, v27
	v_lshl_add_u32 v35, v35, 10, v3
	v_lshlrev_b32_e32 v40, 7, v40
	v_and_or_b32 v35, v41, s34, v35
	v_and_or_b32 v35, v40, s35, v35
	v_cvt_f32_f16_e32 v35, v35
.LBB291_252:                            ;   in Loop: Header=BB291_224 Depth=1
	s_or_b64 exec, exec, s[18:19]
.LBB291_253:                            ;   in Loop: Header=BB291_224 Depth=1
	s_or_b64 exec, exec, s[16:17]
.LBB291_254:                            ;   in Loop: Header=BB291_224 Depth=1
	s_or_b64 exec, exec, s[2:3]
	v_lshrrev_b16_e32 v6, 8, v6
	v_cmp_ne_u16_e64 s[0:1], 0, v6
	v_mov_b32_e32 v40, 0
	v_mov_b32_e32 v41, 0
	s_and_saveexec_b64 s[2:3], s[0:1]
	s_cbranch_execz .LBB291_260
; %bb.255:                              ;   in Loop: Header=BB291_224 Depth=1
	v_cmp_ne_u16_e64 s[0:1], s30, v6
	v_bfrev_b32_e32 v41, 1
	s_and_saveexec_b64 s[16:17], s[0:1]
	s_cbranch_execz .LBB291_259
; %bb.256:                              ;   in Loop: Header=BB291_224 Depth=1
	v_and_b32_e32 v42, 0x7f, v6
	v_cmp_ne_u32_e64 s[0:1], s31, v42
	v_mov_b32_e32 v41, 0x7fc02000
	s_and_saveexec_b64 s[18:19], s[0:1]
	s_cbranch_execz .LBB291_258
; %bb.257:                              ;   in Loop: Header=BB291_224 Depth=1
	v_and_b32_e32 v41, 7, v6
	v_ffbh_u32_e32 v44, v41
	v_min_u32_e32 v46, 32, v44
	v_subrev_u32_e32 v44, 28, v46
	v_lshlrev_b64 v[44:45], v44, v[6:7]
	v_lshrrev_b32_e32 v43, 3, v42
	v_sub_u32_e32 v45, 29, v46
	v_cmp_gt_u32_e64 s[0:1], 8, v42
	v_cndmask_b32_e64 v42, v43, v45, s[0:1]
	v_and_b32_e32 v44, 7, v44
	v_lshlrev_b32_e32 v6, 8, v6
	v_lshl_add_u32 v42, v42, 10, v3
	v_cndmask_b32_e64 v41, v41, v44, s[0:1]
	v_and_or_b32 v6, v6, s34, v42
	v_lshl_or_b32 v6, v41, 7, v6
	v_cvt_f32_f16_e32 v41, v6
.LBB291_258:                            ;   in Loop: Header=BB291_224 Depth=1
	s_or_b64 exec, exec, s[18:19]
.LBB291_259:                            ;   in Loop: Header=BB291_224 Depth=1
	s_or_b64 exec, exec, s[16:17]
.LBB291_260:                            ;   in Loop: Header=BB291_224 Depth=1
	s_or_b64 exec, exec, s[2:3]
	v_lshrrev_b32_e32 v6, 16, v27
	v_cmp_ne_u16_sdwa s[0:1], v6, v7 src0_sel:BYTE_0 src1_sel:DWORD
	s_and_saveexec_b64 s[2:3], s[0:1]
	s_cbranch_execz .LBB291_266
; %bb.261:                              ;   in Loop: Header=BB291_224 Depth=1
	v_cmp_ne_u16_sdwa s[0:1], v6, s30 src0_sel:BYTE_0 src1_sel:DWORD
	v_bfrev_b32_e32 v40, 1
	s_and_saveexec_b64 s[16:17], s[0:1]
	s_cbranch_execz .LBB291_265
; %bb.262:                              ;   in Loop: Header=BB291_224 Depth=1
	v_bfe_u32 v42, v27, 16, 7
	v_cmp_ne_u32_e64 s[0:1], s31, v42
	v_mov_b32_e32 v40, 0x7fc02000
	s_and_saveexec_b64 s[18:19], s[0:1]
	s_cbranch_execz .LBB291_264
; %bb.263:                              ;   in Loop: Header=BB291_224 Depth=1
	v_and_b32_e32 v40, 7, v6
	v_ffbh_u32_e32 v44, v40
	v_min_u32_e32 v46, 32, v44
	v_subrev_u32_e32 v44, 28, v46
	v_lshlrev_b64 v[44:45], v44, v[6:7]
	v_lshrrev_b32_e32 v43, 3, v42
	v_sub_u32_e32 v45, 29, v46
	v_cmp_gt_u32_e64 s[0:1], 8, v42
	v_cndmask_b32_e64 v42, v43, v45, s[0:1]
	v_and_b32_e32 v44, 7, v44
	v_lshlrev_b32_e32 v6, 8, v6
	v_lshl_add_u32 v42, v42, 10, v3
	v_cndmask_b32_e64 v40, v40, v44, s[0:1]
	v_and_or_b32 v6, v6, s34, v42
	v_lshl_or_b32 v6, v40, 7, v6
	v_cvt_f32_f16_e32 v40, v6
.LBB291_264:                            ;   in Loop: Header=BB291_224 Depth=1
	s_or_b64 exec, exec, s[18:19]
.LBB291_265:                            ;   in Loop: Header=BB291_224 Depth=1
	s_or_b64 exec, exec, s[16:17]
.LBB291_266:                            ;   in Loop: Header=BB291_224 Depth=1
	s_or_b64 exec, exec, s[2:3]
	v_cmp_lt_u64_e64 s[0:1], s[10:11], v[26:27]
	v_mov_b32_e32 v26, 0
	s_and_saveexec_b64 s[2:3], s[0:1]
	s_cbranch_execz .LBB291_272
; %bb.267:                              ;   in Loop: Header=BB291_224 Depth=1
	v_lshrrev_b32_e32 v6, 24, v27
	v_cmp_ne_u32_e64 s[0:1], s30, v6
	v_bfrev_b32_e32 v26, 1
	s_and_saveexec_b64 s[16:17], s[0:1]
	s_cbranch_execz .LBB291_271
; %bb.268:                              ;   in Loop: Header=BB291_224 Depth=1
	v_and_b32_e32 v27, 0x7f, v6
	v_cmp_ne_u32_e64 s[0:1], s31, v27
	v_mov_b32_e32 v26, 0x7fc02000
	s_and_saveexec_b64 s[18:19], s[0:1]
	s_cbranch_execz .LBB291_270
; %bb.269:                              ;   in Loop: Header=BB291_224 Depth=1
	v_and_b32_e32 v26, 7, v6
	v_ffbh_u32_e32 v42, v26
	v_min_u32_e32 v45, 32, v42
	v_subrev_u32_e32 v42, 28, v45
	v_lshlrev_b64 v[42:43], v42, v[6:7]
	v_lshrrev_b32_e32 v44, 3, v27
	v_sub_u32_e32 v43, 29, v45
	v_cmp_gt_u32_e64 s[0:1], 8, v27
	v_cndmask_b32_e64 v27, v44, v43, s[0:1]
	v_and_b32_e32 v42, 7, v42
	v_lshlrev_b32_e32 v6, 8, v6
	v_lshl_add_u32 v27, v27, 10, v3
	v_cndmask_b32_e64 v26, v26, v42, s[0:1]
	v_and_or_b32 v6, v6, s34, v27
	v_lshl_or_b32 v6, v26, 7, v6
	v_cvt_f32_f16_e32 v26, v6
.LBB291_270:                            ;   in Loop: Header=BB291_224 Depth=1
	s_or_b64 exec, exec, s[18:19]
.LBB291_271:                            ;   in Loop: Header=BB291_224 Depth=1
	s_or_b64 exec, exec, s[16:17]
.LBB291_272:                            ;   in Loop: Header=BB291_224 Depth=1
	s_or_b64 exec, exec, s[2:3]
	s_waitcnt vmcnt(0)
	v_pk_mul_f32 v[28:29], v[22:23], v[28:29] op_sel_hi:[0,1]
	v_pk_mul_f32 v[24:25], v[22:23], v[24:25] op_sel_hi:[0,1]
	v_cvt_f16_f32_e32 v6, v29
	v_cvt_f16_f32_e32 v27, v28
	;; [unrolled: 1-line block ×4, first 2 shown]
	v_cmp_eq_u32_e64 s[0:1], s9, v2
	v_pack_b32_f16 v27, v27, v6
	v_pack_b32_f16 v24, v24, v25
	v_fma_mixlo_f16 v25, v22, v41, 0
	v_perm_b32 v6, v24, v27, s36
	v_perm_b32 v24, v24, v27, s37
	v_lshlrev_b32_e32 v25, 16, v25
	v_fma_mixlo_f16 v27, v22, v35, 0
	v_or_b32_sdwa v25, v25, v27 dst_sel:DWORD dst_unused:UNUSED_PAD src0_sel:DWORD src1_sel:WORD_0
	v_fma_mixlo_f16 v27, v22, v40, 0
	v_fma_mixlo_f16 v22, v22, v26, 0
	v_lshlrev_b32_e32 v22, 16, v22
	v_or_b32_sdwa v22, v22, v27 dst_sel:DWORD dst_unused:UNUSED_PAD src0_sel:DWORD src1_sel:WORD_0
	s_and_saveexec_b64 s[16:17], s[0:1]
	s_cbranch_execz .LBB291_274
; %bb.273:                              ;   in Loop: Header=BB291_224 Depth=1
	v_add_u32_e32 v26, 1, v5
	v_lshrrev_b32_e32 v28, 16, v24
	v_cmp_gt_i32_e64 s[2:3], s28, v26
	v_cndmask_b32_e64 v26, 0, v28, s[2:3]
	v_cmp_gt_i32_e64 s[2:3], s29, v5
	v_cndmask_b32_e64 v24, 0, v24, s[2:3]
	v_perm_b32 v24, v26, v24, s38
	v_or_b32_e32 v26, 3, v5
	v_or_b32_e32 v28, 2, v5
	v_lshrrev_b32_e32 v29, 16, v6
	v_cmp_gt_i32_e64 s[2:3], s28, v26
	v_cndmask_b32_e64 v26, 0, v29, s[2:3]
	v_cmp_gt_i32_e64 s[2:3], s29, v28
	v_cndmask_b32_e64 v6, 0, v6, s[2:3]
	v_perm_b32 v6, v26, v6, s38
	v_or_b32_e32 v26, 5, v5
	v_or_b32_e32 v28, 4, v5
	v_lshrrev_b32_e32 v29, 16, v25
	v_cmp_gt_i32_e64 s[2:3], s28, v26
	v_cndmask_b32_e64 v26, 0, v29, s[2:3]
	v_cmp_gt_i32_e64 s[2:3], s29, v28
	v_cndmask_b32_e64 v25, 0, v25, s[2:3]
	v_perm_b32 v25, v26, v25, s38
	v_or_b32_e32 v26, 7, v5
	v_or_b32_e32 v28, 6, v5
	v_lshrrev_b32_e32 v22, 16, v22
	v_cmp_gt_i32_e64 s[2:3], s28, v26
	v_cndmask_b32_e64 v22, 0, v22, s[2:3]
	v_cmp_gt_i32_e64 s[2:3], s29, v28
	v_cndmask_b32_e64 v26, 0, v27, s[2:3]
	v_perm_b32 v22, v22, v26, s38
.LBB291_274:                            ;   in Loop: Header=BB291_224 Depth=1
	s_or_b64 exec, exec, s[16:17]
	v_and_b32_e32 v23, 0xffff, v23
	v_lshl_or_b32 v35, v32, 16, v23
	v_and_b32_e32 v23, 0xffff, v33
	v_lshl_or_b32 v34, v34, 16, v23
	;; [unrolled: 2-line block ×4, first 2 shown]
	;;#ASMSTART
	v_pk_mul_f16 v23, v35, v24;

	;;#ASMEND
	;;#ASMSTART
	v_pk_mul_f16 v6, v34, v6;

	;;#ASMEND
	;;#ASMSTART
	v_pk_mul_f16 v24, v33, v25;

	;;#ASMEND
	;;#ASMSTART
	v_pk_mul_f16 v22, v32, v22;

	;;#ASMEND
	;;#ASMSTART
	v_pk_add_f16 v6, v23, v6;

	;;#ASMEND
	;;#ASMSTART
	v_pk_add_f16 v6, v6, v24;

	;;#ASMEND
	;; [unrolled: 4-line block ×3, first 2 shown]
	v_lshrrev_b32_e32 v22, 16, v6
	v_and_b32_e32 v6, 0xffff, v6
	;;#ASMSTART
	v_cvt_f32_f16 v23, v6;
	;;#ASMEND
	;;#ASMSTART
	v_cvt_f32_f16 v36, v22;
	;;#ASMEND
	global_load_dwordx2 v[28:29], v[20:21], off offset:512
	global_load_dword v22, v7, s[14:15]
	v_mov_b32_e32 v26, 0
	v_mov_b32_e32 v24, 0
	s_waitcnt vmcnt(1)
	v_cmp_ne_u16_sdwa s[2:3], v28, v7 src0_sel:BYTE_0 src1_sel:DWORD
	s_and_saveexec_b64 s[16:17], s[2:3]
	s_cbranch_execz .LBB291_280
; %bb.275:                              ;   in Loop: Header=BB291_224 Depth=1
	v_cmp_ne_u16_sdwa s[2:3], v28, s30 src0_sel:BYTE_0 src1_sel:DWORD
	v_bfrev_b32_e32 v24, 1
	s_and_saveexec_b64 s[18:19], s[2:3]
	s_cbranch_execz .LBB291_279
; %bb.276:                              ;   in Loop: Header=BB291_224 Depth=1
	v_and_b32_e32 v6, 0x7f, v28
	v_cmp_ne_u32_e64 s[2:3], s31, v6
	v_mov_b32_e32 v24, 0x7fc02000
	s_and_saveexec_b64 s[20:21], s[2:3]
	s_cbranch_execz .LBB291_278
; %bb.277:                              ;   in Loop: Header=BB291_224 Depth=1
	v_and_b32_e32 v24, 7, v28
	v_ffbh_u32_e32 v24, v24
	v_min_u32_e32 v24, 32, v24
	v_subrev_u32_e32 v25, 28, v24
	v_cmp_gt_u32_e64 s[2:3], 8, v6
	v_lshrrev_b32_e32 v27, 3, v6
	v_sub_u32_e32 v37, 29, v24
	v_cndmask_b32_e64 v6, 0, v25, s[2:3]
	v_lshlrev_b64 v[24:25], v6, v[28:29]
	v_cndmask_b32_e64 v6, v27, v37, s[2:3]
	v_lshlrev_b32_e32 v25, 8, v28
	v_lshl_add_u32 v6, v6, 10, v3
	v_lshlrev_b32_e32 v24, 7, v24
	v_and_or_b32 v6, v25, s34, v6
	v_and_or_b32 v6, v24, s35, v6
	v_cvt_f32_f16_e32 v24, v6
.LBB291_278:                            ;   in Loop: Header=BB291_224 Depth=1
	s_or_b64 exec, exec, s[20:21]
.LBB291_279:                            ;   in Loop: Header=BB291_224 Depth=1
	s_or_b64 exec, exec, s[18:19]
.LBB291_280:                            ;   in Loop: Header=BB291_224 Depth=1
	s_or_b64 exec, exec, s[16:17]
	v_lshrrev_b16_e32 v6, 8, v28
	v_cmp_ne_u16_e64 s[2:3], 0, v6
	s_and_saveexec_b64 s[16:17], s[2:3]
	s_cbranch_execz .LBB291_286
; %bb.281:                              ;   in Loop: Header=BB291_224 Depth=1
	v_cmp_ne_u16_e64 s[2:3], s30, v6
	v_bfrev_b32_e32 v26, 1
	s_and_saveexec_b64 s[18:19], s[2:3]
	s_cbranch_execz .LBB291_285
; %bb.282:                              ;   in Loop: Header=BB291_224 Depth=1
	v_and_b32_e32 v25, 0x7f, v6
	v_cmp_ne_u32_e64 s[2:3], s31, v25
	v_mov_b32_e32 v26, 0x7fc02000
	s_and_saveexec_b64 s[20:21], s[2:3]
	s_cbranch_execz .LBB291_284
; %bb.283:                              ;   in Loop: Header=BB291_224 Depth=1
	v_and_b32_e32 v37, 7, v6
	v_ffbh_u32_e32 v26, v37
	v_min_u32_e32 v39, 32, v26
	v_subrev_u32_e32 v26, 28, v39
	v_lshlrev_b64 v[26:27], v26, v[6:7]
	v_lshrrev_b32_e32 v38, 3, v25
	v_sub_u32_e32 v27, 29, v39
	v_cmp_gt_u32_e64 s[2:3], 8, v25
	v_cndmask_b32_e64 v25, v38, v27, s[2:3]
	v_and_b32_e32 v26, 7, v26
	v_lshlrev_b32_e32 v6, 8, v6
	v_lshl_add_u32 v25, v25, 10, v3
	v_cndmask_b32_e64 v26, v37, v26, s[2:3]
	v_and_or_b32 v6, v6, s34, v25
	v_lshl_or_b32 v6, v26, 7, v6
	v_cvt_f32_f16_e32 v26, v6
.LBB291_284:                            ;   in Loop: Header=BB291_224 Depth=1
	s_or_b64 exec, exec, s[20:21]
.LBB291_285:                            ;   in Loop: Header=BB291_224 Depth=1
	s_or_b64 exec, exec, s[18:19]
.LBB291_286:                            ;   in Loop: Header=BB291_224 Depth=1
	s_or_b64 exec, exec, s[16:17]
	v_lshrrev_b32_e32 v6, 16, v28
	v_cmp_ne_u16_sdwa s[2:3], v6, v7 src0_sel:BYTE_0 src1_sel:DWORD
	v_mov_b32_e32 v27, 0
	v_mov_b32_e32 v25, 0
	s_and_saveexec_b64 s[16:17], s[2:3]
	s_cbranch_execz .LBB291_292
; %bb.287:                              ;   in Loop: Header=BB291_224 Depth=1
	v_cmp_ne_u16_sdwa s[2:3], v6, s30 src0_sel:BYTE_0 src1_sel:DWORD
	v_bfrev_b32_e32 v25, 1
	s_and_saveexec_b64 s[18:19], s[2:3]
	s_cbranch_execz .LBB291_291
; %bb.288:                              ;   in Loop: Header=BB291_224 Depth=1
	v_bfe_u32 v37, v28, 16, 7
	v_cmp_ne_u32_e64 s[2:3], s31, v37
	v_mov_b32_e32 v25, 0x7fc02000
	s_and_saveexec_b64 s[20:21], s[2:3]
	s_cbranch_execz .LBB291_290
; %bb.289:                              ;   in Loop: Header=BB291_224 Depth=1
	v_and_b32_e32 v25, 7, v6
	v_ffbh_u32_e32 v38, v25
	v_min_u32_e32 v41, 32, v38
	v_subrev_u32_e32 v38, 28, v41
	v_lshlrev_b64 v[38:39], v38, v[6:7]
	v_lshrrev_b32_e32 v40, 3, v37
	v_sub_u32_e32 v39, 29, v41
	v_cmp_gt_u32_e64 s[2:3], 8, v37
	v_cndmask_b32_e64 v37, v40, v39, s[2:3]
	v_and_b32_e32 v38, 7, v38
	v_lshlrev_b32_e32 v6, 8, v6
	v_lshl_add_u32 v37, v37, 10, v3
	v_cndmask_b32_e64 v25, v25, v38, s[2:3]
	v_and_or_b32 v6, v6, s34, v37
	v_lshl_or_b32 v6, v25, 7, v6
	v_cvt_f32_f16_e32 v25, v6
.LBB291_290:                            ;   in Loop: Header=BB291_224 Depth=1
	s_or_b64 exec, exec, s[20:21]
.LBB291_291:                            ;   in Loop: Header=BB291_224 Depth=1
	s_or_b64 exec, exec, s[18:19]
.LBB291_292:                            ;   in Loop: Header=BB291_224 Depth=1
	s_or_b64 exec, exec, s[16:17]
	v_cmp_lt_u32_e64 s[2:3], s11, v28
	s_and_saveexec_b64 s[16:17], s[2:3]
	s_cbranch_execz .LBB291_298
; %bb.293:                              ;   in Loop: Header=BB291_224 Depth=1
	v_lshrrev_b32_e32 v6, 24, v28
	v_cmp_ne_u32_e64 s[2:3], s30, v6
	v_bfrev_b32_e32 v27, 1
	s_and_saveexec_b64 s[18:19], s[2:3]
	s_cbranch_execz .LBB291_297
; %bb.294:                              ;   in Loop: Header=BB291_224 Depth=1
	v_and_b32_e32 v37, 0x7f, v6
	v_cmp_ne_u32_e64 s[2:3], s31, v37
	v_mov_b32_e32 v27, 0x7fc02000
	s_and_saveexec_b64 s[20:21], s[2:3]
	s_cbranch_execz .LBB291_296
; %bb.295:                              ;   in Loop: Header=BB291_224 Depth=1
	v_and_b32_e32 v27, 7, v6
	v_ffbh_u32_e32 v38, v27
	v_min_u32_e32 v41, 32, v38
	v_subrev_u32_e32 v38, 28, v41
	v_lshlrev_b64 v[38:39], v38, v[6:7]
	v_lshrrev_b32_e32 v40, 3, v37
	v_sub_u32_e32 v39, 29, v41
	v_cmp_gt_u32_e64 s[2:3], 8, v37
	v_cndmask_b32_e64 v37, v40, v39, s[2:3]
	v_and_b32_e32 v38, 7, v38
	v_lshlrev_b32_e32 v6, 8, v6
	v_lshl_add_u32 v37, v37, 10, v3
	v_cndmask_b32_e64 v27, v27, v38, s[2:3]
	v_and_or_b32 v6, v6, s34, v37
	v_lshl_or_b32 v6, v27, 7, v6
	v_cvt_f32_f16_e32 v27, v6
.LBB291_296:                            ;   in Loop: Header=BB291_224 Depth=1
	s_or_b64 exec, exec, s[20:21]
.LBB291_297:                            ;   in Loop: Header=BB291_224 Depth=1
	s_or_b64 exec, exec, s[18:19]
.LBB291_298:                            ;   in Loop: Header=BB291_224 Depth=1
	s_or_b64 exec, exec, s[16:17]
	v_mov_b32_e32 v6, v29
	v_cmp_ne_u16_sdwa s[2:3], v29, v7 src0_sel:BYTE_0 src1_sel:DWORD
	v_mov_b32_e32 v38, 0
	v_mov_b32_e32 v37, 0
	s_and_saveexec_b64 s[16:17], s[2:3]
	s_cbranch_execz .LBB291_304
; %bb.299:                              ;   in Loop: Header=BB291_224 Depth=1
	v_cmp_ne_u16_sdwa s[2:3], v29, s30 src0_sel:BYTE_0 src1_sel:DWORD
	v_bfrev_b32_e32 v37, 1
	s_and_saveexec_b64 s[18:19], s[2:3]
	s_cbranch_execz .LBB291_303
; %bb.300:                              ;   in Loop: Header=BB291_224 Depth=1
	v_and_b32_e32 v39, 0x7f, v29
	v_cmp_ne_u32_e64 s[2:3], s31, v39
	v_mov_b32_e32 v37, 0x7fc02000
	s_and_saveexec_b64 s[20:21], s[2:3]
	s_cbranch_execz .LBB291_302
; %bb.301:                              ;   in Loop: Header=BB291_224 Depth=1
	v_and_b32_e32 v37, 7, v29
	v_ffbh_u32_e32 v37, v37
	v_min_u32_e32 v37, 32, v37
	v_subrev_u32_e32 v40, 28, v37
	v_cmp_gt_u32_e64 s[2:3], 8, v39
	v_lshrrev_b32_e32 v42, 3, v39
	v_sub_u32_e32 v37, 29, v37
	v_cndmask_b32_e64 v39, 0, v40, s[2:3]
	v_lshlrev_b64 v[40:41], v39, v[6:7]
	v_cndmask_b32_e64 v37, v42, v37, s[2:3]
	v_lshlrev_b32_e32 v39, 7, v40
	v_lshlrev_b32_e32 v40, 8, v29
	v_lshl_add_u32 v37, v37, 10, v3
	v_and_or_b32 v37, v40, s34, v37
	v_and_or_b32 v37, v39, s35, v37
	v_cvt_f32_f16_e32 v37, v37
.LBB291_302:                            ;   in Loop: Header=BB291_224 Depth=1
	s_or_b64 exec, exec, s[20:21]
.LBB291_303:                            ;   in Loop: Header=BB291_224 Depth=1
	s_or_b64 exec, exec, s[18:19]
.LBB291_304:                            ;   in Loop: Header=BB291_224 Depth=1
	s_or_b64 exec, exec, s[16:17]
	v_lshrrev_b16_e32 v6, 8, v6
	v_cmp_ne_u16_e64 s[2:3], 0, v6
	s_and_saveexec_b64 s[16:17], s[2:3]
	s_cbranch_execz .LBB291_310
; %bb.305:                              ;   in Loop: Header=BB291_224 Depth=1
	v_cmp_ne_u16_e64 s[2:3], s30, v6
	v_bfrev_b32_e32 v38, 1
	s_and_saveexec_b64 s[18:19], s[2:3]
	s_cbranch_execz .LBB291_309
; %bb.306:                              ;   in Loop: Header=BB291_224 Depth=1
	v_and_b32_e32 v39, 0x7f, v6
	v_cmp_ne_u32_e64 s[2:3], s31, v39
	v_mov_b32_e32 v38, 0x7fc02000
	s_and_saveexec_b64 s[20:21], s[2:3]
	s_cbranch_execz .LBB291_308
; %bb.307:                              ;   in Loop: Header=BB291_224 Depth=1
	v_and_b32_e32 v38, 7, v6
	v_ffbh_u32_e32 v40, v38
	v_min_u32_e32 v43, 32, v40
	v_subrev_u32_e32 v40, 28, v43
	v_lshlrev_b64 v[40:41], v40, v[6:7]
	v_lshrrev_b32_e32 v42, 3, v39
	v_sub_u32_e32 v41, 29, v43
	v_cmp_gt_u32_e64 s[2:3], 8, v39
	v_cndmask_b32_e64 v39, v42, v41, s[2:3]
	v_and_b32_e32 v40, 7, v40
	v_lshlrev_b32_e32 v6, 8, v6
	v_lshl_add_u32 v39, v39, 10, v3
	v_cndmask_b32_e64 v38, v38, v40, s[2:3]
	v_and_or_b32 v6, v6, s34, v39
	v_lshl_or_b32 v6, v38, 7, v6
	v_cvt_f32_f16_e32 v38, v6
.LBB291_308:                            ;   in Loop: Header=BB291_224 Depth=1
	s_or_b64 exec, exec, s[20:21]
.LBB291_309:                            ;   in Loop: Header=BB291_224 Depth=1
	s_or_b64 exec, exec, s[18:19]
.LBB291_310:                            ;   in Loop: Header=BB291_224 Depth=1
	s_or_b64 exec, exec, s[16:17]
	v_lshrrev_b32_e32 v6, 16, v29
	v_cmp_ne_u16_sdwa s[2:3], v6, v7 src0_sel:BYTE_0 src1_sel:DWORD
	v_mov_b32_e32 v39, 0
	v_mov_b32_e32 v40, 0
	s_and_saveexec_b64 s[16:17], s[2:3]
	s_cbranch_execz .LBB291_316
; %bb.311:                              ;   in Loop: Header=BB291_224 Depth=1
	v_cmp_ne_u16_sdwa s[2:3], v6, s30 src0_sel:BYTE_0 src1_sel:DWORD
	v_bfrev_b32_e32 v40, 1
	s_and_saveexec_b64 s[18:19], s[2:3]
	s_cbranch_execz .LBB291_315
; %bb.312:                              ;   in Loop: Header=BB291_224 Depth=1
	v_bfe_u32 v41, v29, 16, 7
	v_cmp_ne_u32_e64 s[2:3], s31, v41
	v_mov_b32_e32 v40, 0x7fc02000
	s_and_saveexec_b64 s[20:21], s[2:3]
	s_cbranch_execz .LBB291_314
; %bb.313:                              ;   in Loop: Header=BB291_224 Depth=1
	v_and_b32_e32 v40, 7, v6
	v_ffbh_u32_e32 v42, v40
	v_min_u32_e32 v45, 32, v42
	v_subrev_u32_e32 v42, 28, v45
	v_lshlrev_b64 v[42:43], v42, v[6:7]
	v_lshrrev_b32_e32 v44, 3, v41
	v_sub_u32_e32 v43, 29, v45
	v_cmp_gt_u32_e64 s[2:3], 8, v41
	v_cndmask_b32_e64 v41, v44, v43, s[2:3]
	v_and_b32_e32 v42, 7, v42
	v_lshlrev_b32_e32 v6, 8, v6
	v_lshl_add_u32 v41, v41, 10, v3
	v_cndmask_b32_e64 v40, v40, v42, s[2:3]
	v_and_or_b32 v6, v6, s34, v41
	v_lshl_or_b32 v6, v40, 7, v6
	v_cvt_f32_f16_e32 v40, v6
.LBB291_314:                            ;   in Loop: Header=BB291_224 Depth=1
	s_or_b64 exec, exec, s[20:21]
.LBB291_315:                            ;   in Loop: Header=BB291_224 Depth=1
	s_or_b64 exec, exec, s[18:19]
.LBB291_316:                            ;   in Loop: Header=BB291_224 Depth=1
	s_or_b64 exec, exec, s[16:17]
	v_cmp_lt_u64_e64 s[2:3], s[10:11], v[28:29]
	s_and_saveexec_b64 s[16:17], s[2:3]
	s_cbranch_execz .LBB291_322
; %bb.317:                              ;   in Loop: Header=BB291_224 Depth=1
	v_lshrrev_b32_e32 v6, 24, v29
	v_cmp_ne_u32_e64 s[2:3], s30, v6
	v_bfrev_b32_e32 v39, 1
	s_and_saveexec_b64 s[18:19], s[2:3]
	s_cbranch_execz .LBB291_321
; %bb.318:                              ;   in Loop: Header=BB291_224 Depth=1
	v_and_b32_e32 v28, 0x7f, v6
	v_cmp_ne_u32_e64 s[2:3], s31, v28
	v_mov_b32_e32 v39, 0x7fc02000
	s_and_saveexec_b64 s[20:21], s[2:3]
	s_cbranch_execz .LBB291_320
; %bb.319:                              ;   in Loop: Header=BB291_224 Depth=1
	v_and_b32_e32 v29, 7, v6
	v_ffbh_u32_e32 v41, v29
	v_min_u32_e32 v41, 32, v41
	v_lshrrev_b32_e32 v39, 3, v28
	v_subrev_u32_e32 v42, 28, v41
	v_sub_u32_e32 v41, 29, v41
	v_cmp_gt_u32_e64 s[2:3], 8, v28
	v_lshlrev_b64 v[42:43], v42, v[6:7]
	v_cndmask_b32_e64 v28, v39, v41, s[2:3]
	v_and_b32_e32 v42, 7, v42
	v_lshlrev_b32_e32 v6, 8, v6
	v_lshl_add_u32 v28, v28, 10, v3
	v_cndmask_b32_e64 v29, v29, v42, s[2:3]
	v_and_or_b32 v6, v6, s34, v28
	v_lshl_or_b32 v6, v29, 7, v6
	v_cvt_f32_f16_e32 v39, v6
.LBB291_320:                            ;   in Loop: Header=BB291_224 Depth=1
	s_or_b64 exec, exec, s[20:21]
.LBB291_321:                            ;   in Loop: Header=BB291_224 Depth=1
	s_or_b64 exec, exec, s[18:19]
.LBB291_322:                            ;   in Loop: Header=BB291_224 Depth=1
	s_or_b64 exec, exec, s[16:17]
	s_waitcnt vmcnt(0)
	v_pk_mul_f32 v[26:27], v[22:23], v[26:27] op_sel_hi:[0,1]
	v_pk_mul_f32 v[24:25], v[22:23], v[24:25] op_sel_hi:[0,1]
	v_cvt_f16_f32_e32 v6, v27
	v_cvt_f16_f32_e32 v26, v26
	;; [unrolled: 1-line block ×4, first 2 shown]
	v_pack_b32_f16 v26, v26, v6
	v_pack_b32_f16 v24, v24, v25
	v_fma_mixlo_f16 v25, v22, v38, 0
	v_perm_b32 v6, v24, v26, s36
	v_perm_b32 v24, v24, v26, s37
	v_lshlrev_b32_e32 v25, 16, v25
	v_fma_mixlo_f16 v26, v22, v37, 0
	v_or_b32_sdwa v25, v25, v26 dst_sel:DWORD dst_unused:UNUSED_PAD src0_sel:DWORD src1_sel:WORD_0
	v_fma_mixlo_f16 v26, v22, v40, 0
	v_fma_mixlo_f16 v22, v22, v39, 0
	v_lshlrev_b32_e32 v22, 16, v22
	v_or_b32_sdwa v22, v22, v26 dst_sel:DWORD dst_unused:UNUSED_PAD src0_sel:DWORD src1_sel:WORD_0
	s_and_saveexec_b64 s[16:17], s[0:1]
	s_cbranch_execz .LBB291_324
; %bb.323:                              ;   in Loop: Header=BB291_224 Depth=1
	v_add_u32_e32 v27, 1, v5
	v_lshrrev_b32_e32 v28, 16, v24
	v_cmp_gt_i32_e64 s[2:3], s28, v27
	v_cndmask_b32_e64 v27, 0, v28, s[2:3]
	v_cmp_gt_i32_e64 s[2:3], s29, v5
	v_cndmask_b32_e64 v24, 0, v24, s[2:3]
	v_perm_b32 v24, v27, v24, s38
	v_or_b32_e32 v27, 3, v5
	v_or_b32_e32 v28, 2, v5
	v_lshrrev_b32_e32 v29, 16, v6
	v_cmp_gt_i32_e64 s[2:3], s28, v27
	v_cndmask_b32_e64 v27, 0, v29, s[2:3]
	v_cmp_gt_i32_e64 s[2:3], s29, v28
	v_cndmask_b32_e64 v6, 0, v6, s[2:3]
	v_perm_b32 v6, v27, v6, s38
	v_or_b32_e32 v27, 5, v5
	v_or_b32_e32 v28, 4, v5
	;; [unrolled: 8-line block ×3, first 2 shown]
	v_lshrrev_b32_e32 v22, 16, v22
	v_cmp_gt_i32_e64 s[2:3], s28, v27
	v_cndmask_b32_e64 v22, 0, v22, s[2:3]
	v_cmp_gt_i32_e64 s[2:3], s29, v28
	v_cndmask_b32_e64 v26, 0, v26, s[2:3]
	v_perm_b32 v22, v22, v26, s38
.LBB291_324:                            ;   in Loop: Header=BB291_224 Depth=1
	s_or_b64 exec, exec, s[16:17]
	;;#ASMSTART
	v_pk_mul_f16 v24, v35, v24;

	;;#ASMEND
	;;#ASMSTART
	v_pk_mul_f16 v6, v34, v6;

	;;#ASMEND
	;; [unrolled: 4-line block ×4, first 2 shown]
	;;#ASMSTART
	v_pk_add_f16 v6, v24, v6;

	;;#ASMEND
	;;#ASMSTART
	v_pk_add_f16 v6, v6, v25;

	;;#ASMEND
	;; [unrolled: 4-line block ×3, first 2 shown]
	v_lshrrev_b32_e32 v22, 16, v6
	v_and_b32_e32 v6, 0xffff, v6
	;;#ASMSTART
	v_cvt_f32_f16 v28, v6;
	;;#ASMEND
	;;#ASMSTART
	v_cvt_f32_f16 v29, v22;
	;;#ASMEND
	global_load_dwordx2 v[26:27], v[20:21], off offset:1024
	global_load_dword v22, v7, s[14:15]
	v_mov_b32_e32 v24, 0
	v_mov_b32_e32 v20, 0
	s_waitcnt vmcnt(1)
	v_cmp_ne_u16_sdwa s[2:3], v26, v7 src0_sel:BYTE_0 src1_sel:DWORD
	s_and_saveexec_b64 s[16:17], s[2:3]
	s_cbranch_execz .LBB291_330
; %bb.325:                              ;   in Loop: Header=BB291_224 Depth=1
	v_cmp_ne_u16_sdwa s[2:3], v26, s30 src0_sel:BYTE_0 src1_sel:DWORD
	v_bfrev_b32_e32 v20, 1
	s_and_saveexec_b64 s[18:19], s[2:3]
	s_cbranch_execz .LBB291_329
; %bb.326:                              ;   in Loop: Header=BB291_224 Depth=1
	v_and_b32_e32 v6, 0x7f, v26
	v_cmp_ne_u32_e64 s[2:3], s31, v6
	v_mov_b32_e32 v20, 0x7fc02000
	s_and_saveexec_b64 s[20:21], s[2:3]
	s_cbranch_execz .LBB291_328
; %bb.327:                              ;   in Loop: Header=BB291_224 Depth=1
	v_and_b32_e32 v20, 7, v26
	v_ffbh_u32_e32 v20, v20
	v_min_u32_e32 v20, 32, v20
	v_subrev_u32_e32 v21, 28, v20
	v_cmp_gt_u32_e64 s[2:3], 8, v6
	v_lshrrev_b32_e32 v25, 3, v6
	v_sub_u32_e32 v37, 29, v20
	v_cndmask_b32_e64 v6, 0, v21, s[2:3]
	v_lshlrev_b64 v[20:21], v6, v[26:27]
	v_cndmask_b32_e64 v6, v25, v37, s[2:3]
	v_lshlrev_b32_e32 v21, 8, v26
	v_lshl_add_u32 v6, v6, 10, v3
	v_lshlrev_b32_e32 v20, 7, v20
	v_and_or_b32 v6, v21, s34, v6
	v_and_or_b32 v6, v20, s35, v6
	v_cvt_f32_f16_e32 v20, v6
.LBB291_328:                            ;   in Loop: Header=BB291_224 Depth=1
	s_or_b64 exec, exec, s[20:21]
.LBB291_329:                            ;   in Loop: Header=BB291_224 Depth=1
	s_or_b64 exec, exec, s[18:19]
.LBB291_330:                            ;   in Loop: Header=BB291_224 Depth=1
	s_or_b64 exec, exec, s[16:17]
	v_lshrrev_b16_e32 v6, 8, v26
	v_cmp_ne_u16_e64 s[2:3], 0, v6
	s_and_saveexec_b64 s[16:17], s[2:3]
	s_cbranch_execz .LBB291_336
; %bb.331:                              ;   in Loop: Header=BB291_224 Depth=1
	v_cmp_ne_u16_e64 s[2:3], s30, v6
	v_bfrev_b32_e32 v24, 1
	s_and_saveexec_b64 s[18:19], s[2:3]
	s_cbranch_execz .LBB291_335
; %bb.332:                              ;   in Loop: Header=BB291_224 Depth=1
	v_and_b32_e32 v21, 0x7f, v6
	v_cmp_ne_u32_e64 s[2:3], s31, v21
	v_mov_b32_e32 v24, 0x7fc02000
	s_and_saveexec_b64 s[20:21], s[2:3]
	s_cbranch_execz .LBB291_334
; %bb.333:                              ;   in Loop: Header=BB291_224 Depth=1
	v_and_b32_e32 v37, 7, v6
	v_ffbh_u32_e32 v24, v37
	v_min_u32_e32 v39, 32, v24
	v_subrev_u32_e32 v24, 28, v39
	v_lshlrev_b64 v[24:25], v24, v[6:7]
	v_lshrrev_b32_e32 v38, 3, v21
	v_sub_u32_e32 v25, 29, v39
	v_cmp_gt_u32_e64 s[2:3], 8, v21
	v_cndmask_b32_e64 v21, v38, v25, s[2:3]
	v_and_b32_e32 v24, 7, v24
	v_lshlrev_b32_e32 v6, 8, v6
	v_lshl_add_u32 v21, v21, 10, v3
	v_cndmask_b32_e64 v24, v37, v24, s[2:3]
	v_and_or_b32 v6, v6, s34, v21
	v_lshl_or_b32 v6, v24, 7, v6
	v_cvt_f32_f16_e32 v24, v6
.LBB291_334:                            ;   in Loop: Header=BB291_224 Depth=1
	s_or_b64 exec, exec, s[20:21]
.LBB291_335:                            ;   in Loop: Header=BB291_224 Depth=1
	s_or_b64 exec, exec, s[18:19]
.LBB291_336:                            ;   in Loop: Header=BB291_224 Depth=1
	s_or_b64 exec, exec, s[16:17]
	v_lshrrev_b32_e32 v6, 16, v26
	v_cmp_ne_u16_sdwa s[2:3], v6, v7 src0_sel:BYTE_0 src1_sel:DWORD
	v_mov_b32_e32 v25, 0
	v_mov_b32_e32 v21, 0
	s_and_saveexec_b64 s[16:17], s[2:3]
	s_cbranch_execz .LBB291_342
; %bb.337:                              ;   in Loop: Header=BB291_224 Depth=1
	v_cmp_ne_u16_sdwa s[2:3], v6, s30 src0_sel:BYTE_0 src1_sel:DWORD
	v_bfrev_b32_e32 v21, 1
	s_and_saveexec_b64 s[18:19], s[2:3]
	s_cbranch_execz .LBB291_341
; %bb.338:                              ;   in Loop: Header=BB291_224 Depth=1
	v_bfe_u32 v37, v26, 16, 7
	v_cmp_ne_u32_e64 s[2:3], s31, v37
	v_mov_b32_e32 v21, 0x7fc02000
	s_and_saveexec_b64 s[20:21], s[2:3]
	s_cbranch_execz .LBB291_340
; %bb.339:                              ;   in Loop: Header=BB291_224 Depth=1
	v_and_b32_e32 v21, 7, v6
	v_ffbh_u32_e32 v38, v21
	v_min_u32_e32 v41, 32, v38
	v_subrev_u32_e32 v38, 28, v41
	v_lshlrev_b64 v[38:39], v38, v[6:7]
	v_lshrrev_b32_e32 v40, 3, v37
	v_sub_u32_e32 v39, 29, v41
	v_cmp_gt_u32_e64 s[2:3], 8, v37
	v_cndmask_b32_e64 v37, v40, v39, s[2:3]
	v_and_b32_e32 v38, 7, v38
	v_lshlrev_b32_e32 v6, 8, v6
	v_lshl_add_u32 v37, v37, 10, v3
	v_cndmask_b32_e64 v21, v21, v38, s[2:3]
	v_and_or_b32 v6, v6, s34, v37
	v_lshl_or_b32 v6, v21, 7, v6
	v_cvt_f32_f16_e32 v21, v6
.LBB291_340:                            ;   in Loop: Header=BB291_224 Depth=1
	s_or_b64 exec, exec, s[20:21]
.LBB291_341:                            ;   in Loop: Header=BB291_224 Depth=1
	s_or_b64 exec, exec, s[18:19]
.LBB291_342:                            ;   in Loop: Header=BB291_224 Depth=1
	s_or_b64 exec, exec, s[16:17]
	v_cmp_lt_u32_e64 s[2:3], s11, v26
	s_and_saveexec_b64 s[16:17], s[2:3]
	s_cbranch_execz .LBB291_348
; %bb.343:                              ;   in Loop: Header=BB291_224 Depth=1
	v_lshrrev_b32_e32 v6, 24, v26
	v_cmp_ne_u32_e64 s[2:3], s30, v6
	v_bfrev_b32_e32 v25, 1
	s_and_saveexec_b64 s[18:19], s[2:3]
	s_cbranch_execz .LBB291_347
; %bb.344:                              ;   in Loop: Header=BB291_224 Depth=1
	v_and_b32_e32 v37, 0x7f, v6
	v_cmp_ne_u32_e64 s[2:3], s31, v37
	v_mov_b32_e32 v25, 0x7fc02000
	s_and_saveexec_b64 s[20:21], s[2:3]
	s_cbranch_execz .LBB291_346
; %bb.345:                              ;   in Loop: Header=BB291_224 Depth=1
	v_and_b32_e32 v25, 7, v6
	v_ffbh_u32_e32 v38, v25
	v_min_u32_e32 v41, 32, v38
	v_subrev_u32_e32 v38, 28, v41
	v_lshlrev_b64 v[38:39], v38, v[6:7]
	v_lshrrev_b32_e32 v40, 3, v37
	v_sub_u32_e32 v39, 29, v41
	v_cmp_gt_u32_e64 s[2:3], 8, v37
	v_cndmask_b32_e64 v37, v40, v39, s[2:3]
	v_and_b32_e32 v38, 7, v38
	v_lshlrev_b32_e32 v6, 8, v6
	v_lshl_add_u32 v37, v37, 10, v3
	v_cndmask_b32_e64 v25, v25, v38, s[2:3]
	v_and_or_b32 v6, v6, s34, v37
	v_lshl_or_b32 v6, v25, 7, v6
	v_cvt_f32_f16_e32 v25, v6
.LBB291_346:                            ;   in Loop: Header=BB291_224 Depth=1
	s_or_b64 exec, exec, s[20:21]
.LBB291_347:                            ;   in Loop: Header=BB291_224 Depth=1
	s_or_b64 exec, exec, s[18:19]
.LBB291_348:                            ;   in Loop: Header=BB291_224 Depth=1
	s_or_b64 exec, exec, s[16:17]
	v_mov_b32_e32 v6, v27
	v_cmp_ne_u16_sdwa s[2:3], v27, v7 src0_sel:BYTE_0 src1_sel:DWORD
	v_mov_b32_e32 v38, 0
	v_mov_b32_e32 v37, 0
	s_and_saveexec_b64 s[16:17], s[2:3]
	s_cbranch_execz .LBB291_354
; %bb.349:                              ;   in Loop: Header=BB291_224 Depth=1
	v_cmp_ne_u16_sdwa s[2:3], v27, s30 src0_sel:BYTE_0 src1_sel:DWORD
	v_bfrev_b32_e32 v37, 1
	s_and_saveexec_b64 s[18:19], s[2:3]
	s_cbranch_execz .LBB291_353
; %bb.350:                              ;   in Loop: Header=BB291_224 Depth=1
	v_and_b32_e32 v39, 0x7f, v27
	v_cmp_ne_u32_e64 s[2:3], s31, v39
	v_mov_b32_e32 v37, 0x7fc02000
	s_and_saveexec_b64 s[20:21], s[2:3]
	s_cbranch_execz .LBB291_352
; %bb.351:                              ;   in Loop: Header=BB291_224 Depth=1
	v_and_b32_e32 v37, 7, v27
	v_ffbh_u32_e32 v37, v37
	v_min_u32_e32 v37, 32, v37
	v_subrev_u32_e32 v40, 28, v37
	v_cmp_gt_u32_e64 s[2:3], 8, v39
	v_lshrrev_b32_e32 v42, 3, v39
	v_sub_u32_e32 v37, 29, v37
	v_cndmask_b32_e64 v39, 0, v40, s[2:3]
	v_lshlrev_b64 v[40:41], v39, v[6:7]
	v_cndmask_b32_e64 v37, v42, v37, s[2:3]
	v_lshlrev_b32_e32 v39, 7, v40
	v_lshlrev_b32_e32 v40, 8, v27
	v_lshl_add_u32 v37, v37, 10, v3
	v_and_or_b32 v37, v40, s34, v37
	v_and_or_b32 v37, v39, s35, v37
	v_cvt_f32_f16_e32 v37, v37
.LBB291_352:                            ;   in Loop: Header=BB291_224 Depth=1
	s_or_b64 exec, exec, s[20:21]
.LBB291_353:                            ;   in Loop: Header=BB291_224 Depth=1
	s_or_b64 exec, exec, s[18:19]
.LBB291_354:                            ;   in Loop: Header=BB291_224 Depth=1
	s_or_b64 exec, exec, s[16:17]
	v_lshrrev_b16_e32 v6, 8, v6
	v_cmp_ne_u16_e64 s[2:3], 0, v6
	s_and_saveexec_b64 s[16:17], s[2:3]
	s_cbranch_execz .LBB291_360
; %bb.355:                              ;   in Loop: Header=BB291_224 Depth=1
	v_cmp_ne_u16_e64 s[2:3], s30, v6
	v_bfrev_b32_e32 v38, 1
	s_and_saveexec_b64 s[18:19], s[2:3]
	s_cbranch_execz .LBB291_359
; %bb.356:                              ;   in Loop: Header=BB291_224 Depth=1
	v_and_b32_e32 v39, 0x7f, v6
	v_cmp_ne_u32_e64 s[2:3], s31, v39
	v_mov_b32_e32 v38, 0x7fc02000
	s_and_saveexec_b64 s[20:21], s[2:3]
	s_cbranch_execz .LBB291_358
; %bb.357:                              ;   in Loop: Header=BB291_224 Depth=1
	v_and_b32_e32 v38, 7, v6
	v_ffbh_u32_e32 v40, v38
	v_min_u32_e32 v43, 32, v40
	v_subrev_u32_e32 v40, 28, v43
	v_lshlrev_b64 v[40:41], v40, v[6:7]
	v_lshrrev_b32_e32 v42, 3, v39
	v_sub_u32_e32 v41, 29, v43
	v_cmp_gt_u32_e64 s[2:3], 8, v39
	v_cndmask_b32_e64 v39, v42, v41, s[2:3]
	v_and_b32_e32 v40, 7, v40
	v_lshlrev_b32_e32 v6, 8, v6
	v_lshl_add_u32 v39, v39, 10, v3
	v_cndmask_b32_e64 v38, v38, v40, s[2:3]
	v_and_or_b32 v6, v6, s34, v39
	v_lshl_or_b32 v6, v38, 7, v6
	v_cvt_f32_f16_e32 v38, v6
.LBB291_358:                            ;   in Loop: Header=BB291_224 Depth=1
	s_or_b64 exec, exec, s[20:21]
.LBB291_359:                            ;   in Loop: Header=BB291_224 Depth=1
	s_or_b64 exec, exec, s[18:19]
.LBB291_360:                            ;   in Loop: Header=BB291_224 Depth=1
	s_or_b64 exec, exec, s[16:17]
	v_lshrrev_b32_e32 v6, 16, v27
	v_cmp_ne_u16_sdwa s[2:3], v6, v7 src0_sel:BYTE_0 src1_sel:DWORD
	v_mov_b32_e32 v39, 0
	v_mov_b32_e32 v40, 0
	s_and_saveexec_b64 s[16:17], s[2:3]
	s_cbranch_execz .LBB291_366
; %bb.361:                              ;   in Loop: Header=BB291_224 Depth=1
	v_cmp_ne_u16_sdwa s[2:3], v6, s30 src0_sel:BYTE_0 src1_sel:DWORD
	v_bfrev_b32_e32 v40, 1
	s_and_saveexec_b64 s[18:19], s[2:3]
	s_cbranch_execz .LBB291_365
; %bb.362:                              ;   in Loop: Header=BB291_224 Depth=1
	v_bfe_u32 v41, v27, 16, 7
	v_cmp_ne_u32_e64 s[2:3], s31, v41
	v_mov_b32_e32 v40, 0x7fc02000
	s_and_saveexec_b64 s[20:21], s[2:3]
	s_cbranch_execz .LBB291_364
; %bb.363:                              ;   in Loop: Header=BB291_224 Depth=1
	v_and_b32_e32 v40, 7, v6
	v_ffbh_u32_e32 v42, v40
	v_min_u32_e32 v45, 32, v42
	v_subrev_u32_e32 v42, 28, v45
	v_lshlrev_b64 v[42:43], v42, v[6:7]
	v_lshrrev_b32_e32 v44, 3, v41
	v_sub_u32_e32 v43, 29, v45
	v_cmp_gt_u32_e64 s[2:3], 8, v41
	v_cndmask_b32_e64 v41, v44, v43, s[2:3]
	v_and_b32_e32 v42, 7, v42
	v_lshlrev_b32_e32 v6, 8, v6
	v_lshl_add_u32 v41, v41, 10, v3
	v_cndmask_b32_e64 v40, v40, v42, s[2:3]
	v_and_or_b32 v6, v6, s34, v41
	v_lshl_or_b32 v6, v40, 7, v6
	v_cvt_f32_f16_e32 v40, v6
.LBB291_364:                            ;   in Loop: Header=BB291_224 Depth=1
	s_or_b64 exec, exec, s[20:21]
.LBB291_365:                            ;   in Loop: Header=BB291_224 Depth=1
	s_or_b64 exec, exec, s[18:19]
.LBB291_366:                            ;   in Loop: Header=BB291_224 Depth=1
	s_or_b64 exec, exec, s[16:17]
	v_cmp_lt_u64_e64 s[2:3], s[10:11], v[26:27]
	s_and_saveexec_b64 s[16:17], s[2:3]
	s_cbranch_execz .LBB291_372
; %bb.367:                              ;   in Loop: Header=BB291_224 Depth=1
	v_lshrrev_b32_e32 v6, 24, v27
	v_cmp_ne_u32_e64 s[2:3], s30, v6
	v_bfrev_b32_e32 v39, 1
	s_and_saveexec_b64 s[18:19], s[2:3]
	s_cbranch_execz .LBB291_371
; %bb.368:                              ;   in Loop: Header=BB291_224 Depth=1
	v_and_b32_e32 v26, 0x7f, v6
	v_cmp_ne_u32_e64 s[2:3], s31, v26
	v_mov_b32_e32 v39, 0x7fc02000
	s_and_saveexec_b64 s[20:21], s[2:3]
	s_cbranch_execz .LBB291_370
; %bb.369:                              ;   in Loop: Header=BB291_224 Depth=1
	v_and_b32_e32 v27, 7, v6
	v_ffbh_u32_e32 v41, v27
	v_min_u32_e32 v41, 32, v41
	v_lshrrev_b32_e32 v39, 3, v26
	v_subrev_u32_e32 v42, 28, v41
	v_sub_u32_e32 v41, 29, v41
	v_cmp_gt_u32_e64 s[2:3], 8, v26
	v_lshlrev_b64 v[42:43], v42, v[6:7]
	v_cndmask_b32_e64 v26, v39, v41, s[2:3]
	v_and_b32_e32 v42, 7, v42
	v_lshlrev_b32_e32 v6, 8, v6
	v_lshl_add_u32 v26, v26, 10, v3
	v_cndmask_b32_e64 v27, v27, v42, s[2:3]
	v_and_or_b32 v6, v6, s34, v26
	v_lshl_or_b32 v6, v27, 7, v6
	v_cvt_f32_f16_e32 v39, v6
.LBB291_370:                            ;   in Loop: Header=BB291_224 Depth=1
	s_or_b64 exec, exec, s[20:21]
.LBB291_371:                            ;   in Loop: Header=BB291_224 Depth=1
	s_or_b64 exec, exec, s[18:19]
.LBB291_372:                            ;   in Loop: Header=BB291_224 Depth=1
	s_or_b64 exec, exec, s[16:17]
	s_waitcnt vmcnt(0)
	v_pk_mul_f32 v[24:25], v[22:23], v[24:25] op_sel_hi:[0,1]
	v_pk_mul_f32 v[20:21], v[22:23], v[20:21] op_sel_hi:[0,1]
	v_cvt_f16_f32_e32 v6, v25
	v_cvt_f16_f32_e32 v24, v24
	v_cvt_f16_f32_e32 v21, v21
	v_cvt_f16_f32_e32 v20, v20
	v_pack_b32_f16 v24, v24, v6
	v_pack_b32_f16 v20, v20, v21
	v_fma_mixlo_f16 v21, v22, v38, 0
	v_perm_b32 v6, v20, v24, s36
	v_perm_b32 v20, v20, v24, s37
	v_lshlrev_b32_e32 v21, 16, v21
	v_fma_mixlo_f16 v24, v22, v37, 0
	v_or_b32_sdwa v21, v21, v24 dst_sel:DWORD dst_unused:UNUSED_PAD src0_sel:DWORD src1_sel:WORD_0
	v_fma_mixlo_f16 v24, v22, v40, 0
	v_fma_mixlo_f16 v22, v22, v39, 0
	v_lshlrev_b32_e32 v22, 16, v22
	v_or_b32_sdwa v22, v22, v24 dst_sel:DWORD dst_unused:UNUSED_PAD src0_sel:DWORD src1_sel:WORD_0
	s_and_saveexec_b64 s[16:17], s[0:1]
	s_cbranch_execz .LBB291_374
; %bb.373:                              ;   in Loop: Header=BB291_224 Depth=1
	v_add_u32_e32 v25, 1, v5
	v_lshrrev_b32_e32 v26, 16, v20
	v_cmp_gt_i32_e64 s[2:3], s28, v25
	v_cndmask_b32_e64 v25, 0, v26, s[2:3]
	v_cmp_gt_i32_e64 s[2:3], s29, v5
	v_cndmask_b32_e64 v20, 0, v20, s[2:3]
	v_perm_b32 v20, v25, v20, s38
	v_or_b32_e32 v25, 3, v5
	v_or_b32_e32 v26, 2, v5
	v_lshrrev_b32_e32 v27, 16, v6
	v_cmp_gt_i32_e64 s[2:3], s28, v25
	v_cndmask_b32_e64 v25, 0, v27, s[2:3]
	v_cmp_gt_i32_e64 s[2:3], s29, v26
	v_cndmask_b32_e64 v6, 0, v6, s[2:3]
	v_perm_b32 v6, v25, v6, s38
	v_or_b32_e32 v25, 5, v5
	v_or_b32_e32 v26, 4, v5
	;; [unrolled: 8-line block ×3, first 2 shown]
	v_lshrrev_b32_e32 v22, 16, v22
	v_cmp_gt_i32_e64 s[2:3], s28, v25
	v_cndmask_b32_e64 v22, 0, v22, s[2:3]
	v_cmp_gt_i32_e64 s[2:3], s29, v26
	v_cndmask_b32_e64 v24, 0, v24, s[2:3]
	v_perm_b32 v22, v22, v24, s38
.LBB291_374:                            ;   in Loop: Header=BB291_224 Depth=1
	s_or_b64 exec, exec, s[16:17]
	;;#ASMSTART
	v_pk_mul_f16 v20, v35, v20;

	;;#ASMEND
	;;#ASMSTART
	v_pk_mul_f16 v6, v34, v6;

	;;#ASMEND
	;; [unrolled: 4-line block ×4, first 2 shown]
	;;#ASMSTART
	v_pk_add_f16 v6, v20, v6;

	;;#ASMEND
	;;#ASMSTART
	v_pk_add_f16 v6, v6, v21;

	;;#ASMEND
	;; [unrolled: 4-line block ×3, first 2 shown]
	v_lshrrev_b32_e32 v20, 16, v6
	v_and_b32_e32 v6, 0xffff, v6
	v_add_f32_e32 v23, v23, v36
	;;#ASMSTART
	v_cvt_f32_f16 v6, v6;
	;;#ASMEND
	v_add_f32_e32 v12, v12, v23
	v_add_f32_e32 v23, v28, v29
	;;#ASMSTART
	v_cvt_f32_f16 v20, v20;
	;;#ASMEND
	v_add_f32_e32 v6, v6, v20
	v_add_f32_e32 v13, v13, v23
	;; [unrolled: 1-line block ×3, first 2 shown]
	s_and_saveexec_b64 s[16:17], vcc
	s_cbranch_execz .LBB291_223
; %bb.375:                              ;   in Loop: Header=BB291_224 Depth=1
	v_add_co_u32_e64 v20, s[2:3], v18, v10
	v_addc_co_u32_e64 v21, s[2:3], 0, v19, s[2:3]
	global_load_dwordx2 v[24:25], v[20:21], off
	global_load_dword v18, v7, s[14:15]
	v_mov_b32_e32 v22, 0
	v_mov_b32_e32 v20, 0
	s_waitcnt vmcnt(1)
	v_cmp_ne_u16_sdwa s[2:3], v24, v7 src0_sel:BYTE_0 src1_sel:DWORD
	s_and_saveexec_b64 s[18:19], s[2:3]
	s_cbranch_execz .LBB291_381
; %bb.376:                              ;   in Loop: Header=BB291_224 Depth=1
	v_cmp_ne_u16_sdwa s[2:3], v24, s30 src0_sel:BYTE_0 src1_sel:DWORD
	v_bfrev_b32_e32 v20, 1
	s_and_saveexec_b64 s[20:21], s[2:3]
	s_cbranch_execz .LBB291_380
; %bb.377:                              ;   in Loop: Header=BB291_224 Depth=1
	v_and_b32_e32 v6, 0x7f, v24
	v_cmp_ne_u32_e64 s[2:3], s31, v6
	v_mov_b32_e32 v20, 0x7fc02000
	s_and_saveexec_b64 s[22:23], s[2:3]
	s_cbranch_execz .LBB291_379
; %bb.378:                              ;   in Loop: Header=BB291_224 Depth=1
	v_and_b32_e32 v19, 7, v24
	v_ffbh_u32_e32 v19, v19
	v_min_u32_e32 v19, 32, v19
	v_subrev_u32_e32 v20, 28, v19
	v_cmp_gt_u32_e64 s[2:3], 8, v6
	v_lshrrev_b32_e32 v23, 3, v6
	v_sub_u32_e32 v19, 29, v19
	v_cndmask_b32_e64 v6, 0, v20, s[2:3]
	v_lshlrev_b64 v[20:21], v6, v[24:25]
	v_cndmask_b32_e64 v6, v23, v19, s[2:3]
	v_lshlrev_b32_e32 v19, 7, v20
	v_lshlrev_b32_e32 v20, 8, v24
	v_lshl_add_u32 v6, v6, 10, v3
	v_and_or_b32 v6, v20, s34, v6
	v_and_or_b32 v6, v19, s35, v6
	v_cvt_f32_f16_e32 v20, v6
.LBB291_379:                            ;   in Loop: Header=BB291_224 Depth=1
	s_or_b64 exec, exec, s[22:23]
.LBB291_380:                            ;   in Loop: Header=BB291_224 Depth=1
	s_or_b64 exec, exec, s[20:21]
.LBB291_381:                            ;   in Loop: Header=BB291_224 Depth=1
	s_or_b64 exec, exec, s[18:19]
	v_lshrrev_b16_e32 v6, 8, v24
	v_cmp_ne_u16_e64 s[2:3], 0, v6
	s_and_saveexec_b64 s[18:19], s[2:3]
	s_cbranch_execz .LBB291_387
; %bb.382:                              ;   in Loop: Header=BB291_224 Depth=1
	v_cmp_ne_u16_e64 s[2:3], s30, v6
	v_bfrev_b32_e32 v22, 1
	s_and_saveexec_b64 s[20:21], s[2:3]
	s_cbranch_execz .LBB291_386
; %bb.383:                              ;   in Loop: Header=BB291_224 Depth=1
	v_and_b32_e32 v19, 0x7f, v6
	v_cmp_ne_u32_e64 s[2:3], s31, v19
	v_mov_b32_e32 v22, 0x7fc02000
	s_and_saveexec_b64 s[22:23], s[2:3]
	s_cbranch_execz .LBB291_385
; %bb.384:                              ;   in Loop: Header=BB291_224 Depth=1
	v_and_b32_e32 v21, 7, v6
	v_ffbh_u32_e32 v22, v21
	v_min_u32_e32 v27, 32, v22
	v_subrev_u32_e32 v22, 28, v27
	v_lshlrev_b64 v[22:23], v22, v[6:7]
	v_lshrrev_b32_e32 v26, 3, v19
	v_sub_u32_e32 v23, 29, v27
	v_cmp_gt_u32_e64 s[2:3], 8, v19
	v_cndmask_b32_e64 v19, v26, v23, s[2:3]
	v_and_b32_e32 v22, 7, v22
	v_lshlrev_b32_e32 v6, 8, v6
	v_lshl_add_u32 v19, v19, 10, v3
	v_cndmask_b32_e64 v21, v21, v22, s[2:3]
	v_and_or_b32 v6, v6, s34, v19
	v_lshl_or_b32 v6, v21, 7, v6
	v_cvt_f32_f16_e32 v22, v6
.LBB291_385:                            ;   in Loop: Header=BB291_224 Depth=1
	s_or_b64 exec, exec, s[22:23]
.LBB291_386:                            ;   in Loop: Header=BB291_224 Depth=1
	s_or_b64 exec, exec, s[20:21]
.LBB291_387:                            ;   in Loop: Header=BB291_224 Depth=1
	s_or_b64 exec, exec, s[18:19]
	v_lshrrev_b32_e32 v6, 16, v24
	v_cmp_ne_u16_sdwa s[2:3], v6, v7 src0_sel:BYTE_0 src1_sel:DWORD
	v_mov_b32_e32 v23, 0
	v_mov_b32_e32 v21, 0
	s_and_saveexec_b64 s[18:19], s[2:3]
	s_cbranch_execz .LBB291_393
; %bb.388:                              ;   in Loop: Header=BB291_224 Depth=1
	v_cmp_ne_u16_sdwa s[2:3], v6, s30 src0_sel:BYTE_0 src1_sel:DWORD
	v_bfrev_b32_e32 v21, 1
	s_and_saveexec_b64 s[20:21], s[2:3]
	s_cbranch_execz .LBB291_392
; %bb.389:                              ;   in Loop: Header=BB291_224 Depth=1
	v_bfe_u32 v19, v24, 16, 7
	v_cmp_ne_u32_e64 s[2:3], s31, v19
	v_mov_b32_e32 v21, 0x7fc02000
	s_and_saveexec_b64 s[22:23], s[2:3]
	s_cbranch_execz .LBB291_391
; %bb.390:                              ;   in Loop: Header=BB291_224 Depth=1
	v_and_b32_e32 v21, 7, v6
	v_ffbh_u32_e32 v26, v21
	v_min_u32_e32 v29, 32, v26
	v_subrev_u32_e32 v26, 28, v29
	v_lshlrev_b64 v[26:27], v26, v[6:7]
	v_lshrrev_b32_e32 v28, 3, v19
	v_sub_u32_e32 v27, 29, v29
	v_cmp_gt_u32_e64 s[2:3], 8, v19
	v_cndmask_b32_e64 v19, v28, v27, s[2:3]
	v_and_b32_e32 v26, 7, v26
	v_lshlrev_b32_e32 v6, 8, v6
	v_lshl_add_u32 v19, v19, 10, v3
	v_cndmask_b32_e64 v21, v21, v26, s[2:3]
	v_and_or_b32 v6, v6, s34, v19
	v_lshl_or_b32 v6, v21, 7, v6
	v_cvt_f32_f16_e32 v21, v6
.LBB291_391:                            ;   in Loop: Header=BB291_224 Depth=1
	s_or_b64 exec, exec, s[22:23]
.LBB291_392:                            ;   in Loop: Header=BB291_224 Depth=1
	s_or_b64 exec, exec, s[20:21]
.LBB291_393:                            ;   in Loop: Header=BB291_224 Depth=1
	s_or_b64 exec, exec, s[18:19]
	v_cmp_lt_u32_e64 s[2:3], s11, v24
	s_and_saveexec_b64 s[18:19], s[2:3]
	s_cbranch_execz .LBB291_399
; %bb.394:                              ;   in Loop: Header=BB291_224 Depth=1
	v_lshrrev_b32_e32 v6, 24, v24
	v_cmp_ne_u32_e64 s[2:3], s30, v6
	v_bfrev_b32_e32 v23, 1
	s_and_saveexec_b64 s[20:21], s[2:3]
	s_cbranch_execz .LBB291_398
; %bb.395:                              ;   in Loop: Header=BB291_224 Depth=1
	v_and_b32_e32 v19, 0x7f, v6
	v_cmp_ne_u32_e64 s[2:3], s31, v19
	v_mov_b32_e32 v23, 0x7fc02000
	s_and_saveexec_b64 s[22:23], s[2:3]
	s_cbranch_execz .LBB291_397
; %bb.396:                              ;   in Loop: Header=BB291_224 Depth=1
	v_and_b32_e32 v23, 7, v6
	v_ffbh_u32_e32 v26, v23
	v_min_u32_e32 v29, 32, v26
	v_subrev_u32_e32 v26, 28, v29
	v_lshlrev_b64 v[26:27], v26, v[6:7]
	v_lshrrev_b32_e32 v28, 3, v19
	v_sub_u32_e32 v27, 29, v29
	v_cmp_gt_u32_e64 s[2:3], 8, v19
	v_cndmask_b32_e64 v19, v28, v27, s[2:3]
	v_and_b32_e32 v26, 7, v26
	v_lshlrev_b32_e32 v6, 8, v6
	v_lshl_add_u32 v19, v19, 10, v3
	v_cndmask_b32_e64 v23, v23, v26, s[2:3]
	v_and_or_b32 v6, v6, s34, v19
	v_lshl_or_b32 v6, v23, 7, v6
	v_cvt_f32_f16_e32 v23, v6
.LBB291_397:                            ;   in Loop: Header=BB291_224 Depth=1
	s_or_b64 exec, exec, s[22:23]
.LBB291_398:                            ;   in Loop: Header=BB291_224 Depth=1
	s_or_b64 exec, exec, s[20:21]
.LBB291_399:                            ;   in Loop: Header=BB291_224 Depth=1
	s_or_b64 exec, exec, s[18:19]
	v_mov_b32_e32 v6, v25
	v_cmp_ne_u16_sdwa s[2:3], v25, v7 src0_sel:BYTE_0 src1_sel:DWORD
	v_mov_b32_e32 v26, 0
	v_mov_b32_e32 v19, 0
	s_and_saveexec_b64 s[18:19], s[2:3]
	s_cbranch_execz .LBB291_405
; %bb.400:                              ;   in Loop: Header=BB291_224 Depth=1
	v_cmp_ne_u16_sdwa s[2:3], v25, s30 src0_sel:BYTE_0 src1_sel:DWORD
	v_bfrev_b32_e32 v19, 1
	s_and_saveexec_b64 s[20:21], s[2:3]
	s_cbranch_execz .LBB291_404
; %bb.401:                              ;   in Loop: Header=BB291_224 Depth=1
	v_and_b32_e32 v27, 0x7f, v25
	v_cmp_ne_u32_e64 s[2:3], s31, v27
	v_mov_b32_e32 v19, 0x7fc02000
	s_and_saveexec_b64 s[22:23], s[2:3]
	s_cbranch_execz .LBB291_403
; %bb.402:                              ;   in Loop: Header=BB291_224 Depth=1
	v_and_b32_e32 v19, 7, v25
	v_ffbh_u32_e32 v19, v19
	v_min_u32_e32 v19, 32, v19
	v_subrev_u32_e32 v28, 28, v19
	v_cmp_gt_u32_e64 s[2:3], 8, v27
	v_lshrrev_b32_e32 v36, 3, v27
	v_sub_u32_e32 v19, 29, v19
	v_cndmask_b32_e64 v27, 0, v28, s[2:3]
	v_lshlrev_b64 v[28:29], v27, v[6:7]
	v_cndmask_b32_e64 v19, v36, v19, s[2:3]
	v_lshlrev_b32_e32 v27, 7, v28
	v_lshlrev_b32_e32 v28, 8, v25
	v_lshl_add_u32 v19, v19, 10, v3
	v_and_or_b32 v19, v28, s34, v19
	v_and_or_b32 v19, v27, s35, v19
	v_cvt_f32_f16_e32 v19, v19
.LBB291_403:                            ;   in Loop: Header=BB291_224 Depth=1
	s_or_b64 exec, exec, s[22:23]
.LBB291_404:                            ;   in Loop: Header=BB291_224 Depth=1
	s_or_b64 exec, exec, s[20:21]
.LBB291_405:                            ;   in Loop: Header=BB291_224 Depth=1
	s_or_b64 exec, exec, s[18:19]
	v_lshrrev_b16_e32 v6, 8, v6
	v_cmp_ne_u16_e64 s[2:3], 0, v6
	s_and_saveexec_b64 s[18:19], s[2:3]
	s_cbranch_execz .LBB291_411
; %bb.406:                              ;   in Loop: Header=BB291_224 Depth=1
	v_cmp_ne_u16_e64 s[2:3], s30, v6
	v_bfrev_b32_e32 v26, 1
	s_and_saveexec_b64 s[20:21], s[2:3]
	s_cbranch_execz .LBB291_410
; %bb.407:                              ;   in Loop: Header=BB291_224 Depth=1
	v_and_b32_e32 v27, 0x7f, v6
	v_cmp_ne_u32_e64 s[2:3], s31, v27
	v_mov_b32_e32 v26, 0x7fc02000
	s_and_saveexec_b64 s[22:23], s[2:3]
	s_cbranch_execz .LBB291_409
; %bb.408:                              ;   in Loop: Header=BB291_224 Depth=1
	v_and_b32_e32 v26, 7, v6
	v_ffbh_u32_e32 v28, v26
	v_min_u32_e32 v37, 32, v28
	v_subrev_u32_e32 v28, 28, v37
	v_lshlrev_b64 v[28:29], v28, v[6:7]
	v_lshrrev_b32_e32 v36, 3, v27
	v_sub_u32_e32 v29, 29, v37
	v_cmp_gt_u32_e64 s[2:3], 8, v27
	v_cndmask_b32_e64 v27, v36, v29, s[2:3]
	v_and_b32_e32 v28, 7, v28
	v_lshlrev_b32_e32 v6, 8, v6
	v_lshl_add_u32 v27, v27, 10, v3
	v_cndmask_b32_e64 v26, v26, v28, s[2:3]
	v_and_or_b32 v6, v6, s34, v27
	v_lshl_or_b32 v6, v26, 7, v6
	v_cvt_f32_f16_e32 v26, v6
.LBB291_409:                            ;   in Loop: Header=BB291_224 Depth=1
	s_or_b64 exec, exec, s[22:23]
.LBB291_410:                            ;   in Loop: Header=BB291_224 Depth=1
	s_or_b64 exec, exec, s[20:21]
.LBB291_411:                            ;   in Loop: Header=BB291_224 Depth=1
	s_or_b64 exec, exec, s[18:19]
	v_lshrrev_b32_e32 v6, 16, v25
	v_cmp_ne_u16_sdwa s[2:3], v6, v7 src0_sel:BYTE_0 src1_sel:DWORD
	v_mov_b32_e32 v27, 0
	v_mov_b32_e32 v28, 0
	s_and_saveexec_b64 s[18:19], s[2:3]
	s_cbranch_execz .LBB291_417
; %bb.412:                              ;   in Loop: Header=BB291_224 Depth=1
	v_cmp_ne_u16_sdwa s[2:3], v6, s30 src0_sel:BYTE_0 src1_sel:DWORD
	v_bfrev_b32_e32 v28, 1
	s_and_saveexec_b64 s[20:21], s[2:3]
	s_cbranch_execz .LBB291_416
; %bb.413:                              ;   in Loop: Header=BB291_224 Depth=1
	v_bfe_u32 v29, v25, 16, 7
	v_cmp_ne_u32_e64 s[2:3], s31, v29
	v_mov_b32_e32 v28, 0x7fc02000
	s_and_saveexec_b64 s[22:23], s[2:3]
	s_cbranch_execz .LBB291_415
; %bb.414:                              ;   in Loop: Header=BB291_224 Depth=1
	v_and_b32_e32 v28, 7, v6
	v_ffbh_u32_e32 v36, v28
	v_min_u32_e32 v39, 32, v36
	v_subrev_u32_e32 v36, 28, v39
	v_lshlrev_b64 v[36:37], v36, v[6:7]
	v_lshrrev_b32_e32 v38, 3, v29
	v_sub_u32_e32 v37, 29, v39
	v_cmp_gt_u32_e64 s[2:3], 8, v29
	v_cndmask_b32_e64 v29, v38, v37, s[2:3]
	v_and_b32_e32 v36, 7, v36
	v_lshlrev_b32_e32 v6, 8, v6
	v_lshl_add_u32 v29, v29, 10, v3
	v_cndmask_b32_e64 v28, v28, v36, s[2:3]
	v_and_or_b32 v6, v6, s34, v29
	v_lshl_or_b32 v6, v28, 7, v6
	v_cvt_f32_f16_e32 v28, v6
.LBB291_415:                            ;   in Loop: Header=BB291_224 Depth=1
	s_or_b64 exec, exec, s[22:23]
.LBB291_416:                            ;   in Loop: Header=BB291_224 Depth=1
	s_or_b64 exec, exec, s[20:21]
.LBB291_417:                            ;   in Loop: Header=BB291_224 Depth=1
	s_or_b64 exec, exec, s[18:19]
	v_cmp_lt_u64_e64 s[2:3], s[10:11], v[24:25]
	s_and_saveexec_b64 s[18:19], s[2:3]
	s_cbranch_execz .LBB291_423
; %bb.418:                              ;   in Loop: Header=BB291_224 Depth=1
	v_lshrrev_b32_e32 v6, 24, v25
	v_cmp_ne_u32_e64 s[2:3], s30, v6
	v_bfrev_b32_e32 v27, 1
	s_and_saveexec_b64 s[20:21], s[2:3]
	s_cbranch_execz .LBB291_422
; %bb.419:                              ;   in Loop: Header=BB291_224 Depth=1
	v_and_b32_e32 v24, 0x7f, v6
	v_cmp_ne_u32_e64 s[2:3], s31, v24
	v_mov_b32_e32 v27, 0x7fc02000
	s_and_saveexec_b64 s[22:23], s[2:3]
	s_cbranch_execz .LBB291_421
; %bb.420:                              ;   in Loop: Header=BB291_224 Depth=1
	v_and_b32_e32 v25, 7, v6
	v_ffbh_u32_e32 v29, v25
	v_min_u32_e32 v29, 32, v29
	v_lshrrev_b32_e32 v27, 3, v24
	v_subrev_u32_e32 v36, 28, v29
	v_sub_u32_e32 v29, 29, v29
	v_cmp_gt_u32_e64 s[2:3], 8, v24
	v_lshlrev_b64 v[36:37], v36, v[6:7]
	v_cndmask_b32_e64 v24, v27, v29, s[2:3]
	v_and_b32_e32 v36, 7, v36
	v_lshlrev_b32_e32 v6, 8, v6
	v_lshl_add_u32 v24, v24, 10, v3
	v_cndmask_b32_e64 v25, v25, v36, s[2:3]
	v_and_or_b32 v6, v6, s34, v24
	v_lshl_or_b32 v6, v25, 7, v6
	v_cvt_f32_f16_e32 v27, v6
.LBB291_421:                            ;   in Loop: Header=BB291_224 Depth=1
	s_or_b64 exec, exec, s[22:23]
.LBB291_422:                            ;   in Loop: Header=BB291_224 Depth=1
	s_or_b64 exec, exec, s[20:21]
.LBB291_423:                            ;   in Loop: Header=BB291_224 Depth=1
	s_or_b64 exec, exec, s[18:19]
	s_waitcnt vmcnt(0)
	v_pk_mul_f32 v[20:21], v[18:19], v[20:21] op_sel_hi:[0,1]
	v_cvt_f16_f32_e32 v21, v21
	v_cvt_f16_f32_e32 v20, v20
	v_pk_mul_f32 v[22:23], v[18:19], v[22:23] op_sel_hi:[0,1]
	v_cvt_f16_f32_e32 v6, v23
	v_cvt_f16_f32_e32 v22, v22
	v_pack_b32_f16 v20, v20, v21
	v_fma_mixlo_f16 v21, v18, v26, 0
	v_lshlrev_b32_e32 v21, 16, v21
	v_fma_mixlo_f16 v19, v18, v19, 0
	v_or_b32_sdwa v19, v21, v19 dst_sel:DWORD dst_unused:UNUSED_PAD src0_sel:DWORD src1_sel:WORD_0
	v_fma_mixlo_f16 v21, v18, v28, 0
	v_fma_mixlo_f16 v18, v18, v27, 0
	v_pack_b32_f16 v22, v22, v6
	v_lshlrev_b32_e32 v18, 16, v18
	v_perm_b32 v6, v20, v22, s36
	v_perm_b32 v20, v20, v22, s37
	v_or_b32_sdwa v18, v18, v21 dst_sel:DWORD dst_unused:UNUSED_PAD src0_sel:DWORD src1_sel:WORD_0
	s_and_saveexec_b64 s[2:3], s[0:1]
	s_cbranch_execz .LBB291_222
; %bb.424:                              ;   in Loop: Header=BB291_224 Depth=1
	v_add_u32_e32 v22, 1, v5
	v_lshrrev_b32_e32 v23, 16, v20
	v_cmp_gt_i32_e64 s[0:1], s28, v22
	v_cndmask_b32_e64 v22, 0, v23, s[0:1]
	v_cmp_gt_i32_e64 s[0:1], s29, v5
	v_cndmask_b32_e64 v20, 0, v20, s[0:1]
	v_perm_b32 v20, v22, v20, s38
	v_or_b32_e32 v22, 3, v5
	v_or_b32_e32 v23, 2, v5
	v_lshrrev_b32_e32 v24, 16, v6
	v_cmp_gt_i32_e64 s[0:1], s28, v22
	v_cndmask_b32_e64 v22, 0, v24, s[0:1]
	v_cmp_gt_i32_e64 s[0:1], s29, v23
	v_cndmask_b32_e64 v6, 0, v6, s[0:1]
	v_perm_b32 v6, v22, v6, s38
	v_or_b32_e32 v22, 5, v5
	v_or_b32_e32 v23, 4, v5
	;; [unrolled: 8-line block ×3, first 2 shown]
	v_lshrrev_b32_e32 v18, 16, v18
	v_cmp_gt_i32_e64 s[0:1], s28, v22
	v_cndmask_b32_e64 v18, 0, v18, s[0:1]
	v_cmp_gt_i32_e64 s[0:1], s29, v23
	v_cndmask_b32_e64 v21, 0, v21, s[0:1]
	v_perm_b32 v18, v18, v21, s38
	s_branch .LBB291_222
.LBB291_425:
	s_or_b64 exec, exec, s[12:13]
.LBB291_426:
	s_or_b64 exec, exec, s[6:7]
	ds_bpermute_b32 v2, v1, v12
	ds_bpermute_b32 v3, v1, v13
	ds_bpermute_b32 v6, v1, v8
	ds_bpermute_b32 v7, v1, v9
	v_and_b32_e32 v1, 0x3c0, v0
	v_cmp_eq_u32_e32 vcc, 64, v1
	s_waitcnt lgkmcnt(2)
	v_pk_add_f32 v[4:5], v[12:13], v[2:3]
	s_waitcnt lgkmcnt(0)
	v_pk_add_f32 v[2:3], v[8:9], v[6:7]
	s_barrier
	s_and_saveexec_b64 s[2:3], vcc
	s_cbranch_execz .LBB291_431
; %bb.427:
	v_cmp_eq_u32_e32 vcc, 0, v11
	s_and_saveexec_b64 s[0:1], vcc
	s_cbranch_execz .LBB291_429
; %bb.428:
	v_mov_b32_e32 v1, 0x100
	v_lshl_add_u32 v1, v30, 2, v1
	ds_write2_b32 v1, v4, v5 offset1:32
	ds_write_b32 v1, v2 offset:256
.LBB291_429:
	s_or_b64 exec, exec, s[0:1]
	v_or_b32_e32 v1, 0x60, v30
	s_movk_i32 s0, 0x78
	v_cmp_gt_u32_e64 s[0:1], s0, v1
	s_and_b64 s[0:1], vcc, s[0:1]
	s_and_b64 exec, exec, s[0:1]
	s_cbranch_execz .LBB291_431
; %bb.430:
	v_mov_b32_e32 v1, 0x100
	v_lshl_add_u32 v1, v30, 2, v1
	ds_write_b32 v1, v3 offset:384
.LBB291_431:
	s_or_b64 exec, exec, s[2:3]
	v_cmp_gt_u32_e32 vcc, 64, v0
	v_lshrrev_b32_e32 v0, 1, v0
	s_waitcnt lgkmcnt(0)
	s_barrier
	s_and_saveexec_b64 s[6:7], vcc
	s_cbranch_execz .LBB291_439
; %bb.432:
	v_cmp_eq_u32_e64 s[0:1], 0, v11
	s_and_saveexec_b64 s[2:3], s[0:1]
	s_cbranch_execnz .LBB291_445
; %bb.433:
	s_or_b64 exec, exec, s[2:3]
	s_and_saveexec_b64 s[2:3], s[0:1]
	s_cbranch_execnz .LBB291_446
.LBB291_434:
	s_or_b64 exec, exec, s[2:3]
	s_and_saveexec_b64 s[2:3], s[0:1]
	s_cbranch_execz .LBB291_436
.LBB291_435:
	v_mov_b32_e32 v1, 0x100
	v_lshl_add_u32 v1, v0, 2, v1
	ds_read_b32 v1, v1 offset:256
	s_waitcnt lgkmcnt(0)
	v_add_f32_e32 v2, v2, v1
.LBB291_436:
	s_or_b64 exec, exec, s[2:3]
	v_or_b32_e32 v1, 0x60, v0
	s_movk_i32 s2, 0x78
	v_cmp_gt_u32_e64 s[2:3], s2, v1
	s_and_b64 s[2:3], s[0:1], s[2:3]
	s_and_saveexec_b64 s[0:1], s[2:3]
	s_cbranch_execz .LBB291_438
; %bb.437:
	v_mov_b32_e32 v1, 0x100
	v_lshl_add_u32 v1, v0, 2, v1
	ds_read_b32 v1, v1 offset:384
	s_waitcnt lgkmcnt(0)
	v_add_f32_e32 v3, v3, v1
.LBB291_438:
	s_or_b64 exec, exec, s[0:1]
.LBB291_439:
	s_or_b64 exec, exec, s[6:7]
	s_barrier
	s_and_saveexec_b64 s[0:1], vcc
	s_cbranch_execz .LBB291_444
; %bb.440:
	s_mul_i32 s0, s4, 0x78
	s_ashr_i32 s1, s0, 31
	s_lshl_b64 s[0:1], s[0:1], 1
	s_add_u32 s2, s26, s0
	s_mul_i32 s0, s25, s24
	s_addc_u32 s3, s27, s1
	s_ashr_i32 s1, s0, 31
	s_lshl_b64 s[0:1], s[0:1], 1
	s_add_u32 s2, s2, s0
	s_mul_i32 s0, s8, 0x78
	s_addc_u32 s3, s3, s1
	s_ashr_i32 s1, s0, 31
	s_lshl_b64 s[0:1], s[0:1], 1
	s_add_u32 s2, s2, s0
	s_movk_i32 s5, 0x78
	s_addc_u32 s3, s3, s1
	v_cmp_eq_u32_e32 vcc, 0, v11
	v_lshlrev_b32_e32 v1, 1, v0
	s_and_saveexec_b64 s[0:1], vcc
	s_cbranch_execz .LBB291_442
; %bb.441:
	;;#ASMSTART
	v_cvt_f16_f32 v4, v4;

	;;#ASMEND
	global_store_short v1, v4, s[2:3]
	;;#ASMSTART
	v_cvt_f16_f32 v4, v5;

	;;#ASMEND
	global_store_short v1, v4, s[2:3] offset:64
	;;#ASMSTART
	v_cvt_f16_f32 v2, v2;

	;;#ASMEND
	global_store_short v1, v2, s[2:3] offset:128
.LBB291_442:
	s_or_b64 exec, exec, s[0:1]
	v_or_b32_e32 v0, 0x60, v0
	v_cmp_gt_u32_e64 s[0:1], s5, v0
	s_and_b64 s[0:1], vcc, s[0:1]
	s_and_b64 exec, exec, s[0:1]
	s_cbranch_execz .LBB291_444
; %bb.443:
	;;#ASMSTART
	v_cvt_f16_f32 v0, v3;

	;;#ASMEND
	global_store_short v1, v0, s[2:3] offset:192
.LBB291_444:
	s_endpgm
.LBB291_445:
	v_mov_b32_e32 v1, 0x100
	v_lshl_add_u32 v1, v0, 2, v1
	ds_read_b32 v1, v1
	s_waitcnt lgkmcnt(0)
	v_add_f32_e32 v4, v4, v1
	s_or_b64 exec, exec, s[2:3]
	s_and_saveexec_b64 s[2:3], s[0:1]
	s_cbranch_execz .LBB291_434
.LBB291_446:
	v_mov_b32_e32 v1, 0x100
	v_lshl_add_u32 v1, v0, 2, v1
	ds_read_b32 v1, v1 offset:128
	s_waitcnt lgkmcnt(0)
	v_add_f32_e32 v5, v5, v1
	s_or_b64 exec, exec, s[2:3]
	s_and_saveexec_b64 s[2:3], s[0:1]
	s_cbranch_execnz .LBB291_435
	s_branch .LBB291_436
	.section	.rodata,"a",@progbits
	.p2align	6, 0x0
	.amdhsa_kernel _ZN4vllm25paged_attention_v2_kernelIthLi120ELi16ELi128ELNS_18Fp8KVCacheDataTypeE1ELb0ELi512EEEvPfS2_PT_PKS3_PKT0_S9_ifPKiSB_iPKfiiiSD_SD_iiiii
		.amdhsa_group_segment_fixed_size 256
		.amdhsa_private_segment_fixed_size 0
		.amdhsa_kernarg_size 400
		.amdhsa_user_sgpr_count 6
		.amdhsa_user_sgpr_private_segment_buffer 1
		.amdhsa_user_sgpr_dispatch_ptr 0
		.amdhsa_user_sgpr_queue_ptr 0
		.amdhsa_user_sgpr_kernarg_segment_ptr 1
		.amdhsa_user_sgpr_dispatch_id 0
		.amdhsa_user_sgpr_flat_scratch_init 0
		.amdhsa_user_sgpr_kernarg_preload_length 0
		.amdhsa_user_sgpr_kernarg_preload_offset 0
		.amdhsa_user_sgpr_private_segment_size 0
		.amdhsa_uses_dynamic_stack 0
		.amdhsa_system_sgpr_private_segment_wavefront_offset 0
		.amdhsa_system_sgpr_workgroup_id_x 1
		.amdhsa_system_sgpr_workgroup_id_y 1
		.amdhsa_system_sgpr_workgroup_id_z 1
		.amdhsa_system_sgpr_workgroup_info 0
		.amdhsa_system_vgpr_workitem_id 0
		.amdhsa_next_free_vgpr 65
		.amdhsa_next_free_sgpr 53
		.amdhsa_accum_offset 68
		.amdhsa_reserve_vcc 1
		.amdhsa_reserve_flat_scratch 0
		.amdhsa_float_round_mode_32 0
		.amdhsa_float_round_mode_16_64 0
		.amdhsa_float_denorm_mode_32 3
		.amdhsa_float_denorm_mode_16_64 3
		.amdhsa_dx10_clamp 1
		.amdhsa_ieee_mode 1
		.amdhsa_fp16_overflow 0
		.amdhsa_tg_split 0
		.amdhsa_exception_fp_ieee_invalid_op 0
		.amdhsa_exception_fp_denorm_src 0
		.amdhsa_exception_fp_ieee_div_zero 0
		.amdhsa_exception_fp_ieee_overflow 0
		.amdhsa_exception_fp_ieee_underflow 0
		.amdhsa_exception_fp_ieee_inexact 0
		.amdhsa_exception_int_div_zero 0
	.end_amdhsa_kernel
	.section	.text._ZN4vllm25paged_attention_v2_kernelIthLi120ELi16ELi128ELNS_18Fp8KVCacheDataTypeE1ELb0ELi512EEEvPfS2_PT_PKS3_PKT0_S9_ifPKiSB_iPKfiiiSD_SD_iiiii,"axG",@progbits,_ZN4vllm25paged_attention_v2_kernelIthLi120ELi16ELi128ELNS_18Fp8KVCacheDataTypeE1ELb0ELi512EEEvPfS2_PT_PKS3_PKT0_S9_ifPKiSB_iPKfiiiSD_SD_iiiii,comdat
.Lfunc_end291:
	.size	_ZN4vllm25paged_attention_v2_kernelIthLi120ELi16ELi128ELNS_18Fp8KVCacheDataTypeE1ELb0ELi512EEEvPfS2_PT_PKS3_PKT0_S9_ifPKiSB_iPKfiiiSD_SD_iiiii, .Lfunc_end291-_ZN4vllm25paged_attention_v2_kernelIthLi120ELi16ELi128ELNS_18Fp8KVCacheDataTypeE1ELb0ELi512EEEvPfS2_PT_PKS3_PKT0_S9_ifPKiSB_iPKfiiiSD_SD_iiiii
                                        ; -- End function
	.section	.AMDGPU.csdata,"",@progbits
; Kernel info:
; codeLenInByte = 18440
; NumSgprs: 57
; NumVgprs: 65
; NumAgprs: 0
; TotalNumVgprs: 65
; ScratchSize: 0
; MemoryBound: 0
; FloatMode: 240
; IeeeMode: 1
; LDSByteSize: 256 bytes/workgroup (compile time only)
; SGPRBlocks: 7
; VGPRBlocks: 8
; NumSGPRsForWavesPerEU: 57
; NumVGPRsForWavesPerEU: 65
; AccumOffset: 68
; Occupancy: 7
; WaveLimiterHint : 1
; COMPUTE_PGM_RSRC2:SCRATCH_EN: 0
; COMPUTE_PGM_RSRC2:USER_SGPR: 6
; COMPUTE_PGM_RSRC2:TRAP_HANDLER: 0
; COMPUTE_PGM_RSRC2:TGID_X_EN: 1
; COMPUTE_PGM_RSRC2:TGID_Y_EN: 1
; COMPUTE_PGM_RSRC2:TGID_Z_EN: 1
; COMPUTE_PGM_RSRC2:TIDIG_COMP_CNT: 0
; COMPUTE_PGM_RSRC3_GFX90A:ACCUM_OFFSET: 16
; COMPUTE_PGM_RSRC3_GFX90A:TG_SPLIT: 0
	.section	.text._ZN4vllm25paged_attention_v2_kernelIthLi128ELi16ELi128ELNS_18Fp8KVCacheDataTypeE1ELb0ELi512EEEvPfS2_PT_PKS3_PKT0_S9_ifPKiSB_iPKfiiiSD_SD_iiiii,"axG",@progbits,_ZN4vllm25paged_attention_v2_kernelIthLi128ELi16ELi128ELNS_18Fp8KVCacheDataTypeE1ELb0ELi512EEEvPfS2_PT_PKS3_PKT0_S9_ifPKiSB_iPKfiiiSD_SD_iiiii,comdat
	.protected	_ZN4vllm25paged_attention_v2_kernelIthLi128ELi16ELi128ELNS_18Fp8KVCacheDataTypeE1ELb0ELi512EEEvPfS2_PT_PKS3_PKT0_S9_ifPKiSB_iPKfiiiSD_SD_iiiii ; -- Begin function _ZN4vllm25paged_attention_v2_kernelIthLi128ELi16ELi128ELNS_18Fp8KVCacheDataTypeE1ELb0ELi512EEEvPfS2_PT_PKS3_PKT0_S9_ifPKiSB_iPKfiiiSD_SD_iiiii
	.globl	_ZN4vllm25paged_attention_v2_kernelIthLi128ELi16ELi128ELNS_18Fp8KVCacheDataTypeE1ELb0ELi512EEEvPfS2_PT_PKS3_PKT0_S9_ifPKiSB_iPKfiiiSD_SD_iiiii
	.p2align	8
	.type	_ZN4vllm25paged_attention_v2_kernelIthLi128ELi16ELi128ELNS_18Fp8KVCacheDataTypeE1ELb0ELi512EEEvPfS2_PT_PKS3_PKT0_S9_ifPKiSB_iPKfiiiSD_SD_iiiii,@function
_ZN4vllm25paged_attention_v2_kernelIthLi128ELi16ELi128ELNS_18Fp8KVCacheDataTypeE1ELb0ELi512EEEvPfS2_PT_PKS3_PKT0_S9_ifPKiSB_iPKfiiiSD_SD_iiiii: ; @_ZN4vllm25paged_attention_v2_kernelIthLi128ELi16ELi128ELNS_18Fp8KVCacheDataTypeE1ELb0ELi512EEEvPfS2_PT_PKS3_PKT0_S9_ifPKiSB_iPKfiiiSD_SD_iiiii
; %bb.0:
	s_load_dwordx2 s[0:1], s[4:5], 0x40
	s_mov_b32 s28, s7
	s_ashr_i32 s29, s7, 31
	s_lshl_b64 s[2:3], s[28:29], 2
	s_waitcnt lgkmcnt(0)
	s_add_u32 s0, s0, s2
	s_addc_u32 s1, s1, s3
	s_load_dword s29, s[0:1], 0x0
	s_lshl_b32 s48, s8, 9
	s_waitcnt lgkmcnt(0)
	s_cmp_ge_i32 s48, s29
	s_cbranch_scc1 .LBB292_447
; %bb.1:
	s_load_dword s9, s[4:5], 0x90
	s_load_dwordx2 s[38:39], s[4:5], 0x30
	s_waitcnt lgkmcnt(0)
	s_abs_i32 s2, s9
	s_abs_i32 s0, s38
	v_cvt_f32_u32_e32 v1, s0
	s_sub_i32 s3, 0, s0
	s_xor_b32 s1, s9, s38
	s_ashr_i32 s1, s1, 31
	v_rcp_iflag_f32_e32 v1, v1
	s_mov_b32 s38, 0
	v_mul_f32_e32 v1, 0x4f7ffffe, v1
	v_cvt_u32_f32_e32 v1, v1
	v_readfirstlane_b32 s7, v1
	s_mul_i32 s3, s3, s7
	s_mul_hi_u32 s3, s7, s3
	s_add_i32 s7, s7, s3
	s_mul_hi_u32 s3, s2, s7
	s_mul_i32 s7, s3, s0
	s_sub_i32 s2, s2, s7
	s_add_i32 s10, s3, 1
	s_sub_i32 s7, s2, s0
	s_cmp_ge_u32 s2, s0
	s_cselect_b32 s3, s10, s3
	s_cselect_b32 s2, s7, s2
	s_add_i32 s7, s3, 1
	s_cmp_ge_u32 s2, s0
	s_cselect_b32 s0, s7, s3
	s_xor_b32 s0, s0, s1
	s_sub_i32 s2, s0, s1
	s_abs_i32 s10, s2
	v_cvt_f32_u32_e32 v1, s10
	s_load_dwordx2 s[0:1], s[4:5], 0x50
	s_sub_i32 s3, 0, s10
	s_abs_i32 s11, s6
	v_rcp_iflag_f32_e32 v1, v1
	v_mul_f32_e32 v1, 0x4f7ffffe, v1
	v_cvt_u32_f32_e32 v1, v1
	v_readfirstlane_b32 s7, v1
	s_mul_i32 s3, s3, s7
	s_mul_hi_u32 s3, s7, s3
	s_add_i32 s7, s7, s3
	s_waitcnt lgkmcnt(0)
	s_cmp_eq_u64 s[0:1], 0
	s_mul_hi_u32 s12, s11, s7
	s_cbranch_scc1 .LBB292_3
; %bb.2:
	s_ashr_i32 s7, s6, 31
	s_lshl_b64 s[14:15], s[6:7], 2
	s_add_u32 s0, s0, s14
	s_addc_u32 s1, s1, s15
	s_load_dword s38, s[0:1], 0x0
.LBB292_3:
	s_load_dwordx4 s[16:19], s[4:5], 0x58
	s_ashr_i32 s13, s6, 31
	s_ashr_i32 s14, s2, 31
	v_and_b32_e32 v8, 3, v0
	s_lshl_b32 s24, s6, 7
	v_cmp_gt_u32_e64 s[0:1], 64, v0
	s_and_saveexec_b64 s[2:3], s[0:1]
	s_cbranch_execz .LBB292_5
; %bb.4:
	s_load_dwordx2 s[20:21], s[4:5], 0x18
	s_waitcnt lgkmcnt(0)
	s_mul_i32 s22, s28, s16
	s_ashr_i32 s23, s22, 31
	s_lshl_b64 s[22:23], s[22:23], 1
	v_lshlrev_b32_e32 v1, 2, v0
	s_add_u32 s7, s20, s22
	s_addc_u32 s15, s21, s23
	s_ashr_i32 s25, s24, 31
	s_lshl_b64 s[20:21], s[24:25], 1
	s_add_u32 s20, s7, s20
	s_addc_u32 s21, s15, s21
	global_load_dword v1, v1, s[20:21]
	v_and_b32_e32 v2, 0x3fc, v0
	v_lshl_add_u32 v2, v8, 6, v2
	s_waitcnt vmcnt(0)
	ds_write_b32 v2, v1
.LBB292_5:
	s_or_b64 exec, exec, s[2:3]
	s_add_i32 s2, s29, 15
	s_ashr_i32 s3, s2, 31
	s_lshr_b32 s3, s3, 28
	s_add_i32 s2, s2, s3
	s_lshl_b32 s7, s8, 5
	s_mul_i32 s3, s12, s10
	s_waitcnt lgkmcnt(0)
	s_ashr_i32 s16, s2, 4
	s_add_i32 s2, s7, 32
	s_sub_i32 s3, s11, s3
	s_min_i32 s33, s2, s16
	s_xor_b32 s2, s13, s14
	s_add_i32 s11, s12, 1
	s_sub_i32 s13, s3, s10
	s_cmp_ge_u32 s3, s10
	s_cselect_b32 s11, s11, s12
	s_cselect_b32 s3, s13, s3
	s_add_i32 s12, s11, 1
	s_cmp_ge_u32 s3, s10
	s_load_dwordx2 s[30:31], s[4:5], 0x38
	s_load_dword s10, s[4:5], 0x48
	v_lshrrev_b32_e32 v1, 6, v0
	s_cselect_b32 s3, s12, s11
	s_xor_b32 s3, s3, s2
	v_or_b32_e32 v2, s7, v1
	s_waitcnt lgkmcnt(0)
	s_mul_i32 s34, s28, s10
	s_sub_i32 s49, s3, s2
	s_ashr_i32 s35, s34, 31
	v_cmp_gt_i32_e64 s[2:3], s33, v2
	v_cmp_le_i32_e32 vcc, s33, v2
	v_mbcnt_lo_u32_b32 v11, -1, 0
	s_barrier
	s_waitcnt lgkmcnt(0)
                                        ; implicit-def: $sgpr19
                                        ; implicit-def: $vgpr7
                                        ; implicit-def: $vgpr10
	s_and_saveexec_b64 s[10:11], vcc
	s_xor_b64 s[10:11], exec, s[10:11]
; %bb.6:
	v_mbcnt_hi_u32_b32 v7, -1, v11
	v_and_b32_e32 v3, 64, v7
	v_add_u32_e32 v10, 64, v3
	s_mov_b32 s19, 0xff7fffff
                                        ; implicit-def: $vgpr8
                                        ; implicit-def: $vgpr11
; %bb.7:
	s_or_saveexec_b64 s[40:41], s[10:11]
	s_load_dwordx4 s[20:23], s[4:5], 0x0
	s_load_dwordx2 s[26:27], s[4:5], 0x10
	s_load_dword s25, s[4:5], 0x98
	s_load_dwordx2 s[36:37], s[4:5], 0x28
	s_load_dwordx4 s[12:15], s[4:5], 0x68
	v_mov_b32_e32 v14, s19
	s_mul_i32 s49, s49, s18
	v_ashrrev_i32_e32 v3, 31, v2
	v_lshlrev_b32_e32 v13, 4, v1
	s_xor_b64 exec, exec, s[40:41]
	s_cbranch_execz .LBB292_205
; %bb.8:
	s_load_dwordx2 s[4:5], s[4:5], 0x20
	s_ashr_i32 s10, s49, 31
	v_bfe_u32 v7, v0, 2, 4
	v_lshlrev_b32_e32 v4, 4, v7
	v_add3_u32 v17, s48, v13, v7
	s_waitcnt lgkmcnt(0)
	s_add_u32 s4, s4, s49
	s_addc_u32 s5, s5, s10
	v_mov_b32_e32 v5, s5
	v_add_co_u32_e32 v4, vcc, s4, v4
	s_sub_i32 s51, 1, s29
	s_lshl_b64 s[10:11], s[34:35], 2
	v_addc_co_u32_e32 v5, vcc, 0, v5, vcc
	v_lshlrev_b32_e32 v7, 2, v7
	s_add_u32 s10, s30, s10
	v_lshlrev_b32_e32 v6, 1, v8
	v_lshlrev_b32_e32 v16, 6, v8
	v_cmp_eq_u32_e32 vcc, 0, v8
	v_lshl_or_b32 v7, v1, 6, v7
	v_lshlrev_b64 v[8:9], 2, v[2:3]
	s_addc_u32 s11, s31, s11
	v_add_u32_e32 v18, 0x110, v7
	v_mov_b32_e32 v7, s11
	v_add_co_u32_e64 v8, s[10:11], s10, v8
	s_mov_b32 s50, s17
	v_mov_b32_e32 v15, 0
	v_cmp_neq_f32_e64 s[4:5], s38, 0
	v_addc_co_u32_e64 v9, s[10:11], v7, v9, s[10:11]
	s_mov_b64 s[18:19], 0
	v_mov_b32_e32 v14, 0xff7fffff
	s_movk_i32 s52, 0x80
	s_movk_i32 s53, 0x7f
	s_mov_b32 s54, 0x8000
	v_mbcnt_hi_u32_b32 v7, -1, v11
	v_mov_b32_e32 v19, 0x2000
	v_mov_b32_e32 v20, v2
	s_branch .LBB292_10
.LBB292_9:                              ;   in Loop: Header=BB292_10 Depth=1
	s_or_b64 exec, exec, s[42:43]
	v_add_u32_e32 v20, 2, v20
	v_cmp_le_i32_e64 s[10:11], s33, v20
	s_or_b64 s[18:19], s[10:11], s[18:19]
	v_add_co_u32_e64 v8, s[10:11], 8, v8
	v_add_u32_e32 v17, 32, v17
	v_add_u32_e32 v18, 0x80, v18
	v_addc_co_u32_e64 v9, s[10:11], 0, v9, s[10:11]
	s_andn2_b64 exec, exec, s[18:19]
	s_cbranch_execz .LBB292_204
.LBB292_10:                             ; =>This Inner Loop Header: Depth=1
	global_load_dword v10, v[8:9], off
	s_waitcnt vmcnt(0)
	v_mad_i64_i32 v[10:11], s[10:11], v10, s50, v[4:5]
	v_add_co_u32_e64 v10, s[10:11], v10, v6
	v_addc_co_u32_e64 v11, s[10:11], 0, v11, s[10:11]
	global_load_ushort v22, v[10:11], off
	global_load_dword v21, v15, s[12:13]
	s_waitcnt vmcnt(1) lgkmcnt(0)
	v_and_b32_e32 v12, 0xffff, v22
	v_cmp_ne_u16_sdwa s[10:11], v22, v15 src0_sel:BYTE_0 src1_sel:DWORD
	v_mov_b32_e32 v22, 0
	s_and_saveexec_b64 s[42:43], s[10:11]
	s_cbranch_execz .LBB292_16
; %bb.11:                               ;   in Loop: Header=BB292_10 Depth=1
	v_cmp_ne_u16_sdwa s[10:11], v12, s52 src0_sel:BYTE_0 src1_sel:DWORD
	v_bfrev_b32_e32 v22, 1
	s_and_saveexec_b64 s[44:45], s[10:11]
	s_cbranch_execz .LBB292_15
; %bb.12:                               ;   in Loop: Header=BB292_10 Depth=1
	v_and_b32_e32 v23, 0x7f, v12
	v_cmp_ne_u32_e64 s[10:11], s53, v23
	v_mov_b32_e32 v22, 0x7fc02000
	s_and_saveexec_b64 s[46:47], s[10:11]
	s_cbranch_execz .LBB292_14
; %bb.13:                               ;   in Loop: Header=BB292_10 Depth=1
	v_and_b32_e32 v22, 7, v12
	v_ffbh_u32_e32 v24, v22
	v_min_u32_e32 v27, 32, v24
	v_subrev_u32_e32 v24, 28, v27
	v_lshlrev_b64 v[24:25], v24, v[12:13]
	v_lshrrev_b32_e32 v26, 3, v23
	v_sub_u32_e32 v25, 29, v27
	v_cmp_gt_u32_e64 s[10:11], 8, v23
	v_and_b32_e32 v24, 7, v24
	v_cndmask_b32_e64 v23, v26, v25, s[10:11]
	v_cndmask_b32_e64 v22, v22, v24, s[10:11]
	v_lshlrev_b32_e32 v24, 8, v12
	v_lshl_add_u32 v23, v23, 10, v19
	v_and_or_b32 v23, v24, s54, v23
	v_lshl_or_b32 v22, v22, 7, v23
	v_cvt_f32_f16_e32 v22, v22
.LBB292_14:                             ;   in Loop: Header=BB292_10 Depth=1
	s_or_b64 exec, exec, s[46:47]
.LBB292_15:                             ;   in Loop: Header=BB292_10 Depth=1
	s_or_b64 exec, exec, s[44:45]
.LBB292_16:                             ;   in Loop: Header=BB292_10 Depth=1
	s_or_b64 exec, exec, s[42:43]
	v_lshrrev_b16_e32 v12, 8, v12
	v_cmp_ne_u16_e64 s[10:11], 0, v12
	v_mov_b32_e32 v23, 0
	v_mov_b32_e32 v24, 0
	s_and_saveexec_b64 s[42:43], s[10:11]
	s_cbranch_execz .LBB292_22
; %bb.17:                               ;   in Loop: Header=BB292_10 Depth=1
	v_cmp_ne_u16_e64 s[10:11], s52, v12
	v_bfrev_b32_e32 v24, 1
	s_and_saveexec_b64 s[44:45], s[10:11]
	s_cbranch_execz .LBB292_21
; %bb.18:                               ;   in Loop: Header=BB292_10 Depth=1
	v_and_b32_e32 v25, 0x7f, v12
	v_cmp_ne_u32_e64 s[10:11], s53, v25
	v_mov_b32_e32 v24, 0x7fc02000
	s_and_saveexec_b64 s[46:47], s[10:11]
	s_cbranch_execz .LBB292_20
; %bb.19:                               ;   in Loop: Header=BB292_10 Depth=1
	v_and_b32_e32 v24, 7, v12
	v_ffbh_u32_e32 v26, v24
	v_min_u32_e32 v29, 32, v26
	v_subrev_u32_e32 v26, 28, v29
	v_lshlrev_b64 v[26:27], v26, v[12:13]
	v_lshrrev_b32_e32 v28, 3, v25
	v_sub_u32_e32 v27, 29, v29
	v_cmp_gt_u32_e64 s[10:11], 8, v25
	v_cndmask_b32_e64 v25, v28, v27, s[10:11]
	v_and_b32_e32 v26, 7, v26
	v_lshlrev_b32_e32 v12, 8, v12
	v_lshl_add_u32 v25, v25, 10, v19
	v_cndmask_b32_e64 v24, v24, v26, s[10:11]
	v_and_or_b32 v12, v12, s54, v25
	v_lshl_or_b32 v12, v24, 7, v12
	v_cvt_f32_f16_e32 v24, v12
.LBB292_20:                             ;   in Loop: Header=BB292_10 Depth=1
	s_or_b64 exec, exec, s[46:47]
.LBB292_21:                             ;   in Loop: Header=BB292_10 Depth=1
	s_or_b64 exec, exec, s[44:45]
.LBB292_22:                             ;   in Loop: Header=BB292_10 Depth=1
	s_or_b64 exec, exec, s[42:43]
	global_load_ushort v25, v[10:11], off offset:8
	s_waitcnt vmcnt(0)
	v_and_b32_e32 v12, 0xffff, v25
	v_cmp_ne_u16_sdwa s[10:11], v25, v15 src0_sel:BYTE_0 src1_sel:DWORD
	s_and_saveexec_b64 s[42:43], s[10:11]
	s_cbranch_execz .LBB292_28
; %bb.23:                               ;   in Loop: Header=BB292_10 Depth=1
	v_cmp_ne_u16_sdwa s[10:11], v12, s52 src0_sel:BYTE_0 src1_sel:DWORD
	v_bfrev_b32_e32 v23, 1
	s_and_saveexec_b64 s[44:45], s[10:11]
	s_cbranch_execz .LBB292_27
; %bb.24:                               ;   in Loop: Header=BB292_10 Depth=1
	v_and_b32_e32 v25, 0x7f, v12
	v_cmp_ne_u32_e64 s[10:11], s53, v25
	v_mov_b32_e32 v23, 0x7fc02000
	s_and_saveexec_b64 s[46:47], s[10:11]
	s_cbranch_execz .LBB292_26
; %bb.25:                               ;   in Loop: Header=BB292_10 Depth=1
	v_and_b32_e32 v23, 7, v12
	v_ffbh_u32_e32 v26, v23
	v_min_u32_e32 v29, 32, v26
	v_subrev_u32_e32 v26, 28, v29
	v_lshlrev_b64 v[26:27], v26, v[12:13]
	v_lshrrev_b32_e32 v28, 3, v25
	v_sub_u32_e32 v27, 29, v29
	v_cmp_gt_u32_e64 s[10:11], 8, v25
	v_and_b32_e32 v26, 7, v26
	v_cndmask_b32_e64 v25, v28, v27, s[10:11]
	v_cndmask_b32_e64 v23, v23, v26, s[10:11]
	v_lshlrev_b32_e32 v26, 8, v12
	v_lshl_add_u32 v25, v25, 10, v19
	v_and_or_b32 v25, v26, s54, v25
	v_lshl_or_b32 v23, v23, 7, v25
	v_cvt_f32_f16_e32 v23, v23
.LBB292_26:                             ;   in Loop: Header=BB292_10 Depth=1
	s_or_b64 exec, exec, s[46:47]
.LBB292_27:                             ;   in Loop: Header=BB292_10 Depth=1
	s_or_b64 exec, exec, s[44:45]
.LBB292_28:                             ;   in Loop: Header=BB292_10 Depth=1
	s_or_b64 exec, exec, s[42:43]
	v_lshrrev_b16_e32 v12, 8, v12
	v_cmp_ne_u16_e64 s[10:11], 0, v12
	v_mov_b32_e32 v25, 0
	v_mov_b32_e32 v26, 0
	s_and_saveexec_b64 s[42:43], s[10:11]
	s_cbranch_execz .LBB292_34
; %bb.29:                               ;   in Loop: Header=BB292_10 Depth=1
	v_cmp_ne_u16_e64 s[10:11], s52, v12
	v_bfrev_b32_e32 v26, 1
	s_and_saveexec_b64 s[44:45], s[10:11]
	s_cbranch_execz .LBB292_33
; %bb.30:                               ;   in Loop: Header=BB292_10 Depth=1
	v_and_b32_e32 v27, 0x7f, v12
	v_cmp_ne_u32_e64 s[10:11], s53, v27
	v_mov_b32_e32 v26, 0x7fc02000
	s_and_saveexec_b64 s[46:47], s[10:11]
	s_cbranch_execz .LBB292_32
; %bb.31:                               ;   in Loop: Header=BB292_10 Depth=1
	v_and_b32_e32 v26, 7, v12
	v_ffbh_u32_e32 v28, v26
	v_min_u32_e32 v31, 32, v28
	v_subrev_u32_e32 v28, 28, v31
	v_lshlrev_b64 v[28:29], v28, v[12:13]
	v_lshrrev_b32_e32 v30, 3, v27
	v_sub_u32_e32 v29, 29, v31
	v_cmp_gt_u32_e64 s[10:11], 8, v27
	v_cndmask_b32_e64 v27, v30, v29, s[10:11]
	v_and_b32_e32 v28, 7, v28
	v_lshlrev_b32_e32 v12, 8, v12
	v_lshl_add_u32 v27, v27, 10, v19
	v_cndmask_b32_e64 v26, v26, v28, s[10:11]
	v_and_or_b32 v12, v12, s54, v27
	v_lshl_or_b32 v12, v26, 7, v12
	v_cvt_f32_f16_e32 v26, v12
.LBB292_32:                             ;   in Loop: Header=BB292_10 Depth=1
	s_or_b64 exec, exec, s[46:47]
.LBB292_33:                             ;   in Loop: Header=BB292_10 Depth=1
	s_or_b64 exec, exec, s[44:45]
.LBB292_34:                             ;   in Loop: Header=BB292_10 Depth=1
	s_or_b64 exec, exec, s[42:43]
	global_load_ushort v27, v[10:11], off offset:256
	s_waitcnt vmcnt(0)
	v_and_b32_e32 v12, 0xffff, v27
	v_cmp_ne_u16_sdwa s[10:11], v27, v15 src0_sel:BYTE_0 src1_sel:DWORD
	s_and_saveexec_b64 s[42:43], s[10:11]
	s_cbranch_execz .LBB292_40
; %bb.35:                               ;   in Loop: Header=BB292_10 Depth=1
	v_cmp_ne_u16_sdwa s[10:11], v12, s52 src0_sel:BYTE_0 src1_sel:DWORD
	v_bfrev_b32_e32 v25, 1
	s_and_saveexec_b64 s[44:45], s[10:11]
	s_cbranch_execz .LBB292_39
; %bb.36:                               ;   in Loop: Header=BB292_10 Depth=1
	v_and_b32_e32 v27, 0x7f, v12
	v_cmp_ne_u32_e64 s[10:11], s53, v27
	v_mov_b32_e32 v25, 0x7fc02000
	s_and_saveexec_b64 s[46:47], s[10:11]
	s_cbranch_execz .LBB292_38
; %bb.37:                               ;   in Loop: Header=BB292_10 Depth=1
	v_and_b32_e32 v25, 7, v12
	v_ffbh_u32_e32 v28, v25
	v_min_u32_e32 v31, 32, v28
	v_subrev_u32_e32 v28, 28, v31
	v_lshlrev_b64 v[28:29], v28, v[12:13]
	v_lshrrev_b32_e32 v30, 3, v27
	v_sub_u32_e32 v29, 29, v31
	v_cmp_gt_u32_e64 s[10:11], 8, v27
	v_and_b32_e32 v28, 7, v28
	v_cndmask_b32_e64 v27, v30, v29, s[10:11]
	v_cndmask_b32_e64 v25, v25, v28, s[10:11]
	v_lshlrev_b32_e32 v28, 8, v12
	v_lshl_add_u32 v27, v27, 10, v19
	v_and_or_b32 v27, v28, s54, v27
	v_lshl_or_b32 v25, v25, 7, v27
	v_cvt_f32_f16_e32 v25, v25
.LBB292_38:                             ;   in Loop: Header=BB292_10 Depth=1
	s_or_b64 exec, exec, s[46:47]
.LBB292_39:                             ;   in Loop: Header=BB292_10 Depth=1
	s_or_b64 exec, exec, s[44:45]
.LBB292_40:                             ;   in Loop: Header=BB292_10 Depth=1
	s_or_b64 exec, exec, s[42:43]
	v_lshrrev_b16_e32 v12, 8, v12
	v_cmp_ne_u16_e64 s[10:11], 0, v12
	v_mov_b32_e32 v27, 0
	v_mov_b32_e32 v28, 0
	s_and_saveexec_b64 s[42:43], s[10:11]
	s_cbranch_execz .LBB292_46
; %bb.41:                               ;   in Loop: Header=BB292_10 Depth=1
	v_cmp_ne_u16_e64 s[10:11], s52, v12
	v_bfrev_b32_e32 v28, 1
	s_and_saveexec_b64 s[44:45], s[10:11]
	s_cbranch_execz .LBB292_45
; %bb.42:                               ;   in Loop: Header=BB292_10 Depth=1
	v_and_b32_e32 v29, 0x7f, v12
	v_cmp_ne_u32_e64 s[10:11], s53, v29
	v_mov_b32_e32 v28, 0x7fc02000
	s_and_saveexec_b64 s[46:47], s[10:11]
	s_cbranch_execz .LBB292_44
; %bb.43:                               ;   in Loop: Header=BB292_10 Depth=1
	v_and_b32_e32 v28, 7, v12
	v_ffbh_u32_e32 v30, v28
	v_min_u32_e32 v33, 32, v30
	v_subrev_u32_e32 v30, 28, v33
	v_lshlrev_b64 v[30:31], v30, v[12:13]
	v_lshrrev_b32_e32 v32, 3, v29
	v_sub_u32_e32 v31, 29, v33
	v_cmp_gt_u32_e64 s[10:11], 8, v29
	v_cndmask_b32_e64 v29, v32, v31, s[10:11]
	v_and_b32_e32 v30, 7, v30
	v_lshlrev_b32_e32 v12, 8, v12
	v_lshl_add_u32 v29, v29, 10, v19
	v_cndmask_b32_e64 v28, v28, v30, s[10:11]
	v_and_or_b32 v12, v12, s54, v29
	v_lshl_or_b32 v12, v28, 7, v12
	v_cvt_f32_f16_e32 v28, v12
.LBB292_44:                             ;   in Loop: Header=BB292_10 Depth=1
	s_or_b64 exec, exec, s[46:47]
.LBB292_45:                             ;   in Loop: Header=BB292_10 Depth=1
	s_or_b64 exec, exec, s[44:45]
.LBB292_46:                             ;   in Loop: Header=BB292_10 Depth=1
	s_or_b64 exec, exec, s[42:43]
	global_load_ushort v29, v[10:11], off offset:264
	s_waitcnt vmcnt(0)
	v_and_b32_e32 v12, 0xffff, v29
	v_cmp_ne_u16_sdwa s[10:11], v29, v15 src0_sel:BYTE_0 src1_sel:DWORD
	s_and_saveexec_b64 s[42:43], s[10:11]
	s_cbranch_execz .LBB292_52
; %bb.47:                               ;   in Loop: Header=BB292_10 Depth=1
	v_cmp_ne_u16_sdwa s[10:11], v12, s52 src0_sel:BYTE_0 src1_sel:DWORD
	v_bfrev_b32_e32 v27, 1
	s_and_saveexec_b64 s[44:45], s[10:11]
	s_cbranch_execz .LBB292_51
; %bb.48:                               ;   in Loop: Header=BB292_10 Depth=1
	v_and_b32_e32 v29, 0x7f, v12
	v_cmp_ne_u32_e64 s[10:11], s53, v29
	v_mov_b32_e32 v27, 0x7fc02000
	s_and_saveexec_b64 s[46:47], s[10:11]
	s_cbranch_execz .LBB292_50
; %bb.49:                               ;   in Loop: Header=BB292_10 Depth=1
	v_and_b32_e32 v27, 7, v12
	v_ffbh_u32_e32 v30, v27
	v_min_u32_e32 v33, 32, v30
	v_subrev_u32_e32 v30, 28, v33
	v_lshlrev_b64 v[30:31], v30, v[12:13]
	v_lshrrev_b32_e32 v32, 3, v29
	v_sub_u32_e32 v31, 29, v33
	v_cmp_gt_u32_e64 s[10:11], 8, v29
	v_and_b32_e32 v30, 7, v30
	v_cndmask_b32_e64 v29, v32, v31, s[10:11]
	v_cndmask_b32_e64 v27, v27, v30, s[10:11]
	v_lshlrev_b32_e32 v30, 8, v12
	v_lshl_add_u32 v29, v29, 10, v19
	v_and_or_b32 v29, v30, s54, v29
	v_lshl_or_b32 v27, v27, 7, v29
	v_cvt_f32_f16_e32 v27, v27
.LBB292_50:                             ;   in Loop: Header=BB292_10 Depth=1
	s_or_b64 exec, exec, s[46:47]
.LBB292_51:                             ;   in Loop: Header=BB292_10 Depth=1
	s_or_b64 exec, exec, s[44:45]
.LBB292_52:                             ;   in Loop: Header=BB292_10 Depth=1
	s_or_b64 exec, exec, s[42:43]
	v_lshrrev_b16_e32 v12, 8, v12
	v_cmp_ne_u16_e64 s[10:11], 0, v12
	v_mov_b32_e32 v29, 0
	v_mov_b32_e32 v30, 0
	s_and_saveexec_b64 s[42:43], s[10:11]
	s_cbranch_execz .LBB292_58
; %bb.53:                               ;   in Loop: Header=BB292_10 Depth=1
	v_cmp_ne_u16_e64 s[10:11], s52, v12
	v_bfrev_b32_e32 v30, 1
	s_and_saveexec_b64 s[44:45], s[10:11]
	s_cbranch_execz .LBB292_57
; %bb.54:                               ;   in Loop: Header=BB292_10 Depth=1
	v_and_b32_e32 v31, 0x7f, v12
	v_cmp_ne_u32_e64 s[10:11], s53, v31
	v_mov_b32_e32 v30, 0x7fc02000
	s_and_saveexec_b64 s[46:47], s[10:11]
	s_cbranch_execz .LBB292_56
; %bb.55:                               ;   in Loop: Header=BB292_10 Depth=1
	v_and_b32_e32 v30, 7, v12
	v_ffbh_u32_e32 v32, v30
	v_min_u32_e32 v35, 32, v32
	v_subrev_u32_e32 v32, 28, v35
	v_lshlrev_b64 v[32:33], v32, v[12:13]
	v_lshrrev_b32_e32 v34, 3, v31
	v_sub_u32_e32 v33, 29, v35
	v_cmp_gt_u32_e64 s[10:11], 8, v31
	v_cndmask_b32_e64 v31, v34, v33, s[10:11]
	v_and_b32_e32 v32, 7, v32
	v_lshlrev_b32_e32 v12, 8, v12
	v_lshl_add_u32 v31, v31, 10, v19
	v_cndmask_b32_e64 v30, v30, v32, s[10:11]
	v_and_or_b32 v12, v12, s54, v31
	v_lshl_or_b32 v12, v30, 7, v12
	v_cvt_f32_f16_e32 v30, v12
.LBB292_56:                             ;   in Loop: Header=BB292_10 Depth=1
	s_or_b64 exec, exec, s[46:47]
.LBB292_57:                             ;   in Loop: Header=BB292_10 Depth=1
	s_or_b64 exec, exec, s[44:45]
.LBB292_58:                             ;   in Loop: Header=BB292_10 Depth=1
	s_or_b64 exec, exec, s[42:43]
	global_load_ushort v31, v[10:11], off offset:512
	s_waitcnt vmcnt(0)
	v_and_b32_e32 v12, 0xffff, v31
	v_cmp_ne_u16_sdwa s[10:11], v31, v15 src0_sel:BYTE_0 src1_sel:DWORD
	s_and_saveexec_b64 s[42:43], s[10:11]
	s_cbranch_execz .LBB292_64
; %bb.59:                               ;   in Loop: Header=BB292_10 Depth=1
	v_cmp_ne_u16_sdwa s[10:11], v12, s52 src0_sel:BYTE_0 src1_sel:DWORD
	v_bfrev_b32_e32 v29, 1
	s_and_saveexec_b64 s[44:45], s[10:11]
	s_cbranch_execz .LBB292_63
; %bb.60:                               ;   in Loop: Header=BB292_10 Depth=1
	v_and_b32_e32 v31, 0x7f, v12
	v_cmp_ne_u32_e64 s[10:11], s53, v31
	v_mov_b32_e32 v29, 0x7fc02000
	s_and_saveexec_b64 s[46:47], s[10:11]
	s_cbranch_execz .LBB292_62
; %bb.61:                               ;   in Loop: Header=BB292_10 Depth=1
	v_and_b32_e32 v29, 7, v12
	v_ffbh_u32_e32 v32, v29
	v_min_u32_e32 v35, 32, v32
	v_subrev_u32_e32 v32, 28, v35
	v_lshlrev_b64 v[32:33], v32, v[12:13]
	v_lshrrev_b32_e32 v34, 3, v31
	v_sub_u32_e32 v33, 29, v35
	v_cmp_gt_u32_e64 s[10:11], 8, v31
	v_and_b32_e32 v32, 7, v32
	v_cndmask_b32_e64 v31, v34, v33, s[10:11]
	v_cndmask_b32_e64 v29, v29, v32, s[10:11]
	v_lshlrev_b32_e32 v32, 8, v12
	v_lshl_add_u32 v31, v31, 10, v19
	v_and_or_b32 v31, v32, s54, v31
	v_lshl_or_b32 v29, v29, 7, v31
	v_cvt_f32_f16_e32 v29, v29
.LBB292_62:                             ;   in Loop: Header=BB292_10 Depth=1
	s_or_b64 exec, exec, s[46:47]
.LBB292_63:                             ;   in Loop: Header=BB292_10 Depth=1
	s_or_b64 exec, exec, s[44:45]
.LBB292_64:                             ;   in Loop: Header=BB292_10 Depth=1
	s_or_b64 exec, exec, s[42:43]
	v_lshrrev_b16_e32 v12, 8, v12
	v_cmp_ne_u16_e64 s[10:11], 0, v12
	v_mov_b32_e32 v31, 0
	v_mov_b32_e32 v32, 0
	s_and_saveexec_b64 s[42:43], s[10:11]
	s_cbranch_execz .LBB292_70
; %bb.65:                               ;   in Loop: Header=BB292_10 Depth=1
	v_cmp_ne_u16_e64 s[10:11], s52, v12
	v_bfrev_b32_e32 v32, 1
	s_and_saveexec_b64 s[44:45], s[10:11]
	s_cbranch_execz .LBB292_69
; %bb.66:                               ;   in Loop: Header=BB292_10 Depth=1
	v_and_b32_e32 v33, 0x7f, v12
	v_cmp_ne_u32_e64 s[10:11], s53, v33
	v_mov_b32_e32 v32, 0x7fc02000
	s_and_saveexec_b64 s[46:47], s[10:11]
	s_cbranch_execz .LBB292_68
; %bb.67:                               ;   in Loop: Header=BB292_10 Depth=1
	v_and_b32_e32 v32, 7, v12
	v_ffbh_u32_e32 v34, v32
	v_min_u32_e32 v37, 32, v34
	v_subrev_u32_e32 v34, 28, v37
	v_lshlrev_b64 v[34:35], v34, v[12:13]
	v_lshrrev_b32_e32 v36, 3, v33
	v_sub_u32_e32 v35, 29, v37
	v_cmp_gt_u32_e64 s[10:11], 8, v33
	v_cndmask_b32_e64 v33, v36, v35, s[10:11]
	v_and_b32_e32 v34, 7, v34
	v_lshlrev_b32_e32 v12, 8, v12
	v_lshl_add_u32 v33, v33, 10, v19
	v_cndmask_b32_e64 v32, v32, v34, s[10:11]
	v_and_or_b32 v12, v12, s54, v33
	v_lshl_or_b32 v12, v32, 7, v12
	v_cvt_f32_f16_e32 v32, v12
.LBB292_68:                             ;   in Loop: Header=BB292_10 Depth=1
	s_or_b64 exec, exec, s[46:47]
.LBB292_69:                             ;   in Loop: Header=BB292_10 Depth=1
	s_or_b64 exec, exec, s[44:45]
.LBB292_70:                             ;   in Loop: Header=BB292_10 Depth=1
	s_or_b64 exec, exec, s[42:43]
	global_load_ushort v33, v[10:11], off offset:520
	s_waitcnt vmcnt(0)
	v_and_b32_e32 v12, 0xffff, v33
	v_cmp_ne_u16_sdwa s[10:11], v33, v15 src0_sel:BYTE_0 src1_sel:DWORD
	s_and_saveexec_b64 s[42:43], s[10:11]
	s_cbranch_execz .LBB292_76
; %bb.71:                               ;   in Loop: Header=BB292_10 Depth=1
	v_cmp_ne_u16_sdwa s[10:11], v12, s52 src0_sel:BYTE_0 src1_sel:DWORD
	v_bfrev_b32_e32 v31, 1
	s_and_saveexec_b64 s[44:45], s[10:11]
	s_cbranch_execz .LBB292_75
; %bb.72:                               ;   in Loop: Header=BB292_10 Depth=1
	v_and_b32_e32 v33, 0x7f, v12
	v_cmp_ne_u32_e64 s[10:11], s53, v33
	v_mov_b32_e32 v31, 0x7fc02000
	s_and_saveexec_b64 s[46:47], s[10:11]
	s_cbranch_execz .LBB292_74
; %bb.73:                               ;   in Loop: Header=BB292_10 Depth=1
	v_and_b32_e32 v31, 7, v12
	v_ffbh_u32_e32 v34, v31
	v_min_u32_e32 v37, 32, v34
	v_subrev_u32_e32 v34, 28, v37
	v_lshlrev_b64 v[34:35], v34, v[12:13]
	v_lshrrev_b32_e32 v36, 3, v33
	v_sub_u32_e32 v35, 29, v37
	v_cmp_gt_u32_e64 s[10:11], 8, v33
	v_and_b32_e32 v34, 7, v34
	v_cndmask_b32_e64 v33, v36, v35, s[10:11]
	v_cndmask_b32_e64 v31, v31, v34, s[10:11]
	v_lshlrev_b32_e32 v34, 8, v12
	v_lshl_add_u32 v33, v33, 10, v19
	v_and_or_b32 v33, v34, s54, v33
	v_lshl_or_b32 v31, v31, 7, v33
	v_cvt_f32_f16_e32 v31, v31
.LBB292_74:                             ;   in Loop: Header=BB292_10 Depth=1
	s_or_b64 exec, exec, s[46:47]
.LBB292_75:                             ;   in Loop: Header=BB292_10 Depth=1
	s_or_b64 exec, exec, s[44:45]
.LBB292_76:                             ;   in Loop: Header=BB292_10 Depth=1
	s_or_b64 exec, exec, s[42:43]
	v_lshrrev_b16_e32 v12, 8, v12
	v_cmp_ne_u16_e64 s[10:11], 0, v12
	v_mov_b32_e32 v33, 0
	v_mov_b32_e32 v34, 0
	s_and_saveexec_b64 s[42:43], s[10:11]
	s_cbranch_execz .LBB292_82
; %bb.77:                               ;   in Loop: Header=BB292_10 Depth=1
	v_cmp_ne_u16_e64 s[10:11], s52, v12
	v_bfrev_b32_e32 v34, 1
	s_and_saveexec_b64 s[44:45], s[10:11]
	s_cbranch_execz .LBB292_81
; %bb.78:                               ;   in Loop: Header=BB292_10 Depth=1
	v_and_b32_e32 v35, 0x7f, v12
	v_cmp_ne_u32_e64 s[10:11], s53, v35
	v_mov_b32_e32 v34, 0x7fc02000
	s_and_saveexec_b64 s[46:47], s[10:11]
	s_cbranch_execz .LBB292_80
; %bb.79:                               ;   in Loop: Header=BB292_10 Depth=1
	v_and_b32_e32 v34, 7, v12
	v_ffbh_u32_e32 v36, v34
	v_min_u32_e32 v39, 32, v36
	v_subrev_u32_e32 v36, 28, v39
	v_lshlrev_b64 v[36:37], v36, v[12:13]
	v_lshrrev_b32_e32 v38, 3, v35
	v_sub_u32_e32 v37, 29, v39
	v_cmp_gt_u32_e64 s[10:11], 8, v35
	v_cndmask_b32_e64 v35, v38, v37, s[10:11]
	v_and_b32_e32 v36, 7, v36
	v_lshlrev_b32_e32 v12, 8, v12
	v_lshl_add_u32 v35, v35, 10, v19
	v_cndmask_b32_e64 v34, v34, v36, s[10:11]
	v_and_or_b32 v12, v12, s54, v35
	v_lshl_or_b32 v12, v34, 7, v12
	v_cvt_f32_f16_e32 v34, v12
.LBB292_80:                             ;   in Loop: Header=BB292_10 Depth=1
	s_or_b64 exec, exec, s[46:47]
.LBB292_81:                             ;   in Loop: Header=BB292_10 Depth=1
	s_or_b64 exec, exec, s[44:45]
.LBB292_82:                             ;   in Loop: Header=BB292_10 Depth=1
	s_or_b64 exec, exec, s[42:43]
	global_load_ushort v35, v[10:11], off offset:768
	s_waitcnt vmcnt(0)
	v_and_b32_e32 v12, 0xffff, v35
	v_cmp_ne_u16_sdwa s[10:11], v35, v15 src0_sel:BYTE_0 src1_sel:DWORD
	s_and_saveexec_b64 s[42:43], s[10:11]
	s_cbranch_execz .LBB292_88
; %bb.83:                               ;   in Loop: Header=BB292_10 Depth=1
	v_cmp_ne_u16_sdwa s[10:11], v12, s52 src0_sel:BYTE_0 src1_sel:DWORD
	v_bfrev_b32_e32 v33, 1
	s_and_saveexec_b64 s[44:45], s[10:11]
	s_cbranch_execz .LBB292_87
; %bb.84:                               ;   in Loop: Header=BB292_10 Depth=1
	v_and_b32_e32 v35, 0x7f, v12
	v_cmp_ne_u32_e64 s[10:11], s53, v35
	v_mov_b32_e32 v33, 0x7fc02000
	s_and_saveexec_b64 s[46:47], s[10:11]
	s_cbranch_execz .LBB292_86
; %bb.85:                               ;   in Loop: Header=BB292_10 Depth=1
	v_and_b32_e32 v33, 7, v12
	v_ffbh_u32_e32 v36, v33
	v_min_u32_e32 v39, 32, v36
	v_subrev_u32_e32 v36, 28, v39
	v_lshlrev_b64 v[36:37], v36, v[12:13]
	v_lshrrev_b32_e32 v38, 3, v35
	v_sub_u32_e32 v37, 29, v39
	v_cmp_gt_u32_e64 s[10:11], 8, v35
	v_and_b32_e32 v36, 7, v36
	v_cndmask_b32_e64 v35, v38, v37, s[10:11]
	v_cndmask_b32_e64 v33, v33, v36, s[10:11]
	v_lshlrev_b32_e32 v36, 8, v12
	v_lshl_add_u32 v35, v35, 10, v19
	v_and_or_b32 v35, v36, s54, v35
	v_lshl_or_b32 v33, v33, 7, v35
	v_cvt_f32_f16_e32 v33, v33
.LBB292_86:                             ;   in Loop: Header=BB292_10 Depth=1
	s_or_b64 exec, exec, s[46:47]
.LBB292_87:                             ;   in Loop: Header=BB292_10 Depth=1
	s_or_b64 exec, exec, s[44:45]
.LBB292_88:                             ;   in Loop: Header=BB292_10 Depth=1
	s_or_b64 exec, exec, s[42:43]
	v_lshrrev_b16_e32 v12, 8, v12
	v_cmp_ne_u16_e64 s[10:11], 0, v12
	v_mov_b32_e32 v35, 0
	v_mov_b32_e32 v36, 0
	s_and_saveexec_b64 s[42:43], s[10:11]
	s_cbranch_execz .LBB292_94
; %bb.89:                               ;   in Loop: Header=BB292_10 Depth=1
	v_cmp_ne_u16_e64 s[10:11], s52, v12
	v_bfrev_b32_e32 v36, 1
	s_and_saveexec_b64 s[44:45], s[10:11]
	s_cbranch_execz .LBB292_93
; %bb.90:                               ;   in Loop: Header=BB292_10 Depth=1
	v_and_b32_e32 v37, 0x7f, v12
	v_cmp_ne_u32_e64 s[10:11], s53, v37
	v_mov_b32_e32 v36, 0x7fc02000
	s_and_saveexec_b64 s[46:47], s[10:11]
	s_cbranch_execz .LBB292_92
; %bb.91:                               ;   in Loop: Header=BB292_10 Depth=1
	v_and_b32_e32 v36, 7, v12
	v_ffbh_u32_e32 v38, v36
	v_min_u32_e32 v41, 32, v38
	v_subrev_u32_e32 v38, 28, v41
	v_lshlrev_b64 v[38:39], v38, v[12:13]
	v_lshrrev_b32_e32 v40, 3, v37
	v_sub_u32_e32 v39, 29, v41
	v_cmp_gt_u32_e64 s[10:11], 8, v37
	v_cndmask_b32_e64 v37, v40, v39, s[10:11]
	v_and_b32_e32 v38, 7, v38
	v_lshlrev_b32_e32 v12, 8, v12
	v_lshl_add_u32 v37, v37, 10, v19
	v_cndmask_b32_e64 v36, v36, v38, s[10:11]
	v_and_or_b32 v12, v12, s54, v37
	v_lshl_or_b32 v12, v36, 7, v12
	v_cvt_f32_f16_e32 v36, v12
.LBB292_92:                             ;   in Loop: Header=BB292_10 Depth=1
	s_or_b64 exec, exec, s[46:47]
.LBB292_93:                             ;   in Loop: Header=BB292_10 Depth=1
	s_or_b64 exec, exec, s[44:45]
.LBB292_94:                             ;   in Loop: Header=BB292_10 Depth=1
	s_or_b64 exec, exec, s[42:43]
	global_load_ushort v37, v[10:11], off offset:776
	s_waitcnt vmcnt(0)
	v_and_b32_e32 v12, 0xffff, v37
	v_cmp_ne_u16_sdwa s[10:11], v37, v15 src0_sel:BYTE_0 src1_sel:DWORD
	s_and_saveexec_b64 s[42:43], s[10:11]
	s_cbranch_execz .LBB292_100
; %bb.95:                               ;   in Loop: Header=BB292_10 Depth=1
	v_cmp_ne_u16_sdwa s[10:11], v12, s52 src0_sel:BYTE_0 src1_sel:DWORD
	v_bfrev_b32_e32 v35, 1
	s_and_saveexec_b64 s[44:45], s[10:11]
	s_cbranch_execz .LBB292_99
; %bb.96:                               ;   in Loop: Header=BB292_10 Depth=1
	v_and_b32_e32 v37, 0x7f, v12
	v_cmp_ne_u32_e64 s[10:11], s53, v37
	v_mov_b32_e32 v35, 0x7fc02000
	s_and_saveexec_b64 s[46:47], s[10:11]
	s_cbranch_execz .LBB292_98
; %bb.97:                               ;   in Loop: Header=BB292_10 Depth=1
	v_and_b32_e32 v35, 7, v12
	v_ffbh_u32_e32 v38, v35
	v_min_u32_e32 v41, 32, v38
	v_subrev_u32_e32 v38, 28, v41
	v_lshlrev_b64 v[38:39], v38, v[12:13]
	v_lshrrev_b32_e32 v40, 3, v37
	v_sub_u32_e32 v39, 29, v41
	v_cmp_gt_u32_e64 s[10:11], 8, v37
	v_and_b32_e32 v38, 7, v38
	v_cndmask_b32_e64 v37, v40, v39, s[10:11]
	v_cndmask_b32_e64 v35, v35, v38, s[10:11]
	v_lshlrev_b32_e32 v38, 8, v12
	v_lshl_add_u32 v37, v37, 10, v19
	v_and_or_b32 v37, v38, s54, v37
	v_lshl_or_b32 v35, v35, 7, v37
	v_cvt_f32_f16_e32 v35, v35
.LBB292_98:                             ;   in Loop: Header=BB292_10 Depth=1
	s_or_b64 exec, exec, s[46:47]
.LBB292_99:                             ;   in Loop: Header=BB292_10 Depth=1
	s_or_b64 exec, exec, s[44:45]
.LBB292_100:                            ;   in Loop: Header=BB292_10 Depth=1
	s_or_b64 exec, exec, s[42:43]
	v_lshrrev_b16_e32 v12, 8, v12
	v_cmp_ne_u16_e64 s[10:11], 0, v12
	v_mov_b32_e32 v38, 0
	v_mov_b32_e32 v37, 0
	s_and_saveexec_b64 s[42:43], s[10:11]
	s_cbranch_execz .LBB292_106
; %bb.101:                              ;   in Loop: Header=BB292_10 Depth=1
	v_cmp_ne_u16_e64 s[10:11], s52, v12
	v_bfrev_b32_e32 v37, 1
	s_and_saveexec_b64 s[44:45], s[10:11]
	s_cbranch_execz .LBB292_105
; %bb.102:                              ;   in Loop: Header=BB292_10 Depth=1
	v_and_b32_e32 v39, 0x7f, v12
	v_cmp_ne_u32_e64 s[10:11], s53, v39
	v_mov_b32_e32 v37, 0x7fc02000
	s_and_saveexec_b64 s[46:47], s[10:11]
	s_cbranch_execz .LBB292_104
; %bb.103:                              ;   in Loop: Header=BB292_10 Depth=1
	v_and_b32_e32 v37, 7, v12
	v_ffbh_u32_e32 v40, v37
	v_min_u32_e32 v43, 32, v40
	v_subrev_u32_e32 v40, 28, v43
	v_lshlrev_b64 v[40:41], v40, v[12:13]
	v_lshrrev_b32_e32 v42, 3, v39
	v_sub_u32_e32 v41, 29, v43
	v_cmp_gt_u32_e64 s[10:11], 8, v39
	v_cndmask_b32_e64 v39, v42, v41, s[10:11]
	v_and_b32_e32 v40, 7, v40
	v_lshlrev_b32_e32 v12, 8, v12
	v_lshl_add_u32 v39, v39, 10, v19
	v_cndmask_b32_e64 v37, v37, v40, s[10:11]
	v_and_or_b32 v12, v12, s54, v39
	v_lshl_or_b32 v12, v37, 7, v12
	v_cvt_f32_f16_e32 v37, v12
.LBB292_104:                            ;   in Loop: Header=BB292_10 Depth=1
	s_or_b64 exec, exec, s[46:47]
.LBB292_105:                            ;   in Loop: Header=BB292_10 Depth=1
	s_or_b64 exec, exec, s[44:45]
.LBB292_106:                            ;   in Loop: Header=BB292_10 Depth=1
	s_or_b64 exec, exec, s[42:43]
	global_load_ushort v39, v[10:11], off offset:1024
	s_waitcnt vmcnt(0)
	v_and_b32_e32 v12, 0xffff, v39
	v_cmp_ne_u16_sdwa s[10:11], v39, v15 src0_sel:BYTE_0 src1_sel:DWORD
	s_and_saveexec_b64 s[42:43], s[10:11]
	s_cbranch_execz .LBB292_112
; %bb.107:                              ;   in Loop: Header=BB292_10 Depth=1
	v_cmp_ne_u16_sdwa s[10:11], v12, s52 src0_sel:BYTE_0 src1_sel:DWORD
	v_bfrev_b32_e32 v38, 1
	s_and_saveexec_b64 s[44:45], s[10:11]
	s_cbranch_execz .LBB292_111
; %bb.108:                              ;   in Loop: Header=BB292_10 Depth=1
	v_and_b32_e32 v39, 0x7f, v12
	v_cmp_ne_u32_e64 s[10:11], s53, v39
	v_mov_b32_e32 v38, 0x7fc02000
	s_and_saveexec_b64 s[46:47], s[10:11]
	s_cbranch_execz .LBB292_110
; %bb.109:                              ;   in Loop: Header=BB292_10 Depth=1
	v_and_b32_e32 v38, 7, v12
	v_ffbh_u32_e32 v40, v38
	v_min_u32_e32 v43, 32, v40
	v_subrev_u32_e32 v40, 28, v43
	v_lshlrev_b64 v[40:41], v40, v[12:13]
	v_lshrrev_b32_e32 v42, 3, v39
	v_sub_u32_e32 v41, 29, v43
	v_cmp_gt_u32_e64 s[10:11], 8, v39
	v_and_b32_e32 v40, 7, v40
	v_cndmask_b32_e64 v39, v42, v41, s[10:11]
	v_cndmask_b32_e64 v38, v38, v40, s[10:11]
	v_lshlrev_b32_e32 v40, 8, v12
	v_lshl_add_u32 v39, v39, 10, v19
	v_and_or_b32 v39, v40, s54, v39
	v_lshl_or_b32 v38, v38, 7, v39
	v_cvt_f32_f16_e32 v38, v38
.LBB292_110:                            ;   in Loop: Header=BB292_10 Depth=1
	s_or_b64 exec, exec, s[46:47]
.LBB292_111:                            ;   in Loop: Header=BB292_10 Depth=1
	s_or_b64 exec, exec, s[44:45]
.LBB292_112:                            ;   in Loop: Header=BB292_10 Depth=1
	s_or_b64 exec, exec, s[42:43]
	v_lshrrev_b16_e32 v12, 8, v12
	v_cmp_ne_u16_e64 s[10:11], 0, v12
	v_mov_b32_e32 v40, 0
	v_mov_b32_e32 v39, 0
	s_and_saveexec_b64 s[42:43], s[10:11]
	s_cbranch_execz .LBB292_118
; %bb.113:                              ;   in Loop: Header=BB292_10 Depth=1
	v_cmp_ne_u16_e64 s[10:11], s52, v12
	v_bfrev_b32_e32 v39, 1
	s_and_saveexec_b64 s[44:45], s[10:11]
	s_cbranch_execz .LBB292_117
; %bb.114:                              ;   in Loop: Header=BB292_10 Depth=1
	v_and_b32_e32 v41, 0x7f, v12
	v_cmp_ne_u32_e64 s[10:11], s53, v41
	v_mov_b32_e32 v39, 0x7fc02000
	s_and_saveexec_b64 s[46:47], s[10:11]
	s_cbranch_execz .LBB292_116
; %bb.115:                              ;   in Loop: Header=BB292_10 Depth=1
	v_and_b32_e32 v39, 7, v12
	v_ffbh_u32_e32 v42, v39
	v_min_u32_e32 v45, 32, v42
	v_subrev_u32_e32 v42, 28, v45
	v_lshlrev_b64 v[42:43], v42, v[12:13]
	v_lshrrev_b32_e32 v44, 3, v41
	v_sub_u32_e32 v43, 29, v45
	v_cmp_gt_u32_e64 s[10:11], 8, v41
	v_cndmask_b32_e64 v41, v44, v43, s[10:11]
	v_and_b32_e32 v42, 7, v42
	v_lshlrev_b32_e32 v12, 8, v12
	v_lshl_add_u32 v41, v41, 10, v19
	v_cndmask_b32_e64 v39, v39, v42, s[10:11]
	v_and_or_b32 v12, v12, s54, v41
	v_lshl_or_b32 v12, v39, 7, v12
	v_cvt_f32_f16_e32 v39, v12
.LBB292_116:                            ;   in Loop: Header=BB292_10 Depth=1
	s_or_b64 exec, exec, s[46:47]
.LBB292_117:                            ;   in Loop: Header=BB292_10 Depth=1
	s_or_b64 exec, exec, s[44:45]
.LBB292_118:                            ;   in Loop: Header=BB292_10 Depth=1
	s_or_b64 exec, exec, s[42:43]
	global_load_ushort v41, v[10:11], off offset:1032
	s_waitcnt vmcnt(0)
	v_and_b32_e32 v12, 0xffff, v41
	v_cmp_ne_u16_sdwa s[10:11], v41, v15 src0_sel:BYTE_0 src1_sel:DWORD
	s_and_saveexec_b64 s[42:43], s[10:11]
	s_cbranch_execz .LBB292_124
; %bb.119:                              ;   in Loop: Header=BB292_10 Depth=1
	v_cmp_ne_u16_sdwa s[10:11], v12, s52 src0_sel:BYTE_0 src1_sel:DWORD
	v_bfrev_b32_e32 v40, 1
	s_and_saveexec_b64 s[44:45], s[10:11]
	s_cbranch_execz .LBB292_123
; %bb.120:                              ;   in Loop: Header=BB292_10 Depth=1
	v_and_b32_e32 v41, 0x7f, v12
	v_cmp_ne_u32_e64 s[10:11], s53, v41
	v_mov_b32_e32 v40, 0x7fc02000
	s_and_saveexec_b64 s[46:47], s[10:11]
	s_cbranch_execz .LBB292_122
; %bb.121:                              ;   in Loop: Header=BB292_10 Depth=1
	v_and_b32_e32 v40, 7, v12
	v_ffbh_u32_e32 v42, v40
	v_min_u32_e32 v45, 32, v42
	v_subrev_u32_e32 v42, 28, v45
	v_lshlrev_b64 v[42:43], v42, v[12:13]
	v_lshrrev_b32_e32 v44, 3, v41
	v_sub_u32_e32 v43, 29, v45
	v_cmp_gt_u32_e64 s[10:11], 8, v41
	v_and_b32_e32 v42, 7, v42
	v_cndmask_b32_e64 v41, v44, v43, s[10:11]
	v_cndmask_b32_e64 v40, v40, v42, s[10:11]
	v_lshlrev_b32_e32 v42, 8, v12
	v_lshl_add_u32 v41, v41, 10, v19
	v_and_or_b32 v41, v42, s54, v41
	v_lshl_or_b32 v40, v40, 7, v41
	v_cvt_f32_f16_e32 v40, v40
.LBB292_122:                            ;   in Loop: Header=BB292_10 Depth=1
	s_or_b64 exec, exec, s[46:47]
.LBB292_123:                            ;   in Loop: Header=BB292_10 Depth=1
	s_or_b64 exec, exec, s[44:45]
.LBB292_124:                            ;   in Loop: Header=BB292_10 Depth=1
	s_or_b64 exec, exec, s[42:43]
	v_lshrrev_b16_e32 v12, 8, v12
	v_cmp_ne_u16_e64 s[10:11], 0, v12
	v_mov_b32_e32 v42, 0
	v_mov_b32_e32 v41, 0
	s_and_saveexec_b64 s[42:43], s[10:11]
	s_cbranch_execz .LBB292_130
; %bb.125:                              ;   in Loop: Header=BB292_10 Depth=1
	v_cmp_ne_u16_e64 s[10:11], s52, v12
	v_bfrev_b32_e32 v41, 1
	s_and_saveexec_b64 s[44:45], s[10:11]
	s_cbranch_execz .LBB292_129
; %bb.126:                              ;   in Loop: Header=BB292_10 Depth=1
	v_and_b32_e32 v43, 0x7f, v12
	v_cmp_ne_u32_e64 s[10:11], s53, v43
	v_mov_b32_e32 v41, 0x7fc02000
	s_and_saveexec_b64 s[46:47], s[10:11]
	s_cbranch_execz .LBB292_128
; %bb.127:                              ;   in Loop: Header=BB292_10 Depth=1
	v_and_b32_e32 v41, 7, v12
	v_ffbh_u32_e32 v44, v41
	v_min_u32_e32 v47, 32, v44
	v_subrev_u32_e32 v44, 28, v47
	v_lshlrev_b64 v[44:45], v44, v[12:13]
	v_lshrrev_b32_e32 v46, 3, v43
	v_sub_u32_e32 v45, 29, v47
	v_cmp_gt_u32_e64 s[10:11], 8, v43
	v_cndmask_b32_e64 v43, v46, v45, s[10:11]
	v_and_b32_e32 v44, 7, v44
	v_lshlrev_b32_e32 v12, 8, v12
	v_lshl_add_u32 v43, v43, 10, v19
	v_cndmask_b32_e64 v41, v41, v44, s[10:11]
	v_and_or_b32 v12, v12, s54, v43
	v_lshl_or_b32 v12, v41, 7, v12
	v_cvt_f32_f16_e32 v41, v12
.LBB292_128:                            ;   in Loop: Header=BB292_10 Depth=1
	s_or_b64 exec, exec, s[46:47]
.LBB292_129:                            ;   in Loop: Header=BB292_10 Depth=1
	s_or_b64 exec, exec, s[44:45]
.LBB292_130:                            ;   in Loop: Header=BB292_10 Depth=1
	s_or_b64 exec, exec, s[42:43]
	global_load_ushort v43, v[10:11], off offset:1280
	s_waitcnt vmcnt(0)
	v_and_b32_e32 v12, 0xffff, v43
	v_cmp_ne_u16_sdwa s[10:11], v43, v15 src0_sel:BYTE_0 src1_sel:DWORD
	s_and_saveexec_b64 s[42:43], s[10:11]
	s_cbranch_execz .LBB292_136
; %bb.131:                              ;   in Loop: Header=BB292_10 Depth=1
	v_cmp_ne_u16_sdwa s[10:11], v12, s52 src0_sel:BYTE_0 src1_sel:DWORD
	v_bfrev_b32_e32 v42, 1
	s_and_saveexec_b64 s[44:45], s[10:11]
	s_cbranch_execz .LBB292_135
; %bb.132:                              ;   in Loop: Header=BB292_10 Depth=1
	v_and_b32_e32 v43, 0x7f, v12
	v_cmp_ne_u32_e64 s[10:11], s53, v43
	v_mov_b32_e32 v42, 0x7fc02000
	s_and_saveexec_b64 s[46:47], s[10:11]
	s_cbranch_execz .LBB292_134
; %bb.133:                              ;   in Loop: Header=BB292_10 Depth=1
	v_and_b32_e32 v42, 7, v12
	v_ffbh_u32_e32 v44, v42
	v_min_u32_e32 v47, 32, v44
	v_subrev_u32_e32 v44, 28, v47
	v_lshlrev_b64 v[44:45], v44, v[12:13]
	v_lshrrev_b32_e32 v46, 3, v43
	v_sub_u32_e32 v45, 29, v47
	v_cmp_gt_u32_e64 s[10:11], 8, v43
	v_and_b32_e32 v44, 7, v44
	v_cndmask_b32_e64 v43, v46, v45, s[10:11]
	v_cndmask_b32_e64 v42, v42, v44, s[10:11]
	v_lshlrev_b32_e32 v44, 8, v12
	v_lshl_add_u32 v43, v43, 10, v19
	v_and_or_b32 v43, v44, s54, v43
	v_lshl_or_b32 v42, v42, 7, v43
	v_cvt_f32_f16_e32 v42, v42
.LBB292_134:                            ;   in Loop: Header=BB292_10 Depth=1
	s_or_b64 exec, exec, s[46:47]
.LBB292_135:                            ;   in Loop: Header=BB292_10 Depth=1
	s_or_b64 exec, exec, s[44:45]
.LBB292_136:                            ;   in Loop: Header=BB292_10 Depth=1
	s_or_b64 exec, exec, s[42:43]
	v_lshrrev_b16_e32 v12, 8, v12
	v_cmp_ne_u16_e64 s[10:11], 0, v12
	v_mov_b32_e32 v44, 0
	v_mov_b32_e32 v43, 0
	s_and_saveexec_b64 s[42:43], s[10:11]
	s_cbranch_execz .LBB292_142
; %bb.137:                              ;   in Loop: Header=BB292_10 Depth=1
	v_cmp_ne_u16_e64 s[10:11], s52, v12
	v_bfrev_b32_e32 v43, 1
	s_and_saveexec_b64 s[44:45], s[10:11]
	s_cbranch_execz .LBB292_141
; %bb.138:                              ;   in Loop: Header=BB292_10 Depth=1
	v_and_b32_e32 v45, 0x7f, v12
	v_cmp_ne_u32_e64 s[10:11], s53, v45
	v_mov_b32_e32 v43, 0x7fc02000
	s_and_saveexec_b64 s[46:47], s[10:11]
	s_cbranch_execz .LBB292_140
; %bb.139:                              ;   in Loop: Header=BB292_10 Depth=1
	v_and_b32_e32 v43, 7, v12
	v_ffbh_u32_e32 v46, v43
	v_min_u32_e32 v49, 32, v46
	v_subrev_u32_e32 v46, 28, v49
	v_lshlrev_b64 v[46:47], v46, v[12:13]
	v_lshrrev_b32_e32 v48, 3, v45
	v_sub_u32_e32 v47, 29, v49
	v_cmp_gt_u32_e64 s[10:11], 8, v45
	v_cndmask_b32_e64 v45, v48, v47, s[10:11]
	v_and_b32_e32 v46, 7, v46
	v_lshlrev_b32_e32 v12, 8, v12
	v_lshl_add_u32 v45, v45, 10, v19
	v_cndmask_b32_e64 v43, v43, v46, s[10:11]
	v_and_or_b32 v12, v12, s54, v45
	v_lshl_or_b32 v12, v43, 7, v12
	v_cvt_f32_f16_e32 v43, v12
.LBB292_140:                            ;   in Loop: Header=BB292_10 Depth=1
	s_or_b64 exec, exec, s[46:47]
.LBB292_141:                            ;   in Loop: Header=BB292_10 Depth=1
	s_or_b64 exec, exec, s[44:45]
.LBB292_142:                            ;   in Loop: Header=BB292_10 Depth=1
	s_or_b64 exec, exec, s[42:43]
	global_load_ushort v45, v[10:11], off offset:1288
	s_waitcnt vmcnt(0)
	v_and_b32_e32 v12, 0xffff, v45
	v_cmp_ne_u16_sdwa s[10:11], v45, v15 src0_sel:BYTE_0 src1_sel:DWORD
	s_and_saveexec_b64 s[42:43], s[10:11]
	s_cbranch_execz .LBB292_148
; %bb.143:                              ;   in Loop: Header=BB292_10 Depth=1
	v_cmp_ne_u16_sdwa s[10:11], v12, s52 src0_sel:BYTE_0 src1_sel:DWORD
	v_bfrev_b32_e32 v44, 1
	s_and_saveexec_b64 s[44:45], s[10:11]
	s_cbranch_execz .LBB292_147
; %bb.144:                              ;   in Loop: Header=BB292_10 Depth=1
	v_and_b32_e32 v45, 0x7f, v12
	v_cmp_ne_u32_e64 s[10:11], s53, v45
	v_mov_b32_e32 v44, 0x7fc02000
	s_and_saveexec_b64 s[46:47], s[10:11]
	s_cbranch_execz .LBB292_146
; %bb.145:                              ;   in Loop: Header=BB292_10 Depth=1
	v_and_b32_e32 v44, 7, v12
	v_ffbh_u32_e32 v46, v44
	v_min_u32_e32 v49, 32, v46
	v_subrev_u32_e32 v46, 28, v49
	v_lshlrev_b64 v[46:47], v46, v[12:13]
	v_lshrrev_b32_e32 v48, 3, v45
	v_sub_u32_e32 v47, 29, v49
	v_cmp_gt_u32_e64 s[10:11], 8, v45
	v_and_b32_e32 v46, 7, v46
	v_cndmask_b32_e64 v45, v48, v47, s[10:11]
	v_cndmask_b32_e64 v44, v44, v46, s[10:11]
	v_lshlrev_b32_e32 v46, 8, v12
	v_lshl_add_u32 v45, v45, 10, v19
	v_and_or_b32 v45, v46, s54, v45
	v_lshl_or_b32 v44, v44, 7, v45
	v_cvt_f32_f16_e32 v44, v44
.LBB292_146:                            ;   in Loop: Header=BB292_10 Depth=1
	s_or_b64 exec, exec, s[46:47]
.LBB292_147:                            ;   in Loop: Header=BB292_10 Depth=1
	s_or_b64 exec, exec, s[44:45]
.LBB292_148:                            ;   in Loop: Header=BB292_10 Depth=1
	s_or_b64 exec, exec, s[42:43]
	v_lshrrev_b16_e32 v12, 8, v12
	v_cmp_ne_u16_e64 s[10:11], 0, v12
	v_mov_b32_e32 v46, 0
	v_mov_b32_e32 v45, 0
	s_and_saveexec_b64 s[42:43], s[10:11]
	s_cbranch_execz .LBB292_154
; %bb.149:                              ;   in Loop: Header=BB292_10 Depth=1
	v_cmp_ne_u16_e64 s[10:11], s52, v12
	v_bfrev_b32_e32 v45, 1
	s_and_saveexec_b64 s[44:45], s[10:11]
	s_cbranch_execz .LBB292_153
; %bb.150:                              ;   in Loop: Header=BB292_10 Depth=1
	v_and_b32_e32 v47, 0x7f, v12
	v_cmp_ne_u32_e64 s[10:11], s53, v47
	v_mov_b32_e32 v45, 0x7fc02000
	s_and_saveexec_b64 s[46:47], s[10:11]
	s_cbranch_execz .LBB292_152
; %bb.151:                              ;   in Loop: Header=BB292_10 Depth=1
	v_and_b32_e32 v45, 7, v12
	v_ffbh_u32_e32 v48, v45
	v_min_u32_e32 v51, 32, v48
	v_subrev_u32_e32 v48, 28, v51
	v_lshlrev_b64 v[48:49], v48, v[12:13]
	v_lshrrev_b32_e32 v50, 3, v47
	v_sub_u32_e32 v49, 29, v51
	v_cmp_gt_u32_e64 s[10:11], 8, v47
	v_cndmask_b32_e64 v47, v50, v49, s[10:11]
	v_and_b32_e32 v48, 7, v48
	v_lshlrev_b32_e32 v12, 8, v12
	v_lshl_add_u32 v47, v47, 10, v19
	v_cndmask_b32_e64 v45, v45, v48, s[10:11]
	v_and_or_b32 v12, v12, s54, v47
	v_lshl_or_b32 v12, v45, 7, v12
	v_cvt_f32_f16_e32 v45, v12
.LBB292_152:                            ;   in Loop: Header=BB292_10 Depth=1
	s_or_b64 exec, exec, s[46:47]
.LBB292_153:                            ;   in Loop: Header=BB292_10 Depth=1
	s_or_b64 exec, exec, s[44:45]
.LBB292_154:                            ;   in Loop: Header=BB292_10 Depth=1
	s_or_b64 exec, exec, s[42:43]
	global_load_ushort v47, v[10:11], off offset:1536
	s_waitcnt vmcnt(0)
	v_and_b32_e32 v12, 0xffff, v47
	v_cmp_ne_u16_sdwa s[10:11], v47, v15 src0_sel:BYTE_0 src1_sel:DWORD
	s_and_saveexec_b64 s[42:43], s[10:11]
	s_cbranch_execz .LBB292_160
; %bb.155:                              ;   in Loop: Header=BB292_10 Depth=1
	v_cmp_ne_u16_sdwa s[10:11], v12, s52 src0_sel:BYTE_0 src1_sel:DWORD
	v_bfrev_b32_e32 v46, 1
	s_and_saveexec_b64 s[44:45], s[10:11]
	s_cbranch_execz .LBB292_159
; %bb.156:                              ;   in Loop: Header=BB292_10 Depth=1
	v_and_b32_e32 v47, 0x7f, v12
	v_cmp_ne_u32_e64 s[10:11], s53, v47
	v_mov_b32_e32 v46, 0x7fc02000
	s_and_saveexec_b64 s[46:47], s[10:11]
	s_cbranch_execz .LBB292_158
; %bb.157:                              ;   in Loop: Header=BB292_10 Depth=1
	v_and_b32_e32 v46, 7, v12
	v_ffbh_u32_e32 v48, v46
	v_min_u32_e32 v51, 32, v48
	v_subrev_u32_e32 v48, 28, v51
	v_lshlrev_b64 v[48:49], v48, v[12:13]
	v_lshrrev_b32_e32 v50, 3, v47
	v_sub_u32_e32 v49, 29, v51
	v_cmp_gt_u32_e64 s[10:11], 8, v47
	v_and_b32_e32 v48, 7, v48
	v_cndmask_b32_e64 v47, v50, v49, s[10:11]
	v_cndmask_b32_e64 v46, v46, v48, s[10:11]
	v_lshlrev_b32_e32 v48, 8, v12
	v_lshl_add_u32 v47, v47, 10, v19
	v_and_or_b32 v47, v48, s54, v47
	v_lshl_or_b32 v46, v46, 7, v47
	v_cvt_f32_f16_e32 v46, v46
.LBB292_158:                            ;   in Loop: Header=BB292_10 Depth=1
	s_or_b64 exec, exec, s[46:47]
.LBB292_159:                            ;   in Loop: Header=BB292_10 Depth=1
	s_or_b64 exec, exec, s[44:45]
.LBB292_160:                            ;   in Loop: Header=BB292_10 Depth=1
	s_or_b64 exec, exec, s[42:43]
	v_lshrrev_b16_e32 v12, 8, v12
	v_cmp_ne_u16_e64 s[10:11], 0, v12
	v_mov_b32_e32 v48, 0
	v_mov_b32_e32 v47, 0
	s_and_saveexec_b64 s[42:43], s[10:11]
	s_cbranch_execz .LBB292_166
; %bb.161:                              ;   in Loop: Header=BB292_10 Depth=1
	v_cmp_ne_u16_e64 s[10:11], s52, v12
	v_bfrev_b32_e32 v47, 1
	s_and_saveexec_b64 s[44:45], s[10:11]
	s_cbranch_execz .LBB292_165
; %bb.162:                              ;   in Loop: Header=BB292_10 Depth=1
	v_and_b32_e32 v49, 0x7f, v12
	v_cmp_ne_u32_e64 s[10:11], s53, v49
	v_mov_b32_e32 v47, 0x7fc02000
	s_and_saveexec_b64 s[46:47], s[10:11]
	s_cbranch_execz .LBB292_164
; %bb.163:                              ;   in Loop: Header=BB292_10 Depth=1
	v_and_b32_e32 v47, 7, v12
	v_ffbh_u32_e32 v50, v47
	v_min_u32_e32 v53, 32, v50
	v_subrev_u32_e32 v50, 28, v53
	v_lshlrev_b64 v[50:51], v50, v[12:13]
	v_lshrrev_b32_e32 v52, 3, v49
	v_sub_u32_e32 v51, 29, v53
	v_cmp_gt_u32_e64 s[10:11], 8, v49
	v_cndmask_b32_e64 v49, v52, v51, s[10:11]
	v_and_b32_e32 v50, 7, v50
	v_lshlrev_b32_e32 v12, 8, v12
	v_lshl_add_u32 v49, v49, 10, v19
	v_cndmask_b32_e64 v47, v47, v50, s[10:11]
	v_and_or_b32 v12, v12, s54, v49
	v_lshl_or_b32 v12, v47, 7, v12
	v_cvt_f32_f16_e32 v47, v12
.LBB292_164:                            ;   in Loop: Header=BB292_10 Depth=1
	s_or_b64 exec, exec, s[46:47]
.LBB292_165:                            ;   in Loop: Header=BB292_10 Depth=1
	s_or_b64 exec, exec, s[44:45]
.LBB292_166:                            ;   in Loop: Header=BB292_10 Depth=1
	s_or_b64 exec, exec, s[42:43]
	global_load_ushort v49, v[10:11], off offset:1544
	s_waitcnt vmcnt(0)
	v_and_b32_e32 v12, 0xffff, v49
	v_cmp_ne_u16_sdwa s[10:11], v49, v15 src0_sel:BYTE_0 src1_sel:DWORD
	s_and_saveexec_b64 s[42:43], s[10:11]
	s_cbranch_execz .LBB292_172
; %bb.167:                              ;   in Loop: Header=BB292_10 Depth=1
	v_cmp_ne_u16_sdwa s[10:11], v12, s52 src0_sel:BYTE_0 src1_sel:DWORD
	v_bfrev_b32_e32 v48, 1
	s_and_saveexec_b64 s[44:45], s[10:11]
	s_cbranch_execz .LBB292_171
; %bb.168:                              ;   in Loop: Header=BB292_10 Depth=1
	v_and_b32_e32 v49, 0x7f, v12
	v_cmp_ne_u32_e64 s[10:11], s53, v49
	v_mov_b32_e32 v48, 0x7fc02000
	s_and_saveexec_b64 s[46:47], s[10:11]
	s_cbranch_execz .LBB292_170
; %bb.169:                              ;   in Loop: Header=BB292_10 Depth=1
	v_and_b32_e32 v48, 7, v12
	v_ffbh_u32_e32 v50, v48
	v_min_u32_e32 v53, 32, v50
	v_subrev_u32_e32 v50, 28, v53
	v_lshlrev_b64 v[50:51], v50, v[12:13]
	v_lshrrev_b32_e32 v52, 3, v49
	v_sub_u32_e32 v51, 29, v53
	v_cmp_gt_u32_e64 s[10:11], 8, v49
	v_and_b32_e32 v50, 7, v50
	v_cndmask_b32_e64 v49, v52, v51, s[10:11]
	v_cndmask_b32_e64 v48, v48, v50, s[10:11]
	v_lshlrev_b32_e32 v50, 8, v12
	v_lshl_add_u32 v49, v49, 10, v19
	v_and_or_b32 v49, v50, s54, v49
	v_lshl_or_b32 v48, v48, 7, v49
	v_cvt_f32_f16_e32 v48, v48
.LBB292_170:                            ;   in Loop: Header=BB292_10 Depth=1
	s_or_b64 exec, exec, s[46:47]
.LBB292_171:                            ;   in Loop: Header=BB292_10 Depth=1
	s_or_b64 exec, exec, s[44:45]
.LBB292_172:                            ;   in Loop: Header=BB292_10 Depth=1
	s_or_b64 exec, exec, s[42:43]
	v_lshrrev_b16_e32 v12, 8, v12
	v_cmp_ne_u16_e64 s[10:11], 0, v12
	v_mov_b32_e32 v51, 0
	v_mov_b32_e32 v49, 0
	s_and_saveexec_b64 s[42:43], s[10:11]
	s_cbranch_execz .LBB292_178
; %bb.173:                              ;   in Loop: Header=BB292_10 Depth=1
	v_cmp_ne_u16_e64 s[10:11], s52, v12
	v_bfrev_b32_e32 v49, 1
	s_and_saveexec_b64 s[44:45], s[10:11]
	s_cbranch_execz .LBB292_177
; %bb.174:                              ;   in Loop: Header=BB292_10 Depth=1
	v_and_b32_e32 v50, 0x7f, v12
	v_cmp_ne_u32_e64 s[10:11], s53, v50
	v_mov_b32_e32 v49, 0x7fc02000
	s_and_saveexec_b64 s[46:47], s[10:11]
	s_cbranch_execz .LBB292_176
; %bb.175:                              ;   in Loop: Header=BB292_10 Depth=1
	v_and_b32_e32 v49, 7, v12
	v_ffbh_u32_e32 v52, v49
	v_min_u32_e32 v55, 32, v52
	v_subrev_u32_e32 v52, 28, v55
	v_lshlrev_b64 v[52:53], v52, v[12:13]
	v_lshrrev_b32_e32 v54, 3, v50
	v_sub_u32_e32 v53, 29, v55
	v_cmp_gt_u32_e64 s[10:11], 8, v50
	v_cndmask_b32_e64 v50, v54, v53, s[10:11]
	v_and_b32_e32 v52, 7, v52
	v_lshlrev_b32_e32 v12, 8, v12
	v_lshl_add_u32 v50, v50, 10, v19
	v_cndmask_b32_e64 v49, v49, v52, s[10:11]
	v_and_or_b32 v12, v12, s54, v50
	v_lshl_or_b32 v12, v49, 7, v12
	v_cvt_f32_f16_e32 v49, v12
.LBB292_176:                            ;   in Loop: Header=BB292_10 Depth=1
	s_or_b64 exec, exec, s[46:47]
.LBB292_177:                            ;   in Loop: Header=BB292_10 Depth=1
	s_or_b64 exec, exec, s[44:45]
.LBB292_178:                            ;   in Loop: Header=BB292_10 Depth=1
	s_or_b64 exec, exec, s[42:43]
	global_load_ushort v50, v[10:11], off offset:1792
	s_waitcnt vmcnt(0)
	v_and_b32_e32 v12, 0xffff, v50
	v_cmp_ne_u16_sdwa s[10:11], v50, v15 src0_sel:BYTE_0 src1_sel:DWORD
	s_and_saveexec_b64 s[42:43], s[10:11]
	s_cbranch_execz .LBB292_184
; %bb.179:                              ;   in Loop: Header=BB292_10 Depth=1
	v_cmp_ne_u16_sdwa s[10:11], v12, s52 src0_sel:BYTE_0 src1_sel:DWORD
	v_bfrev_b32_e32 v51, 1
	s_and_saveexec_b64 s[44:45], s[10:11]
	s_cbranch_execz .LBB292_183
; %bb.180:                              ;   in Loop: Header=BB292_10 Depth=1
	v_and_b32_e32 v50, 0x7f, v12
	v_cmp_ne_u32_e64 s[10:11], s53, v50
	v_mov_b32_e32 v51, 0x7fc02000
	s_and_saveexec_b64 s[46:47], s[10:11]
	s_cbranch_execz .LBB292_182
; %bb.181:                              ;   in Loop: Header=BB292_10 Depth=1
	v_and_b32_e32 v51, 7, v12
	v_ffbh_u32_e32 v52, v51
	v_min_u32_e32 v55, 32, v52
	v_subrev_u32_e32 v52, 28, v55
	v_lshlrev_b64 v[52:53], v52, v[12:13]
	v_lshrrev_b32_e32 v54, 3, v50
	v_sub_u32_e32 v53, 29, v55
	v_cmp_gt_u32_e64 s[10:11], 8, v50
	v_and_b32_e32 v52, 7, v52
	v_cndmask_b32_e64 v50, v54, v53, s[10:11]
	v_cndmask_b32_e64 v51, v51, v52, s[10:11]
	v_lshlrev_b32_e32 v52, 8, v12
	v_lshl_add_u32 v50, v50, 10, v19
	v_and_or_b32 v50, v52, s54, v50
	v_lshl_or_b32 v50, v51, 7, v50
	v_cvt_f32_f16_e32 v51, v50
.LBB292_182:                            ;   in Loop: Header=BB292_10 Depth=1
	s_or_b64 exec, exec, s[46:47]
.LBB292_183:                            ;   in Loop: Header=BB292_10 Depth=1
	s_or_b64 exec, exec, s[44:45]
.LBB292_184:                            ;   in Loop: Header=BB292_10 Depth=1
	s_or_b64 exec, exec, s[42:43]
	v_lshrrev_b16_e32 v12, 8, v12
	v_cmp_ne_u16_e64 s[10:11], 0, v12
	v_mov_b32_e32 v50, 0
	v_mov_b32_e32 v52, 0
	s_and_saveexec_b64 s[42:43], s[10:11]
	s_cbranch_execz .LBB292_190
; %bb.185:                              ;   in Loop: Header=BB292_10 Depth=1
	v_cmp_ne_u16_e64 s[10:11], s52, v12
	v_bfrev_b32_e32 v52, 1
	s_and_saveexec_b64 s[44:45], s[10:11]
	s_cbranch_execz .LBB292_189
; %bb.186:                              ;   in Loop: Header=BB292_10 Depth=1
	v_and_b32_e32 v53, 0x7f, v12
	v_cmp_ne_u32_e64 s[10:11], s53, v53
	v_mov_b32_e32 v52, 0x7fc02000
	s_and_saveexec_b64 s[46:47], s[10:11]
	s_cbranch_execz .LBB292_188
; %bb.187:                              ;   in Loop: Header=BB292_10 Depth=1
	v_and_b32_e32 v52, 7, v12
	v_ffbh_u32_e32 v54, v52
	v_min_u32_e32 v57, 32, v54
	v_subrev_u32_e32 v54, 28, v57
	v_lshlrev_b64 v[54:55], v54, v[12:13]
	v_lshrrev_b32_e32 v56, 3, v53
	v_sub_u32_e32 v55, 29, v57
	v_cmp_gt_u32_e64 s[10:11], 8, v53
	v_cndmask_b32_e64 v53, v56, v55, s[10:11]
	v_and_b32_e32 v54, 7, v54
	v_lshlrev_b32_e32 v12, 8, v12
	v_lshl_add_u32 v53, v53, 10, v19
	v_cndmask_b32_e64 v52, v52, v54, s[10:11]
	v_and_or_b32 v12, v12, s54, v53
	v_lshl_or_b32 v12, v52, 7, v12
	v_cvt_f32_f16_e32 v52, v12
.LBB292_188:                            ;   in Loop: Header=BB292_10 Depth=1
	s_or_b64 exec, exec, s[46:47]
.LBB292_189:                            ;   in Loop: Header=BB292_10 Depth=1
	s_or_b64 exec, exec, s[44:45]
.LBB292_190:                            ;   in Loop: Header=BB292_10 Depth=1
	s_or_b64 exec, exec, s[42:43]
	global_load_ushort v11, v[10:11], off offset:1800
	s_waitcnt vmcnt(0)
	v_and_b32_e32 v10, 0xffff, v11
	v_cmp_ne_u16_sdwa s[10:11], v11, v15 src0_sel:BYTE_0 src1_sel:DWORD
	s_and_saveexec_b64 s[42:43], s[10:11]
	s_cbranch_execz .LBB292_196
; %bb.191:                              ;   in Loop: Header=BB292_10 Depth=1
	v_cmp_ne_u16_sdwa s[10:11], v10, s52 src0_sel:BYTE_0 src1_sel:DWORD
	v_bfrev_b32_e32 v50, 1
	s_and_saveexec_b64 s[44:45], s[10:11]
	s_cbranch_execz .LBB292_195
; %bb.192:                              ;   in Loop: Header=BB292_10 Depth=1
	v_and_b32_e32 v11, 0x7f, v10
	v_cmp_ne_u32_e64 s[10:11], s53, v11
	v_mov_b32_e32 v50, 0x7fc02000
	s_and_saveexec_b64 s[46:47], s[10:11]
	s_cbranch_execz .LBB292_194
; %bb.193:                              ;   in Loop: Header=BB292_10 Depth=1
	v_and_b32_e32 v12, 7, v10
	v_ffbh_u32_e32 v53, v12
	v_min_u32_e32 v53, 32, v53
	v_lshrrev_b32_e32 v50, 3, v11
	v_subrev_u32_e32 v54, 28, v53
	v_sub_u32_e32 v53, 29, v53
	v_cmp_gt_u32_e64 s[10:11], 8, v11
	v_lshlrev_b64 v[54:55], v54, v[10:11]
	v_cndmask_b32_e64 v11, v50, v53, s[10:11]
	v_and_b32_e32 v54, 7, v54
	v_lshlrev_b32_e32 v50, 8, v10
	v_lshl_add_u32 v11, v11, 10, v19
	v_cndmask_b32_e64 v12, v12, v54, s[10:11]
	v_and_or_b32 v11, v50, s54, v11
	v_lshl_or_b32 v11, v12, 7, v11
	v_cvt_f32_f16_e32 v50, v11
.LBB292_194:                            ;   in Loop: Header=BB292_10 Depth=1
	s_or_b64 exec, exec, s[46:47]
.LBB292_195:                            ;   in Loop: Header=BB292_10 Depth=1
	s_or_b64 exec, exec, s[44:45]
.LBB292_196:                            ;   in Loop: Header=BB292_10 Depth=1
	s_or_b64 exec, exec, s[42:43]
	v_lshrrev_b16_e32 v10, 8, v10
	v_cmp_ne_u16_e64 s[10:11], 0, v10
	v_mov_b32_e32 v11, 0
	s_and_saveexec_b64 s[42:43], s[10:11]
	s_cbranch_execz .LBB292_202
; %bb.197:                              ;   in Loop: Header=BB292_10 Depth=1
	v_cmp_ne_u16_e64 s[10:11], s52, v10
	v_bfrev_b32_e32 v11, 1
	s_and_saveexec_b64 s[44:45], s[10:11]
	s_cbranch_execz .LBB292_201
; %bb.198:                              ;   in Loop: Header=BB292_10 Depth=1
	v_and_b32_e32 v12, 0x7f, v10
	v_cmp_ne_u32_e64 s[10:11], s53, v12
	v_mov_b32_e32 v11, 0x7fc02000
	s_and_saveexec_b64 s[46:47], s[10:11]
	s_cbranch_execz .LBB292_200
; %bb.199:                              ;   in Loop: Header=BB292_10 Depth=1
	v_and_b32_e32 v11, 7, v10
	v_ffbh_u32_e32 v54, v11
	v_min_u32_e32 v56, 32, v54
	v_subrev_u32_e32 v54, 28, v56
	v_lshlrev_b64 v[54:55], v54, v[10:11]
	v_lshrrev_b32_e32 v53, 3, v12
	v_sub_u32_e32 v55, 29, v56
	v_cmp_gt_u32_e64 s[10:11], 8, v12
	v_cndmask_b32_e64 v12, v53, v55, s[10:11]
	v_and_b32_e32 v54, 7, v54
	v_lshlrev_b32_e32 v10, 8, v10
	v_lshl_add_u32 v12, v12, 10, v19
	v_cndmask_b32_e64 v11, v11, v54, s[10:11]
	v_and_or_b32 v10, v10, s54, v12
	v_lshl_or_b32 v10, v11, 7, v10
	v_cvt_f32_f16_e32 v11, v10
.LBB292_200:                            ;   in Loop: Header=BB292_10 Depth=1
	s_or_b64 exec, exec, s[46:47]
.LBB292_201:                            ;   in Loop: Header=BB292_10 Depth=1
	s_or_b64 exec, exec, s[44:45]
.LBB292_202:                            ;   in Loop: Header=BB292_10 Depth=1
	s_or_b64 exec, exec, s[42:43]
	ds_read_b32 v10, v16
	v_fma_mixlo_f16 v12, v21, v22, 0
	v_fma_mixlo_f16 v22, v21, v24, 0
	v_and_b32_e32 v12, 0xffff, v12
	v_and_b32_e32 v22, 0xffff, v22
	s_waitcnt lgkmcnt(0)
	v_lshrrev_b32_e32 v24, 16, v10
	v_and_b32_e32 v10, 0xffff, v10
	;;#ASMSTART
	v_cvt_f32_f16 v10, v10;
	;;#ASMEND
	;;#ASMSTART
	v_cvt_f32_f16 v24, v24;
	;;#ASMEND
	;;#ASMSTART
	v_cvt_f32_f16 v12, v12;
	;;#ASMEND
	;;#ASMSTART
	v_cvt_f32_f16 v22, v22;
	;;#ASMEND
	ds_read_b32 v53, v16 offset:4
	v_fma_mixlo_f16 v23, v21, v23, 0
	v_fma_mixlo_f16 v26, v21, v26, 0
	v_and_b32_e32 v23, 0xffff, v23
	v_and_b32_e32 v26, 0xffff, v26
	s_waitcnt lgkmcnt(0)
	v_lshrrev_b32_e32 v54, 16, v53
	v_and_b32_e32 v53, 0xffff, v53
	;;#ASMSTART
	v_cvt_f32_f16 v53, v53;
	;;#ASMEND
	;;#ASMSTART
	v_cvt_f32_f16 v54, v54;
	;;#ASMEND
	;;#ASMSTART
	v_cvt_f32_f16 v23, v23;
	;;#ASMEND
	;;#ASMSTART
	v_cvt_f32_f16 v26, v26;
	;;#ASMEND
	ds_read_b32 v55, v16 offset:8
	;; [unrolled: 20-line block ×8, first 2 shown]
	v_fma_mixlo_f16 v51, v21, v51, 0
	v_fma_mixlo_f16 v52, v21, v52, 0
	;; [unrolled: 1-line block ×16, first 2 shown]
	v_mul_f32_e32 v21, v53, v23
	v_fmac_f32_e32 v21, v10, v12
	s_waitcnt lgkmcnt(0)
	v_lshrrev_b32_e32 v10, 16, v67
	v_and_b32_e32 v12, 0xffff, v67
	v_and_b32_e32 v23, 0xffff, v38
	;; [unrolled: 1-line block ×3, first 2 shown]
	;;#ASMSTART
	v_cvt_f32_f16 v12, v12;
	;;#ASMEND
	;;#ASMSTART
	v_cvt_f32_f16 v10, v10;
	;;#ASMEND
	;; [unrolled: 3-line block ×4, first 2 shown]
	ds_read_b32 v39, v16 offset:36
	v_mul_f32_e32 v26, v54, v26
	v_fmac_f32_e32 v26, v24, v22
	v_fmac_f32_e32 v21, v55, v25
	v_fmac_f32_e32 v26, v56, v28
	s_waitcnt lgkmcnt(0)
	v_lshrrev_b32_e32 v22, 16, v39
	v_and_b32_e32 v24, 0xffff, v39
	v_and_b32_e32 v25, 0xffff, v40
	v_and_b32_e32 v28, 0xffff, v41
	;;#ASMSTART
	v_cvt_f32_f16 v24, v24;
	;;#ASMEND
	;;#ASMSTART
	v_cvt_f32_f16 v22, v22;
	;;#ASMEND
	;;#ASMSTART
	v_cvt_f32_f16 v25, v25;
	;;#ASMEND
	;;#ASMSTART
	v_cvt_f32_f16 v28, v28;
	;;#ASMEND
	ds_read_b32 v39, v16 offset:40
	v_fmac_f32_e32 v21, v57, v27
	v_fmac_f32_e32 v26, v58, v30
	v_fmac_f32_e32 v21, v59, v29
	v_fmac_f32_e32 v26, v60, v32
	s_waitcnt lgkmcnt(0)
	v_lshrrev_b32_e32 v27, 16, v39
	v_and_b32_e32 v29, 0xffff, v39
	v_and_b32_e32 v30, 0xffff, v42
	v_and_b32_e32 v32, 0xffff, v43
	;;#ASMSTART
	v_cvt_f32_f16 v29, v29;
	;;#ASMEND
	;;#ASMSTART
	v_cvt_f32_f16 v27, v27;
	;;#ASMEND
	;;#ASMSTART
	v_cvt_f32_f16 v30, v30;
	;;#ASMEND
	;;#ASMSTART
	v_cvt_f32_f16 v32, v32;
	;;#ASMEND
	ds_read_b32 v39, v16 offset:44
	v_fmac_f32_e32 v21, v61, v31
	;; [unrolled: 22-line block ×4, first 2 shown]
	v_fmac_f32_e32 v21, v24, v25
	v_fmac_f32_e32 v26, v27, v32
	v_and_b32_e32 v25, 0xffff, v48
	s_waitcnt lgkmcnt(0)
	v_lshrrev_b32_e32 v22, 16, v37
	v_and_b32_e32 v24, 0xffff, v37
	v_and_b32_e32 v27, 0xffff, v49
	;;#ASMSTART
	v_cvt_f32_f16 v24, v24;
	;;#ASMEND
	;;#ASMSTART
	v_cvt_f32_f16 v22, v22;
	;;#ASMEND
	;;#ASMSTART
	v_cvt_f32_f16 v25, v25;
	;;#ASMEND
	;;#ASMSTART
	v_cvt_f32_f16 v27, v27;
	;;#ASMEND
	ds_read_b32 v28, v16 offset:56
	v_fmac_f32_e32 v21, v29, v30
	v_fmac_f32_e32 v21, v33, v34
	;; [unrolled: 1-line block ×5, first 2 shown]
	s_waitcnt lgkmcnt(0)
	v_lshrrev_b32_e32 v10, 16, v28
	v_and_b32_e32 v12, 0xffff, v28
	v_and_b32_e32 v23, 0xffff, v51
	;; [unrolled: 1-line block ×3, first 2 shown]
	;;#ASMSTART
	v_cvt_f32_f16 v12, v12;
	;;#ASMEND
	;;#ASMSTART
	v_cvt_f32_f16 v10, v10;
	;;#ASMEND
	;; [unrolled: 3-line block ×4, first 2 shown]
	ds_read_b32 v29, v16 offset:60
	v_fmac_f32_e32 v21, v24, v25
	v_fmac_f32_e32 v26, v22, v27
	;; [unrolled: 1-line block ×4, first 2 shown]
	s_waitcnt lgkmcnt(0)
	v_lshrrev_b32_e32 v10, 16, v29
	v_and_b32_e32 v12, 0xffff, v29
	;;#ASMSTART
	v_cvt_f32_f16 v12, v12;
	;;#ASMEND
	;;#ASMSTART
	v_cvt_f32_f16 v10, v10;
	;;#ASMEND
	v_and_b32_e32 v22, 0xffff, v50
	v_and_b32_e32 v11, 0xffff, v11
	;;#ASMSTART
	v_cvt_f32_f16 v22, v22;
	;;#ASMEND
	;;#ASMSTART
	v_cvt_f32_f16 v11, v11;
	;;#ASMEND
	v_fmac_f32_e32 v26, v10, v11
	v_and_b32_e32 v10, 64, v7
	v_fmac_f32_e32 v21, v12, v22
	v_add_u32_e32 v10, 64, v10
	v_xor_b32_e32 v12, 2, v7
	v_cmp_lt_i32_e64 s[10:11], v12, v10
	v_cndmask_b32_e64 v12, v7, v12, s[10:11]
	v_add_f32_e32 v11, v21, v26
	v_lshlrev_b32_e32 v12, 2, v12
	ds_bpermute_b32 v12, v12, v11
	s_waitcnt lgkmcnt(0)
	v_add_f32_e32 v11, v11, v12
	v_xor_b32_e32 v12, 1, v7
	v_cmp_lt_i32_e64 s[10:11], v12, v10
	v_cndmask_b32_e64 v12, v7, v12, s[10:11]
	v_lshlrev_b32_e32 v12, 2, v12
	ds_bpermute_b32 v12, v12, v11
	s_and_saveexec_b64 s[42:43], vcc
	s_cbranch_execz .LBB292_9
; %bb.203:                              ;   in Loop: Header=BB292_10 Depth=1
	v_add_u32_e32 v21, s51, v17
	v_cvt_f32_i32_e32 v21, v21
	s_waitcnt lgkmcnt(0)
	v_add_f32_e32 v11, v11, v12
	v_cmp_gt_i32_e64 s[10:11], s29, v17
	v_max_f32_e32 v12, v14, v14
	v_mul_f32_e32 v21, s38, v21
	v_cndmask_b32_e64 v21, 0, v21, s[4:5]
	v_fmac_f32_e32 v21, s39, v11
	v_cndmask_b32_e64 v11, 0, v21, s[10:11]
	ds_write_b32 v18, v11
	v_max_f32_e32 v11, v12, v21
	v_cndmask_b32_e64 v14, v14, v11, s[10:11]
	s_branch .LBB292_9
.LBB292_204:
	s_or_b64 exec, exec, s[18:19]
.LBB292_205:
	s_or_b64 exec, exec, s[40:41]
	v_xor_b32_e32 v4, 32, v7
	v_cmp_lt_i32_e32 vcc, v4, v10
	v_cndmask_b32_e32 v4, v7, v4, vcc
	v_lshlrev_b32_e32 v4, 2, v4
	ds_bpermute_b32 v5, v4, v14
	v_xor_b32_e32 v8, 16, v7
	v_max_f32_e32 v6, v14, v14
	v_cmp_lt_i32_e32 vcc, v8, v10
	v_xor_b32_e32 v9, 8, v7
	s_waitcnt lgkmcnt(0)
	v_max_f32_e32 v5, v5, v5
	v_max_f32_e32 v6, v6, v5
	v_cndmask_b32_e32 v5, v7, v8, vcc
	v_lshlrev_b32_e32 v5, 2, v5
	ds_bpermute_b32 v8, v5, v6
	v_cmp_lt_i32_e32 vcc, v9, v10
	v_and_b32_e32 v17, 63, v0
	s_waitcnt lgkmcnt(0)
	v_max_f32_e32 v8, v8, v8
	v_max_f32_e32 v6, v6, v8
	v_cndmask_b32_e32 v8, v7, v9, vcc
	v_lshlrev_b32_e32 v11, 2, v8
	ds_bpermute_b32 v8, v11, v6
	v_xor_b32_e32 v9, 4, v7
	v_cmp_lt_i32_e32 vcc, v9, v10
	s_waitcnt lgkmcnt(0)
	v_max_f32_e32 v8, v8, v8
	v_max_f32_e32 v6, v6, v8
	v_cndmask_b32_e32 v8, v7, v9, vcc
	v_lshlrev_b32_e32 v12, 2, v8
	ds_bpermute_b32 v9, v12, v6
	v_cmp_eq_u32_e32 vcc, 0, v17
	v_lshlrev_b32_e32 v8, 2, v1
	s_and_saveexec_b64 s[4:5], vcc
	s_cbranch_execz .LBB292_207
; %bb.206:
	s_waitcnt lgkmcnt(0)
	v_max_f32_e32 v9, v9, v9
	v_max_f32_e32 v6, v6, v6
	;; [unrolled: 1-line block ×3, first 2 shown]
	ds_write_b32 v8, v6 offset:256
.LBB292_207:
	s_or_b64 exec, exec, s[4:5]
	v_cmp_gt_u32_e64 s[4:5], 2, v17
	v_mov_b32_e32 v6, 0xff7fffff
	s_waitcnt lgkmcnt(0)
	v_lshlrev_b32_e32 v9, 2, v17
	s_barrier
	s_and_saveexec_b64 s[10:11], s[4:5]
	s_cbranch_execz .LBB292_209
; %bb.208:
	ds_read_b32 v6, v9 offset:256
.LBB292_209:
	s_or_b64 exec, exec, s[10:11]
	v_xor_b32_e32 v14, 1, v7
	v_cmp_lt_i32_e64 s[10:11], v14, v10
	v_cndmask_b32_e64 v14, v7, v14, s[10:11]
	v_lshlrev_b32_e32 v24, 2, v14
	s_waitcnt lgkmcnt(0)
	ds_bpermute_b32 v14, v24, v6
	v_max_f32_e32 v6, v6, v6
	s_sub_i32 s7, s33, s7
	s_lshl_b32 s7, s7, 4
	s_add_i32 s7, s7, s48
	s_waitcnt lgkmcnt(0)
	v_max_f32_e32 v14, v14, v14
	v_max_f32_e32 v6, v6, v14
	v_lshlrev_b32_e32 v14, 2, v7
	v_and_b32_e32 v14, 0xffffff00, v14
	ds_bpermute_b32 v6, v14, v6
	s_min_i32 s40, s7, s29
	s_sub_i32 s7, s40, s48
	v_cmp_gt_i32_e64 s[10:11], s7, v0
	v_mov_b32_e32 v15, 0
	s_and_saveexec_b64 s[18:19], s[10:11]
	s_cbranch_execz .LBB292_213
; %bb.210:
	v_mov_b32_e32 v15, 0x110
	v_lshl_add_u32 v16, v0, 2, v15
	s_mov_b64 s[38:39], 0
	v_mov_b32_e32 v15, 0
	v_mov_b32_e32 v18, v0
.LBB292_211:                            ; =>This Inner Loop Header: Depth=1
	ds_read_b32 v19, v16
	v_add_u32_e32 v18, 0x80, v18
	v_cmp_le_i32_e64 s[12:13], s7, v18
	s_or_b64 s[38:39], s[12:13], s[38:39]
	s_waitcnt lgkmcnt(0)
	v_sub_f32_e32 v19, v19, v6
	v_mul_f32_e32 v19, 0x3fb8aa3b, v19
	v_exp_f32_e32 v19, v19
	ds_write_b32 v16, v19
	v_add_f32_e32 v15, v15, v19
	v_add_u32_e32 v16, 0x200, v16
	s_andn2_b64 exec, exec, s[38:39]
	s_cbranch_execnz .LBB292_211
; %bb.212:
	s_or_b64 exec, exec, s[38:39]
.LBB292_213:
	s_or_b64 exec, exec, s[18:19]
	ds_bpermute_b32 v4, v4, v15
	s_waitcnt lgkmcnt(0)
	v_add_f32_e32 v4, v15, v4
	ds_bpermute_b32 v5, v5, v4
	s_waitcnt lgkmcnt(0)
	v_add_f32_e32 v4, v4, v5
	ds_bpermute_b32 v5, v11, v4
	v_xor_b32_e32 v11, 2, v7
	v_cmp_lt_i32_e64 s[12:13], v11, v10
	v_cndmask_b32_e64 v7, v7, v11, s[12:13]
	s_waitcnt lgkmcnt(0)
	v_add_f32_e32 v4, v4, v5
	ds_bpermute_b32 v5, v12, v4
	s_waitcnt lgkmcnt(0)
	v_add_f32_e32 v4, v4, v5
	v_lshlrev_b32_e32 v5, 2, v7
	ds_bpermute_b32 v5, v5, v4
	s_waitcnt lgkmcnt(0)
	v_add_f32_e32 v4, v4, v5
	ds_bpermute_b32 v5, v24, v4
	s_waitcnt lgkmcnt(0)
	v_add_f32_e32 v4, v4, v5
	s_and_saveexec_b64 s[12:13], vcc
	s_cbranch_execz .LBB292_215
; %bb.214:
	ds_write_b32 v8, v4 offset:264
.LBB292_215:
	s_or_b64 exec, exec, s[12:13]
	s_waitcnt lgkmcnt(0)
	s_barrier
	s_and_saveexec_b64 s[12:13], s[4:5]
	s_cbranch_execz .LBB292_217
; %bb.216:
	ds_read_b32 v4, v9 offset:264
.LBB292_217:
	s_or_b64 exec, exec, s[12:13]
	s_waitcnt lgkmcnt(0)
	ds_bpermute_b32 v5, v24, v4
	s_waitcnt lgkmcnt(0)
	v_add_f32_e32 v4, v4, v5
	ds_bpermute_b32 v7, v14, v4
	s_and_saveexec_b64 s[4:5], s[10:11]
	s_cbranch_execz .LBB292_230
; %bb.218:
	s_waitcnt lgkmcnt(0)
	v_add_f32_e32 v4, 0x358637bd, v7
	v_div_scale_f32 v5, s[10:11], v4, v4, 1.0
	v_rcp_f32_e32 v8, v5
	v_div_scale_f32 v9, vcc, 1.0, v4, 1.0
	s_movk_i32 s10, 0x7f
	v_fma_f32 v10, -v5, v8, 1.0
	v_fmac_f32_e32 v8, v10, v8
	v_mul_f32_e32 v10, v9, v8
	v_fma_f32 v11, -v5, v10, v9
	v_fmac_f32_e32 v10, v11, v8
	v_fma_f32 v5, -v5, v10, v9
	v_div_fmas_f32 v5, v5, v8, v10
	v_div_fixup_f32 v4, v5, v4, 1.0
	v_xad_u32 v5, v0, -1, s40
	v_subrev_u32_e32 v8, s48, v5
	v_cmp_lt_u32_e32 vcc, s10, v8
	s_mov_b64 s[12:13], -1
	v_mov_b32_e32 v5, v0
	s_and_saveexec_b64 s[10:11], vcc
	s_cbranch_execz .LBB292_227
; %bb.219:
	v_lshrrev_b32_e32 v8, 7, v8
	v_add_u32_e32 v10, -1, v8
	v_lshrrev_b32_e32 v9, 1, v10
	v_mov_b32_e32 v5, v4
	v_add_u32_e32 v9, 1, v9
	v_cmp_lt_u32_e32 vcc, 13, v10
	v_mov_b32_e32 v12, 0
	s_and_saveexec_b64 s[12:13], vcc
	s_cbranch_execz .LBB292_223
; %bb.220:
	v_mov_b32_e32 v11, 0x110
	v_and_b32_e32 v10, -8, v9
	v_lshl_add_u32 v11, v0, 2, v11
	s_mov_b32 s38, 0
	s_mov_b64 s[18:19], 0
.LBB292_221:                            ; =>This Inner Loop Header: Depth=1
	ds_read2st64_b32 v[14:15], v11 offset1:2
	ds_read2st64_b32 v[18:19], v11 offset0:4 offset1:6
	ds_read2st64_b32 v[20:21], v11 offset0:8 offset1:10
	;; [unrolled: 1-line block ×3, first 2 shown]
	v_add_u32_e32 v10, -8, v10
	s_waitcnt lgkmcnt(3)
	v_pk_mul_f32 v[14:15], v[4:5], v[14:15]
	s_waitcnt lgkmcnt(2)
	v_pk_mul_f32 v[18:19], v[4:5], v[18:19]
	ds_write2st64_b32 v11, v14, v15 offset1:2
	ds_write2st64_b32 v11, v18, v19 offset0:4 offset1:6
	ds_read2st64_b32 v[18:19], v11 offset0:16 offset1:18
	s_waitcnt lgkmcnt(4)
	v_pk_mul_f32 v[14:15], v[4:5], v[20:21]
	ds_write2st64_b32 v11, v14, v15 offset0:8 offset1:10
	s_waitcnt lgkmcnt(4)
	v_pk_mul_f32 v[14:15], v[4:5], v[22:23]
	ds_write2st64_b32 v11, v14, v15 offset0:12 offset1:14
	ds_read2st64_b32 v[14:15], v11 offset0:20 offset1:22
	s_waitcnt lgkmcnt(3)
	v_pk_mul_f32 v[18:19], v[4:5], v[18:19]
	ds_read2st64_b32 v[20:21], v11 offset0:24 offset1:26
	ds_write2st64_b32 v11, v18, v19 offset0:16 offset1:18
	ds_read2st64_b32 v[18:19], v11 offset0:28 offset1:30
	s_waitcnt lgkmcnt(3)
	v_pk_mul_f32 v[14:15], v[4:5], v[14:15]
	ds_write2st64_b32 v11, v14, v15 offset0:20 offset1:22
	s_waitcnt lgkmcnt(3)
	v_pk_mul_f32 v[14:15], v[4:5], v[20:21]
	ds_write2st64_b32 v11, v14, v15 offset0:24 offset1:26
	s_waitcnt lgkmcnt(2)
	v_pk_mul_f32 v[14:15], v[4:5], v[18:19]
	s_add_i32 s38, s38, 16
	v_cmp_eq_u32_e32 vcc, 0, v10
	ds_write2st64_b32 v11, v14, v15 offset0:28 offset1:30
	v_add_u32_e32 v11, 0x2000, v11
	s_or_b64 s[18:19], vcc, s[18:19]
	v_mov_b32_e32 v12, s38
	s_andn2_b64 exec, exec, s[18:19]
	s_cbranch_execnz .LBB292_221
; %bb.222:
	s_or_b64 exec, exec, s[18:19]
.LBB292_223:
	s_or_b64 exec, exec, s[12:13]
	v_and_b32_e32 v9, 7, v9
	v_cmp_ne_u32_e32 vcc, 0, v9
	s_and_saveexec_b64 s[12:13], vcc
	s_cbranch_execz .LBB292_226
; %bb.224:
	v_lshlrev_b32_e32 v10, 9, v12
	v_lshlrev_b32_e32 v11, 2, v0
	s_movk_i32 s18, 0x110
	v_add3_u32 v10, v10, v11, s18
	s_mov_b64 s[18:19], 0
.LBB292_225:                            ; =>This Inner Loop Header: Depth=1
	ds_read2st64_b32 v[14:15], v10 offset1:2
	v_add_u32_e32 v9, -1, v9
	v_cmp_eq_u32_e32 vcc, 0, v9
	s_or_b64 s[18:19], vcc, s[18:19]
	s_waitcnt lgkmcnt(0)
	v_pk_mul_f32 v[14:15], v[4:5], v[14:15]
	ds_write2st64_b32 v10, v14, v15 offset1:2
	v_add_u32_e32 v10, 0x400, v10
	s_andn2_b64 exec, exec, s[18:19]
	s_cbranch_execnz .LBB292_225
.LBB292_226:
	s_or_b64 exec, exec, s[12:13]
	v_add_u32_e32 v8, 1, v8
	v_and_b32_e32 v9, 0x3fffffe, v8
	v_cmp_ne_u32_e32 vcc, v8, v9
	v_lshl_add_u32 v5, v9, 7, v0
	s_orn2_b64 s[12:13], vcc, exec
.LBB292_227:
	s_or_b64 exec, exec, s[10:11]
	s_and_b64 exec, exec, s[12:13]
	s_cbranch_execz .LBB292_230
; %bb.228:
	v_mov_b32_e32 v8, 0x110
	v_lshl_add_u32 v8, v5, 2, v8
	s_mov_b64 s[10:11], 0
.LBB292_229:                            ; =>This Inner Loop Header: Depth=1
	ds_read_b32 v9, v8
	v_add_u32_e32 v5, 0x80, v5
	v_cmp_le_i32_e32 vcc, s7, v5
	s_or_b64 s[10:11], vcc, s[10:11]
	s_waitcnt lgkmcnt(0)
	v_mul_f32_e32 v9, v4, v9
	ds_write_b32 v8, v9
	v_add_u32_e32 v8, 0x200, v8
	s_andn2_b64 exec, exec, s[10:11]
	s_cbranch_execnz .LBB292_229
.LBB292_230:
	s_or_b64 exec, exec, s[4:5]
	s_mul_i32 s4, s25, s28
	v_cmp_eq_u32_e32 vcc, 0, v0
	s_mul_i32 s4, s4, s9
	s_waitcnt lgkmcnt(0)
	s_barrier
	s_and_saveexec_b64 s[10:11], vcc
	s_cbranch_execz .LBB292_232
; %bb.231:
	s_ashr_i32 s5, s4, 31
	s_lshl_b64 s[12:13], s[4:5], 2
	s_add_u32 s5, s22, s12
	s_mul_i32 s6, s25, s6
	s_addc_u32 s9, s23, s13
	s_ashr_i32 s7, s6, 31
	s_lshl_b64 s[6:7], s[6:7], 2
	s_add_u32 s5, s5, s6
	s_addc_u32 s23, s9, s7
	s_ashr_i32 s9, s8, 31
	s_lshl_b64 s[18:19], s[8:9], 2
	s_add_u32 s22, s5, s18
	s_addc_u32 s23, s23, s19
	s_add_u32 s5, s20, s12
	s_addc_u32 s9, s21, s13
	;; [unrolled: 2-line block ×3, first 2 shown]
	s_add_u32 s6, s5, s18
	v_mov_b32_e32 v4, 0
	s_addc_u32 s7, s7, s19
	global_store_dword v4, v6, s[22:23]
	global_store_dword v4, v7, s[6:7]
.LBB292_232:
	s_or_b64 exec, exec, s[10:11]
	v_mov_b32_e32 v11, 0
	v_and_b32_e32 v25, 1, v0
	v_mov_b32_e32 v10, 0
	v_mov_b32_e32 v5, 0
	;; [unrolled: 1-line block ×3, first 2 shown]
	s_and_saveexec_b64 s[6:7], s[2:3]
	s_cbranch_execz .LBB292_436
; %bb.233:
	s_ashr_i32 s2, s49, 31
	v_lshlrev_b32_e32 v4, 3, v0
	s_add_u32 s3, s36, s49
	v_and_b32_e32 v5, 8, v4
	s_addc_u32 s2, s37, s2
	v_and_b32_e32 v4, 0x1f8, v4
	s_add_i32 s9, s16, -1
	v_mov_b32_e32 v6, s2
	v_add_co_u32_e32 v8, vcc, s3, v4
	s_lshl_b64 s[2:3], s[34:35], 2
	v_lshlrev_b32_e32 v4, 5, v25
	s_add_u32 s2, s30, s2
	v_addc_co_u32_e32 v9, vcc, 0, v6, vcc
	v_add3_u32 v26, s48, v13, v5
	v_lshl_or_b32 v1, v1, 6, v4
	v_lshlrev_b64 v[4:5], 2, v[2:3]
	s_addc_u32 s3, s31, s3
	s_mov_b32 s10, -1
	v_mov_b32_e32 v3, s3
	v_add_co_u32_e32 v12, vcc, s2, v4
	v_mov_b32_e32 v4, 0
	s_mov_b32 s5, s17
	s_mov_b32 s11, 0xffffff
	v_mov_b32_e32 v7, 0
	s_mov_b32 s22, s29
	v_add_u32_e32 v1, 0x110, v1
	v_addc_co_u32_e32 v13, vcc, v3, v5, vcc
	s_mov_b64 s[12:13], 0
	s_movk_i32 s23, 0x80
	s_movk_i32 s28, 0x7f
	s_mov_b32 s30, 0x8000
	s_movk_i32 s31, 0x380
	s_mov_b32 s34, 0x3020706
	s_mov_b32 s35, 0x1000504
	;; [unrolled: 1-line block ×3, first 2 shown]
	v_mov_b32_e32 v3, 0x2000
	v_mov_b32_e32 v5, v4
	;; [unrolled: 1-line block ×4, first 2 shown]
	s_branch .LBB292_235
.LBB292_234:                            ;   in Loop: Header=BB292_235 Depth=1
	s_or_b64 exec, exec, s[2:3]
	;;#ASMSTART
	v_pk_mul_f16 v14, v34, v14;

	;;#ASMEND
	;;#ASMSTART
	v_pk_mul_f16 v6, v35, v6;

	;;#ASMEND
	;; [unrolled: 4-line block ×4, first 2 shown]
	;;#ASMSTART
	v_pk_add_f16 v6, v14, v6;

	;;#ASMEND
	;;#ASMSTART
	v_pk_add_f16 v6, v6, v15;

	;;#ASMEND
	;; [unrolled: 4-line block ×3, first 2 shown]
	v_add_f32_e32 v18, v38, v39
	v_lshrrev_b32_e32 v14, 16, v6
	v_and_b32_e32 v6, 0xffff, v6
	v_add_u32_e32 v2, 2, v2
	v_add_f32_e32 v4, v4, v18
	v_add_f32_e32 v18, v40, v41
	;;#ASMSTART
	v_cvt_f32_f16 v6, v6;
	;;#ASMEND
	v_cmp_le_i32_e32 vcc, s33, v2
	v_add_f32_e32 v5, v5, v18
	v_add_f32_e32 v18, v22, v23
	;;#ASMSTART
	v_cvt_f32_f16 v14, v14;
	;;#ASMEND
	v_add_f32_e32 v6, v6, v14
	s_or_b64 s[12:13], vcc, s[12:13]
	v_add_co_u32_e32 v12, vcc, 8, v12
	v_add_f32_e32 v10, v10, v18
	v_add_f32_e32 v11, v11, v6
	v_add_u32_e32 v26, 32, v26
	v_add_u32_e32 v1, 0x80, v1
	v_addc_co_u32_e32 v13, vcc, 0, v13, vcc
	s_andn2_b64 exec, exec, s[12:13]
	s_cbranch_execz .LBB292_435
.LBB292_235:                            ; =>This Inner Loop Header: Depth=1
	global_load_dword v6, v[12:13], off
	ds_read2_b64 v[18:21], v1 offset1:1
	ds_read2_b64 v[28:31], v1 offset0:2 offset1:3
	s_waitcnt lgkmcnt(1)
	;;#ASMSTART
	v_cvt_f16_f32 v34, v18;

	;;#ASMEND
	;;#ASMSTART
	v_cvt_f16_f32 v35, v19;

	;;#ASMEND
	;; [unrolled: 4-line block ×4, first 2 shown]
	s_waitcnt lgkmcnt(0)
	;;#ASMSTART
	v_cvt_f16_f32 v38, v28;

	;;#ASMEND
	;;#ASMSTART
	v_cvt_f16_f32 v39, v29;

	;;#ASMEND
	;; [unrolled: 4-line block ×4, first 2 shown]
	v_mov_b32_e32 v18, 0
	s_waitcnt vmcnt(0)
	v_mad_i64_i32 v[14:15], s[2:3], v6, s5, v[8:9]
	global_load_dwordx2 v[20:21], v[14:15], off
	global_load_dword v16, v7, s[14:15]
	s_waitcnt vmcnt(1)
	v_cmp_ne_u16_sdwa s[16:17], v20, v7 src0_sel:BYTE_0 src1_sel:DWORD
	s_and_saveexec_b64 s[2:3], s[16:17]
	s_cbranch_execz .LBB292_241
; %bb.236:                              ;   in Loop: Header=BB292_235 Depth=1
	v_cmp_ne_u16_sdwa s[18:19], v20, s23 src0_sel:BYTE_0 src1_sel:DWORD
	v_bfrev_b32_e32 v18, 1
	s_and_saveexec_b64 s[16:17], s[18:19]
	s_cbranch_execz .LBB292_240
; %bb.237:                              ;   in Loop: Header=BB292_235 Depth=1
	v_and_b32_e32 v6, 0x7f, v20
	v_cmp_ne_u32_e32 vcc, s28, v6
	v_mov_b32_e32 v18, 0x7fc02000
	s_and_saveexec_b64 s[18:19], vcc
	s_cbranch_execz .LBB292_239
; %bb.238:                              ;   in Loop: Header=BB292_235 Depth=1
	v_and_b32_e32 v18, 7, v20
	v_ffbh_u32_e32 v18, v18
	v_min_u32_e32 v18, 32, v18
	v_subrev_u32_e32 v19, 28, v18
	v_cmp_gt_u32_e32 vcc, 8, v6
	v_lshrrev_b32_e32 v22, 3, v6
	v_sub_u32_e32 v23, 29, v18
	v_cndmask_b32_e32 v6, 0, v19, vcc
	v_lshlrev_b64 v[18:19], v6, v[20:21]
	v_cndmask_b32_e32 v6, v22, v23, vcc
	v_lshlrev_b32_e32 v19, 8, v20
	v_lshl_add_u32 v6, v6, 10, v3
	v_lshlrev_b32_e32 v18, 7, v18
	v_and_or_b32 v6, v19, s30, v6
	v_and_or_b32 v6, v18, s31, v6
	v_cvt_f32_f16_e32 v18, v6
.LBB292_239:                            ;   in Loop: Header=BB292_235 Depth=1
	s_or_b64 exec, exec, s[18:19]
.LBB292_240:                            ;   in Loop: Header=BB292_235 Depth=1
	s_or_b64 exec, exec, s[16:17]
.LBB292_241:                            ;   in Loop: Header=BB292_235 Depth=1
	s_or_b64 exec, exec, s[2:3]
	v_lshrrev_b16_e32 v6, 8, v20
	v_cmp_ne_u16_e32 vcc, 0, v6
	v_mov_b32_e32 v19, 0
	v_mov_b32_e32 v22, 0
	s_and_saveexec_b64 s[2:3], vcc
	s_cbranch_execz .LBB292_247
; %bb.242:                              ;   in Loop: Header=BB292_235 Depth=1
	v_cmp_ne_u16_e32 vcc, s23, v6
	v_bfrev_b32_e32 v22, 1
	s_and_saveexec_b64 s[16:17], vcc
	s_cbranch_execz .LBB292_246
; %bb.243:                              ;   in Loop: Header=BB292_235 Depth=1
	v_and_b32_e32 v23, 0x7f, v6
	v_cmp_ne_u32_e32 vcc, s28, v23
	v_mov_b32_e32 v22, 0x7fc02000
	s_and_saveexec_b64 s[18:19], vcc
	s_cbranch_execz .LBB292_245
; %bb.244:                              ;   in Loop: Header=BB292_235 Depth=1
	v_and_b32_e32 v22, 7, v6
	v_ffbh_u32_e32 v28, v22
	v_min_u32_e32 v30, 32, v28
	v_subrev_u32_e32 v28, 28, v30
	v_lshlrev_b64 v[28:29], v28, v[6:7]
	v_lshrrev_b32_e32 v27, 3, v23
	v_sub_u32_e32 v29, 29, v30
	v_cmp_gt_u32_e32 vcc, 8, v23
	v_cndmask_b32_e32 v23, v27, v29, vcc
	v_and_b32_e32 v28, 7, v28
	v_lshlrev_b32_e32 v6, 8, v6
	v_lshl_add_u32 v23, v23, 10, v3
	v_cndmask_b32_e32 v22, v22, v28, vcc
	v_and_or_b32 v6, v6, s30, v23
	v_lshl_or_b32 v6, v22, 7, v6
	v_cvt_f32_f16_e32 v22, v6
.LBB292_245:                            ;   in Loop: Header=BB292_235 Depth=1
	s_or_b64 exec, exec, s[18:19]
.LBB292_246:                            ;   in Loop: Header=BB292_235 Depth=1
	s_or_b64 exec, exec, s[16:17]
.LBB292_247:                            ;   in Loop: Header=BB292_235 Depth=1
	s_or_b64 exec, exec, s[2:3]
	v_lshrrev_b32_e32 v6, 16, v20
	v_cmp_ne_u16_sdwa s[16:17], v6, v7 src0_sel:BYTE_0 src1_sel:DWORD
	s_and_saveexec_b64 s[2:3], s[16:17]
	s_cbranch_execz .LBB292_253
; %bb.248:                              ;   in Loop: Header=BB292_235 Depth=1
	v_cmp_ne_u16_sdwa s[18:19], v6, s23 src0_sel:BYTE_0 src1_sel:DWORD
	v_bfrev_b32_e32 v19, 1
	s_and_saveexec_b64 s[16:17], s[18:19]
	s_cbranch_execz .LBB292_252
; %bb.249:                              ;   in Loop: Header=BB292_235 Depth=1
	v_bfe_u32 v23, v20, 16, 7
	v_cmp_ne_u32_e32 vcc, s28, v23
	v_mov_b32_e32 v19, 0x7fc02000
	s_and_saveexec_b64 s[18:19], vcc
	s_cbranch_execz .LBB292_251
; %bb.250:                              ;   in Loop: Header=BB292_235 Depth=1
	v_and_b32_e32 v19, 7, v6
	v_ffbh_u32_e32 v28, v19
	v_min_u32_e32 v30, 32, v28
	v_subrev_u32_e32 v28, 28, v30
	v_lshlrev_b64 v[28:29], v28, v[6:7]
	v_lshrrev_b32_e32 v27, 3, v23
	v_sub_u32_e32 v29, 29, v30
	v_cmp_gt_u32_e32 vcc, 8, v23
	v_cndmask_b32_e32 v23, v27, v29, vcc
	v_and_b32_e32 v28, 7, v28
	v_lshlrev_b32_e32 v6, 8, v6
	v_lshl_add_u32 v23, v23, 10, v3
	v_cndmask_b32_e32 v19, v19, v28, vcc
	v_and_or_b32 v6, v6, s30, v23
	v_lshl_or_b32 v6, v19, 7, v6
	v_cvt_f32_f16_e32 v19, v6
.LBB292_251:                            ;   in Loop: Header=BB292_235 Depth=1
	s_or_b64 exec, exec, s[18:19]
.LBB292_252:                            ;   in Loop: Header=BB292_235 Depth=1
	s_or_b64 exec, exec, s[16:17]
.LBB292_253:                            ;   in Loop: Header=BB292_235 Depth=1
	s_or_b64 exec, exec, s[2:3]
	v_cmp_lt_u32_e32 vcc, s11, v20
	v_mov_b32_e32 v27, 0
	v_mov_b32_e32 v23, 0
	s_and_saveexec_b64 s[2:3], vcc
	s_cbranch_execz .LBB292_259
; %bb.254:                              ;   in Loop: Header=BB292_235 Depth=1
	v_lshrrev_b32_e32 v6, 24, v20
	v_cmp_ne_u32_e32 vcc, s23, v6
	v_bfrev_b32_e32 v23, 1
	s_and_saveexec_b64 s[16:17], vcc
	s_cbranch_execz .LBB292_258
; %bb.255:                              ;   in Loop: Header=BB292_235 Depth=1
	v_and_b32_e32 v28, 0x7f, v6
	v_cmp_ne_u32_e32 vcc, s28, v28
	v_mov_b32_e32 v23, 0x7fc02000
	s_and_saveexec_b64 s[18:19], vcc
	s_cbranch_execz .LBB292_257
; %bb.256:                              ;   in Loop: Header=BB292_235 Depth=1
	v_and_b32_e32 v23, 7, v6
	v_ffbh_u32_e32 v30, v23
	v_min_u32_e32 v32, 32, v30
	v_subrev_u32_e32 v30, 28, v32
	v_lshlrev_b64 v[30:31], v30, v[6:7]
	v_lshrrev_b32_e32 v29, 3, v28
	v_sub_u32_e32 v31, 29, v32
	v_cmp_gt_u32_e32 vcc, 8, v28
	v_cndmask_b32_e32 v28, v29, v31, vcc
	v_and_b32_e32 v30, 7, v30
	v_lshlrev_b32_e32 v6, 8, v6
	v_lshl_add_u32 v28, v28, 10, v3
	v_cndmask_b32_e32 v23, v23, v30, vcc
	v_and_or_b32 v6, v6, s30, v28
	v_lshl_or_b32 v6, v23, 7, v6
	v_cvt_f32_f16_e32 v23, v6
.LBB292_257:                            ;   in Loop: Header=BB292_235 Depth=1
	s_or_b64 exec, exec, s[18:19]
.LBB292_258:                            ;   in Loop: Header=BB292_235 Depth=1
	s_or_b64 exec, exec, s[16:17]
.LBB292_259:                            ;   in Loop: Header=BB292_235 Depth=1
	s_or_b64 exec, exec, s[2:3]
	v_mov_b32_e32 v6, v21
	v_cmp_ne_u16_sdwa s[16:17], v21, v7 src0_sel:BYTE_0 src1_sel:DWORD
	s_and_saveexec_b64 s[2:3], s[16:17]
	s_cbranch_execz .LBB292_265
; %bb.260:                              ;   in Loop: Header=BB292_235 Depth=1
	v_cmp_ne_u16_sdwa s[18:19], v21, s23 src0_sel:BYTE_0 src1_sel:DWORD
	v_bfrev_b32_e32 v27, 1
	s_and_saveexec_b64 s[16:17], s[18:19]
	s_cbranch_execz .LBB292_264
; %bb.261:                              ;   in Loop: Header=BB292_235 Depth=1
	v_and_b32_e32 v28, 0x7f, v21
	v_cmp_ne_u32_e32 vcc, s28, v28
	v_mov_b32_e32 v27, 0x7fc02000
	s_and_saveexec_b64 s[18:19], vcc
	s_cbranch_execz .LBB292_263
; %bb.262:                              ;   in Loop: Header=BB292_235 Depth=1
	v_and_b32_e32 v27, 7, v21
	v_ffbh_u32_e32 v27, v27
	v_min_u32_e32 v27, 32, v27
	v_subrev_u32_e32 v29, 28, v27
	v_cmp_gt_u32_e32 vcc, 8, v28
	v_lshrrev_b32_e32 v30, 3, v28
	v_sub_u32_e32 v27, 29, v27
	v_cndmask_b32_e32 v28, 0, v29, vcc
	v_lshlrev_b64 v[28:29], v28, v[6:7]
	v_cndmask_b32_e32 v27, v30, v27, vcc
	v_lshlrev_b32_e32 v29, 8, v21
	v_lshl_add_u32 v27, v27, 10, v3
	v_lshlrev_b32_e32 v28, 7, v28
	v_and_or_b32 v27, v29, s30, v27
	v_and_or_b32 v27, v28, s31, v27
	v_cvt_f32_f16_e32 v27, v27
.LBB292_263:                            ;   in Loop: Header=BB292_235 Depth=1
	s_or_b64 exec, exec, s[18:19]
.LBB292_264:                            ;   in Loop: Header=BB292_235 Depth=1
	s_or_b64 exec, exec, s[16:17]
.LBB292_265:                            ;   in Loop: Header=BB292_235 Depth=1
	s_or_b64 exec, exec, s[2:3]
	v_lshrrev_b16_e32 v6, 8, v6
	v_cmp_ne_u16_e32 vcc, 0, v6
	v_mov_b32_e32 v28, 0
	v_mov_b32_e32 v29, 0
	s_and_saveexec_b64 s[2:3], vcc
	s_cbranch_execz .LBB292_271
; %bb.266:                              ;   in Loop: Header=BB292_235 Depth=1
	v_cmp_ne_u16_e32 vcc, s23, v6
	v_bfrev_b32_e32 v29, 1
	s_and_saveexec_b64 s[16:17], vcc
	s_cbranch_execz .LBB292_270
; %bb.267:                              ;   in Loop: Header=BB292_235 Depth=1
	v_and_b32_e32 v30, 0x7f, v6
	v_cmp_ne_u32_e32 vcc, s28, v30
	v_mov_b32_e32 v29, 0x7fc02000
	s_and_saveexec_b64 s[18:19], vcc
	s_cbranch_execz .LBB292_269
; %bb.268:                              ;   in Loop: Header=BB292_235 Depth=1
	v_and_b32_e32 v29, 7, v6
	v_ffbh_u32_e32 v32, v29
	v_min_u32_e32 v42, 32, v32
	v_subrev_u32_e32 v32, 28, v42
	v_lshlrev_b64 v[32:33], v32, v[6:7]
	v_lshrrev_b32_e32 v31, 3, v30
	v_sub_u32_e32 v33, 29, v42
	v_cmp_gt_u32_e32 vcc, 8, v30
	v_cndmask_b32_e32 v30, v31, v33, vcc
	v_and_b32_e32 v32, 7, v32
	v_lshlrev_b32_e32 v6, 8, v6
	v_lshl_add_u32 v30, v30, 10, v3
	v_cndmask_b32_e32 v29, v29, v32, vcc
	v_and_or_b32 v6, v6, s30, v30
	v_lshl_or_b32 v6, v29, 7, v6
	v_cvt_f32_f16_e32 v29, v6
.LBB292_269:                            ;   in Loop: Header=BB292_235 Depth=1
	s_or_b64 exec, exec, s[18:19]
.LBB292_270:                            ;   in Loop: Header=BB292_235 Depth=1
	s_or_b64 exec, exec, s[16:17]
.LBB292_271:                            ;   in Loop: Header=BB292_235 Depth=1
	s_or_b64 exec, exec, s[2:3]
	v_lshrrev_b32_e32 v6, 16, v21
	v_cmp_ne_u16_sdwa s[16:17], v6, v7 src0_sel:BYTE_0 src1_sel:DWORD
	s_and_saveexec_b64 s[2:3], s[16:17]
	s_cbranch_execz .LBB292_277
; %bb.272:                              ;   in Loop: Header=BB292_235 Depth=1
	v_cmp_ne_u16_sdwa s[18:19], v6, s23 src0_sel:BYTE_0 src1_sel:DWORD
	v_bfrev_b32_e32 v28, 1
	s_and_saveexec_b64 s[16:17], s[18:19]
	s_cbranch_execz .LBB292_276
; %bb.273:                              ;   in Loop: Header=BB292_235 Depth=1
	v_bfe_u32 v30, v21, 16, 7
	v_cmp_ne_u32_e32 vcc, s28, v30
	v_mov_b32_e32 v28, 0x7fc02000
	s_and_saveexec_b64 s[18:19], vcc
	s_cbranch_execz .LBB292_275
; %bb.274:                              ;   in Loop: Header=BB292_235 Depth=1
	v_and_b32_e32 v28, 7, v6
	v_ffbh_u32_e32 v32, v28
	v_min_u32_e32 v42, 32, v32
	v_subrev_u32_e32 v32, 28, v42
	v_lshlrev_b64 v[32:33], v32, v[6:7]
	v_lshrrev_b32_e32 v31, 3, v30
	v_sub_u32_e32 v33, 29, v42
	v_cmp_gt_u32_e32 vcc, 8, v30
	v_cndmask_b32_e32 v30, v31, v33, vcc
	v_and_b32_e32 v32, 7, v32
	v_lshlrev_b32_e32 v6, 8, v6
	v_lshl_add_u32 v30, v30, 10, v3
	v_cndmask_b32_e32 v28, v28, v32, vcc
	v_and_or_b32 v6, v6, s30, v30
	v_lshl_or_b32 v6, v28, 7, v6
	v_cvt_f32_f16_e32 v28, v6
.LBB292_275:                            ;   in Loop: Header=BB292_235 Depth=1
	s_or_b64 exec, exec, s[18:19]
.LBB292_276:                            ;   in Loop: Header=BB292_235 Depth=1
	s_or_b64 exec, exec, s[16:17]
.LBB292_277:                            ;   in Loop: Header=BB292_235 Depth=1
	s_or_b64 exec, exec, s[2:3]
	v_cmp_lt_u64_e32 vcc, s[10:11], v[20:21]
	v_mov_b32_e32 v20, 0
	s_and_saveexec_b64 s[2:3], vcc
	s_cbranch_execz .LBB292_283
; %bb.278:                              ;   in Loop: Header=BB292_235 Depth=1
	v_lshrrev_b32_e32 v6, 24, v21
	v_cmp_ne_u32_e32 vcc, s23, v6
	v_bfrev_b32_e32 v20, 1
	s_and_saveexec_b64 s[16:17], vcc
	s_cbranch_execz .LBB292_282
; %bb.279:                              ;   in Loop: Header=BB292_235 Depth=1
	v_and_b32_e32 v21, 0x7f, v6
	v_cmp_ne_u32_e32 vcc, s28, v21
	v_mov_b32_e32 v20, 0x7fc02000
	s_and_saveexec_b64 s[18:19], vcc
	s_cbranch_execz .LBB292_281
; %bb.280:                              ;   in Loop: Header=BB292_235 Depth=1
	v_and_b32_e32 v20, 7, v6
	v_ffbh_u32_e32 v30, v20
	v_min_u32_e32 v33, 32, v30
	v_subrev_u32_e32 v30, 28, v33
	v_lshlrev_b64 v[30:31], v30, v[6:7]
	v_lshrrev_b32_e32 v32, 3, v21
	v_sub_u32_e32 v31, 29, v33
	v_cmp_gt_u32_e32 vcc, 8, v21
	v_cndmask_b32_e32 v21, v32, v31, vcc
	v_and_b32_e32 v30, 7, v30
	v_lshlrev_b32_e32 v6, 8, v6
	v_lshl_add_u32 v21, v21, 10, v3
	v_cndmask_b32_e32 v20, v20, v30, vcc
	v_and_or_b32 v6, v6, s30, v21
	v_lshl_or_b32 v6, v20, 7, v6
	v_cvt_f32_f16_e32 v20, v6
.LBB292_281:                            ;   in Loop: Header=BB292_235 Depth=1
	s_or_b64 exec, exec, s[18:19]
.LBB292_282:                            ;   in Loop: Header=BB292_235 Depth=1
	s_or_b64 exec, exec, s[16:17]
.LBB292_283:                            ;   in Loop: Header=BB292_235 Depth=1
	s_or_b64 exec, exec, s[2:3]
	s_waitcnt vmcnt(0)
	v_pk_mul_f32 v[22:23], v[16:17], v[22:23] op_sel_hi:[0,1]
	v_pk_mul_f32 v[18:19], v[16:17], v[18:19] op_sel_hi:[0,1]
	v_cvt_f16_f32_e32 v6, v23
	v_cvt_f16_f32_e32 v21, v22
	;; [unrolled: 1-line block ×4, first 2 shown]
	v_cmp_eq_u32_e32 vcc, s9, v2
	v_pack_b32_f16 v21, v21, v6
	v_add_u32_e32 v33, 1, v26
	v_pack_b32_f16 v18, v18, v19
	v_fma_mixlo_f16 v19, v16, v29, 0
	v_perm_b32 v6, v18, v21, s34
	v_perm_b32 v18, v18, v21, s35
	v_lshlrev_b32_e32 v19, 16, v19
	v_fma_mixlo_f16 v21, v16, v27, 0
	v_or_b32_sdwa v19, v19, v21 dst_sel:DWORD dst_unused:UNUSED_PAD src0_sel:DWORD src1_sel:WORD_0
	v_fma_mixlo_f16 v21, v16, v28, 0
	v_fma_mixlo_f16 v16, v16, v20, 0
	v_lshlrev_b32_e32 v16, 16, v16
	v_or_b32_sdwa v16, v16, v21 dst_sel:DWORD dst_unused:UNUSED_PAD src0_sel:DWORD src1_sel:WORD_0
	v_or_b32_e32 v32, 3, v26
	v_or_b32_e32 v31, 2, v26
	;; [unrolled: 1-line block ×6, first 2 shown]
	s_and_saveexec_b64 s[16:17], vcc
	s_cbranch_execz .LBB292_285
; %bb.284:                              ;   in Loop: Header=BB292_235 Depth=1
	v_lshrrev_b32_e32 v20, 16, v18
	v_cmp_gt_i32_e64 s[2:3], s22, v33
	v_cndmask_b32_e64 v20, 0, v20, s[2:3]
	v_cmp_gt_i32_e64 s[2:3], s29, v26
	v_cndmask_b32_e64 v18, 0, v18, s[2:3]
	v_perm_b32 v18, v20, v18, s36
	v_lshrrev_b32_e32 v20, 16, v6
	v_cmp_gt_i32_e64 s[2:3], s22, v32
	v_cndmask_b32_e64 v20, 0, v20, s[2:3]
	v_cmp_gt_i32_e64 s[2:3], s29, v31
	v_cndmask_b32_e64 v6, 0, v6, s[2:3]
	v_perm_b32 v6, v20, v6, s36
	v_lshrrev_b32_e32 v20, 16, v19
	v_cmp_gt_i32_e64 s[2:3], s22, v30
	v_cndmask_b32_e64 v20, 0, v20, s[2:3]
	v_cmp_gt_i32_e64 s[2:3], s29, v29
	v_cndmask_b32_e64 v19, 0, v19, s[2:3]
	v_lshrrev_b32_e32 v16, 16, v16
	v_cmp_gt_i32_e64 s[2:3], s22, v28
	v_cndmask_b32_e64 v16, 0, v16, s[2:3]
	v_cmp_gt_i32_e64 s[2:3], s29, v27
	v_perm_b32 v19, v20, v19, s36
	v_cndmask_b32_e64 v20, 0, v21, s[2:3]
	v_perm_b32 v16, v16, v20, s36
.LBB292_285:                            ;   in Loop: Header=BB292_235 Depth=1
	s_or_b64 exec, exec, s[16:17]
	v_and_b32_e32 v20, 0xffff, v34
	v_lshl_or_b32 v34, v35, 16, v20
	v_and_b32_e32 v20, 0xffff, v36
	v_lshl_or_b32 v35, v37, 16, v20
	;; [unrolled: 2-line block ×3, first 2 shown]
	v_and_b32_e32 v20, 0xffff, v40
	;;#ASMSTART
	v_pk_mul_f16 v18, v34, v18;

	;;#ASMEND
	;;#ASMSTART
	v_pk_mul_f16 v6, v35, v6;

	;;#ASMEND
	v_lshl_or_b32 v37, v41, 16, v20
	;;#ASMSTART
	v_pk_mul_f16 v19, v36, v19;

	;;#ASMEND
	;;#ASMSTART
	v_pk_mul_f16 v16, v37, v16;

	;;#ASMEND
	;;#ASMSTART
	v_pk_add_f16 v6, v18, v6;

	;;#ASMEND
	;;#ASMSTART
	v_pk_add_f16 v6, v6, v19;
	;; [unrolled: 4-line block ×3, first 2 shown]

	;;#ASMEND
	v_lshrrev_b32_e32 v16, 16, v6
	v_and_b32_e32 v6, 0xffff, v6
	;;#ASMSTART
	v_cvt_f32_f16 v38, v6;
	;;#ASMEND
	;;#ASMSTART
	v_cvt_f32_f16 v39, v16;
	;;#ASMEND
	global_load_dwordx2 v[22:23], v[14:15], off offset:512
	global_load_dword v16, v7, s[14:15]
	v_mov_b32_e32 v20, 0
	v_mov_b32_e32 v18, 0
	s_waitcnt vmcnt(1)
	v_cmp_ne_u16_sdwa s[2:3], v22, v7 src0_sel:BYTE_0 src1_sel:DWORD
	s_and_saveexec_b64 s[16:17], s[2:3]
	s_cbranch_execz .LBB292_291
; %bb.286:                              ;   in Loop: Header=BB292_235 Depth=1
	v_cmp_ne_u16_sdwa s[2:3], v22, s23 src0_sel:BYTE_0 src1_sel:DWORD
	v_bfrev_b32_e32 v18, 1
	s_and_saveexec_b64 s[18:19], s[2:3]
	s_cbranch_execz .LBB292_290
; %bb.287:                              ;   in Loop: Header=BB292_235 Depth=1
	v_and_b32_e32 v6, 0x7f, v22
	v_cmp_ne_u32_e64 s[2:3], s28, v6
	v_mov_b32_e32 v18, 0x7fc02000
	s_and_saveexec_b64 s[20:21], s[2:3]
	s_cbranch_execz .LBB292_289
; %bb.288:                              ;   in Loop: Header=BB292_235 Depth=1
	v_and_b32_e32 v18, 7, v22
	v_ffbh_u32_e32 v18, v18
	v_min_u32_e32 v18, 32, v18
	v_subrev_u32_e32 v19, 28, v18
	v_cmp_gt_u32_e64 s[2:3], 8, v6
	v_lshrrev_b32_e32 v21, 3, v6
	v_sub_u32_e32 v40, 29, v18
	v_cndmask_b32_e64 v6, 0, v19, s[2:3]
	v_lshlrev_b64 v[18:19], v6, v[22:23]
	v_cndmask_b32_e64 v6, v21, v40, s[2:3]
	v_lshlrev_b32_e32 v19, 8, v22
	v_lshl_add_u32 v6, v6, 10, v3
	v_lshlrev_b32_e32 v18, 7, v18
	v_and_or_b32 v6, v19, s30, v6
	v_and_or_b32 v6, v18, s31, v6
	v_cvt_f32_f16_e32 v18, v6
.LBB292_289:                            ;   in Loop: Header=BB292_235 Depth=1
	s_or_b64 exec, exec, s[20:21]
.LBB292_290:                            ;   in Loop: Header=BB292_235 Depth=1
	s_or_b64 exec, exec, s[18:19]
.LBB292_291:                            ;   in Loop: Header=BB292_235 Depth=1
	s_or_b64 exec, exec, s[16:17]
	v_lshrrev_b16_e32 v6, 8, v22
	v_cmp_ne_u16_e64 s[2:3], 0, v6
	s_and_saveexec_b64 s[16:17], s[2:3]
	s_cbranch_execz .LBB292_297
; %bb.292:                              ;   in Loop: Header=BB292_235 Depth=1
	v_cmp_ne_u16_e64 s[2:3], s23, v6
	v_bfrev_b32_e32 v20, 1
	s_and_saveexec_b64 s[18:19], s[2:3]
	s_cbranch_execz .LBB292_296
; %bb.293:                              ;   in Loop: Header=BB292_235 Depth=1
	v_and_b32_e32 v19, 0x7f, v6
	v_cmp_ne_u32_e64 s[2:3], s28, v19
	v_mov_b32_e32 v20, 0x7fc02000
	s_and_saveexec_b64 s[20:21], s[2:3]
	s_cbranch_execz .LBB292_295
; %bb.294:                              ;   in Loop: Header=BB292_235 Depth=1
	v_and_b32_e32 v40, 7, v6
	v_ffbh_u32_e32 v20, v40
	v_min_u32_e32 v42, 32, v20
	v_subrev_u32_e32 v20, 28, v42
	v_lshlrev_b64 v[20:21], v20, v[6:7]
	v_lshrrev_b32_e32 v41, 3, v19
	v_sub_u32_e32 v21, 29, v42
	v_cmp_gt_u32_e64 s[2:3], 8, v19
	v_cndmask_b32_e64 v19, v41, v21, s[2:3]
	v_and_b32_e32 v20, 7, v20
	v_lshlrev_b32_e32 v6, 8, v6
	v_lshl_add_u32 v19, v19, 10, v3
	v_cndmask_b32_e64 v20, v40, v20, s[2:3]
	v_and_or_b32 v6, v6, s30, v19
	v_lshl_or_b32 v6, v20, 7, v6
	v_cvt_f32_f16_e32 v20, v6
.LBB292_295:                            ;   in Loop: Header=BB292_235 Depth=1
	s_or_b64 exec, exec, s[20:21]
.LBB292_296:                            ;   in Loop: Header=BB292_235 Depth=1
	s_or_b64 exec, exec, s[18:19]
.LBB292_297:                            ;   in Loop: Header=BB292_235 Depth=1
	s_or_b64 exec, exec, s[16:17]
	v_lshrrev_b32_e32 v6, 16, v22
	v_cmp_ne_u16_sdwa s[2:3], v6, v7 src0_sel:BYTE_0 src1_sel:DWORD
	v_mov_b32_e32 v21, 0
	v_mov_b32_e32 v19, 0
	s_and_saveexec_b64 s[16:17], s[2:3]
	s_cbranch_execz .LBB292_303
; %bb.298:                              ;   in Loop: Header=BB292_235 Depth=1
	v_cmp_ne_u16_sdwa s[2:3], v6, s23 src0_sel:BYTE_0 src1_sel:DWORD
	v_bfrev_b32_e32 v19, 1
	s_and_saveexec_b64 s[18:19], s[2:3]
	s_cbranch_execz .LBB292_302
; %bb.299:                              ;   in Loop: Header=BB292_235 Depth=1
	v_bfe_u32 v40, v22, 16, 7
	v_cmp_ne_u32_e64 s[2:3], s28, v40
	v_mov_b32_e32 v19, 0x7fc02000
	s_and_saveexec_b64 s[20:21], s[2:3]
	s_cbranch_execz .LBB292_301
; %bb.300:                              ;   in Loop: Header=BB292_235 Depth=1
	v_and_b32_e32 v19, 7, v6
	v_ffbh_u32_e32 v42, v19
	v_min_u32_e32 v44, 32, v42
	v_subrev_u32_e32 v42, 28, v44
	v_lshlrev_b64 v[42:43], v42, v[6:7]
	v_lshrrev_b32_e32 v41, 3, v40
	v_sub_u32_e32 v43, 29, v44
	v_cmp_gt_u32_e64 s[2:3], 8, v40
	v_cndmask_b32_e64 v40, v41, v43, s[2:3]
	v_and_b32_e32 v42, 7, v42
	v_lshlrev_b32_e32 v6, 8, v6
	v_lshl_add_u32 v40, v40, 10, v3
	v_cndmask_b32_e64 v19, v19, v42, s[2:3]
	v_and_or_b32 v6, v6, s30, v40
	v_lshl_or_b32 v6, v19, 7, v6
	v_cvt_f32_f16_e32 v19, v6
.LBB292_301:                            ;   in Loop: Header=BB292_235 Depth=1
	s_or_b64 exec, exec, s[20:21]
.LBB292_302:                            ;   in Loop: Header=BB292_235 Depth=1
	s_or_b64 exec, exec, s[18:19]
.LBB292_303:                            ;   in Loop: Header=BB292_235 Depth=1
	s_or_b64 exec, exec, s[16:17]
	v_cmp_lt_u32_e64 s[2:3], s11, v22
	s_and_saveexec_b64 s[16:17], s[2:3]
	s_cbranch_execz .LBB292_309
; %bb.304:                              ;   in Loop: Header=BB292_235 Depth=1
	v_lshrrev_b32_e32 v6, 24, v22
	v_cmp_ne_u32_e64 s[2:3], s23, v6
	v_bfrev_b32_e32 v21, 1
	s_and_saveexec_b64 s[18:19], s[2:3]
	s_cbranch_execz .LBB292_308
; %bb.305:                              ;   in Loop: Header=BB292_235 Depth=1
	v_and_b32_e32 v40, 0x7f, v6
	v_cmp_ne_u32_e64 s[2:3], s28, v40
	v_mov_b32_e32 v21, 0x7fc02000
	s_and_saveexec_b64 s[20:21], s[2:3]
	s_cbranch_execz .LBB292_307
; %bb.306:                              ;   in Loop: Header=BB292_235 Depth=1
	v_and_b32_e32 v21, 7, v6
	v_ffbh_u32_e32 v42, v21
	v_min_u32_e32 v44, 32, v42
	v_subrev_u32_e32 v42, 28, v44
	v_lshlrev_b64 v[42:43], v42, v[6:7]
	v_lshrrev_b32_e32 v41, 3, v40
	v_sub_u32_e32 v43, 29, v44
	v_cmp_gt_u32_e64 s[2:3], 8, v40
	v_cndmask_b32_e64 v40, v41, v43, s[2:3]
	v_and_b32_e32 v42, 7, v42
	v_lshlrev_b32_e32 v6, 8, v6
	v_lshl_add_u32 v40, v40, 10, v3
	v_cndmask_b32_e64 v21, v21, v42, s[2:3]
	v_and_or_b32 v6, v6, s30, v40
	v_lshl_or_b32 v6, v21, 7, v6
	v_cvt_f32_f16_e32 v21, v6
.LBB292_307:                            ;   in Loop: Header=BB292_235 Depth=1
	s_or_b64 exec, exec, s[20:21]
.LBB292_308:                            ;   in Loop: Header=BB292_235 Depth=1
	s_or_b64 exec, exec, s[18:19]
.LBB292_309:                            ;   in Loop: Header=BB292_235 Depth=1
	s_or_b64 exec, exec, s[16:17]
	v_mov_b32_e32 v6, v23
	v_cmp_ne_u16_sdwa s[2:3], v23, v7 src0_sel:BYTE_0 src1_sel:DWORD
	v_mov_b32_e32 v41, 0
	v_mov_b32_e32 v40, 0
	s_and_saveexec_b64 s[16:17], s[2:3]
	s_cbranch_execz .LBB292_315
; %bb.310:                              ;   in Loop: Header=BB292_235 Depth=1
	v_cmp_ne_u16_sdwa s[2:3], v23, s23 src0_sel:BYTE_0 src1_sel:DWORD
	v_bfrev_b32_e32 v40, 1
	s_and_saveexec_b64 s[18:19], s[2:3]
	s_cbranch_execz .LBB292_314
; %bb.311:                              ;   in Loop: Header=BB292_235 Depth=1
	v_and_b32_e32 v42, 0x7f, v23
	v_cmp_ne_u32_e64 s[2:3], s28, v42
	v_mov_b32_e32 v40, 0x7fc02000
	s_and_saveexec_b64 s[20:21], s[2:3]
	s_cbranch_execz .LBB292_313
; %bb.312:                              ;   in Loop: Header=BB292_235 Depth=1
	v_and_b32_e32 v40, 7, v23
	v_ffbh_u32_e32 v40, v40
	v_min_u32_e32 v40, 32, v40
	v_subrev_u32_e32 v43, 28, v40
	v_cmp_gt_u32_e64 s[2:3], 8, v42
	v_lshrrev_b32_e32 v44, 3, v42
	v_sub_u32_e32 v40, 29, v40
	v_cndmask_b32_e64 v42, 0, v43, s[2:3]
	v_lshlrev_b64 v[42:43], v42, v[6:7]
	v_cndmask_b32_e64 v40, v44, v40, s[2:3]
	v_lshlrev_b32_e32 v43, 8, v23
	v_lshl_add_u32 v40, v40, 10, v3
	v_lshlrev_b32_e32 v42, 7, v42
	v_and_or_b32 v40, v43, s30, v40
	v_and_or_b32 v40, v42, s31, v40
	v_cvt_f32_f16_e32 v40, v40
.LBB292_313:                            ;   in Loop: Header=BB292_235 Depth=1
	s_or_b64 exec, exec, s[20:21]
.LBB292_314:                            ;   in Loop: Header=BB292_235 Depth=1
	s_or_b64 exec, exec, s[18:19]
.LBB292_315:                            ;   in Loop: Header=BB292_235 Depth=1
	s_or_b64 exec, exec, s[16:17]
	v_lshrrev_b16_e32 v6, 8, v6
	v_cmp_ne_u16_e64 s[2:3], 0, v6
	s_and_saveexec_b64 s[16:17], s[2:3]
	s_cbranch_execz .LBB292_321
; %bb.316:                              ;   in Loop: Header=BB292_235 Depth=1
	v_cmp_ne_u16_e64 s[2:3], s23, v6
	v_bfrev_b32_e32 v41, 1
	s_and_saveexec_b64 s[18:19], s[2:3]
	s_cbranch_execz .LBB292_320
; %bb.317:                              ;   in Loop: Header=BB292_235 Depth=1
	v_and_b32_e32 v42, 0x7f, v6
	v_cmp_ne_u32_e64 s[2:3], s28, v42
	v_mov_b32_e32 v41, 0x7fc02000
	s_and_saveexec_b64 s[20:21], s[2:3]
	s_cbranch_execz .LBB292_319
; %bb.318:                              ;   in Loop: Header=BB292_235 Depth=1
	v_and_b32_e32 v41, 7, v6
	v_ffbh_u32_e32 v44, v41
	v_min_u32_e32 v46, 32, v44
	v_subrev_u32_e32 v44, 28, v46
	v_lshlrev_b64 v[44:45], v44, v[6:7]
	v_lshrrev_b32_e32 v43, 3, v42
	v_sub_u32_e32 v45, 29, v46
	v_cmp_gt_u32_e64 s[2:3], 8, v42
	v_cndmask_b32_e64 v42, v43, v45, s[2:3]
	v_and_b32_e32 v44, 7, v44
	v_lshlrev_b32_e32 v6, 8, v6
	v_lshl_add_u32 v42, v42, 10, v3
	v_cndmask_b32_e64 v41, v41, v44, s[2:3]
	v_and_or_b32 v6, v6, s30, v42
	v_lshl_or_b32 v6, v41, 7, v6
	v_cvt_f32_f16_e32 v41, v6
.LBB292_319:                            ;   in Loop: Header=BB292_235 Depth=1
	s_or_b64 exec, exec, s[20:21]
.LBB292_320:                            ;   in Loop: Header=BB292_235 Depth=1
	s_or_b64 exec, exec, s[18:19]
.LBB292_321:                            ;   in Loop: Header=BB292_235 Depth=1
	s_or_b64 exec, exec, s[16:17]
	v_lshrrev_b32_e32 v6, 16, v23
	v_cmp_ne_u16_sdwa s[2:3], v6, v7 src0_sel:BYTE_0 src1_sel:DWORD
	v_mov_b32_e32 v42, 0
	v_mov_b32_e32 v43, 0
	s_and_saveexec_b64 s[16:17], s[2:3]
	s_cbranch_execz .LBB292_327
; %bb.322:                              ;   in Loop: Header=BB292_235 Depth=1
	v_cmp_ne_u16_sdwa s[2:3], v6, s23 src0_sel:BYTE_0 src1_sel:DWORD
	v_bfrev_b32_e32 v43, 1
	s_and_saveexec_b64 s[18:19], s[2:3]
	s_cbranch_execz .LBB292_326
; %bb.323:                              ;   in Loop: Header=BB292_235 Depth=1
	v_bfe_u32 v44, v23, 16, 7
	v_cmp_ne_u32_e64 s[2:3], s28, v44
	v_mov_b32_e32 v43, 0x7fc02000
	s_and_saveexec_b64 s[20:21], s[2:3]
	s_cbranch_execz .LBB292_325
; %bb.324:                              ;   in Loop: Header=BB292_235 Depth=1
	v_and_b32_e32 v43, 7, v6
	v_ffbh_u32_e32 v46, v43
	v_min_u32_e32 v48, 32, v46
	v_subrev_u32_e32 v46, 28, v48
	v_lshlrev_b64 v[46:47], v46, v[6:7]
	v_lshrrev_b32_e32 v45, 3, v44
	v_sub_u32_e32 v47, 29, v48
	v_cmp_gt_u32_e64 s[2:3], 8, v44
	v_cndmask_b32_e64 v44, v45, v47, s[2:3]
	v_and_b32_e32 v46, 7, v46
	v_lshlrev_b32_e32 v6, 8, v6
	v_lshl_add_u32 v44, v44, 10, v3
	v_cndmask_b32_e64 v43, v43, v46, s[2:3]
	v_and_or_b32 v6, v6, s30, v44
	v_lshl_or_b32 v6, v43, 7, v6
	v_cvt_f32_f16_e32 v43, v6
.LBB292_325:                            ;   in Loop: Header=BB292_235 Depth=1
	s_or_b64 exec, exec, s[20:21]
.LBB292_326:                            ;   in Loop: Header=BB292_235 Depth=1
	s_or_b64 exec, exec, s[18:19]
.LBB292_327:                            ;   in Loop: Header=BB292_235 Depth=1
	s_or_b64 exec, exec, s[16:17]
	v_cmp_lt_u64_e64 s[2:3], s[10:11], v[22:23]
	s_and_saveexec_b64 s[16:17], s[2:3]
	s_cbranch_execz .LBB292_333
; %bb.328:                              ;   in Loop: Header=BB292_235 Depth=1
	v_lshrrev_b32_e32 v6, 24, v23
	v_cmp_ne_u32_e64 s[2:3], s23, v6
	v_bfrev_b32_e32 v42, 1
	s_and_saveexec_b64 s[18:19], s[2:3]
	s_cbranch_execz .LBB292_332
; %bb.329:                              ;   in Loop: Header=BB292_235 Depth=1
	v_and_b32_e32 v22, 0x7f, v6
	v_cmp_ne_u32_e64 s[2:3], s28, v22
	v_mov_b32_e32 v42, 0x7fc02000
	s_and_saveexec_b64 s[20:21], s[2:3]
	s_cbranch_execz .LBB292_331
; %bb.330:                              ;   in Loop: Header=BB292_235 Depth=1
	v_and_b32_e32 v23, 7, v6
	v_ffbh_u32_e32 v44, v23
	v_min_u32_e32 v46, 32, v44
	v_subrev_u32_e32 v44, 28, v46
	v_lshlrev_b64 v[44:45], v44, v[6:7]
	v_lshrrev_b32_e32 v42, 3, v22
	v_sub_u32_e32 v45, 29, v46
	v_cmp_gt_u32_e64 s[2:3], 8, v22
	v_cndmask_b32_e64 v22, v42, v45, s[2:3]
	v_and_b32_e32 v44, 7, v44
	v_lshlrev_b32_e32 v6, 8, v6
	v_lshl_add_u32 v22, v22, 10, v3
	v_cndmask_b32_e64 v23, v23, v44, s[2:3]
	v_and_or_b32 v6, v6, s30, v22
	v_lshl_or_b32 v6, v23, 7, v6
	v_cvt_f32_f16_e32 v42, v6
.LBB292_331:                            ;   in Loop: Header=BB292_235 Depth=1
	s_or_b64 exec, exec, s[20:21]
.LBB292_332:                            ;   in Loop: Header=BB292_235 Depth=1
	s_or_b64 exec, exec, s[18:19]
.LBB292_333:                            ;   in Loop: Header=BB292_235 Depth=1
	s_or_b64 exec, exec, s[16:17]
	s_waitcnt vmcnt(0)
	v_pk_mul_f32 v[20:21], v[16:17], v[20:21] op_sel_hi:[0,1]
	v_pk_mul_f32 v[18:19], v[16:17], v[18:19] op_sel_hi:[0,1]
	v_cvt_f16_f32_e32 v6, v21
	v_cvt_f16_f32_e32 v20, v20
	;; [unrolled: 1-line block ×4, first 2 shown]
	v_pack_b32_f16 v20, v20, v6
	v_pack_b32_f16 v18, v18, v19
	v_fma_mixlo_f16 v19, v16, v41, 0
	v_perm_b32 v6, v18, v20, s34
	v_perm_b32 v18, v18, v20, s35
	v_lshlrev_b32_e32 v19, 16, v19
	v_fma_mixlo_f16 v20, v16, v40, 0
	v_or_b32_sdwa v19, v19, v20 dst_sel:DWORD dst_unused:UNUSED_PAD src0_sel:DWORD src1_sel:WORD_0
	v_fma_mixlo_f16 v20, v16, v43, 0
	v_fma_mixlo_f16 v16, v16, v42, 0
	v_lshlrev_b32_e32 v16, 16, v16
	v_or_b32_sdwa v16, v16, v20 dst_sel:DWORD dst_unused:UNUSED_PAD src0_sel:DWORD src1_sel:WORD_0
	s_and_saveexec_b64 s[16:17], vcc
	s_cbranch_execz .LBB292_335
; %bb.334:                              ;   in Loop: Header=BB292_235 Depth=1
	v_lshrrev_b32_e32 v21, 16, v18
	v_cmp_gt_i32_e64 s[2:3], s22, v33
	v_cndmask_b32_e64 v21, 0, v21, s[2:3]
	v_cmp_gt_i32_e64 s[2:3], s29, v26
	v_cndmask_b32_e64 v18, 0, v18, s[2:3]
	v_perm_b32 v18, v21, v18, s36
	v_lshrrev_b32_e32 v21, 16, v6
	v_cmp_gt_i32_e64 s[2:3], s22, v32
	v_cndmask_b32_e64 v21, 0, v21, s[2:3]
	v_cmp_gt_i32_e64 s[2:3], s29, v31
	v_cndmask_b32_e64 v6, 0, v6, s[2:3]
	v_perm_b32 v6, v21, v6, s36
	v_lshrrev_b32_e32 v21, 16, v19
	v_cmp_gt_i32_e64 s[2:3], s22, v30
	v_cndmask_b32_e64 v21, 0, v21, s[2:3]
	v_cmp_gt_i32_e64 s[2:3], s29, v29
	v_cndmask_b32_e64 v19, 0, v19, s[2:3]
	v_lshrrev_b32_e32 v16, 16, v16
	v_cmp_gt_i32_e64 s[2:3], s22, v28
	v_cndmask_b32_e64 v16, 0, v16, s[2:3]
	v_cmp_gt_i32_e64 s[2:3], s29, v27
	v_cndmask_b32_e64 v20, 0, v20, s[2:3]
	v_perm_b32 v19, v21, v19, s36
	v_perm_b32 v16, v16, v20, s36
.LBB292_335:                            ;   in Loop: Header=BB292_235 Depth=1
	s_or_b64 exec, exec, s[16:17]
	;;#ASMSTART
	v_pk_mul_f16 v18, v34, v18;

	;;#ASMEND
	;;#ASMSTART
	v_pk_mul_f16 v6, v35, v6;

	;;#ASMEND
	;; [unrolled: 4-line block ×4, first 2 shown]
	;;#ASMSTART
	v_pk_add_f16 v6, v18, v6;

	;;#ASMEND
	;;#ASMSTART
	v_pk_add_f16 v6, v6, v19;

	;;#ASMEND
	;; [unrolled: 4-line block ×3, first 2 shown]
	v_lshrrev_b32_e32 v16, 16, v6
	v_and_b32_e32 v6, 0xffff, v6
	;;#ASMSTART
	v_cvt_f32_f16 v40, v6;
	;;#ASMEND
	;;#ASMSTART
	v_cvt_f32_f16 v41, v16;
	;;#ASMEND
	global_load_dwordx2 v[22:23], v[14:15], off offset:1024
	global_load_dword v16, v7, s[14:15]
	v_mov_b32_e32 v20, 0
	v_mov_b32_e32 v18, 0
	s_waitcnt vmcnt(1)
	v_cmp_ne_u16_sdwa s[2:3], v22, v7 src0_sel:BYTE_0 src1_sel:DWORD
	s_and_saveexec_b64 s[16:17], s[2:3]
	s_cbranch_execz .LBB292_341
; %bb.336:                              ;   in Loop: Header=BB292_235 Depth=1
	v_cmp_ne_u16_sdwa s[2:3], v22, s23 src0_sel:BYTE_0 src1_sel:DWORD
	v_bfrev_b32_e32 v18, 1
	s_and_saveexec_b64 s[18:19], s[2:3]
	s_cbranch_execz .LBB292_340
; %bb.337:                              ;   in Loop: Header=BB292_235 Depth=1
	v_and_b32_e32 v6, 0x7f, v22
	v_cmp_ne_u32_e64 s[2:3], s28, v6
	v_mov_b32_e32 v18, 0x7fc02000
	s_and_saveexec_b64 s[20:21], s[2:3]
	s_cbranch_execz .LBB292_339
; %bb.338:                              ;   in Loop: Header=BB292_235 Depth=1
	v_and_b32_e32 v18, 7, v22
	v_ffbh_u32_e32 v18, v18
	v_min_u32_e32 v18, 32, v18
	v_subrev_u32_e32 v19, 28, v18
	v_cmp_gt_u32_e64 s[2:3], 8, v6
	v_lshrrev_b32_e32 v21, 3, v6
	v_sub_u32_e32 v42, 29, v18
	v_cndmask_b32_e64 v6, 0, v19, s[2:3]
	v_lshlrev_b64 v[18:19], v6, v[22:23]
	v_cndmask_b32_e64 v6, v21, v42, s[2:3]
	v_lshlrev_b32_e32 v19, 8, v22
	v_lshl_add_u32 v6, v6, 10, v3
	v_lshlrev_b32_e32 v18, 7, v18
	v_and_or_b32 v6, v19, s30, v6
	v_and_or_b32 v6, v18, s31, v6
	v_cvt_f32_f16_e32 v18, v6
.LBB292_339:                            ;   in Loop: Header=BB292_235 Depth=1
	s_or_b64 exec, exec, s[20:21]
.LBB292_340:                            ;   in Loop: Header=BB292_235 Depth=1
	s_or_b64 exec, exec, s[18:19]
.LBB292_341:                            ;   in Loop: Header=BB292_235 Depth=1
	s_or_b64 exec, exec, s[16:17]
	v_lshrrev_b16_e32 v6, 8, v22
	v_cmp_ne_u16_e64 s[2:3], 0, v6
	s_and_saveexec_b64 s[16:17], s[2:3]
	s_cbranch_execz .LBB292_347
; %bb.342:                              ;   in Loop: Header=BB292_235 Depth=1
	v_cmp_ne_u16_e64 s[2:3], s23, v6
	v_bfrev_b32_e32 v20, 1
	s_and_saveexec_b64 s[18:19], s[2:3]
	s_cbranch_execz .LBB292_346
; %bb.343:                              ;   in Loop: Header=BB292_235 Depth=1
	v_and_b32_e32 v19, 0x7f, v6
	v_cmp_ne_u32_e64 s[2:3], s28, v19
	v_mov_b32_e32 v20, 0x7fc02000
	s_and_saveexec_b64 s[20:21], s[2:3]
	s_cbranch_execz .LBB292_345
; %bb.344:                              ;   in Loop: Header=BB292_235 Depth=1
	v_and_b32_e32 v42, 7, v6
	v_ffbh_u32_e32 v20, v42
	v_min_u32_e32 v44, 32, v20
	v_subrev_u32_e32 v20, 28, v44
	v_lshlrev_b64 v[20:21], v20, v[6:7]
	v_lshrrev_b32_e32 v43, 3, v19
	v_sub_u32_e32 v21, 29, v44
	v_cmp_gt_u32_e64 s[2:3], 8, v19
	v_cndmask_b32_e64 v19, v43, v21, s[2:3]
	v_and_b32_e32 v20, 7, v20
	v_lshlrev_b32_e32 v6, 8, v6
	v_lshl_add_u32 v19, v19, 10, v3
	v_cndmask_b32_e64 v20, v42, v20, s[2:3]
	v_and_or_b32 v6, v6, s30, v19
	v_lshl_or_b32 v6, v20, 7, v6
	v_cvt_f32_f16_e32 v20, v6
.LBB292_345:                            ;   in Loop: Header=BB292_235 Depth=1
	s_or_b64 exec, exec, s[20:21]
.LBB292_346:                            ;   in Loop: Header=BB292_235 Depth=1
	s_or_b64 exec, exec, s[18:19]
.LBB292_347:                            ;   in Loop: Header=BB292_235 Depth=1
	s_or_b64 exec, exec, s[16:17]
	v_lshrrev_b32_e32 v6, 16, v22
	v_cmp_ne_u16_sdwa s[2:3], v6, v7 src0_sel:BYTE_0 src1_sel:DWORD
	v_mov_b32_e32 v21, 0
	v_mov_b32_e32 v19, 0
	s_and_saveexec_b64 s[16:17], s[2:3]
	s_cbranch_execz .LBB292_353
; %bb.348:                              ;   in Loop: Header=BB292_235 Depth=1
	v_cmp_ne_u16_sdwa s[2:3], v6, s23 src0_sel:BYTE_0 src1_sel:DWORD
	v_bfrev_b32_e32 v19, 1
	s_and_saveexec_b64 s[18:19], s[2:3]
	s_cbranch_execz .LBB292_352
; %bb.349:                              ;   in Loop: Header=BB292_235 Depth=1
	v_bfe_u32 v42, v22, 16, 7
	v_cmp_ne_u32_e64 s[2:3], s28, v42
	v_mov_b32_e32 v19, 0x7fc02000
	s_and_saveexec_b64 s[20:21], s[2:3]
	s_cbranch_execz .LBB292_351
; %bb.350:                              ;   in Loop: Header=BB292_235 Depth=1
	v_and_b32_e32 v19, 7, v6
	v_ffbh_u32_e32 v44, v19
	v_min_u32_e32 v46, 32, v44
	v_subrev_u32_e32 v44, 28, v46
	v_lshlrev_b64 v[44:45], v44, v[6:7]
	v_lshrrev_b32_e32 v43, 3, v42
	v_sub_u32_e32 v45, 29, v46
	v_cmp_gt_u32_e64 s[2:3], 8, v42
	v_cndmask_b32_e64 v42, v43, v45, s[2:3]
	v_and_b32_e32 v44, 7, v44
	v_lshlrev_b32_e32 v6, 8, v6
	v_lshl_add_u32 v42, v42, 10, v3
	v_cndmask_b32_e64 v19, v19, v44, s[2:3]
	v_and_or_b32 v6, v6, s30, v42
	v_lshl_or_b32 v6, v19, 7, v6
	v_cvt_f32_f16_e32 v19, v6
.LBB292_351:                            ;   in Loop: Header=BB292_235 Depth=1
	s_or_b64 exec, exec, s[20:21]
.LBB292_352:                            ;   in Loop: Header=BB292_235 Depth=1
	s_or_b64 exec, exec, s[18:19]
.LBB292_353:                            ;   in Loop: Header=BB292_235 Depth=1
	s_or_b64 exec, exec, s[16:17]
	v_cmp_lt_u32_e64 s[2:3], s11, v22
	s_and_saveexec_b64 s[16:17], s[2:3]
	s_cbranch_execz .LBB292_359
; %bb.354:                              ;   in Loop: Header=BB292_235 Depth=1
	v_lshrrev_b32_e32 v6, 24, v22
	v_cmp_ne_u32_e64 s[2:3], s23, v6
	v_bfrev_b32_e32 v21, 1
	s_and_saveexec_b64 s[18:19], s[2:3]
	s_cbranch_execz .LBB292_358
; %bb.355:                              ;   in Loop: Header=BB292_235 Depth=1
	v_and_b32_e32 v42, 0x7f, v6
	v_cmp_ne_u32_e64 s[2:3], s28, v42
	v_mov_b32_e32 v21, 0x7fc02000
	s_and_saveexec_b64 s[20:21], s[2:3]
	s_cbranch_execz .LBB292_357
; %bb.356:                              ;   in Loop: Header=BB292_235 Depth=1
	v_and_b32_e32 v21, 7, v6
	v_ffbh_u32_e32 v44, v21
	v_min_u32_e32 v46, 32, v44
	v_subrev_u32_e32 v44, 28, v46
	v_lshlrev_b64 v[44:45], v44, v[6:7]
	v_lshrrev_b32_e32 v43, 3, v42
	v_sub_u32_e32 v45, 29, v46
	v_cmp_gt_u32_e64 s[2:3], 8, v42
	v_cndmask_b32_e64 v42, v43, v45, s[2:3]
	v_and_b32_e32 v44, 7, v44
	v_lshlrev_b32_e32 v6, 8, v6
	v_lshl_add_u32 v42, v42, 10, v3
	v_cndmask_b32_e64 v21, v21, v44, s[2:3]
	v_and_or_b32 v6, v6, s30, v42
	v_lshl_or_b32 v6, v21, 7, v6
	v_cvt_f32_f16_e32 v21, v6
.LBB292_357:                            ;   in Loop: Header=BB292_235 Depth=1
	s_or_b64 exec, exec, s[20:21]
.LBB292_358:                            ;   in Loop: Header=BB292_235 Depth=1
	s_or_b64 exec, exec, s[18:19]
.LBB292_359:                            ;   in Loop: Header=BB292_235 Depth=1
	s_or_b64 exec, exec, s[16:17]
	v_mov_b32_e32 v6, v23
	v_cmp_ne_u16_sdwa s[2:3], v23, v7 src0_sel:BYTE_0 src1_sel:DWORD
	v_mov_b32_e32 v43, 0
	v_mov_b32_e32 v42, 0
	s_and_saveexec_b64 s[16:17], s[2:3]
	s_cbranch_execz .LBB292_365
; %bb.360:                              ;   in Loop: Header=BB292_235 Depth=1
	v_cmp_ne_u16_sdwa s[2:3], v23, s23 src0_sel:BYTE_0 src1_sel:DWORD
	v_bfrev_b32_e32 v42, 1
	s_and_saveexec_b64 s[18:19], s[2:3]
	s_cbranch_execz .LBB292_364
; %bb.361:                              ;   in Loop: Header=BB292_235 Depth=1
	v_and_b32_e32 v44, 0x7f, v23
	v_cmp_ne_u32_e64 s[2:3], s28, v44
	v_mov_b32_e32 v42, 0x7fc02000
	s_and_saveexec_b64 s[20:21], s[2:3]
	s_cbranch_execz .LBB292_363
; %bb.362:                              ;   in Loop: Header=BB292_235 Depth=1
	v_and_b32_e32 v42, 7, v23
	v_ffbh_u32_e32 v42, v42
	v_min_u32_e32 v42, 32, v42
	v_subrev_u32_e32 v45, 28, v42
	v_cmp_gt_u32_e64 s[2:3], 8, v44
	v_lshrrev_b32_e32 v46, 3, v44
	v_sub_u32_e32 v42, 29, v42
	v_cndmask_b32_e64 v44, 0, v45, s[2:3]
	v_lshlrev_b64 v[44:45], v44, v[6:7]
	v_cndmask_b32_e64 v42, v46, v42, s[2:3]
	v_lshlrev_b32_e32 v45, 8, v23
	v_lshl_add_u32 v42, v42, 10, v3
	v_lshlrev_b32_e32 v44, 7, v44
	v_and_or_b32 v42, v45, s30, v42
	v_and_or_b32 v42, v44, s31, v42
	v_cvt_f32_f16_e32 v42, v42
.LBB292_363:                            ;   in Loop: Header=BB292_235 Depth=1
	s_or_b64 exec, exec, s[20:21]
.LBB292_364:                            ;   in Loop: Header=BB292_235 Depth=1
	s_or_b64 exec, exec, s[18:19]
.LBB292_365:                            ;   in Loop: Header=BB292_235 Depth=1
	s_or_b64 exec, exec, s[16:17]
	v_lshrrev_b16_e32 v6, 8, v6
	v_cmp_ne_u16_e64 s[2:3], 0, v6
	s_and_saveexec_b64 s[16:17], s[2:3]
	s_cbranch_execz .LBB292_371
; %bb.366:                              ;   in Loop: Header=BB292_235 Depth=1
	v_cmp_ne_u16_e64 s[2:3], s23, v6
	v_bfrev_b32_e32 v43, 1
	s_and_saveexec_b64 s[18:19], s[2:3]
	s_cbranch_execz .LBB292_370
; %bb.367:                              ;   in Loop: Header=BB292_235 Depth=1
	v_and_b32_e32 v44, 0x7f, v6
	v_cmp_ne_u32_e64 s[2:3], s28, v44
	v_mov_b32_e32 v43, 0x7fc02000
	s_and_saveexec_b64 s[20:21], s[2:3]
	s_cbranch_execz .LBB292_369
; %bb.368:                              ;   in Loop: Header=BB292_235 Depth=1
	v_and_b32_e32 v43, 7, v6
	v_ffbh_u32_e32 v46, v43
	v_min_u32_e32 v48, 32, v46
	v_subrev_u32_e32 v46, 28, v48
	v_lshlrev_b64 v[46:47], v46, v[6:7]
	v_lshrrev_b32_e32 v45, 3, v44
	v_sub_u32_e32 v47, 29, v48
	v_cmp_gt_u32_e64 s[2:3], 8, v44
	v_cndmask_b32_e64 v44, v45, v47, s[2:3]
	v_and_b32_e32 v46, 7, v46
	v_lshlrev_b32_e32 v6, 8, v6
	v_lshl_add_u32 v44, v44, 10, v3
	v_cndmask_b32_e64 v43, v43, v46, s[2:3]
	v_and_or_b32 v6, v6, s30, v44
	v_lshl_or_b32 v6, v43, 7, v6
	v_cvt_f32_f16_e32 v43, v6
.LBB292_369:                            ;   in Loop: Header=BB292_235 Depth=1
	s_or_b64 exec, exec, s[20:21]
.LBB292_370:                            ;   in Loop: Header=BB292_235 Depth=1
	s_or_b64 exec, exec, s[18:19]
.LBB292_371:                            ;   in Loop: Header=BB292_235 Depth=1
	s_or_b64 exec, exec, s[16:17]
	v_lshrrev_b32_e32 v6, 16, v23
	v_cmp_ne_u16_sdwa s[2:3], v6, v7 src0_sel:BYTE_0 src1_sel:DWORD
	v_mov_b32_e32 v44, 0
	v_mov_b32_e32 v45, 0
	s_and_saveexec_b64 s[16:17], s[2:3]
	s_cbranch_execz .LBB292_377
; %bb.372:                              ;   in Loop: Header=BB292_235 Depth=1
	v_cmp_ne_u16_sdwa s[2:3], v6, s23 src0_sel:BYTE_0 src1_sel:DWORD
	v_bfrev_b32_e32 v45, 1
	s_and_saveexec_b64 s[18:19], s[2:3]
	s_cbranch_execz .LBB292_376
; %bb.373:                              ;   in Loop: Header=BB292_235 Depth=1
	v_bfe_u32 v46, v23, 16, 7
	v_cmp_ne_u32_e64 s[2:3], s28, v46
	v_mov_b32_e32 v45, 0x7fc02000
	s_and_saveexec_b64 s[20:21], s[2:3]
	s_cbranch_execz .LBB292_375
; %bb.374:                              ;   in Loop: Header=BB292_235 Depth=1
	v_and_b32_e32 v45, 7, v6
	v_ffbh_u32_e32 v48, v45
	v_min_u32_e32 v50, 32, v48
	v_subrev_u32_e32 v48, 28, v50
	v_lshlrev_b64 v[48:49], v48, v[6:7]
	v_lshrrev_b32_e32 v47, 3, v46
	v_sub_u32_e32 v49, 29, v50
	v_cmp_gt_u32_e64 s[2:3], 8, v46
	v_cndmask_b32_e64 v46, v47, v49, s[2:3]
	v_and_b32_e32 v48, 7, v48
	v_lshlrev_b32_e32 v6, 8, v6
	v_lshl_add_u32 v46, v46, 10, v3
	v_cndmask_b32_e64 v45, v45, v48, s[2:3]
	v_and_or_b32 v6, v6, s30, v46
	v_lshl_or_b32 v6, v45, 7, v6
	v_cvt_f32_f16_e32 v45, v6
.LBB292_375:                            ;   in Loop: Header=BB292_235 Depth=1
	s_or_b64 exec, exec, s[20:21]
.LBB292_376:                            ;   in Loop: Header=BB292_235 Depth=1
	s_or_b64 exec, exec, s[18:19]
.LBB292_377:                            ;   in Loop: Header=BB292_235 Depth=1
	s_or_b64 exec, exec, s[16:17]
	v_cmp_lt_u64_e64 s[2:3], s[10:11], v[22:23]
	s_and_saveexec_b64 s[16:17], s[2:3]
	s_cbranch_execz .LBB292_383
; %bb.378:                              ;   in Loop: Header=BB292_235 Depth=1
	v_lshrrev_b32_e32 v6, 24, v23
	v_cmp_ne_u32_e64 s[2:3], s23, v6
	v_bfrev_b32_e32 v44, 1
	s_and_saveexec_b64 s[18:19], s[2:3]
	s_cbranch_execz .LBB292_382
; %bb.379:                              ;   in Loop: Header=BB292_235 Depth=1
	v_and_b32_e32 v22, 0x7f, v6
	v_cmp_ne_u32_e64 s[2:3], s28, v22
	v_mov_b32_e32 v44, 0x7fc02000
	s_and_saveexec_b64 s[20:21], s[2:3]
	s_cbranch_execz .LBB292_381
; %bb.380:                              ;   in Loop: Header=BB292_235 Depth=1
	v_and_b32_e32 v23, 7, v6
	v_ffbh_u32_e32 v46, v23
	v_min_u32_e32 v48, 32, v46
	v_subrev_u32_e32 v46, 28, v48
	v_lshlrev_b64 v[46:47], v46, v[6:7]
	v_lshrrev_b32_e32 v44, 3, v22
	v_sub_u32_e32 v47, 29, v48
	v_cmp_gt_u32_e64 s[2:3], 8, v22
	v_cndmask_b32_e64 v22, v44, v47, s[2:3]
	v_and_b32_e32 v46, 7, v46
	v_lshlrev_b32_e32 v6, 8, v6
	v_lshl_add_u32 v22, v22, 10, v3
	v_cndmask_b32_e64 v23, v23, v46, s[2:3]
	v_and_or_b32 v6, v6, s30, v22
	v_lshl_or_b32 v6, v23, 7, v6
	v_cvt_f32_f16_e32 v44, v6
.LBB292_381:                            ;   in Loop: Header=BB292_235 Depth=1
	s_or_b64 exec, exec, s[20:21]
.LBB292_382:                            ;   in Loop: Header=BB292_235 Depth=1
	s_or_b64 exec, exec, s[18:19]
.LBB292_383:                            ;   in Loop: Header=BB292_235 Depth=1
	s_or_b64 exec, exec, s[16:17]
	s_waitcnt vmcnt(0)
	v_pk_mul_f32 v[20:21], v[16:17], v[20:21] op_sel_hi:[0,1]
	v_pk_mul_f32 v[18:19], v[16:17], v[18:19] op_sel_hi:[0,1]
	v_cvt_f16_f32_e32 v6, v21
	v_cvt_f16_f32_e32 v20, v20
	;; [unrolled: 1-line block ×4, first 2 shown]
	v_pack_b32_f16 v20, v20, v6
	v_pack_b32_f16 v18, v18, v19
	v_fma_mixlo_f16 v19, v16, v43, 0
	v_perm_b32 v6, v18, v20, s34
	v_perm_b32 v18, v18, v20, s35
	v_lshlrev_b32_e32 v19, 16, v19
	v_fma_mixlo_f16 v20, v16, v42, 0
	v_or_b32_sdwa v19, v19, v20 dst_sel:DWORD dst_unused:UNUSED_PAD src0_sel:DWORD src1_sel:WORD_0
	v_fma_mixlo_f16 v20, v16, v45, 0
	v_fma_mixlo_f16 v16, v16, v44, 0
	v_lshlrev_b32_e32 v16, 16, v16
	v_or_b32_sdwa v16, v16, v20 dst_sel:DWORD dst_unused:UNUSED_PAD src0_sel:DWORD src1_sel:WORD_0
	s_and_saveexec_b64 s[16:17], vcc
	s_cbranch_execz .LBB292_385
; %bb.384:                              ;   in Loop: Header=BB292_235 Depth=1
	v_lshrrev_b32_e32 v21, 16, v18
	v_cmp_gt_i32_e64 s[2:3], s22, v33
	v_cndmask_b32_e64 v21, 0, v21, s[2:3]
	v_cmp_gt_i32_e64 s[2:3], s29, v26
	v_cndmask_b32_e64 v18, 0, v18, s[2:3]
	v_perm_b32 v18, v21, v18, s36
	v_lshrrev_b32_e32 v21, 16, v6
	v_cmp_gt_i32_e64 s[2:3], s22, v32
	v_cndmask_b32_e64 v21, 0, v21, s[2:3]
	v_cmp_gt_i32_e64 s[2:3], s29, v31
	v_cndmask_b32_e64 v6, 0, v6, s[2:3]
	v_perm_b32 v6, v21, v6, s36
	v_lshrrev_b32_e32 v21, 16, v19
	v_cmp_gt_i32_e64 s[2:3], s22, v30
	v_cndmask_b32_e64 v21, 0, v21, s[2:3]
	v_cmp_gt_i32_e64 s[2:3], s29, v29
	v_cndmask_b32_e64 v19, 0, v19, s[2:3]
	v_lshrrev_b32_e32 v16, 16, v16
	v_cmp_gt_i32_e64 s[2:3], s22, v28
	v_cndmask_b32_e64 v16, 0, v16, s[2:3]
	v_cmp_gt_i32_e64 s[2:3], s29, v27
	v_cndmask_b32_e64 v20, 0, v20, s[2:3]
	v_perm_b32 v19, v21, v19, s36
	v_perm_b32 v16, v16, v20, s36
.LBB292_385:                            ;   in Loop: Header=BB292_235 Depth=1
	s_or_b64 exec, exec, s[16:17]
	;;#ASMSTART
	v_pk_mul_f16 v18, v34, v18;

	;;#ASMEND
	;;#ASMSTART
	v_pk_mul_f16 v6, v35, v6;

	;;#ASMEND
	;; [unrolled: 4-line block ×4, first 2 shown]
	;;#ASMSTART
	v_pk_add_f16 v6, v18, v6;

	;;#ASMEND
	;;#ASMSTART
	v_pk_add_f16 v6, v6, v19;

	;;#ASMEND
	;; [unrolled: 4-line block ×3, first 2 shown]
	v_lshrrev_b32_e32 v16, 16, v6
	v_and_b32_e32 v6, 0xffff, v6
	;;#ASMSTART
	v_cvt_f32_f16 v22, v6;
	;;#ASMEND
	;;#ASMSTART
	v_cvt_f32_f16 v23, v16;
	;;#ASMEND
	global_load_dwordx2 v[20:21], v[14:15], off offset:1536
	global_load_dword v16, v7, s[14:15]
	v_mov_b32_e32 v18, 0
	v_mov_b32_e32 v14, 0
	s_waitcnt vmcnt(1)
	v_cmp_ne_u16_sdwa s[2:3], v20, v7 src0_sel:BYTE_0 src1_sel:DWORD
	s_and_saveexec_b64 s[16:17], s[2:3]
	s_cbranch_execz .LBB292_391
; %bb.386:                              ;   in Loop: Header=BB292_235 Depth=1
	v_cmp_ne_u16_sdwa s[2:3], v20, s23 src0_sel:BYTE_0 src1_sel:DWORD
	v_bfrev_b32_e32 v14, 1
	s_and_saveexec_b64 s[18:19], s[2:3]
	s_cbranch_execz .LBB292_390
; %bb.387:                              ;   in Loop: Header=BB292_235 Depth=1
	v_and_b32_e32 v6, 0x7f, v20
	v_cmp_ne_u32_e64 s[2:3], s28, v6
	v_mov_b32_e32 v14, 0x7fc02000
	s_and_saveexec_b64 s[20:21], s[2:3]
	s_cbranch_execz .LBB292_389
; %bb.388:                              ;   in Loop: Header=BB292_235 Depth=1
	v_and_b32_e32 v14, 7, v20
	v_ffbh_u32_e32 v14, v14
	v_min_u32_e32 v14, 32, v14
	v_subrev_u32_e32 v15, 28, v14
	v_cmp_gt_u32_e64 s[2:3], 8, v6
	v_lshrrev_b32_e32 v19, 3, v6
	v_sub_u32_e32 v42, 29, v14
	v_cndmask_b32_e64 v6, 0, v15, s[2:3]
	v_lshlrev_b64 v[14:15], v6, v[20:21]
	v_cndmask_b32_e64 v6, v19, v42, s[2:3]
	v_lshlrev_b32_e32 v15, 8, v20
	v_lshl_add_u32 v6, v6, 10, v3
	v_lshlrev_b32_e32 v14, 7, v14
	v_and_or_b32 v6, v15, s30, v6
	v_and_or_b32 v6, v14, s31, v6
	v_cvt_f32_f16_e32 v14, v6
.LBB292_389:                            ;   in Loop: Header=BB292_235 Depth=1
	s_or_b64 exec, exec, s[20:21]
.LBB292_390:                            ;   in Loop: Header=BB292_235 Depth=1
	s_or_b64 exec, exec, s[18:19]
.LBB292_391:                            ;   in Loop: Header=BB292_235 Depth=1
	s_or_b64 exec, exec, s[16:17]
	v_lshrrev_b16_e32 v6, 8, v20
	v_cmp_ne_u16_e64 s[2:3], 0, v6
	s_and_saveexec_b64 s[16:17], s[2:3]
	s_cbranch_execz .LBB292_397
; %bb.392:                              ;   in Loop: Header=BB292_235 Depth=1
	v_cmp_ne_u16_e64 s[2:3], s23, v6
	v_bfrev_b32_e32 v18, 1
	s_and_saveexec_b64 s[18:19], s[2:3]
	s_cbranch_execz .LBB292_396
; %bb.393:                              ;   in Loop: Header=BB292_235 Depth=1
	v_and_b32_e32 v15, 0x7f, v6
	v_cmp_ne_u32_e64 s[2:3], s28, v15
	v_mov_b32_e32 v18, 0x7fc02000
	s_and_saveexec_b64 s[20:21], s[2:3]
	s_cbranch_execz .LBB292_395
; %bb.394:                              ;   in Loop: Header=BB292_235 Depth=1
	v_and_b32_e32 v42, 7, v6
	v_ffbh_u32_e32 v18, v42
	v_min_u32_e32 v44, 32, v18
	v_subrev_u32_e32 v18, 28, v44
	v_lshlrev_b64 v[18:19], v18, v[6:7]
	v_lshrrev_b32_e32 v43, 3, v15
	v_sub_u32_e32 v19, 29, v44
	v_cmp_gt_u32_e64 s[2:3], 8, v15
	v_cndmask_b32_e64 v15, v43, v19, s[2:3]
	v_and_b32_e32 v18, 7, v18
	v_lshlrev_b32_e32 v6, 8, v6
	v_lshl_add_u32 v15, v15, 10, v3
	v_cndmask_b32_e64 v18, v42, v18, s[2:3]
	v_and_or_b32 v6, v6, s30, v15
	v_lshl_or_b32 v6, v18, 7, v6
	v_cvt_f32_f16_e32 v18, v6
.LBB292_395:                            ;   in Loop: Header=BB292_235 Depth=1
	s_or_b64 exec, exec, s[20:21]
.LBB292_396:                            ;   in Loop: Header=BB292_235 Depth=1
	s_or_b64 exec, exec, s[18:19]
.LBB292_397:                            ;   in Loop: Header=BB292_235 Depth=1
	s_or_b64 exec, exec, s[16:17]
	v_lshrrev_b32_e32 v6, 16, v20
	v_cmp_ne_u16_sdwa s[2:3], v6, v7 src0_sel:BYTE_0 src1_sel:DWORD
	v_mov_b32_e32 v19, 0
	v_mov_b32_e32 v15, 0
	s_and_saveexec_b64 s[16:17], s[2:3]
	s_cbranch_execz .LBB292_403
; %bb.398:                              ;   in Loop: Header=BB292_235 Depth=1
	v_cmp_ne_u16_sdwa s[2:3], v6, s23 src0_sel:BYTE_0 src1_sel:DWORD
	v_bfrev_b32_e32 v15, 1
	s_and_saveexec_b64 s[18:19], s[2:3]
	s_cbranch_execz .LBB292_402
; %bb.399:                              ;   in Loop: Header=BB292_235 Depth=1
	v_bfe_u32 v42, v20, 16, 7
	v_cmp_ne_u32_e64 s[2:3], s28, v42
	v_mov_b32_e32 v15, 0x7fc02000
	s_and_saveexec_b64 s[20:21], s[2:3]
	s_cbranch_execz .LBB292_401
; %bb.400:                              ;   in Loop: Header=BB292_235 Depth=1
	v_and_b32_e32 v15, 7, v6
	v_ffbh_u32_e32 v44, v15
	v_min_u32_e32 v46, 32, v44
	v_subrev_u32_e32 v44, 28, v46
	v_lshlrev_b64 v[44:45], v44, v[6:7]
	v_lshrrev_b32_e32 v43, 3, v42
	v_sub_u32_e32 v45, 29, v46
	v_cmp_gt_u32_e64 s[2:3], 8, v42
	v_cndmask_b32_e64 v42, v43, v45, s[2:3]
	v_and_b32_e32 v44, 7, v44
	v_lshlrev_b32_e32 v6, 8, v6
	v_lshl_add_u32 v42, v42, 10, v3
	v_cndmask_b32_e64 v15, v15, v44, s[2:3]
	v_and_or_b32 v6, v6, s30, v42
	v_lshl_or_b32 v6, v15, 7, v6
	v_cvt_f32_f16_e32 v15, v6
.LBB292_401:                            ;   in Loop: Header=BB292_235 Depth=1
	s_or_b64 exec, exec, s[20:21]
.LBB292_402:                            ;   in Loop: Header=BB292_235 Depth=1
	s_or_b64 exec, exec, s[18:19]
.LBB292_403:                            ;   in Loop: Header=BB292_235 Depth=1
	s_or_b64 exec, exec, s[16:17]
	v_cmp_lt_u32_e64 s[2:3], s11, v20
	s_and_saveexec_b64 s[16:17], s[2:3]
	s_cbranch_execz .LBB292_409
; %bb.404:                              ;   in Loop: Header=BB292_235 Depth=1
	v_lshrrev_b32_e32 v6, 24, v20
	v_cmp_ne_u32_e64 s[2:3], s23, v6
	v_bfrev_b32_e32 v19, 1
	s_and_saveexec_b64 s[18:19], s[2:3]
	s_cbranch_execz .LBB292_408
; %bb.405:                              ;   in Loop: Header=BB292_235 Depth=1
	v_and_b32_e32 v42, 0x7f, v6
	v_cmp_ne_u32_e64 s[2:3], s28, v42
	v_mov_b32_e32 v19, 0x7fc02000
	s_and_saveexec_b64 s[20:21], s[2:3]
	s_cbranch_execz .LBB292_407
; %bb.406:                              ;   in Loop: Header=BB292_235 Depth=1
	v_and_b32_e32 v19, 7, v6
	v_ffbh_u32_e32 v44, v19
	v_min_u32_e32 v46, 32, v44
	v_subrev_u32_e32 v44, 28, v46
	v_lshlrev_b64 v[44:45], v44, v[6:7]
	v_lshrrev_b32_e32 v43, 3, v42
	v_sub_u32_e32 v45, 29, v46
	v_cmp_gt_u32_e64 s[2:3], 8, v42
	v_cndmask_b32_e64 v42, v43, v45, s[2:3]
	v_and_b32_e32 v44, 7, v44
	v_lshlrev_b32_e32 v6, 8, v6
	v_lshl_add_u32 v42, v42, 10, v3
	v_cndmask_b32_e64 v19, v19, v44, s[2:3]
	v_and_or_b32 v6, v6, s30, v42
	v_lshl_or_b32 v6, v19, 7, v6
	v_cvt_f32_f16_e32 v19, v6
.LBB292_407:                            ;   in Loop: Header=BB292_235 Depth=1
	s_or_b64 exec, exec, s[20:21]
.LBB292_408:                            ;   in Loop: Header=BB292_235 Depth=1
	s_or_b64 exec, exec, s[18:19]
.LBB292_409:                            ;   in Loop: Header=BB292_235 Depth=1
	s_or_b64 exec, exec, s[16:17]
	v_mov_b32_e32 v6, v21
	v_cmp_ne_u16_sdwa s[2:3], v21, v7 src0_sel:BYTE_0 src1_sel:DWORD
	v_mov_b32_e32 v43, 0
	v_mov_b32_e32 v42, 0
	s_and_saveexec_b64 s[16:17], s[2:3]
	s_cbranch_execz .LBB292_415
; %bb.410:                              ;   in Loop: Header=BB292_235 Depth=1
	v_cmp_ne_u16_sdwa s[2:3], v21, s23 src0_sel:BYTE_0 src1_sel:DWORD
	v_bfrev_b32_e32 v42, 1
	s_and_saveexec_b64 s[18:19], s[2:3]
	s_cbranch_execz .LBB292_414
; %bb.411:                              ;   in Loop: Header=BB292_235 Depth=1
	v_and_b32_e32 v44, 0x7f, v21
	v_cmp_ne_u32_e64 s[2:3], s28, v44
	v_mov_b32_e32 v42, 0x7fc02000
	s_and_saveexec_b64 s[20:21], s[2:3]
	s_cbranch_execz .LBB292_413
; %bb.412:                              ;   in Loop: Header=BB292_235 Depth=1
	v_and_b32_e32 v42, 7, v21
	v_ffbh_u32_e32 v42, v42
	v_min_u32_e32 v42, 32, v42
	v_subrev_u32_e32 v45, 28, v42
	v_cmp_gt_u32_e64 s[2:3], 8, v44
	v_lshrrev_b32_e32 v46, 3, v44
	v_sub_u32_e32 v42, 29, v42
	v_cndmask_b32_e64 v44, 0, v45, s[2:3]
	v_lshlrev_b64 v[44:45], v44, v[6:7]
	v_cndmask_b32_e64 v42, v46, v42, s[2:3]
	v_lshlrev_b32_e32 v45, 8, v21
	v_lshl_add_u32 v42, v42, 10, v3
	v_lshlrev_b32_e32 v44, 7, v44
	v_and_or_b32 v42, v45, s30, v42
	v_and_or_b32 v42, v44, s31, v42
	v_cvt_f32_f16_e32 v42, v42
.LBB292_413:                            ;   in Loop: Header=BB292_235 Depth=1
	s_or_b64 exec, exec, s[20:21]
.LBB292_414:                            ;   in Loop: Header=BB292_235 Depth=1
	s_or_b64 exec, exec, s[18:19]
.LBB292_415:                            ;   in Loop: Header=BB292_235 Depth=1
	s_or_b64 exec, exec, s[16:17]
	v_lshrrev_b16_e32 v6, 8, v6
	v_cmp_ne_u16_e64 s[2:3], 0, v6
	s_and_saveexec_b64 s[16:17], s[2:3]
	s_cbranch_execz .LBB292_421
; %bb.416:                              ;   in Loop: Header=BB292_235 Depth=1
	v_cmp_ne_u16_e64 s[2:3], s23, v6
	v_bfrev_b32_e32 v43, 1
	s_and_saveexec_b64 s[18:19], s[2:3]
	s_cbranch_execz .LBB292_420
; %bb.417:                              ;   in Loop: Header=BB292_235 Depth=1
	v_and_b32_e32 v44, 0x7f, v6
	v_cmp_ne_u32_e64 s[2:3], s28, v44
	v_mov_b32_e32 v43, 0x7fc02000
	s_and_saveexec_b64 s[20:21], s[2:3]
	s_cbranch_execz .LBB292_419
; %bb.418:                              ;   in Loop: Header=BB292_235 Depth=1
	v_and_b32_e32 v43, 7, v6
	v_ffbh_u32_e32 v46, v43
	v_min_u32_e32 v48, 32, v46
	v_subrev_u32_e32 v46, 28, v48
	v_lshlrev_b64 v[46:47], v46, v[6:7]
	v_lshrrev_b32_e32 v45, 3, v44
	v_sub_u32_e32 v47, 29, v48
	v_cmp_gt_u32_e64 s[2:3], 8, v44
	v_cndmask_b32_e64 v44, v45, v47, s[2:3]
	v_and_b32_e32 v46, 7, v46
	v_lshlrev_b32_e32 v6, 8, v6
	v_lshl_add_u32 v44, v44, 10, v3
	v_cndmask_b32_e64 v43, v43, v46, s[2:3]
	v_and_or_b32 v6, v6, s30, v44
	v_lshl_or_b32 v6, v43, 7, v6
	v_cvt_f32_f16_e32 v43, v6
.LBB292_419:                            ;   in Loop: Header=BB292_235 Depth=1
	s_or_b64 exec, exec, s[20:21]
.LBB292_420:                            ;   in Loop: Header=BB292_235 Depth=1
	s_or_b64 exec, exec, s[18:19]
.LBB292_421:                            ;   in Loop: Header=BB292_235 Depth=1
	s_or_b64 exec, exec, s[16:17]
	v_lshrrev_b32_e32 v6, 16, v21
	v_cmp_ne_u16_sdwa s[2:3], v6, v7 src0_sel:BYTE_0 src1_sel:DWORD
	v_mov_b32_e32 v44, 0
	v_mov_b32_e32 v45, 0
	s_and_saveexec_b64 s[16:17], s[2:3]
	s_cbranch_execz .LBB292_427
; %bb.422:                              ;   in Loop: Header=BB292_235 Depth=1
	v_cmp_ne_u16_sdwa s[2:3], v6, s23 src0_sel:BYTE_0 src1_sel:DWORD
	v_bfrev_b32_e32 v45, 1
	s_and_saveexec_b64 s[18:19], s[2:3]
	s_cbranch_execz .LBB292_426
; %bb.423:                              ;   in Loop: Header=BB292_235 Depth=1
	v_bfe_u32 v46, v21, 16, 7
	v_cmp_ne_u32_e64 s[2:3], s28, v46
	v_mov_b32_e32 v45, 0x7fc02000
	s_and_saveexec_b64 s[20:21], s[2:3]
	s_cbranch_execz .LBB292_425
; %bb.424:                              ;   in Loop: Header=BB292_235 Depth=1
	v_and_b32_e32 v45, 7, v6
	v_ffbh_u32_e32 v48, v45
	v_min_u32_e32 v50, 32, v48
	v_subrev_u32_e32 v48, 28, v50
	v_lshlrev_b64 v[48:49], v48, v[6:7]
	v_lshrrev_b32_e32 v47, 3, v46
	v_sub_u32_e32 v49, 29, v50
	v_cmp_gt_u32_e64 s[2:3], 8, v46
	v_cndmask_b32_e64 v46, v47, v49, s[2:3]
	v_and_b32_e32 v48, 7, v48
	v_lshlrev_b32_e32 v6, 8, v6
	v_lshl_add_u32 v46, v46, 10, v3
	v_cndmask_b32_e64 v45, v45, v48, s[2:3]
	v_and_or_b32 v6, v6, s30, v46
	v_lshl_or_b32 v6, v45, 7, v6
	v_cvt_f32_f16_e32 v45, v6
.LBB292_425:                            ;   in Loop: Header=BB292_235 Depth=1
	s_or_b64 exec, exec, s[20:21]
.LBB292_426:                            ;   in Loop: Header=BB292_235 Depth=1
	s_or_b64 exec, exec, s[18:19]
.LBB292_427:                            ;   in Loop: Header=BB292_235 Depth=1
	s_or_b64 exec, exec, s[16:17]
	v_cmp_lt_u64_e64 s[2:3], s[10:11], v[20:21]
	s_and_saveexec_b64 s[16:17], s[2:3]
	s_cbranch_execz .LBB292_433
; %bb.428:                              ;   in Loop: Header=BB292_235 Depth=1
	v_lshrrev_b32_e32 v6, 24, v21
	v_cmp_ne_u32_e64 s[2:3], s23, v6
	v_bfrev_b32_e32 v44, 1
	s_and_saveexec_b64 s[18:19], s[2:3]
	s_cbranch_execz .LBB292_432
; %bb.429:                              ;   in Loop: Header=BB292_235 Depth=1
	v_and_b32_e32 v20, 0x7f, v6
	v_cmp_ne_u32_e64 s[2:3], s28, v20
	v_mov_b32_e32 v44, 0x7fc02000
	s_and_saveexec_b64 s[20:21], s[2:3]
	s_cbranch_execz .LBB292_431
; %bb.430:                              ;   in Loop: Header=BB292_235 Depth=1
	v_and_b32_e32 v21, 7, v6
	v_ffbh_u32_e32 v46, v21
	v_min_u32_e32 v48, 32, v46
	v_subrev_u32_e32 v46, 28, v48
	v_lshlrev_b64 v[46:47], v46, v[6:7]
	v_lshrrev_b32_e32 v44, 3, v20
	v_sub_u32_e32 v47, 29, v48
	v_cmp_gt_u32_e64 s[2:3], 8, v20
	v_cndmask_b32_e64 v20, v44, v47, s[2:3]
	v_and_b32_e32 v46, 7, v46
	v_lshlrev_b32_e32 v6, 8, v6
	v_lshl_add_u32 v20, v20, 10, v3
	v_cndmask_b32_e64 v21, v21, v46, s[2:3]
	v_and_or_b32 v6, v6, s30, v20
	v_lshl_or_b32 v6, v21, 7, v6
	v_cvt_f32_f16_e32 v44, v6
.LBB292_431:                            ;   in Loop: Header=BB292_235 Depth=1
	s_or_b64 exec, exec, s[20:21]
.LBB292_432:                            ;   in Loop: Header=BB292_235 Depth=1
	s_or_b64 exec, exec, s[18:19]
.LBB292_433:                            ;   in Loop: Header=BB292_235 Depth=1
	s_or_b64 exec, exec, s[16:17]
	s_waitcnt vmcnt(0)
	v_pk_mul_f32 v[18:19], v[16:17], v[18:19] op_sel_hi:[0,1]
	v_pk_mul_f32 v[14:15], v[16:17], v[14:15] op_sel_hi:[0,1]
	v_cvt_f16_f32_e32 v6, v19
	v_cvt_f16_f32_e32 v18, v18
	;; [unrolled: 1-line block ×4, first 2 shown]
	v_pack_b32_f16 v18, v18, v6
	v_pack_b32_f16 v14, v14, v15
	v_fma_mixlo_f16 v15, v16, v43, 0
	v_perm_b32 v6, v14, v18, s34
	v_perm_b32 v14, v14, v18, s35
	v_lshlrev_b32_e32 v15, 16, v15
	v_fma_mixlo_f16 v18, v16, v42, 0
	v_or_b32_sdwa v15, v15, v18 dst_sel:DWORD dst_unused:UNUSED_PAD src0_sel:DWORD src1_sel:WORD_0
	v_fma_mixlo_f16 v18, v16, v45, 0
	v_fma_mixlo_f16 v16, v16, v44, 0
	v_lshlrev_b32_e32 v16, 16, v16
	v_or_b32_sdwa v16, v16, v18 dst_sel:DWORD dst_unused:UNUSED_PAD src0_sel:DWORD src1_sel:WORD_0
	s_and_saveexec_b64 s[2:3], vcc
	s_cbranch_execz .LBB292_234
; %bb.434:                              ;   in Loop: Header=BB292_235 Depth=1
	v_lshrrev_b32_e32 v19, 16, v14
	v_cmp_gt_i32_e32 vcc, s22, v33
	v_cndmask_b32_e32 v19, 0, v19, vcc
	v_cmp_gt_i32_e32 vcc, s29, v26
	v_cndmask_b32_e32 v14, 0, v14, vcc
	v_perm_b32 v14, v19, v14, s36
	v_lshrrev_b32_e32 v19, 16, v6
	v_cmp_gt_i32_e32 vcc, s22, v32
	v_cndmask_b32_e32 v19, 0, v19, vcc
	v_cmp_gt_i32_e32 vcc, s29, v31
	v_cndmask_b32_e32 v6, 0, v6, vcc
	v_perm_b32 v6, v19, v6, s36
	v_lshrrev_b32_e32 v19, 16, v15
	v_cmp_gt_i32_e32 vcc, s22, v30
	v_cndmask_b32_e32 v19, 0, v19, vcc
	v_cmp_gt_i32_e32 vcc, s29, v29
	v_cndmask_b32_e32 v15, 0, v15, vcc
	v_lshrrev_b32_e32 v16, 16, v16
	v_cmp_gt_i32_e32 vcc, s22, v28
	v_cndmask_b32_e32 v16, 0, v16, vcc
	v_cmp_gt_i32_e32 vcc, s29, v27
	v_cndmask_b32_e32 v18, 0, v18, vcc
	v_perm_b32 v15, v19, v15, s36
	v_perm_b32 v16, v16, v18, s36
	s_branch .LBB292_234
.LBB292_435:
	s_or_b64 exec, exec, s[12:13]
.LBB292_436:
	s_or_b64 exec, exec, s[6:7]
	ds_bpermute_b32 v2, v24, v4
	ds_bpermute_b32 v3, v24, v5
	;; [unrolled: 1-line block ×4, first 2 shown]
	v_and_b32_e32 v1, 0x3c1, v0
	v_cmp_eq_u32_e32 vcc, 64, v1
	s_waitcnt lgkmcnt(2)
	v_pk_add_f32 v[4:5], v[4:5], v[2:3]
	s_waitcnt lgkmcnt(0)
	v_pk_add_f32 v[2:3], v[10:11], v[6:7]
	s_barrier
	s_and_saveexec_b64 s[2:3], vcc
	s_cbranch_execz .LBB292_438
; %bb.437:
	v_mov_b32_e32 v6, 0x110
	v_lshl_add_u32 v6, v17, 1, v6
	ds_write2_b32 v6, v4, v5 offset1:32
	ds_write2_b32 v6, v2, v3 offset0:64 offset1:96
.LBB292_438:
	s_or_b64 exec, exec, s[2:3]
	s_waitcnt lgkmcnt(0)
	s_barrier
	s_and_saveexec_b64 s[2:3], s[0:1]
	s_cbranch_execz .LBB292_445
; %bb.439:
	v_cmp_eq_u32_e32 vcc, 0, v25
	v_lshrrev_b32_e32 v6, 1, v0
	s_and_saveexec_b64 s[0:1], vcc
	s_cbranch_execnz .LBB292_448
; %bb.440:
	s_or_b64 exec, exec, s[0:1]
	s_and_saveexec_b64 s[0:1], vcc
	s_cbranch_execnz .LBB292_449
.LBB292_441:
	s_or_b64 exec, exec, s[0:1]
	s_and_saveexec_b64 s[0:1], vcc
	s_cbranch_execnz .LBB292_450
.LBB292_442:
	s_or_b64 exec, exec, s[0:1]
	s_and_saveexec_b64 s[0:1], vcc
	s_cbranch_execz .LBB292_444
.LBB292_443:
	v_mov_b32_e32 v7, 0x110
	v_lshl_add_u32 v6, v6, 2, v7
	ds_read_b32 v6, v6 offset:384
	s_waitcnt lgkmcnt(0)
	v_add_f32_e32 v3, v3, v6
.LBB292_444:
	s_or_b64 exec, exec, s[0:1]
.LBB292_445:
	s_or_b64 exec, exec, s[2:3]
	v_cmp_eq_u32_e32 vcc, 0, v1
	s_barrier
	s_and_saveexec_b64 s[0:1], vcc
	s_cbranch_execz .LBB292_447
; %bb.446:
	s_lshl_b32 s0, s4, 7
	s_ashr_i32 s1, s0, 31
	s_lshl_b64 s[0:1], s[0:1], 1
	s_add_u32 s2, s26, s0
	s_mul_i32 s0, s25, s24
	s_addc_u32 s3, s27, s1
	s_ashr_i32 s1, s0, 31
	s_lshl_b64 s[0:1], s[0:1], 1
	s_add_u32 s2, s2, s0
	s_addc_u32 s3, s3, s1
	s_lshl_b32 s0, s8, 7
	s_ashr_i32 s1, s0, 31
	s_lshl_b64 s[0:1], s[0:1], 1
	s_add_u32 s0, s2, s0
	s_addc_u32 s1, s3, s1
	;;#ASMSTART
	v_cvt_f16_f32 v1, v4;

	;;#ASMEND
	global_store_short v0, v1, s[0:1]
	;;#ASMSTART
	v_cvt_f16_f32 v1, v5;

	;;#ASMEND
	global_store_short v0, v1, s[0:1] offset:64
	;;#ASMSTART
	v_cvt_f16_f32 v1, v2;

	;;#ASMEND
	global_store_short v0, v1, s[0:1] offset:128
	;;#ASMSTART
	v_cvt_f16_f32 v1, v3;

	;;#ASMEND
	global_store_short v0, v1, s[0:1] offset:192
.LBB292_447:
	s_endpgm
.LBB292_448:
	v_mov_b32_e32 v7, 0x110
	v_lshl_add_u32 v7, v6, 2, v7
	ds_read_b32 v7, v7
	s_waitcnt lgkmcnt(0)
	v_add_f32_e32 v4, v4, v7
	s_or_b64 exec, exec, s[0:1]
	s_and_saveexec_b64 s[0:1], vcc
	s_cbranch_execz .LBB292_441
.LBB292_449:
	v_mov_b32_e32 v7, 0x110
	v_lshl_add_u32 v7, v6, 2, v7
	ds_read_b32 v7, v7 offset:128
	s_waitcnt lgkmcnt(0)
	v_add_f32_e32 v5, v5, v7
	s_or_b64 exec, exec, s[0:1]
	s_and_saveexec_b64 s[0:1], vcc
	s_cbranch_execz .LBB292_442
.LBB292_450:
	v_mov_b32_e32 v7, 0x110
	v_lshl_add_u32 v7, v6, 2, v7
	ds_read_b32 v7, v7 offset:256
	s_waitcnt lgkmcnt(0)
	v_add_f32_e32 v2, v2, v7
	s_or_b64 exec, exec, s[0:1]
	s_and_saveexec_b64 s[0:1], vcc
	s_cbranch_execnz .LBB292_443
	s_branch .LBB292_444
	.section	.rodata,"a",@progbits
	.p2align	6, 0x0
	.amdhsa_kernel _ZN4vllm25paged_attention_v2_kernelIthLi128ELi16ELi128ELNS_18Fp8KVCacheDataTypeE1ELb0ELi512EEEvPfS2_PT_PKS3_PKT0_S9_ifPKiSB_iPKfiiiSD_SD_iiiii
		.amdhsa_group_segment_fixed_size 272
		.amdhsa_private_segment_fixed_size 0
		.amdhsa_kernarg_size 400
		.amdhsa_user_sgpr_count 6
		.amdhsa_user_sgpr_private_segment_buffer 1
		.amdhsa_user_sgpr_dispatch_ptr 0
		.amdhsa_user_sgpr_queue_ptr 0
		.amdhsa_user_sgpr_kernarg_segment_ptr 1
		.amdhsa_user_sgpr_dispatch_id 0
		.amdhsa_user_sgpr_flat_scratch_init 0
		.amdhsa_user_sgpr_kernarg_preload_length 0
		.amdhsa_user_sgpr_kernarg_preload_offset 0
		.amdhsa_user_sgpr_private_segment_size 0
		.amdhsa_uses_dynamic_stack 0
		.amdhsa_system_sgpr_private_segment_wavefront_offset 0
		.amdhsa_system_sgpr_workgroup_id_x 1
		.amdhsa_system_sgpr_workgroup_id_y 1
		.amdhsa_system_sgpr_workgroup_id_z 1
		.amdhsa_system_sgpr_workgroup_info 0
		.amdhsa_system_vgpr_workitem_id 0
		.amdhsa_next_free_vgpr 68
		.amdhsa_next_free_sgpr 55
		.amdhsa_accum_offset 68
		.amdhsa_reserve_vcc 1
		.amdhsa_reserve_flat_scratch 0
		.amdhsa_float_round_mode_32 0
		.amdhsa_float_round_mode_16_64 0
		.amdhsa_float_denorm_mode_32 3
		.amdhsa_float_denorm_mode_16_64 3
		.amdhsa_dx10_clamp 1
		.amdhsa_ieee_mode 1
		.amdhsa_fp16_overflow 0
		.amdhsa_tg_split 0
		.amdhsa_exception_fp_ieee_invalid_op 0
		.amdhsa_exception_fp_denorm_src 0
		.amdhsa_exception_fp_ieee_div_zero 0
		.amdhsa_exception_fp_ieee_overflow 0
		.amdhsa_exception_fp_ieee_underflow 0
		.amdhsa_exception_fp_ieee_inexact 0
		.amdhsa_exception_int_div_zero 0
	.end_amdhsa_kernel
	.section	.text._ZN4vllm25paged_attention_v2_kernelIthLi128ELi16ELi128ELNS_18Fp8KVCacheDataTypeE1ELb0ELi512EEEvPfS2_PT_PKS3_PKT0_S9_ifPKiSB_iPKfiiiSD_SD_iiiii,"axG",@progbits,_ZN4vllm25paged_attention_v2_kernelIthLi128ELi16ELi128ELNS_18Fp8KVCacheDataTypeE1ELb0ELi512EEEvPfS2_PT_PKS3_PKT0_S9_ifPKiSB_iPKfiiiSD_SD_iiiii,comdat
.Lfunc_end292:
	.size	_ZN4vllm25paged_attention_v2_kernelIthLi128ELi16ELi128ELNS_18Fp8KVCacheDataTypeE1ELb0ELi512EEEvPfS2_PT_PKS3_PKT0_S9_ifPKiSB_iPKfiiiSD_SD_iiiii, .Lfunc_end292-_ZN4vllm25paged_attention_v2_kernelIthLi128ELi16ELi128ELNS_18Fp8KVCacheDataTypeE1ELb0ELi512EEEvPfS2_PT_PKS3_PKT0_S9_ifPKiSB_iPKfiiiSD_SD_iiiii
                                        ; -- End function
	.section	.AMDGPU.csdata,"",@progbits
; Kernel info:
; codeLenInByte = 18364
; NumSgprs: 59
; NumVgprs: 68
; NumAgprs: 0
; TotalNumVgprs: 68
; ScratchSize: 0
; MemoryBound: 0
; FloatMode: 240
; IeeeMode: 1
; LDSByteSize: 272 bytes/workgroup (compile time only)
; SGPRBlocks: 7
; VGPRBlocks: 8
; NumSGPRsForWavesPerEU: 59
; NumVGPRsForWavesPerEU: 68
; AccumOffset: 68
; Occupancy: 7
; WaveLimiterHint : 1
; COMPUTE_PGM_RSRC2:SCRATCH_EN: 0
; COMPUTE_PGM_RSRC2:USER_SGPR: 6
; COMPUTE_PGM_RSRC2:TRAP_HANDLER: 0
; COMPUTE_PGM_RSRC2:TGID_X_EN: 1
; COMPUTE_PGM_RSRC2:TGID_Y_EN: 1
; COMPUTE_PGM_RSRC2:TGID_Z_EN: 1
; COMPUTE_PGM_RSRC2:TIDIG_COMP_CNT: 0
; COMPUTE_PGM_RSRC3_GFX90A:ACCUM_OFFSET: 16
; COMPUTE_PGM_RSRC3_GFX90A:TG_SPLIT: 0
	.text
	.p2align	2                               ; -- Begin function _ZN4vllm22paged_attention_kernelIthLi192ELi16ELi128ELNS_18Fp8KVCacheDataTypeE1ELb0ELi512EEEvPfS2_PT_PKS3_PKT0_S9_ifPKiSB_iPKfiiiSD_SD_iiiii
	.type	_ZN4vllm22paged_attention_kernelIthLi192ELi16ELi128ELNS_18Fp8KVCacheDataTypeE1ELb0ELi512EEEvPfS2_PT_PKS3_PKT0_S9_ifPKiSB_iPKfiiiSD_SD_iiiii,@function
_ZN4vllm22paged_attention_kernelIthLi192ELi16ELi128ELNS_18Fp8KVCacheDataTypeE1ELb0ELi512EEEvPfS2_PT_PKS3_PKT0_S9_ifPKiSB_iPKfiiiSD_SD_iiiii: ; @_ZN4vllm22paged_attention_kernelIthLi192ELi16ELi128ELNS_18Fp8KVCacheDataTypeE1ELb0ELi512EEEvPfS2_PT_PKS3_PKT0_S9_ifPKiSB_iPKfiiiSD_SD_iiiii
; %bb.0:
	s_waitcnt vmcnt(0) expcnt(0) lgkmcnt(0)
	s_or_saveexec_b64 s[4:5], -1
	buffer_store_dword v63, off, s[0:3], s32 offset:108 ; 4-byte Folded Spill
	s_mov_b64 exec, s[4:5]
	buffer_store_dword v40, off, s[0:3], s32 offset:96 ; 4-byte Folded Spill
	buffer_store_dword v41, off, s[0:3], s32 offset:92 ; 4-byte Folded Spill
	;; [unrolled: 1-line block ×24, first 2 shown]
	buffer_store_dword a41, off, s[0:3], s32 ; 4-byte Folded Spill
	v_writelane_b32 v63, s34, 0
	v_writelane_b32 v63, s35, 1
	;; [unrolled: 1-line block ×7, first 2 shown]
	s_mov_b32 s22, s13
	s_ashr_i32 s23, s13, 31
	v_accvgpr_write_b32 a4, v26
	s_lshl_b64 s[4:5], s[22:23], 2
	v_accvgpr_write_b32 a5, v27
	v_mov_b32_e32 v26, v1
	v_mov_b32_e32 v27, v0
	;; [unrolled: 1-line block ×3, first 2 shown]
	v_add_co_u32_e32 v0, vcc, s4, v16
	v_addc_co_u32_e32 v1, vcc, v17, v1, vcc
	flat_load_dword v0, v[0:1]
	v_accvgpr_write_b32 a27, v25
	s_lshl_b32 s23, s14, 9
	v_accvgpr_write_b32 a26, v24
	v_accvgpr_write_b32 a6, v22
	v_mov_b32_e32 v29, v20
	v_mov_b32_e32 v28, v19
	v_accvgpr_write_b32 a25, v13
	v_mov_b32_e32 v20, v5
	v_mov_b32_e32 v30, v3
	;; [unrolled: 1-line block ×3, first 2 shown]
	s_waitcnt vmcnt(0) lgkmcnt(0)
	v_accvgpr_write_b32 a8, v0
	v_cmp_lt_i32_e32 vcc, s23, v0
	s_and_saveexec_b64 s[16:17], vcc
	s_cbranch_execz .LBB293_645
; %bb.1:
	v_sub_u32_e32 v0, 0, v12
	v_max_i32_e32 v0, v12, v0
	v_cvt_f32_u32_e32 v1, v0
	s_load_dword s4, s[8:9], 0x10
	s_load_dword s6, s[8:9], 0x0
	v_sub_u32_e32 v3, 0, v0
	s_mov_b32 s18, s15
	v_rcp_iflag_f32_e32 v1, v1
	s_waitcnt lgkmcnt(0)
	s_lshr_b32 s4, s4, 16
	s_cmp_lg_u32 s4, 0
	s_cselect_b64 s[4:5], -1, 0
	v_mul_f32_e32 v1, 0x4f7ffffe, v1
	v_cvt_u32_f32_e32 v1, v1
	s_cmp_lg_u64 s[4:5], 0
	s_addc_u32 s15, s6, 0
	s_abs_i32 s4, s15
	v_mul_lo_u32 v3, v3, v1
	v_mul_hi_u32 v3, v1, v3
	v_add_u32_e32 v1, v1, v3
	v_mul_hi_u32 v1, s4, v1
	v_mul_lo_u32 v3, v1, v0
	v_sub_u32_e32 v3, s4, v3
	v_accvgpr_write_b32 a1, v4
	v_add_u32_e32 v4, 1, v1
	v_cmp_ge_u32_e32 vcc, v3, v0
	v_cndmask_b32_e32 v1, v1, v4, vcc
	v_sub_u32_e32 v4, v3, v0
	v_cndmask_b32_e32 v3, v3, v4, vcc
	v_xor_b32_e32 v2, s15, v12
	v_add_u32_e32 v4, 1, v1
	v_cmp_ge_u32_e32 vcc, v3, v0
	v_ashrrev_i32_e32 v2, 31, v2
	v_cndmask_b32_e32 v0, v1, v4, vcc
	v_xor_b32_e32 v0, v0, v2
	v_sub_u32_e32 v0, v0, v2
	v_sub_u32_e32 v1, 0, v0
	v_max_i32_e32 v1, v0, v1
	v_cvt_f32_u32_e32 v2, v1
	v_sub_u32_e32 v3, 0, v1
	s_abs_i32 s6, s12
	v_cmp_ne_u64_e32 vcc, 0, v[28:29]
	v_rcp_iflag_f32_e32 v2, v2
	v_mul_f32_e32 v2, 0x4f7ffffe, v2
	v_cvt_u32_f32_e32 v2, v2
	v_mul_lo_u32 v3, v3, v2
	v_mul_hi_u32 v3, v2, v3
	v_add_u32_e32 v2, v2, v3
	v_mad_u64_u32 v[32:33], s[4:5], s6, v2, 0
	v_mov_b32_e32 v2, 0
	buffer_store_dword v2, off, s[0:3], s32 offset:104 ; 4-byte Folded Spill
	s_and_saveexec_b64 s[4:5], vcc
	s_cbranch_execz .LBB293_3
; %bb.2:
	s_ashr_i32 s13, s12, 31
	s_lshl_b64 s[10:11], s[12:13], 2
	v_mov_b32_e32 v3, s11
	v_add_co_u32_e32 v2, vcc, s10, v28
	v_addc_co_u32_e32 v3, vcc, v29, v3, vcc
	flat_load_dword v2, v[2:3]
	s_waitcnt vmcnt(0) lgkmcnt(0)
	buffer_store_dword v2, off, s[0:3], s32 offset:104 ; 4-byte Folded Spill
.LBB293_3:
	s_or_b64 exec, exec, s[4:5]
	v_and_b32_e32 v16, 0x3ff, v31
	s_movk_i32 s10, 0x60
	s_ashr_i32 s7, s12, 31
	v_ashrrev_i32_e32 v2, 31, v0
	v_and_b32_e32 v0, 3, v16
	s_mul_i32 s20, s12, 0xc0
	v_cmp_gt_u32_e32 vcc, s10, v16
	s_and_saveexec_b64 s[4:5], vcc
	s_cbranch_execz .LBB293_5
; %bb.4:
	v_mul_lo_u32 v4, s22, v21
	v_ashrrev_i32_e32 v5, 31, v4
	v_lshlrev_b64 v[4:5], 1, v[4:5]
	v_add_co_u32_e32 v3, vcc, v6, v4
	s_ashr_i32 s21, s20, 31
	v_addc_co_u32_e32 v4, vcc, v7, v5, vcc
	s_lshl_b64 s[24:25], s[20:21], 1
	v_mov_b32_e32 v5, s25
	v_add_co_u32_e32 v3, vcc, s24, v3
	v_addc_co_u32_e32 v5, vcc, v4, v5, vcc
	v_lshlrev_b32_e32 v4, 2, v16
	v_add_co_u32_e32 v4, vcc, v3, v4
	v_addc_co_u32_e32 v5, vcc, 0, v5, vcc
	flat_load_dword v3, v[4:5]
	v_and_b32_e32 v4, 0x3fc, v16
	v_mad_u32_u24 v4, v0, s10, v4
	s_waitcnt vmcnt(0) lgkmcnt(0)
	ds_write_b32 v4, v3
.LBB293_5:
	s_or_b64 exec, exec, s[4:5]
	v_accvgpr_read_b32 v4, a8
	v_add_u32_e32 v3, 15, v4
	v_ashrrev_i32_e32 v4, 31, v3
	v_lshrrev_b32_e32 v4, 28, v4
	v_add_u32_e32 v3, v3, v4
	v_ashrrev_i32_e32 v21, 4, v3
	v_mul_lo_u32 v3, v33, v1
	v_sub_u32_e32 v3, s6, v3
	v_add_u32_e32 v4, 1, v33
	v_cmp_ge_u32_e32 vcc, v3, v1
	v_sub_u32_e32 v5, v3, v1
	v_cndmask_b32_e32 v4, v33, v4, vcc
	v_cndmask_b32_e32 v3, v3, v5, vcc
	v_add_u32_e32 v5, 1, v4
	v_cmp_ge_u32_e32 vcc, v3, v1
	s_lshl_b32 s21, s14, 5
	v_xor_b32_e32 v2, s7, v2
	v_cndmask_b32_e32 v1, v4, v5, vcc
	s_add_i32 s4, s21, 32
	v_lshrrev_b32_e32 v28, 6, v16
	v_xor_b32_e32 v1, v1, v2
	v_min_i32_e32 v6, s4, v21
	v_sub_u32_e32 v3, v1, v2
	v_mul_lo_u32 v18, s22, v18
	v_or_b32_e32 v2, s21, v28
	v_ashrrev_i32_e32 v19, 31, v18
	v_cmp_lt_i32_e64 s[4:5], v2, v6
	v_accvgpr_write_b32 a3, v6
	v_mov_b32_e32 v4, v2
	v_cmp_ge_i32_e32 vcc, v2, v6
	v_mbcnt_lo_u32_b32 v1, -1, 0
	s_waitcnt lgkmcnt(0)
	s_barrier
	s_waitcnt lgkmcnt(0)
                                        ; implicit-def: $sgpr19
                                        ; implicit-def: $agpr28
                                        ; implicit-def: $vgpr2
	s_and_saveexec_b64 s[6:7], vcc
	s_xor_b64 s[6:7], exec, s[6:7]
; %bb.6:
	v_mbcnt_hi_u32_b32 v0, -1, v1
	v_accvgpr_write_b32 a28, v0
	v_and_b32_e32 v0, 64, v0
	v_add_u32_e32 v2, 64, v0
	s_mov_b32 s19, 0xff7fffff
                                        ; implicit-def: $vgpr0
                                        ; kill: killed $vgpr0
                                        ; implicit-def: $agpr25
                                        ; implicit-def: $agpr26
                                        ; implicit-def: $vgpr8
                                        ; implicit-def: $vgpr9
                                        ; implicit-def: $vgpr0
                                        ; implicit-def: $vgpr1
; %bb.7:
	s_or_saveexec_b64 s[10:11], s[6:7]
	s_load_dword s36, s[8:9], 0x14
	s_load_dword s13, s[8:9], 0x8
	v_ashrrev_i32_e32 v5, 31, v4
	v_accvgpr_write_b32 a11, v5
	v_accvgpr_write_b32 a10, v4
	v_lshlrev_b64 v[4:5], 2, v[18:19]
	v_mul_lo_u32 v29, v3, v23
	v_accvgpr_write_b32 a21, v5
	v_lshlrev_b32_e32 v3, 4, v28
	v_mov_b32_e32 v7, s19
	v_ashrrev_i32_e32 v31, 31, v29
	v_accvgpr_write_b32 a20, v4
	v_accvgpr_write_b32 a22, v3
	s_xor_b64 exec, exec, s[10:11]
	s_cbranch_execz .LBB293_301
; %bb.8:
	v_bfe_u32 v4, v16, 2, 4
	v_add_co_u32_e32 v2, vcc, v8, v29
	v_addc_co_u32_e32 v3, vcc, v9, v31, vcc
	v_lshlrev_b32_e32 v5, 4, v4
	v_add_co_u32_e32 v2, vcc, v2, v5
	v_addc_co_u32_e32 v3, vcc, 0, v3, vcc
	v_accvgpr_write_b32 a31, v3
	v_accvgpr_write_b32 a30, v2
	v_lshlrev_b32_e32 v2, 1, v0
	v_mul_u32_u24_e32 v48, 0x60, v0
	v_cmp_eq_u32_e32 vcc, 0, v0
	buffer_load_dword v0, off, s[0:3], s32 offset:104 ; 4-byte Folded Reload
	s_ashr_i32 s19, s18, 31
	s_lshl_b64 s[8:9], s[18:19], 2
	v_accvgpr_read_b32 v6, a10
	s_getpc_b64 s[24:25]
	s_add_u32 s24, s24, llvm.amdgcn.dynlds.offset.table@rel32@lo+4
	s_addc_u32 s25, s25, llvm.amdgcn.dynlds.offset.table@rel32@hi+12
	v_accvgpr_read_b32 v7, a11
	v_accvgpr_write_b32 a32, v2
	s_add_u32 s24, s8, s24
	v_lshlrev_b64 v[2:3], 2, v[6:7]
	v_accvgpr_read_b32 v8, a20
	s_addc_u32 s25, s9, s25
	v_accvgpr_read_b32 v9, a21
	v_accvgpr_write_b32 a0, v20
	v_accvgpr_write_b32 a19, v21
	;; [unrolled: 1-line block ×14, first 2 shown]
	s_mov_b64 s[26:27], 0
	s_movk_i32 s19, 0x80
	s_movk_i32 s37, 0x7f
	s_mov_b32 s38, 0x8000
	s_waitcnt vmcnt(0)
	v_cmp_neq_f32_e64 s[6:7], 0, v0
	v_add_co_u32_e64 v0, s[8:9], v8, v2
	v_addc_co_u32_e64 v2, s[8:9], v9, v3, s[8:9]
	v_add_co_u32_e64 v20, s[8:9], v14, v0
	v_accvgpr_read_b32 v0, a8
	v_sub_u32_e32 v0, 1, v0
	v_accvgpr_write_b32 a29, v0
	v_accvgpr_read_b32 v0, a22
	v_add3_u32 v0, s23, v0, v4
	v_accvgpr_write_b32 a33, v0
	v_lshlrev_b32_e32 v0, 2, v4
	v_lshl_or_b32 v0, v28, 6, v0
	v_accvgpr_write_b32 a34, v0
	v_mov_b32_e32 v0, 0xff7fffff
	buffer_store_dword v0, off, s[0:3], s32 offset:100 ; 4-byte Folded Spill
	v_mbcnt_hi_u32_b32 v0, -1, v1
	v_addc_co_u32_e64 v21, s[8:9], v15, v2, s[8:9]
	v_accvgpr_write_b32 a28, v0
	s_branch .LBB293_10
.LBB293_9:                              ;   in Loop: Header=BB293_10 Depth=1
	s_or_b64 exec, exec, s[28:29]
	v_accvgpr_read_b32 v0, a33
	v_add_co_u32_e64 v20, s[8:9], 8, v20
	v_add_u32_e32 v0, 32, v0
	v_add_u32_e32 v6, 2, v6
	v_addc_co_u32_e64 v21, s[8:9], 0, v21, s[8:9]
	v_accvgpr_write_b32 a33, v0
	v_accvgpr_read_b32 v0, a3
	v_cmp_ge_i32_e64 s[8:9], v6, v0
	v_accvgpr_read_b32 v0, a34
	v_add_u32_e32 v0, 0x80, v0
	s_or_b64 s[26:27], s[8:9], s[26:27]
	v_accvgpr_write_b32 a34, v0
	s_andn2_b64 exec, exec, s[26:27]
	s_cbranch_execz .LBB293_300
.LBB293_10:                             ; =>This Inner Loop Header: Depth=1
	flat_load_dword v0, v[20:21]
	v_accvgpr_read_b32 v4, a30
	v_accvgpr_read_b32 v2, a6
	;; [unrolled: 1-line block ×3, first 2 shown]
	v_accvgpr_write_b32 a35, v6
	v_mov_b32_e32 v7, 0
	s_waitcnt vmcnt(0) lgkmcnt(0)
	v_mad_i64_i32 v[0:1], s[8:9], v0, v2, v[4:5]
	v_accvgpr_read_b32 v2, a32
	v_add_co_u32_e64 v28, s[8:9], v0, v2
	v_addc_co_u32_e64 v29, s[8:9], 0, v1, s[8:9]
	v_accvgpr_read_b32 v2, a26
	flat_load_ushort v0, v[28:29]
	v_accvgpr_read_b32 v3, a27
	flat_load_dword v54, v[2:3]
	v_mov_b32_e32 v1, 0
	s_waitcnt vmcnt(0) lgkmcnt(0)
	v_and_b32_e32 v30, 0xffff, v0
	v_cmp_ne_u16_sdwa s[8:9], v0, v1 src0_sel:BYTE_0 src1_sel:DWORD
	s_and_saveexec_b64 s[28:29], s[8:9]
	s_cbranch_execz .LBB293_16
; %bb.11:                               ;   in Loop: Header=BB293_10 Depth=1
	v_cmp_ne_u16_sdwa s[8:9], v30, s19 src0_sel:BYTE_0 src1_sel:DWORD
	v_bfrev_b32_e32 v7, 1
	s_and_saveexec_b64 s[30:31], s[8:9]
	s_cbranch_execz .LBB293_15
; %bb.12:                               ;   in Loop: Header=BB293_10 Depth=1
	v_and_b32_e32 v0, 0x7f, v30
	v_cmp_ne_u32_e64 s[8:9], s37, v0
	v_mov_b32_e32 v7, 0x7fc02000
	s_and_saveexec_b64 s[34:35], s[8:9]
	s_cbranch_execz .LBB293_14
; %bb.13:                               ;   in Loop: Header=BB293_10 Depth=1
	v_and_b32_e32 v1, 7, v30
	v_ffbh_u32_e32 v2, v1
	v_min_u32_e32 v5, 32, v2
	v_subrev_u32_e32 v2, 28, v5
	v_lshlrev_b64 v[2:3], v2, v[30:31]
	v_lshrrev_b32_e32 v4, 3, v0
	v_sub_u32_e32 v3, 29, v5
	v_cmp_gt_u32_e64 s[8:9], 8, v0
	v_and_b32_e32 v2, 7, v2
	v_cndmask_b32_e64 v0, v4, v3, s[8:9]
	v_mov_b32_e32 v3, 0x2000
	v_cndmask_b32_e64 v1, v1, v2, s[8:9]
	v_lshlrev_b32_e32 v2, 8, v30
	v_lshl_add_u32 v0, v0, 10, v3
	v_and_or_b32 v0, v2, s38, v0
	v_lshl_or_b32 v0, v1, 7, v0
	v_cvt_f32_f16_e32 v7, v0
.LBB293_14:                             ;   in Loop: Header=BB293_10 Depth=1
	s_or_b64 exec, exec, s[34:35]
.LBB293_15:                             ;   in Loop: Header=BB293_10 Depth=1
	s_or_b64 exec, exec, s[30:31]
.LBB293_16:                             ;   in Loop: Header=BB293_10 Depth=1
	s_or_b64 exec, exec, s[28:29]
	v_lshrrev_b16_e32 v30, 8, v30
	v_cmp_ne_u16_e64 s[8:9], 0, v30
	v_mov_b32_e32 v41, 0
	s_and_saveexec_b64 s[28:29], s[8:9]
	s_cbranch_execz .LBB293_22
; %bb.17:                               ;   in Loop: Header=BB293_10 Depth=1
	v_cmp_ne_u16_e64 s[8:9], s19, v30
	v_bfrev_b32_e32 v41, 1
	s_and_saveexec_b64 s[30:31], s[8:9]
	s_cbranch_execz .LBB293_21
; %bb.18:                               ;   in Loop: Header=BB293_10 Depth=1
	v_and_b32_e32 v0, 0x7f, v30
	v_cmp_ne_u32_e64 s[8:9], s37, v0
	v_mov_b32_e32 v41, 0x7fc02000
	s_and_saveexec_b64 s[34:35], s[8:9]
	s_cbranch_execz .LBB293_20
; %bb.19:                               ;   in Loop: Header=BB293_10 Depth=1
	v_and_b32_e32 v1, 7, v30
	v_ffbh_u32_e32 v2, v1
	v_min_u32_e32 v5, 32, v2
	v_subrev_u32_e32 v2, 28, v5
	v_lshlrev_b64 v[2:3], v2, v[30:31]
	v_lshrrev_b32_e32 v4, 3, v0
	v_sub_u32_e32 v3, 29, v5
	v_cmp_gt_u32_e64 s[8:9], 8, v0
	v_and_b32_e32 v2, 7, v2
	v_cndmask_b32_e64 v0, v4, v3, s[8:9]
	v_mov_b32_e32 v3, 0x2000
	v_cndmask_b32_e64 v1, v1, v2, s[8:9]
	v_lshlrev_b32_e32 v2, 8, v30
	v_lshl_add_u32 v0, v0, 10, v3
	v_and_or_b32 v0, v2, s38, v0
	v_lshl_or_b32 v0, v1, 7, v0
	v_cvt_f32_f16_e32 v41, v0
.LBB293_20:                             ;   in Loop: Header=BB293_10 Depth=1
	s_or_b64 exec, exec, s[34:35]
.LBB293_21:                             ;   in Loop: Header=BB293_10 Depth=1
	s_or_b64 exec, exec, s[30:31]
.LBB293_22:                             ;   in Loop: Header=BB293_10 Depth=1
	s_or_b64 exec, exec, s[28:29]
	flat_load_ushort v0, v[28:29] offset:8
	v_mov_b32_e32 v1, 0
	v_mov_b32_e32 v40, 0
	v_mov_b32_e32 v42, 0
	s_waitcnt vmcnt(0) lgkmcnt(0)
	v_and_b32_e32 v30, 0xffff, v0
	v_cmp_ne_u16_sdwa s[8:9], v0, v1 src0_sel:BYTE_0 src1_sel:DWORD
	s_and_saveexec_b64 s[28:29], s[8:9]
	s_cbranch_execz .LBB293_28
; %bb.23:                               ;   in Loop: Header=BB293_10 Depth=1
	v_cmp_ne_u16_sdwa s[8:9], v30, s19 src0_sel:BYTE_0 src1_sel:DWORD
	v_bfrev_b32_e32 v42, 1
	s_and_saveexec_b64 s[30:31], s[8:9]
	s_cbranch_execz .LBB293_27
; %bb.24:                               ;   in Loop: Header=BB293_10 Depth=1
	v_and_b32_e32 v0, 0x7f, v30
	v_cmp_ne_u32_e64 s[8:9], s37, v0
	v_mov_b32_e32 v42, 0x7fc02000
	s_and_saveexec_b64 s[34:35], s[8:9]
	s_cbranch_execz .LBB293_26
; %bb.25:                               ;   in Loop: Header=BB293_10 Depth=1
	v_and_b32_e32 v1, 7, v30
	v_ffbh_u32_e32 v2, v1
	v_min_u32_e32 v5, 32, v2
	v_subrev_u32_e32 v2, 28, v5
	v_lshlrev_b64 v[2:3], v2, v[30:31]
	v_lshrrev_b32_e32 v4, 3, v0
	v_sub_u32_e32 v3, 29, v5
	v_cmp_gt_u32_e64 s[8:9], 8, v0
	v_and_b32_e32 v2, 7, v2
	v_cndmask_b32_e64 v0, v4, v3, s[8:9]
	v_mov_b32_e32 v3, 0x2000
	v_cndmask_b32_e64 v1, v1, v2, s[8:9]
	v_lshlrev_b32_e32 v2, 8, v30
	v_lshl_add_u32 v0, v0, 10, v3
	v_and_or_b32 v0, v2, s38, v0
	v_lshl_or_b32 v0, v1, 7, v0
	v_cvt_f32_f16_e32 v42, v0
.LBB293_26:                             ;   in Loop: Header=BB293_10 Depth=1
	s_or_b64 exec, exec, s[34:35]
.LBB293_27:                             ;   in Loop: Header=BB293_10 Depth=1
	s_or_b64 exec, exec, s[30:31]
.LBB293_28:                             ;   in Loop: Header=BB293_10 Depth=1
	s_or_b64 exec, exec, s[28:29]
	v_lshrrev_b16_e32 v30, 8, v30
	v_cmp_ne_u16_e64 s[8:9], 0, v30
	s_and_saveexec_b64 s[28:29], s[8:9]
	s_cbranch_execz .LBB293_34
; %bb.29:                               ;   in Loop: Header=BB293_10 Depth=1
	v_cmp_ne_u16_e64 s[8:9], s19, v30
	v_bfrev_b32_e32 v40, 1
	s_and_saveexec_b64 s[30:31], s[8:9]
	s_cbranch_execz .LBB293_33
; %bb.30:                               ;   in Loop: Header=BB293_10 Depth=1
	v_and_b32_e32 v0, 0x7f, v30
	v_cmp_ne_u32_e64 s[8:9], s37, v0
	v_mov_b32_e32 v40, 0x7fc02000
	s_and_saveexec_b64 s[34:35], s[8:9]
	s_cbranch_execz .LBB293_32
; %bb.31:                               ;   in Loop: Header=BB293_10 Depth=1
	v_and_b32_e32 v1, 7, v30
	v_ffbh_u32_e32 v2, v1
	v_min_u32_e32 v5, 32, v2
	v_subrev_u32_e32 v2, 28, v5
	v_lshlrev_b64 v[2:3], v2, v[30:31]
	v_lshrrev_b32_e32 v4, 3, v0
	v_sub_u32_e32 v3, 29, v5
	v_cmp_gt_u32_e64 s[8:9], 8, v0
	v_and_b32_e32 v2, 7, v2
	v_cndmask_b32_e64 v0, v4, v3, s[8:9]
	v_mov_b32_e32 v3, 0x2000
	v_cndmask_b32_e64 v1, v1, v2, s[8:9]
	v_lshlrev_b32_e32 v2, 8, v30
	v_lshl_add_u32 v0, v0, 10, v3
	v_and_or_b32 v0, v2, s38, v0
	v_lshl_or_b32 v0, v1, 7, v0
	v_cvt_f32_f16_e32 v40, v0
.LBB293_32:                             ;   in Loop: Header=BB293_10 Depth=1
	s_or_b64 exec, exec, s[34:35]
.LBB293_33:                             ;   in Loop: Header=BB293_10 Depth=1
	s_or_b64 exec, exec, s[30:31]
.LBB293_34:                             ;   in Loop: Header=BB293_10 Depth=1
	s_or_b64 exec, exec, s[28:29]
	flat_load_ushort v0, v[28:29] offset:256
	v_mov_b32_e32 v1, 0
	v_mov_b32_e32 v10, 0
	;; [unrolled: 1-line block ×3, first 2 shown]
	s_waitcnt vmcnt(0) lgkmcnt(0)
	v_and_b32_e32 v30, 0xffff, v0
	v_cmp_ne_u16_sdwa s[8:9], v0, v1 src0_sel:BYTE_0 src1_sel:DWORD
	s_and_saveexec_b64 s[28:29], s[8:9]
	s_cbranch_execz .LBB293_40
; %bb.35:                               ;   in Loop: Header=BB293_10 Depth=1
	v_cmp_ne_u16_sdwa s[8:9], v30, s19 src0_sel:BYTE_0 src1_sel:DWORD
	v_bfrev_b32_e32 v44, 1
	s_and_saveexec_b64 s[30:31], s[8:9]
	s_cbranch_execz .LBB293_39
; %bb.36:                               ;   in Loop: Header=BB293_10 Depth=1
	v_and_b32_e32 v0, 0x7f, v30
	v_cmp_ne_u32_e64 s[8:9], s37, v0
	v_mov_b32_e32 v44, 0x7fc02000
	s_and_saveexec_b64 s[34:35], s[8:9]
	s_cbranch_execz .LBB293_38
; %bb.37:                               ;   in Loop: Header=BB293_10 Depth=1
	v_and_b32_e32 v1, 7, v30
	v_ffbh_u32_e32 v2, v1
	v_min_u32_e32 v5, 32, v2
	v_subrev_u32_e32 v2, 28, v5
	v_lshlrev_b64 v[2:3], v2, v[30:31]
	v_lshrrev_b32_e32 v4, 3, v0
	v_sub_u32_e32 v3, 29, v5
	v_cmp_gt_u32_e64 s[8:9], 8, v0
	v_and_b32_e32 v2, 7, v2
	v_cndmask_b32_e64 v0, v4, v3, s[8:9]
	v_mov_b32_e32 v3, 0x2000
	v_cndmask_b32_e64 v1, v1, v2, s[8:9]
	v_lshlrev_b32_e32 v2, 8, v30
	v_lshl_add_u32 v0, v0, 10, v3
	v_and_or_b32 v0, v2, s38, v0
	v_lshl_or_b32 v0, v1, 7, v0
	v_cvt_f32_f16_e32 v44, v0
.LBB293_38:                             ;   in Loop: Header=BB293_10 Depth=1
	s_or_b64 exec, exec, s[34:35]
.LBB293_39:                             ;   in Loop: Header=BB293_10 Depth=1
	s_or_b64 exec, exec, s[30:31]
.LBB293_40:                             ;   in Loop: Header=BB293_10 Depth=1
	s_or_b64 exec, exec, s[28:29]
	v_lshrrev_b16_e32 v30, 8, v30
	v_cmp_ne_u16_e64 s[8:9], 0, v30
	s_and_saveexec_b64 s[28:29], s[8:9]
	s_cbranch_execz .LBB293_46
; %bb.41:                               ;   in Loop: Header=BB293_10 Depth=1
	v_cmp_ne_u16_e64 s[8:9], s19, v30
	v_bfrev_b32_e32 v10, 1
	s_and_saveexec_b64 s[30:31], s[8:9]
	s_cbranch_execz .LBB293_45
; %bb.42:                               ;   in Loop: Header=BB293_10 Depth=1
	v_and_b32_e32 v0, 0x7f, v30
	v_cmp_ne_u32_e64 s[8:9], s37, v0
	v_mov_b32_e32 v10, 0x7fc02000
	s_and_saveexec_b64 s[34:35], s[8:9]
	s_cbranch_execz .LBB293_44
; %bb.43:                               ;   in Loop: Header=BB293_10 Depth=1
	v_and_b32_e32 v1, 7, v30
	v_ffbh_u32_e32 v2, v1
	v_min_u32_e32 v5, 32, v2
	v_subrev_u32_e32 v2, 28, v5
	v_lshlrev_b64 v[2:3], v2, v[30:31]
	v_lshrrev_b32_e32 v4, 3, v0
	v_sub_u32_e32 v3, 29, v5
	v_cmp_gt_u32_e64 s[8:9], 8, v0
	v_and_b32_e32 v2, 7, v2
	v_cndmask_b32_e64 v0, v4, v3, s[8:9]
	v_mov_b32_e32 v3, 0x2000
	v_cndmask_b32_e64 v1, v1, v2, s[8:9]
	v_lshlrev_b32_e32 v2, 8, v30
	v_lshl_add_u32 v0, v0, 10, v3
	v_and_or_b32 v0, v2, s38, v0
	v_lshl_or_b32 v0, v1, 7, v0
	v_cvt_f32_f16_e32 v10, v0
.LBB293_44:                             ;   in Loop: Header=BB293_10 Depth=1
	s_or_b64 exec, exec, s[34:35]
.LBB293_45:                             ;   in Loop: Header=BB293_10 Depth=1
	s_or_b64 exec, exec, s[30:31]
.LBB293_46:                             ;   in Loop: Header=BB293_10 Depth=1
	s_or_b64 exec, exec, s[28:29]
	flat_load_ushort v0, v[28:29] offset:264
	v_mov_b32_e32 v1, 0
	v_mov_b32_e32 v11, 0
	;; [unrolled: 1-line block ×3, first 2 shown]
	s_waitcnt vmcnt(0) lgkmcnt(0)
	v_and_b32_e32 v30, 0xffff, v0
	v_cmp_ne_u16_sdwa s[8:9], v0, v1 src0_sel:BYTE_0 src1_sel:DWORD
	s_and_saveexec_b64 s[28:29], s[8:9]
	s_cbranch_execz .LBB293_52
; %bb.47:                               ;   in Loop: Header=BB293_10 Depth=1
	v_cmp_ne_u16_sdwa s[8:9], v30, s19 src0_sel:BYTE_0 src1_sel:DWORD
	v_bfrev_b32_e32 v16, 1
	s_and_saveexec_b64 s[30:31], s[8:9]
	s_cbranch_execz .LBB293_51
; %bb.48:                               ;   in Loop: Header=BB293_10 Depth=1
	v_and_b32_e32 v0, 0x7f, v30
	v_cmp_ne_u32_e64 s[8:9], s37, v0
	v_mov_b32_e32 v16, 0x7fc02000
	s_and_saveexec_b64 s[34:35], s[8:9]
	s_cbranch_execz .LBB293_50
; %bb.49:                               ;   in Loop: Header=BB293_10 Depth=1
	v_and_b32_e32 v1, 7, v30
	v_ffbh_u32_e32 v2, v1
	v_min_u32_e32 v5, 32, v2
	v_subrev_u32_e32 v2, 28, v5
	v_lshlrev_b64 v[2:3], v2, v[30:31]
	v_lshrrev_b32_e32 v4, 3, v0
	v_sub_u32_e32 v3, 29, v5
	v_cmp_gt_u32_e64 s[8:9], 8, v0
	v_and_b32_e32 v2, 7, v2
	v_cndmask_b32_e64 v0, v4, v3, s[8:9]
	v_mov_b32_e32 v3, 0x2000
	v_cndmask_b32_e64 v1, v1, v2, s[8:9]
	v_lshlrev_b32_e32 v2, 8, v30
	v_lshl_add_u32 v0, v0, 10, v3
	v_and_or_b32 v0, v2, s38, v0
	v_lshl_or_b32 v0, v1, 7, v0
	v_cvt_f32_f16_e32 v16, v0
.LBB293_50:                             ;   in Loop: Header=BB293_10 Depth=1
	s_or_b64 exec, exec, s[34:35]
.LBB293_51:                             ;   in Loop: Header=BB293_10 Depth=1
	s_or_b64 exec, exec, s[30:31]
.LBB293_52:                             ;   in Loop: Header=BB293_10 Depth=1
	s_or_b64 exec, exec, s[28:29]
	v_lshrrev_b16_e32 v30, 8, v30
	v_cmp_ne_u16_e64 s[8:9], 0, v30
	s_and_saveexec_b64 s[28:29], s[8:9]
	s_cbranch_execz .LBB293_58
; %bb.53:                               ;   in Loop: Header=BB293_10 Depth=1
	v_cmp_ne_u16_e64 s[8:9], s19, v30
	v_bfrev_b32_e32 v11, 1
	s_and_saveexec_b64 s[30:31], s[8:9]
	s_cbranch_execz .LBB293_57
; %bb.54:                               ;   in Loop: Header=BB293_10 Depth=1
	v_and_b32_e32 v0, 0x7f, v30
	v_cmp_ne_u32_e64 s[8:9], s37, v0
	v_mov_b32_e32 v11, 0x7fc02000
	s_and_saveexec_b64 s[34:35], s[8:9]
	s_cbranch_execz .LBB293_56
; %bb.55:                               ;   in Loop: Header=BB293_10 Depth=1
	v_and_b32_e32 v1, 7, v30
	v_ffbh_u32_e32 v2, v1
	v_min_u32_e32 v5, 32, v2
	v_subrev_u32_e32 v2, 28, v5
	v_lshlrev_b64 v[2:3], v2, v[30:31]
	v_lshrrev_b32_e32 v4, 3, v0
	v_sub_u32_e32 v3, 29, v5
	v_cmp_gt_u32_e64 s[8:9], 8, v0
	v_and_b32_e32 v2, 7, v2
	v_cndmask_b32_e64 v0, v4, v3, s[8:9]
	v_mov_b32_e32 v3, 0x2000
	v_cndmask_b32_e64 v1, v1, v2, s[8:9]
	v_lshlrev_b32_e32 v2, 8, v30
	v_lshl_add_u32 v0, v0, 10, v3
	v_and_or_b32 v0, v2, s38, v0
	v_lshl_or_b32 v0, v1, 7, v0
	v_cvt_f32_f16_e32 v11, v0
.LBB293_56:                             ;   in Loop: Header=BB293_10 Depth=1
	s_or_b64 exec, exec, s[34:35]
.LBB293_57:                             ;   in Loop: Header=BB293_10 Depth=1
	s_or_b64 exec, exec, s[30:31]
.LBB293_58:                             ;   in Loop: Header=BB293_10 Depth=1
	s_or_b64 exec, exec, s[28:29]
	flat_load_ushort v0, v[28:29] offset:512
	v_mov_b32_e32 v1, 0
	v_mov_b32_e32 v17, 0
	;; [unrolled: 1-line block ×3, first 2 shown]
	s_waitcnt vmcnt(0) lgkmcnt(0)
	v_and_b32_e32 v30, 0xffff, v0
	v_cmp_ne_u16_sdwa s[8:9], v0, v1 src0_sel:BYTE_0 src1_sel:DWORD
	s_and_saveexec_b64 s[28:29], s[8:9]
	s_cbranch_execz .LBB293_64
; %bb.59:                               ;   in Loop: Header=BB293_10 Depth=1
	v_cmp_ne_u16_sdwa s[8:9], v30, s19 src0_sel:BYTE_0 src1_sel:DWORD
	v_bfrev_b32_e32 v18, 1
	s_and_saveexec_b64 s[30:31], s[8:9]
	s_cbranch_execz .LBB293_63
; %bb.60:                               ;   in Loop: Header=BB293_10 Depth=1
	v_and_b32_e32 v0, 0x7f, v30
	v_cmp_ne_u32_e64 s[8:9], s37, v0
	v_mov_b32_e32 v18, 0x7fc02000
	s_and_saveexec_b64 s[34:35], s[8:9]
	s_cbranch_execz .LBB293_62
; %bb.61:                               ;   in Loop: Header=BB293_10 Depth=1
	v_and_b32_e32 v1, 7, v30
	v_ffbh_u32_e32 v2, v1
	v_min_u32_e32 v5, 32, v2
	v_subrev_u32_e32 v2, 28, v5
	v_lshlrev_b64 v[2:3], v2, v[30:31]
	v_lshrrev_b32_e32 v4, 3, v0
	v_sub_u32_e32 v3, 29, v5
	v_cmp_gt_u32_e64 s[8:9], 8, v0
	v_and_b32_e32 v2, 7, v2
	v_cndmask_b32_e64 v0, v4, v3, s[8:9]
	v_mov_b32_e32 v3, 0x2000
	v_cndmask_b32_e64 v1, v1, v2, s[8:9]
	v_lshlrev_b32_e32 v2, 8, v30
	v_lshl_add_u32 v0, v0, 10, v3
	v_and_or_b32 v0, v2, s38, v0
	v_lshl_or_b32 v0, v1, 7, v0
	v_cvt_f32_f16_e32 v18, v0
.LBB293_62:                             ;   in Loop: Header=BB293_10 Depth=1
	s_or_b64 exec, exec, s[34:35]
.LBB293_63:                             ;   in Loop: Header=BB293_10 Depth=1
	s_or_b64 exec, exec, s[30:31]
.LBB293_64:                             ;   in Loop: Header=BB293_10 Depth=1
	s_or_b64 exec, exec, s[28:29]
	v_lshrrev_b16_e32 v30, 8, v30
	v_cmp_ne_u16_e64 s[8:9], 0, v30
	s_and_saveexec_b64 s[28:29], s[8:9]
	s_cbranch_execz .LBB293_70
; %bb.65:                               ;   in Loop: Header=BB293_10 Depth=1
	v_cmp_ne_u16_e64 s[8:9], s19, v30
	v_bfrev_b32_e32 v17, 1
	s_and_saveexec_b64 s[30:31], s[8:9]
	s_cbranch_execz .LBB293_69
; %bb.66:                               ;   in Loop: Header=BB293_10 Depth=1
	v_and_b32_e32 v0, 0x7f, v30
	v_cmp_ne_u32_e64 s[8:9], s37, v0
	v_mov_b32_e32 v17, 0x7fc02000
	s_and_saveexec_b64 s[34:35], s[8:9]
	s_cbranch_execz .LBB293_68
; %bb.67:                               ;   in Loop: Header=BB293_10 Depth=1
	v_and_b32_e32 v1, 7, v30
	v_ffbh_u32_e32 v2, v1
	v_min_u32_e32 v5, 32, v2
	v_subrev_u32_e32 v2, 28, v5
	v_lshlrev_b64 v[2:3], v2, v[30:31]
	v_lshrrev_b32_e32 v4, 3, v0
	v_sub_u32_e32 v3, 29, v5
	v_cmp_gt_u32_e64 s[8:9], 8, v0
	v_and_b32_e32 v2, 7, v2
	v_cndmask_b32_e64 v0, v4, v3, s[8:9]
	v_mov_b32_e32 v3, 0x2000
	v_cndmask_b32_e64 v1, v1, v2, s[8:9]
	v_lshlrev_b32_e32 v2, 8, v30
	v_lshl_add_u32 v0, v0, 10, v3
	v_and_or_b32 v0, v2, s38, v0
	v_lshl_or_b32 v0, v1, 7, v0
	v_cvt_f32_f16_e32 v17, v0
.LBB293_68:                             ;   in Loop: Header=BB293_10 Depth=1
	s_or_b64 exec, exec, s[34:35]
.LBB293_69:                             ;   in Loop: Header=BB293_10 Depth=1
	s_or_b64 exec, exec, s[30:31]
.LBB293_70:                             ;   in Loop: Header=BB293_10 Depth=1
	s_or_b64 exec, exec, s[28:29]
	flat_load_ushort v0, v[28:29] offset:520
	v_mov_b32_e32 v1, 0
	v_mov_b32_e32 v23, 0
	;; [unrolled: 1-line block ×3, first 2 shown]
	s_waitcnt vmcnt(0) lgkmcnt(0)
	v_and_b32_e32 v30, 0xffff, v0
	v_cmp_ne_u16_sdwa s[8:9], v0, v1 src0_sel:BYTE_0 src1_sel:DWORD
	s_and_saveexec_b64 s[28:29], s[8:9]
	s_cbranch_execz .LBB293_76
; %bb.71:                               ;   in Loop: Header=BB293_10 Depth=1
	v_cmp_ne_u16_sdwa s[8:9], v30, s19 src0_sel:BYTE_0 src1_sel:DWORD
	v_bfrev_b32_e32 v57, 1
	s_and_saveexec_b64 s[30:31], s[8:9]
	s_cbranch_execz .LBB293_75
; %bb.72:                               ;   in Loop: Header=BB293_10 Depth=1
	v_and_b32_e32 v0, 0x7f, v30
	v_cmp_ne_u32_e64 s[8:9], s37, v0
	v_mov_b32_e32 v57, 0x7fc02000
	s_and_saveexec_b64 s[34:35], s[8:9]
	s_cbranch_execz .LBB293_74
; %bb.73:                               ;   in Loop: Header=BB293_10 Depth=1
	v_and_b32_e32 v2, 7, v30
	v_lshrrev_b32_e32 v3, 3, v0
	v_cmp_gt_u32_e64 s[8:9], 8, v0
	v_ffbh_u32_e32 v0, v2
	v_min_u32_e32 v4, 32, v0
	v_subrev_u32_e32 v0, 28, v4
	v_lshlrev_b64 v[0:1], v0, v[30:31]
	v_sub_u32_e32 v1, 29, v4
	v_and_b32_e32 v0, 7, v0
	v_cndmask_b32_e64 v1, v3, v1, s[8:9]
	v_mov_b32_e32 v3, 0x2000
	v_cndmask_b32_e64 v0, v2, v0, s[8:9]
	v_lshlrev_b32_e32 v2, 8, v30
	v_lshl_add_u32 v1, v1, 10, v3
	v_and_or_b32 v1, v2, s38, v1
	v_lshl_or_b32 v0, v0, 7, v1
	v_cvt_f32_f16_e32 v57, v0
.LBB293_74:                             ;   in Loop: Header=BB293_10 Depth=1
	s_or_b64 exec, exec, s[34:35]
.LBB293_75:                             ;   in Loop: Header=BB293_10 Depth=1
	s_or_b64 exec, exec, s[30:31]
.LBB293_76:                             ;   in Loop: Header=BB293_10 Depth=1
	s_or_b64 exec, exec, s[28:29]
	v_lshrrev_b16_e32 v30, 8, v30
	v_cmp_ne_u16_e64 s[8:9], 0, v30
	s_and_saveexec_b64 s[28:29], s[8:9]
	s_cbranch_execz .LBB293_82
; %bb.77:                               ;   in Loop: Header=BB293_10 Depth=1
	v_cmp_ne_u16_e64 s[8:9], s19, v30
	v_bfrev_b32_e32 v23, 1
	s_and_saveexec_b64 s[30:31], s[8:9]
	s_cbranch_execz .LBB293_81
; %bb.78:                               ;   in Loop: Header=BB293_10 Depth=1
	v_and_b32_e32 v0, 0x7f, v30
	v_cmp_ne_u32_e64 s[8:9], s37, v0
	v_mov_b32_e32 v23, 0x7fc02000
	s_and_saveexec_b64 s[34:35], s[8:9]
	s_cbranch_execz .LBB293_80
; %bb.79:                               ;   in Loop: Header=BB293_10 Depth=1
	v_and_b32_e32 v2, 7, v30
	v_lshrrev_b32_e32 v3, 3, v0
	v_cmp_gt_u32_e64 s[8:9], 8, v0
	v_ffbh_u32_e32 v0, v2
	v_min_u32_e32 v4, 32, v0
	v_subrev_u32_e32 v0, 28, v4
	v_lshlrev_b64 v[0:1], v0, v[30:31]
	v_sub_u32_e32 v1, 29, v4
	v_and_b32_e32 v0, 7, v0
	v_cndmask_b32_e64 v1, v3, v1, s[8:9]
	v_mov_b32_e32 v3, 0x2000
	v_cndmask_b32_e64 v0, v2, v0, s[8:9]
	v_lshlrev_b32_e32 v2, 8, v30
	v_lshl_add_u32 v1, v1, 10, v3
	v_and_or_b32 v1, v2, s38, v1
	v_lshl_or_b32 v0, v0, 7, v1
	v_cvt_f32_f16_e32 v23, v0
.LBB293_80:                             ;   in Loop: Header=BB293_10 Depth=1
	s_or_b64 exec, exec, s[34:35]
.LBB293_81:                             ;   in Loop: Header=BB293_10 Depth=1
	s_or_b64 exec, exec, s[30:31]
.LBB293_82:                             ;   in Loop: Header=BB293_10 Depth=1
	s_or_b64 exec, exec, s[28:29]
	flat_load_ushort v0, v[28:29] offset:768
	v_mov_b32_e32 v1, 0
	v_mov_b32_e32 v31, 0
	;; [unrolled: 1-line block ×3, first 2 shown]
	s_waitcnt vmcnt(0) lgkmcnt(0)
	v_and_b32_e32 v30, 0xffff, v0
	v_cmp_ne_u16_sdwa s[8:9], v0, v1 src0_sel:BYTE_0 src1_sel:DWORD
	s_and_saveexec_b64 s[28:29], s[8:9]
	s_cbranch_execz .LBB293_88
; %bb.83:                               ;   in Loop: Header=BB293_10 Depth=1
	v_cmp_ne_u16_sdwa s[8:9], v30, s19 src0_sel:BYTE_0 src1_sel:DWORD
	v_bfrev_b32_e32 v46, 1
	s_and_saveexec_b64 s[30:31], s[8:9]
	s_cbranch_execz .LBB293_87
; %bb.84:                               ;   in Loop: Header=BB293_10 Depth=1
	v_and_b32_e32 v0, 0x7f, v30
	v_cmp_ne_u32_e64 s[8:9], s37, v0
	v_mov_b32_e32 v46, 0x7fc02000
	s_and_saveexec_b64 s[34:35], s[8:9]
	s_cbranch_execz .LBB293_86
; %bb.85:                               ;   in Loop: Header=BB293_10 Depth=1
	v_and_b32_e32 v1, 7, v30
	v_ffbh_u32_e32 v2, v1
	v_min_u32_e32 v5, 32, v2
	v_subrev_u32_e32 v2, 28, v5
	v_lshlrev_b64 v[2:3], v2, v[30:31]
	v_lshrrev_b32_e32 v4, 3, v0
	v_sub_u32_e32 v3, 29, v5
	v_cmp_gt_u32_e64 s[8:9], 8, v0
	v_and_b32_e32 v2, 7, v2
	v_cndmask_b32_e64 v0, v4, v3, s[8:9]
	v_mov_b32_e32 v3, 0x2000
	v_cndmask_b32_e64 v1, v1, v2, s[8:9]
	v_lshlrev_b32_e32 v2, 8, v30
	v_lshl_add_u32 v0, v0, 10, v3
	v_and_or_b32 v0, v2, s38, v0
	v_lshl_or_b32 v0, v1, 7, v0
	v_cvt_f32_f16_e32 v46, v0
.LBB293_86:                             ;   in Loop: Header=BB293_10 Depth=1
	s_or_b64 exec, exec, s[34:35]
.LBB293_87:                             ;   in Loop: Header=BB293_10 Depth=1
	s_or_b64 exec, exec, s[30:31]
.LBB293_88:                             ;   in Loop: Header=BB293_10 Depth=1
	s_or_b64 exec, exec, s[28:29]
	v_lshrrev_b16_e32 v30, 8, v30
	v_cmp_ne_u16_e64 s[8:9], 0, v30
	s_and_saveexec_b64 s[28:29], s[8:9]
	s_cbranch_execz .LBB293_94
; %bb.89:                               ;   in Loop: Header=BB293_10 Depth=1
	v_cmp_ne_u16_e64 s[8:9], s19, v30
	v_bfrev_b32_e32 v31, 1
	s_and_saveexec_b64 s[30:31], s[8:9]
	s_cbranch_execz .LBB293_93
; %bb.90:                               ;   in Loop: Header=BB293_10 Depth=1
	v_and_b32_e32 v0, 0x7f, v30
	v_cmp_ne_u32_e64 s[8:9], s37, v0
	v_mov_b32_e32 v31, 0x7fc02000
	s_and_saveexec_b64 s[34:35], s[8:9]
	s_cbranch_execz .LBB293_92
; %bb.91:                               ;   in Loop: Header=BB293_10 Depth=1
	v_and_b32_e32 v1, 7, v30
	v_ffbh_u32_e32 v2, v1
	v_min_u32_e32 v5, 32, v2
	v_subrev_u32_e32 v2, 28, v5
	v_lshlrev_b64 v[2:3], v2, v[30:31]
	v_lshrrev_b32_e32 v4, 3, v0
	v_sub_u32_e32 v3, 29, v5
	v_cmp_gt_u32_e64 s[8:9], 8, v0
	v_and_b32_e32 v2, 7, v2
	v_cndmask_b32_e64 v0, v4, v3, s[8:9]
	v_mov_b32_e32 v3, 0x2000
	v_cndmask_b32_e64 v1, v1, v2, s[8:9]
	v_lshlrev_b32_e32 v2, 8, v30
	v_lshl_add_u32 v0, v0, 10, v3
	v_and_or_b32 v0, v2, s38, v0
	v_lshl_or_b32 v0, v1, 7, v0
	v_cvt_f32_f16_e32 v31, v0
.LBB293_92:                             ;   in Loop: Header=BB293_10 Depth=1
	s_or_b64 exec, exec, s[34:35]
.LBB293_93:                             ;   in Loop: Header=BB293_10 Depth=1
	s_or_b64 exec, exec, s[30:31]
.LBB293_94:                             ;   in Loop: Header=BB293_10 Depth=1
	s_or_b64 exec, exec, s[28:29]
	flat_load_ushort v0, v[28:29] offset:776
	v_mov_b32_e32 v1, 0
	v_mov_b32_e32 v35, 0
	;; [unrolled: 1-line block ×3, first 2 shown]
	s_waitcnt vmcnt(0) lgkmcnt(0)
	v_and_b32_e32 v30, 0xffff, v0
	v_cmp_ne_u16_sdwa s[8:9], v0, v1 src0_sel:BYTE_0 src1_sel:DWORD
	s_and_saveexec_b64 s[28:29], s[8:9]
	s_cbranch_execz .LBB293_100
; %bb.95:                               ;   in Loop: Header=BB293_10 Depth=1
	v_cmp_ne_u16_sdwa s[8:9], v30, s19 src0_sel:BYTE_0 src1_sel:DWORD
	v_bfrev_b32_e32 v61, 1
	s_and_saveexec_b64 s[30:31], s[8:9]
	s_cbranch_execz .LBB293_99
; %bb.96:                               ;   in Loop: Header=BB293_10 Depth=1
	v_and_b32_e32 v0, 0x7f, v30
	v_cmp_ne_u32_e64 s[8:9], s37, v0
	v_mov_b32_e32 v61, 0x7fc02000
	s_and_saveexec_b64 s[34:35], s[8:9]
	s_cbranch_execz .LBB293_98
; %bb.97:                               ;   in Loop: Header=BB293_10 Depth=1
	v_and_b32_e32 v1, 7, v30
	v_ffbh_u32_e32 v2, v1
	v_min_u32_e32 v5, 32, v2
	v_subrev_u32_e32 v2, 28, v5
	v_lshlrev_b64 v[2:3], v2, v[30:31]
	v_lshrrev_b32_e32 v4, 3, v0
	v_sub_u32_e32 v3, 29, v5
	v_cmp_gt_u32_e64 s[8:9], 8, v0
	v_and_b32_e32 v2, 7, v2
	v_cndmask_b32_e64 v0, v4, v3, s[8:9]
	v_mov_b32_e32 v3, 0x2000
	v_cndmask_b32_e64 v1, v1, v2, s[8:9]
	v_lshlrev_b32_e32 v2, 8, v30
	v_lshl_add_u32 v0, v0, 10, v3
	v_and_or_b32 v0, v2, s38, v0
	v_lshl_or_b32 v0, v1, 7, v0
	v_cvt_f32_f16_e32 v61, v0
.LBB293_98:                             ;   in Loop: Header=BB293_10 Depth=1
	s_or_b64 exec, exec, s[34:35]
.LBB293_99:                             ;   in Loop: Header=BB293_10 Depth=1
	s_or_b64 exec, exec, s[30:31]
.LBB293_100:                            ;   in Loop: Header=BB293_10 Depth=1
	s_or_b64 exec, exec, s[28:29]
	v_lshrrev_b16_e32 v30, 8, v30
	v_cmp_ne_u16_e64 s[8:9], 0, v30
	s_and_saveexec_b64 s[28:29], s[8:9]
	s_cbranch_execz .LBB293_106
; %bb.101:                              ;   in Loop: Header=BB293_10 Depth=1
	v_cmp_ne_u16_e64 s[8:9], s19, v30
	v_bfrev_b32_e32 v35, 1
	s_and_saveexec_b64 s[30:31], s[8:9]
	s_cbranch_execz .LBB293_105
; %bb.102:                              ;   in Loop: Header=BB293_10 Depth=1
	v_and_b32_e32 v0, 0x7f, v30
	v_cmp_ne_u32_e64 s[8:9], s37, v0
	v_mov_b32_e32 v35, 0x7fc02000
	s_and_saveexec_b64 s[34:35], s[8:9]
	s_cbranch_execz .LBB293_104
; %bb.103:                              ;   in Loop: Header=BB293_10 Depth=1
	v_and_b32_e32 v1, 7, v30
	v_ffbh_u32_e32 v2, v1
	v_min_u32_e32 v5, 32, v2
	v_subrev_u32_e32 v2, 28, v5
	v_lshlrev_b64 v[2:3], v2, v[30:31]
	v_lshrrev_b32_e32 v4, 3, v0
	v_sub_u32_e32 v3, 29, v5
	v_cmp_gt_u32_e64 s[8:9], 8, v0
	v_and_b32_e32 v2, 7, v2
	v_cndmask_b32_e64 v0, v4, v3, s[8:9]
	v_mov_b32_e32 v3, 0x2000
	v_cndmask_b32_e64 v1, v1, v2, s[8:9]
	v_lshlrev_b32_e32 v2, 8, v30
	v_lshl_add_u32 v0, v0, 10, v3
	v_and_or_b32 v0, v2, s38, v0
	v_lshl_or_b32 v0, v1, 7, v0
	v_cvt_f32_f16_e32 v35, v0
.LBB293_104:                            ;   in Loop: Header=BB293_10 Depth=1
	s_or_b64 exec, exec, s[34:35]
.LBB293_105:                            ;   in Loop: Header=BB293_10 Depth=1
	s_or_b64 exec, exec, s[30:31]
.LBB293_106:                            ;   in Loop: Header=BB293_10 Depth=1
	s_or_b64 exec, exec, s[28:29]
	flat_load_ushort v0, v[28:29] offset:1024
	v_mov_b32_e32 v1, 0
	v_mov_b32_e32 v38, 0
	;; [unrolled: 1-line block ×3, first 2 shown]
	s_waitcnt vmcnt(0) lgkmcnt(0)
	v_and_b32_e32 v30, 0xffff, v0
	v_cmp_ne_u16_sdwa s[8:9], v0, v1 src0_sel:BYTE_0 src1_sel:DWORD
	s_and_saveexec_b64 s[28:29], s[8:9]
	s_cbranch_execz .LBB293_112
; %bb.107:                              ;   in Loop: Header=BB293_10 Depth=1
	v_cmp_ne_u16_sdwa s[8:9], v30, s19 src0_sel:BYTE_0 src1_sel:DWORD
	v_bfrev_b32_e32 v36, 1
	s_and_saveexec_b64 s[30:31], s[8:9]
	s_cbranch_execz .LBB293_111
; %bb.108:                              ;   in Loop: Header=BB293_10 Depth=1
	v_and_b32_e32 v0, 0x7f, v30
	v_cmp_ne_u32_e64 s[8:9], s37, v0
	v_mov_b32_e32 v36, 0x7fc02000
	s_and_saveexec_b64 s[34:35], s[8:9]
	s_cbranch_execz .LBB293_110
; %bb.109:                              ;   in Loop: Header=BB293_10 Depth=1
	v_and_b32_e32 v1, 7, v30
	v_ffbh_u32_e32 v2, v1
	v_min_u32_e32 v5, 32, v2
	v_subrev_u32_e32 v2, 28, v5
	v_lshlrev_b64 v[2:3], v2, v[30:31]
	v_lshrrev_b32_e32 v4, 3, v0
	v_sub_u32_e32 v3, 29, v5
	v_cmp_gt_u32_e64 s[8:9], 8, v0
	v_and_b32_e32 v2, 7, v2
	v_cndmask_b32_e64 v0, v4, v3, s[8:9]
	v_mov_b32_e32 v3, 0x2000
	v_cndmask_b32_e64 v1, v1, v2, s[8:9]
	v_lshlrev_b32_e32 v2, 8, v30
	v_lshl_add_u32 v0, v0, 10, v3
	v_and_or_b32 v0, v2, s38, v0
	v_lshl_or_b32 v0, v1, 7, v0
	v_cvt_f32_f16_e32 v36, v0
.LBB293_110:                            ;   in Loop: Header=BB293_10 Depth=1
	s_or_b64 exec, exec, s[34:35]
.LBB293_111:                            ;   in Loop: Header=BB293_10 Depth=1
	s_or_b64 exec, exec, s[30:31]
.LBB293_112:                            ;   in Loop: Header=BB293_10 Depth=1
	s_or_b64 exec, exec, s[28:29]
	v_lshrrev_b16_e32 v30, 8, v30
	v_cmp_ne_u16_e64 s[8:9], 0, v30
	s_and_saveexec_b64 s[28:29], s[8:9]
	s_cbranch_execz .LBB293_118
; %bb.113:                              ;   in Loop: Header=BB293_10 Depth=1
	v_cmp_ne_u16_e64 s[8:9], s19, v30
	v_bfrev_b32_e32 v38, 1
	s_and_saveexec_b64 s[30:31], s[8:9]
	s_cbranch_execz .LBB293_117
; %bb.114:                              ;   in Loop: Header=BB293_10 Depth=1
	v_and_b32_e32 v0, 0x7f, v30
	v_cmp_ne_u32_e64 s[8:9], s37, v0
	v_mov_b32_e32 v38, 0x7fc02000
	s_and_saveexec_b64 s[34:35], s[8:9]
	s_cbranch_execz .LBB293_116
; %bb.115:                              ;   in Loop: Header=BB293_10 Depth=1
	v_and_b32_e32 v1, 7, v30
	v_ffbh_u32_e32 v2, v1
	v_min_u32_e32 v5, 32, v2
	v_subrev_u32_e32 v2, 28, v5
	v_lshlrev_b64 v[2:3], v2, v[30:31]
	v_lshrrev_b32_e32 v4, 3, v0
	v_sub_u32_e32 v3, 29, v5
	v_cmp_gt_u32_e64 s[8:9], 8, v0
	v_and_b32_e32 v2, 7, v2
	v_cndmask_b32_e64 v0, v4, v3, s[8:9]
	v_mov_b32_e32 v3, 0x2000
	v_cndmask_b32_e64 v1, v1, v2, s[8:9]
	v_lshlrev_b32_e32 v2, 8, v30
	v_lshl_add_u32 v0, v0, 10, v3
	v_and_or_b32 v0, v2, s38, v0
	v_lshl_or_b32 v0, v1, 7, v0
	v_cvt_f32_f16_e32 v38, v0
.LBB293_116:                            ;   in Loop: Header=BB293_10 Depth=1
	s_or_b64 exec, exec, s[34:35]
.LBB293_117:                            ;   in Loop: Header=BB293_10 Depth=1
	s_or_b64 exec, exec, s[30:31]
.LBB293_118:                            ;   in Loop: Header=BB293_10 Depth=1
	s_or_b64 exec, exec, s[28:29]
	flat_load_ushort v0, v[28:29] offset:1032
	v_mov_b32_e32 v1, 0
	v_mov_b32_e32 v39, 0
	;; [unrolled: 1-line block ×3, first 2 shown]
	s_waitcnt vmcnt(0) lgkmcnt(0)
	v_and_b32_e32 v30, 0xffff, v0
	v_cmp_ne_u16_sdwa s[8:9], v0, v1 src0_sel:BYTE_0 src1_sel:DWORD
	s_and_saveexec_b64 s[28:29], s[8:9]
	s_cbranch_execz .LBB293_124
; %bb.119:                              ;   in Loop: Header=BB293_10 Depth=1
	v_cmp_ne_u16_sdwa s[8:9], v30, s19 src0_sel:BYTE_0 src1_sel:DWORD
	v_bfrev_b32_e32 v49, 1
	s_and_saveexec_b64 s[30:31], s[8:9]
	s_cbranch_execz .LBB293_123
; %bb.120:                              ;   in Loop: Header=BB293_10 Depth=1
	v_and_b32_e32 v0, 0x7f, v30
	v_cmp_ne_u32_e64 s[8:9], s37, v0
	v_mov_b32_e32 v49, 0x7fc02000
	s_and_saveexec_b64 s[34:35], s[8:9]
	s_cbranch_execz .LBB293_122
; %bb.121:                              ;   in Loop: Header=BB293_10 Depth=1
	v_and_b32_e32 v2, 7, v30
	v_lshrrev_b32_e32 v3, 3, v0
	v_cmp_gt_u32_e64 s[8:9], 8, v0
	v_ffbh_u32_e32 v0, v2
	v_min_u32_e32 v4, 32, v0
	v_subrev_u32_e32 v0, 28, v4
	v_lshlrev_b64 v[0:1], v0, v[30:31]
	v_sub_u32_e32 v1, 29, v4
	v_and_b32_e32 v0, 7, v0
	v_cndmask_b32_e64 v1, v3, v1, s[8:9]
	v_mov_b32_e32 v3, 0x2000
	v_cndmask_b32_e64 v0, v2, v0, s[8:9]
	v_lshlrev_b32_e32 v2, 8, v30
	v_lshl_add_u32 v1, v1, 10, v3
	v_and_or_b32 v1, v2, s38, v1
	v_lshl_or_b32 v0, v0, 7, v1
	v_cvt_f32_f16_e32 v49, v0
.LBB293_122:                            ;   in Loop: Header=BB293_10 Depth=1
	s_or_b64 exec, exec, s[34:35]
.LBB293_123:                            ;   in Loop: Header=BB293_10 Depth=1
	s_or_b64 exec, exec, s[30:31]
.LBB293_124:                            ;   in Loop: Header=BB293_10 Depth=1
	s_or_b64 exec, exec, s[28:29]
	v_lshrrev_b16_e32 v30, 8, v30
	v_cmp_ne_u16_e64 s[8:9], 0, v30
	s_and_saveexec_b64 s[28:29], s[8:9]
	s_cbranch_execz .LBB293_130
; %bb.125:                              ;   in Loop: Header=BB293_10 Depth=1
	v_cmp_ne_u16_e64 s[8:9], s19, v30
	v_bfrev_b32_e32 v39, 1
	s_and_saveexec_b64 s[30:31], s[8:9]
	s_cbranch_execz .LBB293_129
; %bb.126:                              ;   in Loop: Header=BB293_10 Depth=1
	v_and_b32_e32 v0, 0x7f, v30
	v_cmp_ne_u32_e64 s[8:9], s37, v0
	v_mov_b32_e32 v39, 0x7fc02000
	s_and_saveexec_b64 s[34:35], s[8:9]
	s_cbranch_execz .LBB293_128
; %bb.127:                              ;   in Loop: Header=BB293_10 Depth=1
	v_and_b32_e32 v2, 7, v30
	v_lshrrev_b32_e32 v3, 3, v0
	v_cmp_gt_u32_e64 s[8:9], 8, v0
	v_ffbh_u32_e32 v0, v2
	v_min_u32_e32 v4, 32, v0
	v_subrev_u32_e32 v0, 28, v4
	v_lshlrev_b64 v[0:1], v0, v[30:31]
	v_sub_u32_e32 v1, 29, v4
	v_and_b32_e32 v0, 7, v0
	v_cndmask_b32_e64 v1, v3, v1, s[8:9]
	v_mov_b32_e32 v3, 0x2000
	v_cndmask_b32_e64 v0, v2, v0, s[8:9]
	v_lshlrev_b32_e32 v2, 8, v30
	v_lshl_add_u32 v1, v1, 10, v3
	v_and_or_b32 v1, v2, s38, v1
	v_lshl_or_b32 v0, v0, 7, v1
	v_cvt_f32_f16_e32 v39, v0
.LBB293_128:                            ;   in Loop: Header=BB293_10 Depth=1
	s_or_b64 exec, exec, s[34:35]
.LBB293_129:                            ;   in Loop: Header=BB293_10 Depth=1
	s_or_b64 exec, exec, s[30:31]
.LBB293_130:                            ;   in Loop: Header=BB293_10 Depth=1
	s_or_b64 exec, exec, s[28:29]
	flat_load_ushort v0, v[28:29] offset:1280
	v_mov_b32_e32 v1, 0
	v_mov_b32_e32 v50, 0
	;; [unrolled: 1-line block ×3, first 2 shown]
	s_waitcnt vmcnt(0) lgkmcnt(0)
	v_and_b32_e32 v30, 0xffff, v0
	v_cmp_ne_u16_sdwa s[8:9], v0, v1 src0_sel:BYTE_0 src1_sel:DWORD
	s_and_saveexec_b64 s[28:29], s[8:9]
	s_cbranch_execz .LBB293_136
; %bb.131:                              ;   in Loop: Header=BB293_10 Depth=1
	v_cmp_ne_u16_sdwa s[8:9], v30, s19 src0_sel:BYTE_0 src1_sel:DWORD
	v_bfrev_b32_e32 v51, 1
	s_and_saveexec_b64 s[30:31], s[8:9]
	s_cbranch_execz .LBB293_135
; %bb.132:                              ;   in Loop: Header=BB293_10 Depth=1
	v_and_b32_e32 v0, 0x7f, v30
	v_cmp_ne_u32_e64 s[8:9], s37, v0
	v_mov_b32_e32 v51, 0x7fc02000
	s_and_saveexec_b64 s[34:35], s[8:9]
	s_cbranch_execz .LBB293_134
; %bb.133:                              ;   in Loop: Header=BB293_10 Depth=1
	v_and_b32_e32 v1, 7, v30
	v_ffbh_u32_e32 v2, v1
	v_min_u32_e32 v5, 32, v2
	v_subrev_u32_e32 v2, 28, v5
	v_lshlrev_b64 v[2:3], v2, v[30:31]
	v_lshrrev_b32_e32 v4, 3, v0
	v_sub_u32_e32 v3, 29, v5
	v_cmp_gt_u32_e64 s[8:9], 8, v0
	v_and_b32_e32 v2, 7, v2
	v_cndmask_b32_e64 v0, v4, v3, s[8:9]
	v_mov_b32_e32 v3, 0x2000
	v_cndmask_b32_e64 v1, v1, v2, s[8:9]
	v_lshlrev_b32_e32 v2, 8, v30
	v_lshl_add_u32 v0, v0, 10, v3
	v_and_or_b32 v0, v2, s38, v0
	v_lshl_or_b32 v0, v1, 7, v0
	v_cvt_f32_f16_e32 v51, v0
.LBB293_134:                            ;   in Loop: Header=BB293_10 Depth=1
	s_or_b64 exec, exec, s[34:35]
.LBB293_135:                            ;   in Loop: Header=BB293_10 Depth=1
	s_or_b64 exec, exec, s[30:31]
.LBB293_136:                            ;   in Loop: Header=BB293_10 Depth=1
	s_or_b64 exec, exec, s[28:29]
	v_lshrrev_b16_e32 v30, 8, v30
	v_cmp_ne_u16_e64 s[8:9], 0, v30
	s_and_saveexec_b64 s[28:29], s[8:9]
	s_cbranch_execz .LBB293_142
; %bb.137:                              ;   in Loop: Header=BB293_10 Depth=1
	v_cmp_ne_u16_e64 s[8:9], s19, v30
	v_bfrev_b32_e32 v50, 1
	s_and_saveexec_b64 s[30:31], s[8:9]
	s_cbranch_execz .LBB293_141
; %bb.138:                              ;   in Loop: Header=BB293_10 Depth=1
	v_and_b32_e32 v0, 0x7f, v30
	v_cmp_ne_u32_e64 s[8:9], s37, v0
	v_mov_b32_e32 v50, 0x7fc02000
	s_and_saveexec_b64 s[34:35], s[8:9]
	s_cbranch_execz .LBB293_140
; %bb.139:                              ;   in Loop: Header=BB293_10 Depth=1
	v_and_b32_e32 v1, 7, v30
	v_ffbh_u32_e32 v2, v1
	v_min_u32_e32 v6, 32, v2
	v_subrev_u32_e32 v2, 28, v6
	v_lshlrev_b64 v[2:3], v2, v[30:31]
	v_lshrrev_b32_e32 v5, 3, v0
	v_sub_u32_e32 v3, 29, v6
	v_cmp_gt_u32_e64 s[8:9], 8, v0
	v_and_b32_e32 v2, 7, v2
	v_cndmask_b32_e64 v0, v5, v3, s[8:9]
	v_mov_b32_e32 v3, 0x2000
	v_cndmask_b32_e64 v1, v1, v2, s[8:9]
	v_lshlrev_b32_e32 v2, 8, v30
	v_lshl_add_u32 v0, v0, 10, v3
	v_and_or_b32 v0, v2, s38, v0
	v_lshl_or_b32 v0, v1, 7, v0
	v_cvt_f32_f16_e32 v50, v0
.LBB293_140:                            ;   in Loop: Header=BB293_10 Depth=1
	s_or_b64 exec, exec, s[34:35]
.LBB293_141:                            ;   in Loop: Header=BB293_10 Depth=1
	s_or_b64 exec, exec, s[30:31]
.LBB293_142:                            ;   in Loop: Header=BB293_10 Depth=1
	s_or_b64 exec, exec, s[28:29]
	flat_load_ushort v0, v[28:29] offset:1288
	v_mov_b32_e32 v1, 0
	v_mov_b32_e32 v53, 0
	;; [unrolled: 1-line block ×3, first 2 shown]
	s_waitcnt vmcnt(0) lgkmcnt(0)
	v_and_b32_e32 v30, 0xffff, v0
	v_cmp_ne_u16_sdwa s[8:9], v0, v1 src0_sel:BYTE_0 src1_sel:DWORD
	s_and_saveexec_b64 s[28:29], s[8:9]
	s_cbranch_execz .LBB293_148
; %bb.143:                              ;   in Loop: Header=BB293_10 Depth=1
	v_cmp_ne_u16_sdwa s[8:9], v30, s19 src0_sel:BYTE_0 src1_sel:DWORD
	v_bfrev_b32_e32 v19, 1
	s_and_saveexec_b64 s[30:31], s[8:9]
	s_cbranch_execz .LBB293_147
; %bb.144:                              ;   in Loop: Header=BB293_10 Depth=1
	v_and_b32_e32 v0, 0x7f, v30
	v_cmp_ne_u32_e64 s[8:9], s37, v0
	v_mov_b32_e32 v19, 0x7fc02000
	s_and_saveexec_b64 s[34:35], s[8:9]
	s_cbranch_execz .LBB293_146
; %bb.145:                              ;   in Loop: Header=BB293_10 Depth=1
	v_and_b32_e32 v1, 7, v30
	v_ffbh_u32_e32 v2, v1
	v_min_u32_e32 v8, 32, v2
	v_subrev_u32_e32 v2, 28, v8
	v_lshlrev_b64 v[2:3], v2, v[30:31]
	v_lshrrev_b32_e32 v6, 3, v0
	v_sub_u32_e32 v3, 29, v8
	v_cmp_gt_u32_e64 s[8:9], 8, v0
	v_and_b32_e32 v2, 7, v2
	v_cndmask_b32_e64 v0, v6, v3, s[8:9]
	v_mov_b32_e32 v3, 0x2000
	v_cndmask_b32_e64 v1, v1, v2, s[8:9]
	v_lshlrev_b32_e32 v2, 8, v30
	v_lshl_add_u32 v0, v0, 10, v3
	v_and_or_b32 v0, v2, s38, v0
	v_lshl_or_b32 v0, v1, 7, v0
	v_cvt_f32_f16_e32 v19, v0
.LBB293_146:                            ;   in Loop: Header=BB293_10 Depth=1
	s_or_b64 exec, exec, s[34:35]
.LBB293_147:                            ;   in Loop: Header=BB293_10 Depth=1
	s_or_b64 exec, exec, s[30:31]
.LBB293_148:                            ;   in Loop: Header=BB293_10 Depth=1
	s_or_b64 exec, exec, s[28:29]
	v_lshrrev_b16_e32 v30, 8, v30
	v_cmp_ne_u16_e64 s[8:9], 0, v30
	s_and_saveexec_b64 s[28:29], s[8:9]
	s_cbranch_execz .LBB293_154
; %bb.149:                              ;   in Loop: Header=BB293_10 Depth=1
	v_cmp_ne_u16_e64 s[8:9], s19, v30
	v_bfrev_b32_e32 v53, 1
	s_and_saveexec_b64 s[30:31], s[8:9]
	s_cbranch_execz .LBB293_153
; %bb.150:                              ;   in Loop: Header=BB293_10 Depth=1
	v_and_b32_e32 v0, 0x7f, v30
	v_cmp_ne_u32_e64 s[8:9], s37, v0
	v_mov_b32_e32 v53, 0x7fc02000
	s_and_saveexec_b64 s[34:35], s[8:9]
	s_cbranch_execz .LBB293_152
; %bb.151:                              ;   in Loop: Header=BB293_10 Depth=1
	v_and_b32_e32 v1, 7, v30
	v_ffbh_u32_e32 v2, v1
	v_min_u32_e32 v6, 32, v2
	v_subrev_u32_e32 v2, 28, v6
	v_lshlrev_b64 v[2:3], v2, v[30:31]
	v_lshrrev_b32_e32 v5, 3, v0
	v_sub_u32_e32 v3, 29, v6
	v_cmp_gt_u32_e64 s[8:9], 8, v0
	v_and_b32_e32 v2, 7, v2
	v_cndmask_b32_e64 v0, v5, v3, s[8:9]
	v_mov_b32_e32 v3, 0x2000
	v_cndmask_b32_e64 v1, v1, v2, s[8:9]
	v_lshlrev_b32_e32 v2, 8, v30
	v_lshl_add_u32 v0, v0, 10, v3
	v_and_or_b32 v0, v2, s38, v0
	v_lshl_or_b32 v0, v1, 7, v0
	v_cvt_f32_f16_e32 v53, v0
.LBB293_152:                            ;   in Loop: Header=BB293_10 Depth=1
	s_or_b64 exec, exec, s[34:35]
.LBB293_153:                            ;   in Loop: Header=BB293_10 Depth=1
	s_or_b64 exec, exec, s[30:31]
.LBB293_154:                            ;   in Loop: Header=BB293_10 Depth=1
	s_or_b64 exec, exec, s[28:29]
	flat_load_ushort v0, v[28:29] offset:1536
	v_mov_b32_e32 v1, 0
	v_mov_b32_e32 v5, 0
	;; [unrolled: 1-line block ×3, first 2 shown]
	s_waitcnt vmcnt(0) lgkmcnt(0)
	v_and_b32_e32 v30, 0xffff, v0
	v_cmp_ne_u16_sdwa s[8:9], v0, v1 src0_sel:BYTE_0 src1_sel:DWORD
	s_and_saveexec_b64 s[28:29], s[8:9]
	s_cbranch_execz .LBB293_160
; %bb.155:                              ;   in Loop: Header=BB293_10 Depth=1
	v_cmp_ne_u16_sdwa s[8:9], v30, s19 src0_sel:BYTE_0 src1_sel:DWORD
	v_bfrev_b32_e32 v34, 1
	s_and_saveexec_b64 s[30:31], s[8:9]
	s_cbranch_execz .LBB293_159
; %bb.156:                              ;   in Loop: Header=BB293_10 Depth=1
	v_and_b32_e32 v0, 0x7f, v30
	v_cmp_ne_u32_e64 s[8:9], s37, v0
	v_mov_b32_e32 v34, 0x7fc02000
	s_and_saveexec_b64 s[34:35], s[8:9]
	s_cbranch_execz .LBB293_158
; %bb.157:                              ;   in Loop: Header=BB293_10 Depth=1
	v_and_b32_e32 v1, 7, v30
	v_ffbh_u32_e32 v2, v1
	v_min_u32_e32 v8, 32, v2
	v_subrev_u32_e32 v2, 28, v8
	v_lshlrev_b64 v[2:3], v2, v[30:31]
	v_lshrrev_b32_e32 v6, 3, v0
	v_sub_u32_e32 v3, 29, v8
	v_cmp_gt_u32_e64 s[8:9], 8, v0
	v_and_b32_e32 v2, 7, v2
	v_cndmask_b32_e64 v0, v6, v3, s[8:9]
	v_mov_b32_e32 v3, 0x2000
	v_cndmask_b32_e64 v1, v1, v2, s[8:9]
	v_lshlrev_b32_e32 v2, 8, v30
	v_lshl_add_u32 v0, v0, 10, v3
	v_and_or_b32 v0, v2, s38, v0
	v_lshl_or_b32 v0, v1, 7, v0
	v_cvt_f32_f16_e32 v34, v0
.LBB293_158:                            ;   in Loop: Header=BB293_10 Depth=1
	s_or_b64 exec, exec, s[34:35]
.LBB293_159:                            ;   in Loop: Header=BB293_10 Depth=1
	s_or_b64 exec, exec, s[30:31]
.LBB293_160:                            ;   in Loop: Header=BB293_10 Depth=1
	s_or_b64 exec, exec, s[28:29]
	v_lshrrev_b16_e32 v30, 8, v30
	v_cmp_ne_u16_e64 s[8:9], 0, v30
	s_and_saveexec_b64 s[28:29], s[8:9]
	s_cbranch_execz .LBB293_166
; %bb.161:                              ;   in Loop: Header=BB293_10 Depth=1
	v_cmp_ne_u16_e64 s[8:9], s19, v30
	v_bfrev_b32_e32 v5, 1
	s_and_saveexec_b64 s[30:31], s[8:9]
	s_cbranch_execz .LBB293_165
; %bb.162:                              ;   in Loop: Header=BB293_10 Depth=1
	v_and_b32_e32 v0, 0x7f, v30
	v_cmp_ne_u32_e64 s[8:9], s37, v0
	v_mov_b32_e32 v5, 0x7fc02000
	s_and_saveexec_b64 s[34:35], s[8:9]
	s_cbranch_execz .LBB293_164
; %bb.163:                              ;   in Loop: Header=BB293_10 Depth=1
	v_and_b32_e32 v1, 7, v30
	v_ffbh_u32_e32 v2, v1
	v_min_u32_e32 v8, 32, v2
	v_subrev_u32_e32 v2, 28, v8
	v_lshlrev_b64 v[2:3], v2, v[30:31]
	v_lshrrev_b32_e32 v6, 3, v0
	v_sub_u32_e32 v3, 29, v8
	v_cmp_gt_u32_e64 s[8:9], 8, v0
	v_and_b32_e32 v2, 7, v2
	v_cndmask_b32_e64 v0, v6, v3, s[8:9]
	v_mov_b32_e32 v3, 0x2000
	v_cndmask_b32_e64 v1, v1, v2, s[8:9]
	v_lshlrev_b32_e32 v2, 8, v30
	v_lshl_add_u32 v0, v0, 10, v3
	v_and_or_b32 v0, v2, s38, v0
	v_lshl_or_b32 v0, v1, 7, v0
	v_cvt_f32_f16_e32 v5, v0
.LBB293_164:                            ;   in Loop: Header=BB293_10 Depth=1
	s_or_b64 exec, exec, s[34:35]
.LBB293_165:                            ;   in Loop: Header=BB293_10 Depth=1
	s_or_b64 exec, exec, s[30:31]
.LBB293_166:                            ;   in Loop: Header=BB293_10 Depth=1
	s_or_b64 exec, exec, s[28:29]
	flat_load_ushort v0, v[28:29] offset:1544
	v_mov_b32_e32 v1, 0
	v_mov_b32_e32 v43, 0
	;; [unrolled: 1-line block ×3, first 2 shown]
	s_waitcnt vmcnt(0) lgkmcnt(0)
	v_and_b32_e32 v30, 0xffff, v0
	v_cmp_ne_u16_sdwa s[8:9], v0, v1 src0_sel:BYTE_0 src1_sel:DWORD
	s_and_saveexec_b64 s[28:29], s[8:9]
	s_cbranch_execz .LBB293_172
; %bb.167:                              ;   in Loop: Header=BB293_10 Depth=1
	v_cmp_ne_u16_sdwa s[8:9], v30, s19 src0_sel:BYTE_0 src1_sel:DWORD
	v_bfrev_b32_e32 v45, 1
	s_and_saveexec_b64 s[30:31], s[8:9]
	s_cbranch_execz .LBB293_171
; %bb.168:                              ;   in Loop: Header=BB293_10 Depth=1
	v_and_b32_e32 v0, 0x7f, v30
	v_cmp_ne_u32_e64 s[8:9], s37, v0
	v_mov_b32_e32 v45, 0x7fc02000
	s_and_saveexec_b64 s[34:35], s[8:9]
	s_cbranch_execz .LBB293_170
; %bb.169:                              ;   in Loop: Header=BB293_10 Depth=1
	v_and_b32_e32 v2, 7, v30
	v_lshrrev_b32_e32 v3, 3, v0
	v_cmp_gt_u32_e64 s[8:9], 8, v0
	v_ffbh_u32_e32 v0, v2
	v_min_u32_e32 v6, 32, v0
	v_subrev_u32_e32 v0, 28, v6
	v_lshlrev_b64 v[0:1], v0, v[30:31]
	v_sub_u32_e32 v1, 29, v6
	v_and_b32_e32 v0, 7, v0
	v_cndmask_b32_e64 v1, v3, v1, s[8:9]
	v_mov_b32_e32 v3, 0x2000
	v_cndmask_b32_e64 v0, v2, v0, s[8:9]
	v_lshlrev_b32_e32 v2, 8, v30
	v_lshl_add_u32 v1, v1, 10, v3
	v_and_or_b32 v1, v2, s38, v1
	v_lshl_or_b32 v0, v0, 7, v1
	v_cvt_f32_f16_e32 v45, v0
.LBB293_170:                            ;   in Loop: Header=BB293_10 Depth=1
	s_or_b64 exec, exec, s[34:35]
.LBB293_171:                            ;   in Loop: Header=BB293_10 Depth=1
	s_or_b64 exec, exec, s[30:31]
.LBB293_172:                            ;   in Loop: Header=BB293_10 Depth=1
	s_or_b64 exec, exec, s[28:29]
	v_lshrrev_b16_e32 v30, 8, v30
	v_cmp_ne_u16_e64 s[8:9], 0, v30
	s_and_saveexec_b64 s[28:29], s[8:9]
	s_cbranch_execz .LBB293_178
; %bb.173:                              ;   in Loop: Header=BB293_10 Depth=1
	v_cmp_ne_u16_e64 s[8:9], s19, v30
	v_bfrev_b32_e32 v43, 1
	s_and_saveexec_b64 s[30:31], s[8:9]
	s_cbranch_execz .LBB293_177
; %bb.174:                              ;   in Loop: Header=BB293_10 Depth=1
	v_and_b32_e32 v0, 0x7f, v30
	v_cmp_ne_u32_e64 s[8:9], s37, v0
	v_mov_b32_e32 v43, 0x7fc02000
	s_and_saveexec_b64 s[34:35], s[8:9]
	s_cbranch_execz .LBB293_176
; %bb.175:                              ;   in Loop: Header=BB293_10 Depth=1
	v_and_b32_e32 v2, 7, v30
	v_lshrrev_b32_e32 v3, 3, v0
	v_cmp_gt_u32_e64 s[8:9], 8, v0
	v_ffbh_u32_e32 v0, v2
	v_min_u32_e32 v6, 32, v0
	v_subrev_u32_e32 v0, 28, v6
	v_lshlrev_b64 v[0:1], v0, v[30:31]
	v_sub_u32_e32 v1, 29, v6
	v_and_b32_e32 v0, 7, v0
	v_cndmask_b32_e64 v1, v3, v1, s[8:9]
	v_mov_b32_e32 v3, 0x2000
	v_cndmask_b32_e64 v0, v2, v0, s[8:9]
	v_lshlrev_b32_e32 v2, 8, v30
	v_lshl_add_u32 v1, v1, 10, v3
	v_and_or_b32 v1, v2, s38, v1
	v_lshl_or_b32 v0, v0, 7, v1
	v_cvt_f32_f16_e32 v43, v0
.LBB293_176:                            ;   in Loop: Header=BB293_10 Depth=1
	s_or_b64 exec, exec, s[34:35]
.LBB293_177:                            ;   in Loop: Header=BB293_10 Depth=1
	s_or_b64 exec, exec, s[30:31]
.LBB293_178:                            ;   in Loop: Header=BB293_10 Depth=1
	s_or_b64 exec, exec, s[28:29]
	flat_load_ushort v0, v[28:29] offset:1792
	v_mov_b32_e32 v1, 0
	v_mov_b32_e32 v47, 0
	s_waitcnt vmcnt(0) lgkmcnt(0)
	v_and_b32_e32 v30, 0xffff, v0
	v_cmp_ne_u16_sdwa s[8:9], v0, v1 src0_sel:BYTE_0 src1_sel:DWORD
	v_mov_b32_e32 v1, 0
	s_and_saveexec_b64 s[28:29], s[8:9]
	s_cbranch_execz .LBB293_184
; %bb.179:                              ;   in Loop: Header=BB293_10 Depth=1
	v_cmp_ne_u16_sdwa s[8:9], v30, s19 src0_sel:BYTE_0 src1_sel:DWORD
	v_bfrev_b32_e32 v1, 1
	s_and_saveexec_b64 s[30:31], s[8:9]
	s_cbranch_execz .LBB293_183
; %bb.180:                              ;   in Loop: Header=BB293_10 Depth=1
	v_and_b32_e32 v0, 0x7f, v30
	v_cmp_ne_u32_e64 s[8:9], s37, v0
	v_mov_b32_e32 v1, 0x7fc02000
	s_and_saveexec_b64 s[34:35], s[8:9]
	s_cbranch_execz .LBB293_182
; %bb.181:                              ;   in Loop: Header=BB293_10 Depth=1
	v_and_b32_e32 v1, 7, v30
	v_ffbh_u32_e32 v2, v1
	v_min_u32_e32 v8, 32, v2
	v_subrev_u32_e32 v2, 28, v8
	v_lshlrev_b64 v[2:3], v2, v[30:31]
	v_lshrrev_b32_e32 v6, 3, v0
	v_sub_u32_e32 v3, 29, v8
	v_cmp_gt_u32_e64 s[8:9], 8, v0
	v_and_b32_e32 v2, 7, v2
	v_cndmask_b32_e64 v0, v6, v3, s[8:9]
	v_mov_b32_e32 v3, 0x2000
	v_cndmask_b32_e64 v1, v1, v2, s[8:9]
	v_lshlrev_b32_e32 v2, 8, v30
	v_lshl_add_u32 v0, v0, 10, v3
	v_and_or_b32 v0, v2, s38, v0
	v_lshl_or_b32 v0, v1, 7, v0
	v_cvt_f32_f16_e32 v1, v0
.LBB293_182:                            ;   in Loop: Header=BB293_10 Depth=1
	s_or_b64 exec, exec, s[34:35]
.LBB293_183:                            ;   in Loop: Header=BB293_10 Depth=1
	s_or_b64 exec, exec, s[30:31]
.LBB293_184:                            ;   in Loop: Header=BB293_10 Depth=1
	s_or_b64 exec, exec, s[28:29]
	v_lshrrev_b16_e32 v30, 8, v30
	v_cmp_ne_u16_e64 s[8:9], 0, v30
	s_and_saveexec_b64 s[28:29], s[8:9]
	s_cbranch_execz .LBB293_190
; %bb.185:                              ;   in Loop: Header=BB293_10 Depth=1
	v_cmp_ne_u16_e64 s[8:9], s19, v30
	v_bfrev_b32_e32 v47, 1
	s_and_saveexec_b64 s[30:31], s[8:9]
	s_cbranch_execz .LBB293_189
; %bb.186:                              ;   in Loop: Header=BB293_10 Depth=1
	v_and_b32_e32 v0, 0x7f, v30
	v_cmp_ne_u32_e64 s[8:9], s37, v0
	v_mov_b32_e32 v47, 0x7fc02000
	s_and_saveexec_b64 s[34:35], s[8:9]
	s_cbranch_execz .LBB293_188
; %bb.187:                              ;   in Loop: Header=BB293_10 Depth=1
	v_and_b32_e32 v6, 7, v30
	v_ffbh_u32_e32 v2, v6
	v_min_u32_e32 v9, 32, v2
	v_subrev_u32_e32 v2, 28, v9
	v_lshlrev_b64 v[2:3], v2, v[30:31]
	v_lshrrev_b32_e32 v8, 3, v0
	v_sub_u32_e32 v3, 29, v9
	v_cmp_gt_u32_e64 s[8:9], 8, v0
	v_cndmask_b32_e64 v0, v8, v3, s[8:9]
	v_mov_b32_e32 v4, 0x2000
	v_and_b32_e32 v2, 7, v2
	v_lshlrev_b32_e32 v3, 8, v30
	v_lshl_add_u32 v0, v0, 10, v4
	v_cndmask_b32_e64 v2, v6, v2, s[8:9]
	v_and_or_b32 v0, v3, s38, v0
	v_lshl_or_b32 v0, v2, 7, v0
	v_cvt_f32_f16_e32 v47, v0
.LBB293_188:                            ;   in Loop: Header=BB293_10 Depth=1
	s_or_b64 exec, exec, s[34:35]
.LBB293_189:                            ;   in Loop: Header=BB293_10 Depth=1
	s_or_b64 exec, exec, s[30:31]
.LBB293_190:                            ;   in Loop: Header=BB293_10 Depth=1
	s_or_b64 exec, exec, s[28:29]
	flat_load_ushort v2, v[28:29] offset:1800
	v_mov_b32_e32 v3, 0
	v_mov_b32_e32 v0, 0
	s_waitcnt vmcnt(0) lgkmcnt(0)
	v_and_b32_e32 v30, 0xffff, v2
	v_cmp_ne_u16_sdwa s[8:9], v2, v3 src0_sel:BYTE_0 src1_sel:DWORD
	v_mov_b32_e32 v3, 0
	s_and_saveexec_b64 s[28:29], s[8:9]
	s_cbranch_execz .LBB293_196
; %bb.191:                              ;   in Loop: Header=BB293_10 Depth=1
	v_cmp_ne_u16_sdwa s[8:9], v30, s19 src0_sel:BYTE_0 src1_sel:DWORD
	v_bfrev_b32_e32 v3, 1
	s_and_saveexec_b64 s[30:31], s[8:9]
	s_cbranch_execz .LBB293_195
; %bb.192:                              ;   in Loop: Header=BB293_10 Depth=1
	v_and_b32_e32 v2, 0x7f, v30
	v_cmp_ne_u32_e64 s[8:9], s37, v2
	v_mov_b32_e32 v3, 0x7fc02000
	s_and_saveexec_b64 s[34:35], s[8:9]
	s_cbranch_execz .LBB293_194
; %bb.193:                              ;   in Loop: Header=BB293_10 Depth=1
	v_and_b32_e32 v3, 7, v30
	v_ffbh_u32_e32 v8, v3
	v_min_u32_e32 v12, 32, v8
	v_subrev_u32_e32 v8, 28, v12
	v_lshlrev_b64 v[8:9], v8, v[30:31]
	v_lshrrev_b32_e32 v6, 3, v2
	v_sub_u32_e32 v9, 29, v12
	v_cmp_gt_u32_e64 s[8:9], 8, v2
	v_cndmask_b32_e64 v2, v6, v9, s[8:9]
	v_mov_b32_e32 v4, 0x2000
	v_and_b32_e32 v8, 7, v8
	v_lshlrev_b32_e32 v6, 8, v30
	v_lshl_add_u32 v2, v2, 10, v4
	v_cndmask_b32_e64 v3, v3, v8, s[8:9]
	v_and_or_b32 v2, v6, s38, v2
	v_lshl_or_b32 v2, v3, 7, v2
	v_cvt_f32_f16_e32 v3, v2
.LBB293_194:                            ;   in Loop: Header=BB293_10 Depth=1
	s_or_b64 exec, exec, s[34:35]
.LBB293_195:                            ;   in Loop: Header=BB293_10 Depth=1
	s_or_b64 exec, exec, s[30:31]
.LBB293_196:                            ;   in Loop: Header=BB293_10 Depth=1
	s_or_b64 exec, exec, s[28:29]
	v_lshrrev_b16_e32 v30, 8, v30
	v_cmp_ne_u16_e64 s[8:9], 0, v30
	s_and_saveexec_b64 s[28:29], s[8:9]
	s_cbranch_execz .LBB293_202
; %bb.197:                              ;   in Loop: Header=BB293_10 Depth=1
	v_cmp_ne_u16_e64 s[8:9], s19, v30
	v_bfrev_b32_e32 v0, 1
	s_and_saveexec_b64 s[30:31], s[8:9]
	s_cbranch_execz .LBB293_201
; %bb.198:                              ;   in Loop: Header=BB293_10 Depth=1
	v_and_b32_e32 v2, 0x7f, v30
	v_cmp_ne_u32_e64 s[8:9], s37, v2
	v_mov_b32_e32 v0, 0x7fc02000
	s_and_saveexec_b64 s[34:35], s[8:9]
	s_cbranch_execz .LBB293_200
; %bb.199:                              ;   in Loop: Header=BB293_10 Depth=1
	v_and_b32_e32 v0, 7, v30
	v_ffbh_u32_e32 v8, v0
	v_min_u32_e32 v12, 32, v8
	v_subrev_u32_e32 v8, 28, v12
	v_lshlrev_b64 v[8:9], v8, v[30:31]
	v_lshrrev_b32_e32 v6, 3, v2
	v_sub_u32_e32 v9, 29, v12
	v_cmp_gt_u32_e64 s[8:9], 8, v2
	v_cndmask_b32_e64 v2, v6, v9, s[8:9]
	v_mov_b32_e32 v4, 0x2000
	v_and_b32_e32 v8, 7, v8
	v_lshlrev_b32_e32 v6, 8, v30
	v_lshl_add_u32 v2, v2, 10, v4
	v_cndmask_b32_e64 v0, v0, v8, s[8:9]
	v_and_or_b32 v2, v6, s38, v2
	v_lshl_or_b32 v0, v0, 7, v2
	v_cvt_f32_f16_e32 v0, v0
.LBB293_200:                            ;   in Loop: Header=BB293_10 Depth=1
	s_or_b64 exec, exec, s[34:35]
.LBB293_201:                            ;   in Loop: Header=BB293_10 Depth=1
	s_or_b64 exec, exec, s[30:31]
.LBB293_202:                            ;   in Loop: Header=BB293_10 Depth=1
	s_or_b64 exec, exec, s[28:29]
	flat_load_ushort v6, v[28:29] offset:2048
	v_mov_b32_e32 v4, 0
	v_mov_b32_e32 v2, 0
	;; [unrolled: 1-line block ×3, first 2 shown]
	s_waitcnt vmcnt(0) lgkmcnt(0)
	v_and_b32_e32 v30, 0xffff, v6
	v_cmp_ne_u16_sdwa s[8:9], v6, v4 src0_sel:BYTE_0 src1_sel:DWORD
	s_and_saveexec_b64 s[28:29], s[8:9]
	s_cbranch_execz .LBB293_208
; %bb.203:                              ;   in Loop: Header=BB293_10 Depth=1
	v_cmp_ne_u16_sdwa s[8:9], v30, s19 src0_sel:BYTE_0 src1_sel:DWORD
	v_bfrev_b32_e32 v15, 1
	s_and_saveexec_b64 s[30:31], s[8:9]
	s_cbranch_execz .LBB293_207
; %bb.204:                              ;   in Loop: Header=BB293_10 Depth=1
	v_and_b32_e32 v6, 0x7f, v30
	v_cmp_ne_u32_e64 s[8:9], s37, v6
	v_mov_b32_e32 v15, 0x7fc02000
	s_and_saveexec_b64 s[34:35], s[8:9]
	s_cbranch_execz .LBB293_206
; %bb.205:                              ;   in Loop: Header=BB293_10 Depth=1
	v_and_b32_e32 v12, 7, v30
	v_ffbh_u32_e32 v8, v12
	v_min_u32_e32 v14, 32, v8
	v_subrev_u32_e32 v8, 28, v14
	v_lshlrev_b64 v[8:9], v8, v[30:31]
	v_lshrrev_b32_e32 v13, 3, v6
	v_sub_u32_e32 v9, 29, v14
	v_cmp_gt_u32_e64 s[8:9], 8, v6
	v_cndmask_b32_e64 v6, v13, v9, s[8:9]
	v_mov_b32_e32 v4, 0x2000
	v_and_b32_e32 v8, 7, v8
	v_lshlrev_b32_e32 v9, 8, v30
	v_lshl_add_u32 v6, v6, 10, v4
	v_cndmask_b32_e64 v8, v12, v8, s[8:9]
	v_and_or_b32 v6, v9, s38, v6
	v_lshl_or_b32 v6, v8, 7, v6
	v_cvt_f32_f16_e32 v15, v6
.LBB293_206:                            ;   in Loop: Header=BB293_10 Depth=1
	s_or_b64 exec, exec, s[34:35]
.LBB293_207:                            ;   in Loop: Header=BB293_10 Depth=1
	s_or_b64 exec, exec, s[30:31]
.LBB293_208:                            ;   in Loop: Header=BB293_10 Depth=1
	s_or_b64 exec, exec, s[28:29]
	v_lshrrev_b16_e32 v30, 8, v30
	v_cmp_ne_u16_e64 s[8:9], 0, v30
	s_and_saveexec_b64 s[28:29], s[8:9]
	s_cbranch_execz .LBB293_214
; %bb.209:                              ;   in Loop: Header=BB293_10 Depth=1
	v_cmp_ne_u16_e64 s[8:9], s19, v30
	v_bfrev_b32_e32 v2, 1
	s_and_saveexec_b64 s[30:31], s[8:9]
	s_cbranch_execz .LBB293_213
; %bb.210:                              ;   in Loop: Header=BB293_10 Depth=1
	v_and_b32_e32 v6, 0x7f, v30
	v_cmp_ne_u32_e64 s[8:9], s37, v6
	v_mov_b32_e32 v2, 0x7fc02000
	s_and_saveexec_b64 s[34:35], s[8:9]
	s_cbranch_execz .LBB293_212
; %bb.211:                              ;   in Loop: Header=BB293_10 Depth=1
	v_and_b32_e32 v2, 7, v30
	v_ffbh_u32_e32 v8, v2
	v_min_u32_e32 v13, 32, v8
	v_subrev_u32_e32 v8, 28, v13
	v_lshlrev_b64 v[8:9], v8, v[30:31]
	v_lshrrev_b32_e32 v12, 3, v6
	v_sub_u32_e32 v9, 29, v13
	v_cmp_gt_u32_e64 s[8:9], 8, v6
	v_and_b32_e32 v8, 7, v8
	v_cndmask_b32_e64 v6, v12, v9, s[8:9]
	v_mov_b32_e32 v4, 0x2000
	v_cndmask_b32_e64 v2, v2, v8, s[8:9]
	v_lshlrev_b32_e32 v8, 8, v30
	v_lshl_add_u32 v6, v6, 10, v4
	v_and_or_b32 v6, v8, s38, v6
	v_lshl_or_b32 v2, v2, 7, v6
	v_cvt_f32_f16_e32 v2, v2
.LBB293_212:                            ;   in Loop: Header=BB293_10 Depth=1
	s_or_b64 exec, exec, s[34:35]
.LBB293_213:                            ;   in Loop: Header=BB293_10 Depth=1
	s_or_b64 exec, exec, s[30:31]
.LBB293_214:                            ;   in Loop: Header=BB293_10 Depth=1
	s_or_b64 exec, exec, s[28:29]
	flat_load_ushort v6, v[28:29] offset:2056
	v_mov_b32_e32 v4, 0
	v_mov_b32_e32 v14, 0
	v_mov_b32_e32 v32, 0
	s_waitcnt vmcnt(0) lgkmcnt(0)
	v_and_b32_e32 v30, 0xffff, v6
	v_cmp_ne_u16_sdwa s[8:9], v6, v4 src0_sel:BYTE_0 src1_sel:DWORD
	s_and_saveexec_b64 s[28:29], s[8:9]
	s_cbranch_execz .LBB293_220
; %bb.215:                              ;   in Loop: Header=BB293_10 Depth=1
	v_cmp_ne_u16_sdwa s[8:9], v30, s19 src0_sel:BYTE_0 src1_sel:DWORD
	v_bfrev_b32_e32 v32, 1
	s_and_saveexec_b64 s[30:31], s[8:9]
	s_cbranch_execz .LBB293_219
; %bb.216:                              ;   in Loop: Header=BB293_10 Depth=1
	v_and_b32_e32 v6, 0x7f, v30
	v_cmp_ne_u32_e64 s[8:9], s37, v6
	v_mov_b32_e32 v32, 0x7fc02000
	s_and_saveexec_b64 s[34:35], s[8:9]
	s_cbranch_execz .LBB293_218
; %bb.217:                              ;   in Loop: Header=BB293_10 Depth=1
	v_and_b32_e32 v12, 7, v30
	v_ffbh_u32_e32 v8, v12
	v_min_u32_e32 v22, 32, v8
	v_subrev_u32_e32 v8, 28, v22
	v_lshlrev_b64 v[8:9], v8, v[30:31]
	v_lshrrev_b32_e32 v13, 3, v6
	v_sub_u32_e32 v9, 29, v22
	v_cmp_gt_u32_e64 s[8:9], 8, v6
	v_cndmask_b32_e64 v6, v13, v9, s[8:9]
	v_mov_b32_e32 v4, 0x2000
	v_and_b32_e32 v8, 7, v8
	v_lshlrev_b32_e32 v9, 8, v30
	v_lshl_add_u32 v6, v6, 10, v4
	v_cndmask_b32_e64 v8, v12, v8, s[8:9]
	v_and_or_b32 v6, v9, s38, v6
	v_lshl_or_b32 v6, v8, 7, v6
	v_cvt_f32_f16_e32 v32, v6
.LBB293_218:                            ;   in Loop: Header=BB293_10 Depth=1
	s_or_b64 exec, exec, s[34:35]
.LBB293_219:                            ;   in Loop: Header=BB293_10 Depth=1
	s_or_b64 exec, exec, s[30:31]
.LBB293_220:                            ;   in Loop: Header=BB293_10 Depth=1
	s_or_b64 exec, exec, s[28:29]
	v_lshrrev_b16_e32 v30, 8, v30
	v_cmp_ne_u16_e64 s[8:9], 0, v30
	s_and_saveexec_b64 s[28:29], s[8:9]
	s_cbranch_execz .LBB293_226
; %bb.221:                              ;   in Loop: Header=BB293_10 Depth=1
	v_cmp_ne_u16_e64 s[8:9], s19, v30
	v_bfrev_b32_e32 v14, 1
	s_and_saveexec_b64 s[30:31], s[8:9]
	s_cbranch_execz .LBB293_225
; %bb.222:                              ;   in Loop: Header=BB293_10 Depth=1
	v_and_b32_e32 v6, 0x7f, v30
	v_cmp_ne_u32_e64 s[8:9], s37, v6
	v_mov_b32_e32 v14, 0x7fc02000
	s_and_saveexec_b64 s[34:35], s[8:9]
	s_cbranch_execz .LBB293_224
; %bb.223:                              ;   in Loop: Header=BB293_10 Depth=1
	v_and_b32_e32 v12, 7, v30
	v_ffbh_u32_e32 v8, v12
	v_min_u32_e32 v14, 32, v8
	v_subrev_u32_e32 v8, 28, v14
	v_lshlrev_b64 v[8:9], v8, v[30:31]
	v_lshrrev_b32_e32 v13, 3, v6
	v_sub_u32_e32 v9, 29, v14
	v_cmp_gt_u32_e64 s[8:9], 8, v6
	v_cndmask_b32_e64 v6, v13, v9, s[8:9]
	v_mov_b32_e32 v4, 0x2000
	v_and_b32_e32 v8, 7, v8
	v_lshlrev_b32_e32 v9, 8, v30
	v_lshl_add_u32 v6, v6, 10, v4
	v_cndmask_b32_e64 v8, v12, v8, s[8:9]
	v_and_or_b32 v6, v9, s38, v6
	v_lshl_or_b32 v6, v8, 7, v6
	v_cvt_f32_f16_e32 v14, v6
.LBB293_224:                            ;   in Loop: Header=BB293_10 Depth=1
	s_or_b64 exec, exec, s[34:35]
.LBB293_225:                            ;   in Loop: Header=BB293_10 Depth=1
	s_or_b64 exec, exec, s[30:31]
.LBB293_226:                            ;   in Loop: Header=BB293_10 Depth=1
	s_or_b64 exec, exec, s[28:29]
	flat_load_ushort v6, v[28:29] offset:2304
	v_mov_b32_e32 v4, 0
	v_mov_b32_e32 v12, 0
	;; [unrolled: 1-line block ×3, first 2 shown]
	s_waitcnt vmcnt(0) lgkmcnt(0)
	v_and_b32_e32 v30, 0xffff, v6
	v_cmp_ne_u16_sdwa s[8:9], v6, v4 src0_sel:BYTE_0 src1_sel:DWORD
	s_and_saveexec_b64 s[28:29], s[8:9]
	s_cbranch_execz .LBB293_232
; %bb.227:                              ;   in Loop: Header=BB293_10 Depth=1
	v_cmp_ne_u16_sdwa s[8:9], v30, s19 src0_sel:BYTE_0 src1_sel:DWORD
	v_bfrev_b32_e32 v37, 1
	s_and_saveexec_b64 s[30:31], s[8:9]
	s_cbranch_execz .LBB293_231
; %bb.228:                              ;   in Loop: Header=BB293_10 Depth=1
	v_and_b32_e32 v6, 0x7f, v30
	v_cmp_ne_u32_e64 s[8:9], s37, v6
	v_mov_b32_e32 v37, 0x7fc02000
	s_and_saveexec_b64 s[34:35], s[8:9]
	s_cbranch_execz .LBB293_230
; %bb.229:                              ;   in Loop: Header=BB293_10 Depth=1
	v_and_b32_e32 v13, 7, v30
	v_ffbh_u32_e32 v8, v13
	v_min_u32_e32 v24, 32, v8
	v_subrev_u32_e32 v8, 28, v24
	v_lshlrev_b64 v[8:9], v8, v[30:31]
	v_lshrrev_b32_e32 v22, 3, v6
	v_sub_u32_e32 v9, 29, v24
	v_cmp_gt_u32_e64 s[8:9], 8, v6
	v_cndmask_b32_e64 v6, v22, v9, s[8:9]
	v_mov_b32_e32 v4, 0x2000
	v_and_b32_e32 v8, 7, v8
	v_lshlrev_b32_e32 v9, 8, v30
	v_lshl_add_u32 v6, v6, 10, v4
	v_cndmask_b32_e64 v8, v13, v8, s[8:9]
	v_and_or_b32 v6, v9, s38, v6
	v_lshl_or_b32 v6, v8, 7, v6
	v_cvt_f32_f16_e32 v37, v6
.LBB293_230:                            ;   in Loop: Header=BB293_10 Depth=1
	s_or_b64 exec, exec, s[34:35]
.LBB293_231:                            ;   in Loop: Header=BB293_10 Depth=1
	s_or_b64 exec, exec, s[30:31]
.LBB293_232:                            ;   in Loop: Header=BB293_10 Depth=1
	s_or_b64 exec, exec, s[28:29]
	v_lshrrev_b16_e32 v30, 8, v30
	v_cmp_ne_u16_e64 s[8:9], 0, v30
	s_and_saveexec_b64 s[28:29], s[8:9]
	s_cbranch_execz .LBB293_238
; %bb.233:                              ;   in Loop: Header=BB293_10 Depth=1
	v_cmp_ne_u16_e64 s[8:9], s19, v30
	v_bfrev_b32_e32 v12, 1
	s_and_saveexec_b64 s[30:31], s[8:9]
	s_cbranch_execz .LBB293_237
; %bb.234:                              ;   in Loop: Header=BB293_10 Depth=1
	v_and_b32_e32 v6, 0x7f, v30
	v_cmp_ne_u32_e64 s[8:9], s37, v6
	v_mov_b32_e32 v12, 0x7fc02000
	s_and_saveexec_b64 s[34:35], s[8:9]
	s_cbranch_execz .LBB293_236
; %bb.235:                              ;   in Loop: Header=BB293_10 Depth=1
	v_and_b32_e32 v12, 7, v30
	v_ffbh_u32_e32 v8, v12
	v_min_u32_e32 v22, 32, v8
	v_subrev_u32_e32 v8, 28, v22
	v_lshlrev_b64 v[8:9], v8, v[30:31]
	v_lshrrev_b32_e32 v13, 3, v6
	v_sub_u32_e32 v9, 29, v22
	v_cmp_gt_u32_e64 s[8:9], 8, v6
	v_cndmask_b32_e64 v6, v13, v9, s[8:9]
	v_mov_b32_e32 v4, 0x2000
	v_and_b32_e32 v8, 7, v8
	v_lshlrev_b32_e32 v9, 8, v30
	v_lshl_add_u32 v6, v6, 10, v4
	v_cndmask_b32_e64 v8, v12, v8, s[8:9]
	v_and_or_b32 v6, v9, s38, v6
	v_lshl_or_b32 v6, v8, 7, v6
	v_cvt_f32_f16_e32 v12, v6
.LBB293_236:                            ;   in Loop: Header=BB293_10 Depth=1
	s_or_b64 exec, exec, s[34:35]
.LBB293_237:                            ;   in Loop: Header=BB293_10 Depth=1
	s_or_b64 exec, exec, s[30:31]
.LBB293_238:                            ;   in Loop: Header=BB293_10 Depth=1
	s_or_b64 exec, exec, s[28:29]
	flat_load_ushort v6, v[28:29] offset:2312
	v_mov_b32_e32 v4, 0
	v_mov_b32_e32 v13, 0
	;; [unrolled: 1-line block ×3, first 2 shown]
	s_waitcnt vmcnt(0) lgkmcnt(0)
	v_and_b32_e32 v30, 0xffff, v6
	v_cmp_ne_u16_sdwa s[8:9], v6, v4 src0_sel:BYTE_0 src1_sel:DWORD
	s_and_saveexec_b64 s[28:29], s[8:9]
	s_cbranch_execz .LBB293_244
; %bb.239:                              ;   in Loop: Header=BB293_10 Depth=1
	v_cmp_ne_u16_sdwa s[8:9], v30, s19 src0_sel:BYTE_0 src1_sel:DWORD
	v_bfrev_b32_e32 v8, 1
	s_and_saveexec_b64 s[30:31], s[8:9]
	s_cbranch_execz .LBB293_243
; %bb.240:                              ;   in Loop: Header=BB293_10 Depth=1
	v_and_b32_e32 v6, 0x7f, v30
	v_cmp_ne_u32_e64 s[8:9], s37, v6
	v_mov_b32_e32 v8, 0x7fc02000
	s_and_saveexec_b64 s[34:35], s[8:9]
	s_cbranch_execz .LBB293_242
; %bb.241:                              ;   in Loop: Header=BB293_10 Depth=1
	v_and_b32_e32 v22, 7, v30
	v_ffbh_u32_e32 v8, v22
	v_min_u32_e32 v25, 32, v8
	v_subrev_u32_e32 v8, 28, v25
	v_lshlrev_b64 v[8:9], v8, v[30:31]
	v_lshrrev_b32_e32 v24, 3, v6
	v_sub_u32_e32 v9, 29, v25
	v_cmp_gt_u32_e64 s[8:9], 8, v6
	v_cndmask_b32_e64 v6, v24, v9, s[8:9]
	v_mov_b32_e32 v4, 0x2000
	v_and_b32_e32 v8, 7, v8
	v_lshlrev_b32_e32 v9, 8, v30
	v_lshl_add_u32 v6, v6, 10, v4
	v_cndmask_b32_e64 v8, v22, v8, s[8:9]
	v_and_or_b32 v6, v9, s38, v6
	v_lshl_or_b32 v6, v8, 7, v6
	v_cvt_f32_f16_e32 v8, v6
.LBB293_242:                            ;   in Loop: Header=BB293_10 Depth=1
	s_or_b64 exec, exec, s[34:35]
.LBB293_243:                            ;   in Loop: Header=BB293_10 Depth=1
	s_or_b64 exec, exec, s[30:31]
.LBB293_244:                            ;   in Loop: Header=BB293_10 Depth=1
	s_or_b64 exec, exec, s[28:29]
	v_lshrrev_b16_e32 v30, 8, v30
	v_cmp_ne_u16_e64 s[8:9], 0, v30
	s_and_saveexec_b64 s[28:29], s[8:9]
	s_cbranch_execz .LBB293_250
; %bb.245:                              ;   in Loop: Header=BB293_10 Depth=1
	v_cmp_ne_u16_e64 s[8:9], s19, v30
	v_bfrev_b32_e32 v13, 1
	s_and_saveexec_b64 s[30:31], s[8:9]
	s_cbranch_execz .LBB293_249
; %bb.246:                              ;   in Loop: Header=BB293_10 Depth=1
	v_and_b32_e32 v6, 0x7f, v30
	v_cmp_ne_u32_e64 s[8:9], s37, v6
	v_mov_b32_e32 v13, 0x7fc02000
	s_and_saveexec_b64 s[34:35], s[8:9]
	s_cbranch_execz .LBB293_248
; %bb.247:                              ;   in Loop: Header=BB293_10 Depth=1
	v_and_b32_e32 v9, 7, v30
	v_ffbh_u32_e32 v22, v9
	v_min_u32_e32 v22, 32, v22
	v_lshrrev_b32_e32 v13, 3, v6
	v_subrev_u32_e32 v24, 28, v22
	v_sub_u32_e32 v22, 29, v22
	v_cmp_gt_u32_e64 s[8:9], 8, v6
	v_lshlrev_b64 v[24:25], v24, v[30:31]
	v_cndmask_b32_e64 v6, v13, v22, s[8:9]
	v_mov_b32_e32 v4, 0x2000
	v_and_b32_e32 v24, 7, v24
	v_lshlrev_b32_e32 v13, 8, v30
	v_lshl_add_u32 v6, v6, 10, v4
	v_cndmask_b32_e64 v9, v9, v24, s[8:9]
	v_and_or_b32 v6, v13, s38, v6
	v_lshl_or_b32 v6, v9, 7, v6
	v_cvt_f32_f16_e32 v13, v6
.LBB293_248:                            ;   in Loop: Header=BB293_10 Depth=1
	s_or_b64 exec, exec, s[34:35]
.LBB293_249:                            ;   in Loop: Header=BB293_10 Depth=1
	s_or_b64 exec, exec, s[30:31]
.LBB293_250:                            ;   in Loop: Header=BB293_10 Depth=1
	s_or_b64 exec, exec, s[28:29]
	flat_load_ushort v6, v[28:29] offset:2560
	v_mov_b32_e32 v4, 0
	v_mov_b32_e32 v9, 0
	;; [unrolled: 1-line block ×3, first 2 shown]
	s_waitcnt vmcnt(0) lgkmcnt(0)
	v_and_b32_e32 v30, 0xffff, v6
	v_cmp_ne_u16_sdwa s[8:9], v6, v4 src0_sel:BYTE_0 src1_sel:DWORD
	s_and_saveexec_b64 s[28:29], s[8:9]
	s_cbranch_execz .LBB293_256
; %bb.251:                              ;   in Loop: Header=BB293_10 Depth=1
	v_cmp_ne_u16_sdwa s[8:9], v30, s19 src0_sel:BYTE_0 src1_sel:DWORD
	v_bfrev_b32_e32 v33, 1
	s_and_saveexec_b64 s[30:31], s[8:9]
	s_cbranch_execz .LBB293_255
; %bb.252:                              ;   in Loop: Header=BB293_10 Depth=1
	v_and_b32_e32 v6, 0x7f, v30
	v_cmp_ne_u32_e64 s[8:9], s37, v6
	v_mov_b32_e32 v33, 0x7fc02000
	s_and_saveexec_b64 s[34:35], s[8:9]
	s_cbranch_execz .LBB293_254
; %bb.253:                              ;   in Loop: Header=BB293_10 Depth=1
	v_and_b32_e32 v22, 7, v30
	v_ffbh_u32_e32 v24, v22
	v_min_u32_e32 v27, 32, v24
	v_subrev_u32_e32 v24, 28, v27
	v_lshlrev_b64 v[24:25], v24, v[30:31]
	v_lshrrev_b32_e32 v26, 3, v6
	v_sub_u32_e32 v25, 29, v27
	v_cmp_gt_u32_e64 s[8:9], 8, v6
	v_and_b32_e32 v24, 7, v24
	v_cndmask_b32_e64 v6, v26, v25, s[8:9]
	v_mov_b32_e32 v4, 0x2000
	v_cndmask_b32_e64 v22, v22, v24, s[8:9]
	v_lshlrev_b32_e32 v24, 8, v30
	v_lshl_add_u32 v6, v6, 10, v4
	v_and_or_b32 v6, v24, s38, v6
	v_lshl_or_b32 v6, v22, 7, v6
	v_cvt_f32_f16_e32 v33, v6
.LBB293_254:                            ;   in Loop: Header=BB293_10 Depth=1
	s_or_b64 exec, exec, s[34:35]
.LBB293_255:                            ;   in Loop: Header=BB293_10 Depth=1
	s_or_b64 exec, exec, s[30:31]
.LBB293_256:                            ;   in Loop: Header=BB293_10 Depth=1
	s_or_b64 exec, exec, s[28:29]
	v_lshrrev_b16_e32 v30, 8, v30
	v_cmp_ne_u16_e64 s[8:9], 0, v30
	s_and_saveexec_b64 s[28:29], s[8:9]
	s_cbranch_execz .LBB293_262
; %bb.257:                              ;   in Loop: Header=BB293_10 Depth=1
	v_cmp_ne_u16_e64 s[8:9], s19, v30
	v_bfrev_b32_e32 v9, 1
	s_and_saveexec_b64 s[30:31], s[8:9]
	s_cbranch_execz .LBB293_261
; %bb.258:                              ;   in Loop: Header=BB293_10 Depth=1
	v_and_b32_e32 v6, 0x7f, v30
	v_cmp_ne_u32_e64 s[8:9], s37, v6
	v_mov_b32_e32 v9, 0x7fc02000
	s_and_saveexec_b64 s[34:35], s[8:9]
	s_cbranch_execz .LBB293_260
; %bb.259:                              ;   in Loop: Header=BB293_10 Depth=1
	v_and_b32_e32 v9, 7, v30
	v_ffbh_u32_e32 v24, v9
	v_min_u32_e32 v26, 32, v24
	v_subrev_u32_e32 v24, 28, v26
	v_lshlrev_b64 v[24:25], v24, v[30:31]
	v_lshrrev_b32_e32 v22, 3, v6
	v_sub_u32_e32 v25, 29, v26
	v_cmp_gt_u32_e64 s[8:9], 8, v6
	v_cndmask_b32_e64 v6, v22, v25, s[8:9]
	v_mov_b32_e32 v4, 0x2000
	v_and_b32_e32 v24, 7, v24
	v_lshlrev_b32_e32 v22, 8, v30
	v_lshl_add_u32 v6, v6, 10, v4
	v_cndmask_b32_e64 v9, v9, v24, s[8:9]
	v_and_or_b32 v6, v22, s38, v6
	v_lshl_or_b32 v6, v9, 7, v6
	v_cvt_f32_f16_e32 v9, v6
.LBB293_260:                            ;   in Loop: Header=BB293_10 Depth=1
	s_or_b64 exec, exec, s[34:35]
.LBB293_261:                            ;   in Loop: Header=BB293_10 Depth=1
	s_or_b64 exec, exec, s[30:31]
.LBB293_262:                            ;   in Loop: Header=BB293_10 Depth=1
	s_or_b64 exec, exec, s[28:29]
	flat_load_ushort v6, v[28:29] offset:2568
	v_mov_b32_e32 v4, 0
	v_mov_b32_e32 v22, 0
	;; [unrolled: 1-line block ×3, first 2 shown]
	s_waitcnt vmcnt(0) lgkmcnt(0)
	v_and_b32_e32 v30, 0xffff, v6
	v_cmp_ne_u16_sdwa s[8:9], v6, v4 src0_sel:BYTE_0 src1_sel:DWORD
	s_and_saveexec_b64 s[28:29], s[8:9]
	s_cbranch_execz .LBB293_268
; %bb.263:                              ;   in Loop: Header=BB293_10 Depth=1
	v_cmp_ne_u16_sdwa s[8:9], v30, s19 src0_sel:BYTE_0 src1_sel:DWORD
	v_bfrev_b32_e32 v25, 1
	s_and_saveexec_b64 s[30:31], s[8:9]
	s_cbranch_execz .LBB293_267
; %bb.264:                              ;   in Loop: Header=BB293_10 Depth=1
	v_and_b32_e32 v6, 0x7f, v30
	v_cmp_ne_u32_e64 s[8:9], s37, v6
	v_mov_b32_e32 v25, 0x7fc02000
	s_and_saveexec_b64 s[34:35], s[8:9]
	s_cbranch_execz .LBB293_266
; %bb.265:                              ;   in Loop: Header=BB293_10 Depth=1
	v_and_b32_e32 v26, 7, v30
	v_lshrrev_b32_e32 v27, 3, v6
	v_cmp_gt_u32_e64 s[8:9], 8, v6
	v_ffbh_u32_e32 v6, v26
	v_min_u32_e32 v6, 32, v6
	v_subrev_u32_e32 v24, 28, v6
	v_sub_u32_e32 v6, 29, v6
	v_lshlrev_b64 v[24:25], v24, v[30:31]
	v_cndmask_b32_e64 v6, v27, v6, s[8:9]
	v_mov_b32_e32 v4, 0x2000
	v_and_b32_e32 v24, 7, v24
	v_lshlrev_b32_e32 v25, 8, v30
	v_lshl_add_u32 v6, v6, 10, v4
	v_cndmask_b32_e64 v24, v26, v24, s[8:9]
	v_and_or_b32 v6, v25, s38, v6
	v_lshl_or_b32 v6, v24, 7, v6
	v_cvt_f32_f16_e32 v25, v6
.LBB293_266:                            ;   in Loop: Header=BB293_10 Depth=1
	s_or_b64 exec, exec, s[34:35]
.LBB293_267:                            ;   in Loop: Header=BB293_10 Depth=1
	s_or_b64 exec, exec, s[30:31]
.LBB293_268:                            ;   in Loop: Header=BB293_10 Depth=1
	s_or_b64 exec, exec, s[28:29]
	v_lshrrev_b16_e32 v30, 8, v30
	v_cmp_ne_u16_e64 s[8:9], 0, v30
	s_and_saveexec_b64 s[28:29], s[8:9]
	s_cbranch_execz .LBB293_274
; %bb.269:                              ;   in Loop: Header=BB293_10 Depth=1
	v_cmp_ne_u16_e64 s[8:9], s19, v30
	v_bfrev_b32_e32 v22, 1
	s_and_saveexec_b64 s[30:31], s[8:9]
	s_cbranch_execz .LBB293_273
; %bb.270:                              ;   in Loop: Header=BB293_10 Depth=1
	v_and_b32_e32 v6, 0x7f, v30
	v_cmp_ne_u32_e64 s[8:9], s37, v6
	v_mov_b32_e32 v22, 0x7fc02000
	s_and_saveexec_b64 s[34:35], s[8:9]
	s_cbranch_execz .LBB293_272
; %bb.271:                              ;   in Loop: Header=BB293_10 Depth=1
	v_and_b32_e32 v22, 7, v30
	v_lshrrev_b32_e32 v24, 3, v6
	v_cmp_gt_u32_e64 s[8:9], 8, v6
	v_ffbh_u32_e32 v6, v22
	v_min_u32_e32 v6, 32, v6
	v_subrev_u32_e32 v26, 28, v6
	v_sub_u32_e32 v6, 29, v6
	v_lshlrev_b64 v[26:27], v26, v[30:31]
	v_cndmask_b32_e64 v6, v24, v6, s[8:9]
	v_mov_b32_e32 v4, 0x2000
	v_and_b32_e32 v26, 7, v26
	v_lshlrev_b32_e32 v24, 8, v30
	v_lshl_add_u32 v6, v6, 10, v4
	v_cndmask_b32_e64 v22, v22, v26, s[8:9]
	v_and_or_b32 v6, v24, s38, v6
	v_lshl_or_b32 v6, v22, 7, v6
	v_cvt_f32_f16_e32 v22, v6
.LBB293_272:                            ;   in Loop: Header=BB293_10 Depth=1
	s_or_b64 exec, exec, s[34:35]
.LBB293_273:                            ;   in Loop: Header=BB293_10 Depth=1
	s_or_b64 exec, exec, s[30:31]
.LBB293_274:                            ;   in Loop: Header=BB293_10 Depth=1
	s_or_b64 exec, exec, s[28:29]
	flat_load_ushort v6, v[28:29] offset:2816
	v_mov_b32_e32 v4, 0
	v_mov_b32_e32 v24, 0
	;; [unrolled: 1-line block ×3, first 2 shown]
	s_waitcnt vmcnt(0) lgkmcnt(0)
	v_and_b32_e32 v30, 0xffff, v6
	v_cmp_ne_u16_sdwa s[8:9], v6, v4 src0_sel:BYTE_0 src1_sel:DWORD
	s_and_saveexec_b64 s[28:29], s[8:9]
	s_cbranch_execz .LBB293_280
; %bb.275:                              ;   in Loop: Header=BB293_10 Depth=1
	v_cmp_ne_u16_sdwa s[8:9], v30, s19 src0_sel:BYTE_0 src1_sel:DWORD
	v_bfrev_b32_e32 v52, 1
	s_and_saveexec_b64 s[30:31], s[8:9]
	s_cbranch_execz .LBB293_279
; %bb.276:                              ;   in Loop: Header=BB293_10 Depth=1
	v_and_b32_e32 v6, 0x7f, v30
	v_cmp_ne_u32_e64 s[8:9], s37, v6
	v_mov_b32_e32 v52, 0x7fc02000
	s_and_saveexec_b64 s[34:35], s[8:9]
	s_cbranch_execz .LBB293_278
; %bb.277:                              ;   in Loop: Header=BB293_10 Depth=1
	v_and_b32_e32 v52, 7, v30
	v_ffbh_u32_e32 v26, v52
	v_min_u32_e32 v55, 32, v26
	v_subrev_u32_e32 v26, 28, v55
	v_lshlrev_b64 v[26:27], v26, v[30:31]
	v_lshrrev_b32_e32 v60, 3, v6
	v_sub_u32_e32 v27, 29, v55
	v_cmp_gt_u32_e64 s[8:9], 8, v6
	v_cndmask_b32_e64 v6, v60, v27, s[8:9]
	v_mov_b32_e32 v4, 0x2000
	v_and_b32_e32 v26, 7, v26
	v_lshlrev_b32_e32 v27, 8, v30
	v_lshl_add_u32 v6, v6, 10, v4
	v_cndmask_b32_e64 v26, v52, v26, s[8:9]
	v_and_or_b32 v6, v27, s38, v6
	v_lshl_or_b32 v6, v26, 7, v6
	v_cvt_f32_f16_e32 v52, v6
.LBB293_278:                            ;   in Loop: Header=BB293_10 Depth=1
	s_or_b64 exec, exec, s[34:35]
.LBB293_279:                            ;   in Loop: Header=BB293_10 Depth=1
	s_or_b64 exec, exec, s[30:31]
.LBB293_280:                            ;   in Loop: Header=BB293_10 Depth=1
	s_or_b64 exec, exec, s[28:29]
	v_lshrrev_b16_e32 v30, 8, v30
	v_cmp_ne_u16_e64 s[8:9], 0, v30
	s_and_saveexec_b64 s[28:29], s[8:9]
	s_cbranch_execz .LBB293_286
; %bb.281:                              ;   in Loop: Header=BB293_10 Depth=1
	v_cmp_ne_u16_e64 s[8:9], s19, v30
	v_bfrev_b32_e32 v24, 1
	s_and_saveexec_b64 s[30:31], s[8:9]
	s_cbranch_execz .LBB293_285
; %bb.282:                              ;   in Loop: Header=BB293_10 Depth=1
	v_and_b32_e32 v6, 0x7f, v30
	v_cmp_ne_u32_e64 s[8:9], s37, v6
	v_mov_b32_e32 v24, 0x7fc02000
	s_and_saveexec_b64 s[34:35], s[8:9]
	s_cbranch_execz .LBB293_284
; %bb.283:                              ;   in Loop: Header=BB293_10 Depth=1
	v_and_b32_e32 v24, 7, v30
	v_ffbh_u32_e32 v26, v24
	v_min_u32_e32 v60, 32, v26
	v_subrev_u32_e32 v26, 28, v60
	v_lshlrev_b64 v[26:27], v26, v[30:31]
	v_lshrrev_b32_e32 v55, 3, v6
	v_sub_u32_e32 v27, 29, v60
	v_cmp_gt_u32_e64 s[8:9], 8, v6
	v_and_b32_e32 v26, 7, v26
	v_cndmask_b32_e64 v6, v55, v27, s[8:9]
	v_mov_b32_e32 v4, 0x2000
	v_cndmask_b32_e64 v24, v24, v26, s[8:9]
	v_lshlrev_b32_e32 v26, 8, v30
	v_lshl_add_u32 v6, v6, 10, v4
	v_and_or_b32 v6, v26, s38, v6
	v_lshl_or_b32 v6, v24, 7, v6
	v_cvt_f32_f16_e32 v24, v6
.LBB293_284:                            ;   in Loop: Header=BB293_10 Depth=1
	s_or_b64 exec, exec, s[34:35]
.LBB293_285:                            ;   in Loop: Header=BB293_10 Depth=1
	s_or_b64 exec, exec, s[30:31]
.LBB293_286:                            ;   in Loop: Header=BB293_10 Depth=1
	s_or_b64 exec, exec, s[28:29]
	flat_load_ushort v6, v[28:29] offset:2824
	v_mov_b32_e32 v4, 0
	v_mov_b32_e32 v29, 0
	;; [unrolled: 1-line block ×3, first 2 shown]
	s_waitcnt vmcnt(0) lgkmcnt(0)
	v_and_b32_e32 v28, 0xffff, v6
	v_cmp_ne_u16_sdwa s[8:9], v6, v4 src0_sel:BYTE_0 src1_sel:DWORD
	s_and_saveexec_b64 s[28:29], s[8:9]
	s_cbranch_execz .LBB293_292
; %bb.287:                              ;   in Loop: Header=BB293_10 Depth=1
	v_cmp_ne_u16_sdwa s[8:9], v28, s19 src0_sel:BYTE_0 src1_sel:DWORD
	v_bfrev_b32_e32 v30, 1
	s_and_saveexec_b64 s[30:31], s[8:9]
	s_cbranch_execz .LBB293_291
; %bb.288:                              ;   in Loop: Header=BB293_10 Depth=1
	v_and_b32_e32 v6, 0x7f, v28
	v_cmp_ne_u32_e64 s[8:9], s37, v6
	v_mov_b32_e32 v30, 0x7fc02000
	s_and_saveexec_b64 s[34:35], s[8:9]
	s_cbranch_execz .LBB293_290
; %bb.289:                              ;   in Loop: Header=BB293_10 Depth=1
	v_and_b32_e32 v30, 7, v28
	v_ffbh_u32_e32 v26, v30
	v_min_u32_e32 v60, 32, v26
	v_subrev_u32_e32 v26, 28, v60
	v_lshlrev_b64 v[26:27], v26, v[28:29]
	v_lshrrev_b32_e32 v55, 3, v6
	v_sub_u32_e32 v27, 29, v60
	v_cmp_gt_u32_e64 s[8:9], 8, v6
	v_cndmask_b32_e64 v6, v55, v27, s[8:9]
	v_mov_b32_e32 v4, 0x2000
	v_and_b32_e32 v26, 7, v26
	v_lshlrev_b32_e32 v27, 8, v28
	v_lshl_add_u32 v6, v6, 10, v4
	v_cndmask_b32_e64 v26, v30, v26, s[8:9]
	v_and_or_b32 v6, v27, s38, v6
	v_lshl_or_b32 v6, v26, 7, v6
	v_cvt_f32_f16_e32 v30, v6
.LBB293_290:                            ;   in Loop: Header=BB293_10 Depth=1
	s_or_b64 exec, exec, s[34:35]
.LBB293_291:                            ;   in Loop: Header=BB293_10 Depth=1
	s_or_b64 exec, exec, s[30:31]
.LBB293_292:                            ;   in Loop: Header=BB293_10 Depth=1
	s_or_b64 exec, exec, s[28:29]
	v_lshrrev_b16_e32 v28, 8, v28
	v_accvgpr_write_b32 a41, v47
	v_accvgpr_write_b32 a40, v45
	;; [unrolled: 1-line block ×6, first 2 shown]
	v_cmp_ne_u16_e64 s[8:9], 0, v28
	s_and_saveexec_b64 s[28:29], s[8:9]
	s_cbranch_execz .LBB293_298
; %bb.293:                              ;   in Loop: Header=BB293_10 Depth=1
	v_cmp_ne_u16_e64 s[8:9], s19, v28
	v_bfrev_b32_e32 v29, 1
	s_and_saveexec_b64 s[30:31], s[8:9]
	s_cbranch_execz .LBB293_297
; %bb.294:                              ;   in Loop: Header=BB293_10 Depth=1
	v_and_b32_e32 v6, 0x7f, v28
	v_cmp_ne_u32_e64 s[8:9], s37, v6
	v_mov_b32_e32 v29, 0x7fc02000
	s_and_saveexec_b64 s[34:35], s[8:9]
	s_cbranch_execz .LBB293_296
; %bb.295:                              ;   in Loop: Header=BB293_10 Depth=1
	v_and_b32_e32 v29, 7, v28
	v_ffbh_u32_e32 v26, v29
	v_min_u32_e32 v60, 32, v26
	v_subrev_u32_e32 v26, 28, v60
	v_lshlrev_b64 v[26:27], v26, v[28:29]
	v_lshrrev_b32_e32 v55, 3, v6
	v_sub_u32_e32 v27, 29, v60
	v_cmp_gt_u32_e64 s[8:9], 8, v6
	v_cndmask_b32_e64 v6, v55, v27, s[8:9]
	v_mov_b32_e32 v4, 0x2000
	v_and_b32_e32 v26, 7, v26
	v_lshlrev_b32_e32 v27, 8, v28
	v_lshl_add_u32 v6, v6, 10, v4
	v_cndmask_b32_e64 v26, v29, v26, s[8:9]
	v_and_or_b32 v6, v27, s38, v6
	v_lshl_or_b32 v6, v26, 7, v6
	v_cvt_f32_f16_e32 v29, v6
.LBB293_296:                            ;   in Loop: Header=BB293_10 Depth=1
	s_or_b64 exec, exec, s[34:35]
.LBB293_297:                            ;   in Loop: Header=BB293_10 Depth=1
	s_or_b64 exec, exec, s[30:31]
.LBB293_298:                            ;   in Loop: Header=BB293_10 Depth=1
	s_or_b64 exec, exec, s[28:29]
	ds_read_b32 v6, v48
	v_fma_mixlo_f16 v26, v54, v7, 0
	v_fma_mixlo_f16 v27, v54, v41, 0
	v_and_b32_e32 v26, 0xffff, v26
	v_and_b32_e32 v27, 0xffff, v27
	s_waitcnt lgkmcnt(0)
	v_lshrrev_b32_e32 v28, 16, v6
	v_and_b32_e32 v6, 0xffff, v6
	;;#ASMSTART
	v_cvt_f32_f16 v6, v6;
	;;#ASMEND
	;;#ASMSTART
	v_cvt_f32_f16 v41, v28;
	;;#ASMEND
	;; [unrolled: 3-line block ×4, first 2 shown]
	ds_read_b32 v60, v48 offset:4
	v_fma_mixlo_f16 v55, v54, v52, 0
	v_fma_mixlo_f16 v28, v54, v24, 0
	;; [unrolled: 1-line block ×4, first 2 shown]
	s_waitcnt lgkmcnt(0)
	v_lshrrev_b32_e32 v40, 16, v60
	v_and_b32_e32 v42, 0xffff, v60
	v_and_b32_e32 v24, 0xffff, v24
	;; [unrolled: 1-line block ×3, first 2 shown]
	;;#ASMSTART
	v_cvt_f32_f16 v42, v42;
	;;#ASMEND
	;;#ASMSTART
	v_cvt_f32_f16 v43, v40;
	;;#ASMEND
	;;#ASMSTART
	v_cvt_f32_f16 v24, v24;
	;;#ASMEND
	;;#ASMSTART
	v_cvt_f32_f16 v52, v52;
	;;#ASMEND
	ds_read_b32 v40, v48 offset:8
	v_fma_mixlo_f16 v44, v54, v44, 0
	v_fma_mixlo_f16 v60, v54, v10, 0
	v_fma_mixlo_f16 v61, v54, v61, 0
	v_accvgpr_read_b32 v10, a36
	s_waitcnt lgkmcnt(0)
	v_lshrrev_b32_e32 v45, 16, v40
	v_and_b32_e32 v40, 0xffff, v40
	;;#ASMSTART
	v_cvt_f32_f16 v47, v40;
	;;#ASMEND
	v_and_b32_e32 v40, 0xffff, v44
	;;#ASMSTART
	v_cvt_f32_f16 v58, v45;
	;;#ASMEND
	;;#ASMSTART
	v_cvt_f32_f16 v56, v40;
	;;#ASMEND
	v_and_b32_e32 v40, 0xffff, v60
	;;#ASMSTART
	v_cvt_f32_f16 v59, v40;
	;;#ASMEND
	ds_read_b32 v44, v48 offset:12
	v_fma_mixlo_f16 v40, v54, v33, 0
	v_fma_mixlo_f16 v33, v54, v9, 0
	;; [unrolled: 1-line block ×4, first 2 shown]
	s_waitcnt lgkmcnt(0)
	v_lshrrev_b32_e32 v60, 16, v44
	v_and_b32_e32 v44, 0xffff, v44
	v_and_b32_e32 v9, 0xffff, v9
	;;#ASMSTART
	v_cvt_f32_f16 v7, v44;
	;;#ASMEND
	;;#ASMSTART
	v_cvt_f32_f16 v62, v60;
	;;#ASMEND
	;; [unrolled: 3-line block ×3, first 2 shown]
	v_and_b32_e32 v9, 0xffff, v45
	;;#ASMSTART
	v_cvt_f32_f16 v19, v9;
	;;#ASMEND
	ds_read_b32 v44, v48 offset:16
	v_mul_f32_e32 v9, v42, v24
	v_fma_mixlo_f16 v45, v54, v18, 0
	v_fmac_f32_e32 v9, v6, v26
	v_fma_mixlo_f16 v60, v54, v17, 0
	s_waitcnt lgkmcnt(0)
	v_lshrrev_b32_e32 v6, 16, v44
	v_and_b32_e32 v24, 0xffff, v44
	;;#ASMSTART
	v_cvt_f32_f16 v4, v24;
	;;#ASMEND
	;;#ASMSTART
	v_cvt_f32_f16 v26, v6;
	;;#ASMEND
	v_and_b32_e32 v6, 0xffff, v45
	;;#ASMSTART
	v_cvt_f32_f16 v5, v6;
	;;#ASMEND
	v_and_b32_e32 v6, 0xffff, v60
	;;#ASMSTART
	v_cvt_f32_f16 v60, v6;
	;;#ASMEND
	ds_read_b32 v6, v48 offset:20
	v_fma_mixlo_f16 v24, v54, v8, 0
	v_fma_mixlo_f16 v42, v54, v57, 0
	;; [unrolled: 1-line block ×3, first 2 shown]
	v_mul_f32_e32 v8, v43, v52
	s_waitcnt lgkmcnt(0)
	v_lshrrev_b32_e32 v52, 16, v6
	v_and_b32_e32 v6, 0xffff, v6
	;;#ASMSTART
	v_cvt_f32_f16 v57, v6;
	;;#ASMEND
	v_and_b32_e32 v6, 0xffff, v42
	v_and_b32_e32 v42, 0xffff, v44
	;;#ASMSTART
	v_cvt_f32_f16 v52, v52;
	;;#ASMEND
	;;#ASMSTART
	v_cvt_f32_f16 v6, v6;
	;;#ASMEND
	;;#ASMSTART
	v_cvt_f32_f16 v45, v42;
	;;#ASMEND
	ds_read_b32 v42, v48 offset:24
	v_fma_mixlo_f16 v43, v54, v46, 0
	v_fmac_f32_e32 v8, v41, v27
	v_fma_mixlo_f16 v46, v54, v31, 0
	v_fma_mixlo_f16 v23, v54, v35, 0
	s_waitcnt lgkmcnt(0)
	v_lshrrev_b32_e32 v27, 16, v42
	v_and_b32_e32 v41, 0xffff, v42
	;;#ASMSTART
	v_cvt_f32_f16 v41, v41;
	;;#ASMEND
	;;#ASMSTART
	v_cvt_f32_f16 v42, v27;
	;;#ASMEND
	v_and_b32_e32 v27, 0xffff, v43
	;;#ASMSTART
	v_cvt_f32_f16 v44, v27;
	;;#ASMEND
	v_and_b32_e32 v27, 0xffff, v46
	;;#ASMSTART
	v_cvt_f32_f16 v46, v27;
	;;#ASMEND
	ds_read_b32 v43, v48 offset:28
	v_fma_mixlo_f16 v27, v54, v37, 0
	v_fmac_f32_e32 v9, v47, v56
	v_and_b32_e32 v23, 0xffff, v23
	v_fma_mixlo_f16 v18, v54, v38, 0
	s_waitcnt lgkmcnt(0)
	v_lshrrev_b32_e32 v47, 16, v43
	v_and_b32_e32 v37, 0xffff, v43
	;;#ASMSTART
	v_cvt_f32_f16 v37, v37;
	;;#ASMEND
	;;#ASMSTART
	v_cvt_f32_f16 v43, v47;
	;;#ASMEND
	v_and_b32_e32 v47, 0xffff, v61
	;;#ASMSTART
	v_cvt_f32_f16 v47, v47;
	;;#ASMEND
	;;#ASMSTART
	v_cvt_f32_f16 v56, v23;
	;;#ASMEND
	ds_read_b32 v23, v48 offset:32
	v_fma_mixlo_f16 v61, v54, v36, 0
	v_fmac_f32_e32 v8, v58, v59
	v_and_b32_e32 v18, 0xffff, v18
	v_fma_mixlo_f16 v38, v54, v39, 0
	s_waitcnt lgkmcnt(0)
	v_lshrrev_b32_e32 v58, 16, v23
	v_and_b32_e32 v23, 0xffff, v23
	;;#ASMSTART
	v_cvt_f32_f16 v36, v23;
	;;#ASMEND
	;;#ASMSTART
	v_cvt_f32_f16 v58, v58;
	;;#ASMEND
	v_and_b32_e32 v23, 0xffff, v61
	;;#ASMSTART
	v_cvt_f32_f16 v59, v23;
	;;#ASMEND
	;;#ASMSTART
	v_cvt_f32_f16 v61, v18;
	;;#ASMEND
	ds_read_b32 v18, v48 offset:36
	v_fma_mixlo_f16 v23, v54, v32, 0
	v_fma_mixlo_f16 v32, v54, v49, 0
	v_fmac_f32_e32 v9, v7, v34
	v_and_b32_e32 v32, 0xffff, v32
	s_waitcnt lgkmcnt(0)
	v_lshrrev_b32_e32 v34, 16, v18
	v_and_b32_e32 v7, 0xffff, v18
	;;#ASMSTART
	v_cvt_f32_f16 v7, v7;
	;;#ASMEND
	;;#ASMSTART
	v_cvt_f32_f16 v18, v34;
	;;#ASMEND
	v_and_b32_e32 v34, 0xffff, v38
	;;#ASMSTART
	v_cvt_f32_f16 v32, v32;
	;;#ASMEND
	;;#ASMSTART
	v_cvt_f32_f16 v34, v34;
	;;#ASMEND
	ds_read_b32 v38, v48 offset:40
	v_fma_mixlo_f16 v35, v54, v51, 0
	v_fma_mixlo_f16 v16, v54, v50, 0
	v_fmac_f32_e32 v8, v62, v19
	v_and_b32_e32 v35, 0xffff, v35
	s_waitcnt lgkmcnt(0)
	v_lshrrev_b32_e32 v19, 16, v38
	v_and_b32_e32 v38, 0xffff, v38
	v_and_b32_e32 v16, 0xffff, v16
	;;#ASMSTART
	v_cvt_f32_f16 v38, v38;
	;;#ASMEND
	;;#ASMSTART
	v_cvt_f32_f16 v19, v19;
	;;#ASMEND
	;; [unrolled: 3-line block ×4, first 2 shown]
	ds_read_b32 v62, v48 offset:44
	v_fma_mixlo_f16 v31, v54, v10, 0
	v_fma_mixlo_f16 v11, v54, v53, 0
	v_fmac_f32_e32 v9, v4, v5
	v_and_b32_e32 v31, 0xffff, v31
	s_waitcnt lgkmcnt(0)
	v_lshrrev_b32_e32 v4, 16, v62
	v_and_b32_e32 v5, 0xffff, v62
	v_and_b32_e32 v11, 0xffff, v11
	;;#ASMSTART
	v_cvt_f32_f16 v5, v5;
	;;#ASMEND
	;;#ASMSTART
	v_cvt_f32_f16 v4, v4;
	;;#ASMEND
	;; [unrolled: 3-line block ×4, first 2 shown]
	ds_read_b32 v62, v48 offset:48
	v_accvgpr_read_b32 v10, a38
	v_accvgpr_read_b32 v17, a37
	v_fma_mixlo_f16 v10, v54, v10, 0
	v_fma_mixlo_f16 v17, v54, v17, 0
	v_fmac_f32_e32 v8, v26, v60
	s_waitcnt lgkmcnt(0)
	v_lshrrev_b32_e32 v26, 16, v62
	v_and_b32_e32 v60, 0xffff, v62
	v_and_b32_e32 v10, 0xffff, v10
	;; [unrolled: 1-line block ×3, first 2 shown]
	;;#ASMSTART
	v_cvt_f32_f16 v60, v60;
	;;#ASMEND
	;;#ASMSTART
	v_cvt_f32_f16 v26, v26;
	;;#ASMEND
	;;#ASMSTART
	v_cvt_f32_f16 v10, v10;
	;;#ASMEND
	;;#ASMSTART
	v_cvt_f32_f16 v17, v17;
	;;#ASMEND
	ds_read_b32 v62, v48 offset:52
	v_accvgpr_read_b32 v39, a40
	v_fma_mixlo_f16 v51, v54, v39, 0
	v_accvgpr_read_b32 v39, a39
	v_fma_mixlo_f16 v49, v54, v39, 0
	v_fmac_f32_e32 v9, v57, v6
	s_waitcnt lgkmcnt(0)
	v_lshrrev_b32_e32 v6, 16, v62
	v_and_b32_e32 v57, 0xffff, v62
	v_and_b32_e32 v51, 0xffff, v51
	;; [unrolled: 1-line block ×3, first 2 shown]
	;;#ASMSTART
	v_cvt_f32_f16 v57, v57;
	;;#ASMEND
	;;#ASMSTART
	v_cvt_f32_f16 v6, v6;
	;;#ASMEND
	;; [unrolled: 3-line block ×4, first 2 shown]
	ds_read_b32 v62, v48 offset:56
	v_fma_mixlo_f16 v50, v54, v0, 0
	v_fma_mixlo_f16 v0, v54, v1, 0
	v_accvgpr_read_b32 v1, a41
	v_fma_mixlo_f16 v1, v54, v1, 0
	v_fmac_f32_e32 v8, v52, v45
	s_waitcnt lgkmcnt(0)
	v_lshrrev_b32_e32 v52, 16, v62
	v_and_b32_e32 v45, 0xffff, v62
	v_and_b32_e32 v0, 0xffff, v0
	;;#ASMSTART
	v_cvt_f32_f16 v45, v45;
	;;#ASMEND
	;;#ASMSTART
	v_cvt_f32_f16 v52, v52;
	;;#ASMEND
	;; [unrolled: 3-line block ×3, first 2 shown]
	v_and_b32_e32 v0, 0xffff, v1
	;;#ASMSTART
	v_cvt_f32_f16 v53, v0;
	;;#ASMEND
	ds_read_b32 v39, v48 offset:60
	v_fma_mixlo_f16 v3, v54, v3, 0
	v_fma_mixlo_f16 v1, v54, v30, 0
	;; [unrolled: 1-line block ×3, first 2 shown]
	v_and_b32_e32 v3, 0xffff, v3
	s_waitcnt lgkmcnt(0)
	v_lshrrev_b32_e32 v29, 16, v39
	v_and_b32_e32 v30, 0xffff, v39
	v_and_b32_e32 v39, 0xffff, v50
	;;#ASMSTART
	v_cvt_f32_f16 v30, v30;
	;;#ASMEND
	;;#ASMSTART
	v_cvt_f32_f16 v29, v29;
	;;#ASMEND
	;; [unrolled: 3-line block ×4, first 2 shown]
	ds_read_b32 v50, v48 offset:64
	v_fmac_f32_e32 v9, v41, v44
	v_fma_mixlo_f16 v15, v54, v15, 0
	v_fma_mixlo_f16 v2, v54, v2, 0
	v_fmac_f32_e32 v9, v37, v47
	v_fmac_f32_e32 v9, v36, v59
	s_waitcnt lgkmcnt(0)
	v_lshrrev_b32_e32 v36, 16, v50
	v_and_b32_e32 v37, 0xffff, v50
	v_and_b32_e32 v15, 0xffff, v15
	;; [unrolled: 1-line block ×3, first 2 shown]
	;;#ASMSTART
	v_cvt_f32_f16 v37, v37;
	;;#ASMEND
	;;#ASMSTART
	v_cvt_f32_f16 v36, v36;
	;;#ASMEND
	;; [unrolled: 3-line block ×4, first 2 shown]
	ds_read_b32 v50, v48 offset:68
	v_fmac_f32_e32 v8, v42, v46
	v_fmac_f32_e32 v8, v43, v56
	;; [unrolled: 1-line block ×3, first 2 shown]
	v_fma_mixlo_f16 v14, v54, v14, 0
	v_fmac_f32_e32 v8, v18, v34
	v_fmac_f32_e32 v9, v7, v32
	;; [unrolled: 1-line block ×3, first 2 shown]
	s_waitcnt lgkmcnt(0)
	v_lshrrev_b32_e32 v7, 16, v50
	v_and_b32_e32 v16, 0xffff, v50
	v_and_b32_e32 v18, 0xffff, v23
	;; [unrolled: 1-line block ×3, first 2 shown]
	;;#ASMSTART
	v_cvt_f32_f16 v16, v16;
	;;#ASMEND
	;;#ASMSTART
	v_cvt_f32_f16 v7, v7;
	;;#ASMEND
	;; [unrolled: 3-line block ×4, first 2 shown]
	ds_read_b32 v19, v48 offset:72
	v_fmac_f32_e32 v9, v38, v35
	v_fma_mixlo_f16 v12, v54, v12, 0
	v_fmac_f32_e32 v9, v5, v31
	v_fmac_f32_e32 v8, v4, v11
	;; [unrolled: 1-line block ×3, first 2 shown]
	s_waitcnt lgkmcnt(0)
	v_lshrrev_b32_e32 v4, 16, v19
	v_and_b32_e32 v5, 0xffff, v19
	v_and_b32_e32 v10, 0xffff, v27
	;; [unrolled: 1-line block ×3, first 2 shown]
	;;#ASMSTART
	v_cvt_f32_f16 v5, v5;
	;;#ASMEND
	;;#ASMSTART
	v_cvt_f32_f16 v4, v4;
	;;#ASMEND
	;; [unrolled: 3-line block ×4, first 2 shown]
	ds_read_b32 v12, v48 offset:76
	v_fma_mixlo_f16 v13, v54, v13, 0
	v_fmac_f32_e32 v8, v26, v17
	v_fmac_f32_e32 v8, v6, v49
	v_and_b32_e32 v17, 0xffff, v24
	s_waitcnt lgkmcnt(0)
	v_lshrrev_b32_e32 v6, 16, v12
	v_and_b32_e32 v12, 0xffff, v12
	v_and_b32_e32 v13, 0xffff, v13
	;;#ASMSTART
	v_cvt_f32_f16 v12, v12;
	;;#ASMEND
	;;#ASMSTART
	v_cvt_f32_f16 v6, v6;
	;;#ASMEND
	;; [unrolled: 3-line block ×4, first 2 shown]
	ds_read_b32 v19, v48 offset:80
	v_fmac_f32_e32 v9, v57, v51
	v_fmac_f32_e32 v9, v45, v62
	;; [unrolled: 1-line block ×7, first 2 shown]
	s_waitcnt lgkmcnt(0)
	v_lshrrev_b32_e32 v2, 16, v19
	v_and_b32_e32 v3, 0xffff, v19
	v_and_b32_e32 v15, 0xffff, v40
	;; [unrolled: 1-line block ×3, first 2 shown]
	;;#ASMSTART
	v_cvt_f32_f16 v3, v3;
	;;#ASMEND
	;;#ASMSTART
	v_cvt_f32_f16 v2, v2;
	;;#ASMEND
	;; [unrolled: 3-line block ×4, first 2 shown]
	ds_read_b32 v23, v48 offset:84
	v_fma_mixlo_f16 v25, v54, v25, 0
	v_fma_mixlo_f16 v22, v54, v22, 0
	v_fmac_f32_e32 v9, v16, v18
	v_fmac_f32_e32 v8, v7, v14
	v_fmac_f32_e32 v9, v5, v10
	v_fmac_f32_e32 v8, v4, v11
	s_waitcnt lgkmcnt(0)
	v_lshrrev_b32_e32 v4, 16, v23
	v_and_b32_e32 v5, 0xffff, v23
	v_and_b32_e32 v7, 0xffff, v25
	;; [unrolled: 1-line block ×3, first 2 shown]
	;;#ASMSTART
	v_cvt_f32_f16 v5, v5;
	;;#ASMEND
	;;#ASMSTART
	v_cvt_f32_f16 v4, v4;
	;;#ASMEND
	;; [unrolled: 3-line block ×4, first 2 shown]
	ds_read_b32 v11, v48 offset:88
	v_fmac_f32_e32 v9, v12, v17
	v_fmac_f32_e32 v8, v6, v13
	;; [unrolled: 1-line block ×4, first 2 shown]
	s_waitcnt lgkmcnt(0)
	v_lshrrev_b32_e32 v2, 16, v11
	v_and_b32_e32 v3, 0xffff, v11
	v_and_b32_e32 v6, 0xffff, v55
	;; [unrolled: 1-line block ×3, first 2 shown]
	;;#ASMSTART
	v_cvt_f32_f16 v3, v3;
	;;#ASMEND
	;;#ASMSTART
	v_cvt_f32_f16 v2, v2;
	;;#ASMEND
	;; [unrolled: 3-line block ×4, first 2 shown]
	ds_read_b32 v12, v48 offset:92
	v_fmac_f32_e32 v9, v5, v7
	v_fmac_f32_e32 v8, v4, v10
	;; [unrolled: 1-line block ×4, first 2 shown]
	s_waitcnt lgkmcnt(0)
	v_and_b32_e32 v3, 0xffff, v12
	v_lshrrev_b32_e32 v2, 16, v12
	;;#ASMSTART
	v_cvt_f32_f16 v3, v3;
	;;#ASMEND
	v_and_b32_e32 v1, 0xffff, v1
	;;#ASMSTART
	v_cvt_f32_f16 v2, v2;
	;;#ASMEND
	;;#ASMSTART
	v_cvt_f32_f16 v1, v1;
	;;#ASMEND
	v_fmac_f32_e32 v9, v3, v1
	v_accvgpr_read_b32 v3, a28
	v_and_b32_e32 v0, 0xffff, v0
	v_and_b32_e32 v1, 64, v3
	;;#ASMSTART
	v_cvt_f32_f16 v0, v0;
	;;#ASMEND
	v_fmac_f32_e32 v8, v2, v0
	v_add_u32_e32 v2, 64, v1
	v_xor_b32_e32 v1, 2, v3
	v_cmp_lt_i32_e64 s[8:9], v1, v2
	v_cndmask_b32_e64 v1, v3, v1, s[8:9]
	v_add_f32_e32 v0, v9, v8
	v_lshlrev_b32_e32 v1, 2, v1
	ds_bpermute_b32 v1, v1, v0
	s_waitcnt lgkmcnt(0)
	v_add_f32_e32 v0, v0, v1
	v_xor_b32_e32 v1, 1, v3
	v_cmp_lt_i32_e64 s[8:9], v1, v2
	v_cndmask_b32_e64 v1, v3, v1, s[8:9]
	v_lshlrev_b32_e32 v1, 2, v1
	ds_bpermute_b32 v1, v1, v0
	s_mov_b64 s[28:29], exec
	s_and_b64 s[8:9], s[28:29], vcc
	v_accvgpr_read_b32 v6, a35
	s_mov_b64 exec, s[8:9]
	s_cbranch_execz .LBB293_9
; %bb.299:                              ;   in Loop: Header=BB293_10 Depth=1
	s_waitcnt lgkmcnt(0)
	v_add_f32_e32 v0, v0, v1
	buffer_load_dword v1, off, s[0:3], s32 offset:104 ; 4-byte Folded Reload
	v_accvgpr_read_b32 v3, a29
	v_accvgpr_read_b32 v5, a33
	v_add_u32_e32 v3, v3, v5
	v_cvt_f32_i32_e32 v3, v3
	s_load_dword s8, s[24:25], 0x0
	v_accvgpr_read_b32 v4, a25
	s_waitcnt vmcnt(0)
	v_mul_f32_e32 v1, v1, v3
	v_cndmask_b32_e64 v1, 0, v1, s[6:7]
	v_accvgpr_read_b32 v3, a34
	v_fmac_f32_e32 v1, v0, v4
	v_accvgpr_read_b32 v0, a8
	s_waitcnt lgkmcnt(0)
	v_add_u32_e32 v3, s8, v3
	v_cmp_lt_i32_e64 s[8:9], v5, v0
	v_cndmask_b32_e64 v0, 0, v1, s[8:9]
	ds_write_b32 v3, v0
	buffer_load_dword v3, off, s[0:3], s32 offset:100 ; 4-byte Folded Reload
	s_waitcnt vmcnt(0)
	v_max_f32_e32 v0, v3, v3
	v_max_f32_e32 v0, v0, v1
	v_cndmask_b32_e64 v3, v3, v0, s[8:9]
	buffer_store_dword v3, off, s[0:3], s32 offset:100 ; 4-byte Folded Spill
	s_branch .LBB293_9
.LBB293_300:
	s_or_b64 exec, exec, s[26:27]
	buffer_load_dword v7, off, s[0:3], s32 offset:100 ; 4-byte Folded Reload
	v_accvgpr_read_b32 v20, a0
	v_accvgpr_read_b32 v16, a2
	;; [unrolled: 1-line block ×14, first 2 shown]
.LBB293_301:
	s_or_b64 exec, exec, s[10:11]
	v_accvgpr_read_b32 v6, a28
	v_xor_b32_e32 v0, 32, v6
	v_cmp_lt_i32_e32 vcc, v0, v2
	v_cndmask_b32_e32 v0, v6, v0, vcc
	v_lshlrev_b32_e32 v3, 2, v0
	s_waitcnt vmcnt(0)
	ds_bpermute_b32 v0, v3, v7
	v_xor_b32_e32 v4, 16, v6
	s_waitcnt lgkmcnt(0)
	v_max_f32_e32 v1, v7, v7
	v_cmp_lt_i32_e32 vcc, v4, v2
	v_xor_b32_e32 v5, 8, v6
	v_max_f32_e32 v0, v0, v0
	v_max_f32_e32 v0, v1, v0
	v_cndmask_b32_e32 v1, v6, v4, vcc
	v_lshlrev_b32_e32 v4, 2, v1
	ds_bpermute_b32 v1, v4, v0
	v_cmp_lt_i32_e32 vcc, v5, v2
	v_and_b32_e32 v33, 63, v16
	s_lshr_b32 s28, s36, 16
	s_waitcnt lgkmcnt(0)
	v_max_f32_e32 v1, v1, v1
	v_max_f32_e32 v0, v0, v1
	v_cndmask_b32_e32 v1, v6, v5, vcc
	v_lshlrev_b32_e32 v9, 2, v1
	ds_bpermute_b32 v1, v9, v0
	v_xor_b32_e32 v5, 4, v6
	v_cmp_lt_i32_e32 vcc, v5, v2
	s_waitcnt lgkmcnt(0)
	v_max_f32_e32 v1, v1, v1
	v_max_f32_e32 v0, v0, v1
	v_cndmask_b32_e32 v1, v6, v5, vcc
	v_lshlrev_b32_e32 v6, 2, v1
	ds_bpermute_b32 v1, v6, v0
	v_cmp_eq_u32_e32 vcc, 0, v33
	v_lshlrev_b32_e32 v5, 2, v28
	s_and_saveexec_b64 s[6:7], vcc
	s_cbranch_execz .LBB293_303
; %bb.302:
	s_waitcnt lgkmcnt(0)
	v_max_f32_e32 v1, v1, v1
	v_max_f32_e32 v0, v0, v0
	;; [unrolled: 1-line block ×3, first 2 shown]
	ds_write_b32 v5, v0 offset:384
.LBB293_303:
	s_or_b64 exec, exec, s[6:7]
	v_cmp_gt_u32_e64 s[6:7], 2, v33
	v_mov_b32_e32 v0, 0xff7fffff
	v_lshlrev_b32_e32 v8, 2, v33
	s_waitcnt lgkmcnt(0)
	s_barrier
	s_and_saveexec_b64 s[8:9], s[6:7]
	s_cbranch_execz .LBB293_305
; %bb.304:
	ds_read_b32 v0, v8 offset:384
.LBB293_305:
	s_or_b64 exec, exec, s[8:9]
	v_accvgpr_read_b32 v12, a28
	v_xor_b32_e32 v1, 1, v12
	v_cmp_lt_i32_e64 s[8:9], v1, v2
	v_cndmask_b32_e64 v1, v12, v1, s[8:9]
	v_lshlrev_b32_e32 v37, 2, v1
	s_waitcnt lgkmcnt(0)
	ds_bpermute_b32 v1, v37, v0
	v_accvgpr_read_b32 v7, a3
	v_max_f32_e32 v0, v0, v0
	v_subrev_u32_e32 v7, s21, v7
	v_lshl_add_u32 v13, v7, 4, s23
	s_waitcnt lgkmcnt(0)
	v_max_f32_e32 v1, v1, v1
	v_max_f32_e32 v0, v0, v1
	v_lshlrev_b32_e32 v1, 2, v12
	v_and_b32_e32 v7, 0xffffff00, v1
	ds_bpermute_b32 v0, v7, v0
	v_accvgpr_read_b32 v12, a8
	v_min_i32_e32 v19, v13, v12
	v_subrev_u32_e32 v1, s23, v19
	v_cmp_lt_i32_e64 s[8:9], v16, v1
	v_mov_b32_e32 v18, 0
	s_and_saveexec_b64 s[24:25], s[8:9]
	s_cbranch_execz .LBB293_309
; %bb.306:
	s_ashr_i32 s19, s18, 31
	s_lshl_b64 s[10:11], s[18:19], 2
	s_getpc_b64 s[26:27]
	s_add_u32 s26, s26, llvm.amdgcn.dynlds.offset.table@rel32@lo+4
	s_addc_u32 s27, s27, llvm.amdgcn.dynlds.offset.table@rel32@hi+12
	s_add_u32 s10, s10, s26
	s_addc_u32 s11, s11, s27
	s_load_dword s10, s[10:11], 0x0
	s_mov_b64 s[26:27], 0
	v_mov_b32_e32 v18, 0
	v_mov_b32_e32 v13, v16
	s_waitcnt lgkmcnt(0)
	v_lshl_add_u32 v12, v16, 2, s10
.LBB293_307:                            ; =>This Inner Loop Header: Depth=1
	ds_read_b32 v17, v12
	v_add_u32_e32 v13, 0x80, v13
	v_cmp_ge_i32_e64 s[10:11], v13, v1
	s_or_b64 s[26:27], s[10:11], s[26:27]
	s_waitcnt lgkmcnt(0)
	v_sub_f32_e32 v17, v17, v0
	v_mul_f32_e32 v17, 0x3fb8aa3b, v17
	v_exp_f32_e32 v17, v17
	ds_write_b32 v12, v17
	v_add_f32_e32 v18, v18, v17
	v_add_u32_e32 v12, 0x200, v12
	s_andn2_b64 exec, exec, s[26:27]
	s_cbranch_execnz .LBB293_307
; %bb.308:
	s_or_b64 exec, exec, s[26:27]
.LBB293_309:
	s_or_b64 exec, exec, s[24:25]
	ds_bpermute_b32 v3, v3, v18
	s_waitcnt lgkmcnt(0)
	v_add_f32_e32 v3, v18, v3
	ds_bpermute_b32 v4, v4, v3
	s_waitcnt lgkmcnt(0)
	v_add_f32_e32 v3, v3, v4
	ds_bpermute_b32 v4, v9, v3
	v_accvgpr_read_b32 v9, a28
	s_waitcnt lgkmcnt(0)
	v_add_f32_e32 v3, v3, v4
	ds_bpermute_b32 v4, v6, v3
	v_xor_b32_e32 v6, 2, v9
	v_cmp_lt_i32_e64 s[10:11], v6, v2
	v_cndmask_b32_e64 v2, v9, v6, s[10:11]
	v_lshlrev_b32_e32 v2, 2, v2
	s_waitcnt lgkmcnt(0)
	v_add_f32_e32 v3, v3, v4
	ds_bpermute_b32 v2, v2, v3
	s_waitcnt lgkmcnt(0)
	v_add_f32_e32 v2, v3, v2
	ds_bpermute_b32 v3, v37, v2
	s_waitcnt lgkmcnt(0)
	v_add_f32_e32 v2, v2, v3
	s_and_saveexec_b64 s[10:11], vcc
	s_cbranch_execz .LBB293_311
; %bb.310:
	ds_write_b32 v5, v2 offset:392
.LBB293_311:
	s_or_b64 exec, exec, s[10:11]
	s_waitcnt lgkmcnt(0)
	s_barrier
	s_and_saveexec_b64 s[10:11], s[6:7]
	s_cbranch_execz .LBB293_313
; %bb.312:
	ds_read_b32 v2, v8 offset:392
.LBB293_313:
	s_or_b64 exec, exec, s[10:11]
	s_waitcnt lgkmcnt(0)
	ds_bpermute_b32 v3, v37, v2
	s_waitcnt lgkmcnt(0)
	v_add_f32_e32 v2, v2, v3
	ds_bpermute_b32 v2, v7, v2
	s_and_saveexec_b64 s[6:7], s[8:9]
	s_cbranch_execz .LBB293_326
; %bb.314:
	s_waitcnt lgkmcnt(0)
	v_add_f32_e32 v3, 0x358637bd, v2
	v_div_scale_f32 v4, s[8:9], v3, v3, 1.0
	v_rcp_f32_e32 v5, v4
	v_div_scale_f32 v6, vcc, 1.0, v3, 1.0
	s_movk_i32 s8, 0x7f
	v_fma_f32 v7, -v4, v5, 1.0
	v_fmac_f32_e32 v5, v7, v5
	v_mul_f32_e32 v7, v6, v5
	v_fma_f32 v8, -v4, v7, v6
	v_fmac_f32_e32 v7, v8, v5
	v_fma_f32 v4, -v4, v7, v6
	v_div_fmas_f32 v4, v4, v5, v7
	v_div_fixup_f32 v8, v4, v3, 1.0
	v_xad_u32 v3, v16, -1, v19
	v_subrev_u32_e32 v4, s23, v3
	v_cmp_lt_u32_e32 vcc, s8, v4
	s_mov_b64 s[10:11], -1
	v_mov_b32_e32 v3, v16
	s_and_saveexec_b64 s[8:9], vcc
	s_cbranch_execz .LBB293_323
; %bb.315:
	v_lshrrev_b32_e32 v3, 7, v4
	v_add_u32_e32 v5, -1, v3
	v_lshrrev_b32_e32 v4, 1, v5
	v_mov_b32_e32 v9, v8
	v_add_u32_e32 v4, 1, v4
	v_cmp_lt_u32_e32 vcc, 13, v5
	v_mov_b32_e32 v7, 0
	s_and_saveexec_b64 s[10:11], vcc
	s_cbranch_execz .LBB293_319
; %bb.316:
	s_ashr_i32 s19, s18, 31
	s_lshl_b64 s[24:25], s[18:19], 2
	s_getpc_b64 s[26:27]
	s_add_u32 s26, s26, llvm.amdgcn.dynlds.offset.table@rel32@lo+4
	s_addc_u32 s27, s27, llvm.amdgcn.dynlds.offset.table@rel32@hi+12
	s_add_u32 s24, s24, s26
	s_addc_u32 s25, s25, s27
	s_load_dword s21, s[24:25], 0x0
	v_and_b32_e32 v5, -8, v4
	s_mov_b32 s19, 0
	s_mov_b64 s[24:25], 0
	s_waitcnt lgkmcnt(0)
	v_lshl_add_u32 v6, v16, 2, s21
.LBB293_317:                            ; =>This Inner Loop Header: Depth=1
	ds_read2st64_b32 v[24:25], v6 offset1:2
	ds_read2st64_b32 v[12:13], v6 offset0:4 offset1:6
	ds_read2st64_b32 v[22:23], v6 offset0:8 offset1:10
	;; [unrolled: 1-line block ×3, first 2 shown]
	v_add_u32_e32 v5, -8, v5
	s_waitcnt lgkmcnt(3)
	v_pk_mul_f32 v[24:25], v[8:9], v[24:25]
	s_waitcnt lgkmcnt(2)
	v_pk_mul_f32 v[12:13], v[8:9], v[12:13]
	ds_write2st64_b32 v6, v24, v25 offset1:2
	ds_write2st64_b32 v6, v12, v13 offset0:4 offset1:6
	ds_read2st64_b32 v[12:13], v6 offset0:16 offset1:18
	s_waitcnt lgkmcnt(4)
	v_pk_mul_f32 v[22:23], v[8:9], v[22:23]
	s_waitcnt lgkmcnt(3)
	v_pk_mul_f32 v[18:19], v[8:9], v[18:19]
	ds_write2st64_b32 v6, v22, v23 offset0:8 offset1:10
	ds_write2st64_b32 v6, v18, v19 offset0:12 offset1:14
	s_waitcnt lgkmcnt(2)
	v_pk_mul_f32 v[12:13], v[8:9], v[12:13]
	ds_read2st64_b32 v[22:23], v6 offset0:20 offset1:22
	ds_read2st64_b32 v[18:19], v6 offset0:24 offset1:26
	ds_write2st64_b32 v6, v12, v13 offset0:16 offset1:18
	ds_read2st64_b32 v[12:13], v6 offset0:28 offset1:30
	s_add_i32 s19, s19, 16
	s_waitcnt lgkmcnt(3)
	v_pk_mul_f32 v[22:23], v[8:9], v[22:23]
	s_waitcnt lgkmcnt(2)
	v_pk_mul_f32 v[18:19], v[8:9], v[18:19]
	v_cmp_eq_u32_e32 vcc, 0, v5
	s_waitcnt lgkmcnt(0)
	v_pk_mul_f32 v[12:13], v[8:9], v[12:13]
	ds_write2st64_b32 v6, v22, v23 offset0:20 offset1:22
	ds_write2st64_b32 v6, v18, v19 offset0:24 offset1:26
	;; [unrolled: 1-line block ×3, first 2 shown]
	v_add_u32_e32 v6, 0x2000, v6
	s_or_b64 s[24:25], vcc, s[24:25]
	v_mov_b32_e32 v7, s19
	s_andn2_b64 exec, exec, s[24:25]
	s_cbranch_execnz .LBB293_317
; %bb.318:
	s_or_b64 exec, exec, s[24:25]
.LBB293_319:
	s_or_b64 exec, exec, s[10:11]
	v_and_b32_e32 v4, 7, v4
	v_cmp_ne_u32_e32 vcc, 0, v4
	s_and_saveexec_b64 s[10:11], vcc
	s_cbranch_execz .LBB293_322
; %bb.320:
	s_ashr_i32 s19, s18, 31
	s_lshl_b64 s[24:25], s[18:19], 2
	s_getpc_b64 s[26:27]
	s_add_u32 s26, s26, llvm.amdgcn.dynlds.offset.table@rel32@lo+4
	s_addc_u32 s27, s27, llvm.amdgcn.dynlds.offset.table@rel32@hi+12
	s_add_u32 s24, s24, s26
	s_addc_u32 s25, s25, s27
	s_load_dword s19, s[24:25], 0x0
	v_lshlrev_b32_e32 v5, 9, v7
	v_lshlrev_b32_e32 v6, 2, v16
	s_mov_b64 s[24:25], 0
	s_waitcnt lgkmcnt(0)
	v_add3_u32 v5, v5, v6, s19
.LBB293_321:                            ; =>This Inner Loop Header: Depth=1
	ds_read2st64_b32 v[6:7], v5 offset1:2
	v_add_u32_e32 v4, -1, v4
	v_cmp_eq_u32_e32 vcc, 0, v4
	s_or_b64 s[24:25], vcc, s[24:25]
	s_waitcnt lgkmcnt(0)
	v_pk_mul_f32 v[6:7], v[8:9], v[6:7]
	ds_write2st64_b32 v5, v6, v7 offset1:2
	v_add_u32_e32 v5, 0x400, v5
	s_andn2_b64 exec, exec, s[24:25]
	s_cbranch_execnz .LBB293_321
.LBB293_322:
	s_or_b64 exec, exec, s[10:11]
	v_add_u32_e32 v4, 1, v3
	v_and_b32_e32 v5, 0x3fffffe, v4
	v_cmp_ne_u32_e32 vcc, v4, v5
	v_lshl_add_u32 v3, v5, 7, v16
	s_orn2_b64 s[10:11], vcc, exec
.LBB293_323:
	s_or_b64 exec, exec, s[8:9]
	s_and_b64 exec, exec, s[10:11]
	s_cbranch_execz .LBB293_326
; %bb.324:
	s_ashr_i32 s19, s18, 31
	s_lshl_b64 s[8:9], s[18:19], 2
	s_getpc_b64 s[10:11]
	s_add_u32 s10, s10, llvm.amdgcn.dynlds.offset.table@rel32@lo+4
	s_addc_u32 s11, s11, llvm.amdgcn.dynlds.offset.table@rel32@hi+12
	s_add_u32 s8, s8, s10
	s_addc_u32 s9, s9, s11
	s_load_dword s8, s[8:9], 0x0
	s_waitcnt lgkmcnt(0)
	v_lshl_add_u32 v4, v3, 2, s8
	s_mov_b64 s[8:9], 0
.LBB293_325:                            ; =>This Inner Loop Header: Depth=1
	ds_read_b32 v5, v4
	v_add_u32_e32 v3, 0x80, v3
	v_cmp_ge_i32_e32 vcc, v3, v1
	s_or_b64 s[8:9], vcc, s[8:9]
	s_waitcnt lgkmcnt(0)
	v_mul_f32_e32 v5, v8, v5
	ds_write_b32 v4, v5
	v_add_u32_e32 v4, 0x200, v4
	s_andn2_b64 exec, exec, s[8:9]
	s_cbranch_execnz .LBB293_325
.LBB293_326:
	s_or_b64 exec, exec, s[6:7]
	v_cmp_ne_u16_e64 s[6:7], s28, 0
	s_cmp_lg_u64 s[6:7], 0
	s_addc_u32 s21, s13, 0
	s_mul_i32 s6, s21, s22
	v_cmp_eq_u32_e32 vcc, 0, v16
	s_mul_i32 s6, s6, s15
	s_waitcnt lgkmcnt(0)
	s_barrier
	s_and_saveexec_b64 s[8:9], vcc
	s_cbranch_execz .LBB293_328
; %bb.327:
	s_mul_i32 s12, s21, s12
	s_ashr_i32 s7, s6, 31
	s_ashr_i32 s13, s12, 31
	;; [unrolled: 1-line block ×3, first 2 shown]
	s_lshl_b64 s[10:11], s[6:7], 2
	s_lshl_b64 s[12:13], s[12:13], 2
	;; [unrolled: 1-line block ×3, first 2 shown]
	s_add_u32 s7, s24, s12
	s_addc_u32 s12, s25, s13
	s_add_u32 s7, s7, s10
	s_addc_u32 s10, s12, s11
	v_mov_b32_e32 v1, s10
	v_add_co_u32_e32 v4, vcc, s7, v34
	v_addc_co_u32_e32 v5, vcc, v1, v30, vcc
	flat_store_dword v[4:5], v0
	v_add_co_u32_e32 v0, vcc, s7, v27
	v_addc_co_u32_e32 v1, vcc, v1, v26, vcc
	flat_store_dword v[0:1], v2
.LBB293_328:
	s_or_b64 exec, exec, s[8:9]
	v_mov_b32_e32 v3, 0
	v_and_b32_e32 v38, 1, v16
	v_mov_b32_e32 v2, 0
	v_mov_b32_e32 v9, 0
	;; [unrolled: 1-line block ×5, first 2 shown]
	s_and_saveexec_b64 s[8:9], s[4:5]
	s_cbranch_execz .LBB293_632
; %bb.329:
	v_lshlrev_b32_e32 v0, 3, v16
	s_ashr_i32 s19, s18, 31
	v_add_co_u32_e32 v1, vcc, v10, v29
	v_and_b32_e32 v2, 8, v0
	s_lshl_b64 s[4:5], s[18:19], 2
	v_addc_co_u32_e32 v3, vcc, v11, v31, vcc
	v_and_b32_e32 v0, 0x1f8, v0
	v_accvgpr_write_b32 a0, v20
	s_getpc_b64 s[10:11]
	s_add_u32 s10, s10, llvm.amdgcn.dynlds.offset.table@rel32@lo+4
	s_addc_u32 s11, s11, llvm.amdgcn.dynlds.offset.table@rel32@hi+12
	v_add_co_u32_e32 v20, vcc, v1, v0
	v_accvgpr_read_b32 v0, a10
	s_add_u32 s4, s4, s10
	v_accvgpr_read_b32 v1, a11
	s_addc_u32 s5, s5, s11
	v_add_u32_e32 v34, -1, v21
	v_addc_co_u32_e32 v21, vcc, 0, v3, vcc
	v_lshlrev_b64 v[0:1], 2, v[0:1]
	v_accvgpr_read_b32 v4, a20
	s_load_dword s4, s[4:5], 0x0
	v_accvgpr_read_b32 v5, a21
	v_add_co_u32_e32 v0, vcc, v4, v0
	v_addc_co_u32_e32 v1, vcc, v5, v1, vcc
	v_add_co_u32_e32 v14, vcc, v14, v0
	v_accvgpr_read_b32 v0, a22
	v_add3_u32 v7, s23, v0, v2
	v_lshlrev_b32_e32 v0, 5, v38
	v_lshl_or_b32 v0, v28, 6, v0
	s_mov_b32 s10, -1
	s_waitcnt lgkmcnt(0)
	v_add_u32_e32 v23, s4, v0
	v_mov_b32_e32 v0, 0
	v_accvgpr_write_b32 a2, v16
	s_mov_b32 s11, 0xffffff
	v_mov_b32_e32 v11, 0
	v_accvgpr_read_b32 v13, a8
	v_addc_co_u32_e32 v15, vcc, v15, v1, vcc
	s_mov_b64 s[12:13], 0
	s_movk_i32 s7, 0x80
	s_movk_i32 s15, 0x7f
	s_mov_b32 s19, 0x8000
	s_movk_i32 s28, 0x380
	s_mov_b32 s29, 0x3020706
	s_mov_b32 s30, 0x1000504
	;; [unrolled: 1-line block ×3, first 2 shown]
	v_mov_b32_e32 v35, 0x2000
	v_mov_b32_e32 v1, v0
	;; [unrolled: 1-line block ×6, first 2 shown]
	s_branch .LBB293_331
.LBB293_330:                            ;   in Loop: Header=BB293_331 Depth=1
	s_or_b64 exec, exec, s[4:5]
	v_add_f32_e32 v4, v4, v5
	v_add_f32_e32 v8, v8, v4
	;; [unrolled: 1-line block ×6, first 2 shown]
	;;#ASMSTART
	v_pk_mul_f16 v4, v53, v18;

	;;#ASMEND
	;;#ASMSTART
	v_pk_mul_f16 v5, v54, v10;

	;;#ASMEND
	;; [unrolled: 4-line block ×4, first 2 shown]
	;;#ASMSTART
	v_pk_add_f16 v4, v4, v5;

	;;#ASMEND
	;;#ASMSTART
	v_pk_add_f16 v4, v4, v10;

	;;#ASMEND
	;; [unrolled: 4-line block ×3, first 2 shown]
	v_lshrrev_b32_e32 v5, 16, v4
	v_and_b32_e32 v4, 0xffff, v4
	;;#ASMSTART
	v_cvt_f32_f16 v4, v4;
	;;#ASMEND
	;;#ASMSTART
	v_cvt_f32_f16 v5, v5;
	;;#ASMEND
	v_add_f32_e32 v4, v4, v5
	v_accvgpr_read_b32 v6, a10
	v_add_co_u32_e32 v14, vcc, 8, v14
	v_add_f32_e32 v12, v41, v42
	v_add_f32_e32 v3, v3, v4
	v_add_u32_e32 v6, 2, v6
	v_addc_co_u32_e32 v15, vcc, 0, v15, vcc
	v_accvgpr_read_b32 v4, a3
	v_add_f32_e32 v0, v0, v12
	v_add_f32_e32 v12, v43, v44
	v_cmp_ge_i32_e32 vcc, v6, v4
	v_add_f32_e32 v1, v1, v12
	v_add_u32_e32 v7, 32, v7
	v_accvgpr_write_b32 a10, v6
	s_or_b64 s[12:13], vcc, s[12:13]
	v_add_u32_e32 v23, 0x80, v23
	s_andn2_b64 exec, exec, s[12:13]
	s_cbranch_execz .LBB293_631
.LBB293_331:                            ; =>This Inner Loop Header: Depth=1
	flat_load_dword v6, v[14:15]
	ds_read2_b64 v[24:27], v23 offset1:1
	ds_read2_b64 v[28:31], v23 offset0:2 offset1:3
	v_accvgpr_read_b32 v10, a6
	s_waitcnt lgkmcnt(0)
	;;#ASMSTART
	v_cvt_f16_f32 v4, v24;

	;;#ASMEND
	;;#ASMSTART
	v_cvt_f16_f32 v5, v25;

	;;#ASMEND
	v_accvgpr_read_b32 v25, a5
	;;#ASMSTART
	v_cvt_f16_f32 v17, v26;

	;;#ASMEND
	;;#ASMSTART
	v_cvt_f16_f32 v32, v27;

	;;#ASMEND
	;; [unrolled: 4-line block ×6, first 2 shown]
	v_accvgpr_read_b32 v24, a4
	flat_load_dword v12, v[24:25]
	v_mov_b32_e32 v24, 0
	s_waitcnt vmcnt(0)
	v_mad_i64_i32 v[18:19], s[4:5], v6, v10, v[20:21]
	flat_load_dwordx2 v[28:29], v[18:19]
	s_waitcnt vmcnt(0) lgkmcnt(0)
	v_cmp_ne_u16_sdwa s[22:23], v28, v11 src0_sel:BYTE_0 src1_sel:DWORD
	s_and_saveexec_b64 s[4:5], s[22:23]
	s_cbranch_execz .LBB293_337
; %bb.332:                              ;   in Loop: Header=BB293_331 Depth=1
	v_cmp_ne_u16_sdwa s[24:25], v28, s7 src0_sel:BYTE_0 src1_sel:DWORD
	v_bfrev_b32_e32 v24, 1
	s_and_saveexec_b64 s[22:23], s[24:25]
	s_cbranch_execz .LBB293_336
; %bb.333:                              ;   in Loop: Header=BB293_331 Depth=1
	v_and_b32_e32 v6, 0x7f, v28
	v_cmp_ne_u32_e32 vcc, s15, v6
	v_mov_b32_e32 v24, 0x7fc02000
	s_and_saveexec_b64 s[24:25], vcc
	s_cbranch_execz .LBB293_335
; %bb.334:                              ;   in Loop: Header=BB293_331 Depth=1
	v_and_b32_e32 v10, 7, v28
	v_ffbh_u32_e32 v10, v10
	v_min_u32_e32 v10, 32, v10
	v_subrev_u32_e32 v22, 28, v10
	v_cmp_gt_u32_e32 vcc, 8, v6
	v_lshrrev_b32_e32 v16, 3, v6
	v_sub_u32_e32 v10, 29, v10
	v_cndmask_b32_e32 v6, 0, v22, vcc
	v_lshlrev_b64 v[24:25], v6, v[28:29]
	v_cndmask_b32_e32 v6, v16, v10, vcc
	v_lshlrev_b32_e32 v16, 8, v28
	v_lshl_add_u32 v6, v6, 10, v35
	v_lshlrev_b32_e32 v10, 7, v24
	v_and_or_b32 v6, v16, s19, v6
	v_and_or_b32 v6, v10, s28, v6
	v_cvt_f32_f16_e32 v24, v6
.LBB293_335:                            ;   in Loop: Header=BB293_331 Depth=1
	s_or_b64 exec, exec, s[24:25]
.LBB293_336:                            ;   in Loop: Header=BB293_331 Depth=1
	s_or_b64 exec, exec, s[22:23]
.LBB293_337:                            ;   in Loop: Header=BB293_331 Depth=1
	s_or_b64 exec, exec, s[4:5]
	v_lshrrev_b16_e32 v10, 8, v28
	v_cmp_ne_u16_e32 vcc, 0, v10
	v_mov_b32_e32 v25, 0
	v_mov_b32_e32 v30, 0
	s_and_saveexec_b64 s[4:5], vcc
	s_cbranch_execz .LBB293_343
; %bb.338:                              ;   in Loop: Header=BB293_331 Depth=1
	v_cmp_ne_u16_e32 vcc, s7, v10
	v_bfrev_b32_e32 v30, 1
	s_and_saveexec_b64 s[22:23], vcc
	s_cbranch_execz .LBB293_342
; %bb.339:                              ;   in Loop: Header=BB293_331 Depth=1
	v_and_b32_e32 v6, 0x7f, v10
	v_cmp_ne_u32_e32 vcc, s15, v6
	v_mov_b32_e32 v30, 0x7fc02000
	s_and_saveexec_b64 s[24:25], vcc
	s_cbranch_execz .LBB293_341
; %bb.340:                              ;   in Loop: Header=BB293_331 Depth=1
	v_and_b32_e32 v16, 7, v10
	v_ffbh_u32_e32 v26, v16
	v_min_u32_e32 v30, 32, v26
	v_subrev_u32_e32 v26, 28, v30
	v_lshlrev_b64 v[26:27], v26, v[10:11]
	v_lshrrev_b32_e32 v22, 3, v6
	v_sub_u32_e32 v27, 29, v30
	v_cmp_gt_u32_e32 vcc, 8, v6
	v_cndmask_b32_e32 v6, v22, v27, vcc
	v_and_b32_e32 v26, 7, v26
	v_lshlrev_b32_e32 v10, 8, v10
	v_lshl_add_u32 v6, v6, 10, v35
	v_cndmask_b32_e32 v16, v16, v26, vcc
	v_and_or_b32 v6, v10, s19, v6
	v_lshl_or_b32 v6, v16, 7, v6
	v_cvt_f32_f16_e32 v30, v6
.LBB293_341:                            ;   in Loop: Header=BB293_331 Depth=1
	s_or_b64 exec, exec, s[24:25]
.LBB293_342:                            ;   in Loop: Header=BB293_331 Depth=1
	s_or_b64 exec, exec, s[22:23]
.LBB293_343:                            ;   in Loop: Header=BB293_331 Depth=1
	s_or_b64 exec, exec, s[4:5]
	v_lshrrev_b32_e32 v10, 16, v28
	v_cmp_ne_u16_sdwa s[22:23], v10, v11 src0_sel:BYTE_0 src1_sel:DWORD
	s_and_saveexec_b64 s[4:5], s[22:23]
	s_cbranch_execz .LBB293_349
; %bb.344:                              ;   in Loop: Header=BB293_331 Depth=1
	v_cmp_ne_u16_sdwa s[24:25], v10, s7 src0_sel:BYTE_0 src1_sel:DWORD
	v_bfrev_b32_e32 v25, 1
	s_and_saveexec_b64 s[22:23], s[24:25]
	s_cbranch_execz .LBB293_348
; %bb.345:                              ;   in Loop: Header=BB293_331 Depth=1
	v_bfe_u32 v6, v28, 16, 7
	v_cmp_ne_u32_e32 vcc, s15, v6
	v_mov_b32_e32 v25, 0x7fc02000
	s_and_saveexec_b64 s[24:25], vcc
	s_cbranch_execz .LBB293_347
; %bb.346:                              ;   in Loop: Header=BB293_331 Depth=1
	v_and_b32_e32 v16, 7, v10
	v_ffbh_u32_e32 v25, v16
	v_min_u32_e32 v25, 32, v25
	v_lshrrev_b32_e32 v22, 3, v6
	v_subrev_u32_e32 v26, 28, v25
	v_sub_u32_e32 v25, 29, v25
	v_cmp_gt_u32_e32 vcc, 8, v6
	v_lshlrev_b64 v[26:27], v26, v[10:11]
	v_cndmask_b32_e32 v6, v22, v25, vcc
	v_and_b32_e32 v26, 7, v26
	v_lshlrev_b32_e32 v10, 8, v10
	v_lshl_add_u32 v6, v6, 10, v35
	v_cndmask_b32_e32 v16, v16, v26, vcc
	v_and_or_b32 v6, v10, s19, v6
	v_lshl_or_b32 v6, v16, 7, v6
	v_cvt_f32_f16_e32 v25, v6
.LBB293_347:                            ;   in Loop: Header=BB293_331 Depth=1
	s_or_b64 exec, exec, s[24:25]
.LBB293_348:                            ;   in Loop: Header=BB293_331 Depth=1
	s_or_b64 exec, exec, s[22:23]
.LBB293_349:                            ;   in Loop: Header=BB293_331 Depth=1
	s_or_b64 exec, exec, s[4:5]
	v_cmp_lt_u32_e32 vcc, s11, v28
	v_mov_b32_e32 v22, 0
	v_mov_b32_e32 v31, 0
	s_and_saveexec_b64 s[4:5], vcc
	s_cbranch_execz .LBB293_355
; %bb.350:                              ;   in Loop: Header=BB293_331 Depth=1
	v_lshrrev_b32_e32 v10, 24, v28
	v_cmp_ne_u32_e32 vcc, s7, v10
	v_bfrev_b32_e32 v31, 1
	s_and_saveexec_b64 s[22:23], vcc
	s_cbranch_execz .LBB293_354
; %bb.351:                              ;   in Loop: Header=BB293_331 Depth=1
	v_and_b32_e32 v6, 0x7f, v10
	v_cmp_ne_u32_e32 vcc, s15, v6
	v_mov_b32_e32 v31, 0x7fc02000
	s_and_saveexec_b64 s[24:25], vcc
	s_cbranch_execz .LBB293_353
; %bb.352:                              ;   in Loop: Header=BB293_331 Depth=1
	v_and_b32_e32 v16, 7, v10
	v_ffbh_u32_e32 v26, v16
	v_min_u32_e32 v36, 32, v26
	v_subrev_u32_e32 v26, 28, v36
	v_lshlrev_b64 v[26:27], v26, v[10:11]
	v_lshrrev_b32_e32 v31, 3, v6
	v_sub_u32_e32 v27, 29, v36
	v_cmp_gt_u32_e32 vcc, 8, v6
	v_cndmask_b32_e32 v6, v31, v27, vcc
	v_and_b32_e32 v26, 7, v26
	v_lshlrev_b32_e32 v10, 8, v10
	v_lshl_add_u32 v6, v6, 10, v35
	v_cndmask_b32_e32 v16, v16, v26, vcc
	v_and_or_b32 v6, v10, s19, v6
	v_lshl_or_b32 v6, v16, 7, v6
	v_cvt_f32_f16_e32 v31, v6
.LBB293_353:                            ;   in Loop: Header=BB293_331 Depth=1
	s_or_b64 exec, exec, s[24:25]
.LBB293_354:                            ;   in Loop: Header=BB293_331 Depth=1
	s_or_b64 exec, exec, s[22:23]
.LBB293_355:                            ;   in Loop: Header=BB293_331 Depth=1
	s_or_b64 exec, exec, s[4:5]
	v_mov_b32_e32 v10, v29
	v_cmp_ne_u16_sdwa s[22:23], v29, v11 src0_sel:BYTE_0 src1_sel:DWORD
	s_and_saveexec_b64 s[4:5], s[22:23]
	s_cbranch_execz .LBB293_361
; %bb.356:                              ;   in Loop: Header=BB293_331 Depth=1
	v_cmp_ne_u16_sdwa s[24:25], v29, s7 src0_sel:BYTE_0 src1_sel:DWORD
	v_bfrev_b32_e32 v22, 1
	s_and_saveexec_b64 s[22:23], s[24:25]
	s_cbranch_execz .LBB293_360
; %bb.357:                              ;   in Loop: Header=BB293_331 Depth=1
	v_and_b32_e32 v6, 0x7f, v29
	v_cmp_ne_u32_e32 vcc, s15, v6
	v_mov_b32_e32 v22, 0x7fc02000
	s_and_saveexec_b64 s[24:25], vcc
	s_cbranch_execz .LBB293_359
; %bb.358:                              ;   in Loop: Header=BB293_331 Depth=1
	v_and_b32_e32 v16, 7, v29
	v_ffbh_u32_e32 v16, v16
	v_min_u32_e32 v16, 32, v16
	v_subrev_u32_e32 v26, 28, v16
	v_cmp_gt_u32_e32 vcc, 8, v6
	v_lshrrev_b32_e32 v22, 3, v6
	v_sub_u32_e32 v16, 29, v16
	v_cndmask_b32_e32 v6, 0, v26, vcc
	v_lshlrev_b64 v[26:27], v6, v[10:11]
	v_cndmask_b32_e32 v6, v22, v16, vcc
	v_lshlrev_b32_e32 v22, 8, v29
	v_lshl_add_u32 v6, v6, 10, v35
	v_lshlrev_b32_e32 v16, 7, v26
	v_and_or_b32 v6, v22, s19, v6
	v_and_or_b32 v6, v16, s28, v6
	v_cvt_f32_f16_e32 v22, v6
.LBB293_359:                            ;   in Loop: Header=BB293_331 Depth=1
	s_or_b64 exec, exec, s[24:25]
.LBB293_360:                            ;   in Loop: Header=BB293_331 Depth=1
	s_or_b64 exec, exec, s[22:23]
.LBB293_361:                            ;   in Loop: Header=BB293_331 Depth=1
	s_or_b64 exec, exec, s[4:5]
	v_lshrrev_b16_e32 v10, 8, v10
	v_cmp_ne_u16_e32 vcc, 0, v10
	v_mov_b32_e32 v26, 0
	v_mov_b32_e32 v27, 0
	s_and_saveexec_b64 s[4:5], vcc
	s_cbranch_execz .LBB293_367
; %bb.362:                              ;   in Loop: Header=BB293_331 Depth=1
	v_cmp_ne_u16_e32 vcc, s7, v10
	v_bfrev_b32_e32 v27, 1
	s_and_saveexec_b64 s[22:23], vcc
	s_cbranch_execz .LBB293_366
; %bb.363:                              ;   in Loop: Header=BB293_331 Depth=1
	v_and_b32_e32 v6, 0x7f, v10
	v_cmp_ne_u32_e32 vcc, s15, v6
	v_mov_b32_e32 v27, 0x7fc02000
	s_and_saveexec_b64 s[24:25], vcc
	s_cbranch_execz .LBB293_365
; %bb.364:                              ;   in Loop: Header=BB293_331 Depth=1
	v_and_b32_e32 v16, 7, v10
	v_ffbh_u32_e32 v36, v16
	v_min_u32_e32 v36, 32, v36
	v_lshrrev_b32_e32 v27, 3, v6
	v_subrev_u32_e32 v39, 28, v36
	v_sub_u32_e32 v36, 29, v36
	v_cmp_gt_u32_e32 vcc, 8, v6
	v_lshlrev_b64 v[48:49], v39, v[10:11]
	v_cndmask_b32_e32 v6, v27, v36, vcc
	v_and_b32_e32 v39, 7, v48
	v_lshlrev_b32_e32 v10, 8, v10
	v_lshl_add_u32 v6, v6, 10, v35
	v_cndmask_b32_e32 v16, v16, v39, vcc
	v_and_or_b32 v6, v10, s19, v6
	v_lshl_or_b32 v6, v16, 7, v6
	v_cvt_f32_f16_e32 v27, v6
.LBB293_365:                            ;   in Loop: Header=BB293_331 Depth=1
	s_or_b64 exec, exec, s[24:25]
.LBB293_366:                            ;   in Loop: Header=BB293_331 Depth=1
	s_or_b64 exec, exec, s[22:23]
.LBB293_367:                            ;   in Loop: Header=BB293_331 Depth=1
	s_or_b64 exec, exec, s[4:5]
	v_lshrrev_b32_e32 v10, 16, v29
	v_cmp_ne_u16_sdwa s[22:23], v10, v11 src0_sel:BYTE_0 src1_sel:DWORD
	s_and_saveexec_b64 s[4:5], s[22:23]
	s_cbranch_execz .LBB293_373
; %bb.368:                              ;   in Loop: Header=BB293_331 Depth=1
	v_cmp_ne_u16_sdwa s[24:25], v10, s7 src0_sel:BYTE_0 src1_sel:DWORD
	v_bfrev_b32_e32 v26, 1
	s_and_saveexec_b64 s[22:23], s[24:25]
	s_cbranch_execz .LBB293_372
; %bb.369:                              ;   in Loop: Header=BB293_331 Depth=1
	v_bfe_u32 v6, v29, 16, 7
	v_cmp_ne_u32_e32 vcc, s15, v6
	v_mov_b32_e32 v26, 0x7fc02000
	s_and_saveexec_b64 s[24:25], vcc
	s_cbranch_execz .LBB293_371
; %bb.370:                              ;   in Loop: Header=BB293_331 Depth=1
	v_and_b32_e32 v16, 7, v10
	v_ffbh_u32_e32 v36, v16
	v_min_u32_e32 v36, 32, v36
	v_lshrrev_b32_e32 v26, 3, v6
	v_subrev_u32_e32 v39, 28, v36
	v_sub_u32_e32 v36, 29, v36
	v_cmp_gt_u32_e32 vcc, 8, v6
	v_lshlrev_b64 v[48:49], v39, v[10:11]
	v_cndmask_b32_e32 v6, v26, v36, vcc
	v_and_b32_e32 v39, 7, v48
	v_lshlrev_b32_e32 v10, 8, v10
	v_lshl_add_u32 v6, v6, 10, v35
	v_cndmask_b32_e32 v16, v16, v39, vcc
	v_and_or_b32 v6, v10, s19, v6
	v_lshl_or_b32 v6, v16, 7, v6
	v_cvt_f32_f16_e32 v26, v6
.LBB293_371:                            ;   in Loop: Header=BB293_331 Depth=1
	s_or_b64 exec, exec, s[24:25]
.LBB293_372:                            ;   in Loop: Header=BB293_331 Depth=1
	s_or_b64 exec, exec, s[22:23]
.LBB293_373:                            ;   in Loop: Header=BB293_331 Depth=1
	s_or_b64 exec, exec, s[4:5]
	v_cmp_lt_u64_e32 vcc, s[10:11], v[28:29]
	v_mov_b32_e32 v28, 0
	s_and_saveexec_b64 s[4:5], vcc
	s_cbranch_execz .LBB293_379
; %bb.374:                              ;   in Loop: Header=BB293_331 Depth=1
	v_lshrrev_b32_e32 v10, 24, v29
	v_cmp_ne_u32_e32 vcc, s7, v10
	v_bfrev_b32_e32 v28, 1
	s_and_saveexec_b64 s[22:23], vcc
	s_cbranch_execz .LBB293_378
; %bb.375:                              ;   in Loop: Header=BB293_331 Depth=1
	v_and_b32_e32 v6, 0x7f, v10
	v_cmp_ne_u32_e32 vcc, s15, v6
	v_mov_b32_e32 v28, 0x7fc02000
	s_and_saveexec_b64 s[24:25], vcc
	s_cbranch_execz .LBB293_377
; %bb.376:                              ;   in Loop: Header=BB293_331 Depth=1
	v_and_b32_e32 v16, 7, v10
	v_ffbh_u32_e32 v28, v16
	v_min_u32_e32 v39, 32, v28
	v_subrev_u32_e32 v28, 28, v39
	v_lshlrev_b64 v[28:29], v28, v[10:11]
	v_lshrrev_b32_e32 v36, 3, v6
	v_sub_u32_e32 v29, 29, v39
	v_cmp_gt_u32_e32 vcc, 8, v6
	v_cndmask_b32_e32 v6, v36, v29, vcc
	v_and_b32_e32 v28, 7, v28
	v_lshlrev_b32_e32 v10, 8, v10
	v_lshl_add_u32 v6, v6, 10, v35
	v_cndmask_b32_e32 v16, v16, v28, vcc
	v_and_or_b32 v6, v10, s19, v6
	v_lshl_or_b32 v6, v16, 7, v6
	v_cvt_f32_f16_e32 v28, v6
.LBB293_377:                            ;   in Loop: Header=BB293_331 Depth=1
	s_or_b64 exec, exec, s[24:25]
.LBB293_378:                            ;   in Loop: Header=BB293_331 Depth=1
	s_or_b64 exec, exec, s[22:23]
.LBB293_379:                            ;   in Loop: Header=BB293_331 Depth=1
	s_or_b64 exec, exec, s[4:5]
	v_pk_mul_f32 v[30:31], v[12:13], v[30:31] op_sel_hi:[0,1]
	v_pk_mul_f32 v[24:25], v[12:13], v[24:25] op_sel_hi:[0,1]
	v_cvt_f16_f32_e32 v6, v31
	v_cvt_f16_f32_e32 v10, v30
	;; [unrolled: 1-line block ×4, first 2 shown]
	v_fma_mixlo_f16 v22, v12, v22, 0
	v_pack_b32_f16 v10, v10, v6
	v_accvgpr_read_b32 v30, a10
	v_pack_b32_f16 v16, v24, v16
	v_perm_b32 v6, v16, v10, s29
	v_perm_b32 v10, v16, v10, s30
	v_fma_mixlo_f16 v16, v12, v27, 0
	v_fma_mixlo_f16 v24, v12, v26, 0
	;; [unrolled: 1-line block ×3, first 2 shown]
	v_lshlrev_b32_e32 v16, 16, v16
	v_lshlrev_b32_e32 v12, 16, v12
	v_cmp_eq_u32_e32 vcc, v34, v30
	v_or_b32_sdwa v22, v16, v22 dst_sel:DWORD dst_unused:UNUSED_PAD src0_sel:DWORD src1_sel:WORD_0
	v_or_b32_sdwa v12, v12, v24 dst_sel:DWORD dst_unused:UNUSED_PAD src0_sel:DWORD src1_sel:WORD_0
	v_add_u32_e32 v52, 1, v7
	v_or_b32_e32 v51, 3, v7
	v_or_b32_e32 v50, 2, v7
	;; [unrolled: 1-line block ×6, first 2 shown]
	s_and_saveexec_b64 s[22:23], vcc
	s_cbranch_execz .LBB293_381
; %bb.380:                              ;   in Loop: Header=BB293_331 Depth=1
	v_lshrrev_b32_e32 v16, 16, v10
	v_cmp_lt_i32_e64 s[4:5], v52, v13
	v_accvgpr_read_b32 v26, a8
	v_cndmask_b32_e64 v16, 0, v16, s[4:5]
	v_cmp_lt_i32_e64 s[4:5], v7, v26
	v_cndmask_b32_e64 v10, 0, v10, s[4:5]
	v_perm_b32 v10, v16, v10, s31
	v_lshrrev_b32_e32 v16, 16, v6
	v_cmp_lt_i32_e64 s[4:5], v51, v13
	v_cndmask_b32_e64 v16, 0, v16, s[4:5]
	v_cmp_lt_i32_e64 s[4:5], v50, v26
	v_cndmask_b32_e64 v6, 0, v6, s[4:5]
	v_perm_b32 v6, v16, v6, s31
	v_lshrrev_b32_e32 v16, 16, v22
	v_cmp_lt_i32_e64 s[4:5], v49, v13
	v_cndmask_b32_e64 v16, 0, v16, s[4:5]
	v_cmp_lt_i32_e64 s[4:5], v48, v26
	v_cndmask_b32_e64 v22, 0, v22, s[4:5]
	v_lshrrev_b32_e32 v12, 16, v12
	v_cmp_lt_i32_e64 s[4:5], v39, v13
	v_cndmask_b32_e64 v12, 0, v12, s[4:5]
	v_cmp_lt_i32_e64 s[4:5], v36, v26
	v_perm_b32 v22, v16, v22, s31
	v_cndmask_b32_e64 v16, 0, v24, s[4:5]
	v_perm_b32 v12, v12, v16, s31
.LBB293_381:                            ;   in Loop: Header=BB293_331 Depth=1
	s_or_b64 exec, exec, s[22:23]
	v_and_b32_e32 v4, 0xffff, v4
	v_lshl_or_b32 v53, v5, 16, v4
	v_and_b32_e32 v4, 0xffff, v17
	v_lshl_or_b32 v54, v32, 16, v4
	;; [unrolled: 2-line block ×4, first 2 shown]
	;;#ASMSTART
	v_pk_mul_f16 v4, v53, v10;

	;;#ASMEND
	;;#ASMSTART
	v_pk_mul_f16 v5, v54, v6;

	;;#ASMEND
	;; [unrolled: 4-line block ×4, first 2 shown]
	;;#ASMSTART
	v_pk_add_f16 v4, v4, v5;

	;;#ASMEND
	;;#ASMSTART
	v_pk_add_f16 v4, v4, v6;

	;;#ASMEND
	;; [unrolled: 4-line block ×3, first 2 shown]
	v_lshrrev_b32_e32 v5, 16, v4
	v_and_b32_e32 v4, 0xffff, v4
	;;#ASMSTART
	v_cvt_f32_f16 v41, v4;
	;;#ASMEND
	;;#ASMSTART
	v_cvt_f32_f16 v42, v5;
	;;#ASMEND
	v_accvgpr_read_b32 v4, a4
	flat_load_dwordx2 v[30:31], v[18:19] offset:512
	v_accvgpr_read_b32 v5, a5
	flat_load_dword v12, v[4:5]
	v_mov_b32_e32 v28, 0
	v_mov_b32_e32 v24, 0
	s_waitcnt vmcnt(0) lgkmcnt(0)
	v_cmp_ne_u16_sdwa s[4:5], v30, v11 src0_sel:BYTE_0 src1_sel:DWORD
	s_and_saveexec_b64 s[22:23], s[4:5]
	s_cbranch_execz .LBB293_387
; %bb.382:                              ;   in Loop: Header=BB293_331 Depth=1
	v_cmp_ne_u16_sdwa s[4:5], v30, s7 src0_sel:BYTE_0 src1_sel:DWORD
	v_bfrev_b32_e32 v24, 1
	s_and_saveexec_b64 s[24:25], s[4:5]
	s_cbranch_execz .LBB293_386
; %bb.383:                              ;   in Loop: Header=BB293_331 Depth=1
	v_and_b32_e32 v4, 0x7f, v30
	v_cmp_ne_u32_e64 s[4:5], s15, v4
	v_mov_b32_e32 v24, 0x7fc02000
	s_and_saveexec_b64 s[26:27], s[4:5]
	s_cbranch_execz .LBB293_385
; %bb.384:                              ;   in Loop: Header=BB293_331 Depth=1
	v_and_b32_e32 v5, 7, v30
	v_ffbh_u32_e32 v5, v5
	v_min_u32_e32 v5, 32, v5
	v_subrev_u32_e32 v10, 28, v5
	v_cmp_gt_u32_e64 s[4:5], 8, v4
	v_lshrrev_b32_e32 v6, 3, v4
	v_cndmask_b32_e64 v4, 0, v10, s[4:5]
	v_sub_u32_e32 v16, 29, v5
	v_lshlrev_b64 v[4:5], v4, v[30:31]
	v_cndmask_b32_e64 v5, v6, v16, s[4:5]
	v_lshlrev_b32_e32 v6, 8, v30
	v_lshl_add_u32 v5, v5, 10, v35
	v_lshlrev_b32_e32 v4, 7, v4
	v_and_or_b32 v5, v6, s19, v5
	v_and_or_b32 v4, v4, s28, v5
	v_cvt_f32_f16_e32 v24, v4
.LBB293_385:                            ;   in Loop: Header=BB293_331 Depth=1
	s_or_b64 exec, exec, s[26:27]
.LBB293_386:                            ;   in Loop: Header=BB293_331 Depth=1
	s_or_b64 exec, exec, s[24:25]
.LBB293_387:                            ;   in Loop: Header=BB293_331 Depth=1
	s_or_b64 exec, exec, s[22:23]
	v_lshrrev_b16_e32 v10, 8, v30
	v_cmp_ne_u16_e64 s[4:5], 0, v10
	s_and_saveexec_b64 s[22:23], s[4:5]
	s_cbranch_execz .LBB293_393
; %bb.388:                              ;   in Loop: Header=BB293_331 Depth=1
	v_cmp_ne_u16_e64 s[4:5], s7, v10
	v_bfrev_b32_e32 v28, 1
	s_and_saveexec_b64 s[24:25], s[4:5]
	s_cbranch_execz .LBB293_392
; %bb.389:                              ;   in Loop: Header=BB293_331 Depth=1
	v_and_b32_e32 v4, 0x7f, v10
	v_cmp_ne_u32_e64 s[4:5], s15, v4
	v_mov_b32_e32 v28, 0x7fc02000
	s_and_saveexec_b64 s[26:27], s[4:5]
	s_cbranch_execz .LBB293_391
; %bb.390:                              ;   in Loop: Header=BB293_331 Depth=1
	v_and_b32_e32 v5, 7, v10
	v_ffbh_u32_e32 v16, v5
	v_min_u32_e32 v16, 32, v16
	v_lshrrev_b32_e32 v6, 3, v4
	v_subrev_u32_e32 v17, 28, v16
	v_sub_u32_e32 v16, 29, v16
	v_cmp_gt_u32_e64 s[4:5], 8, v4
	v_lshlrev_b64 v[26:27], v17, v[10:11]
	v_cndmask_b32_e64 v4, v6, v16, s[4:5]
	v_and_b32_e32 v17, 7, v26
	v_lshlrev_b32_e32 v6, 8, v10
	v_lshl_add_u32 v4, v4, 10, v35
	v_cndmask_b32_e64 v5, v5, v17, s[4:5]
	v_and_or_b32 v4, v6, s19, v4
	v_lshl_or_b32 v4, v5, 7, v4
	v_cvt_f32_f16_e32 v28, v4
.LBB293_391:                            ;   in Loop: Header=BB293_331 Depth=1
	s_or_b64 exec, exec, s[26:27]
.LBB293_392:                            ;   in Loop: Header=BB293_331 Depth=1
	s_or_b64 exec, exec, s[24:25]
.LBB293_393:                            ;   in Loop: Header=BB293_331 Depth=1
	s_or_b64 exec, exec, s[22:23]
	v_lshrrev_b32_e32 v10, 16, v30
	v_cmp_ne_u16_sdwa s[4:5], v10, v11 src0_sel:BYTE_0 src1_sel:DWORD
	v_mov_b32_e32 v29, 0
	v_mov_b32_e32 v25, 0
	s_and_saveexec_b64 s[22:23], s[4:5]
	s_cbranch_execz .LBB293_399
; %bb.394:                              ;   in Loop: Header=BB293_331 Depth=1
	v_cmp_ne_u16_sdwa s[4:5], v10, s7 src0_sel:BYTE_0 src1_sel:DWORD
	v_bfrev_b32_e32 v25, 1
	s_and_saveexec_b64 s[24:25], s[4:5]
	s_cbranch_execz .LBB293_398
; %bb.395:                              ;   in Loop: Header=BB293_331 Depth=1
	v_bfe_u32 v4, v30, 16, 7
	v_cmp_ne_u32_e64 s[4:5], s15, v4
	v_mov_b32_e32 v25, 0x7fc02000
	s_and_saveexec_b64 s[26:27], s[4:5]
	s_cbranch_execz .LBB293_397
; %bb.396:                              ;   in Loop: Header=BB293_331 Depth=1
	v_and_b32_e32 v5, 7, v10
	v_ffbh_u32_e32 v16, v5
	v_min_u32_e32 v16, 32, v16
	v_lshrrev_b32_e32 v6, 3, v4
	v_subrev_u32_e32 v17, 28, v16
	v_sub_u32_e32 v16, 29, v16
	v_cmp_gt_u32_e64 s[4:5], 8, v4
	v_lshlrev_b64 v[26:27], v17, v[10:11]
	v_cndmask_b32_e64 v4, v6, v16, s[4:5]
	v_and_b32_e32 v17, 7, v26
	v_lshlrev_b32_e32 v6, 8, v10
	v_lshl_add_u32 v4, v4, 10, v35
	v_cndmask_b32_e64 v5, v5, v17, s[4:5]
	v_and_or_b32 v4, v6, s19, v4
	v_lshl_or_b32 v4, v5, 7, v4
	v_cvt_f32_f16_e32 v25, v4
.LBB293_397:                            ;   in Loop: Header=BB293_331 Depth=1
	s_or_b64 exec, exec, s[26:27]
.LBB293_398:                            ;   in Loop: Header=BB293_331 Depth=1
	s_or_b64 exec, exec, s[24:25]
.LBB293_399:                            ;   in Loop: Header=BB293_331 Depth=1
	s_or_b64 exec, exec, s[22:23]
	v_cmp_lt_u32_e64 s[4:5], s11, v30
	s_and_saveexec_b64 s[22:23], s[4:5]
	s_cbranch_execz .LBB293_405
; %bb.400:                              ;   in Loop: Header=BB293_331 Depth=1
	v_lshrrev_b32_e32 v10, 24, v30
	v_cmp_ne_u32_e64 s[4:5], s7, v10
	v_bfrev_b32_e32 v29, 1
	s_and_saveexec_b64 s[24:25], s[4:5]
	s_cbranch_execz .LBB293_404
; %bb.401:                              ;   in Loop: Header=BB293_331 Depth=1
	v_and_b32_e32 v4, 0x7f, v10
	v_cmp_ne_u32_e64 s[4:5], s15, v4
	v_mov_b32_e32 v29, 0x7fc02000
	s_and_saveexec_b64 s[26:27], s[4:5]
	s_cbranch_execz .LBB293_403
; %bb.402:                              ;   in Loop: Header=BB293_331 Depth=1
	v_and_b32_e32 v5, 7, v10
	v_ffbh_u32_e32 v16, v5
	v_min_u32_e32 v16, 32, v16
	v_lshrrev_b32_e32 v6, 3, v4
	v_subrev_u32_e32 v17, 28, v16
	v_sub_u32_e32 v16, 29, v16
	v_cmp_gt_u32_e64 s[4:5], 8, v4
	v_lshlrev_b64 v[26:27], v17, v[10:11]
	v_cndmask_b32_e64 v4, v6, v16, s[4:5]
	v_and_b32_e32 v17, 7, v26
	v_lshlrev_b32_e32 v6, 8, v10
	v_lshl_add_u32 v4, v4, 10, v35
	v_cndmask_b32_e64 v5, v5, v17, s[4:5]
	v_and_or_b32 v4, v6, s19, v4
	v_lshl_or_b32 v4, v5, 7, v4
	v_cvt_f32_f16_e32 v29, v4
.LBB293_403:                            ;   in Loop: Header=BB293_331 Depth=1
	s_or_b64 exec, exec, s[26:27]
.LBB293_404:                            ;   in Loop: Header=BB293_331 Depth=1
	s_or_b64 exec, exec, s[24:25]
.LBB293_405:                            ;   in Loop: Header=BB293_331 Depth=1
	s_or_b64 exec, exec, s[22:23]
	v_mov_b32_e32 v10, v31
	v_cmp_ne_u16_sdwa s[4:5], v31, v11 src0_sel:BYTE_0 src1_sel:DWORD
	v_mov_b32_e32 v5, 0
	v_mov_b32_e32 v4, 0
	s_and_saveexec_b64 s[22:23], s[4:5]
	s_cbranch_execz .LBB293_411
; %bb.406:                              ;   in Loop: Header=BB293_331 Depth=1
	v_cmp_ne_u16_sdwa s[4:5], v31, s7 src0_sel:BYTE_0 src1_sel:DWORD
	v_bfrev_b32_e32 v4, 1
	s_and_saveexec_b64 s[24:25], s[4:5]
	s_cbranch_execz .LBB293_410
; %bb.407:                              ;   in Loop: Header=BB293_331 Depth=1
	v_and_b32_e32 v6, 0x7f, v31
	v_cmp_ne_u32_e64 s[4:5], s15, v6
	v_mov_b32_e32 v4, 0x7fc02000
	s_and_saveexec_b64 s[26:27], s[4:5]
	s_cbranch_execz .LBB293_409
; %bb.408:                              ;   in Loop: Header=BB293_331 Depth=1
	v_and_b32_e32 v4, 7, v31
	v_ffbh_u32_e32 v4, v4
	v_min_u32_e32 v4, 32, v4
	v_lshrrev_b32_e32 v16, 3, v6
	v_subrev_u32_e32 v17, 28, v4
	v_sub_u32_e32 v4, 29, v4
	v_cmp_gt_u32_e64 s[4:5], 8, v6
	v_cndmask_b32_e64 v6, 0, v17, s[4:5]
	v_cndmask_b32_e64 v4, v16, v4, s[4:5]
	v_lshlrev_b64 v[26:27], v6, v[10:11]
	v_lshlrev_b32_e32 v16, 8, v31
	v_lshl_add_u32 v4, v4, 10, v35
	v_lshlrev_b32_e32 v6, 7, v26
	v_and_or_b32 v4, v16, s19, v4
	v_and_or_b32 v4, v6, s28, v4
	v_cvt_f32_f16_e32 v4, v4
.LBB293_409:                            ;   in Loop: Header=BB293_331 Depth=1
	s_or_b64 exec, exec, s[26:27]
.LBB293_410:                            ;   in Loop: Header=BB293_331 Depth=1
	s_or_b64 exec, exec, s[24:25]
.LBB293_411:                            ;   in Loop: Header=BB293_331 Depth=1
	s_or_b64 exec, exec, s[22:23]
	v_lshrrev_b16_e32 v10, 8, v10
	v_cmp_ne_u16_e64 s[4:5], 0, v10
	s_and_saveexec_b64 s[22:23], s[4:5]
	s_cbranch_execz .LBB293_417
; %bb.412:                              ;   in Loop: Header=BB293_331 Depth=1
	v_cmp_ne_u16_e64 s[4:5], s7, v10
	v_bfrev_b32_e32 v5, 1
	s_and_saveexec_b64 s[24:25], s[4:5]
	s_cbranch_execz .LBB293_416
; %bb.413:                              ;   in Loop: Header=BB293_331 Depth=1
	v_and_b32_e32 v6, 0x7f, v10
	v_cmp_ne_u32_e64 s[4:5], s15, v6
	v_mov_b32_e32 v5, 0x7fc02000
	s_and_saveexec_b64 s[26:27], s[4:5]
	s_cbranch_execz .LBB293_415
; %bb.414:                              ;   in Loop: Header=BB293_331 Depth=1
	v_and_b32_e32 v5, 7, v10
	v_ffbh_u32_e32 v17, v5
	v_min_u32_e32 v17, 32, v17
	v_lshrrev_b32_e32 v16, 3, v6
	v_subrev_u32_e32 v22, 28, v17
	v_sub_u32_e32 v17, 29, v17
	v_cmp_gt_u32_e64 s[4:5], 8, v6
	v_lshlrev_b64 v[26:27], v22, v[10:11]
	v_cndmask_b32_e64 v6, v16, v17, s[4:5]
	v_and_b32_e32 v22, 7, v26
	v_lshlrev_b32_e32 v10, 8, v10
	v_lshl_add_u32 v6, v6, 10, v35
	v_cndmask_b32_e64 v5, v5, v22, s[4:5]
	v_and_or_b32 v6, v10, s19, v6
	v_lshl_or_b32 v5, v5, 7, v6
	v_cvt_f32_f16_e32 v5, v5
.LBB293_415:                            ;   in Loop: Header=BB293_331 Depth=1
	s_or_b64 exec, exec, s[26:27]
.LBB293_416:                            ;   in Loop: Header=BB293_331 Depth=1
	s_or_b64 exec, exec, s[24:25]
.LBB293_417:                            ;   in Loop: Header=BB293_331 Depth=1
	s_or_b64 exec, exec, s[22:23]
	v_lshrrev_b32_e32 v10, 16, v31
	v_cmp_ne_u16_sdwa s[4:5], v10, v11 src0_sel:BYTE_0 src1_sel:DWORD
	v_mov_b32_e32 v6, 0
	v_mov_b32_e32 v17, 0
	s_and_saveexec_b64 s[22:23], s[4:5]
	s_cbranch_execz .LBB293_423
; %bb.418:                              ;   in Loop: Header=BB293_331 Depth=1
	v_cmp_ne_u16_sdwa s[4:5], v10, s7 src0_sel:BYTE_0 src1_sel:DWORD
	v_bfrev_b32_e32 v17, 1
	s_and_saveexec_b64 s[24:25], s[4:5]
	s_cbranch_execz .LBB293_422
; %bb.419:                              ;   in Loop: Header=BB293_331 Depth=1
	v_bfe_u32 v22, v31, 16, 7
	v_cmp_ne_u32_e64 s[4:5], s15, v22
	v_mov_b32_e32 v17, 0x7fc02000
	s_and_saveexec_b64 s[26:27], s[4:5]
	s_cbranch_execz .LBB293_421
; %bb.420:                              ;   in Loop: Header=BB293_331 Depth=1
	v_and_b32_e32 v16, 7, v10
	v_ffbh_u32_e32 v26, v16
	v_min_u32_e32 v32, 32, v26
	v_subrev_u32_e32 v26, 28, v32
	v_lshlrev_b64 v[26:27], v26, v[10:11]
	v_lshrrev_b32_e32 v17, 3, v22
	v_sub_u32_e32 v27, 29, v32
	v_cmp_gt_u32_e64 s[4:5], 8, v22
	v_cndmask_b32_e64 v17, v17, v27, s[4:5]
	v_and_b32_e32 v26, 7, v26
	v_lshlrev_b32_e32 v10, 8, v10
	v_lshl_add_u32 v17, v17, 10, v35
	v_cndmask_b32_e64 v16, v16, v26, s[4:5]
	v_and_or_b32 v10, v10, s19, v17
	v_lshl_or_b32 v10, v16, 7, v10
	v_cvt_f32_f16_e32 v17, v10
.LBB293_421:                            ;   in Loop: Header=BB293_331 Depth=1
	s_or_b64 exec, exec, s[26:27]
.LBB293_422:                            ;   in Loop: Header=BB293_331 Depth=1
	s_or_b64 exec, exec, s[24:25]
.LBB293_423:                            ;   in Loop: Header=BB293_331 Depth=1
	s_or_b64 exec, exec, s[22:23]
	v_cmp_lt_u64_e64 s[4:5], s[10:11], v[30:31]
	s_and_saveexec_b64 s[22:23], s[4:5]
	s_cbranch_execz .LBB293_429
; %bb.424:                              ;   in Loop: Header=BB293_331 Depth=1
	v_lshrrev_b32_e32 v10, 24, v31
	v_cmp_ne_u32_e64 s[4:5], s7, v10
	v_bfrev_b32_e32 v6, 1
	s_and_saveexec_b64 s[24:25], s[4:5]
	s_cbranch_execz .LBB293_428
; %bb.425:                              ;   in Loop: Header=BB293_331 Depth=1
	v_and_b32_e32 v22, 0x7f, v10
	v_cmp_ne_u32_e64 s[4:5], s15, v22
	v_mov_b32_e32 v6, 0x7fc02000
	s_and_saveexec_b64 s[26:27], s[4:5]
	s_cbranch_execz .LBB293_427
; %bb.426:                              ;   in Loop: Header=BB293_331 Depth=1
	v_and_b32_e32 v6, 7, v10
	v_ffbh_u32_e32 v26, v6
	v_min_u32_e32 v30, 32, v26
	v_subrev_u32_e32 v26, 28, v30
	v_lshlrev_b64 v[26:27], v26, v[10:11]
	v_lshrrev_b32_e32 v16, 3, v22
	v_sub_u32_e32 v27, 29, v30
	v_cmp_gt_u32_e64 s[4:5], 8, v22
	v_cndmask_b32_e64 v16, v16, v27, s[4:5]
	v_and_b32_e32 v26, 7, v26
	v_lshlrev_b32_e32 v10, 8, v10
	v_lshl_add_u32 v16, v16, 10, v35
	v_cndmask_b32_e64 v6, v6, v26, s[4:5]
	v_and_or_b32 v10, v10, s19, v16
	v_lshl_or_b32 v6, v6, 7, v10
	v_cvt_f32_f16_e32 v6, v6
.LBB293_427:                            ;   in Loop: Header=BB293_331 Depth=1
	s_or_b64 exec, exec, s[26:27]
.LBB293_428:                            ;   in Loop: Header=BB293_331 Depth=1
	s_or_b64 exec, exec, s[24:25]
.LBB293_429:                            ;   in Loop: Header=BB293_331 Depth=1
	s_or_b64 exec, exec, s[22:23]
	v_pk_mul_f32 v[26:27], v[12:13], v[28:29] op_sel_hi:[0,1]
	v_pk_mul_f32 v[24:25], v[12:13], v[24:25] op_sel_hi:[0,1]
	v_cvt_f16_f32_e32 v10, v27
	v_cvt_f16_f32_e32 v16, v26
	;; [unrolled: 1-line block ×4, first 2 shown]
	v_fma_mixlo_f16 v5, v12, v5, 0
	v_lshlrev_b32_e32 v5, 16, v5
	v_fma_mixlo_f16 v4, v12, v4, 0
	v_or_b32_sdwa v4, v5, v4 dst_sel:DWORD dst_unused:UNUSED_PAD src0_sel:DWORD src1_sel:WORD_0
	v_fma_mixlo_f16 v5, v12, v6, 0
	v_pack_b32_f16 v16, v16, v10
	v_pack_b32_f16 v22, v24, v22
	v_fma_mixlo_f16 v17, v12, v17, 0
	v_lshlrev_b32_e32 v5, 16, v5
	v_perm_b32 v10, v22, v16, s29
	v_perm_b32 v22, v22, v16, s30
	v_or_b32_sdwa v5, v5, v17 dst_sel:DWORD dst_unused:UNUSED_PAD src0_sel:DWORD src1_sel:WORD_0
	s_and_saveexec_b64 s[22:23], vcc
	s_cbranch_execz .LBB293_431
; %bb.430:                              ;   in Loop: Header=BB293_331 Depth=1
	v_lshrrev_b32_e32 v6, 16, v22
	v_cmp_lt_i32_e64 s[4:5], v52, v13
	v_accvgpr_read_b32 v16, a8
	v_cndmask_b32_e64 v6, 0, v6, s[4:5]
	v_cmp_lt_i32_e64 s[4:5], v7, v16
	v_cndmask_b32_e64 v12, 0, v22, s[4:5]
	v_perm_b32 v22, v6, v12, s31
	v_lshrrev_b32_e32 v6, 16, v10
	v_cmp_lt_i32_e64 s[4:5], v51, v13
	v_cndmask_b32_e64 v6, 0, v6, s[4:5]
	v_cmp_lt_i32_e64 s[4:5], v50, v16
	v_cndmask_b32_e64 v10, 0, v10, s[4:5]
	v_perm_b32 v10, v6, v10, s31
	v_lshrrev_b32_e32 v6, 16, v4
	v_cmp_lt_i32_e64 s[4:5], v49, v13
	v_cndmask_b32_e64 v6, 0, v6, s[4:5]
	v_cmp_lt_i32_e64 s[4:5], v48, v16
	v_cndmask_b32_e64 v4, 0, v4, s[4:5]
	v_lshrrev_b32_e32 v5, 16, v5
	v_cmp_lt_i32_e64 s[4:5], v39, v13
	v_cndmask_b32_e64 v5, 0, v5, s[4:5]
	v_cmp_lt_i32_e64 s[4:5], v36, v16
	v_perm_b32 v4, v6, v4, s31
	v_cndmask_b32_e64 v6, 0, v17, s[4:5]
	v_perm_b32 v5, v5, v6, s31
.LBB293_431:                            ;   in Loop: Header=BB293_331 Depth=1
	s_or_b64 exec, exec, s[22:23]
	;;#ASMSTART
	v_pk_mul_f16 v6, v53, v22;

	;;#ASMEND
	;;#ASMSTART
	v_pk_mul_f16 v10, v54, v10;

	;;#ASMEND
	;; [unrolled: 4-line block ×4, first 2 shown]
	;;#ASMSTART
	v_pk_add_f16 v6, v6, v10;

	;;#ASMEND
	;;#ASMSTART
	v_pk_add_f16 v4, v6, v4;

	;;#ASMEND
	;; [unrolled: 4-line block ×3, first 2 shown]
	v_lshrrev_b32_e32 v5, 16, v4
	v_and_b32_e32 v4, 0xffff, v4
	;;#ASMSTART
	v_cvt_f32_f16 v43, v4;
	;;#ASMEND
	;;#ASMSTART
	v_cvt_f32_f16 v44, v5;
	;;#ASMEND
	v_accvgpr_read_b32 v4, a4
	flat_load_dwordx2 v[30:31], v[18:19] offset:1024
	v_accvgpr_read_b32 v5, a5
	flat_load_dword v12, v[4:5]
	v_mov_b32_e32 v28, 0
	v_mov_b32_e32 v24, 0
	s_waitcnt vmcnt(0) lgkmcnt(0)
	v_cmp_ne_u16_sdwa s[4:5], v30, v11 src0_sel:BYTE_0 src1_sel:DWORD
	s_and_saveexec_b64 s[22:23], s[4:5]
	s_cbranch_execz .LBB293_437
; %bb.432:                              ;   in Loop: Header=BB293_331 Depth=1
	v_cmp_ne_u16_sdwa s[4:5], v30, s7 src0_sel:BYTE_0 src1_sel:DWORD
	v_bfrev_b32_e32 v24, 1
	s_and_saveexec_b64 s[24:25], s[4:5]
	s_cbranch_execz .LBB293_436
; %bb.433:                              ;   in Loop: Header=BB293_331 Depth=1
	v_and_b32_e32 v4, 0x7f, v30
	v_cmp_ne_u32_e64 s[4:5], s15, v4
	v_mov_b32_e32 v24, 0x7fc02000
	s_and_saveexec_b64 s[26:27], s[4:5]
	s_cbranch_execz .LBB293_435
; %bb.434:                              ;   in Loop: Header=BB293_331 Depth=1
	v_and_b32_e32 v5, 7, v30
	v_ffbh_u32_e32 v5, v5
	v_min_u32_e32 v5, 32, v5
	v_subrev_u32_e32 v10, 28, v5
	v_cmp_gt_u32_e64 s[4:5], 8, v4
	v_lshrrev_b32_e32 v6, 3, v4
	v_cndmask_b32_e64 v4, 0, v10, s[4:5]
	v_sub_u32_e32 v16, 29, v5
	v_lshlrev_b64 v[4:5], v4, v[30:31]
	v_cndmask_b32_e64 v5, v6, v16, s[4:5]
	v_lshlrev_b32_e32 v6, 8, v30
	v_lshl_add_u32 v5, v5, 10, v35
	v_lshlrev_b32_e32 v4, 7, v4
	v_and_or_b32 v5, v6, s19, v5
	v_and_or_b32 v4, v4, s28, v5
	v_cvt_f32_f16_e32 v24, v4
.LBB293_435:                            ;   in Loop: Header=BB293_331 Depth=1
	s_or_b64 exec, exec, s[26:27]
.LBB293_436:                            ;   in Loop: Header=BB293_331 Depth=1
	s_or_b64 exec, exec, s[24:25]
.LBB293_437:                            ;   in Loop: Header=BB293_331 Depth=1
	s_or_b64 exec, exec, s[22:23]
	v_lshrrev_b16_e32 v10, 8, v30
	v_cmp_ne_u16_e64 s[4:5], 0, v10
	s_and_saveexec_b64 s[22:23], s[4:5]
	s_cbranch_execz .LBB293_443
; %bb.438:                              ;   in Loop: Header=BB293_331 Depth=1
	v_cmp_ne_u16_e64 s[4:5], s7, v10
	v_bfrev_b32_e32 v28, 1
	s_and_saveexec_b64 s[24:25], s[4:5]
	s_cbranch_execz .LBB293_442
; %bb.439:                              ;   in Loop: Header=BB293_331 Depth=1
	v_and_b32_e32 v4, 0x7f, v10
	v_cmp_ne_u32_e64 s[4:5], s15, v4
	v_mov_b32_e32 v28, 0x7fc02000
	s_and_saveexec_b64 s[26:27], s[4:5]
	s_cbranch_execz .LBB293_441
; %bb.440:                              ;   in Loop: Header=BB293_331 Depth=1
	v_and_b32_e32 v5, 7, v10
	v_ffbh_u32_e32 v16, v5
	v_min_u32_e32 v16, 32, v16
	v_lshrrev_b32_e32 v6, 3, v4
	v_subrev_u32_e32 v17, 28, v16
	v_sub_u32_e32 v16, 29, v16
	v_cmp_gt_u32_e64 s[4:5], 8, v4
	v_lshlrev_b64 v[26:27], v17, v[10:11]
	v_cndmask_b32_e64 v4, v6, v16, s[4:5]
	v_and_b32_e32 v17, 7, v26
	v_lshlrev_b32_e32 v6, 8, v10
	v_lshl_add_u32 v4, v4, 10, v35
	v_cndmask_b32_e64 v5, v5, v17, s[4:5]
	v_and_or_b32 v4, v6, s19, v4
	v_lshl_or_b32 v4, v5, 7, v4
	v_cvt_f32_f16_e32 v28, v4
.LBB293_441:                            ;   in Loop: Header=BB293_331 Depth=1
	s_or_b64 exec, exec, s[26:27]
.LBB293_442:                            ;   in Loop: Header=BB293_331 Depth=1
	s_or_b64 exec, exec, s[24:25]
.LBB293_443:                            ;   in Loop: Header=BB293_331 Depth=1
	s_or_b64 exec, exec, s[22:23]
	v_lshrrev_b32_e32 v10, 16, v30
	v_cmp_ne_u16_sdwa s[4:5], v10, v11 src0_sel:BYTE_0 src1_sel:DWORD
	v_mov_b32_e32 v29, 0
	v_mov_b32_e32 v25, 0
	s_and_saveexec_b64 s[22:23], s[4:5]
	s_cbranch_execz .LBB293_449
; %bb.444:                              ;   in Loop: Header=BB293_331 Depth=1
	v_cmp_ne_u16_sdwa s[4:5], v10, s7 src0_sel:BYTE_0 src1_sel:DWORD
	v_bfrev_b32_e32 v25, 1
	s_and_saveexec_b64 s[24:25], s[4:5]
	s_cbranch_execz .LBB293_448
; %bb.445:                              ;   in Loop: Header=BB293_331 Depth=1
	v_bfe_u32 v4, v30, 16, 7
	v_cmp_ne_u32_e64 s[4:5], s15, v4
	v_mov_b32_e32 v25, 0x7fc02000
	s_and_saveexec_b64 s[26:27], s[4:5]
	s_cbranch_execz .LBB293_447
; %bb.446:                              ;   in Loop: Header=BB293_331 Depth=1
	v_and_b32_e32 v5, 7, v10
	v_ffbh_u32_e32 v16, v5
	v_min_u32_e32 v16, 32, v16
	v_lshrrev_b32_e32 v6, 3, v4
	v_subrev_u32_e32 v17, 28, v16
	v_sub_u32_e32 v16, 29, v16
	v_cmp_gt_u32_e64 s[4:5], 8, v4
	v_lshlrev_b64 v[26:27], v17, v[10:11]
	v_cndmask_b32_e64 v4, v6, v16, s[4:5]
	v_and_b32_e32 v17, 7, v26
	v_lshlrev_b32_e32 v6, 8, v10
	v_lshl_add_u32 v4, v4, 10, v35
	v_cndmask_b32_e64 v5, v5, v17, s[4:5]
	v_and_or_b32 v4, v6, s19, v4
	v_lshl_or_b32 v4, v5, 7, v4
	v_cvt_f32_f16_e32 v25, v4
.LBB293_447:                            ;   in Loop: Header=BB293_331 Depth=1
	s_or_b64 exec, exec, s[26:27]
.LBB293_448:                            ;   in Loop: Header=BB293_331 Depth=1
	s_or_b64 exec, exec, s[24:25]
.LBB293_449:                            ;   in Loop: Header=BB293_331 Depth=1
	s_or_b64 exec, exec, s[22:23]
	v_cmp_lt_u32_e64 s[4:5], s11, v30
	s_and_saveexec_b64 s[22:23], s[4:5]
	s_cbranch_execz .LBB293_455
; %bb.450:                              ;   in Loop: Header=BB293_331 Depth=1
	v_lshrrev_b32_e32 v10, 24, v30
	v_cmp_ne_u32_e64 s[4:5], s7, v10
	v_bfrev_b32_e32 v29, 1
	s_and_saveexec_b64 s[24:25], s[4:5]
	s_cbranch_execz .LBB293_454
; %bb.451:                              ;   in Loop: Header=BB293_331 Depth=1
	v_and_b32_e32 v4, 0x7f, v10
	v_cmp_ne_u32_e64 s[4:5], s15, v4
	v_mov_b32_e32 v29, 0x7fc02000
	s_and_saveexec_b64 s[26:27], s[4:5]
	s_cbranch_execz .LBB293_453
; %bb.452:                              ;   in Loop: Header=BB293_331 Depth=1
	v_and_b32_e32 v5, 7, v10
	v_ffbh_u32_e32 v16, v5
	v_min_u32_e32 v16, 32, v16
	v_lshrrev_b32_e32 v6, 3, v4
	v_subrev_u32_e32 v17, 28, v16
	v_sub_u32_e32 v16, 29, v16
	v_cmp_gt_u32_e64 s[4:5], 8, v4
	v_lshlrev_b64 v[26:27], v17, v[10:11]
	v_cndmask_b32_e64 v4, v6, v16, s[4:5]
	v_and_b32_e32 v17, 7, v26
	v_lshlrev_b32_e32 v6, 8, v10
	v_lshl_add_u32 v4, v4, 10, v35
	v_cndmask_b32_e64 v5, v5, v17, s[4:5]
	v_and_or_b32 v4, v6, s19, v4
	v_lshl_or_b32 v4, v5, 7, v4
	v_cvt_f32_f16_e32 v29, v4
.LBB293_453:                            ;   in Loop: Header=BB293_331 Depth=1
	s_or_b64 exec, exec, s[26:27]
.LBB293_454:                            ;   in Loop: Header=BB293_331 Depth=1
	s_or_b64 exec, exec, s[24:25]
.LBB293_455:                            ;   in Loop: Header=BB293_331 Depth=1
	s_or_b64 exec, exec, s[22:23]
	v_mov_b32_e32 v10, v31
	v_cmp_ne_u16_sdwa s[4:5], v31, v11 src0_sel:BYTE_0 src1_sel:DWORD
	v_mov_b32_e32 v5, 0
	v_mov_b32_e32 v4, 0
	s_and_saveexec_b64 s[22:23], s[4:5]
	s_cbranch_execz .LBB293_461
; %bb.456:                              ;   in Loop: Header=BB293_331 Depth=1
	v_cmp_ne_u16_sdwa s[4:5], v31, s7 src0_sel:BYTE_0 src1_sel:DWORD
	v_bfrev_b32_e32 v4, 1
	s_and_saveexec_b64 s[24:25], s[4:5]
	s_cbranch_execz .LBB293_460
; %bb.457:                              ;   in Loop: Header=BB293_331 Depth=1
	v_and_b32_e32 v6, 0x7f, v31
	v_cmp_ne_u32_e64 s[4:5], s15, v6
	v_mov_b32_e32 v4, 0x7fc02000
	s_and_saveexec_b64 s[26:27], s[4:5]
	s_cbranch_execz .LBB293_459
; %bb.458:                              ;   in Loop: Header=BB293_331 Depth=1
	v_and_b32_e32 v4, 7, v31
	v_ffbh_u32_e32 v4, v4
	v_min_u32_e32 v4, 32, v4
	v_lshrrev_b32_e32 v16, 3, v6
	v_subrev_u32_e32 v17, 28, v4
	v_sub_u32_e32 v4, 29, v4
	v_cmp_gt_u32_e64 s[4:5], 8, v6
	v_cndmask_b32_e64 v6, 0, v17, s[4:5]
	v_cndmask_b32_e64 v4, v16, v4, s[4:5]
	v_lshlrev_b64 v[26:27], v6, v[10:11]
	v_lshlrev_b32_e32 v16, 8, v31
	v_lshl_add_u32 v4, v4, 10, v35
	v_lshlrev_b32_e32 v6, 7, v26
	v_and_or_b32 v4, v16, s19, v4
	v_and_or_b32 v4, v6, s28, v4
	v_cvt_f32_f16_e32 v4, v4
.LBB293_459:                            ;   in Loop: Header=BB293_331 Depth=1
	s_or_b64 exec, exec, s[26:27]
.LBB293_460:                            ;   in Loop: Header=BB293_331 Depth=1
	s_or_b64 exec, exec, s[24:25]
.LBB293_461:                            ;   in Loop: Header=BB293_331 Depth=1
	s_or_b64 exec, exec, s[22:23]
	v_lshrrev_b16_e32 v10, 8, v10
	v_cmp_ne_u16_e64 s[4:5], 0, v10
	s_and_saveexec_b64 s[22:23], s[4:5]
	s_cbranch_execz .LBB293_467
; %bb.462:                              ;   in Loop: Header=BB293_331 Depth=1
	v_cmp_ne_u16_e64 s[4:5], s7, v10
	v_bfrev_b32_e32 v5, 1
	s_and_saveexec_b64 s[24:25], s[4:5]
	s_cbranch_execz .LBB293_466
; %bb.463:                              ;   in Loop: Header=BB293_331 Depth=1
	v_and_b32_e32 v6, 0x7f, v10
	v_cmp_ne_u32_e64 s[4:5], s15, v6
	v_mov_b32_e32 v5, 0x7fc02000
	s_and_saveexec_b64 s[26:27], s[4:5]
	s_cbranch_execz .LBB293_465
; %bb.464:                              ;   in Loop: Header=BB293_331 Depth=1
	v_and_b32_e32 v5, 7, v10
	v_ffbh_u32_e32 v17, v5
	v_min_u32_e32 v17, 32, v17
	v_lshrrev_b32_e32 v16, 3, v6
	v_subrev_u32_e32 v22, 28, v17
	v_sub_u32_e32 v17, 29, v17
	v_cmp_gt_u32_e64 s[4:5], 8, v6
	v_lshlrev_b64 v[26:27], v22, v[10:11]
	v_cndmask_b32_e64 v6, v16, v17, s[4:5]
	v_and_b32_e32 v22, 7, v26
	v_lshlrev_b32_e32 v10, 8, v10
	v_lshl_add_u32 v6, v6, 10, v35
	v_cndmask_b32_e64 v5, v5, v22, s[4:5]
	v_and_or_b32 v6, v10, s19, v6
	v_lshl_or_b32 v5, v5, 7, v6
	v_cvt_f32_f16_e32 v5, v5
.LBB293_465:                            ;   in Loop: Header=BB293_331 Depth=1
	s_or_b64 exec, exec, s[26:27]
.LBB293_466:                            ;   in Loop: Header=BB293_331 Depth=1
	s_or_b64 exec, exec, s[24:25]
.LBB293_467:                            ;   in Loop: Header=BB293_331 Depth=1
	s_or_b64 exec, exec, s[22:23]
	v_lshrrev_b32_e32 v10, 16, v31
	v_cmp_ne_u16_sdwa s[4:5], v10, v11 src0_sel:BYTE_0 src1_sel:DWORD
	v_mov_b32_e32 v6, 0
	v_mov_b32_e32 v17, 0
	s_and_saveexec_b64 s[22:23], s[4:5]
	s_cbranch_execz .LBB293_473
; %bb.468:                              ;   in Loop: Header=BB293_331 Depth=1
	v_cmp_ne_u16_sdwa s[4:5], v10, s7 src0_sel:BYTE_0 src1_sel:DWORD
	v_bfrev_b32_e32 v17, 1
	s_and_saveexec_b64 s[24:25], s[4:5]
	s_cbranch_execz .LBB293_472
; %bb.469:                              ;   in Loop: Header=BB293_331 Depth=1
	v_bfe_u32 v22, v31, 16, 7
	v_cmp_ne_u32_e64 s[4:5], s15, v22
	v_mov_b32_e32 v17, 0x7fc02000
	s_and_saveexec_b64 s[26:27], s[4:5]
	s_cbranch_execz .LBB293_471
; %bb.470:                              ;   in Loop: Header=BB293_331 Depth=1
	v_and_b32_e32 v16, 7, v10
	v_ffbh_u32_e32 v26, v16
	v_min_u32_e32 v32, 32, v26
	v_subrev_u32_e32 v26, 28, v32
	v_lshlrev_b64 v[26:27], v26, v[10:11]
	v_lshrrev_b32_e32 v17, 3, v22
	v_sub_u32_e32 v27, 29, v32
	v_cmp_gt_u32_e64 s[4:5], 8, v22
	v_cndmask_b32_e64 v17, v17, v27, s[4:5]
	v_and_b32_e32 v26, 7, v26
	v_lshlrev_b32_e32 v10, 8, v10
	v_lshl_add_u32 v17, v17, 10, v35
	v_cndmask_b32_e64 v16, v16, v26, s[4:5]
	v_and_or_b32 v10, v10, s19, v17
	v_lshl_or_b32 v10, v16, 7, v10
	v_cvt_f32_f16_e32 v17, v10
.LBB293_471:                            ;   in Loop: Header=BB293_331 Depth=1
	s_or_b64 exec, exec, s[26:27]
.LBB293_472:                            ;   in Loop: Header=BB293_331 Depth=1
	s_or_b64 exec, exec, s[24:25]
.LBB293_473:                            ;   in Loop: Header=BB293_331 Depth=1
	s_or_b64 exec, exec, s[22:23]
	v_cmp_lt_u64_e64 s[4:5], s[10:11], v[30:31]
	s_and_saveexec_b64 s[22:23], s[4:5]
	s_cbranch_execz .LBB293_479
; %bb.474:                              ;   in Loop: Header=BB293_331 Depth=1
	v_lshrrev_b32_e32 v10, 24, v31
	v_cmp_ne_u32_e64 s[4:5], s7, v10
	v_bfrev_b32_e32 v6, 1
	s_and_saveexec_b64 s[24:25], s[4:5]
	s_cbranch_execz .LBB293_478
; %bb.475:                              ;   in Loop: Header=BB293_331 Depth=1
	v_and_b32_e32 v22, 0x7f, v10
	v_cmp_ne_u32_e64 s[4:5], s15, v22
	v_mov_b32_e32 v6, 0x7fc02000
	s_and_saveexec_b64 s[26:27], s[4:5]
	s_cbranch_execz .LBB293_477
; %bb.476:                              ;   in Loop: Header=BB293_331 Depth=1
	v_and_b32_e32 v6, 7, v10
	v_ffbh_u32_e32 v26, v6
	v_min_u32_e32 v30, 32, v26
	v_subrev_u32_e32 v26, 28, v30
	v_lshlrev_b64 v[26:27], v26, v[10:11]
	v_lshrrev_b32_e32 v16, 3, v22
	v_sub_u32_e32 v27, 29, v30
	v_cmp_gt_u32_e64 s[4:5], 8, v22
	v_cndmask_b32_e64 v16, v16, v27, s[4:5]
	v_and_b32_e32 v26, 7, v26
	v_lshlrev_b32_e32 v10, 8, v10
	v_lshl_add_u32 v16, v16, 10, v35
	v_cndmask_b32_e64 v6, v6, v26, s[4:5]
	v_and_or_b32 v10, v10, s19, v16
	v_lshl_or_b32 v6, v6, 7, v10
	v_cvt_f32_f16_e32 v6, v6
.LBB293_477:                            ;   in Loop: Header=BB293_331 Depth=1
	s_or_b64 exec, exec, s[26:27]
.LBB293_478:                            ;   in Loop: Header=BB293_331 Depth=1
	s_or_b64 exec, exec, s[24:25]
.LBB293_479:                            ;   in Loop: Header=BB293_331 Depth=1
	s_or_b64 exec, exec, s[22:23]
	v_pk_mul_f32 v[26:27], v[12:13], v[28:29] op_sel_hi:[0,1]
	v_pk_mul_f32 v[24:25], v[12:13], v[24:25] op_sel_hi:[0,1]
	v_cvt_f16_f32_e32 v10, v27
	v_cvt_f16_f32_e32 v16, v26
	v_cvt_f16_f32_e32 v22, v25
	v_cvt_f16_f32_e32 v24, v24
	v_fma_mixlo_f16 v5, v12, v5, 0
	v_lshlrev_b32_e32 v5, 16, v5
	v_fma_mixlo_f16 v4, v12, v4, 0
	v_or_b32_sdwa v4, v5, v4 dst_sel:DWORD dst_unused:UNUSED_PAD src0_sel:DWORD src1_sel:WORD_0
	v_fma_mixlo_f16 v5, v12, v6, 0
	v_pack_b32_f16 v16, v16, v10
	v_pack_b32_f16 v22, v24, v22
	v_fma_mixlo_f16 v17, v12, v17, 0
	v_lshlrev_b32_e32 v5, 16, v5
	v_perm_b32 v10, v22, v16, s29
	v_perm_b32 v22, v22, v16, s30
	v_or_b32_sdwa v5, v5, v17 dst_sel:DWORD dst_unused:UNUSED_PAD src0_sel:DWORD src1_sel:WORD_0
	s_and_saveexec_b64 s[22:23], vcc
	s_cbranch_execz .LBB293_481
; %bb.480:                              ;   in Loop: Header=BB293_331 Depth=1
	v_lshrrev_b32_e32 v6, 16, v22
	v_cmp_lt_i32_e64 s[4:5], v52, v13
	v_accvgpr_read_b32 v16, a8
	v_cndmask_b32_e64 v6, 0, v6, s[4:5]
	v_cmp_lt_i32_e64 s[4:5], v7, v16
	v_cndmask_b32_e64 v12, 0, v22, s[4:5]
	v_perm_b32 v22, v6, v12, s31
	v_lshrrev_b32_e32 v6, 16, v10
	v_cmp_lt_i32_e64 s[4:5], v51, v13
	v_cndmask_b32_e64 v6, 0, v6, s[4:5]
	v_cmp_lt_i32_e64 s[4:5], v50, v16
	v_cndmask_b32_e64 v10, 0, v10, s[4:5]
	v_perm_b32 v10, v6, v10, s31
	v_lshrrev_b32_e32 v6, 16, v4
	v_cmp_lt_i32_e64 s[4:5], v49, v13
	v_cndmask_b32_e64 v6, 0, v6, s[4:5]
	v_cmp_lt_i32_e64 s[4:5], v48, v16
	v_cndmask_b32_e64 v4, 0, v4, s[4:5]
	v_lshrrev_b32_e32 v5, 16, v5
	v_cmp_lt_i32_e64 s[4:5], v39, v13
	v_cndmask_b32_e64 v5, 0, v5, s[4:5]
	v_cmp_lt_i32_e64 s[4:5], v36, v16
	v_perm_b32 v4, v6, v4, s31
	v_cndmask_b32_e64 v6, 0, v17, s[4:5]
	v_perm_b32 v5, v5, v6, s31
.LBB293_481:                            ;   in Loop: Header=BB293_331 Depth=1
	s_or_b64 exec, exec, s[22:23]
	;;#ASMSTART
	v_pk_mul_f16 v6, v53, v22;

	;;#ASMEND
	;;#ASMSTART
	v_pk_mul_f16 v10, v54, v10;

	;;#ASMEND
	;;#ASMSTART
	v_pk_mul_f16 v4, v55, v4;

	;;#ASMEND
	;;#ASMSTART
	v_pk_mul_f16 v5, v40, v5;

	;;#ASMEND
	;;#ASMSTART
	v_pk_add_f16 v6, v6, v10;

	;;#ASMEND
	;;#ASMSTART
	v_pk_add_f16 v4, v6, v4;

	;;#ASMEND
	;; [unrolled: 4-line block ×3, first 2 shown]
	v_lshrrev_b32_e32 v5, 16, v4
	v_and_b32_e32 v4, 0xffff, v4
	v_accvgpr_read_b32 v17, a5
	;;#ASMSTART
	v_cvt_f32_f16 v4, v4;
	;;#ASMEND
	;;#ASMSTART
	v_cvt_f32_f16 v5, v5;
	;;#ASMEND
	flat_load_dwordx2 v[30:31], v[18:19] offset:1536
	v_accvgpr_read_b32 v16, a4
	flat_load_dword v12, v[16:17]
	v_mov_b32_e32 v28, 0
	v_mov_b32_e32 v24, 0
	s_waitcnt vmcnt(0) lgkmcnt(0)
	v_cmp_ne_u16_sdwa s[4:5], v30, v11 src0_sel:BYTE_0 src1_sel:DWORD
	s_and_saveexec_b64 s[22:23], s[4:5]
	s_cbranch_execz .LBB293_487
; %bb.482:                              ;   in Loop: Header=BB293_331 Depth=1
	v_cmp_ne_u16_sdwa s[4:5], v30, s7 src0_sel:BYTE_0 src1_sel:DWORD
	v_bfrev_b32_e32 v24, 1
	s_and_saveexec_b64 s[24:25], s[4:5]
	s_cbranch_execz .LBB293_486
; %bb.483:                              ;   in Loop: Header=BB293_331 Depth=1
	v_and_b32_e32 v6, 0x7f, v30
	v_cmp_ne_u32_e64 s[4:5], s15, v6
	v_mov_b32_e32 v24, 0x7fc02000
	s_and_saveexec_b64 s[26:27], s[4:5]
	s_cbranch_execz .LBB293_485
; %bb.484:                              ;   in Loop: Header=BB293_331 Depth=1
	v_and_b32_e32 v10, 7, v30
	v_ffbh_u32_e32 v10, v10
	v_min_u32_e32 v10, 32, v10
	v_subrev_u32_e32 v17, 28, v10
	v_cmp_gt_u32_e64 s[4:5], 8, v6
	v_lshrrev_b32_e32 v16, 3, v6
	v_sub_u32_e32 v10, 29, v10
	v_cndmask_b32_e64 v6, 0, v17, s[4:5]
	v_lshlrev_b64 v[24:25], v6, v[30:31]
	v_cndmask_b32_e64 v6, v16, v10, s[4:5]
	v_lshlrev_b32_e32 v16, 8, v30
	v_lshl_add_u32 v6, v6, 10, v35
	v_lshlrev_b32_e32 v10, 7, v24
	v_and_or_b32 v6, v16, s19, v6
	v_and_or_b32 v6, v10, s28, v6
	v_cvt_f32_f16_e32 v24, v6
.LBB293_485:                            ;   in Loop: Header=BB293_331 Depth=1
	s_or_b64 exec, exec, s[26:27]
.LBB293_486:                            ;   in Loop: Header=BB293_331 Depth=1
	s_or_b64 exec, exec, s[24:25]
.LBB293_487:                            ;   in Loop: Header=BB293_331 Depth=1
	s_or_b64 exec, exec, s[22:23]
	v_lshrrev_b16_e32 v10, 8, v30
	v_cmp_ne_u16_e64 s[4:5], 0, v10
	s_and_saveexec_b64 s[22:23], s[4:5]
	s_cbranch_execz .LBB293_493
; %bb.488:                              ;   in Loop: Header=BB293_331 Depth=1
	v_cmp_ne_u16_e64 s[4:5], s7, v10
	v_bfrev_b32_e32 v28, 1
	s_and_saveexec_b64 s[24:25], s[4:5]
	s_cbranch_execz .LBB293_492
; %bb.489:                              ;   in Loop: Header=BB293_331 Depth=1
	v_and_b32_e32 v6, 0x7f, v10
	v_cmp_ne_u32_e64 s[4:5], s15, v6
	v_mov_b32_e32 v28, 0x7fc02000
	s_and_saveexec_b64 s[26:27], s[4:5]
	s_cbranch_execz .LBB293_491
; %bb.490:                              ;   in Loop: Header=BB293_331 Depth=1
	v_and_b32_e32 v16, 7, v10
	v_ffbh_u32_e32 v22, v16
	v_min_u32_e32 v22, 32, v22
	v_lshrrev_b32_e32 v17, 3, v6
	v_subrev_u32_e32 v25, 28, v22
	v_sub_u32_e32 v22, 29, v22
	v_cmp_gt_u32_e64 s[4:5], 8, v6
	v_lshlrev_b64 v[26:27], v25, v[10:11]
	v_cndmask_b32_e64 v6, v17, v22, s[4:5]
	v_and_b32_e32 v25, 7, v26
	v_lshlrev_b32_e32 v10, 8, v10
	v_lshl_add_u32 v6, v6, 10, v35
	v_cndmask_b32_e64 v16, v16, v25, s[4:5]
	v_and_or_b32 v6, v10, s19, v6
	v_lshl_or_b32 v6, v16, 7, v6
	v_cvt_f32_f16_e32 v28, v6
.LBB293_491:                            ;   in Loop: Header=BB293_331 Depth=1
	s_or_b64 exec, exec, s[26:27]
.LBB293_492:                            ;   in Loop: Header=BB293_331 Depth=1
	s_or_b64 exec, exec, s[24:25]
.LBB293_493:                            ;   in Loop: Header=BB293_331 Depth=1
	s_or_b64 exec, exec, s[22:23]
	v_lshrrev_b32_e32 v10, 16, v30
	v_cmp_ne_u16_sdwa s[4:5], v10, v11 src0_sel:BYTE_0 src1_sel:DWORD
	v_mov_b32_e32 v29, 0
	v_mov_b32_e32 v25, 0
	s_and_saveexec_b64 s[22:23], s[4:5]
	s_cbranch_execz .LBB293_499
; %bb.494:                              ;   in Loop: Header=BB293_331 Depth=1
	v_cmp_ne_u16_sdwa s[4:5], v10, s7 src0_sel:BYTE_0 src1_sel:DWORD
	v_bfrev_b32_e32 v25, 1
	s_and_saveexec_b64 s[24:25], s[4:5]
	s_cbranch_execz .LBB293_498
; %bb.495:                              ;   in Loop: Header=BB293_331 Depth=1
	v_bfe_u32 v6, v30, 16, 7
	v_cmp_ne_u32_e64 s[4:5], s15, v6
	v_mov_b32_e32 v25, 0x7fc02000
	s_and_saveexec_b64 s[26:27], s[4:5]
	s_cbranch_execz .LBB293_497
; %bb.496:                              ;   in Loop: Header=BB293_331 Depth=1
	v_and_b32_e32 v16, 7, v10
	v_ffbh_u32_e32 v22, v16
	v_min_u32_e32 v22, 32, v22
	v_lshrrev_b32_e32 v17, 3, v6
	v_subrev_u32_e32 v25, 28, v22
	v_sub_u32_e32 v22, 29, v22
	v_cmp_gt_u32_e64 s[4:5], 8, v6
	v_lshlrev_b64 v[26:27], v25, v[10:11]
	v_cndmask_b32_e64 v6, v17, v22, s[4:5]
	v_and_b32_e32 v25, 7, v26
	v_lshlrev_b32_e32 v10, 8, v10
	v_lshl_add_u32 v6, v6, 10, v35
	v_cndmask_b32_e64 v16, v16, v25, s[4:5]
	v_and_or_b32 v6, v10, s19, v6
	v_lshl_or_b32 v6, v16, 7, v6
	v_cvt_f32_f16_e32 v25, v6
.LBB293_497:                            ;   in Loop: Header=BB293_331 Depth=1
	s_or_b64 exec, exec, s[26:27]
.LBB293_498:                            ;   in Loop: Header=BB293_331 Depth=1
	s_or_b64 exec, exec, s[24:25]
.LBB293_499:                            ;   in Loop: Header=BB293_331 Depth=1
	s_or_b64 exec, exec, s[22:23]
	v_cmp_lt_u32_e64 s[4:5], s11, v30
	s_and_saveexec_b64 s[22:23], s[4:5]
	s_cbranch_execz .LBB293_505
; %bb.500:                              ;   in Loop: Header=BB293_331 Depth=1
	v_lshrrev_b32_e32 v10, 24, v30
	v_cmp_ne_u32_e64 s[4:5], s7, v10
	v_bfrev_b32_e32 v29, 1
	s_and_saveexec_b64 s[24:25], s[4:5]
	s_cbranch_execz .LBB293_504
; %bb.501:                              ;   in Loop: Header=BB293_331 Depth=1
	v_and_b32_e32 v6, 0x7f, v10
	v_cmp_ne_u32_e64 s[4:5], s15, v6
	v_mov_b32_e32 v29, 0x7fc02000
	s_and_saveexec_b64 s[26:27], s[4:5]
	s_cbranch_execz .LBB293_503
; %bb.502:                              ;   in Loop: Header=BB293_331 Depth=1
	v_and_b32_e32 v16, 7, v10
	v_ffbh_u32_e32 v22, v16
	v_min_u32_e32 v22, 32, v22
	v_lshrrev_b32_e32 v17, 3, v6
	v_subrev_u32_e32 v26, 28, v22
	v_sub_u32_e32 v22, 29, v22
	v_cmp_gt_u32_e64 s[4:5], 8, v6
	v_lshlrev_b64 v[26:27], v26, v[10:11]
	v_cndmask_b32_e64 v6, v17, v22, s[4:5]
	v_and_b32_e32 v26, 7, v26
	v_lshlrev_b32_e32 v10, 8, v10
	v_lshl_add_u32 v6, v6, 10, v35
	v_cndmask_b32_e64 v16, v16, v26, s[4:5]
	v_and_or_b32 v6, v10, s19, v6
	v_lshl_or_b32 v6, v16, 7, v6
	v_cvt_f32_f16_e32 v29, v6
.LBB293_503:                            ;   in Loop: Header=BB293_331 Depth=1
	s_or_b64 exec, exec, s[26:27]
.LBB293_504:                            ;   in Loop: Header=BB293_331 Depth=1
	s_or_b64 exec, exec, s[24:25]
.LBB293_505:                            ;   in Loop: Header=BB293_331 Depth=1
	s_or_b64 exec, exec, s[22:23]
	v_mov_b32_e32 v10, v31
	v_cmp_ne_u16_sdwa s[4:5], v31, v11 src0_sel:BYTE_0 src1_sel:DWORD
	v_mov_b32_e32 v22, 0
	v_mov_b32_e32 v17, 0
	s_and_saveexec_b64 s[22:23], s[4:5]
	s_cbranch_execz .LBB293_511
; %bb.506:                              ;   in Loop: Header=BB293_331 Depth=1
	v_cmp_ne_u16_sdwa s[4:5], v31, s7 src0_sel:BYTE_0 src1_sel:DWORD
	v_bfrev_b32_e32 v17, 1
	s_and_saveexec_b64 s[24:25], s[4:5]
	s_cbranch_execz .LBB293_510
; %bb.507:                              ;   in Loop: Header=BB293_331 Depth=1
	v_and_b32_e32 v6, 0x7f, v31
	v_cmp_ne_u32_e64 s[4:5], s15, v6
	v_mov_b32_e32 v17, 0x7fc02000
	s_and_saveexec_b64 s[26:27], s[4:5]
	s_cbranch_execz .LBB293_509
; %bb.508:                              ;   in Loop: Header=BB293_331 Depth=1
	v_and_b32_e32 v16, 7, v31
	v_ffbh_u32_e32 v16, v16
	v_min_u32_e32 v16, 32, v16
	v_subrev_u32_e32 v26, 28, v16
	v_cmp_gt_u32_e64 s[4:5], 8, v6
	v_lshrrev_b32_e32 v17, 3, v6
	v_sub_u32_e32 v16, 29, v16
	v_cndmask_b32_e64 v6, 0, v26, s[4:5]
	v_lshlrev_b64 v[26:27], v6, v[10:11]
	v_cndmask_b32_e64 v6, v17, v16, s[4:5]
	v_lshlrev_b32_e32 v17, 8, v31
	v_lshl_add_u32 v6, v6, 10, v35
	v_lshlrev_b32_e32 v16, 7, v26
	v_and_or_b32 v6, v17, s19, v6
	v_and_or_b32 v6, v16, s28, v6
	v_cvt_f32_f16_e32 v17, v6
.LBB293_509:                            ;   in Loop: Header=BB293_331 Depth=1
	s_or_b64 exec, exec, s[26:27]
.LBB293_510:                            ;   in Loop: Header=BB293_331 Depth=1
	s_or_b64 exec, exec, s[24:25]
.LBB293_511:                            ;   in Loop: Header=BB293_331 Depth=1
	s_or_b64 exec, exec, s[22:23]
	v_lshrrev_b16_e32 v10, 8, v10
	v_cmp_ne_u16_e64 s[4:5], 0, v10
	s_and_saveexec_b64 s[22:23], s[4:5]
	s_cbranch_execz .LBB293_517
; %bb.512:                              ;   in Loop: Header=BB293_331 Depth=1
	v_cmp_ne_u16_e64 s[4:5], s7, v10
	v_bfrev_b32_e32 v22, 1
	s_and_saveexec_b64 s[24:25], s[4:5]
	s_cbranch_execz .LBB293_516
; %bb.513:                              ;   in Loop: Header=BB293_331 Depth=1
	v_and_b32_e32 v6, 0x7f, v10
	v_cmp_ne_u32_e64 s[4:5], s15, v6
	v_mov_b32_e32 v22, 0x7fc02000
	s_and_saveexec_b64 s[26:27], s[4:5]
	s_cbranch_execz .LBB293_515
; %bb.514:                              ;   in Loop: Header=BB293_331 Depth=1
	v_and_b32_e32 v16, 7, v10
	v_ffbh_u32_e32 v26, v16
	v_min_u32_e32 v32, 32, v26
	v_subrev_u32_e32 v26, 28, v32
	v_lshlrev_b64 v[26:27], v26, v[10:11]
	v_lshrrev_b32_e32 v22, 3, v6
	v_sub_u32_e32 v27, 29, v32
	v_cmp_gt_u32_e64 s[4:5], 8, v6
	v_cndmask_b32_e64 v6, v22, v27, s[4:5]
	v_and_b32_e32 v26, 7, v26
	v_lshlrev_b32_e32 v10, 8, v10
	v_lshl_add_u32 v6, v6, 10, v35
	v_cndmask_b32_e64 v16, v16, v26, s[4:5]
	v_and_or_b32 v6, v10, s19, v6
	v_lshl_or_b32 v6, v16, 7, v6
	v_cvt_f32_f16_e32 v22, v6
.LBB293_515:                            ;   in Loop: Header=BB293_331 Depth=1
	s_or_b64 exec, exec, s[26:27]
.LBB293_516:                            ;   in Loop: Header=BB293_331 Depth=1
	s_or_b64 exec, exec, s[24:25]
.LBB293_517:                            ;   in Loop: Header=BB293_331 Depth=1
	s_or_b64 exec, exec, s[22:23]
	v_lshrrev_b32_e32 v10, 16, v31
	v_cmp_ne_u16_sdwa s[4:5], v10, v11 src0_sel:BYTE_0 src1_sel:DWORD
	v_mov_b32_e32 v6, 0
	v_mov_b32_e32 v26, 0
	s_and_saveexec_b64 s[22:23], s[4:5]
	s_cbranch_execz .LBB293_523
; %bb.518:                              ;   in Loop: Header=BB293_331 Depth=1
	v_cmp_ne_u16_sdwa s[4:5], v10, s7 src0_sel:BYTE_0 src1_sel:DWORD
	v_bfrev_b32_e32 v26, 1
	s_and_saveexec_b64 s[24:25], s[4:5]
	s_cbranch_execz .LBB293_522
; %bb.519:                              ;   in Loop: Header=BB293_331 Depth=1
	v_bfe_u32 v27, v31, 16, 7
	v_cmp_ne_u32_e64 s[4:5], s15, v27
	v_mov_b32_e32 v26, 0x7fc02000
	s_and_saveexec_b64 s[26:27], s[4:5]
	s_cbranch_execz .LBB293_521
; %bb.520:                              ;   in Loop: Header=BB293_331 Depth=1
	v_and_b32_e32 v16, 7, v10
	v_ffbh_u32_e32 v32, v16
	v_min_u32_e32 v32, 32, v32
	v_lshrrev_b32_e32 v26, 3, v27
	v_subrev_u32_e32 v45, 28, v32
	v_sub_u32_e32 v32, 29, v32
	v_cmp_gt_u32_e64 s[4:5], 8, v27
	v_lshlrev_b64 v[46:47], v45, v[10:11]
	v_cndmask_b32_e64 v26, v26, v32, s[4:5]
	v_and_b32_e32 v45, 7, v46
	v_lshlrev_b32_e32 v10, 8, v10
	v_lshl_add_u32 v26, v26, 10, v35
	v_cndmask_b32_e64 v16, v16, v45, s[4:5]
	v_and_or_b32 v10, v10, s19, v26
	v_lshl_or_b32 v10, v16, 7, v10
	v_cvt_f32_f16_e32 v26, v10
.LBB293_521:                            ;   in Loop: Header=BB293_331 Depth=1
	s_or_b64 exec, exec, s[26:27]
.LBB293_522:                            ;   in Loop: Header=BB293_331 Depth=1
	s_or_b64 exec, exec, s[24:25]
.LBB293_523:                            ;   in Loop: Header=BB293_331 Depth=1
	s_or_b64 exec, exec, s[22:23]
	v_cmp_lt_u64_e64 s[4:5], s[10:11], v[30:31]
	s_and_saveexec_b64 s[22:23], s[4:5]
	s_cbranch_execz .LBB293_529
; %bb.524:                              ;   in Loop: Header=BB293_331 Depth=1
	v_lshrrev_b32_e32 v10, 24, v31
	v_cmp_ne_u32_e64 s[4:5], s7, v10
	v_bfrev_b32_e32 v6, 1
	s_and_saveexec_b64 s[24:25], s[4:5]
	s_cbranch_execz .LBB293_528
; %bb.525:                              ;   in Loop: Header=BB293_331 Depth=1
	v_and_b32_e32 v27, 0x7f, v10
	v_cmp_ne_u32_e64 s[4:5], s15, v27
	v_mov_b32_e32 v6, 0x7fc02000
	s_and_saveexec_b64 s[26:27], s[4:5]
	s_cbranch_execz .LBB293_527
; %bb.526:                              ;   in Loop: Header=BB293_331 Depth=1
	v_and_b32_e32 v6, 7, v10
	v_ffbh_u32_e32 v30, v6
	v_min_u32_e32 v32, 32, v30
	v_subrev_u32_e32 v30, 28, v32
	v_lshlrev_b64 v[30:31], v30, v[10:11]
	v_lshrrev_b32_e32 v16, 3, v27
	v_sub_u32_e32 v31, 29, v32
	v_cmp_gt_u32_e64 s[4:5], 8, v27
	v_cndmask_b32_e64 v16, v16, v31, s[4:5]
	v_and_b32_e32 v30, 7, v30
	v_lshlrev_b32_e32 v10, 8, v10
	v_lshl_add_u32 v16, v16, 10, v35
	v_cndmask_b32_e64 v6, v6, v30, s[4:5]
	v_and_or_b32 v10, v10, s19, v16
	v_lshl_or_b32 v6, v6, 7, v10
	v_cvt_f32_f16_e32 v6, v6
.LBB293_527:                            ;   in Loop: Header=BB293_331 Depth=1
	s_or_b64 exec, exec, s[26:27]
.LBB293_528:                            ;   in Loop: Header=BB293_331 Depth=1
	s_or_b64 exec, exec, s[24:25]
.LBB293_529:                            ;   in Loop: Header=BB293_331 Depth=1
	s_or_b64 exec, exec, s[22:23]
	v_pk_mul_f32 v[28:29], v[12:13], v[28:29] op_sel_hi:[0,1]
	v_pk_mul_f32 v[24:25], v[12:13], v[24:25] op_sel_hi:[0,1]
	v_cvt_f16_f32_e32 v10, v29
	v_cvt_f16_f32_e32 v16, v28
	;; [unrolled: 1-line block ×4, first 2 shown]
	v_fma_mixlo_f16 v6, v12, v6, 0
	v_pack_b32_f16 v16, v16, v10
	v_fma_mixlo_f16 v17, v12, v17, 0
	v_pack_b32_f16 v24, v24, v25
	v_perm_b32 v10, v24, v16, s29
	v_perm_b32 v24, v24, v16, s30
	v_fma_mixlo_f16 v16, v12, v22, 0
	v_lshlrev_b32_e32 v16, 16, v16
	v_fma_mixlo_f16 v22, v12, v26, 0
	v_lshlrev_b32_e32 v6, 16, v6
	v_or_b32_sdwa v17, v16, v17 dst_sel:DWORD dst_unused:UNUSED_PAD src0_sel:DWORD src1_sel:WORD_0
	v_or_b32_sdwa v6, v6, v22 dst_sel:DWORD dst_unused:UNUSED_PAD src0_sel:DWORD src1_sel:WORD_0
	s_and_saveexec_b64 s[22:23], vcc
	s_cbranch_execz .LBB293_531
; %bb.530:                              ;   in Loop: Header=BB293_331 Depth=1
	v_lshrrev_b32_e32 v12, 16, v24
	v_cmp_lt_i32_e64 s[4:5], v52, v13
	v_accvgpr_read_b32 v26, a8
	v_cndmask_b32_e64 v12, 0, v12, s[4:5]
	v_cmp_lt_i32_e64 s[4:5], v7, v26
	v_cndmask_b32_e64 v16, 0, v24, s[4:5]
	v_perm_b32 v24, v12, v16, s31
	v_lshrrev_b32_e32 v12, 16, v10
	v_cmp_lt_i32_e64 s[4:5], v51, v13
	v_cndmask_b32_e64 v12, 0, v12, s[4:5]
	v_cmp_lt_i32_e64 s[4:5], v50, v26
	v_cndmask_b32_e64 v10, 0, v10, s[4:5]
	v_perm_b32 v10, v12, v10, s31
	v_lshrrev_b32_e32 v12, 16, v17
	v_cmp_lt_i32_e64 s[4:5], v49, v13
	v_cndmask_b32_e64 v12, 0, v12, s[4:5]
	v_cmp_lt_i32_e64 s[4:5], v48, v26
	v_cndmask_b32_e64 v16, 0, v17, s[4:5]
	v_lshrrev_b32_e32 v6, 16, v6
	v_cmp_lt_i32_e64 s[4:5], v39, v13
	v_cndmask_b32_e64 v6, 0, v6, s[4:5]
	v_cmp_lt_i32_e64 s[4:5], v36, v26
	v_perm_b32 v17, v12, v16, s31
	v_cndmask_b32_e64 v12, 0, v22, s[4:5]
	v_perm_b32 v6, v6, v12, s31
.LBB293_531:                            ;   in Loop: Header=BB293_331 Depth=1
	s_or_b64 exec, exec, s[22:23]
	;;#ASMSTART
	v_pk_mul_f16 v12, v53, v24;

	;;#ASMEND
	;;#ASMSTART
	v_pk_mul_f16 v10, v54, v10;

	;;#ASMEND
	;; [unrolled: 4-line block ×4, first 2 shown]
	;;#ASMSTART
	v_pk_add_f16 v10, v12, v10;

	;;#ASMEND
	;;#ASMSTART
	v_pk_add_f16 v10, v10, v16;

	;;#ASMEND
	;; [unrolled: 4-line block ×3, first 2 shown]
	v_accvgpr_read_b32 v25, a5
	v_lshrrev_b32_e32 v10, 16, v6
	v_and_b32_e32 v6, 0xffff, v6
	;;#ASMSTART
	v_cvt_f32_f16 v17, v6;
	;;#ASMEND
	;;#ASMSTART
	v_cvt_f32_f16 v45, v10;
	;;#ASMEND
	flat_load_dwordx2 v[30:31], v[18:19] offset:2048
	v_accvgpr_read_b32 v24, a4
	flat_load_dword v12, v[24:25]
	v_mov_b32_e32 v28, 0
	v_mov_b32_e32 v24, 0
	s_waitcnt vmcnt(0) lgkmcnt(0)
	v_cmp_ne_u16_sdwa s[4:5], v30, v11 src0_sel:BYTE_0 src1_sel:DWORD
	s_and_saveexec_b64 s[22:23], s[4:5]
	s_cbranch_execz .LBB293_537
; %bb.532:                              ;   in Loop: Header=BB293_331 Depth=1
	v_cmp_ne_u16_sdwa s[4:5], v30, s7 src0_sel:BYTE_0 src1_sel:DWORD
	v_bfrev_b32_e32 v24, 1
	s_and_saveexec_b64 s[24:25], s[4:5]
	s_cbranch_execz .LBB293_536
; %bb.533:                              ;   in Loop: Header=BB293_331 Depth=1
	v_and_b32_e32 v6, 0x7f, v30
	v_cmp_ne_u32_e64 s[4:5], s15, v6
	v_mov_b32_e32 v24, 0x7fc02000
	s_and_saveexec_b64 s[26:27], s[4:5]
	s_cbranch_execz .LBB293_535
; %bb.534:                              ;   in Loop: Header=BB293_331 Depth=1
	v_and_b32_e32 v10, 7, v30
	v_ffbh_u32_e32 v10, v10
	v_min_u32_e32 v10, 32, v10
	v_subrev_u32_e32 v22, 28, v10
	v_cmp_gt_u32_e64 s[4:5], 8, v6
	v_lshrrev_b32_e32 v16, 3, v6
	v_sub_u32_e32 v10, 29, v10
	v_cndmask_b32_e64 v6, 0, v22, s[4:5]
	v_lshlrev_b64 v[24:25], v6, v[30:31]
	v_cndmask_b32_e64 v6, v16, v10, s[4:5]
	v_lshlrev_b32_e32 v16, 8, v30
	v_lshl_add_u32 v6, v6, 10, v35
	v_lshlrev_b32_e32 v10, 7, v24
	v_and_or_b32 v6, v16, s19, v6
	v_and_or_b32 v6, v10, s28, v6
	v_cvt_f32_f16_e32 v24, v6
.LBB293_535:                            ;   in Loop: Header=BB293_331 Depth=1
	s_or_b64 exec, exec, s[26:27]
.LBB293_536:                            ;   in Loop: Header=BB293_331 Depth=1
	s_or_b64 exec, exec, s[24:25]
.LBB293_537:                            ;   in Loop: Header=BB293_331 Depth=1
	s_or_b64 exec, exec, s[22:23]
	v_lshrrev_b16_e32 v10, 8, v30
	v_cmp_ne_u16_e64 s[4:5], 0, v10
	s_and_saveexec_b64 s[22:23], s[4:5]
	s_cbranch_execz .LBB293_543
; %bb.538:                              ;   in Loop: Header=BB293_331 Depth=1
	v_cmp_ne_u16_e64 s[4:5], s7, v10
	v_bfrev_b32_e32 v28, 1
	s_and_saveexec_b64 s[24:25], s[4:5]
	s_cbranch_execz .LBB293_542
; %bb.539:                              ;   in Loop: Header=BB293_331 Depth=1
	v_and_b32_e32 v6, 0x7f, v10
	v_cmp_ne_u32_e64 s[4:5], s15, v6
	v_mov_b32_e32 v28, 0x7fc02000
	s_and_saveexec_b64 s[26:27], s[4:5]
	s_cbranch_execz .LBB293_541
; %bb.540:                              ;   in Loop: Header=BB293_331 Depth=1
	v_and_b32_e32 v16, 7, v10
	v_ffbh_u32_e32 v25, v16
	v_min_u32_e32 v25, 32, v25
	v_lshrrev_b32_e32 v22, 3, v6
	v_subrev_u32_e32 v26, 28, v25
	v_sub_u32_e32 v25, 29, v25
	v_cmp_gt_u32_e64 s[4:5], 8, v6
	v_lshlrev_b64 v[26:27], v26, v[10:11]
	v_cndmask_b32_e64 v6, v22, v25, s[4:5]
	v_and_b32_e32 v26, 7, v26
	v_lshlrev_b32_e32 v10, 8, v10
	v_lshl_add_u32 v6, v6, 10, v35
	v_cndmask_b32_e64 v16, v16, v26, s[4:5]
	v_and_or_b32 v6, v10, s19, v6
	v_lshl_or_b32 v6, v16, 7, v6
	v_cvt_f32_f16_e32 v28, v6
.LBB293_541:                            ;   in Loop: Header=BB293_331 Depth=1
	s_or_b64 exec, exec, s[26:27]
.LBB293_542:                            ;   in Loop: Header=BB293_331 Depth=1
	s_or_b64 exec, exec, s[24:25]
.LBB293_543:                            ;   in Loop: Header=BB293_331 Depth=1
	s_or_b64 exec, exec, s[22:23]
	v_lshrrev_b32_e32 v10, 16, v30
	v_cmp_ne_u16_sdwa s[4:5], v10, v11 src0_sel:BYTE_0 src1_sel:DWORD
	v_mov_b32_e32 v29, 0
	v_mov_b32_e32 v25, 0
	s_and_saveexec_b64 s[22:23], s[4:5]
	s_cbranch_execz .LBB293_549
; %bb.544:                              ;   in Loop: Header=BB293_331 Depth=1
	v_cmp_ne_u16_sdwa s[4:5], v10, s7 src0_sel:BYTE_0 src1_sel:DWORD
	v_bfrev_b32_e32 v25, 1
	s_and_saveexec_b64 s[24:25], s[4:5]
	s_cbranch_execz .LBB293_548
; %bb.545:                              ;   in Loop: Header=BB293_331 Depth=1
	v_bfe_u32 v6, v30, 16, 7
	v_cmp_ne_u32_e64 s[4:5], s15, v6
	v_mov_b32_e32 v25, 0x7fc02000
	s_and_saveexec_b64 s[26:27], s[4:5]
	s_cbranch_execz .LBB293_547
; %bb.546:                              ;   in Loop: Header=BB293_331 Depth=1
	v_and_b32_e32 v16, 7, v10
	v_ffbh_u32_e32 v25, v16
	v_min_u32_e32 v25, 32, v25
	v_lshrrev_b32_e32 v22, 3, v6
	v_subrev_u32_e32 v26, 28, v25
	v_sub_u32_e32 v25, 29, v25
	v_cmp_gt_u32_e64 s[4:5], 8, v6
	v_lshlrev_b64 v[26:27], v26, v[10:11]
	v_cndmask_b32_e64 v6, v22, v25, s[4:5]
	v_and_b32_e32 v26, 7, v26
	v_lshlrev_b32_e32 v10, 8, v10
	v_lshl_add_u32 v6, v6, 10, v35
	v_cndmask_b32_e64 v16, v16, v26, s[4:5]
	v_and_or_b32 v6, v10, s19, v6
	v_lshl_or_b32 v6, v16, 7, v6
	v_cvt_f32_f16_e32 v25, v6
.LBB293_547:                            ;   in Loop: Header=BB293_331 Depth=1
	s_or_b64 exec, exec, s[26:27]
.LBB293_548:                            ;   in Loop: Header=BB293_331 Depth=1
	s_or_b64 exec, exec, s[24:25]
.LBB293_549:                            ;   in Loop: Header=BB293_331 Depth=1
	s_or_b64 exec, exec, s[22:23]
	v_cmp_lt_u32_e64 s[4:5], s11, v30
	s_and_saveexec_b64 s[22:23], s[4:5]
	s_cbranch_execz .LBB293_555
; %bb.550:                              ;   in Loop: Header=BB293_331 Depth=1
	v_lshrrev_b32_e32 v10, 24, v30
	v_cmp_ne_u32_e64 s[4:5], s7, v10
	v_bfrev_b32_e32 v29, 1
	s_and_saveexec_b64 s[24:25], s[4:5]
	s_cbranch_execz .LBB293_554
; %bb.551:                              ;   in Loop: Header=BB293_331 Depth=1
	v_and_b32_e32 v6, 0x7f, v10
	v_cmp_ne_u32_e64 s[4:5], s15, v6
	v_mov_b32_e32 v29, 0x7fc02000
	s_and_saveexec_b64 s[26:27], s[4:5]
	s_cbranch_execz .LBB293_553
; %bb.552:                              ;   in Loop: Header=BB293_331 Depth=1
	v_and_b32_e32 v16, 7, v10
	v_ffbh_u32_e32 v26, v16
	v_min_u32_e32 v29, 32, v26
	v_subrev_u32_e32 v26, 28, v29
	v_lshlrev_b64 v[26:27], v26, v[10:11]
	v_lshrrev_b32_e32 v22, 3, v6
	v_sub_u32_e32 v27, 29, v29
	v_cmp_gt_u32_e64 s[4:5], 8, v6
	v_cndmask_b32_e64 v6, v22, v27, s[4:5]
	v_and_b32_e32 v26, 7, v26
	v_lshlrev_b32_e32 v10, 8, v10
	v_lshl_add_u32 v6, v6, 10, v35
	v_cndmask_b32_e64 v16, v16, v26, s[4:5]
	v_and_or_b32 v6, v10, s19, v6
	v_lshl_or_b32 v6, v16, 7, v6
	v_cvt_f32_f16_e32 v29, v6
.LBB293_553:                            ;   in Loop: Header=BB293_331 Depth=1
	s_or_b64 exec, exec, s[26:27]
.LBB293_554:                            ;   in Loop: Header=BB293_331 Depth=1
	s_or_b64 exec, exec, s[24:25]
.LBB293_555:                            ;   in Loop: Header=BB293_331 Depth=1
	s_or_b64 exec, exec, s[22:23]
	v_mov_b32_e32 v10, v31
	v_cmp_ne_u16_sdwa s[4:5], v31, v11 src0_sel:BYTE_0 src1_sel:DWORD
	v_mov_b32_e32 v26, 0
	v_mov_b32_e32 v22, 0
	s_and_saveexec_b64 s[22:23], s[4:5]
	s_cbranch_execz .LBB293_561
; %bb.556:                              ;   in Loop: Header=BB293_331 Depth=1
	v_cmp_ne_u16_sdwa s[4:5], v31, s7 src0_sel:BYTE_0 src1_sel:DWORD
	v_bfrev_b32_e32 v22, 1
	s_and_saveexec_b64 s[24:25], s[4:5]
	s_cbranch_execz .LBB293_560
; %bb.557:                              ;   in Loop: Header=BB293_331 Depth=1
	v_and_b32_e32 v6, 0x7f, v31
	v_cmp_ne_u32_e64 s[4:5], s15, v6
	v_mov_b32_e32 v22, 0x7fc02000
	s_and_saveexec_b64 s[26:27], s[4:5]
	s_cbranch_execz .LBB293_559
; %bb.558:                              ;   in Loop: Header=BB293_331 Depth=1
	v_and_b32_e32 v16, 7, v31
	v_ffbh_u32_e32 v16, v16
	v_min_u32_e32 v16, 32, v16
	v_subrev_u32_e32 v27, 28, v16
	v_cmp_gt_u32_e64 s[4:5], 8, v6
	v_lshrrev_b32_e32 v22, 3, v6
	v_sub_u32_e32 v16, 29, v16
	v_cndmask_b32_e64 v6, 0, v27, s[4:5]
	v_lshlrev_b64 v[46:47], v6, v[10:11]
	v_cndmask_b32_e64 v6, v22, v16, s[4:5]
	v_lshlrev_b32_e32 v22, 8, v31
	v_lshl_add_u32 v6, v6, 10, v35
	v_lshlrev_b32_e32 v16, 7, v46
	v_and_or_b32 v6, v22, s19, v6
	v_and_or_b32 v6, v16, s28, v6
	v_cvt_f32_f16_e32 v22, v6
.LBB293_559:                            ;   in Loop: Header=BB293_331 Depth=1
	s_or_b64 exec, exec, s[26:27]
.LBB293_560:                            ;   in Loop: Header=BB293_331 Depth=1
	s_or_b64 exec, exec, s[24:25]
.LBB293_561:                            ;   in Loop: Header=BB293_331 Depth=1
	s_or_b64 exec, exec, s[22:23]
	v_lshrrev_b16_e32 v10, 8, v10
	v_cmp_ne_u16_e64 s[4:5], 0, v10
	s_and_saveexec_b64 s[22:23], s[4:5]
	s_cbranch_execz .LBB293_567
; %bb.562:                              ;   in Loop: Header=BB293_331 Depth=1
	v_cmp_ne_u16_e64 s[4:5], s7, v10
	v_bfrev_b32_e32 v26, 1
	s_and_saveexec_b64 s[24:25], s[4:5]
	s_cbranch_execz .LBB293_566
; %bb.563:                              ;   in Loop: Header=BB293_331 Depth=1
	v_and_b32_e32 v6, 0x7f, v10
	v_cmp_ne_u32_e64 s[4:5], s15, v6
	v_mov_b32_e32 v26, 0x7fc02000
	s_and_saveexec_b64 s[26:27], s[4:5]
	s_cbranch_execz .LBB293_565
; %bb.564:                              ;   in Loop: Header=BB293_331 Depth=1
	v_and_b32_e32 v16, 7, v10
	v_ffbh_u32_e32 v26, v16
	v_min_u32_e32 v46, 32, v26
	v_subrev_u32_e32 v26, 28, v46
	v_lshlrev_b64 v[26:27], v26, v[10:11]
	v_lshrrev_b32_e32 v32, 3, v6
	v_sub_u32_e32 v27, 29, v46
	v_cmp_gt_u32_e64 s[4:5], 8, v6
	v_cndmask_b32_e64 v6, v32, v27, s[4:5]
	v_and_b32_e32 v26, 7, v26
	v_lshlrev_b32_e32 v10, 8, v10
	v_lshl_add_u32 v6, v6, 10, v35
	v_cndmask_b32_e64 v16, v16, v26, s[4:5]
	v_and_or_b32 v6, v10, s19, v6
	v_lshl_or_b32 v6, v16, 7, v6
	v_cvt_f32_f16_e32 v26, v6
.LBB293_565:                            ;   in Loop: Header=BB293_331 Depth=1
	s_or_b64 exec, exec, s[26:27]
.LBB293_566:                            ;   in Loop: Header=BB293_331 Depth=1
	s_or_b64 exec, exec, s[24:25]
.LBB293_567:                            ;   in Loop: Header=BB293_331 Depth=1
	s_or_b64 exec, exec, s[22:23]
	v_lshrrev_b32_e32 v10, 16, v31
	v_cmp_ne_u16_sdwa s[4:5], v10, v11 src0_sel:BYTE_0 src1_sel:DWORD
	v_mov_b32_e32 v6, 0
	v_mov_b32_e32 v27, 0
	s_and_saveexec_b64 s[22:23], s[4:5]
	s_cbranch_execz .LBB293_573
; %bb.568:                              ;   in Loop: Header=BB293_331 Depth=1
	v_cmp_ne_u16_sdwa s[4:5], v10, s7 src0_sel:BYTE_0 src1_sel:DWORD
	v_bfrev_b32_e32 v27, 1
	s_and_saveexec_b64 s[24:25], s[4:5]
	s_cbranch_execz .LBB293_572
; %bb.569:                              ;   in Loop: Header=BB293_331 Depth=1
	v_bfe_u32 v32, v31, 16, 7
	v_cmp_ne_u32_e64 s[4:5], s15, v32
	v_mov_b32_e32 v27, 0x7fc02000
	s_and_saveexec_b64 s[26:27], s[4:5]
	s_cbranch_execz .LBB293_571
; %bb.570:                              ;   in Loop: Header=BB293_331 Depth=1
	v_and_b32_e32 v16, 7, v10
	v_ffbh_u32_e32 v46, v16
	v_min_u32_e32 v56, 32, v46
	v_subrev_u32_e32 v46, 28, v56
	v_lshlrev_b64 v[46:47], v46, v[10:11]
	v_lshrrev_b32_e32 v27, 3, v32
	v_sub_u32_e32 v47, 29, v56
	v_cmp_gt_u32_e64 s[4:5], 8, v32
	v_cndmask_b32_e64 v27, v27, v47, s[4:5]
	v_and_b32_e32 v46, 7, v46
	v_lshlrev_b32_e32 v10, 8, v10
	v_lshl_add_u32 v27, v27, 10, v35
	v_cndmask_b32_e64 v16, v16, v46, s[4:5]
	v_and_or_b32 v10, v10, s19, v27
	v_lshl_or_b32 v10, v16, 7, v10
	v_cvt_f32_f16_e32 v27, v10
.LBB293_571:                            ;   in Loop: Header=BB293_331 Depth=1
	s_or_b64 exec, exec, s[26:27]
.LBB293_572:                            ;   in Loop: Header=BB293_331 Depth=1
	s_or_b64 exec, exec, s[24:25]
.LBB293_573:                            ;   in Loop: Header=BB293_331 Depth=1
	s_or_b64 exec, exec, s[22:23]
	v_cmp_lt_u64_e64 s[4:5], s[10:11], v[30:31]
	s_and_saveexec_b64 s[22:23], s[4:5]
	s_cbranch_execz .LBB293_579
; %bb.574:                              ;   in Loop: Header=BB293_331 Depth=1
	v_lshrrev_b32_e32 v10, 24, v31
	v_cmp_ne_u32_e64 s[4:5], s7, v10
	v_bfrev_b32_e32 v6, 1
	s_and_saveexec_b64 s[24:25], s[4:5]
	s_cbranch_execz .LBB293_578
; %bb.575:                              ;   in Loop: Header=BB293_331 Depth=1
	v_and_b32_e32 v30, 0x7f, v10
	v_cmp_ne_u32_e64 s[4:5], s15, v30
	v_mov_b32_e32 v6, 0x7fc02000
	s_and_saveexec_b64 s[26:27], s[4:5]
	s_cbranch_execz .LBB293_577
; %bb.576:                              ;   in Loop: Header=BB293_331 Depth=1
	v_and_b32_e32 v6, 7, v10
	v_ffbh_u32_e32 v31, v6
	v_min_u32_e32 v31, 32, v31
	v_lshrrev_b32_e32 v16, 3, v30
	v_subrev_u32_e32 v32, 28, v31
	v_sub_u32_e32 v31, 29, v31
	v_cmp_gt_u32_e64 s[4:5], 8, v30
	v_lshlrev_b64 v[46:47], v32, v[10:11]
	v_cndmask_b32_e64 v16, v16, v31, s[4:5]
	v_and_b32_e32 v32, 7, v46
	v_lshlrev_b32_e32 v10, 8, v10
	v_lshl_add_u32 v16, v16, 10, v35
	v_cndmask_b32_e64 v6, v6, v32, s[4:5]
	v_and_or_b32 v10, v10, s19, v16
	v_lshl_or_b32 v6, v6, 7, v10
	v_cvt_f32_f16_e32 v6, v6
.LBB293_577:                            ;   in Loop: Header=BB293_331 Depth=1
	s_or_b64 exec, exec, s[26:27]
.LBB293_578:                            ;   in Loop: Header=BB293_331 Depth=1
	s_or_b64 exec, exec, s[24:25]
.LBB293_579:                            ;   in Loop: Header=BB293_331 Depth=1
	s_or_b64 exec, exec, s[22:23]
	v_pk_mul_f32 v[28:29], v[12:13], v[28:29] op_sel_hi:[0,1]
	v_pk_mul_f32 v[24:25], v[12:13], v[24:25] op_sel_hi:[0,1]
	v_cvt_f16_f32_e32 v10, v29
	v_cvt_f16_f32_e32 v16, v28
	;; [unrolled: 1-line block ×4, first 2 shown]
	v_fma_mixlo_f16 v6, v12, v6, 0
	v_pack_b32_f16 v16, v16, v10
	v_fma_mixlo_f16 v22, v12, v22, 0
	v_pack_b32_f16 v24, v24, v25
	v_perm_b32 v10, v24, v16, s29
	v_perm_b32 v24, v24, v16, s30
	v_fma_mixlo_f16 v16, v12, v26, 0
	v_lshlrev_b32_e32 v16, 16, v16
	v_fma_mixlo_f16 v25, v12, v27, 0
	v_lshlrev_b32_e32 v6, 16, v6
	v_or_b32_sdwa v22, v16, v22 dst_sel:DWORD dst_unused:UNUSED_PAD src0_sel:DWORD src1_sel:WORD_0
	v_or_b32_sdwa v6, v6, v25 dst_sel:DWORD dst_unused:UNUSED_PAD src0_sel:DWORD src1_sel:WORD_0
	s_and_saveexec_b64 s[22:23], vcc
	s_cbranch_execz .LBB293_581
; %bb.580:                              ;   in Loop: Header=BB293_331 Depth=1
	v_lshrrev_b32_e32 v12, 16, v24
	v_cmp_lt_i32_e64 s[4:5], v52, v13
	v_accvgpr_read_b32 v26, a8
	v_cndmask_b32_e64 v12, 0, v12, s[4:5]
	v_cmp_lt_i32_e64 s[4:5], v7, v26
	v_cndmask_b32_e64 v16, 0, v24, s[4:5]
	v_perm_b32 v24, v12, v16, s31
	v_lshrrev_b32_e32 v12, 16, v10
	v_cmp_lt_i32_e64 s[4:5], v51, v13
	v_cndmask_b32_e64 v12, 0, v12, s[4:5]
	v_cmp_lt_i32_e64 s[4:5], v50, v26
	v_cndmask_b32_e64 v10, 0, v10, s[4:5]
	v_perm_b32 v10, v12, v10, s31
	v_lshrrev_b32_e32 v12, 16, v22
	v_cmp_lt_i32_e64 s[4:5], v49, v13
	v_cndmask_b32_e64 v12, 0, v12, s[4:5]
	v_cmp_lt_i32_e64 s[4:5], v48, v26
	v_cndmask_b32_e64 v16, 0, v22, s[4:5]
	v_lshrrev_b32_e32 v6, 16, v6
	v_cmp_lt_i32_e64 s[4:5], v39, v13
	v_cndmask_b32_e64 v6, 0, v6, s[4:5]
	v_cmp_lt_i32_e64 s[4:5], v36, v26
	v_perm_b32 v22, v12, v16, s31
	v_cndmask_b32_e64 v12, 0, v25, s[4:5]
	v_perm_b32 v6, v6, v12, s31
.LBB293_581:                            ;   in Loop: Header=BB293_331 Depth=1
	s_or_b64 exec, exec, s[22:23]
	;;#ASMSTART
	v_pk_mul_f16 v12, v53, v24;

	;;#ASMEND
	;;#ASMSTART
	v_pk_mul_f16 v10, v54, v10;

	;;#ASMEND
	;; [unrolled: 4-line block ×4, first 2 shown]
	;;#ASMSTART
	v_pk_add_f16 v10, v12, v10;

	;;#ASMEND
	;;#ASMSTART
	v_pk_add_f16 v10, v10, v16;

	;;#ASMEND
	;; [unrolled: 4-line block ×3, first 2 shown]
	v_lshrrev_b32_e32 v10, 16, v6
	v_and_b32_e32 v6, 0xffff, v6
	;;#ASMSTART
	v_cvt_f32_f16 v30, v6;
	;;#ASMEND
	;;#ASMSTART
	v_cvt_f32_f16 v31, v10;
	;;#ASMEND
	flat_load_dwordx2 v[28:29], v[18:19] offset:2560
	v_accvgpr_read_b32 v19, a5
	v_accvgpr_read_b32 v18, a4
	flat_load_dword v12, v[18:19]
	v_mov_b32_e32 v24, 0
	v_mov_b32_e32 v18, 0
	s_waitcnt vmcnt(0) lgkmcnt(0)
	v_cmp_ne_u16_sdwa s[4:5], v28, v11 src0_sel:BYTE_0 src1_sel:DWORD
	s_and_saveexec_b64 s[22:23], s[4:5]
	s_cbranch_execz .LBB293_587
; %bb.582:                              ;   in Loop: Header=BB293_331 Depth=1
	v_cmp_ne_u16_sdwa s[4:5], v28, s7 src0_sel:BYTE_0 src1_sel:DWORD
	v_bfrev_b32_e32 v18, 1
	s_and_saveexec_b64 s[24:25], s[4:5]
	s_cbranch_execz .LBB293_586
; %bb.583:                              ;   in Loop: Header=BB293_331 Depth=1
	v_and_b32_e32 v6, 0x7f, v28
	v_cmp_ne_u32_e64 s[4:5], s15, v6
	v_mov_b32_e32 v18, 0x7fc02000
	s_and_saveexec_b64 s[26:27], s[4:5]
	s_cbranch_execz .LBB293_585
; %bb.584:                              ;   in Loop: Header=BB293_331 Depth=1
	v_and_b32_e32 v10, 7, v28
	v_ffbh_u32_e32 v10, v10
	v_min_u32_e32 v10, 32, v10
	v_subrev_u32_e32 v18, 28, v10
	v_cmp_gt_u32_e64 s[4:5], 8, v6
	v_lshrrev_b32_e32 v16, 3, v6
	v_sub_u32_e32 v10, 29, v10
	v_cndmask_b32_e64 v6, 0, v18, s[4:5]
	v_lshlrev_b64 v[18:19], v6, v[28:29]
	v_cndmask_b32_e64 v6, v16, v10, s[4:5]
	v_lshlrev_b32_e32 v16, 8, v28
	v_lshl_add_u32 v6, v6, 10, v35
	v_lshlrev_b32_e32 v10, 7, v18
	v_and_or_b32 v6, v16, s19, v6
	v_and_or_b32 v6, v10, s28, v6
	v_cvt_f32_f16_e32 v18, v6
.LBB293_585:                            ;   in Loop: Header=BB293_331 Depth=1
	s_or_b64 exec, exec, s[26:27]
.LBB293_586:                            ;   in Loop: Header=BB293_331 Depth=1
	s_or_b64 exec, exec, s[24:25]
.LBB293_587:                            ;   in Loop: Header=BB293_331 Depth=1
	s_or_b64 exec, exec, s[22:23]
	v_lshrrev_b16_e32 v10, 8, v28
	v_cmp_ne_u16_e64 s[4:5], 0, v10
	s_and_saveexec_b64 s[22:23], s[4:5]
	s_cbranch_execz .LBB293_593
; %bb.588:                              ;   in Loop: Header=BB293_331 Depth=1
	v_cmp_ne_u16_e64 s[4:5], s7, v10
	v_bfrev_b32_e32 v24, 1
	s_and_saveexec_b64 s[24:25], s[4:5]
	s_cbranch_execz .LBB293_592
; %bb.589:                              ;   in Loop: Header=BB293_331 Depth=1
	v_and_b32_e32 v6, 0x7f, v10
	v_cmp_ne_u32_e64 s[4:5], s15, v6
	v_mov_b32_e32 v24, 0x7fc02000
	s_and_saveexec_b64 s[26:27], s[4:5]
	s_cbranch_execz .LBB293_591
; %bb.590:                              ;   in Loop: Header=BB293_331 Depth=1
	v_and_b32_e32 v16, 7, v10
	v_ffbh_u32_e32 v22, v16
	v_min_u32_e32 v22, 32, v22
	v_lshrrev_b32_e32 v19, 3, v6
	v_subrev_u32_e32 v24, 28, v22
	v_sub_u32_e32 v22, 29, v22
	v_cmp_gt_u32_e64 s[4:5], 8, v6
	v_lshlrev_b64 v[24:25], v24, v[10:11]
	v_cndmask_b32_e64 v6, v19, v22, s[4:5]
	v_and_b32_e32 v24, 7, v24
	v_lshlrev_b32_e32 v10, 8, v10
	v_lshl_add_u32 v6, v6, 10, v35
	v_cndmask_b32_e64 v16, v16, v24, s[4:5]
	v_and_or_b32 v6, v10, s19, v6
	v_lshl_or_b32 v6, v16, 7, v6
	v_cvt_f32_f16_e32 v24, v6
.LBB293_591:                            ;   in Loop: Header=BB293_331 Depth=1
	s_or_b64 exec, exec, s[26:27]
.LBB293_592:                            ;   in Loop: Header=BB293_331 Depth=1
	s_or_b64 exec, exec, s[24:25]
.LBB293_593:                            ;   in Loop: Header=BB293_331 Depth=1
	s_or_b64 exec, exec, s[22:23]
	v_lshrrev_b32_e32 v10, 16, v28
	v_cmp_ne_u16_sdwa s[4:5], v10, v11 src0_sel:BYTE_0 src1_sel:DWORD
	v_mov_b32_e32 v25, 0
	v_mov_b32_e32 v19, 0
	s_and_saveexec_b64 s[22:23], s[4:5]
	s_cbranch_execz .LBB293_599
; %bb.594:                              ;   in Loop: Header=BB293_331 Depth=1
	v_cmp_ne_u16_sdwa s[4:5], v10, s7 src0_sel:BYTE_0 src1_sel:DWORD
	v_bfrev_b32_e32 v19, 1
	s_and_saveexec_b64 s[24:25], s[4:5]
	s_cbranch_execz .LBB293_598
; %bb.595:                              ;   in Loop: Header=BB293_331 Depth=1
	v_bfe_u32 v6, v28, 16, 7
	v_cmp_ne_u32_e64 s[4:5], s15, v6
	v_mov_b32_e32 v19, 0x7fc02000
	s_and_saveexec_b64 s[26:27], s[4:5]
	s_cbranch_execz .LBB293_597
; %bb.596:                              ;   in Loop: Header=BB293_331 Depth=1
	v_and_b32_e32 v16, 7, v10
	v_ffbh_u32_e32 v22, v16
	v_min_u32_e32 v22, 32, v22
	v_lshrrev_b32_e32 v19, 3, v6
	v_subrev_u32_e32 v26, 28, v22
	v_sub_u32_e32 v22, 29, v22
	v_cmp_gt_u32_e64 s[4:5], 8, v6
	v_lshlrev_b64 v[26:27], v26, v[10:11]
	v_cndmask_b32_e64 v6, v19, v22, s[4:5]
	v_and_b32_e32 v26, 7, v26
	v_lshlrev_b32_e32 v10, 8, v10
	v_lshl_add_u32 v6, v6, 10, v35
	v_cndmask_b32_e64 v16, v16, v26, s[4:5]
	v_and_or_b32 v6, v10, s19, v6
	v_lshl_or_b32 v6, v16, 7, v6
	v_cvt_f32_f16_e32 v19, v6
.LBB293_597:                            ;   in Loop: Header=BB293_331 Depth=1
	s_or_b64 exec, exec, s[26:27]
.LBB293_598:                            ;   in Loop: Header=BB293_331 Depth=1
	s_or_b64 exec, exec, s[24:25]
.LBB293_599:                            ;   in Loop: Header=BB293_331 Depth=1
	s_or_b64 exec, exec, s[22:23]
	v_cmp_lt_u32_e64 s[4:5], s11, v28
	s_and_saveexec_b64 s[22:23], s[4:5]
	s_cbranch_execz .LBB293_605
; %bb.600:                              ;   in Loop: Header=BB293_331 Depth=1
	v_lshrrev_b32_e32 v10, 24, v28
	v_cmp_ne_u32_e64 s[4:5], s7, v10
	v_bfrev_b32_e32 v25, 1
	s_and_saveexec_b64 s[24:25], s[4:5]
	s_cbranch_execz .LBB293_604
; %bb.601:                              ;   in Loop: Header=BB293_331 Depth=1
	v_and_b32_e32 v6, 0x7f, v10
	v_cmp_ne_u32_e64 s[4:5], s15, v6
	v_mov_b32_e32 v25, 0x7fc02000
	s_and_saveexec_b64 s[26:27], s[4:5]
	s_cbranch_execz .LBB293_603
; %bb.602:                              ;   in Loop: Header=BB293_331 Depth=1
	v_and_b32_e32 v16, 7, v10
	v_ffbh_u32_e32 v25, v16
	v_min_u32_e32 v25, 32, v25
	v_lshrrev_b32_e32 v22, 3, v6
	v_subrev_u32_e32 v26, 28, v25
	v_sub_u32_e32 v25, 29, v25
	v_cmp_gt_u32_e64 s[4:5], 8, v6
	v_lshlrev_b64 v[26:27], v26, v[10:11]
	v_cndmask_b32_e64 v6, v22, v25, s[4:5]
	v_and_b32_e32 v26, 7, v26
	v_lshlrev_b32_e32 v10, 8, v10
	v_lshl_add_u32 v6, v6, 10, v35
	v_cndmask_b32_e64 v16, v16, v26, s[4:5]
	v_and_or_b32 v6, v10, s19, v6
	v_lshl_or_b32 v6, v16, 7, v6
	v_cvt_f32_f16_e32 v25, v6
.LBB293_603:                            ;   in Loop: Header=BB293_331 Depth=1
	s_or_b64 exec, exec, s[26:27]
.LBB293_604:                            ;   in Loop: Header=BB293_331 Depth=1
	s_or_b64 exec, exec, s[24:25]
.LBB293_605:                            ;   in Loop: Header=BB293_331 Depth=1
	s_or_b64 exec, exec, s[22:23]
	v_mov_b32_e32 v10, v29
	v_cmp_ne_u16_sdwa s[4:5], v29, v11 src0_sel:BYTE_0 src1_sel:DWORD
	v_mov_b32_e32 v26, 0
	v_mov_b32_e32 v22, 0
	s_and_saveexec_b64 s[22:23], s[4:5]
	s_cbranch_execz .LBB293_611
; %bb.606:                              ;   in Loop: Header=BB293_331 Depth=1
	v_cmp_ne_u16_sdwa s[4:5], v29, s7 src0_sel:BYTE_0 src1_sel:DWORD
	v_bfrev_b32_e32 v22, 1
	s_and_saveexec_b64 s[24:25], s[4:5]
	s_cbranch_execz .LBB293_610
; %bb.607:                              ;   in Loop: Header=BB293_331 Depth=1
	v_and_b32_e32 v6, 0x7f, v29
	v_cmp_ne_u32_e64 s[4:5], s15, v6
	v_mov_b32_e32 v22, 0x7fc02000
	s_and_saveexec_b64 s[26:27], s[4:5]
	s_cbranch_execz .LBB293_609
; %bb.608:                              ;   in Loop: Header=BB293_331 Depth=1
	v_and_b32_e32 v16, 7, v29
	v_ffbh_u32_e32 v16, v16
	v_min_u32_e32 v16, 32, v16
	v_subrev_u32_e32 v27, 28, v16
	v_cmp_gt_u32_e64 s[4:5], 8, v6
	v_lshrrev_b32_e32 v22, 3, v6
	v_sub_u32_e32 v16, 29, v16
	v_cndmask_b32_e64 v6, 0, v27, s[4:5]
	v_lshlrev_b64 v[46:47], v6, v[10:11]
	v_cndmask_b32_e64 v6, v22, v16, s[4:5]
	v_lshlrev_b32_e32 v22, 8, v29
	v_lshl_add_u32 v6, v6, 10, v35
	v_lshlrev_b32_e32 v16, 7, v46
	v_and_or_b32 v6, v22, s19, v6
	v_and_or_b32 v6, v16, s28, v6
	v_cvt_f32_f16_e32 v22, v6
.LBB293_609:                            ;   in Loop: Header=BB293_331 Depth=1
	s_or_b64 exec, exec, s[26:27]
.LBB293_610:                            ;   in Loop: Header=BB293_331 Depth=1
	s_or_b64 exec, exec, s[24:25]
.LBB293_611:                            ;   in Loop: Header=BB293_331 Depth=1
	s_or_b64 exec, exec, s[22:23]
	v_lshrrev_b16_e32 v10, 8, v10
	v_cmp_ne_u16_e64 s[4:5], 0, v10
	s_and_saveexec_b64 s[22:23], s[4:5]
	s_cbranch_execz .LBB293_617
; %bb.612:                              ;   in Loop: Header=BB293_331 Depth=1
	v_cmp_ne_u16_e64 s[4:5], s7, v10
	v_bfrev_b32_e32 v26, 1
	s_and_saveexec_b64 s[24:25], s[4:5]
	s_cbranch_execz .LBB293_616
; %bb.613:                              ;   in Loop: Header=BB293_331 Depth=1
	v_and_b32_e32 v6, 0x7f, v10
	v_cmp_ne_u32_e64 s[4:5], s15, v6
	v_mov_b32_e32 v26, 0x7fc02000
	s_and_saveexec_b64 s[26:27], s[4:5]
	s_cbranch_execz .LBB293_615
; %bb.614:                              ;   in Loop: Header=BB293_331 Depth=1
	v_and_b32_e32 v16, 7, v10
	v_ffbh_u32_e32 v26, v16
	v_min_u32_e32 v46, 32, v26
	v_subrev_u32_e32 v26, 28, v46
	v_lshlrev_b64 v[26:27], v26, v[10:11]
	v_lshrrev_b32_e32 v32, 3, v6
	v_sub_u32_e32 v27, 29, v46
	v_cmp_gt_u32_e64 s[4:5], 8, v6
	v_cndmask_b32_e64 v6, v32, v27, s[4:5]
	v_and_b32_e32 v26, 7, v26
	v_lshlrev_b32_e32 v10, 8, v10
	v_lshl_add_u32 v6, v6, 10, v35
	v_cndmask_b32_e64 v16, v16, v26, s[4:5]
	v_and_or_b32 v6, v10, s19, v6
	v_lshl_or_b32 v6, v16, 7, v6
	v_cvt_f32_f16_e32 v26, v6
.LBB293_615:                            ;   in Loop: Header=BB293_331 Depth=1
	s_or_b64 exec, exec, s[26:27]
.LBB293_616:                            ;   in Loop: Header=BB293_331 Depth=1
	s_or_b64 exec, exec, s[24:25]
.LBB293_617:                            ;   in Loop: Header=BB293_331 Depth=1
	s_or_b64 exec, exec, s[22:23]
	v_lshrrev_b32_e32 v10, 16, v29
	v_cmp_ne_u16_sdwa s[4:5], v10, v11 src0_sel:BYTE_0 src1_sel:DWORD
	v_mov_b32_e32 v6, 0
	v_mov_b32_e32 v27, 0
	s_and_saveexec_b64 s[22:23], s[4:5]
	s_cbranch_execz .LBB293_623
; %bb.618:                              ;   in Loop: Header=BB293_331 Depth=1
	v_cmp_ne_u16_sdwa s[4:5], v10, s7 src0_sel:BYTE_0 src1_sel:DWORD
	v_bfrev_b32_e32 v27, 1
	s_and_saveexec_b64 s[24:25], s[4:5]
	s_cbranch_execz .LBB293_622
; %bb.619:                              ;   in Loop: Header=BB293_331 Depth=1
	v_bfe_u32 v32, v29, 16, 7
	v_cmp_ne_u32_e64 s[4:5], s15, v32
	v_mov_b32_e32 v27, 0x7fc02000
	s_and_saveexec_b64 s[26:27], s[4:5]
	s_cbranch_execz .LBB293_621
; %bb.620:                              ;   in Loop: Header=BB293_331 Depth=1
	v_and_b32_e32 v16, 7, v10
	v_ffbh_u32_e32 v46, v16
	v_min_u32_e32 v56, 32, v46
	v_subrev_u32_e32 v46, 28, v56
	v_lshlrev_b64 v[46:47], v46, v[10:11]
	v_lshrrev_b32_e32 v27, 3, v32
	v_sub_u32_e32 v47, 29, v56
	v_cmp_gt_u32_e64 s[4:5], 8, v32
	v_cndmask_b32_e64 v27, v27, v47, s[4:5]
	v_and_b32_e32 v46, 7, v46
	v_lshlrev_b32_e32 v10, 8, v10
	v_lshl_add_u32 v27, v27, 10, v35
	v_cndmask_b32_e64 v16, v16, v46, s[4:5]
	v_and_or_b32 v10, v10, s19, v27
	v_lshl_or_b32 v10, v16, 7, v10
	v_cvt_f32_f16_e32 v27, v10
.LBB293_621:                            ;   in Loop: Header=BB293_331 Depth=1
	s_or_b64 exec, exec, s[26:27]
.LBB293_622:                            ;   in Loop: Header=BB293_331 Depth=1
	s_or_b64 exec, exec, s[24:25]
.LBB293_623:                            ;   in Loop: Header=BB293_331 Depth=1
	s_or_b64 exec, exec, s[22:23]
	v_cmp_lt_u64_e64 s[4:5], s[10:11], v[28:29]
	s_and_saveexec_b64 s[22:23], s[4:5]
	s_cbranch_execz .LBB293_629
; %bb.624:                              ;   in Loop: Header=BB293_331 Depth=1
	v_lshrrev_b32_e32 v10, 24, v29
	v_cmp_ne_u32_e64 s[4:5], s7, v10
	v_bfrev_b32_e32 v6, 1
	s_and_saveexec_b64 s[24:25], s[4:5]
	s_cbranch_execz .LBB293_628
; %bb.625:                              ;   in Loop: Header=BB293_331 Depth=1
	v_and_b32_e32 v28, 0x7f, v10
	v_cmp_ne_u32_e64 s[4:5], s15, v28
	v_mov_b32_e32 v6, 0x7fc02000
	s_and_saveexec_b64 s[26:27], s[4:5]
	s_cbranch_execz .LBB293_627
; %bb.626:                              ;   in Loop: Header=BB293_331 Depth=1
	v_and_b32_e32 v6, 7, v10
	v_ffbh_u32_e32 v29, v6
	v_min_u32_e32 v29, 32, v29
	v_lshrrev_b32_e32 v16, 3, v28
	v_subrev_u32_e32 v32, 28, v29
	v_sub_u32_e32 v29, 29, v29
	v_cmp_gt_u32_e64 s[4:5], 8, v28
	v_lshlrev_b64 v[46:47], v32, v[10:11]
	v_cndmask_b32_e64 v16, v16, v29, s[4:5]
	v_and_b32_e32 v32, 7, v46
	v_lshlrev_b32_e32 v10, 8, v10
	v_lshl_add_u32 v16, v16, 10, v35
	v_cndmask_b32_e64 v6, v6, v32, s[4:5]
	v_and_or_b32 v10, v10, s19, v16
	v_lshl_or_b32 v6, v6, 7, v10
	v_cvt_f32_f16_e32 v6, v6
.LBB293_627:                            ;   in Loop: Header=BB293_331 Depth=1
	s_or_b64 exec, exec, s[26:27]
.LBB293_628:                            ;   in Loop: Header=BB293_331 Depth=1
	s_or_b64 exec, exec, s[24:25]
.LBB293_629:                            ;   in Loop: Header=BB293_331 Depth=1
	s_or_b64 exec, exec, s[22:23]
	v_pk_mul_f32 v[24:25], v[12:13], v[24:25] op_sel_hi:[0,1]
	v_pk_mul_f32 v[18:19], v[12:13], v[18:19] op_sel_hi:[0,1]
	v_cvt_f16_f32_e32 v10, v25
	v_cvt_f16_f32_e32 v16, v24
	;; [unrolled: 1-line block ×4, first 2 shown]
	v_fma_mixlo_f16 v6, v12, v6, 0
	v_pack_b32_f16 v16, v16, v10
	v_lshlrev_b32_e32 v6, 16, v6
	v_pack_b32_f16 v18, v18, v19
	v_perm_b32 v10, v18, v16, s29
	v_perm_b32 v18, v18, v16, s30
	v_fma_mixlo_f16 v16, v12, v26, 0
	v_lshlrev_b32_e32 v16, 16, v16
	v_fma_mixlo_f16 v19, v12, v22, 0
	v_fma_mixlo_f16 v22, v12, v27, 0
	v_or_b32_sdwa v19, v16, v19 dst_sel:DWORD dst_unused:UNUSED_PAD src0_sel:DWORD src1_sel:WORD_0
	v_or_b32_sdwa v6, v6, v22 dst_sel:DWORD dst_unused:UNUSED_PAD src0_sel:DWORD src1_sel:WORD_0
	s_and_saveexec_b64 s[4:5], vcc
	s_cbranch_execz .LBB293_330
; %bb.630:                              ;   in Loop: Header=BB293_331 Depth=1
	v_lshrrev_b32_e32 v12, 16, v18
	v_cmp_lt_i32_e32 vcc, v52, v13
	v_accvgpr_read_b32 v24, a8
	v_cndmask_b32_e32 v12, 0, v12, vcc
	v_cmp_lt_i32_e32 vcc, v7, v24
	v_cndmask_b32_e32 v16, 0, v18, vcc
	v_perm_b32 v18, v12, v16, s31
	v_lshrrev_b32_e32 v12, 16, v10
	v_cmp_lt_i32_e32 vcc, v51, v13
	v_cndmask_b32_e32 v12, 0, v12, vcc
	v_cmp_lt_i32_e32 vcc, v50, v24
	v_cndmask_b32_e32 v10, 0, v10, vcc
	v_perm_b32 v10, v12, v10, s31
	v_lshrrev_b32_e32 v12, 16, v19
	v_cmp_lt_i32_e32 vcc, v49, v13
	v_cndmask_b32_e32 v12, 0, v12, vcc
	v_cmp_lt_i32_e32 vcc, v48, v24
	v_cndmask_b32_e32 v16, 0, v19, vcc
	v_lshrrev_b32_e32 v6, 16, v6
	v_cmp_lt_i32_e32 vcc, v39, v13
	v_cndmask_b32_e32 v6, 0, v6, vcc
	v_cmp_lt_i32_e32 vcc, v36, v24
	v_perm_b32 v19, v12, v16, s31
	v_cndmask_b32_e32 v12, 0, v22, vcc
	v_perm_b32 v6, v6, v12, s31
	s_branch .LBB293_330
.LBB293_631:
	s_or_b64 exec, exec, s[12:13]
	v_accvgpr_read_b32 v20, a0
	v_accvgpr_read_b32 v16, a2
.LBB293_632:
	s_or_b64 exec, exec, s[8:9]
	ds_bpermute_b32 v4, v37, v0
	ds_bpermute_b32 v5, v37, v1
	;; [unrolled: 1-line block ×6, first 2 shown]
	s_waitcnt lgkmcnt(0)
	v_pk_add_f32 v[10:11], v[0:1], v[4:5]
	v_pk_add_f32 v[0:1], v[2:3], v[12:13]
	v_and_b32_e32 v2, 0x3c1, v16
	v_pk_add_f32 v[6:7], v[8:9], v[6:7]
	v_cmp_eq_u32_e32 vcc, 64, v2
	s_barrier
	s_and_saveexec_b64 s[4:5], vcc
	s_cbranch_execz .LBB293_634
; %bb.633:
	s_ashr_i32 s19, s18, 31
	s_lshl_b64 s[8:9], s[18:19], 2
	s_getpc_b64 s[10:11]
	s_add_u32 s10, s10, llvm.amdgcn.dynlds.offset.table@rel32@lo+4
	s_addc_u32 s11, s11, llvm.amdgcn.dynlds.offset.table@rel32@hi+12
	s_add_u32 s8, s8, s10
	s_addc_u32 s9, s9, s11
	s_load_dword s7, s[8:9], 0x0
	s_waitcnt lgkmcnt(0)
	v_lshl_add_u32 v3, v33, 1, s7
	ds_write2_b32 v3, v10, v11 offset1:32
	ds_write2_b32 v3, v6, v7 offset0:64 offset1:96
	ds_write2_b32 v3, v0, v1 offset0:128 offset1:160
.LBB293_634:
	s_or_b64 exec, exec, s[4:5]
	s_waitcnt lgkmcnt(0)
	s_barrier
	v_cmp_gt_u32_e32 vcc, 64, v16
	s_mov_b64 s[4:5], exec
	s_and_b64 s[8:9], s[4:5], vcc
	v_accvgpr_read_b32 v5, a1
	s_mov_b64 exec, s[8:9]
	s_cbranch_execz .LBB293_643
; %bb.635:
	v_cmp_eq_u32_e32 vcc, 0, v38
	v_lshrrev_b32_e32 v3, 1, v16
	s_and_saveexec_b64 s[8:9], vcc
	s_cbranch_execnz .LBB293_646
; %bb.636:
	s_or_b64 exec, exec, s[8:9]
	s_and_saveexec_b64 s[8:9], vcc
	s_cbranch_execnz .LBB293_647
.LBB293_637:
	s_or_b64 exec, exec, s[8:9]
	s_and_saveexec_b64 s[8:9], vcc
	s_cbranch_execnz .LBB293_648
.LBB293_638:
	s_or_b64 exec, exec, s[8:9]
	s_and_saveexec_b64 s[8:9], vcc
	s_cbranch_execnz .LBB293_649
.LBB293_639:
	s_or_b64 exec, exec, s[8:9]
	s_and_saveexec_b64 s[8:9], vcc
	s_cbranch_execnz .LBB293_650
.LBB293_640:
	s_or_b64 exec, exec, s[8:9]
	s_and_saveexec_b64 s[8:9], vcc
	s_cbranch_execz .LBB293_642
.LBB293_641:
	s_ashr_i32 s19, s18, 31
	s_lshl_b64 s[10:11], s[18:19], 2
	s_getpc_b64 s[12:13]
	s_add_u32 s12, s12, llvm.amdgcn.dynlds.offset.table@rel32@lo+4
	s_addc_u32 s13, s13, llvm.amdgcn.dynlds.offset.table@rel32@hi+12
	s_add_u32 s10, s10, s12
	s_addc_u32 s11, s11, s13
	s_load_dword s7, s[10:11], 0x0
	s_waitcnt lgkmcnt(0)
	v_lshl_add_u32 v3, v3, 2, s7
	ds_read_b32 v3, v3 offset:640
	s_waitcnt lgkmcnt(0)
	v_add_f32_e32 v1, v1, v3
.LBB293_642:
	s_or_b64 exec, exec, s[8:9]
.LBB293_643:
	s_or_b64 exec, exec, s[4:5]
	v_cmp_eq_u32_e32 vcc, 0, v2
	s_barrier
	s_and_b64 exec, exec, vcc
	s_cbranch_execz .LBB293_645
; %bb.644:
	s_mul_i32 s4, s6, 0xc0
	s_mul_i32 s6, s20, s21
	;; [unrolled: 1-line block ×3, first 2 shown]
	s_ashr_i32 s5, s4, 31
	s_ashr_i32 s7, s6, 31
	;; [unrolled: 1-line block ×3, first 2 shown]
	s_lshl_b64 s[4:5], s[4:5], 1
	s_lshl_b64 s[6:7], s[6:7], 1
	;; [unrolled: 1-line block ×3, first 2 shown]
	s_add_u32 s6, s8, s6
	s_addc_u32 s7, s9, s7
	s_add_u32 s4, s6, s4
	s_addc_u32 s5, s7, s5
	v_mov_b32_e32 v2, s5
	v_add_co_u32_e32 v3, vcc, s4, v5
	v_addc_co_u32_e32 v4, vcc, v2, v20, vcc
	v_add_co_u32_e32 v2, vcc, v3, v16
	v_addc_co_u32_e32 v3, vcc, 0, v4, vcc
	;;#ASMSTART
	v_cvt_f16_f32 v4, v10;

	;;#ASMEND
	flat_store_short v[2:3], v4
	;;#ASMSTART
	v_cvt_f16_f32 v4, v11;

	;;#ASMEND
	flat_store_short v[2:3], v4 offset:64
	;;#ASMSTART
	v_cvt_f16_f32 v4, v6;

	;;#ASMEND
	flat_store_short v[2:3], v4 offset:128
	;;#ASMSTART
	v_cvt_f16_f32 v4, v7;

	;;#ASMEND
	flat_store_short v[2:3], v4 offset:192
	;;#ASMSTART
	v_cvt_f16_f32 v0, v0;

	;;#ASMEND
	flat_store_short v[2:3], v0 offset:256
	;;#ASMSTART
	v_cvt_f16_f32 v0, v1;

	;;#ASMEND
	flat_store_short v[2:3], v0 offset:320
.LBB293_645:
	s_or_b64 exec, exec, s[16:17]
	buffer_load_dword a41, off, s[0:3], s32 ; 4-byte Folded Reload
	buffer_load_dword a40, off, s[0:3], s32 offset:4 ; 4-byte Folded Reload
	buffer_load_dword a39, off, s[0:3], s32 offset:8 ; 4-byte Folded Reload
	;; [unrolled: 1-line block ×24, first 2 shown]
	v_readlane_b32 s30, v63, 5
	v_readlane_b32 s31, v63, 6
	;; [unrolled: 1-line block ×7, first 2 shown]
	s_or_saveexec_b64 s[4:5], -1
	buffer_load_dword v63, off, s[0:3], s32 offset:108 ; 4-byte Folded Reload
	s_mov_b64 exec, s[4:5]
	s_waitcnt vmcnt(0) lgkmcnt(0)
	s_setpc_b64 s[30:31]
.LBB293_646:
	s_ashr_i32 s19, s18, 31
	s_lshl_b64 s[10:11], s[18:19], 2
	s_getpc_b64 s[12:13]
	s_add_u32 s12, s12, llvm.amdgcn.dynlds.offset.table@rel32@lo+4
	s_addc_u32 s13, s13, llvm.amdgcn.dynlds.offset.table@rel32@hi+12
	s_add_u32 s10, s10, s12
	s_addc_u32 s11, s11, s13
	s_load_dword s7, s[10:11], 0x0
	s_waitcnt lgkmcnt(0)
	v_lshl_add_u32 v4, v3, 2, s7
	ds_read_b32 v4, v4
	s_waitcnt lgkmcnt(0)
	v_add_f32_e32 v10, v10, v4
	s_or_b64 exec, exec, s[8:9]
	s_and_saveexec_b64 s[8:9], vcc
	s_cbranch_execz .LBB293_637
.LBB293_647:
	s_ashr_i32 s19, s18, 31
	s_lshl_b64 s[10:11], s[18:19], 2
	s_getpc_b64 s[12:13]
	s_add_u32 s12, s12, llvm.amdgcn.dynlds.offset.table@rel32@lo+4
	s_addc_u32 s13, s13, llvm.amdgcn.dynlds.offset.table@rel32@hi+12
	s_add_u32 s10, s10, s12
	s_addc_u32 s11, s11, s13
	s_load_dword s7, s[10:11], 0x0
	s_waitcnt lgkmcnt(0)
	v_lshl_add_u32 v4, v3, 2, s7
	ds_read_b32 v4, v4 offset:128
	s_waitcnt lgkmcnt(0)
	v_add_f32_e32 v11, v11, v4
	s_or_b64 exec, exec, s[8:9]
	s_and_saveexec_b64 s[8:9], vcc
	s_cbranch_execz .LBB293_638
.LBB293_648:
	s_ashr_i32 s19, s18, 31
	s_lshl_b64 s[10:11], s[18:19], 2
	s_getpc_b64 s[12:13]
	s_add_u32 s12, s12, llvm.amdgcn.dynlds.offset.table@rel32@lo+4
	s_addc_u32 s13, s13, llvm.amdgcn.dynlds.offset.table@rel32@hi+12
	s_add_u32 s10, s10, s12
	s_addc_u32 s11, s11, s13
	s_load_dword s7, s[10:11], 0x0
	s_waitcnt lgkmcnt(0)
	v_lshl_add_u32 v4, v3, 2, s7
	ds_read_b32 v4, v4 offset:256
	s_waitcnt lgkmcnt(0)
	v_add_f32_e32 v6, v6, v4
	s_or_b64 exec, exec, s[8:9]
	s_and_saveexec_b64 s[8:9], vcc
	s_cbranch_execz .LBB293_639
.LBB293_649:
	s_ashr_i32 s19, s18, 31
	s_lshl_b64 s[10:11], s[18:19], 2
	s_getpc_b64 s[12:13]
	s_add_u32 s12, s12, llvm.amdgcn.dynlds.offset.table@rel32@lo+4
	s_addc_u32 s13, s13, llvm.amdgcn.dynlds.offset.table@rel32@hi+12
	s_add_u32 s10, s10, s12
	s_addc_u32 s11, s11, s13
	s_load_dword s7, s[10:11], 0x0
	s_waitcnt lgkmcnt(0)
	v_lshl_add_u32 v4, v3, 2, s7
	ds_read_b32 v4, v4 offset:384
	s_waitcnt lgkmcnt(0)
	v_add_f32_e32 v7, v7, v4
	s_or_b64 exec, exec, s[8:9]
	s_and_saveexec_b64 s[8:9], vcc
	s_cbranch_execz .LBB293_640
.LBB293_650:
	s_ashr_i32 s19, s18, 31
	s_lshl_b64 s[10:11], s[18:19], 2
	s_getpc_b64 s[12:13]
	s_add_u32 s12, s12, llvm.amdgcn.dynlds.offset.table@rel32@lo+4
	s_addc_u32 s13, s13, llvm.amdgcn.dynlds.offset.table@rel32@hi+12
	s_add_u32 s10, s10, s12
	s_addc_u32 s11, s11, s13
	s_load_dword s7, s[10:11], 0x0
	s_waitcnt lgkmcnt(0)
	v_lshl_add_u32 v4, v3, 2, s7
	ds_read_b32 v4, v4 offset:512
	s_waitcnt lgkmcnt(0)
	v_add_f32_e32 v0, v0, v4
	s_or_b64 exec, exec, s[8:9]
	s_and_saveexec_b64 s[8:9], vcc
	s_cbranch_execnz .LBB293_641
	s_branch .LBB293_642
.Lfunc_end293:
	.size	_ZN4vllm22paged_attention_kernelIthLi192ELi16ELi128ELNS_18Fp8KVCacheDataTypeE1ELb0ELi512EEEvPfS2_PT_PKS3_PKT0_S9_ifPKiSB_iPKfiiiSD_SD_iiiii, .Lfunc_end293-_ZN4vllm22paged_attention_kernelIthLi192ELi16ELi128ELNS_18Fp8KVCacheDataTypeE1ELb0ELi512EEEvPfS2_PT_PKS3_PKT0_S9_ifPKiSB_iPKfiiiSD_SD_iiiii
                                        ; -- End function
	.section	.AMDGPU.csdata,"",@progbits
; Function info:
; codeLenInByte = 28744
; NumSgprs: 43
; NumVgprs: 64
; NumAgprs: 42
; TotalNumVgprs: 106
; ScratchSize: 116
; MemoryBound: 0
	.section	.text._ZN4vllm25paged_attention_v2_kernelIthLi192ELi16ELi128ELNS_18Fp8KVCacheDataTypeE1ELb0ELi512EEEvPfS2_PT_PKS3_PKT0_S9_ifPKiSB_iPKfiiiSD_SD_iiiii,"axG",@progbits,_ZN4vllm25paged_attention_v2_kernelIthLi192ELi16ELi128ELNS_18Fp8KVCacheDataTypeE1ELb0ELi512EEEvPfS2_PT_PKS3_PKT0_S9_ifPKiSB_iPKfiiiSD_SD_iiiii,comdat
	.protected	_ZN4vllm25paged_attention_v2_kernelIthLi192ELi16ELi128ELNS_18Fp8KVCacheDataTypeE1ELb0ELi512EEEvPfS2_PT_PKS3_PKT0_S9_ifPKiSB_iPKfiiiSD_SD_iiiii ; -- Begin function _ZN4vllm25paged_attention_v2_kernelIthLi192ELi16ELi128ELNS_18Fp8KVCacheDataTypeE1ELb0ELi512EEEvPfS2_PT_PKS3_PKT0_S9_ifPKiSB_iPKfiiiSD_SD_iiiii
	.globl	_ZN4vllm25paged_attention_v2_kernelIthLi192ELi16ELi128ELNS_18Fp8KVCacheDataTypeE1ELb0ELi512EEEvPfS2_PT_PKS3_PKT0_S9_ifPKiSB_iPKfiiiSD_SD_iiiii
	.p2align	8
	.type	_ZN4vllm25paged_attention_v2_kernelIthLi192ELi16ELi128ELNS_18Fp8KVCacheDataTypeE1ELb0ELi512EEEvPfS2_PT_PKS3_PKT0_S9_ifPKiSB_iPKfiiiSD_SD_iiiii,@function
_ZN4vllm25paged_attention_v2_kernelIthLi192ELi16ELi128ELNS_18Fp8KVCacheDataTypeE1ELb0ELi512EEEvPfS2_PT_PKS3_PKT0_S9_ifPKiSB_iPKfiiiSD_SD_iiiii: ; @_ZN4vllm25paged_attention_v2_kernelIthLi192ELi16ELi128ELNS_18Fp8KVCacheDataTypeE1ELb0ELi512EEEvPfS2_PT_PKS3_PKT0_S9_ifPKiSB_iPKfiiiSD_SD_iiiii
; %bb.0:
	s_add_u32 flat_scratch_lo, s6, s11
	s_addc_u32 flat_scratch_hi, s7, 0
	s_add_u32 s0, s0, s11
	s_load_dwordx8 s[24:31], s[4:5], 0x0
	s_load_dwordx8 s[16:23], s[4:5], 0x20
	s_load_dwordx2 s[6:7], s[4:5], 0x40
	s_load_dwordx2 s[34:35], s[4:5], 0x50
	s_load_dword s11, s[4:5], 0x48
	s_load_dwordx8 s[36:43], s[4:5], 0x58
	s_addc_u32 s1, s1, 0
	s_mov_b32 s12, s8
	s_add_u32 s8, s4, 0x90
	s_mov_b32 s13, s9
	s_addc_u32 s9, s5, 0
	s_mov_b32 s14, s10
	s_mov_b32 s15, 46
	v_mov_b32_e32 v31, v0
	s_waitcnt lgkmcnt(0)
	v_mov_b32_e32 v0, s24
	v_mov_b32_e32 v1, s25
	v_mov_b32_e32 v2, s26
	v_mov_b32_e32 v3, s27
	v_mov_b32_e32 v4, s28
	v_mov_b32_e32 v5, s29
	v_mov_b32_e32 v6, s30
	v_mov_b32_e32 v7, s31
	v_mov_b32_e32 v8, s16
	v_mov_b32_e32 v9, s17
	v_mov_b32_e32 v10, s18
	v_mov_b32_e32 v11, s19
	v_mov_b32_e32 v12, s20
	v_mov_b32_e32 v13, s21
	v_mov_b32_e32 v14, s22
	v_mov_b32_e32 v15, s23
	v_mov_b32_e32 v16, s6
	v_mov_b32_e32 v17, s7
	v_mov_b32_e32 v18, s11
	v_mov_b32_e32 v19, s34
	v_mov_b32_e32 v20, s35
	v_mov_b32_e32 v21, s36
	v_mov_b32_e32 v22, s37
	v_mov_b32_e32 v23, s38
	v_mov_b32_e32 v24, s40
	v_mov_b32_e32 v25, s41
	v_mov_b32_e32 v26, s42
	v_mov_b32_e32 v27, s43
	s_mov_b32 s32, 0
	s_getpc_b64 s[4:5]
	s_add_u32 s4, s4, _ZN4vllm22paged_attention_kernelIthLi192ELi16ELi128ELNS_18Fp8KVCacheDataTypeE1ELb0ELi512EEEvPfS2_PT_PKS3_PKT0_S9_ifPKiSB_iPKfiiiSD_SD_iiiii@rel32@lo+4
	s_addc_u32 s5, s5, _ZN4vllm22paged_attention_kernelIthLi192ELi16ELi128ELNS_18Fp8KVCacheDataTypeE1ELb0ELi512EEEvPfS2_PT_PKS3_PKT0_S9_ifPKiSB_iPKfiiiSD_SD_iiiii@rel32@hi+12
	s_swappc_b64 s[30:31], s[4:5]
	s_endpgm
	.section	.rodata,"a",@progbits
	.p2align	6, 0x0
	.amdhsa_kernel _ZN4vllm25paged_attention_v2_kernelIthLi192ELi16ELi128ELNS_18Fp8KVCacheDataTypeE1ELb0ELi512EEEvPfS2_PT_PKS3_PKT0_S9_ifPKiSB_iPKfiiiSD_SD_iiiii
		.amdhsa_group_segment_fixed_size 400
		.amdhsa_private_segment_fixed_size 116
		.amdhsa_kernarg_size 400
		.amdhsa_user_sgpr_count 8
		.amdhsa_user_sgpr_private_segment_buffer 1
		.amdhsa_user_sgpr_dispatch_ptr 0
		.amdhsa_user_sgpr_queue_ptr 0
		.amdhsa_user_sgpr_kernarg_segment_ptr 1
		.amdhsa_user_sgpr_dispatch_id 0
		.amdhsa_user_sgpr_flat_scratch_init 1
		.amdhsa_user_sgpr_kernarg_preload_length 0
		.amdhsa_user_sgpr_kernarg_preload_offset 0
		.amdhsa_user_sgpr_private_segment_size 0
		.amdhsa_uses_dynamic_stack 0
		.amdhsa_system_sgpr_private_segment_wavefront_offset 1
		.amdhsa_system_sgpr_workgroup_id_x 1
		.amdhsa_system_sgpr_workgroup_id_y 1
		.amdhsa_system_sgpr_workgroup_id_z 1
		.amdhsa_system_sgpr_workgroup_info 0
		.amdhsa_system_vgpr_workitem_id 0
		.amdhsa_next_free_vgpr 106
		.amdhsa_next_free_sgpr 44
		.amdhsa_accum_offset 64
		.amdhsa_reserve_vcc 1
		.amdhsa_reserve_flat_scratch 1
		.amdhsa_float_round_mode_32 0
		.amdhsa_float_round_mode_16_64 0
		.amdhsa_float_denorm_mode_32 3
		.amdhsa_float_denorm_mode_16_64 3
		.amdhsa_dx10_clamp 1
		.amdhsa_ieee_mode 1
		.amdhsa_fp16_overflow 0
		.amdhsa_tg_split 0
		.amdhsa_exception_fp_ieee_invalid_op 0
		.amdhsa_exception_fp_denorm_src 0
		.amdhsa_exception_fp_ieee_div_zero 0
		.amdhsa_exception_fp_ieee_overflow 0
		.amdhsa_exception_fp_ieee_underflow 0
		.amdhsa_exception_fp_ieee_inexact 0
		.amdhsa_exception_int_div_zero 0
	.end_amdhsa_kernel
	.section	.text._ZN4vllm25paged_attention_v2_kernelIthLi192ELi16ELi128ELNS_18Fp8KVCacheDataTypeE1ELb0ELi512EEEvPfS2_PT_PKS3_PKT0_S9_ifPKiSB_iPKfiiiSD_SD_iiiii,"axG",@progbits,_ZN4vllm25paged_attention_v2_kernelIthLi192ELi16ELi128ELNS_18Fp8KVCacheDataTypeE1ELb0ELi512EEEvPfS2_PT_PKS3_PKT0_S9_ifPKiSB_iPKfiiiSD_SD_iiiii,comdat
.Lfunc_end294:
	.size	_ZN4vllm25paged_attention_v2_kernelIthLi192ELi16ELi128ELNS_18Fp8KVCacheDataTypeE1ELb0ELi512EEEvPfS2_PT_PKS3_PKT0_S9_ifPKiSB_iPKfiiiSD_SD_iiiii, .Lfunc_end294-_ZN4vllm25paged_attention_v2_kernelIthLi192ELi16ELi128ELNS_18Fp8KVCacheDataTypeE1ELb0ELi512EEEvPfS2_PT_PKS3_PKT0_S9_ifPKiSB_iPKfiiiSD_SD_iiiii
                                        ; -- End function
	.section	.AMDGPU.csdata,"",@progbits
; Kernel info:
; codeLenInByte = 244
; NumSgprs: 50
; NumVgprs: 64
; NumAgprs: 42
; TotalNumVgprs: 106
; ScratchSize: 116
; MemoryBound: 0
; FloatMode: 240
; IeeeMode: 1
; LDSByteSize: 400 bytes/workgroup (compile time only)
; SGPRBlocks: 6
; VGPRBlocks: 13
; NumSGPRsForWavesPerEU: 50
; NumVGPRsForWavesPerEU: 106
; AccumOffset: 64
; Occupancy: 4
; WaveLimiterHint : 1
; COMPUTE_PGM_RSRC2:SCRATCH_EN: 1
; COMPUTE_PGM_RSRC2:USER_SGPR: 8
; COMPUTE_PGM_RSRC2:TRAP_HANDLER: 0
; COMPUTE_PGM_RSRC2:TGID_X_EN: 1
; COMPUTE_PGM_RSRC2:TGID_Y_EN: 1
; COMPUTE_PGM_RSRC2:TGID_Z_EN: 1
; COMPUTE_PGM_RSRC2:TIDIG_COMP_CNT: 0
; COMPUTE_PGM_RSRC3_GFX90A:ACCUM_OFFSET: 15
; COMPUTE_PGM_RSRC3_GFX90A:TG_SPLIT: 0
	.text
	.p2align	2                               ; -- Begin function _ZN4vllm22paged_attention_kernelIthLi256ELi16ELi128ELNS_18Fp8KVCacheDataTypeE1ELb0ELi512EEEvPfS2_PT_PKS3_PKT0_S9_ifPKiSB_iPKfiiiSD_SD_iiiii
	.type	_ZN4vllm22paged_attention_kernelIthLi256ELi16ELi128ELNS_18Fp8KVCacheDataTypeE1ELb0ELi512EEEvPfS2_PT_PKS3_PKT0_S9_ifPKiSB_iPKfiiiSD_SD_iiiii,@function
_ZN4vllm22paged_attention_kernelIthLi256ELi16ELi128ELNS_18Fp8KVCacheDataTypeE1ELb0ELi512EEEvPfS2_PT_PKS3_PKT0_S9_ifPKiSB_iPKfiiiSD_SD_iiiii: ; @_ZN4vllm22paged_attention_kernelIthLi256ELi16ELi128ELNS_18Fp8KVCacheDataTypeE1ELb0ELi512EEEvPfS2_PT_PKS3_PKT0_S9_ifPKiSB_iPKfiiiSD_SD_iiiii
; %bb.0:
	s_waitcnt vmcnt(0) expcnt(0) lgkmcnt(0)
	s_or_saveexec_b64 s[4:5], -1
	buffer_store_dword v63, off, s[0:3], s32 offset:140 ; 4-byte Folded Spill
	s_mov_b64 exec, s[4:5]
	buffer_store_dword v40, off, s[0:3], s32 offset:92 ; 4-byte Folded Spill
	buffer_store_dword v41, off, s[0:3], s32 offset:88 ; 4-byte Folded Spill
	;; [unrolled: 1-line block ×23, first 2 shown]
	buffer_store_dword a40, off, s[0:3], s32 ; 4-byte Folded Spill
	v_writelane_b32 v63, s34, 0
	v_writelane_b32 v63, s35, 1
	v_writelane_b32 v63, s36, 2
	v_writelane_b32 v63, s37, 3
	v_writelane_b32 v63, s38, 4
	v_writelane_b32 v63, s30, 5
	v_writelane_b32 v63, s31, 6
	s_mov_b32 s22, s13
	s_ashr_i32 s23, s13, 31
	v_accvgpr_write_b32 a27, v25
	s_lshl_b64 s[4:5], s[22:23], 2
	v_accvgpr_write_b32 a26, v24
	v_mov_b32_e32 v25, v1
	v_mov_b32_e32 v30, v0
	v_mov_b32_e32 v1, s5
	v_add_co_u32_e32 v0, vcc, s4, v16
	v_addc_co_u32_e32 v1, vcc, v17, v1, vcc
	flat_load_dword v0, v[0:1]
	v_accvgpr_write_b32 a4, v26
	s_lshl_b32 s23, s14, 9
	v_accvgpr_write_b32 a5, v27
	v_accvgpr_write_b32 a6, v22
	v_mov_b32_e32 v29, v20
	v_mov_b32_e32 v28, v19
	v_accvgpr_write_b32 a25, v13
	v_mov_b32_e32 v20, v5
	v_mov_b32_e32 v22, v4
	;; [unrolled: 1-line block ×4, first 2 shown]
	s_waitcnt vmcnt(0) lgkmcnt(0)
	v_accvgpr_write_b32 a8, v0
	v_cmp_lt_i32_e32 vcc, s23, v0
	s_and_saveexec_b64 s[16:17], vcc
	s_cbranch_execz .LBB295_843
; %bb.1:
	v_sub_u32_e32 v0, 0, v12
	v_max_i32_e32 v0, v12, v0
	v_cvt_f32_u32_e32 v1, v0
	s_load_dword s4, s[8:9], 0x10
	s_load_dword s6, s[8:9], 0x0
	v_sub_u32_e32 v3, 0, v0
	s_mov_b32 s18, s15
	v_rcp_iflag_f32_e32 v1, v1
	s_waitcnt lgkmcnt(0)
	s_lshr_b32 s4, s4, 16
	s_cmp_lg_u32 s4, 0
	s_cselect_b64 s[4:5], -1, 0
	v_mul_f32_e32 v1, 0x4f7ffffe, v1
	v_cvt_u32_f32_e32 v1, v1
	s_cmp_lg_u64 s[4:5], 0
	s_addc_u32 s15, s6, 0
	s_abs_i32 s4, s15
	v_mul_lo_u32 v3, v3, v1
	v_mul_hi_u32 v3, v1, v3
	v_add_u32_e32 v1, v1, v3
	v_mul_hi_u32 v1, s4, v1
	v_mul_lo_u32 v3, v1, v0
	v_sub_u32_e32 v3, s4, v3
	v_add_u32_e32 v4, 1, v1
	v_cmp_ge_u32_e32 vcc, v3, v0
	v_cndmask_b32_e32 v1, v1, v4, vcc
	v_sub_u32_e32 v4, v3, v0
	v_cndmask_b32_e32 v3, v3, v4, vcc
	v_xor_b32_e32 v2, s15, v12
	v_add_u32_e32 v4, 1, v1
	v_cmp_ge_u32_e32 vcc, v3, v0
	v_ashrrev_i32_e32 v2, 31, v2
	v_cndmask_b32_e32 v0, v1, v4, vcc
	v_xor_b32_e32 v0, v0, v2
	v_sub_u32_e32 v0, v0, v2
	v_sub_u32_e32 v1, 0, v0
	v_max_i32_e32 v1, v0, v1
	v_cvt_f32_u32_e32 v2, v1
	v_sub_u32_e32 v3, 0, v1
	s_abs_i32 s6, s12
	v_cmp_ne_u64_e32 vcc, 0, v[28:29]
	v_rcp_iflag_f32_e32 v2, v2
	v_mul_f32_e32 v2, 0x4f7ffffe, v2
	v_cvt_u32_f32_e32 v2, v2
	v_mul_lo_u32 v3, v3, v2
	v_mul_hi_u32 v3, v2, v3
	v_add_u32_e32 v2, v2, v3
	v_mad_u64_u32 v[32:33], s[4:5], s6, v2, 0
	v_mov_b32_e32 v2, 0
	buffer_store_dword v2, off, s[0:3], s32 offset:136 ; 4-byte Folded Spill
	s_and_saveexec_b64 s[4:5], vcc
	s_cbranch_execz .LBB295_3
; %bb.2:
	s_ashr_i32 s13, s12, 31
	s_lshl_b64 s[10:11], s[12:13], 2
	v_mov_b32_e32 v3, s11
	v_add_co_u32_e32 v2, vcc, s10, v28
	v_addc_co_u32_e32 v3, vcc, v29, v3, vcc
	flat_load_dword v2, v[2:3]
	s_waitcnt vmcnt(0) lgkmcnt(0)
	buffer_store_dword v2, off, s[0:3], s32 offset:136 ; 4-byte Folded Spill
.LBB295_3:
	s_or_b64 exec, exec, s[4:5]
	v_and_b32_e32 v24, 0x3ff, v31
	s_movk_i32 s4, 0x80
	s_ashr_i32 s7, s12, 31
	v_ashrrev_i32_e32 v2, 31, v0
	v_and_b32_e32 v0, 3, v24
	s_lshl_b32 s20, s12, 8
	v_cmp_gt_u32_e32 vcc, s4, v24
	s_and_saveexec_b64 s[4:5], vcc
	s_cbranch_execz .LBB295_5
; %bb.4:
	v_mul_lo_u32 v4, s22, v21
	v_ashrrev_i32_e32 v5, 31, v4
	v_lshlrev_b64 v[4:5], 1, v[4:5]
	v_add_co_u32_e32 v3, vcc, v6, v4
	s_ashr_i32 s21, s20, 31
	v_addc_co_u32_e32 v4, vcc, v7, v5, vcc
	s_lshl_b64 s[10:11], s[20:21], 1
	v_mov_b32_e32 v5, s11
	v_add_co_u32_e32 v3, vcc, s10, v3
	v_addc_co_u32_e32 v5, vcc, v4, v5, vcc
	v_lshlrev_b32_e32 v4, 2, v24
	v_add_co_u32_e32 v4, vcc, v3, v4
	v_addc_co_u32_e32 v5, vcc, 0, v5, vcc
	flat_load_dword v3, v[4:5]
	v_and_b32_e32 v4, 0x3fc, v24
	v_lshl_add_u32 v4, v0, 7, v4
	s_waitcnt vmcnt(0) lgkmcnt(0)
	ds_write_b32 v4, v3
.LBB295_5:
	s_or_b64 exec, exec, s[4:5]
	v_accvgpr_read_b32 v4, a8
	v_add_u32_e32 v3, 15, v4
	v_ashrrev_i32_e32 v4, 31, v3
	v_lshrrev_b32_e32 v4, 28, v4
	v_add_u32_e32 v3, v3, v4
	v_ashrrev_i32_e32 v21, 4, v3
	v_mul_lo_u32 v3, v33, v1
	v_sub_u32_e32 v3, s6, v3
	v_add_u32_e32 v4, 1, v33
	v_cmp_ge_u32_e32 vcc, v3, v1
	v_sub_u32_e32 v5, v3, v1
	v_cndmask_b32_e32 v4, v33, v4, vcc
	v_cndmask_b32_e32 v3, v3, v5, vcc
	v_add_u32_e32 v5, 1, v4
	v_cmp_ge_u32_e32 vcc, v3, v1
	s_lshl_b32 s21, s14, 5
	v_xor_b32_e32 v2, s7, v2
	v_cndmask_b32_e32 v1, v4, v5, vcc
	s_add_i32 s4, s21, 32
	v_lshrrev_b32_e32 v28, 6, v24
	v_xor_b32_e32 v1, v1, v2
	v_min_i32_e32 v6, s4, v21
	v_sub_u32_e32 v3, v1, v2
	v_mul_lo_u32 v18, s22, v18
	v_or_b32_e32 v2, s21, v28
	v_ashrrev_i32_e32 v19, 31, v18
	v_cmp_lt_i32_e64 s[4:5], v2, v6
	v_accvgpr_write_b32 a3, v6
	v_mov_b32_e32 v4, v2
	v_cmp_ge_i32_e32 vcc, v2, v6
	v_mbcnt_lo_u32_b32 v1, -1, 0
	s_waitcnt lgkmcnt(0)
	s_barrier
	s_waitcnt lgkmcnt(0)
                                        ; implicit-def: $sgpr19
                                        ; implicit-def: $agpr28
                                        ; implicit-def: $vgpr2
	s_and_saveexec_b64 s[6:7], vcc
	s_xor_b64 s[6:7], exec, s[6:7]
; %bb.6:
	v_mbcnt_hi_u32_b32 v0, -1, v1
	v_accvgpr_write_b32 a28, v0
	v_and_b32_e32 v0, 64, v0
	v_add_u32_e32 v2, 64, v0
	s_mov_b32 s19, 0xff7fffff
                                        ; implicit-def: $vgpr0
                                        ; kill: killed $vgpr0
                                        ; implicit-def: $agpr25
                                        ; implicit-def: $agpr26
                                        ; implicit-def: $vgpr8
                                        ; implicit-def: $vgpr9
                                        ; implicit-def: $vgpr0
                                        ; implicit-def: $vgpr1
; %bb.7:
	s_or_saveexec_b64 s[10:11], s[6:7]
	s_load_dword s36, s[8:9], 0x14
	s_load_dword s13, s[8:9], 0x8
	v_ashrrev_i32_e32 v5, 31, v4
	v_accvgpr_write_b32 a11, v5
	v_accvgpr_write_b32 a10, v4
	v_lshlrev_b64 v[4:5], 2, v[18:19]
	v_mul_lo_u32 v29, v3, v23
	v_accvgpr_write_b32 a21, v5
	v_lshlrev_b32_e32 v3, 4, v28
	v_mov_b32_e32 v7, s19
	v_ashrrev_i32_e32 v31, 31, v29
	v_accvgpr_write_b32 a20, v4
	v_accvgpr_write_b32 a22, v3
	s_xor_b64 exec, exec, s[10:11]
	s_cbranch_execz .LBB295_397
; %bb.8:
	v_bfe_u32 v4, v24, 2, 4
	v_add_co_u32_e32 v2, vcc, v8, v29
	v_addc_co_u32_e32 v3, vcc, v9, v31, vcc
	v_lshlrev_b32_e32 v5, 4, v4
	v_add_co_u32_e32 v2, vcc, v2, v5
	v_addc_co_u32_e32 v3, vcc, 0, v3, vcc
	v_accvgpr_write_b32 a31, v3
	v_accvgpr_write_b32 a30, v2
	v_lshlrev_b32_e32 v2, 1, v0
	v_lshlrev_b32_e32 v48, 7, v0
	v_cmp_eq_u32_e32 vcc, 0, v0
	buffer_load_dword v0, off, s[0:3], s32 offset:136 ; 4-byte Folded Reload
	s_ashr_i32 s19, s18, 31
	s_lshl_b64 s[8:9], s[18:19], 2
	v_accvgpr_read_b32 v6, a10
	s_getpc_b64 s[24:25]
	s_add_u32 s24, s24, llvm.amdgcn.dynlds.offset.table@rel32@lo+4
	s_addc_u32 s25, s25, llvm.amdgcn.dynlds.offset.table@rel32@hi+12
	v_accvgpr_read_b32 v7, a11
	v_accvgpr_write_b32 a32, v2
	s_add_u32 s24, s8, s24
	v_lshlrev_b64 v[2:3], 2, v[6:7]
	v_accvgpr_read_b32 v8, a20
	s_addc_u32 s25, s9, s25
	v_accvgpr_read_b32 v9, a21
	v_accvgpr_write_b32 a19, v21
	v_accvgpr_write_b32 a17, v35
	;; [unrolled: 1-line block ×12, first 2 shown]
	v_mov_b32_e32 v23, 0
	v_accvgpr_write_b32 a9, v14
	v_accvgpr_write_b32 a7, v15
	v_accvgpr_write_b32 a18, v28
	s_mov_b64 s[26:27], 0
	s_movk_i32 s19, 0x80
	s_movk_i32 s37, 0x7f
	s_mov_b32 s38, 0x8000
	s_waitcnt vmcnt(0)
	v_cmp_neq_f32_e64 s[6:7], 0, v0
	v_add_co_u32_e64 v0, s[8:9], v8, v2
	v_addc_co_u32_e64 v2, s[8:9], v9, v3, s[8:9]
	v_add_co_u32_e64 v8, s[8:9], v14, v0
	v_accvgpr_read_b32 v0, a8
	v_sub_u32_e32 v0, 1, v0
	v_accvgpr_write_b32 a29, v0
	v_accvgpr_read_b32 v0, a22
	v_add3_u32 v0, s23, v0, v4
	v_accvgpr_write_b32 a33, v0
	v_lshlrev_b32_e32 v0, 2, v4
	v_lshl_or_b32 v0, v28, 6, v0
	v_accvgpr_write_b32 a36, v0
	v_mov_b32_e32 v0, 0xff7fffff
	buffer_store_dword v0, off, s[0:3], s32 offset:132 ; 4-byte Folded Spill
	v_mbcnt_hi_u32_b32 v0, -1, v1
	v_addc_co_u32_e64 v9, s[8:9], v15, v2, s[8:9]
	v_accvgpr_write_b32 a28, v0
	s_branch .LBB295_10
.LBB295_9:                              ;   in Loop: Header=BB295_10 Depth=1
	s_or_b64 exec, exec, s[28:29]
	v_accvgpr_read_b32 v8, a34
	v_accvgpr_read_b32 v0, a33
	;; [unrolled: 1-line block ×3, first 2 shown]
	v_add_co_u32_e64 v8, s[8:9], 8, v8
	v_add_u32_e32 v0, 32, v0
	v_add_u32_e32 v6, 2, v6
	v_addc_co_u32_e64 v9, s[8:9], 0, v9, s[8:9]
	v_accvgpr_write_b32 a33, v0
	v_accvgpr_read_b32 v0, a3
	v_cmp_ge_i32_e64 s[8:9], v6, v0
	v_accvgpr_read_b32 v0, a36
	v_add_u32_e32 v0, 0x80, v0
	s_or_b64 s[26:27], s[8:9], s[26:27]
	v_accvgpr_write_b32 a36, v0
	s_andn2_b64 exec, exec, s[26:27]
	s_cbranch_execz .LBB295_396
.LBB295_10:                             ; =>This Inner Loop Header: Depth=1
	flat_load_dword v0, v[8:9]
	v_accvgpr_read_b32 v4, a30
	v_accvgpr_read_b32 v2, a6
	;; [unrolled: 1-line block ×3, first 2 shown]
	v_accvgpr_write_b32 a35, v9
	v_accvgpr_write_b32 a37, v6
	;; [unrolled: 1-line block ×3, first 2 shown]
	s_waitcnt vmcnt(0) lgkmcnt(0)
	v_mad_i64_i32 v[0:1], s[8:9], v0, v2, v[4:5]
	v_accvgpr_read_b32 v2, a32
	v_add_co_u32_e64 v28, s[8:9], v0, v2
	v_addc_co_u32_e64 v29, s[8:9], 0, v1, s[8:9]
	v_accvgpr_read_b32 v2, a26
	flat_load_ushort v0, v[28:29]
	v_accvgpr_read_b32 v3, a27
	flat_load_dword v54, v[2:3]
	s_waitcnt vmcnt(0) lgkmcnt(0)
	v_and_b32_e32 v30, 0xffff, v0
	v_cmp_ne_u16_sdwa s[8:9], v0, v23 src0_sel:BYTE_0 src1_sel:DWORD
	v_mov_b32_e32 v0, 0
	buffer_store_dword v0, off, s[0:3], s32 offset:96 ; 4-byte Folded Spill
	s_and_saveexec_b64 s[28:29], s[8:9]
	s_cbranch_execz .LBB295_16
; %bb.11:                               ;   in Loop: Header=BB295_10 Depth=1
	v_cmp_ne_u16_sdwa s[8:9], v30, s19 src0_sel:BYTE_0 src1_sel:DWORD
	v_bfrev_b32_e32 v0, 1
	buffer_store_dword v0, off, s[0:3], s32 offset:96 ; 4-byte Folded Spill
	s_and_saveexec_b64 s[30:31], s[8:9]
	s_cbranch_execz .LBB295_15
; %bb.12:                               ;   in Loop: Header=BB295_10 Depth=1
	v_and_b32_e32 v0, 0x7f, v30
	v_cmp_ne_u32_e64 s[8:9], s37, v0
	v_mov_b32_e32 v1, 0x7fc02000
	buffer_store_dword v1, off, s[0:3], s32 offset:96 ; 4-byte Folded Spill
	s_and_saveexec_b64 s[34:35], s[8:9]
	s_cbranch_execz .LBB295_14
; %bb.13:                               ;   in Loop: Header=BB295_10 Depth=1
	v_and_b32_e32 v1, 7, v30
	v_ffbh_u32_e32 v2, v1
	v_min_u32_e32 v5, 32, v2
	v_subrev_u32_e32 v2, 28, v5
	v_lshlrev_b64 v[2:3], v2, v[30:31]
	v_lshrrev_b32_e32 v4, 3, v0
	v_sub_u32_e32 v3, 29, v5
	v_cmp_gt_u32_e64 s[8:9], 8, v0
	v_and_b32_e32 v2, 7, v2
	v_cndmask_b32_e64 v0, v4, v3, s[8:9]
	v_mov_b32_e32 v3, 0x2000
	v_cndmask_b32_e64 v1, v1, v2, s[8:9]
	v_lshlrev_b32_e32 v2, 8, v30
	v_lshl_add_u32 v0, v0, 10, v3
	v_and_or_b32 v0, v2, s38, v0
	v_lshl_or_b32 v0, v1, 7, v0
	v_cvt_f32_f16_e32 v0, v0
	buffer_store_dword v0, off, s[0:3], s32 offset:96 ; 4-byte Folded Spill
.LBB295_14:                             ;   in Loop: Header=BB295_10 Depth=1
	s_or_b64 exec, exec, s[34:35]
.LBB295_15:                             ;   in Loop: Header=BB295_10 Depth=1
	s_or_b64 exec, exec, s[30:31]
.LBB295_16:                             ;   in Loop: Header=BB295_10 Depth=1
	s_or_b64 exec, exec, s[28:29]
	v_lshrrev_b16_e32 v30, 8, v30
	v_cmp_ne_u16_e64 s[8:9], 0, v30
	v_mov_b32_e32 v61, 0
	s_and_saveexec_b64 s[28:29], s[8:9]
	s_cbranch_execz .LBB295_22
; %bb.17:                               ;   in Loop: Header=BB295_10 Depth=1
	v_cmp_ne_u16_e64 s[8:9], s19, v30
	v_bfrev_b32_e32 v61, 1
	s_and_saveexec_b64 s[30:31], s[8:9]
	s_cbranch_execz .LBB295_21
; %bb.18:                               ;   in Loop: Header=BB295_10 Depth=1
	v_and_b32_e32 v0, 0x7f, v30
	v_cmp_ne_u32_e64 s[8:9], s37, v0
	v_mov_b32_e32 v61, 0x7fc02000
	s_and_saveexec_b64 s[34:35], s[8:9]
	s_cbranch_execz .LBB295_20
; %bb.19:                               ;   in Loop: Header=BB295_10 Depth=1
	v_and_b32_e32 v1, 7, v30
	v_ffbh_u32_e32 v2, v1
	v_min_u32_e32 v5, 32, v2
	v_subrev_u32_e32 v2, 28, v5
	v_lshlrev_b64 v[2:3], v2, v[30:31]
	v_lshrrev_b32_e32 v4, 3, v0
	v_sub_u32_e32 v3, 29, v5
	v_cmp_gt_u32_e64 s[8:9], 8, v0
	v_and_b32_e32 v2, 7, v2
	v_cndmask_b32_e64 v0, v4, v3, s[8:9]
	v_mov_b32_e32 v3, 0x2000
	v_cndmask_b32_e64 v1, v1, v2, s[8:9]
	v_lshlrev_b32_e32 v2, 8, v30
	v_lshl_add_u32 v0, v0, 10, v3
	v_and_or_b32 v0, v2, s38, v0
	v_lshl_or_b32 v0, v1, 7, v0
	v_cvt_f32_f16_e32 v61, v0
.LBB295_20:                             ;   in Loop: Header=BB295_10 Depth=1
	s_or_b64 exec, exec, s[34:35]
.LBB295_21:                             ;   in Loop: Header=BB295_10 Depth=1
	s_or_b64 exec, exec, s[30:31]
.LBB295_22:                             ;   in Loop: Header=BB295_10 Depth=1
	s_or_b64 exec, exec, s[28:29]
	flat_load_ushort v0, v[28:29] offset:8
	v_mov_b32_e32 v1, 0
	v_mov_b32_e32 v10, 0
	buffer_store_dword v1, off, s[0:3], s32 offset:100 ; 4-byte Folded Spill
	s_waitcnt vmcnt(0) lgkmcnt(0)
	v_and_b32_e32 v30, 0xffff, v0
	v_cmp_ne_u16_sdwa s[8:9], v0, v23 src0_sel:BYTE_0 src1_sel:DWORD
	s_and_saveexec_b64 s[28:29], s[8:9]
	s_cbranch_execz .LBB295_28
; %bb.23:                               ;   in Loop: Header=BB295_10 Depth=1
	v_cmp_ne_u16_sdwa s[8:9], v30, s19 src0_sel:BYTE_0 src1_sel:DWORD
	v_bfrev_b32_e32 v10, 1
	s_and_saveexec_b64 s[30:31], s[8:9]
	s_cbranch_execz .LBB295_27
; %bb.24:                               ;   in Loop: Header=BB295_10 Depth=1
	v_and_b32_e32 v0, 0x7f, v30
	v_cmp_ne_u32_e64 s[8:9], s37, v0
	v_mov_b32_e32 v10, 0x7fc02000
	s_and_saveexec_b64 s[34:35], s[8:9]
	s_cbranch_execz .LBB295_26
; %bb.25:                               ;   in Loop: Header=BB295_10 Depth=1
	v_and_b32_e32 v1, 7, v30
	v_ffbh_u32_e32 v2, v1
	v_min_u32_e32 v5, 32, v2
	v_subrev_u32_e32 v2, 28, v5
	v_lshlrev_b64 v[2:3], v2, v[30:31]
	v_lshrrev_b32_e32 v4, 3, v0
	v_sub_u32_e32 v3, 29, v5
	v_cmp_gt_u32_e64 s[8:9], 8, v0
	v_and_b32_e32 v2, 7, v2
	v_cndmask_b32_e64 v0, v4, v3, s[8:9]
	v_mov_b32_e32 v3, 0x2000
	v_cndmask_b32_e64 v1, v1, v2, s[8:9]
	v_lshlrev_b32_e32 v2, 8, v30
	v_lshl_add_u32 v0, v0, 10, v3
	v_and_or_b32 v0, v2, s38, v0
	v_lshl_or_b32 v0, v1, 7, v0
	v_cvt_f32_f16_e32 v10, v0
.LBB295_26:                             ;   in Loop: Header=BB295_10 Depth=1
	s_or_b64 exec, exec, s[34:35]
.LBB295_27:                             ;   in Loop: Header=BB295_10 Depth=1
	s_or_b64 exec, exec, s[30:31]
.LBB295_28:                             ;   in Loop: Header=BB295_10 Depth=1
	s_or_b64 exec, exec, s[28:29]
	v_lshrrev_b16_e32 v30, 8, v30
	v_cmp_ne_u16_e64 s[8:9], 0, v30
	s_and_saveexec_b64 s[28:29], s[8:9]
	s_cbranch_execz .LBB295_34
; %bb.29:                               ;   in Loop: Header=BB295_10 Depth=1
	v_cmp_ne_u16_e64 s[8:9], s19, v30
	v_bfrev_b32_e32 v0, 1
	buffer_store_dword v0, off, s[0:3], s32 offset:100 ; 4-byte Folded Spill
	s_and_saveexec_b64 s[30:31], s[8:9]
	s_cbranch_execz .LBB295_33
; %bb.30:                               ;   in Loop: Header=BB295_10 Depth=1
	v_and_b32_e32 v0, 0x7f, v30
	v_cmp_ne_u32_e64 s[8:9], s37, v0
	v_mov_b32_e32 v1, 0x7fc02000
	buffer_store_dword v1, off, s[0:3], s32 offset:100 ; 4-byte Folded Spill
	s_and_saveexec_b64 s[34:35], s[8:9]
	s_cbranch_execz .LBB295_32
; %bb.31:                               ;   in Loop: Header=BB295_10 Depth=1
	v_and_b32_e32 v1, 7, v30
	v_ffbh_u32_e32 v2, v1
	v_min_u32_e32 v5, 32, v2
	v_subrev_u32_e32 v2, 28, v5
	v_lshlrev_b64 v[2:3], v2, v[30:31]
	v_lshrrev_b32_e32 v4, 3, v0
	v_sub_u32_e32 v3, 29, v5
	v_cmp_gt_u32_e64 s[8:9], 8, v0
	v_and_b32_e32 v2, 7, v2
	v_cndmask_b32_e64 v0, v4, v3, s[8:9]
	v_mov_b32_e32 v3, 0x2000
	v_cndmask_b32_e64 v1, v1, v2, s[8:9]
	v_lshlrev_b32_e32 v2, 8, v30
	v_lshl_add_u32 v0, v0, 10, v3
	v_and_or_b32 v0, v2, s38, v0
	v_lshl_or_b32 v0, v1, 7, v0
	v_cvt_f32_f16_e32 v0, v0
	buffer_store_dword v0, off, s[0:3], s32 offset:100 ; 4-byte Folded Spill
.LBB295_32:                             ;   in Loop: Header=BB295_10 Depth=1
	s_or_b64 exec, exec, s[34:35]
.LBB295_33:                             ;   in Loop: Header=BB295_10 Depth=1
	s_or_b64 exec, exec, s[30:31]
.LBB295_34:                             ;   in Loop: Header=BB295_10 Depth=1
	s_or_b64 exec, exec, s[28:29]
	flat_load_ushort v0, v[28:29] offset:256
	v_mov_b32_e32 v17, 0
	s_waitcnt vmcnt(0) lgkmcnt(0)
	v_and_b32_e32 v30, 0xffff, v0
	v_cmp_ne_u16_sdwa s[8:9], v0, v23 src0_sel:BYTE_0 src1_sel:DWORD
	v_mov_b32_e32 v0, 0
	buffer_store_dword v0, off, s[0:3], s32 offset:104 ; 4-byte Folded Spill
	s_and_saveexec_b64 s[28:29], s[8:9]
	s_cbranch_execz .LBB295_40
; %bb.35:                               ;   in Loop: Header=BB295_10 Depth=1
	v_cmp_ne_u16_sdwa s[8:9], v30, s19 src0_sel:BYTE_0 src1_sel:DWORD
	v_bfrev_b32_e32 v0, 1
	buffer_store_dword v0, off, s[0:3], s32 offset:104 ; 4-byte Folded Spill
	s_and_saveexec_b64 s[30:31], s[8:9]
	s_cbranch_execz .LBB295_39
; %bb.36:                               ;   in Loop: Header=BB295_10 Depth=1
	v_and_b32_e32 v0, 0x7f, v30
	v_cmp_ne_u32_e64 s[8:9], s37, v0
	v_mov_b32_e32 v1, 0x7fc02000
	buffer_store_dword v1, off, s[0:3], s32 offset:104 ; 4-byte Folded Spill
	s_and_saveexec_b64 s[34:35], s[8:9]
	s_cbranch_execz .LBB295_38
; %bb.37:                               ;   in Loop: Header=BB295_10 Depth=1
	v_and_b32_e32 v1, 7, v30
	v_ffbh_u32_e32 v2, v1
	v_min_u32_e32 v5, 32, v2
	v_subrev_u32_e32 v2, 28, v5
	v_lshlrev_b64 v[2:3], v2, v[30:31]
	v_lshrrev_b32_e32 v4, 3, v0
	v_sub_u32_e32 v3, 29, v5
	v_cmp_gt_u32_e64 s[8:9], 8, v0
	v_and_b32_e32 v2, 7, v2
	v_cndmask_b32_e64 v0, v4, v3, s[8:9]
	v_mov_b32_e32 v3, 0x2000
	v_cndmask_b32_e64 v1, v1, v2, s[8:9]
	v_lshlrev_b32_e32 v2, 8, v30
	v_lshl_add_u32 v0, v0, 10, v3
	v_and_or_b32 v0, v2, s38, v0
	v_lshl_or_b32 v0, v1, 7, v0
	v_cvt_f32_f16_e32 v0, v0
	buffer_store_dword v0, off, s[0:3], s32 offset:104 ; 4-byte Folded Spill
.LBB295_38:                             ;   in Loop: Header=BB295_10 Depth=1
	s_or_b64 exec, exec, s[34:35]
.LBB295_39:                             ;   in Loop: Header=BB295_10 Depth=1
	s_or_b64 exec, exec, s[30:31]
.LBB295_40:                             ;   in Loop: Header=BB295_10 Depth=1
	s_or_b64 exec, exec, s[28:29]
	v_lshrrev_b16_e32 v30, 8, v30
	v_cmp_ne_u16_e64 s[8:9], 0, v30
	s_and_saveexec_b64 s[28:29], s[8:9]
	s_cbranch_execz .LBB295_46
; %bb.41:                               ;   in Loop: Header=BB295_10 Depth=1
	v_cmp_ne_u16_e64 s[8:9], s19, v30
	v_bfrev_b32_e32 v17, 1
	s_and_saveexec_b64 s[30:31], s[8:9]
	s_cbranch_execz .LBB295_45
; %bb.42:                               ;   in Loop: Header=BB295_10 Depth=1
	v_and_b32_e32 v0, 0x7f, v30
	v_cmp_ne_u32_e64 s[8:9], s37, v0
	v_mov_b32_e32 v17, 0x7fc02000
	s_and_saveexec_b64 s[34:35], s[8:9]
	s_cbranch_execz .LBB295_44
; %bb.43:                               ;   in Loop: Header=BB295_10 Depth=1
	v_and_b32_e32 v1, 7, v30
	v_ffbh_u32_e32 v2, v1
	v_min_u32_e32 v5, 32, v2
	v_subrev_u32_e32 v2, 28, v5
	v_lshlrev_b64 v[2:3], v2, v[30:31]
	v_lshrrev_b32_e32 v4, 3, v0
	v_sub_u32_e32 v3, 29, v5
	v_cmp_gt_u32_e64 s[8:9], 8, v0
	v_and_b32_e32 v2, 7, v2
	v_cndmask_b32_e64 v0, v4, v3, s[8:9]
	v_mov_b32_e32 v3, 0x2000
	v_cndmask_b32_e64 v1, v1, v2, s[8:9]
	v_lshlrev_b32_e32 v2, 8, v30
	v_lshl_add_u32 v0, v0, 10, v3
	v_and_or_b32 v0, v2, s38, v0
	v_lshl_or_b32 v0, v1, 7, v0
	v_cvt_f32_f16_e32 v17, v0
.LBB295_44:                             ;   in Loop: Header=BB295_10 Depth=1
	s_or_b64 exec, exec, s[34:35]
.LBB295_45:                             ;   in Loop: Header=BB295_10 Depth=1
	s_or_b64 exec, exec, s[30:31]
.LBB295_46:                             ;   in Loop: Header=BB295_10 Depth=1
	s_or_b64 exec, exec, s[28:29]
	flat_load_ushort v0, v[28:29] offset:264
	v_mov_b32_e32 v34, 0
	s_waitcnt vmcnt(0) lgkmcnt(0)
	v_and_b32_e32 v30, 0xffff, v0
	v_cmp_ne_u16_sdwa s[8:9], v0, v23 src0_sel:BYTE_0 src1_sel:DWORD
	v_mov_b32_e32 v0, 0
	buffer_store_dword v0, off, s[0:3], s32 offset:108 ; 4-byte Folded Spill
	s_and_saveexec_b64 s[28:29], s[8:9]
	s_cbranch_execz .LBB295_52
; %bb.47:                               ;   in Loop: Header=BB295_10 Depth=1
	v_cmp_ne_u16_sdwa s[8:9], v30, s19 src0_sel:BYTE_0 src1_sel:DWORD
	v_bfrev_b32_e32 v0, 1
	buffer_store_dword v0, off, s[0:3], s32 offset:108 ; 4-byte Folded Spill
	s_and_saveexec_b64 s[30:31], s[8:9]
	s_cbranch_execz .LBB295_51
; %bb.48:                               ;   in Loop: Header=BB295_10 Depth=1
	v_and_b32_e32 v0, 0x7f, v30
	v_cmp_ne_u32_e64 s[8:9], s37, v0
	v_mov_b32_e32 v1, 0x7fc02000
	buffer_store_dword v1, off, s[0:3], s32 offset:108 ; 4-byte Folded Spill
	s_and_saveexec_b64 s[34:35], s[8:9]
	s_cbranch_execz .LBB295_50
; %bb.49:                               ;   in Loop: Header=BB295_10 Depth=1
	v_and_b32_e32 v1, 7, v30
	v_ffbh_u32_e32 v2, v1
	v_min_u32_e32 v5, 32, v2
	v_subrev_u32_e32 v2, 28, v5
	v_lshlrev_b64 v[2:3], v2, v[30:31]
	v_lshrrev_b32_e32 v4, 3, v0
	v_sub_u32_e32 v3, 29, v5
	v_cmp_gt_u32_e64 s[8:9], 8, v0
	v_and_b32_e32 v2, 7, v2
	v_cndmask_b32_e64 v0, v4, v3, s[8:9]
	v_mov_b32_e32 v3, 0x2000
	v_cndmask_b32_e64 v1, v1, v2, s[8:9]
	v_lshlrev_b32_e32 v2, 8, v30
	v_lshl_add_u32 v0, v0, 10, v3
	v_and_or_b32 v0, v2, s38, v0
	v_lshl_or_b32 v0, v1, 7, v0
	v_cvt_f32_f16_e32 v0, v0
	buffer_store_dword v0, off, s[0:3], s32 offset:108 ; 4-byte Folded Spill
.LBB295_50:                             ;   in Loop: Header=BB295_10 Depth=1
	s_or_b64 exec, exec, s[34:35]
.LBB295_51:                             ;   in Loop: Header=BB295_10 Depth=1
	s_or_b64 exec, exec, s[30:31]
.LBB295_52:                             ;   in Loop: Header=BB295_10 Depth=1
	s_or_b64 exec, exec, s[28:29]
	v_lshrrev_b16_e32 v30, 8, v30
	v_cmp_ne_u16_e64 s[8:9], 0, v30
	s_and_saveexec_b64 s[28:29], s[8:9]
	s_cbranch_execz .LBB295_58
; %bb.53:                               ;   in Loop: Header=BB295_10 Depth=1
	v_cmp_ne_u16_e64 s[8:9], s19, v30
	v_bfrev_b32_e32 v34, 1
	s_and_saveexec_b64 s[30:31], s[8:9]
	s_cbranch_execz .LBB295_57
; %bb.54:                               ;   in Loop: Header=BB295_10 Depth=1
	v_and_b32_e32 v0, 0x7f, v30
	v_cmp_ne_u32_e64 s[8:9], s37, v0
	v_mov_b32_e32 v34, 0x7fc02000
	s_and_saveexec_b64 s[34:35], s[8:9]
	s_cbranch_execz .LBB295_56
; %bb.55:                               ;   in Loop: Header=BB295_10 Depth=1
	v_and_b32_e32 v1, 7, v30
	v_ffbh_u32_e32 v2, v1
	v_min_u32_e32 v5, 32, v2
	v_subrev_u32_e32 v2, 28, v5
	v_lshlrev_b64 v[2:3], v2, v[30:31]
	v_lshrrev_b32_e32 v4, 3, v0
	v_sub_u32_e32 v3, 29, v5
	v_cmp_gt_u32_e64 s[8:9], 8, v0
	v_and_b32_e32 v2, 7, v2
	v_cndmask_b32_e64 v0, v4, v3, s[8:9]
	v_mov_b32_e32 v3, 0x2000
	v_cndmask_b32_e64 v1, v1, v2, s[8:9]
	v_lshlrev_b32_e32 v2, 8, v30
	v_lshl_add_u32 v0, v0, 10, v3
	v_and_or_b32 v0, v2, s38, v0
	v_lshl_or_b32 v0, v1, 7, v0
	v_cvt_f32_f16_e32 v34, v0
.LBB295_56:                             ;   in Loop: Header=BB295_10 Depth=1
	s_or_b64 exec, exec, s[34:35]
.LBB295_57:                             ;   in Loop: Header=BB295_10 Depth=1
	s_or_b64 exec, exec, s[30:31]
.LBB295_58:                             ;   in Loop: Header=BB295_10 Depth=1
	s_or_b64 exec, exec, s[28:29]
	flat_load_ushort v0, v[28:29] offset:512
	v_mov_b32_e32 v35, 0
	v_mov_b32_e32 v37, 0
	s_waitcnt vmcnt(0) lgkmcnt(0)
	v_and_b32_e32 v30, 0xffff, v0
	v_cmp_ne_u16_sdwa s[8:9], v0, v23 src0_sel:BYTE_0 src1_sel:DWORD
	s_and_saveexec_b64 s[28:29], s[8:9]
	s_cbranch_execz .LBB295_64
; %bb.59:                               ;   in Loop: Header=BB295_10 Depth=1
	v_cmp_ne_u16_sdwa s[8:9], v30, s19 src0_sel:BYTE_0 src1_sel:DWORD
	v_bfrev_b32_e32 v37, 1
	s_and_saveexec_b64 s[30:31], s[8:9]
	s_cbranch_execz .LBB295_63
; %bb.60:                               ;   in Loop: Header=BB295_10 Depth=1
	v_and_b32_e32 v0, 0x7f, v30
	v_cmp_ne_u32_e64 s[8:9], s37, v0
	v_mov_b32_e32 v37, 0x7fc02000
	s_and_saveexec_b64 s[34:35], s[8:9]
	s_cbranch_execz .LBB295_62
; %bb.61:                               ;   in Loop: Header=BB295_10 Depth=1
	v_and_b32_e32 v1, 7, v30
	v_ffbh_u32_e32 v2, v1
	v_min_u32_e32 v5, 32, v2
	v_subrev_u32_e32 v2, 28, v5
	v_lshlrev_b64 v[2:3], v2, v[30:31]
	v_lshrrev_b32_e32 v4, 3, v0
	v_sub_u32_e32 v3, 29, v5
	v_cmp_gt_u32_e64 s[8:9], 8, v0
	v_and_b32_e32 v2, 7, v2
	v_cndmask_b32_e64 v0, v4, v3, s[8:9]
	v_mov_b32_e32 v3, 0x2000
	v_cndmask_b32_e64 v1, v1, v2, s[8:9]
	v_lshlrev_b32_e32 v2, 8, v30
	v_lshl_add_u32 v0, v0, 10, v3
	v_and_or_b32 v0, v2, s38, v0
	v_lshl_or_b32 v0, v1, 7, v0
	v_cvt_f32_f16_e32 v37, v0
.LBB295_62:                             ;   in Loop: Header=BB295_10 Depth=1
	s_or_b64 exec, exec, s[34:35]
.LBB295_63:                             ;   in Loop: Header=BB295_10 Depth=1
	s_or_b64 exec, exec, s[30:31]
.LBB295_64:                             ;   in Loop: Header=BB295_10 Depth=1
	s_or_b64 exec, exec, s[28:29]
	v_lshrrev_b16_e32 v30, 8, v30
	v_cmp_ne_u16_e64 s[8:9], 0, v30
	s_and_saveexec_b64 s[28:29], s[8:9]
	s_cbranch_execz .LBB295_70
; %bb.65:                               ;   in Loop: Header=BB295_10 Depth=1
	v_cmp_ne_u16_e64 s[8:9], s19, v30
	v_bfrev_b32_e32 v35, 1
	s_and_saveexec_b64 s[30:31], s[8:9]
	s_cbranch_execz .LBB295_69
; %bb.66:                               ;   in Loop: Header=BB295_10 Depth=1
	v_and_b32_e32 v0, 0x7f, v30
	v_cmp_ne_u32_e64 s[8:9], s37, v0
	v_mov_b32_e32 v35, 0x7fc02000
	s_and_saveexec_b64 s[34:35], s[8:9]
	s_cbranch_execz .LBB295_68
; %bb.67:                               ;   in Loop: Header=BB295_10 Depth=1
	v_and_b32_e32 v1, 7, v30
	v_ffbh_u32_e32 v2, v1
	v_min_u32_e32 v5, 32, v2
	v_subrev_u32_e32 v2, 28, v5
	v_lshlrev_b64 v[2:3], v2, v[30:31]
	v_lshrrev_b32_e32 v4, 3, v0
	v_sub_u32_e32 v3, 29, v5
	v_cmp_gt_u32_e64 s[8:9], 8, v0
	v_and_b32_e32 v2, 7, v2
	v_cndmask_b32_e64 v0, v4, v3, s[8:9]
	v_mov_b32_e32 v3, 0x2000
	v_cndmask_b32_e64 v1, v1, v2, s[8:9]
	v_lshlrev_b32_e32 v2, 8, v30
	v_lshl_add_u32 v0, v0, 10, v3
	v_and_or_b32 v0, v2, s38, v0
	v_lshl_or_b32 v0, v1, 7, v0
	v_cvt_f32_f16_e32 v35, v0
.LBB295_68:                             ;   in Loop: Header=BB295_10 Depth=1
	s_or_b64 exec, exec, s[34:35]
.LBB295_69:                             ;   in Loop: Header=BB295_10 Depth=1
	s_or_b64 exec, exec, s[30:31]
.LBB295_70:                             ;   in Loop: Header=BB295_10 Depth=1
	s_or_b64 exec, exec, s[28:29]
	flat_load_ushort v0, v[28:29] offset:520
	v_mov_b32_e32 v38, 0
	v_mov_b32_e32 v49, 0
	s_waitcnt vmcnt(0) lgkmcnt(0)
	v_and_b32_e32 v30, 0xffff, v0
	v_cmp_ne_u16_sdwa s[8:9], v0, v23 src0_sel:BYTE_0 src1_sel:DWORD
	s_and_saveexec_b64 s[28:29], s[8:9]
	s_cbranch_execz .LBB295_76
; %bb.71:                               ;   in Loop: Header=BB295_10 Depth=1
	v_cmp_ne_u16_sdwa s[8:9], v30, s19 src0_sel:BYTE_0 src1_sel:DWORD
	v_bfrev_b32_e32 v49, 1
	s_and_saveexec_b64 s[30:31], s[8:9]
	s_cbranch_execz .LBB295_75
; %bb.72:                               ;   in Loop: Header=BB295_10 Depth=1
	v_and_b32_e32 v0, 0x7f, v30
	v_cmp_ne_u32_e64 s[8:9], s37, v0
	v_mov_b32_e32 v49, 0x7fc02000
	s_and_saveexec_b64 s[34:35], s[8:9]
	s_cbranch_execz .LBB295_74
; %bb.73:                               ;   in Loop: Header=BB295_10 Depth=1
	v_and_b32_e32 v2, 7, v30
	v_lshrrev_b32_e32 v3, 3, v0
	v_cmp_gt_u32_e64 s[8:9], 8, v0
	v_ffbh_u32_e32 v0, v2
	v_min_u32_e32 v4, 32, v0
	v_subrev_u32_e32 v0, 28, v4
	v_lshlrev_b64 v[0:1], v0, v[30:31]
	v_sub_u32_e32 v1, 29, v4
	v_and_b32_e32 v0, 7, v0
	v_cndmask_b32_e64 v1, v3, v1, s[8:9]
	v_mov_b32_e32 v3, 0x2000
	v_cndmask_b32_e64 v0, v2, v0, s[8:9]
	v_lshlrev_b32_e32 v2, 8, v30
	v_lshl_add_u32 v1, v1, 10, v3
	v_and_or_b32 v1, v2, s38, v1
	v_lshl_or_b32 v0, v0, 7, v1
	v_cvt_f32_f16_e32 v49, v0
.LBB295_74:                             ;   in Loop: Header=BB295_10 Depth=1
	s_or_b64 exec, exec, s[34:35]
.LBB295_75:                             ;   in Loop: Header=BB295_10 Depth=1
	s_or_b64 exec, exec, s[30:31]
.LBB295_76:                             ;   in Loop: Header=BB295_10 Depth=1
	s_or_b64 exec, exec, s[28:29]
	v_lshrrev_b16_e32 v30, 8, v30
	v_cmp_ne_u16_e64 s[8:9], 0, v30
	s_and_saveexec_b64 s[28:29], s[8:9]
	s_cbranch_execz .LBB295_82
; %bb.77:                               ;   in Loop: Header=BB295_10 Depth=1
	v_cmp_ne_u16_e64 s[8:9], s19, v30
	v_bfrev_b32_e32 v38, 1
	s_and_saveexec_b64 s[30:31], s[8:9]
	s_cbranch_execz .LBB295_81
; %bb.78:                               ;   in Loop: Header=BB295_10 Depth=1
	v_and_b32_e32 v0, 0x7f, v30
	v_cmp_ne_u32_e64 s[8:9], s37, v0
	v_mov_b32_e32 v38, 0x7fc02000
	s_and_saveexec_b64 s[34:35], s[8:9]
	s_cbranch_execz .LBB295_80
; %bb.79:                               ;   in Loop: Header=BB295_10 Depth=1
	v_and_b32_e32 v2, 7, v30
	v_lshrrev_b32_e32 v3, 3, v0
	v_cmp_gt_u32_e64 s[8:9], 8, v0
	v_ffbh_u32_e32 v0, v2
	v_min_u32_e32 v4, 32, v0
	v_subrev_u32_e32 v0, 28, v4
	v_lshlrev_b64 v[0:1], v0, v[30:31]
	v_sub_u32_e32 v1, 29, v4
	v_and_b32_e32 v0, 7, v0
	v_cndmask_b32_e64 v1, v3, v1, s[8:9]
	v_mov_b32_e32 v3, 0x2000
	v_cndmask_b32_e64 v0, v2, v0, s[8:9]
	v_lshlrev_b32_e32 v2, 8, v30
	v_lshl_add_u32 v1, v1, 10, v3
	v_and_or_b32 v1, v2, s38, v1
	v_lshl_or_b32 v0, v0, 7, v1
	v_cvt_f32_f16_e32 v38, v0
.LBB295_80:                             ;   in Loop: Header=BB295_10 Depth=1
	s_or_b64 exec, exec, s[34:35]
.LBB295_81:                             ;   in Loop: Header=BB295_10 Depth=1
	s_or_b64 exec, exec, s[30:31]
.LBB295_82:                             ;   in Loop: Header=BB295_10 Depth=1
	s_or_b64 exec, exec, s[28:29]
	flat_load_ushort v0, v[28:29] offset:768
	v_mov_b32_e32 v31, 0
	v_mov_b32_e32 v51, 0
	s_waitcnt vmcnt(0) lgkmcnt(0)
	v_and_b32_e32 v30, 0xffff, v0
	v_cmp_ne_u16_sdwa s[8:9], v0, v23 src0_sel:BYTE_0 src1_sel:DWORD
	s_and_saveexec_b64 s[28:29], s[8:9]
	s_cbranch_execz .LBB295_88
; %bb.83:                               ;   in Loop: Header=BB295_10 Depth=1
	v_cmp_ne_u16_sdwa s[8:9], v30, s19 src0_sel:BYTE_0 src1_sel:DWORD
	v_bfrev_b32_e32 v51, 1
	s_and_saveexec_b64 s[30:31], s[8:9]
	s_cbranch_execz .LBB295_87
; %bb.84:                               ;   in Loop: Header=BB295_10 Depth=1
	v_and_b32_e32 v0, 0x7f, v30
	v_cmp_ne_u32_e64 s[8:9], s37, v0
	v_mov_b32_e32 v51, 0x7fc02000
	s_and_saveexec_b64 s[34:35], s[8:9]
	s_cbranch_execz .LBB295_86
; %bb.85:                               ;   in Loop: Header=BB295_10 Depth=1
	v_and_b32_e32 v1, 7, v30
	v_ffbh_u32_e32 v2, v1
	v_min_u32_e32 v5, 32, v2
	v_subrev_u32_e32 v2, 28, v5
	v_lshlrev_b64 v[2:3], v2, v[30:31]
	v_lshrrev_b32_e32 v4, 3, v0
	v_sub_u32_e32 v3, 29, v5
	v_cmp_gt_u32_e64 s[8:9], 8, v0
	v_and_b32_e32 v2, 7, v2
	v_cndmask_b32_e64 v0, v4, v3, s[8:9]
	v_mov_b32_e32 v3, 0x2000
	v_cndmask_b32_e64 v1, v1, v2, s[8:9]
	v_lshlrev_b32_e32 v2, 8, v30
	v_lshl_add_u32 v0, v0, 10, v3
	v_and_or_b32 v0, v2, s38, v0
	v_lshl_or_b32 v0, v1, 7, v0
	v_cvt_f32_f16_e32 v51, v0
.LBB295_86:                             ;   in Loop: Header=BB295_10 Depth=1
	s_or_b64 exec, exec, s[34:35]
.LBB295_87:                             ;   in Loop: Header=BB295_10 Depth=1
	s_or_b64 exec, exec, s[30:31]
.LBB295_88:                             ;   in Loop: Header=BB295_10 Depth=1
	s_or_b64 exec, exec, s[28:29]
	v_lshrrev_b16_e32 v30, 8, v30
	v_cmp_ne_u16_e64 s[8:9], 0, v30
	s_and_saveexec_b64 s[28:29], s[8:9]
	s_cbranch_execz .LBB295_94
; %bb.89:                               ;   in Loop: Header=BB295_10 Depth=1
	v_cmp_ne_u16_e64 s[8:9], s19, v30
	v_bfrev_b32_e32 v31, 1
	s_and_saveexec_b64 s[30:31], s[8:9]
	s_cbranch_execz .LBB295_93
; %bb.90:                               ;   in Loop: Header=BB295_10 Depth=1
	v_and_b32_e32 v0, 0x7f, v30
	v_cmp_ne_u32_e64 s[8:9], s37, v0
	v_mov_b32_e32 v31, 0x7fc02000
	s_and_saveexec_b64 s[34:35], s[8:9]
	s_cbranch_execz .LBB295_92
; %bb.91:                               ;   in Loop: Header=BB295_10 Depth=1
	v_and_b32_e32 v1, 7, v30
	v_ffbh_u32_e32 v2, v1
	v_min_u32_e32 v5, 32, v2
	v_subrev_u32_e32 v2, 28, v5
	v_lshlrev_b64 v[2:3], v2, v[30:31]
	v_lshrrev_b32_e32 v4, 3, v0
	v_sub_u32_e32 v3, 29, v5
	v_cmp_gt_u32_e64 s[8:9], 8, v0
	v_and_b32_e32 v2, 7, v2
	v_cndmask_b32_e64 v0, v4, v3, s[8:9]
	v_mov_b32_e32 v3, 0x2000
	v_cndmask_b32_e64 v1, v1, v2, s[8:9]
	v_lshlrev_b32_e32 v2, 8, v30
	v_lshl_add_u32 v0, v0, 10, v3
	v_and_or_b32 v0, v2, s38, v0
	v_lshl_or_b32 v0, v1, 7, v0
	v_cvt_f32_f16_e32 v31, v0
.LBB295_92:                             ;   in Loop: Header=BB295_10 Depth=1
	s_or_b64 exec, exec, s[34:35]
.LBB295_93:                             ;   in Loop: Header=BB295_10 Depth=1
	s_or_b64 exec, exec, s[30:31]
.LBB295_94:                             ;   in Loop: Header=BB295_10 Depth=1
	s_or_b64 exec, exec, s[28:29]
	flat_load_ushort v0, v[28:29] offset:776
	v_mov_b32_e32 v52, 0
	v_mov_b32_e32 v33, 0
	s_waitcnt vmcnt(0) lgkmcnt(0)
	v_and_b32_e32 v30, 0xffff, v0
	v_cmp_ne_u16_sdwa s[8:9], v0, v23 src0_sel:BYTE_0 src1_sel:DWORD
	s_and_saveexec_b64 s[28:29], s[8:9]
	s_cbranch_execz .LBB295_100
; %bb.95:                               ;   in Loop: Header=BB295_10 Depth=1
	v_cmp_ne_u16_sdwa s[8:9], v30, s19 src0_sel:BYTE_0 src1_sel:DWORD
	v_bfrev_b32_e32 v33, 1
	s_and_saveexec_b64 s[30:31], s[8:9]
	s_cbranch_execz .LBB295_99
; %bb.96:                               ;   in Loop: Header=BB295_10 Depth=1
	v_and_b32_e32 v0, 0x7f, v30
	v_cmp_ne_u32_e64 s[8:9], s37, v0
	v_mov_b32_e32 v33, 0x7fc02000
	s_and_saveexec_b64 s[34:35], s[8:9]
	s_cbranch_execz .LBB295_98
; %bb.97:                               ;   in Loop: Header=BB295_10 Depth=1
	v_and_b32_e32 v1, 7, v30
	v_ffbh_u32_e32 v2, v1
	v_min_u32_e32 v5, 32, v2
	v_subrev_u32_e32 v2, 28, v5
	v_lshlrev_b64 v[2:3], v2, v[30:31]
	v_lshrrev_b32_e32 v4, 3, v0
	v_sub_u32_e32 v3, 29, v5
	v_cmp_gt_u32_e64 s[8:9], 8, v0
	v_and_b32_e32 v2, 7, v2
	v_cndmask_b32_e64 v0, v4, v3, s[8:9]
	v_mov_b32_e32 v3, 0x2000
	v_cndmask_b32_e64 v1, v1, v2, s[8:9]
	v_lshlrev_b32_e32 v2, 8, v30
	v_lshl_add_u32 v0, v0, 10, v3
	v_and_or_b32 v0, v2, s38, v0
	v_lshl_or_b32 v0, v1, 7, v0
	v_cvt_f32_f16_e32 v33, v0
.LBB295_98:                             ;   in Loop: Header=BB295_10 Depth=1
	s_or_b64 exec, exec, s[34:35]
.LBB295_99:                             ;   in Loop: Header=BB295_10 Depth=1
	s_or_b64 exec, exec, s[30:31]
.LBB295_100:                            ;   in Loop: Header=BB295_10 Depth=1
	s_or_b64 exec, exec, s[28:29]
	v_lshrrev_b16_e32 v30, 8, v30
	v_cmp_ne_u16_e64 s[8:9], 0, v30
	s_and_saveexec_b64 s[28:29], s[8:9]
	s_cbranch_execz .LBB295_106
; %bb.101:                              ;   in Loop: Header=BB295_10 Depth=1
	v_cmp_ne_u16_e64 s[8:9], s19, v30
	v_bfrev_b32_e32 v52, 1
	s_and_saveexec_b64 s[30:31], s[8:9]
	s_cbranch_execz .LBB295_105
; %bb.102:                              ;   in Loop: Header=BB295_10 Depth=1
	v_and_b32_e32 v0, 0x7f, v30
	v_cmp_ne_u32_e64 s[8:9], s37, v0
	v_mov_b32_e32 v52, 0x7fc02000
	s_and_saveexec_b64 s[34:35], s[8:9]
	s_cbranch_execz .LBB295_104
; %bb.103:                              ;   in Loop: Header=BB295_10 Depth=1
	v_and_b32_e32 v1, 7, v30
	v_ffbh_u32_e32 v2, v1
	v_min_u32_e32 v5, 32, v2
	v_subrev_u32_e32 v2, 28, v5
	v_lshlrev_b64 v[2:3], v2, v[30:31]
	v_lshrrev_b32_e32 v4, 3, v0
	v_sub_u32_e32 v3, 29, v5
	v_cmp_gt_u32_e64 s[8:9], 8, v0
	v_and_b32_e32 v2, 7, v2
	v_cndmask_b32_e64 v0, v4, v3, s[8:9]
	v_mov_b32_e32 v3, 0x2000
	v_cndmask_b32_e64 v1, v1, v2, s[8:9]
	v_lshlrev_b32_e32 v2, 8, v30
	v_lshl_add_u32 v0, v0, 10, v3
	v_and_or_b32 v0, v2, s38, v0
	v_lshl_or_b32 v0, v1, 7, v0
	v_cvt_f32_f16_e32 v52, v0
.LBB295_104:                            ;   in Loop: Header=BB295_10 Depth=1
	s_or_b64 exec, exec, s[34:35]
.LBB295_105:                            ;   in Loop: Header=BB295_10 Depth=1
	s_or_b64 exec, exec, s[30:31]
.LBB295_106:                            ;   in Loop: Header=BB295_10 Depth=1
	s_or_b64 exec, exec, s[28:29]
	flat_load_ushort v0, v[28:29] offset:1024
	v_mov_b32_e32 v14, 0
	v_mov_b32_e32 v62, 0
	s_waitcnt vmcnt(0) lgkmcnt(0)
	v_and_b32_e32 v30, 0xffff, v0
	v_cmp_ne_u16_sdwa s[8:9], v0, v23 src0_sel:BYTE_0 src1_sel:DWORD
	s_and_saveexec_b64 s[28:29], s[8:9]
	s_cbranch_execz .LBB295_112
; %bb.107:                              ;   in Loop: Header=BB295_10 Depth=1
	v_cmp_ne_u16_sdwa s[8:9], v30, s19 src0_sel:BYTE_0 src1_sel:DWORD
	v_bfrev_b32_e32 v62, 1
	s_and_saveexec_b64 s[30:31], s[8:9]
	s_cbranch_execz .LBB295_111
; %bb.108:                              ;   in Loop: Header=BB295_10 Depth=1
	v_and_b32_e32 v0, 0x7f, v30
	v_cmp_ne_u32_e64 s[8:9], s37, v0
	v_mov_b32_e32 v62, 0x7fc02000
	s_and_saveexec_b64 s[34:35], s[8:9]
	s_cbranch_execz .LBB295_110
; %bb.109:                              ;   in Loop: Header=BB295_10 Depth=1
	v_and_b32_e32 v1, 7, v30
	v_ffbh_u32_e32 v2, v1
	v_min_u32_e32 v5, 32, v2
	v_subrev_u32_e32 v2, 28, v5
	v_lshlrev_b64 v[2:3], v2, v[30:31]
	v_lshrrev_b32_e32 v4, 3, v0
	v_sub_u32_e32 v3, 29, v5
	v_cmp_gt_u32_e64 s[8:9], 8, v0
	v_and_b32_e32 v2, 7, v2
	v_cndmask_b32_e64 v0, v4, v3, s[8:9]
	v_mov_b32_e32 v3, 0x2000
	v_cndmask_b32_e64 v1, v1, v2, s[8:9]
	v_lshlrev_b32_e32 v2, 8, v30
	v_lshl_add_u32 v0, v0, 10, v3
	v_and_or_b32 v0, v2, s38, v0
	v_lshl_or_b32 v0, v1, 7, v0
	v_cvt_f32_f16_e32 v62, v0
.LBB295_110:                            ;   in Loop: Header=BB295_10 Depth=1
	s_or_b64 exec, exec, s[34:35]
.LBB295_111:                            ;   in Loop: Header=BB295_10 Depth=1
	s_or_b64 exec, exec, s[30:31]
.LBB295_112:                            ;   in Loop: Header=BB295_10 Depth=1
	s_or_b64 exec, exec, s[28:29]
	v_lshrrev_b16_e32 v30, 8, v30
	v_cmp_ne_u16_e64 s[8:9], 0, v30
	s_and_saveexec_b64 s[28:29], s[8:9]
	s_cbranch_execz .LBB295_118
; %bb.113:                              ;   in Loop: Header=BB295_10 Depth=1
	v_cmp_ne_u16_e64 s[8:9], s19, v30
	v_bfrev_b32_e32 v14, 1
	s_and_saveexec_b64 s[30:31], s[8:9]
	s_cbranch_execz .LBB295_117
; %bb.114:                              ;   in Loop: Header=BB295_10 Depth=1
	v_and_b32_e32 v0, 0x7f, v30
	v_cmp_ne_u32_e64 s[8:9], s37, v0
	v_mov_b32_e32 v14, 0x7fc02000
	s_and_saveexec_b64 s[34:35], s[8:9]
	s_cbranch_execz .LBB295_116
; %bb.115:                              ;   in Loop: Header=BB295_10 Depth=1
	v_and_b32_e32 v1, 7, v30
	v_ffbh_u32_e32 v2, v1
	v_min_u32_e32 v5, 32, v2
	v_subrev_u32_e32 v2, 28, v5
	v_lshlrev_b64 v[2:3], v2, v[30:31]
	v_lshrrev_b32_e32 v4, 3, v0
	v_sub_u32_e32 v3, 29, v5
	v_cmp_gt_u32_e64 s[8:9], 8, v0
	v_and_b32_e32 v2, 7, v2
	v_cndmask_b32_e64 v0, v4, v3, s[8:9]
	v_mov_b32_e32 v3, 0x2000
	v_cndmask_b32_e64 v1, v1, v2, s[8:9]
	v_lshlrev_b32_e32 v2, 8, v30
	v_lshl_add_u32 v0, v0, 10, v3
	v_and_or_b32 v0, v2, s38, v0
	v_lshl_or_b32 v0, v1, 7, v0
	v_cvt_f32_f16_e32 v14, v0
.LBB295_116:                            ;   in Loop: Header=BB295_10 Depth=1
	s_or_b64 exec, exec, s[34:35]
.LBB295_117:                            ;   in Loop: Header=BB295_10 Depth=1
	s_or_b64 exec, exec, s[30:31]
.LBB295_118:                            ;   in Loop: Header=BB295_10 Depth=1
	s_or_b64 exec, exec, s[28:29]
	flat_load_ushort v0, v[28:29] offset:1032
	v_mov_b32_e32 v22, 0
	v_mov_b32_e32 v5, 0
	s_waitcnt vmcnt(0) lgkmcnt(0)
	v_and_b32_e32 v30, 0xffff, v0
	v_cmp_ne_u16_sdwa s[8:9], v0, v23 src0_sel:BYTE_0 src1_sel:DWORD
	s_and_saveexec_b64 s[28:29], s[8:9]
	s_cbranch_execz .LBB295_124
; %bb.119:                              ;   in Loop: Header=BB295_10 Depth=1
	v_cmp_ne_u16_sdwa s[8:9], v30, s19 src0_sel:BYTE_0 src1_sel:DWORD
	v_bfrev_b32_e32 v5, 1
	s_and_saveexec_b64 s[30:31], s[8:9]
	s_cbranch_execz .LBB295_123
; %bb.120:                              ;   in Loop: Header=BB295_10 Depth=1
	v_and_b32_e32 v0, 0x7f, v30
	v_cmp_ne_u32_e64 s[8:9], s37, v0
	v_mov_b32_e32 v5, 0x7fc02000
	s_and_saveexec_b64 s[34:35], s[8:9]
	s_cbranch_execz .LBB295_122
; %bb.121:                              ;   in Loop: Header=BB295_10 Depth=1
	v_and_b32_e32 v2, 7, v30
	v_lshrrev_b32_e32 v3, 3, v0
	v_cmp_gt_u32_e64 s[8:9], 8, v0
	v_ffbh_u32_e32 v0, v2
	v_min_u32_e32 v4, 32, v0
	v_subrev_u32_e32 v0, 28, v4
	v_lshlrev_b64 v[0:1], v0, v[30:31]
	v_sub_u32_e32 v1, 29, v4
	v_and_b32_e32 v0, 7, v0
	v_cndmask_b32_e64 v1, v3, v1, s[8:9]
	v_mov_b32_e32 v3, 0x2000
	v_cndmask_b32_e64 v0, v2, v0, s[8:9]
	v_lshlrev_b32_e32 v2, 8, v30
	v_lshl_add_u32 v1, v1, 10, v3
	v_and_or_b32 v1, v2, s38, v1
	v_lshl_or_b32 v0, v0, 7, v1
	v_cvt_f32_f16_e32 v5, v0
.LBB295_122:                            ;   in Loop: Header=BB295_10 Depth=1
	s_or_b64 exec, exec, s[34:35]
.LBB295_123:                            ;   in Loop: Header=BB295_10 Depth=1
	s_or_b64 exec, exec, s[30:31]
.LBB295_124:                            ;   in Loop: Header=BB295_10 Depth=1
	s_or_b64 exec, exec, s[28:29]
	v_lshrrev_b16_e32 v30, 8, v30
	v_cmp_ne_u16_e64 s[8:9], 0, v30
	s_and_saveexec_b64 s[28:29], s[8:9]
	s_cbranch_execz .LBB295_130
; %bb.125:                              ;   in Loop: Header=BB295_10 Depth=1
	v_cmp_ne_u16_e64 s[8:9], s19, v30
	v_bfrev_b32_e32 v22, 1
	s_and_saveexec_b64 s[30:31], s[8:9]
	s_cbranch_execz .LBB295_129
; %bb.126:                              ;   in Loop: Header=BB295_10 Depth=1
	v_and_b32_e32 v0, 0x7f, v30
	v_cmp_ne_u32_e64 s[8:9], s37, v0
	v_mov_b32_e32 v22, 0x7fc02000
	s_and_saveexec_b64 s[34:35], s[8:9]
	s_cbranch_execz .LBB295_128
; %bb.127:                              ;   in Loop: Header=BB295_10 Depth=1
	v_and_b32_e32 v2, 7, v30
	v_lshrrev_b32_e32 v3, 3, v0
	v_cmp_gt_u32_e64 s[8:9], 8, v0
	v_ffbh_u32_e32 v0, v2
	v_min_u32_e32 v4, 32, v0
	v_subrev_u32_e32 v0, 28, v4
	v_lshlrev_b64 v[0:1], v0, v[30:31]
	v_sub_u32_e32 v1, 29, v4
	v_and_b32_e32 v0, 7, v0
	v_cndmask_b32_e64 v1, v3, v1, s[8:9]
	v_mov_b32_e32 v3, 0x2000
	v_cndmask_b32_e64 v0, v2, v0, s[8:9]
	v_lshlrev_b32_e32 v2, 8, v30
	v_lshl_add_u32 v1, v1, 10, v3
	v_and_or_b32 v1, v2, s38, v1
	v_lshl_or_b32 v0, v0, 7, v1
	v_cvt_f32_f16_e32 v22, v0
.LBB295_128:                            ;   in Loop: Header=BB295_10 Depth=1
	s_or_b64 exec, exec, s[34:35]
.LBB295_129:                            ;   in Loop: Header=BB295_10 Depth=1
	s_or_b64 exec, exec, s[30:31]
.LBB295_130:                            ;   in Loop: Header=BB295_10 Depth=1
	s_or_b64 exec, exec, s[28:29]
	flat_load_ushort v0, v[28:29] offset:1280
	v_mov_b32_e32 v13, 0
	v_mov_b32_e32 v36, 0
	s_waitcnt vmcnt(0) lgkmcnt(0)
	v_and_b32_e32 v30, 0xffff, v0
	v_cmp_ne_u16_sdwa s[8:9], v0, v23 src0_sel:BYTE_0 src1_sel:DWORD
	s_and_saveexec_b64 s[28:29], s[8:9]
	s_cbranch_execz .LBB295_136
; %bb.131:                              ;   in Loop: Header=BB295_10 Depth=1
	v_cmp_ne_u16_sdwa s[8:9], v30, s19 src0_sel:BYTE_0 src1_sel:DWORD
	v_bfrev_b32_e32 v36, 1
	s_and_saveexec_b64 s[30:31], s[8:9]
	s_cbranch_execz .LBB295_135
; %bb.132:                              ;   in Loop: Header=BB295_10 Depth=1
	v_and_b32_e32 v0, 0x7f, v30
	v_cmp_ne_u32_e64 s[8:9], s37, v0
	v_mov_b32_e32 v36, 0x7fc02000
	s_and_saveexec_b64 s[34:35], s[8:9]
	s_cbranch_execz .LBB295_134
; %bb.133:                              ;   in Loop: Header=BB295_10 Depth=1
	v_and_b32_e32 v1, 7, v30
	v_ffbh_u32_e32 v2, v1
	v_mov_b32_e32 v6, v5
	v_min_u32_e32 v5, 32, v2
	v_subrev_u32_e32 v2, 28, v5
	v_lshlrev_b64 v[2:3], v2, v[30:31]
	v_lshrrev_b32_e32 v4, 3, v0
	v_sub_u32_e32 v3, 29, v5
	v_cmp_gt_u32_e64 s[8:9], 8, v0
	v_and_b32_e32 v2, 7, v2
	v_cndmask_b32_e64 v0, v4, v3, s[8:9]
	v_mov_b32_e32 v3, 0x2000
	v_cndmask_b32_e64 v1, v1, v2, s[8:9]
	v_lshlrev_b32_e32 v2, 8, v30
	v_lshl_add_u32 v0, v0, 10, v3
	v_and_or_b32 v0, v2, s38, v0
	v_lshl_or_b32 v0, v1, 7, v0
	v_cvt_f32_f16_e32 v36, v0
	v_mov_b32_e32 v5, v6
.LBB295_134:                            ;   in Loop: Header=BB295_10 Depth=1
	s_or_b64 exec, exec, s[34:35]
.LBB295_135:                            ;   in Loop: Header=BB295_10 Depth=1
	s_or_b64 exec, exec, s[30:31]
.LBB295_136:                            ;   in Loop: Header=BB295_10 Depth=1
	s_or_b64 exec, exec, s[28:29]
	v_lshrrev_b16_e32 v30, 8, v30
	v_cmp_ne_u16_e64 s[8:9], 0, v30
	s_and_saveexec_b64 s[28:29], s[8:9]
	s_cbranch_execz .LBB295_142
; %bb.137:                              ;   in Loop: Header=BB295_10 Depth=1
	v_cmp_ne_u16_e64 s[8:9], s19, v30
	v_bfrev_b32_e32 v13, 1
	s_and_saveexec_b64 s[30:31], s[8:9]
	s_cbranch_execz .LBB295_141
; %bb.138:                              ;   in Loop: Header=BB295_10 Depth=1
	v_and_b32_e32 v0, 0x7f, v30
	v_cmp_ne_u32_e64 s[8:9], s37, v0
	v_mov_b32_e32 v13, 0x7fc02000
	s_and_saveexec_b64 s[34:35], s[8:9]
	s_cbranch_execz .LBB295_140
; %bb.139:                              ;   in Loop: Header=BB295_10 Depth=1
	v_and_b32_e32 v1, 7, v30
	v_ffbh_u32_e32 v2, v1
	v_min_u32_e32 v6, 32, v2
	v_subrev_u32_e32 v2, 28, v6
	v_lshlrev_b64 v[2:3], v2, v[30:31]
	v_mov_b32_e32 v4, v5
	v_lshrrev_b32_e32 v5, 3, v0
	v_sub_u32_e32 v3, 29, v6
	v_cmp_gt_u32_e64 s[8:9], 8, v0
	v_and_b32_e32 v2, 7, v2
	v_cndmask_b32_e64 v0, v5, v3, s[8:9]
	v_mov_b32_e32 v3, 0x2000
	v_cndmask_b32_e64 v1, v1, v2, s[8:9]
	v_lshlrev_b32_e32 v2, 8, v30
	v_lshl_add_u32 v0, v0, 10, v3
	v_and_or_b32 v0, v2, s38, v0
	v_lshl_or_b32 v0, v1, 7, v0
	v_cvt_f32_f16_e32 v13, v0
	v_mov_b32_e32 v5, v4
.LBB295_140:                            ;   in Loop: Header=BB295_10 Depth=1
	s_or_b64 exec, exec, s[34:35]
.LBB295_141:                            ;   in Loop: Header=BB295_10 Depth=1
	s_or_b64 exec, exec, s[30:31]
.LBB295_142:                            ;   in Loop: Header=BB295_10 Depth=1
	s_or_b64 exec, exec, s[28:29]
	flat_load_ushort v0, v[28:29] offset:1288
	v_mov_b32_e32 v9, 0
	v_mov_b32_e32 v32, 0
	s_waitcnt vmcnt(0) lgkmcnt(0)
	v_and_b32_e32 v30, 0xffff, v0
	v_cmp_ne_u16_sdwa s[8:9], v0, v23 src0_sel:BYTE_0 src1_sel:DWORD
	s_and_saveexec_b64 s[28:29], s[8:9]
	s_cbranch_execz .LBB295_148
; %bb.143:                              ;   in Loop: Header=BB295_10 Depth=1
	v_cmp_ne_u16_sdwa s[8:9], v30, s19 src0_sel:BYTE_0 src1_sel:DWORD
	v_bfrev_b32_e32 v32, 1
	s_and_saveexec_b64 s[30:31], s[8:9]
	s_cbranch_execz .LBB295_147
; %bb.144:                              ;   in Loop: Header=BB295_10 Depth=1
	v_and_b32_e32 v0, 0x7f, v30
	v_cmp_ne_u32_e64 s[8:9], s37, v0
	v_mov_b32_e32 v32, 0x7fc02000
	s_and_saveexec_b64 s[34:35], s[8:9]
	s_cbranch_execz .LBB295_146
; %bb.145:                              ;   in Loop: Header=BB295_10 Depth=1
	v_and_b32_e32 v1, 7, v30
	v_ffbh_u32_e32 v2, v1
	v_min_u32_e32 v7, 32, v2
	v_subrev_u32_e32 v2, 28, v7
	v_lshlrev_b64 v[2:3], v2, v[30:31]
	v_lshrrev_b32_e32 v6, 3, v0
	v_sub_u32_e32 v3, 29, v7
	v_cmp_gt_u32_e64 s[8:9], 8, v0
	v_and_b32_e32 v2, 7, v2
	v_cndmask_b32_e64 v0, v6, v3, s[8:9]
	v_mov_b32_e32 v3, 0x2000
	v_cndmask_b32_e64 v1, v1, v2, s[8:9]
	v_lshlrev_b32_e32 v2, 8, v30
	v_lshl_add_u32 v0, v0, 10, v3
	v_and_or_b32 v0, v2, s38, v0
	v_lshl_or_b32 v0, v1, 7, v0
	v_cvt_f32_f16_e32 v32, v0
.LBB295_146:                            ;   in Loop: Header=BB295_10 Depth=1
	s_or_b64 exec, exec, s[34:35]
.LBB295_147:                            ;   in Loop: Header=BB295_10 Depth=1
	s_or_b64 exec, exec, s[30:31]
.LBB295_148:                            ;   in Loop: Header=BB295_10 Depth=1
	s_or_b64 exec, exec, s[28:29]
	v_lshrrev_b16_e32 v30, 8, v30
	v_cmp_ne_u16_e64 s[8:9], 0, v30
	s_and_saveexec_b64 s[28:29], s[8:9]
	s_cbranch_execz .LBB295_154
; %bb.149:                              ;   in Loop: Header=BB295_10 Depth=1
	v_cmp_ne_u16_e64 s[8:9], s19, v30
	v_bfrev_b32_e32 v9, 1
	s_and_saveexec_b64 s[30:31], s[8:9]
	s_cbranch_execz .LBB295_153
; %bb.150:                              ;   in Loop: Header=BB295_10 Depth=1
	v_and_b32_e32 v0, 0x7f, v30
	v_cmp_ne_u32_e64 s[8:9], s37, v0
	v_mov_b32_e32 v9, 0x7fc02000
	s_and_saveexec_b64 s[34:35], s[8:9]
	s_cbranch_execz .LBB295_152
; %bb.151:                              ;   in Loop: Header=BB295_10 Depth=1
	v_and_b32_e32 v1, 7, v30
	v_ffbh_u32_e32 v2, v1
	v_min_u32_e32 v6, 32, v2
	v_subrev_u32_e32 v2, 28, v6
	v_lshlrev_b64 v[2:3], v2, v[30:31]
	v_mov_b32_e32 v4, v5
	v_lshrrev_b32_e32 v5, 3, v0
	v_sub_u32_e32 v3, 29, v6
	v_cmp_gt_u32_e64 s[8:9], 8, v0
	v_and_b32_e32 v2, 7, v2
	v_cndmask_b32_e64 v0, v5, v3, s[8:9]
	v_mov_b32_e32 v3, 0x2000
	v_cndmask_b32_e64 v1, v1, v2, s[8:9]
	v_lshlrev_b32_e32 v2, 8, v30
	v_lshl_add_u32 v0, v0, 10, v3
	v_and_or_b32 v0, v2, s38, v0
	v_lshl_or_b32 v0, v1, 7, v0
	v_cvt_f32_f16_e32 v9, v0
	v_mov_b32_e32 v5, v4
.LBB295_152:                            ;   in Loop: Header=BB295_10 Depth=1
	s_or_b64 exec, exec, s[34:35]
.LBB295_153:                            ;   in Loop: Header=BB295_10 Depth=1
	s_or_b64 exec, exec, s[30:31]
.LBB295_154:                            ;   in Loop: Header=BB295_10 Depth=1
	s_or_b64 exec, exec, s[28:29]
	flat_load_ushort v0, v[28:29] offset:1536
	v_mov_b32_e32 v16, 0
	v_mov_b32_e32 v11, 0
	s_waitcnt vmcnt(0) lgkmcnt(0)
	v_and_b32_e32 v30, 0xffff, v0
	v_cmp_ne_u16_sdwa s[8:9], v0, v23 src0_sel:BYTE_0 src1_sel:DWORD
	s_and_saveexec_b64 s[28:29], s[8:9]
	s_cbranch_execz .LBB295_160
; %bb.155:                              ;   in Loop: Header=BB295_10 Depth=1
	v_cmp_ne_u16_sdwa s[8:9], v30, s19 src0_sel:BYTE_0 src1_sel:DWORD
	v_bfrev_b32_e32 v11, 1
	s_and_saveexec_b64 s[30:31], s[8:9]
	s_cbranch_execz .LBB295_159
; %bb.156:                              ;   in Loop: Header=BB295_10 Depth=1
	v_and_b32_e32 v0, 0x7f, v30
	v_cmp_ne_u32_e64 s[8:9], s37, v0
	v_mov_b32_e32 v11, 0x7fc02000
	s_and_saveexec_b64 s[34:35], s[8:9]
	s_cbranch_execz .LBB295_158
; %bb.157:                              ;   in Loop: Header=BB295_10 Depth=1
	v_and_b32_e32 v1, 7, v30
	v_ffbh_u32_e32 v2, v1
	v_min_u32_e32 v7, 32, v2
	v_subrev_u32_e32 v2, 28, v7
	v_lshlrev_b64 v[2:3], v2, v[30:31]
	v_lshrrev_b32_e32 v6, 3, v0
	v_sub_u32_e32 v3, 29, v7
	v_cmp_gt_u32_e64 s[8:9], 8, v0
	v_and_b32_e32 v2, 7, v2
	v_cndmask_b32_e64 v0, v6, v3, s[8:9]
	v_mov_b32_e32 v3, 0x2000
	v_cndmask_b32_e64 v1, v1, v2, s[8:9]
	v_lshlrev_b32_e32 v2, 8, v30
	v_lshl_add_u32 v0, v0, 10, v3
	v_and_or_b32 v0, v2, s38, v0
	v_lshl_or_b32 v0, v1, 7, v0
	v_cvt_f32_f16_e32 v11, v0
.LBB295_158:                            ;   in Loop: Header=BB295_10 Depth=1
	s_or_b64 exec, exec, s[34:35]
.LBB295_159:                            ;   in Loop: Header=BB295_10 Depth=1
	s_or_b64 exec, exec, s[30:31]
.LBB295_160:                            ;   in Loop: Header=BB295_10 Depth=1
	s_or_b64 exec, exec, s[28:29]
	v_lshrrev_b16_e32 v30, 8, v30
	v_cmp_ne_u16_e64 s[8:9], 0, v30
	s_and_saveexec_b64 s[28:29], s[8:9]
	s_cbranch_execz .LBB295_166
; %bb.161:                              ;   in Loop: Header=BB295_10 Depth=1
	v_cmp_ne_u16_e64 s[8:9], s19, v30
	v_bfrev_b32_e32 v16, 1
	s_and_saveexec_b64 s[30:31], s[8:9]
	s_cbranch_execz .LBB295_165
; %bb.162:                              ;   in Loop: Header=BB295_10 Depth=1
	v_and_b32_e32 v0, 0x7f, v30
	v_cmp_ne_u32_e64 s[8:9], s37, v0
	v_mov_b32_e32 v16, 0x7fc02000
	s_and_saveexec_b64 s[34:35], s[8:9]
	s_cbranch_execz .LBB295_164
; %bb.163:                              ;   in Loop: Header=BB295_10 Depth=1
	v_and_b32_e32 v1, 7, v30
	v_ffbh_u32_e32 v2, v1
	v_min_u32_e32 v7, 32, v2
	v_subrev_u32_e32 v2, 28, v7
	v_lshlrev_b64 v[2:3], v2, v[30:31]
	v_lshrrev_b32_e32 v6, 3, v0
	v_sub_u32_e32 v3, 29, v7
	v_cmp_gt_u32_e64 s[8:9], 8, v0
	v_and_b32_e32 v2, 7, v2
	v_cndmask_b32_e64 v0, v6, v3, s[8:9]
	v_mov_b32_e32 v3, 0x2000
	v_cndmask_b32_e64 v1, v1, v2, s[8:9]
	v_lshlrev_b32_e32 v2, 8, v30
	v_lshl_add_u32 v0, v0, 10, v3
	v_and_or_b32 v0, v2, s38, v0
	v_lshl_or_b32 v0, v1, 7, v0
	v_cvt_f32_f16_e32 v16, v0
.LBB295_164:                            ;   in Loop: Header=BB295_10 Depth=1
	s_or_b64 exec, exec, s[34:35]
.LBB295_165:                            ;   in Loop: Header=BB295_10 Depth=1
	s_or_b64 exec, exec, s[30:31]
.LBB295_166:                            ;   in Loop: Header=BB295_10 Depth=1
	s_or_b64 exec, exec, s[28:29]
	flat_load_ushort v0, v[28:29] offset:1544
	v_mov_b32_e32 v20, 0
	v_mov_b32_e32 v21, 0
	s_waitcnt vmcnt(0) lgkmcnt(0)
	v_and_b32_e32 v30, 0xffff, v0
	v_cmp_ne_u16_sdwa s[8:9], v0, v23 src0_sel:BYTE_0 src1_sel:DWORD
	s_and_saveexec_b64 s[28:29], s[8:9]
	s_cbranch_execz .LBB295_172
; %bb.167:                              ;   in Loop: Header=BB295_10 Depth=1
	v_cmp_ne_u16_sdwa s[8:9], v30, s19 src0_sel:BYTE_0 src1_sel:DWORD
	v_bfrev_b32_e32 v21, 1
	s_and_saveexec_b64 s[30:31], s[8:9]
	s_cbranch_execz .LBB295_171
; %bb.168:                              ;   in Loop: Header=BB295_10 Depth=1
	v_and_b32_e32 v0, 0x7f, v30
	v_cmp_ne_u32_e64 s[8:9], s37, v0
	v_mov_b32_e32 v21, 0x7fc02000
	s_and_saveexec_b64 s[34:35], s[8:9]
	s_cbranch_execz .LBB295_170
; %bb.169:                              ;   in Loop: Header=BB295_10 Depth=1
	v_and_b32_e32 v2, 7, v30
	v_lshrrev_b32_e32 v3, 3, v0
	v_cmp_gt_u32_e64 s[8:9], 8, v0
	v_ffbh_u32_e32 v0, v2
	v_min_u32_e32 v6, 32, v0
	v_subrev_u32_e32 v0, 28, v6
	v_lshlrev_b64 v[0:1], v0, v[30:31]
	v_sub_u32_e32 v1, 29, v6
	v_and_b32_e32 v0, 7, v0
	v_cndmask_b32_e64 v1, v3, v1, s[8:9]
	v_mov_b32_e32 v3, 0x2000
	v_cndmask_b32_e64 v0, v2, v0, s[8:9]
	v_lshlrev_b32_e32 v2, 8, v30
	v_lshl_add_u32 v1, v1, 10, v3
	v_and_or_b32 v1, v2, s38, v1
	v_lshl_or_b32 v0, v0, 7, v1
	v_cvt_f32_f16_e32 v21, v0
.LBB295_170:                            ;   in Loop: Header=BB295_10 Depth=1
	s_or_b64 exec, exec, s[34:35]
.LBB295_171:                            ;   in Loop: Header=BB295_10 Depth=1
	s_or_b64 exec, exec, s[30:31]
.LBB295_172:                            ;   in Loop: Header=BB295_10 Depth=1
	s_or_b64 exec, exec, s[28:29]
	v_lshrrev_b16_e32 v30, 8, v30
	v_cmp_ne_u16_e64 s[8:9], 0, v30
	s_and_saveexec_b64 s[28:29], s[8:9]
	s_cbranch_execz .LBB295_178
; %bb.173:                              ;   in Loop: Header=BB295_10 Depth=1
	v_cmp_ne_u16_e64 s[8:9], s19, v30
	v_bfrev_b32_e32 v20, 1
	s_and_saveexec_b64 s[30:31], s[8:9]
	s_cbranch_execz .LBB295_177
; %bb.174:                              ;   in Loop: Header=BB295_10 Depth=1
	v_and_b32_e32 v0, 0x7f, v30
	v_cmp_ne_u32_e64 s[8:9], s37, v0
	v_mov_b32_e32 v20, 0x7fc02000
	s_and_saveexec_b64 s[34:35], s[8:9]
	s_cbranch_execz .LBB295_176
; %bb.175:                              ;   in Loop: Header=BB295_10 Depth=1
	v_and_b32_e32 v2, 7, v30
	v_lshrrev_b32_e32 v3, 3, v0
	v_cmp_gt_u32_e64 s[8:9], 8, v0
	v_ffbh_u32_e32 v0, v2
	v_min_u32_e32 v6, 32, v0
	v_subrev_u32_e32 v0, 28, v6
	v_lshlrev_b64 v[0:1], v0, v[30:31]
	v_sub_u32_e32 v1, 29, v6
	v_and_b32_e32 v0, 7, v0
	v_cndmask_b32_e64 v1, v3, v1, s[8:9]
	v_mov_b32_e32 v3, 0x2000
	v_cndmask_b32_e64 v0, v2, v0, s[8:9]
	v_lshlrev_b32_e32 v2, 8, v30
	v_lshl_add_u32 v1, v1, 10, v3
	v_and_or_b32 v1, v2, s38, v1
	v_lshl_or_b32 v0, v0, 7, v1
	v_cvt_f32_f16_e32 v20, v0
.LBB295_176:                            ;   in Loop: Header=BB295_10 Depth=1
	s_or_b64 exec, exec, s[34:35]
.LBB295_177:                            ;   in Loop: Header=BB295_10 Depth=1
	s_or_b64 exec, exec, s[30:31]
.LBB295_178:                            ;   in Loop: Header=BB295_10 Depth=1
	s_or_b64 exec, exec, s[28:29]
	flat_load_ushort v0, v[28:29] offset:1792
	v_mov_b32_e32 v50, 0
	v_mov_b32_e32 v1, 0
	s_waitcnt vmcnt(0) lgkmcnt(0)
	v_and_b32_e32 v30, 0xffff, v0
	v_cmp_ne_u16_sdwa s[8:9], v0, v23 src0_sel:BYTE_0 src1_sel:DWORD
	s_and_saveexec_b64 s[28:29], s[8:9]
	s_cbranch_execz .LBB295_184
; %bb.179:                              ;   in Loop: Header=BB295_10 Depth=1
	v_cmp_ne_u16_sdwa s[8:9], v30, s19 src0_sel:BYTE_0 src1_sel:DWORD
	v_bfrev_b32_e32 v1, 1
	s_and_saveexec_b64 s[30:31], s[8:9]
	s_cbranch_execz .LBB295_183
; %bb.180:                              ;   in Loop: Header=BB295_10 Depth=1
	v_and_b32_e32 v0, 0x7f, v30
	v_cmp_ne_u32_e64 s[8:9], s37, v0
	v_mov_b32_e32 v1, 0x7fc02000
	s_and_saveexec_b64 s[34:35], s[8:9]
	s_cbranch_execz .LBB295_182
; %bb.181:                              ;   in Loop: Header=BB295_10 Depth=1
	v_and_b32_e32 v1, 7, v30
	v_ffbh_u32_e32 v2, v1
	v_min_u32_e32 v7, 32, v2
	v_subrev_u32_e32 v2, 28, v7
	v_lshlrev_b64 v[2:3], v2, v[30:31]
	v_lshrrev_b32_e32 v6, 3, v0
	v_sub_u32_e32 v3, 29, v7
	v_cmp_gt_u32_e64 s[8:9], 8, v0
	v_and_b32_e32 v2, 7, v2
	v_cndmask_b32_e64 v0, v6, v3, s[8:9]
	v_mov_b32_e32 v3, 0x2000
	v_cndmask_b32_e64 v1, v1, v2, s[8:9]
	v_lshlrev_b32_e32 v2, 8, v30
	v_lshl_add_u32 v0, v0, 10, v3
	v_and_or_b32 v0, v2, s38, v0
	v_lshl_or_b32 v0, v1, 7, v0
	v_cvt_f32_f16_e32 v1, v0
.LBB295_182:                            ;   in Loop: Header=BB295_10 Depth=1
	s_or_b64 exec, exec, s[34:35]
.LBB295_183:                            ;   in Loop: Header=BB295_10 Depth=1
	s_or_b64 exec, exec, s[30:31]
.LBB295_184:                            ;   in Loop: Header=BB295_10 Depth=1
	s_or_b64 exec, exec, s[28:29]
	v_lshrrev_b16_e32 v30, 8, v30
	v_cmp_ne_u16_e64 s[8:9], 0, v30
	s_and_saveexec_b64 s[28:29], s[8:9]
	s_cbranch_execz .LBB295_190
; %bb.185:                              ;   in Loop: Header=BB295_10 Depth=1
	v_cmp_ne_u16_e64 s[8:9], s19, v30
	v_bfrev_b32_e32 v50, 1
	s_and_saveexec_b64 s[30:31], s[8:9]
	s_cbranch_execz .LBB295_189
; %bb.186:                              ;   in Loop: Header=BB295_10 Depth=1
	v_and_b32_e32 v0, 0x7f, v30
	v_cmp_ne_u32_e64 s[8:9], s37, v0
	v_mov_b32_e32 v50, 0x7fc02000
	s_and_saveexec_b64 s[34:35], s[8:9]
	s_cbranch_execz .LBB295_188
; %bb.187:                              ;   in Loop: Header=BB295_10 Depth=1
	v_and_b32_e32 v6, 7, v30
	v_ffbh_u32_e32 v2, v6
	v_min_u32_e32 v8, 32, v2
	v_subrev_u32_e32 v2, 28, v8
	v_lshlrev_b64 v[2:3], v2, v[30:31]
	v_lshrrev_b32_e32 v7, 3, v0
	v_sub_u32_e32 v3, 29, v8
	v_cmp_gt_u32_e64 s[8:9], 8, v0
	v_cndmask_b32_e64 v0, v7, v3, s[8:9]
	v_mov_b32_e32 v4, 0x2000
	v_and_b32_e32 v2, 7, v2
	v_lshlrev_b32_e32 v3, 8, v30
	v_lshl_add_u32 v0, v0, 10, v4
	v_cndmask_b32_e64 v2, v6, v2, s[8:9]
	v_and_or_b32 v0, v3, s38, v0
	v_lshl_or_b32 v0, v2, 7, v0
	v_cvt_f32_f16_e32 v50, v0
.LBB295_188:                            ;   in Loop: Header=BB295_10 Depth=1
	s_or_b64 exec, exec, s[34:35]
.LBB295_189:                            ;   in Loop: Header=BB295_10 Depth=1
	s_or_b64 exec, exec, s[30:31]
.LBB295_190:                            ;   in Loop: Header=BB295_10 Depth=1
	s_or_b64 exec, exec, s[28:29]
	flat_load_ushort v2, v[28:29] offset:1800
	v_mov_b32_e32 v0, 0
	v_mov_b32_e32 v3, 0
	s_waitcnt vmcnt(0) lgkmcnt(0)
	v_and_b32_e32 v30, 0xffff, v2
	v_cmp_ne_u16_sdwa s[8:9], v2, v23 src0_sel:BYTE_0 src1_sel:DWORD
	s_mov_b64 s[28:29], exec
	s_and_b64 s[8:9], s[28:29], s[8:9]
	v_mov_b32_e32 v26, v9
	s_mov_b64 exec, s[8:9]
	s_cbranch_execz .LBB295_196
; %bb.191:                              ;   in Loop: Header=BB295_10 Depth=1
	v_cmp_ne_u16_sdwa s[8:9], v30, s19 src0_sel:BYTE_0 src1_sel:DWORD
	v_bfrev_b32_e32 v3, 1
	s_and_saveexec_b64 s[30:31], s[8:9]
	s_cbranch_execz .LBB295_195
; %bb.192:                              ;   in Loop: Header=BB295_10 Depth=1
	v_and_b32_e32 v2, 0x7f, v30
	v_cmp_ne_u32_e64 s[8:9], s37, v2
	v_mov_b32_e32 v3, 0x7fc02000
	s_and_saveexec_b64 s[34:35], s[8:9]
	s_cbranch_execz .LBB295_194
; %bb.193:                              ;   in Loop: Header=BB295_10 Depth=1
	v_and_b32_e32 v3, 7, v30
	v_ffbh_u32_e32 v6, v3
	v_min_u32_e32 v9, 32, v6
	v_subrev_u32_e32 v6, 28, v9
	v_lshlrev_b64 v[6:7], v6, v[30:31]
	v_lshrrev_b32_e32 v8, 3, v2
	v_sub_u32_e32 v7, 29, v9
	v_cmp_gt_u32_e64 s[8:9], 8, v2
	v_and_b32_e32 v6, 7, v6
	v_cndmask_b32_e64 v2, v8, v7, s[8:9]
	v_mov_b32_e32 v4, 0x2000
	v_cndmask_b32_e64 v3, v3, v6, s[8:9]
	v_lshlrev_b32_e32 v6, 8, v30
	v_lshl_add_u32 v2, v2, 10, v4
	v_and_or_b32 v2, v6, s38, v2
	v_lshl_or_b32 v2, v3, 7, v2
	v_cvt_f32_f16_e32 v3, v2
	v_mov_b32_e32 v9, v26
.LBB295_194:                            ;   in Loop: Header=BB295_10 Depth=1
	s_or_b64 exec, exec, s[34:35]
.LBB295_195:                            ;   in Loop: Header=BB295_10 Depth=1
	s_or_b64 exec, exec, s[30:31]
.LBB295_196:                            ;   in Loop: Header=BB295_10 Depth=1
	s_or_b64 exec, exec, s[28:29]
	v_lshrrev_b16_e32 v30, 8, v30
	v_cmp_ne_u16_e64 s[8:9], 0, v30
	s_and_saveexec_b64 s[28:29], s[8:9]
	s_cbranch_execz .LBB295_202
; %bb.197:                              ;   in Loop: Header=BB295_10 Depth=1
	v_cmp_ne_u16_e64 s[8:9], s19, v30
	v_bfrev_b32_e32 v0, 1
	s_and_saveexec_b64 s[30:31], s[8:9]
	s_cbranch_execz .LBB295_201
; %bb.198:                              ;   in Loop: Header=BB295_10 Depth=1
	v_and_b32_e32 v2, 0x7f, v30
	v_cmp_ne_u32_e64 s[8:9], s37, v2
	v_mov_b32_e32 v0, 0x7fc02000
	s_and_saveexec_b64 s[34:35], s[8:9]
	s_cbranch_execz .LBB295_200
; %bb.199:                              ;   in Loop: Header=BB295_10 Depth=1
	v_and_b32_e32 v0, 7, v30
	v_ffbh_u32_e32 v6, v0
	v_min_u32_e32 v9, 32, v6
	v_subrev_u32_e32 v6, 28, v9
	v_lshlrev_b64 v[6:7], v6, v[30:31]
	v_lshrrev_b32_e32 v8, 3, v2
	v_sub_u32_e32 v7, 29, v9
	v_cmp_gt_u32_e64 s[8:9], 8, v2
	v_and_b32_e32 v6, 7, v6
	v_cndmask_b32_e64 v2, v8, v7, s[8:9]
	v_mov_b32_e32 v4, 0x2000
	v_cndmask_b32_e64 v0, v0, v6, s[8:9]
	v_lshlrev_b32_e32 v6, 8, v30
	v_lshl_add_u32 v2, v2, 10, v4
	v_and_or_b32 v2, v6, s38, v2
	v_lshl_or_b32 v0, v0, 7, v2
	v_cvt_f32_f16_e32 v0, v0
	v_mov_b32_e32 v9, v26
.LBB295_200:                            ;   in Loop: Header=BB295_10 Depth=1
	s_or_b64 exec, exec, s[34:35]
.LBB295_201:                            ;   in Loop: Header=BB295_10 Depth=1
	s_or_b64 exec, exec, s[30:31]
.LBB295_202:                            ;   in Loop: Header=BB295_10 Depth=1
	s_or_b64 exec, exec, s[28:29]
	flat_load_ushort v6, v[28:29] offset:2048
	v_mov_b32_e32 v4, 0
	v_mov_b32_e32 v15, 0
	s_waitcnt vmcnt(0) lgkmcnt(0)
	v_and_b32_e32 v30, 0xffff, v6
	v_cmp_ne_u16_sdwa s[8:9], v6, v23 src0_sel:BYTE_0 src1_sel:DWORD
	s_and_saveexec_b64 s[28:29], s[8:9]
	s_cbranch_execz .LBB295_208
; %bb.203:                              ;   in Loop: Header=BB295_10 Depth=1
	v_cmp_ne_u16_sdwa s[8:9], v30, s19 src0_sel:BYTE_0 src1_sel:DWORD
	v_bfrev_b32_e32 v15, 1
	s_and_saveexec_b64 s[30:31], s[8:9]
	s_cbranch_execz .LBB295_207
; %bb.204:                              ;   in Loop: Header=BB295_10 Depth=1
	v_and_b32_e32 v6, 0x7f, v30
	v_cmp_ne_u32_e64 s[8:9], s37, v6
	v_mov_b32_e32 v15, 0x7fc02000
	s_and_saveexec_b64 s[34:35], s[8:9]
	s_cbranch_execz .LBB295_206
; %bb.205:                              ;   in Loop: Header=BB295_10 Depth=1
	v_and_b32_e32 v7, 7, v30
	v_ffbh_u32_e32 v8, v7
	v_mov_b32_e32 v2, v13
	v_min_u32_e32 v13, 32, v8
	v_subrev_u32_e32 v8, 28, v13
	v_lshlrev_b64 v[8:9], v8, v[30:31]
	v_lshrrev_b32_e32 v12, 3, v6
	v_sub_u32_e32 v9, 29, v13
	v_cmp_gt_u32_e64 s[8:9], 8, v6
	v_mov_b32_e32 v13, v2
	v_and_b32_e32 v8, 7, v8
	v_cndmask_b32_e64 v6, v12, v9, s[8:9]
	v_mov_b32_e32 v2, 0x2000
	v_cndmask_b32_e64 v7, v7, v8, s[8:9]
	v_lshlrev_b32_e32 v8, 8, v30
	v_lshl_add_u32 v6, v6, 10, v2
	v_and_or_b32 v6, v8, s38, v6
	v_lshl_or_b32 v6, v7, 7, v6
	v_cvt_f32_f16_e32 v15, v6
	v_mov_b32_e32 v9, v26
.LBB295_206:                            ;   in Loop: Header=BB295_10 Depth=1
	s_or_b64 exec, exec, s[34:35]
.LBB295_207:                            ;   in Loop: Header=BB295_10 Depth=1
	s_or_b64 exec, exec, s[30:31]
.LBB295_208:                            ;   in Loop: Header=BB295_10 Depth=1
	s_or_b64 exec, exec, s[28:29]
	v_lshrrev_b16_e32 v30, 8, v30
	v_cmp_ne_u16_e64 s[8:9], 0, v30
	s_and_saveexec_b64 s[28:29], s[8:9]
	s_cbranch_execz .LBB295_214
; %bb.209:                              ;   in Loop: Header=BB295_10 Depth=1
	v_cmp_ne_u16_e64 s[8:9], s19, v30
	v_bfrev_b32_e32 v4, 1
	s_and_saveexec_b64 s[30:31], s[8:9]
	s_cbranch_execz .LBB295_213
; %bb.210:                              ;   in Loop: Header=BB295_10 Depth=1
	v_and_b32_e32 v6, 0x7f, v30
	v_cmp_ne_u32_e64 s[8:9], s37, v6
	v_mov_b32_e32 v4, 0x7fc02000
	s_and_saveexec_b64 s[34:35], s[8:9]
	s_cbranch_execz .LBB295_212
; %bb.211:                              ;   in Loop: Header=BB295_10 Depth=1
	v_and_b32_e32 v2, 7, v30
	v_ffbh_u32_e32 v8, v2
	v_min_u32_e32 v12, 32, v8
	v_subrev_u32_e32 v8, 28, v12
	v_lshlrev_b64 v[8:9], v8, v[30:31]
	v_lshrrev_b32_e32 v7, 3, v6
	v_sub_u32_e32 v9, 29, v12
	v_cmp_gt_u32_e64 s[8:9], 8, v6
	v_cndmask_b32_e64 v6, v7, v9, s[8:9]
	v_mov_b32_e32 v4, 0x2000
	v_and_b32_e32 v8, 7, v8
	v_lshlrev_b32_e32 v7, 8, v30
	v_lshl_add_u32 v6, v6, 10, v4
	v_cndmask_b32_e64 v2, v2, v8, s[8:9]
	v_and_or_b32 v6, v7, s38, v6
	v_lshl_or_b32 v2, v2, 7, v6
	v_cvt_f32_f16_e32 v4, v2
	v_mov_b32_e32 v9, v26
.LBB295_212:                            ;   in Loop: Header=BB295_10 Depth=1
	s_or_b64 exec, exec, s[34:35]
.LBB295_213:                            ;   in Loop: Header=BB295_10 Depth=1
	s_or_b64 exec, exec, s[30:31]
.LBB295_214:                            ;   in Loop: Header=BB295_10 Depth=1
	s_or_b64 exec, exec, s[28:29]
	flat_load_ushort v6, v[28:29] offset:2056
	v_mov_b32_e32 v53, 0
	v_mov_b32_e32 v12, 0
	s_waitcnt vmcnt(0) lgkmcnt(0)
	v_and_b32_e32 v30, 0xffff, v6
	v_cmp_ne_u16_sdwa s[8:9], v6, v23 src0_sel:BYTE_0 src1_sel:DWORD
	s_and_saveexec_b64 s[28:29], s[8:9]
	s_cbranch_execz .LBB295_220
; %bb.215:                              ;   in Loop: Header=BB295_10 Depth=1
	v_cmp_ne_u16_sdwa s[8:9], v30, s19 src0_sel:BYTE_0 src1_sel:DWORD
	v_bfrev_b32_e32 v12, 1
	s_and_saveexec_b64 s[30:31], s[8:9]
	s_cbranch_execz .LBB295_219
; %bb.216:                              ;   in Loop: Header=BB295_10 Depth=1
	v_and_b32_e32 v6, 0x7f, v30
	v_cmp_ne_u32_e64 s[8:9], s37, v6
	v_mov_b32_e32 v12, 0x7fc02000
	s_and_saveexec_b64 s[34:35], s[8:9]
	s_cbranch_execz .LBB295_218
; %bb.217:                              ;   in Loop: Header=BB295_10 Depth=1
	v_and_b32_e32 v7, 7, v30
	v_ffbh_u32_e32 v8, v7
	v_mov_b32_e32 v2, v13
	v_min_u32_e32 v13, 32, v8
	v_subrev_u32_e32 v8, 28, v13
	v_lshlrev_b64 v[8:9], v8, v[30:31]
	v_lshrrev_b32_e32 v12, 3, v6
	v_sub_u32_e32 v9, 29, v13
	v_cmp_gt_u32_e64 s[8:9], 8, v6
	v_mov_b32_e32 v13, v2
	v_and_b32_e32 v8, 7, v8
	v_cndmask_b32_e64 v6, v12, v9, s[8:9]
	v_mov_b32_e32 v2, 0x2000
	v_cndmask_b32_e64 v7, v7, v8, s[8:9]
	v_lshlrev_b32_e32 v8, 8, v30
	v_lshl_add_u32 v6, v6, 10, v2
	v_and_or_b32 v6, v8, s38, v6
	v_lshl_or_b32 v6, v7, 7, v6
	v_cvt_f32_f16_e32 v12, v6
	v_mov_b32_e32 v9, v26
.LBB295_218:                            ;   in Loop: Header=BB295_10 Depth=1
	s_or_b64 exec, exec, s[34:35]
.LBB295_219:                            ;   in Loop: Header=BB295_10 Depth=1
	s_or_b64 exec, exec, s[30:31]
.LBB295_220:                            ;   in Loop: Header=BB295_10 Depth=1
	s_or_b64 exec, exec, s[28:29]
	v_lshrrev_b16_e32 v30, 8, v30
	v_cmp_ne_u16_e64 s[8:9], 0, v30
	s_mov_b64 s[28:29], exec
	s_and_b64 s[8:9], s[28:29], s[8:9]
	v_accvgpr_write_b32 a39, v4
	s_mov_b64 exec, s[8:9]
	s_cbranch_execz .LBB295_226
; %bb.221:                              ;   in Loop: Header=BB295_10 Depth=1
	v_cmp_ne_u16_e64 s[8:9], s19, v30
	v_bfrev_b32_e32 v53, 1
	s_and_saveexec_b64 s[30:31], s[8:9]
	s_cbranch_execz .LBB295_225
; %bb.222:                              ;   in Loop: Header=BB295_10 Depth=1
	v_and_b32_e32 v6, 0x7f, v30
	v_cmp_ne_u32_e64 s[8:9], s37, v6
	v_mov_b32_e32 v53, 0x7fc02000
	s_and_saveexec_b64 s[34:35], s[8:9]
	s_cbranch_execz .LBB295_224
; %bb.223:                              ;   in Loop: Header=BB295_10 Depth=1
	v_and_b32_e32 v7, 7, v30
	v_ffbh_u32_e32 v8, v7
	v_mov_b32_e32 v2, v14
	v_min_u32_e32 v14, 32, v8
	v_subrev_u32_e32 v8, 28, v14
	v_lshlrev_b64 v[8:9], v8, v[30:31]
	v_mov_b32_e32 v4, v13
	v_lshrrev_b32_e32 v13, 3, v6
	v_sub_u32_e32 v9, 29, v14
	v_cmp_gt_u32_e64 s[8:9], 8, v6
	v_mov_b32_e32 v14, v2
	v_and_b32_e32 v8, 7, v8
	v_cndmask_b32_e64 v6, v13, v9, s[8:9]
	v_mov_b32_e32 v2, 0x2000
	v_cndmask_b32_e64 v7, v7, v8, s[8:9]
	v_lshlrev_b32_e32 v8, 8, v30
	v_lshl_add_u32 v6, v6, 10, v2
	v_and_or_b32 v6, v8, s38, v6
	v_lshl_or_b32 v6, v7, 7, v6
	v_cvt_f32_f16_e32 v53, v6
	v_mov_b32_e32 v9, v26
	v_mov_b32_e32 v13, v4
.LBB295_224:                            ;   in Loop: Header=BB295_10 Depth=1
	s_or_b64 exec, exec, s[34:35]
.LBB295_225:                            ;   in Loop: Header=BB295_10 Depth=1
	s_or_b64 exec, exec, s[30:31]
.LBB295_226:                            ;   in Loop: Header=BB295_10 Depth=1
	s_or_b64 exec, exec, s[28:29]
	flat_load_ushort v6, v[28:29] offset:2304
	v_mov_b32_e32 v4, 0
	v_mov_b32_e32 v2, 0
	buffer_store_dword v2, off, s[0:3], s32 offset:112 ; 4-byte Folded Spill
	s_waitcnt vmcnt(0) lgkmcnt(0)
	v_and_b32_e32 v30, 0xffff, v6
	v_cmp_ne_u16_sdwa s[8:9], v6, v23 src0_sel:BYTE_0 src1_sel:DWORD
	s_and_saveexec_b64 s[28:29], s[8:9]
	s_cbranch_execz .LBB295_232
; %bb.227:                              ;   in Loop: Header=BB295_10 Depth=1
	v_cmp_ne_u16_sdwa s[8:9], v30, s19 src0_sel:BYTE_0 src1_sel:DWORD
	v_bfrev_b32_e32 v2, 1
	buffer_store_dword v2, off, s[0:3], s32 offset:112 ; 4-byte Folded Spill
	s_and_saveexec_b64 s[30:31], s[8:9]
	s_cbranch_execz .LBB295_231
; %bb.228:                              ;   in Loop: Header=BB295_10 Depth=1
	v_and_b32_e32 v6, 0x7f, v30
	v_cmp_ne_u32_e64 s[8:9], s37, v6
	v_mov_b32_e32 v2, 0x7fc02000
	buffer_store_dword v2, off, s[0:3], s32 offset:112 ; 4-byte Folded Spill
	s_and_saveexec_b64 s[34:35], s[8:9]
	s_cbranch_execz .LBB295_230
; %bb.229:                              ;   in Loop: Header=BB295_10 Depth=1
	v_and_b32_e32 v7, 7, v30
	v_ffbh_u32_e32 v8, v7
	v_min_u32_e32 v18, 32, v8
	v_subrev_u32_e32 v8, 28, v18
	v_lshlrev_b64 v[8:9], v8, v[30:31]
	v_mov_b32_e32 v2, v13
	v_lshrrev_b32_e32 v13, 3, v6
	v_sub_u32_e32 v9, 29, v18
	v_cmp_gt_u32_e64 s[8:9], 8, v6
	v_and_b32_e32 v8, 7, v8
	v_cndmask_b32_e64 v6, v13, v9, s[8:9]
	v_mov_b32_e32 v13, v2
	v_mov_b32_e32 v2, 0x2000
	v_cndmask_b32_e64 v7, v7, v8, s[8:9]
	v_lshlrev_b32_e32 v8, 8, v30
	v_lshl_add_u32 v6, v6, 10, v2
	v_and_or_b32 v6, v8, s38, v6
	v_lshl_or_b32 v6, v7, 7, v6
	v_cvt_f32_f16_e32 v2, v6
	v_mov_b32_e32 v9, v26
	buffer_store_dword v2, off, s[0:3], s32 offset:112 ; 4-byte Folded Spill
.LBB295_230:                            ;   in Loop: Header=BB295_10 Depth=1
	s_or_b64 exec, exec, s[34:35]
.LBB295_231:                            ;   in Loop: Header=BB295_10 Depth=1
	s_or_b64 exec, exec, s[30:31]
.LBB295_232:                            ;   in Loop: Header=BB295_10 Depth=1
	s_or_b64 exec, exec, s[28:29]
	v_lshrrev_b16_e32 v30, 8, v30
	v_cmp_ne_u16_e64 s[8:9], 0, v30
	s_and_saveexec_b64 s[28:29], s[8:9]
	s_cbranch_execz .LBB295_238
; %bb.233:                              ;   in Loop: Header=BB295_10 Depth=1
	v_cmp_ne_u16_e64 s[8:9], s19, v30
	v_bfrev_b32_e32 v4, 1
	s_and_saveexec_b64 s[30:31], s[8:9]
	s_cbranch_execz .LBB295_237
; %bb.234:                              ;   in Loop: Header=BB295_10 Depth=1
	v_and_b32_e32 v6, 0x7f, v30
	v_cmp_ne_u32_e64 s[8:9], s37, v6
	v_mov_b32_e32 v4, 0x7fc02000
	s_and_saveexec_b64 s[34:35], s[8:9]
	s_cbranch_execz .LBB295_236
; %bb.235:                              ;   in Loop: Header=BB295_10 Depth=1
	v_and_b32_e32 v7, 7, v30
	v_ffbh_u32_e32 v8, v7
	v_min_u32_e32 v18, 32, v8
	v_subrev_u32_e32 v8, 28, v18
	v_lshlrev_b64 v[8:9], v8, v[30:31]
	v_mov_b32_e32 v2, v13
	v_lshrrev_b32_e32 v13, 3, v6
	v_sub_u32_e32 v9, 29, v18
	v_cmp_gt_u32_e64 s[8:9], 8, v6
	v_and_b32_e32 v8, 7, v8
	v_cndmask_b32_e64 v6, v13, v9, s[8:9]
	v_mov_b32_e32 v13, v2
	v_mov_b32_e32 v2, 0x2000
	v_cndmask_b32_e64 v7, v7, v8, s[8:9]
	v_lshlrev_b32_e32 v8, 8, v30
	v_lshl_add_u32 v6, v6, 10, v2
	v_and_or_b32 v6, v8, s38, v6
	v_lshl_or_b32 v6, v7, 7, v6
	v_cvt_f32_f16_e32 v4, v6
	v_mov_b32_e32 v9, v26
.LBB295_236:                            ;   in Loop: Header=BB295_10 Depth=1
	s_or_b64 exec, exec, s[34:35]
.LBB295_237:                            ;   in Loop: Header=BB295_10 Depth=1
	s_or_b64 exec, exec, s[30:31]
.LBB295_238:                            ;   in Loop: Header=BB295_10 Depth=1
	s_or_b64 exec, exec, s[28:29]
	flat_load_ushort v6, v[28:29] offset:2312
	v_mov_b32_e32 v2, 0
	buffer_store_dword v2, off, s[0:3], s32 offset:116 ; 4-byte Folded Spill
	v_mov_b32_e32 v2, 0
	buffer_store_dword v2, off, s[0:3], s32 offset:120 ; 4-byte Folded Spill
	s_waitcnt vmcnt(0) lgkmcnt(0)
	v_and_b32_e32 v30, 0xffff, v6
	v_cmp_ne_u16_sdwa s[8:9], v6, v23 src0_sel:BYTE_0 src1_sel:DWORD
	s_and_saveexec_b64 s[28:29], s[8:9]
	s_cbranch_execz .LBB295_244
; %bb.239:                              ;   in Loop: Header=BB295_10 Depth=1
	v_cmp_ne_u16_sdwa s[8:9], v30, s19 src0_sel:BYTE_0 src1_sel:DWORD
	v_bfrev_b32_e32 v2, 1
	buffer_store_dword v2, off, s[0:3], s32 offset:120 ; 4-byte Folded Spill
	s_and_saveexec_b64 s[30:31], s[8:9]
	s_cbranch_execz .LBB295_243
; %bb.240:                              ;   in Loop: Header=BB295_10 Depth=1
	v_and_b32_e32 v6, 0x7f, v30
	v_cmp_ne_u32_e64 s[8:9], s37, v6
	v_mov_b32_e32 v2, 0x7fc02000
	buffer_store_dword v2, off, s[0:3], s32 offset:120 ; 4-byte Folded Spill
	s_and_saveexec_b64 s[34:35], s[8:9]
	s_cbranch_execz .LBB295_242
; %bb.241:                              ;   in Loop: Header=BB295_10 Depth=1
	v_and_b32_e32 v7, 7, v30
	v_ffbh_u32_e32 v8, v7
	v_min_u32_e32 v19, 32, v8
	v_subrev_u32_e32 v8, 28, v19
	v_lshlrev_b64 v[8:9], v8, v[30:31]
	v_lshrrev_b32_e32 v18, 3, v6
	v_sub_u32_e32 v9, 29, v19
	v_cmp_gt_u32_e64 s[8:9], 8, v6
	v_and_b32_e32 v8, 7, v8
	v_cndmask_b32_e64 v6, v18, v9, s[8:9]
	v_mov_b32_e32 v2, 0x2000
	v_cndmask_b32_e64 v7, v7, v8, s[8:9]
	v_lshlrev_b32_e32 v8, 8, v30
	v_lshl_add_u32 v6, v6, 10, v2
	v_and_or_b32 v6, v8, s38, v6
	v_lshl_or_b32 v6, v7, 7, v6
	v_cvt_f32_f16_e32 v2, v6
	v_mov_b32_e32 v9, v26
	buffer_store_dword v2, off, s[0:3], s32 offset:120 ; 4-byte Folded Spill
.LBB295_242:                            ;   in Loop: Header=BB295_10 Depth=1
	s_or_b64 exec, exec, s[34:35]
.LBB295_243:                            ;   in Loop: Header=BB295_10 Depth=1
	s_or_b64 exec, exec, s[30:31]
.LBB295_244:                            ;   in Loop: Header=BB295_10 Depth=1
	s_or_b64 exec, exec, s[28:29]
	v_lshrrev_b16_e32 v30, 8, v30
	v_cmp_ne_u16_e64 s[8:9], 0, v30
	s_and_saveexec_b64 s[28:29], s[8:9]
	s_cbranch_execz .LBB295_250
; %bb.245:                              ;   in Loop: Header=BB295_10 Depth=1
	v_cmp_ne_u16_e64 s[8:9], s19, v30
	v_bfrev_b32_e32 v2, 1
	buffer_store_dword v2, off, s[0:3], s32 offset:116 ; 4-byte Folded Spill
	s_and_saveexec_b64 s[30:31], s[8:9]
	s_cbranch_execz .LBB295_249
; %bb.246:                              ;   in Loop: Header=BB295_10 Depth=1
	v_and_b32_e32 v6, 0x7f, v30
	v_cmp_ne_u32_e64 s[8:9], s37, v6
	v_mov_b32_e32 v2, 0x7fc02000
	buffer_store_dword v2, off, s[0:3], s32 offset:116 ; 4-byte Folded Spill
	s_and_saveexec_b64 s[34:35], s[8:9]
	s_cbranch_execz .LBB295_248
; %bb.247:                              ;   in Loop: Header=BB295_10 Depth=1
	v_and_b32_e32 v7, 7, v30
	v_mov_b32_e32 v2, v13
	v_ffbh_u32_e32 v13, v7
	v_min_u32_e32 v13, 32, v13
	v_lshrrev_b32_e32 v9, 3, v6
	v_subrev_u32_e32 v18, 28, v13
	v_sub_u32_e32 v13, 29, v13
	v_cmp_gt_u32_e64 s[8:9], 8, v6
	v_lshlrev_b64 v[24:25], v18, v[30:31]
	v_cndmask_b32_e64 v6, v9, v13, s[8:9]
	v_mov_b32_e32 v13, v2
	v_mov_b32_e32 v2, 0x2000
	v_and_b32_e32 v18, 7, v24
	v_lshlrev_b32_e32 v9, 8, v30
	v_lshl_add_u32 v6, v6, 10, v2
	v_cndmask_b32_e64 v7, v7, v18, s[8:9]
	v_and_or_b32 v6, v9, s38, v6
	v_lshl_or_b32 v6, v7, 7, v6
	v_cvt_f32_f16_e32 v2, v6
	v_mov_b32_e32 v9, v26
	buffer_store_dword v2, off, s[0:3], s32 offset:116 ; 4-byte Folded Spill
.LBB295_248:                            ;   in Loop: Header=BB295_10 Depth=1
	s_or_b64 exec, exec, s[34:35]
.LBB295_249:                            ;   in Loop: Header=BB295_10 Depth=1
	s_or_b64 exec, exec, s[30:31]
.LBB295_250:                            ;   in Loop: Header=BB295_10 Depth=1
	s_or_b64 exec, exec, s[28:29]
	flat_load_ushort v6, v[28:29] offset:2560
	v_mov_b32_e32 v39, 0
	v_mov_b32_e32 v2, 0
	buffer_store_dword v2, off, s[0:3], s32 offset:124 ; 4-byte Folded Spill
	s_waitcnt vmcnt(0) lgkmcnt(0)
	v_and_b32_e32 v30, 0xffff, v6
	v_cmp_ne_u16_sdwa s[8:9], v6, v23 src0_sel:BYTE_0 src1_sel:DWORD
	s_and_saveexec_b64 s[28:29], s[8:9]
	s_cbranch_execz .LBB295_256
; %bb.251:                              ;   in Loop: Header=BB295_10 Depth=1
	v_cmp_ne_u16_sdwa s[8:9], v30, s19 src0_sel:BYTE_0 src1_sel:DWORD
	v_bfrev_b32_e32 v2, 1
	buffer_store_dword v2, off, s[0:3], s32 offset:124 ; 4-byte Folded Spill
	s_and_saveexec_b64 s[30:31], s[8:9]
	s_cbranch_execz .LBB295_255
; %bb.252:                              ;   in Loop: Header=BB295_10 Depth=1
	v_and_b32_e32 v6, 0x7f, v30
	v_cmp_ne_u32_e64 s[8:9], s37, v6
	v_mov_b32_e32 v2, 0x7fc02000
	buffer_store_dword v2, off, s[0:3], s32 offset:124 ; 4-byte Folded Spill
	s_and_saveexec_b64 s[34:35], s[8:9]
	s_cbranch_execz .LBB295_254
; %bb.253:                              ;   in Loop: Header=BB295_10 Depth=1
	v_and_b32_e32 v7, 7, v30
	v_ffbh_u32_e32 v19, v7
	v_min_u32_e32 v19, 32, v19
	v_mov_b32_e32 v2, v22
	v_subrev_u32_e32 v22, 28, v19
	v_lshlrev_b64 v[24:25], v22, v[30:31]
	v_lshrrev_b32_e32 v18, 3, v6
	v_sub_u32_e32 v19, 29, v19
	v_and_b32_e32 v22, 7, v24
	v_cmp_gt_u32_e64 s[8:9], 8, v6
	v_cndmask_b32_e64 v6, v18, v19, s[8:9]
	v_cndmask_b32_e64 v7, v7, v22, s[8:9]
	v_mov_b32_e32 v22, v2
	v_mov_b32_e32 v2, 0x2000
	v_lshlrev_b32_e32 v18, 8, v30
	v_lshl_add_u32 v6, v6, 10, v2
	v_and_or_b32 v6, v18, s38, v6
	v_lshl_or_b32 v6, v7, 7, v6
	v_cvt_f32_f16_e32 v2, v6
	buffer_store_dword v2, off, s[0:3], s32 offset:124 ; 4-byte Folded Spill
.LBB295_254:                            ;   in Loop: Header=BB295_10 Depth=1
	s_or_b64 exec, exec, s[34:35]
.LBB295_255:                            ;   in Loop: Header=BB295_10 Depth=1
	s_or_b64 exec, exec, s[30:31]
.LBB295_256:                            ;   in Loop: Header=BB295_10 Depth=1
	s_or_b64 exec, exec, s[28:29]
	v_lshrrev_b16_e32 v30, 8, v30
	v_cmp_ne_u16_e64 s[8:9], 0, v30
	s_and_saveexec_b64 s[28:29], s[8:9]
	s_cbranch_execz .LBB295_262
; %bb.257:                              ;   in Loop: Header=BB295_10 Depth=1
	v_cmp_ne_u16_e64 s[8:9], s19, v30
	v_bfrev_b32_e32 v39, 1
	s_and_saveexec_b64 s[30:31], s[8:9]
	s_cbranch_execz .LBB295_261
; %bb.258:                              ;   in Loop: Header=BB295_10 Depth=1
	v_and_b32_e32 v6, 0x7f, v30
	v_cmp_ne_u32_e64 s[8:9], s37, v6
	v_mov_b32_e32 v39, 0x7fc02000
	s_and_saveexec_b64 s[34:35], s[8:9]
	s_cbranch_execz .LBB295_260
; %bb.259:                              ;   in Loop: Header=BB295_10 Depth=1
	v_and_b32_e32 v7, 7, v30
	v_ffbh_u32_e32 v18, v7
	v_min_u32_e32 v18, 32, v18
	v_lshrrev_b32_e32 v9, 3, v6
	v_subrev_u32_e32 v19, 28, v18
	v_sub_u32_e32 v18, 29, v18
	v_cmp_gt_u32_e64 s[8:9], 8, v6
	v_lshlrev_b64 v[24:25], v19, v[30:31]
	v_cndmask_b32_e64 v6, v9, v18, s[8:9]
	v_mov_b32_e32 v2, 0x2000
	v_and_b32_e32 v19, 7, v24
	v_lshlrev_b32_e32 v9, 8, v30
	v_lshl_add_u32 v6, v6, 10, v2
	v_cndmask_b32_e64 v7, v7, v19, s[8:9]
	v_and_or_b32 v6, v9, s38, v6
	v_lshl_or_b32 v6, v7, 7, v6
	v_cvt_f32_f16_e32 v39, v6
	v_mov_b32_e32 v9, v26
.LBB295_260:                            ;   in Loop: Header=BB295_10 Depth=1
	s_or_b64 exec, exec, s[34:35]
.LBB295_261:                            ;   in Loop: Header=BB295_10 Depth=1
	s_or_b64 exec, exec, s[30:31]
.LBB295_262:                            ;   in Loop: Header=BB295_10 Depth=1
	s_or_b64 exec, exec, s[28:29]
	flat_load_ushort v6, v[28:29] offset:2568
	v_mov_b32_e32 v25, 0
	v_mov_b32_e32 v2, 0
	buffer_store_dword v2, off, s[0:3], s32 offset:128 ; 4-byte Folded Spill
	s_waitcnt vmcnt(0) lgkmcnt(0)
	v_and_b32_e32 v30, 0xffff, v6
	v_cmp_ne_u16_sdwa s[8:9], v6, v23 src0_sel:BYTE_0 src1_sel:DWORD
	s_and_saveexec_b64 s[28:29], s[8:9]
	s_cbranch_execz .LBB295_268
; %bb.263:                              ;   in Loop: Header=BB295_10 Depth=1
	v_cmp_ne_u16_sdwa s[8:9], v30, s19 src0_sel:BYTE_0 src1_sel:DWORD
	v_bfrev_b32_e32 v2, 1
	buffer_store_dword v2, off, s[0:3], s32 offset:128 ; 4-byte Folded Spill
	s_and_saveexec_b64 s[30:31], s[8:9]
	s_cbranch_execz .LBB295_267
; %bb.264:                              ;   in Loop: Header=BB295_10 Depth=1
	v_and_b32_e32 v6, 0x7f, v30
	v_cmp_ne_u32_e64 s[8:9], s37, v6
	v_mov_b32_e32 v2, 0x7fc02000
	buffer_store_dword v2, off, s[0:3], s32 offset:128 ; 4-byte Folded Spill
	s_and_saveexec_b64 s[34:35], s[8:9]
	s_cbranch_execz .LBB295_266
; %bb.265:                              ;   in Loop: Header=BB295_10 Depth=1
	v_and_b32_e32 v18, 7, v30
	v_lshrrev_b32_e32 v19, 3, v6
	v_cmp_gt_u32_e64 s[8:9], 8, v6
	v_ffbh_u32_e32 v6, v18
	v_min_u32_e32 v24, 32, v6
	v_subrev_u32_e32 v6, 28, v24
	v_lshlrev_b64 v[6:7], v6, v[30:31]
	v_sub_u32_e32 v7, 29, v24
	v_and_b32_e32 v6, 7, v6
	v_cndmask_b32_e64 v7, v19, v7, s[8:9]
	v_mov_b32_e32 v2, 0x2000
	v_cndmask_b32_e64 v6, v18, v6, s[8:9]
	v_lshlrev_b32_e32 v18, 8, v30
	v_lshl_add_u32 v7, v7, 10, v2
	v_and_or_b32 v7, v18, s38, v7
	v_lshl_or_b32 v6, v6, 7, v7
	v_cvt_f32_f16_e32 v2, v6
	buffer_store_dword v2, off, s[0:3], s32 offset:128 ; 4-byte Folded Spill
.LBB295_266:                            ;   in Loop: Header=BB295_10 Depth=1
	s_or_b64 exec, exec, s[34:35]
.LBB295_267:                            ;   in Loop: Header=BB295_10 Depth=1
	s_or_b64 exec, exec, s[30:31]
.LBB295_268:                            ;   in Loop: Header=BB295_10 Depth=1
	s_or_b64 exec, exec, s[28:29]
	v_lshrrev_b16_e32 v30, 8, v30
	v_cmp_ne_u16_e64 s[8:9], 0, v30
	s_and_saveexec_b64 s[28:29], s[8:9]
	s_cbranch_execz .LBB295_274
; %bb.269:                              ;   in Loop: Header=BB295_10 Depth=1
	v_cmp_ne_u16_e64 s[8:9], s19, v30
	v_bfrev_b32_e32 v25, 1
	s_and_saveexec_b64 s[30:31], s[8:9]
	s_cbranch_execz .LBB295_273
; %bb.270:                              ;   in Loop: Header=BB295_10 Depth=1
	v_and_b32_e32 v6, 0x7f, v30
	v_cmp_ne_u32_e64 s[8:9], s37, v6
	v_mov_b32_e32 v25, 0x7fc02000
	s_and_saveexec_b64 s[34:35], s[8:9]
	s_cbranch_execz .LBB295_272
; %bb.271:                              ;   in Loop: Header=BB295_10 Depth=1
	v_and_b32_e32 v18, 7, v30
	v_lshrrev_b32_e32 v19, 3, v6
	v_cmp_gt_u32_e64 s[8:9], 8, v6
	v_ffbh_u32_e32 v6, v18
	v_mov_b32_e32 v2, v22
	v_min_u32_e32 v22, 32, v6
	v_subrev_u32_e32 v6, 28, v22
	v_lshlrev_b64 v[6:7], v6, v[30:31]
	v_sub_u32_e32 v7, 29, v22
	v_mov_b32_e32 v22, v2
	v_and_b32_e32 v6, 7, v6
	v_cndmask_b32_e64 v7, v19, v7, s[8:9]
	v_mov_b32_e32 v2, 0x2000
	v_cndmask_b32_e64 v6, v18, v6, s[8:9]
	v_lshlrev_b32_e32 v18, 8, v30
	v_lshl_add_u32 v7, v7, 10, v2
	v_and_or_b32 v7, v18, s38, v7
	v_lshl_or_b32 v6, v6, 7, v7
	v_cvt_f32_f16_e32 v25, v6
.LBB295_272:                            ;   in Loop: Header=BB295_10 Depth=1
	s_or_b64 exec, exec, s[34:35]
.LBB295_273:                            ;   in Loop: Header=BB295_10 Depth=1
	s_or_b64 exec, exec, s[30:31]
.LBB295_274:                            ;   in Loop: Header=BB295_10 Depth=1
	s_or_b64 exec, exec, s[28:29]
	flat_load_ushort v6, v[28:29] offset:2816
	v_mov_b32_e32 v24, 0
	v_mov_b32_e32 v55, 0
	s_waitcnt vmcnt(0) lgkmcnt(0)
	v_and_b32_e32 v30, 0xffff, v6
	v_cmp_ne_u16_sdwa s[8:9], v6, v23 src0_sel:BYTE_0 src1_sel:DWORD
	s_and_saveexec_b64 s[28:29], s[8:9]
	s_cbranch_execz .LBB295_280
; %bb.275:                              ;   in Loop: Header=BB295_10 Depth=1
	v_cmp_ne_u16_sdwa s[8:9], v30, s19 src0_sel:BYTE_0 src1_sel:DWORD
	v_bfrev_b32_e32 v55, 1
	s_and_saveexec_b64 s[30:31], s[8:9]
	s_cbranch_execz .LBB295_279
; %bb.276:                              ;   in Loop: Header=BB295_10 Depth=1
	v_and_b32_e32 v6, 0x7f, v30
	v_cmp_ne_u32_e64 s[8:9], s37, v6
	v_mov_b32_e32 v55, 0x7fc02000
	s_and_saveexec_b64 s[34:35], s[8:9]
	s_cbranch_execz .LBB295_278
; %bb.277:                              ;   in Loop: Header=BB295_10 Depth=1
	v_and_b32_e32 v7, 7, v30
	v_ffbh_u32_e32 v19, v7
	v_min_u32_e32 v19, 32, v19
	v_lshrrev_b32_e32 v18, 3, v6
	v_subrev_u32_e32 v26, 28, v19
	v_sub_u32_e32 v19, 29, v19
	v_cmp_gt_u32_e64 s[8:9], 8, v6
	v_lshlrev_b64 v[26:27], v26, v[30:31]
	v_cndmask_b32_e64 v6, v18, v19, s[8:9]
	v_mov_b32_e32 v2, 0x2000
	v_and_b32_e32 v26, 7, v26
	v_lshlrev_b32_e32 v18, 8, v30
	v_lshl_add_u32 v6, v6, 10, v2
	v_cndmask_b32_e64 v7, v7, v26, s[8:9]
	v_and_or_b32 v6, v18, s38, v6
	v_lshl_or_b32 v6, v7, 7, v6
	v_cvt_f32_f16_e32 v55, v6
.LBB295_278:                            ;   in Loop: Header=BB295_10 Depth=1
	s_or_b64 exec, exec, s[34:35]
.LBB295_279:                            ;   in Loop: Header=BB295_10 Depth=1
	s_or_b64 exec, exec, s[30:31]
.LBB295_280:                            ;   in Loop: Header=BB295_10 Depth=1
	s_or_b64 exec, exec, s[28:29]
	v_lshrrev_b16_e32 v30, 8, v30
	v_cmp_ne_u16_e64 s[8:9], 0, v30
	s_and_saveexec_b64 s[28:29], s[8:9]
	s_cbranch_execz .LBB295_286
; %bb.281:                              ;   in Loop: Header=BB295_10 Depth=1
	v_cmp_ne_u16_e64 s[8:9], s19, v30
	v_bfrev_b32_e32 v24, 1
	s_and_saveexec_b64 s[30:31], s[8:9]
	s_cbranch_execz .LBB295_285
; %bb.282:                              ;   in Loop: Header=BB295_10 Depth=1
	v_and_b32_e32 v6, 0x7f, v30
	v_cmp_ne_u32_e64 s[8:9], s37, v6
	v_mov_b32_e32 v24, 0x7fc02000
	s_and_saveexec_b64 s[34:35], s[8:9]
	s_cbranch_execz .LBB295_284
; %bb.283:                              ;   in Loop: Header=BB295_10 Depth=1
	v_and_b32_e32 v7, 7, v30
	v_ffbh_u32_e32 v19, v7
	v_min_u32_e32 v19, 32, v19
	v_lshrrev_b32_e32 v18, 3, v6
	v_subrev_u32_e32 v24, 28, v19
	v_sub_u32_e32 v19, 29, v19
	v_cmp_gt_u32_e64 s[8:9], 8, v6
	v_lshlrev_b64 v[26:27], v24, v[30:31]
	v_cndmask_b32_e64 v6, v18, v19, s[8:9]
	v_mov_b32_e32 v2, 0x2000
	v_and_b32_e32 v24, 7, v26
	v_lshlrev_b32_e32 v18, 8, v30
	v_lshl_add_u32 v6, v6, 10, v2
	v_cndmask_b32_e64 v7, v7, v24, s[8:9]
	v_and_or_b32 v6, v18, s38, v6
	v_lshl_or_b32 v6, v7, 7, v6
	v_cvt_f32_f16_e32 v24, v6
.LBB295_284:                            ;   in Loop: Header=BB295_10 Depth=1
	s_or_b64 exec, exec, s[34:35]
.LBB295_285:                            ;   in Loop: Header=BB295_10 Depth=1
	s_or_b64 exec, exec, s[30:31]
.LBB295_286:                            ;   in Loop: Header=BB295_10 Depth=1
	s_or_b64 exec, exec, s[28:29]
	flat_load_ushort v6, v[28:29] offset:2824
	v_mov_b32_e32 v40, 0
	v_mov_b32_e32 v41, 0
	s_waitcnt vmcnt(0) lgkmcnt(0)
	v_and_b32_e32 v30, 0xffff, v6
	v_cmp_ne_u16_sdwa s[8:9], v6, v23 src0_sel:BYTE_0 src1_sel:DWORD
	s_and_saveexec_b64 s[28:29], s[8:9]
	s_cbranch_execz .LBB295_292
; %bb.287:                              ;   in Loop: Header=BB295_10 Depth=1
	v_cmp_ne_u16_sdwa s[8:9], v30, s19 src0_sel:BYTE_0 src1_sel:DWORD
	v_bfrev_b32_e32 v41, 1
	s_and_saveexec_b64 s[30:31], s[8:9]
	s_cbranch_execz .LBB295_291
; %bb.288:                              ;   in Loop: Header=BB295_10 Depth=1
	v_and_b32_e32 v6, 0x7f, v30
	v_cmp_ne_u32_e64 s[8:9], s37, v6
	v_mov_b32_e32 v41, 0x7fc02000
	s_and_saveexec_b64 s[34:35], s[8:9]
	s_cbranch_execz .LBB295_290
; %bb.289:                              ;   in Loop: Header=BB295_10 Depth=1
	v_and_b32_e32 v7, 7, v30
	v_ffbh_u32_e32 v19, v7
	v_min_u32_e32 v19, 32, v19
	v_lshrrev_b32_e32 v18, 3, v6
	v_subrev_u32_e32 v26, 28, v19
	v_sub_u32_e32 v19, 29, v19
	v_cmp_gt_u32_e64 s[8:9], 8, v6
	v_lshlrev_b64 v[26:27], v26, v[30:31]
	v_cndmask_b32_e64 v6, v18, v19, s[8:9]
	v_mov_b32_e32 v2, 0x2000
	v_and_b32_e32 v26, 7, v26
	v_lshlrev_b32_e32 v18, 8, v30
	v_lshl_add_u32 v6, v6, 10, v2
	v_cndmask_b32_e64 v7, v7, v26, s[8:9]
	v_and_or_b32 v6, v18, s38, v6
	v_lshl_or_b32 v6, v7, 7, v6
	v_cvt_f32_f16_e32 v41, v6
.LBB295_290:                            ;   in Loop: Header=BB295_10 Depth=1
	s_or_b64 exec, exec, s[34:35]
.LBB295_291:                            ;   in Loop: Header=BB295_10 Depth=1
	s_or_b64 exec, exec, s[30:31]
.LBB295_292:                            ;   in Loop: Header=BB295_10 Depth=1
	s_or_b64 exec, exec, s[28:29]
	v_lshrrev_b16_e32 v30, 8, v30
	v_cmp_ne_u16_e64 s[8:9], 0, v30
	s_and_saveexec_b64 s[28:29], s[8:9]
	s_cbranch_execz .LBB295_298
; %bb.293:                              ;   in Loop: Header=BB295_10 Depth=1
	v_cmp_ne_u16_e64 s[8:9], s19, v30
	v_bfrev_b32_e32 v40, 1
	s_and_saveexec_b64 s[30:31], s[8:9]
	s_cbranch_execz .LBB295_297
; %bb.294:                              ;   in Loop: Header=BB295_10 Depth=1
	v_and_b32_e32 v6, 0x7f, v30
	v_cmp_ne_u32_e64 s[8:9], s37, v6
	v_mov_b32_e32 v40, 0x7fc02000
	s_and_saveexec_b64 s[34:35], s[8:9]
	s_cbranch_execz .LBB295_296
; %bb.295:                              ;   in Loop: Header=BB295_10 Depth=1
	v_and_b32_e32 v7, 7, v30
	v_ffbh_u32_e32 v19, v7
	v_min_u32_e32 v19, 32, v19
	v_lshrrev_b32_e32 v18, 3, v6
	v_subrev_u32_e32 v26, 28, v19
	v_sub_u32_e32 v19, 29, v19
	v_cmp_gt_u32_e64 s[8:9], 8, v6
	v_lshlrev_b64 v[26:27], v26, v[30:31]
	v_cndmask_b32_e64 v6, v18, v19, s[8:9]
	v_mov_b32_e32 v2, 0x2000
	v_and_b32_e32 v26, 7, v26
	v_lshlrev_b32_e32 v18, 8, v30
	v_lshl_add_u32 v6, v6, 10, v2
	v_cndmask_b32_e64 v7, v7, v26, s[8:9]
	v_and_or_b32 v6, v18, s38, v6
	v_lshl_or_b32 v6, v7, 7, v6
	v_cvt_f32_f16_e32 v40, v6
.LBB295_296:                            ;   in Loop: Header=BB295_10 Depth=1
	s_or_b64 exec, exec, s[34:35]
.LBB295_297:                            ;   in Loop: Header=BB295_10 Depth=1
	s_or_b64 exec, exec, s[30:31]
.LBB295_298:                            ;   in Loop: Header=BB295_10 Depth=1
	s_or_b64 exec, exec, s[28:29]
	flat_load_ushort v6, v[28:29] offset:3072
	v_mov_b32_e32 v42, 0
	v_mov_b32_e32 v43, 0
	s_waitcnt vmcnt(0) lgkmcnt(0)
	v_and_b32_e32 v30, 0xffff, v6
	v_cmp_ne_u16_sdwa s[8:9], v6, v23 src0_sel:BYTE_0 src1_sel:DWORD
	s_and_saveexec_b64 s[28:29], s[8:9]
	s_cbranch_execz .LBB295_304
; %bb.299:                              ;   in Loop: Header=BB295_10 Depth=1
	v_cmp_ne_u16_sdwa s[8:9], v30, s19 src0_sel:BYTE_0 src1_sel:DWORD
	v_bfrev_b32_e32 v43, 1
	s_and_saveexec_b64 s[30:31], s[8:9]
	s_cbranch_execz .LBB295_303
; %bb.300:                              ;   in Loop: Header=BB295_10 Depth=1
	v_and_b32_e32 v6, 0x7f, v30
	v_cmp_ne_u32_e64 s[8:9], s37, v6
	v_mov_b32_e32 v43, 0x7fc02000
	s_and_saveexec_b64 s[34:35], s[8:9]
	s_cbranch_execz .LBB295_302
; %bb.301:                              ;   in Loop: Header=BB295_10 Depth=1
	v_and_b32_e32 v7, 7, v30
	v_ffbh_u32_e32 v19, v7
	v_min_u32_e32 v19, 32, v19
	v_lshrrev_b32_e32 v18, 3, v6
	v_subrev_u32_e32 v26, 28, v19
	v_sub_u32_e32 v19, 29, v19
	v_cmp_gt_u32_e64 s[8:9], 8, v6
	v_lshlrev_b64 v[26:27], v26, v[30:31]
	v_cndmask_b32_e64 v6, v18, v19, s[8:9]
	v_mov_b32_e32 v2, 0x2000
	v_and_b32_e32 v26, 7, v26
	v_lshlrev_b32_e32 v18, 8, v30
	v_lshl_add_u32 v6, v6, 10, v2
	v_cndmask_b32_e64 v7, v7, v26, s[8:9]
	v_and_or_b32 v6, v18, s38, v6
	v_lshl_or_b32 v6, v7, 7, v6
	v_cvt_f32_f16_e32 v43, v6
.LBB295_302:                            ;   in Loop: Header=BB295_10 Depth=1
	s_or_b64 exec, exec, s[34:35]
.LBB295_303:                            ;   in Loop: Header=BB295_10 Depth=1
	s_or_b64 exec, exec, s[30:31]
.LBB295_304:                            ;   in Loop: Header=BB295_10 Depth=1
	s_or_b64 exec, exec, s[28:29]
	v_lshrrev_b16_e32 v30, 8, v30
	v_cmp_ne_u16_e64 s[8:9], 0, v30
	s_and_saveexec_b64 s[28:29], s[8:9]
	s_cbranch_execz .LBB295_310
; %bb.305:                              ;   in Loop: Header=BB295_10 Depth=1
	v_cmp_ne_u16_e64 s[8:9], s19, v30
	v_bfrev_b32_e32 v42, 1
	s_and_saveexec_b64 s[30:31], s[8:9]
	s_cbranch_execz .LBB295_309
; %bb.306:                              ;   in Loop: Header=BB295_10 Depth=1
	v_and_b32_e32 v6, 0x7f, v30
	v_cmp_ne_u32_e64 s[8:9], s37, v6
	v_mov_b32_e32 v42, 0x7fc02000
	s_and_saveexec_b64 s[34:35], s[8:9]
	s_cbranch_execz .LBB295_308
; %bb.307:                              ;   in Loop: Header=BB295_10 Depth=1
	v_and_b32_e32 v7, 7, v30
	v_ffbh_u32_e32 v19, v7
	v_min_u32_e32 v19, 32, v19
	v_lshrrev_b32_e32 v18, 3, v6
	v_subrev_u32_e32 v26, 28, v19
	v_sub_u32_e32 v19, 29, v19
	v_cmp_gt_u32_e64 s[8:9], 8, v6
	v_lshlrev_b64 v[26:27], v26, v[30:31]
	v_cndmask_b32_e64 v6, v18, v19, s[8:9]
	v_mov_b32_e32 v2, 0x2000
	v_and_b32_e32 v26, 7, v26
	v_lshlrev_b32_e32 v18, 8, v30
	v_lshl_add_u32 v6, v6, 10, v2
	v_cndmask_b32_e64 v7, v7, v26, s[8:9]
	v_and_or_b32 v6, v18, s38, v6
	v_lshl_or_b32 v6, v7, 7, v6
	v_cvt_f32_f16_e32 v42, v6
.LBB295_308:                            ;   in Loop: Header=BB295_10 Depth=1
	s_or_b64 exec, exec, s[34:35]
.LBB295_309:                            ;   in Loop: Header=BB295_10 Depth=1
	s_or_b64 exec, exec, s[30:31]
.LBB295_310:                            ;   in Loop: Header=BB295_10 Depth=1
	s_or_b64 exec, exec, s[28:29]
	flat_load_ushort v6, v[28:29] offset:3080
	v_mov_b32_e32 v44, 0
	v_mov_b32_e32 v45, 0
	s_waitcnt vmcnt(0) lgkmcnt(0)
	v_and_b32_e32 v30, 0xffff, v6
	v_cmp_ne_u16_sdwa s[8:9], v6, v23 src0_sel:BYTE_0 src1_sel:DWORD
	s_and_saveexec_b64 s[28:29], s[8:9]
	s_cbranch_execz .LBB295_316
; %bb.311:                              ;   in Loop: Header=BB295_10 Depth=1
	v_cmp_ne_u16_sdwa s[8:9], v30, s19 src0_sel:BYTE_0 src1_sel:DWORD
	v_bfrev_b32_e32 v45, 1
	s_and_saveexec_b64 s[30:31], s[8:9]
	s_cbranch_execz .LBB295_315
; %bb.312:                              ;   in Loop: Header=BB295_10 Depth=1
	v_and_b32_e32 v6, 0x7f, v30
	v_cmp_ne_u32_e64 s[8:9], s37, v6
	v_mov_b32_e32 v45, 0x7fc02000
	s_and_saveexec_b64 s[34:35], s[8:9]
	s_cbranch_execz .LBB295_314
; %bb.313:                              ;   in Loop: Header=BB295_10 Depth=1
	v_and_b32_e32 v7, 7, v30
	v_ffbh_u32_e32 v19, v7
	v_min_u32_e32 v19, 32, v19
	v_lshrrev_b32_e32 v18, 3, v6
	v_subrev_u32_e32 v26, 28, v19
	v_sub_u32_e32 v19, 29, v19
	v_cmp_gt_u32_e64 s[8:9], 8, v6
	v_lshlrev_b64 v[26:27], v26, v[30:31]
	v_cndmask_b32_e64 v6, v18, v19, s[8:9]
	v_mov_b32_e32 v2, 0x2000
	v_and_b32_e32 v26, 7, v26
	v_lshlrev_b32_e32 v18, 8, v30
	v_lshl_add_u32 v6, v6, 10, v2
	v_cndmask_b32_e64 v7, v7, v26, s[8:9]
	v_and_or_b32 v6, v18, s38, v6
	v_lshl_or_b32 v6, v7, 7, v6
	v_cvt_f32_f16_e32 v45, v6
.LBB295_314:                            ;   in Loop: Header=BB295_10 Depth=1
	s_or_b64 exec, exec, s[34:35]
.LBB295_315:                            ;   in Loop: Header=BB295_10 Depth=1
	s_or_b64 exec, exec, s[30:31]
.LBB295_316:                            ;   in Loop: Header=BB295_10 Depth=1
	s_or_b64 exec, exec, s[28:29]
	v_lshrrev_b16_e32 v30, 8, v30
	v_cmp_ne_u16_e64 s[8:9], 0, v30
	s_and_saveexec_b64 s[28:29], s[8:9]
	s_cbranch_execz .LBB295_322
; %bb.317:                              ;   in Loop: Header=BB295_10 Depth=1
	v_cmp_ne_u16_e64 s[8:9], s19, v30
	v_bfrev_b32_e32 v44, 1
	s_and_saveexec_b64 s[30:31], s[8:9]
	s_cbranch_execz .LBB295_321
; %bb.318:                              ;   in Loop: Header=BB295_10 Depth=1
	v_and_b32_e32 v6, 0x7f, v30
	v_cmp_ne_u32_e64 s[8:9], s37, v6
	v_mov_b32_e32 v44, 0x7fc02000
	s_and_saveexec_b64 s[34:35], s[8:9]
	s_cbranch_execz .LBB295_320
; %bb.319:                              ;   in Loop: Header=BB295_10 Depth=1
	v_and_b32_e32 v7, 7, v30
	v_ffbh_u32_e32 v19, v7
	v_min_u32_e32 v19, 32, v19
	v_lshrrev_b32_e32 v18, 3, v6
	v_subrev_u32_e32 v26, 28, v19
	v_sub_u32_e32 v19, 29, v19
	v_cmp_gt_u32_e64 s[8:9], 8, v6
	v_lshlrev_b64 v[26:27], v26, v[30:31]
	v_cndmask_b32_e64 v6, v18, v19, s[8:9]
	v_mov_b32_e32 v2, 0x2000
	v_and_b32_e32 v26, 7, v26
	v_lshlrev_b32_e32 v18, 8, v30
	v_lshl_add_u32 v6, v6, 10, v2
	v_cndmask_b32_e64 v7, v7, v26, s[8:9]
	v_and_or_b32 v6, v18, s38, v6
	v_lshl_or_b32 v6, v7, 7, v6
	v_cvt_f32_f16_e32 v44, v6
.LBB295_320:                            ;   in Loop: Header=BB295_10 Depth=1
	s_or_b64 exec, exec, s[34:35]
.LBB295_321:                            ;   in Loop: Header=BB295_10 Depth=1
	s_or_b64 exec, exec, s[30:31]
.LBB295_322:                            ;   in Loop: Header=BB295_10 Depth=1
	s_or_b64 exec, exec, s[28:29]
	flat_load_ushort v6, v[28:29] offset:3328
	v_mov_b32_e32 v46, 0
	v_mov_b32_e32 v47, 0
	s_waitcnt vmcnt(0) lgkmcnt(0)
	v_and_b32_e32 v30, 0xffff, v6
	v_cmp_ne_u16_sdwa s[8:9], v6, v23 src0_sel:BYTE_0 src1_sel:DWORD
	s_and_saveexec_b64 s[28:29], s[8:9]
	s_cbranch_execz .LBB295_328
; %bb.323:                              ;   in Loop: Header=BB295_10 Depth=1
	v_cmp_ne_u16_sdwa s[8:9], v30, s19 src0_sel:BYTE_0 src1_sel:DWORD
	v_bfrev_b32_e32 v47, 1
	s_and_saveexec_b64 s[30:31], s[8:9]
	s_cbranch_execz .LBB295_327
; %bb.324:                              ;   in Loop: Header=BB295_10 Depth=1
	v_and_b32_e32 v6, 0x7f, v30
	v_cmp_ne_u32_e64 s[8:9], s37, v6
	v_mov_b32_e32 v47, 0x7fc02000
	s_and_saveexec_b64 s[34:35], s[8:9]
	s_cbranch_execz .LBB295_326
; %bb.325:                              ;   in Loop: Header=BB295_10 Depth=1
	v_and_b32_e32 v7, 7, v30
	v_ffbh_u32_e32 v19, v7
	v_min_u32_e32 v19, 32, v19
	v_lshrrev_b32_e32 v18, 3, v6
	v_subrev_u32_e32 v26, 28, v19
	v_sub_u32_e32 v19, 29, v19
	v_cmp_gt_u32_e64 s[8:9], 8, v6
	v_lshlrev_b64 v[26:27], v26, v[30:31]
	v_cndmask_b32_e64 v6, v18, v19, s[8:9]
	v_mov_b32_e32 v2, 0x2000
	v_and_b32_e32 v26, 7, v26
	v_lshlrev_b32_e32 v18, 8, v30
	v_lshl_add_u32 v6, v6, 10, v2
	v_cndmask_b32_e64 v7, v7, v26, s[8:9]
	v_and_or_b32 v6, v18, s38, v6
	v_lshl_or_b32 v6, v7, 7, v6
	v_cvt_f32_f16_e32 v47, v6
.LBB295_326:                            ;   in Loop: Header=BB295_10 Depth=1
	s_or_b64 exec, exec, s[34:35]
.LBB295_327:                            ;   in Loop: Header=BB295_10 Depth=1
	s_or_b64 exec, exec, s[30:31]
.LBB295_328:                            ;   in Loop: Header=BB295_10 Depth=1
	s_or_b64 exec, exec, s[28:29]
	v_lshrrev_b16_e32 v30, 8, v30
	v_cmp_ne_u16_e64 s[8:9], 0, v30
	s_and_saveexec_b64 s[28:29], s[8:9]
	s_cbranch_execz .LBB295_334
; %bb.329:                              ;   in Loop: Header=BB295_10 Depth=1
	v_cmp_ne_u16_e64 s[8:9], s19, v30
	v_bfrev_b32_e32 v46, 1
	s_and_saveexec_b64 s[30:31], s[8:9]
	s_cbranch_execz .LBB295_333
; %bb.330:                              ;   in Loop: Header=BB295_10 Depth=1
	v_and_b32_e32 v6, 0x7f, v30
	v_cmp_ne_u32_e64 s[8:9], s37, v6
	v_mov_b32_e32 v46, 0x7fc02000
	s_and_saveexec_b64 s[34:35], s[8:9]
	s_cbranch_execz .LBB295_332
; %bb.331:                              ;   in Loop: Header=BB295_10 Depth=1
	v_and_b32_e32 v7, 7, v30
	v_ffbh_u32_e32 v19, v7
	v_min_u32_e32 v19, 32, v19
	v_lshrrev_b32_e32 v18, 3, v6
	v_subrev_u32_e32 v26, 28, v19
	v_sub_u32_e32 v19, 29, v19
	v_cmp_gt_u32_e64 s[8:9], 8, v6
	v_lshlrev_b64 v[26:27], v26, v[30:31]
	v_cndmask_b32_e64 v6, v18, v19, s[8:9]
	v_mov_b32_e32 v2, 0x2000
	v_and_b32_e32 v26, 7, v26
	v_lshlrev_b32_e32 v18, 8, v30
	v_lshl_add_u32 v6, v6, 10, v2
	v_cndmask_b32_e64 v7, v7, v26, s[8:9]
	v_and_or_b32 v6, v18, s38, v6
	v_lshl_or_b32 v6, v7, 7, v6
	v_cvt_f32_f16_e32 v46, v6
.LBB295_332:                            ;   in Loop: Header=BB295_10 Depth=1
	s_or_b64 exec, exec, s[34:35]
.LBB295_333:                            ;   in Loop: Header=BB295_10 Depth=1
	s_or_b64 exec, exec, s[30:31]
.LBB295_334:                            ;   in Loop: Header=BB295_10 Depth=1
	s_or_b64 exec, exec, s[28:29]
	flat_load_ushort v6, v[28:29] offset:3336
	v_mov_b32_e32 v56, 0
	v_mov_b32_e32 v57, 0
	s_waitcnt vmcnt(0) lgkmcnt(0)
	v_and_b32_e32 v30, 0xffff, v6
	v_cmp_ne_u16_sdwa s[8:9], v6, v23 src0_sel:BYTE_0 src1_sel:DWORD
	s_and_saveexec_b64 s[28:29], s[8:9]
	s_cbranch_execz .LBB295_340
; %bb.335:                              ;   in Loop: Header=BB295_10 Depth=1
	v_cmp_ne_u16_sdwa s[8:9], v30, s19 src0_sel:BYTE_0 src1_sel:DWORD
	v_bfrev_b32_e32 v57, 1
	s_and_saveexec_b64 s[30:31], s[8:9]
	s_cbranch_execz .LBB295_339
; %bb.336:                              ;   in Loop: Header=BB295_10 Depth=1
	v_and_b32_e32 v6, 0x7f, v30
	v_cmp_ne_u32_e64 s[8:9], s37, v6
	v_mov_b32_e32 v57, 0x7fc02000
	s_and_saveexec_b64 s[34:35], s[8:9]
	s_cbranch_execz .LBB295_338
; %bb.337:                              ;   in Loop: Header=BB295_10 Depth=1
	v_and_b32_e32 v7, 7, v30
	v_ffbh_u32_e32 v19, v7
	v_min_u32_e32 v19, 32, v19
	v_lshrrev_b32_e32 v18, 3, v6
	v_subrev_u32_e32 v26, 28, v19
	v_sub_u32_e32 v19, 29, v19
	v_cmp_gt_u32_e64 s[8:9], 8, v6
	v_lshlrev_b64 v[26:27], v26, v[30:31]
	v_cndmask_b32_e64 v6, v18, v19, s[8:9]
	v_mov_b32_e32 v2, 0x2000
	v_and_b32_e32 v26, 7, v26
	v_lshlrev_b32_e32 v18, 8, v30
	v_lshl_add_u32 v6, v6, 10, v2
	v_cndmask_b32_e64 v7, v7, v26, s[8:9]
	v_and_or_b32 v6, v18, s38, v6
	v_lshl_or_b32 v6, v7, 7, v6
	v_cvt_f32_f16_e32 v57, v6
.LBB295_338:                            ;   in Loop: Header=BB295_10 Depth=1
	s_or_b64 exec, exec, s[34:35]
.LBB295_339:                            ;   in Loop: Header=BB295_10 Depth=1
	s_or_b64 exec, exec, s[30:31]
.LBB295_340:                            ;   in Loop: Header=BB295_10 Depth=1
	s_or_b64 exec, exec, s[28:29]
	v_lshrrev_b16_e32 v30, 8, v30
	v_cmp_ne_u16_e64 s[8:9], 0, v30
	s_and_saveexec_b64 s[28:29], s[8:9]
	s_cbranch_execz .LBB295_346
; %bb.341:                              ;   in Loop: Header=BB295_10 Depth=1
	v_cmp_ne_u16_e64 s[8:9], s19, v30
	v_bfrev_b32_e32 v56, 1
	s_and_saveexec_b64 s[30:31], s[8:9]
	s_cbranch_execz .LBB295_345
; %bb.342:                              ;   in Loop: Header=BB295_10 Depth=1
	v_and_b32_e32 v6, 0x7f, v30
	v_cmp_ne_u32_e64 s[8:9], s37, v6
	v_mov_b32_e32 v56, 0x7fc02000
	s_and_saveexec_b64 s[34:35], s[8:9]
	s_cbranch_execz .LBB295_344
; %bb.343:                              ;   in Loop: Header=BB295_10 Depth=1
	v_and_b32_e32 v7, 7, v30
	v_ffbh_u32_e32 v19, v7
	v_min_u32_e32 v19, 32, v19
	v_lshrrev_b32_e32 v18, 3, v6
	v_subrev_u32_e32 v26, 28, v19
	v_sub_u32_e32 v19, 29, v19
	v_cmp_gt_u32_e64 s[8:9], 8, v6
	v_lshlrev_b64 v[26:27], v26, v[30:31]
	v_cndmask_b32_e64 v6, v18, v19, s[8:9]
	v_mov_b32_e32 v2, 0x2000
	v_and_b32_e32 v26, 7, v26
	v_lshlrev_b32_e32 v18, 8, v30
	v_lshl_add_u32 v6, v6, 10, v2
	v_cndmask_b32_e64 v7, v7, v26, s[8:9]
	v_and_or_b32 v6, v18, s38, v6
	v_lshl_or_b32 v6, v7, 7, v6
	v_cvt_f32_f16_e32 v56, v6
.LBB295_344:                            ;   in Loop: Header=BB295_10 Depth=1
	s_or_b64 exec, exec, s[34:35]
.LBB295_345:                            ;   in Loop: Header=BB295_10 Depth=1
	s_or_b64 exec, exec, s[30:31]
.LBB295_346:                            ;   in Loop: Header=BB295_10 Depth=1
	s_or_b64 exec, exec, s[28:29]
	flat_load_ushort v6, v[28:29] offset:3584
	v_mov_b32_e32 v27, 0
	v_mov_b32_e32 v26, 0
	s_waitcnt vmcnt(0) lgkmcnt(0)
	v_and_b32_e32 v30, 0xffff, v6
	v_cmp_ne_u16_sdwa s[8:9], v6, v23 src0_sel:BYTE_0 src1_sel:DWORD
	s_and_saveexec_b64 s[28:29], s[8:9]
	s_cbranch_execz .LBB295_352
; %bb.347:                              ;   in Loop: Header=BB295_10 Depth=1
	v_cmp_ne_u16_sdwa s[8:9], v30, s19 src0_sel:BYTE_0 src1_sel:DWORD
	v_bfrev_b32_e32 v26, 1
	s_and_saveexec_b64 s[30:31], s[8:9]
	s_cbranch_execz .LBB295_351
; %bb.348:                              ;   in Loop: Header=BB295_10 Depth=1
	v_and_b32_e32 v6, 0x7f, v30
	v_cmp_ne_u32_e64 s[8:9], s37, v6
	v_mov_b32_e32 v26, 0x7fc02000
	s_and_saveexec_b64 s[34:35], s[8:9]
	s_cbranch_execz .LBB295_350
; %bb.349:                              ;   in Loop: Header=BB295_10 Depth=1
	v_and_b32_e32 v7, 7, v30
	v_ffbh_u32_e32 v19, v7
	v_min_u32_e32 v19, 32, v19
	v_lshrrev_b32_e32 v18, 3, v6
	v_subrev_u32_e32 v26, 28, v19
	v_sub_u32_e32 v19, 29, v19
	v_cmp_gt_u32_e64 s[8:9], 8, v6
	v_lshlrev_b64 v[58:59], v26, v[30:31]
	v_cndmask_b32_e64 v6, v18, v19, s[8:9]
	v_mov_b32_e32 v2, 0x2000
	v_and_b32_e32 v26, 7, v58
	v_lshlrev_b32_e32 v18, 8, v30
	v_lshl_add_u32 v6, v6, 10, v2
	v_cndmask_b32_e64 v7, v7, v26, s[8:9]
	v_and_or_b32 v6, v18, s38, v6
	v_lshl_or_b32 v6, v7, 7, v6
	v_cvt_f32_f16_e32 v26, v6
.LBB295_350:                            ;   in Loop: Header=BB295_10 Depth=1
	s_or_b64 exec, exec, s[34:35]
.LBB295_351:                            ;   in Loop: Header=BB295_10 Depth=1
	s_or_b64 exec, exec, s[30:31]
.LBB295_352:                            ;   in Loop: Header=BB295_10 Depth=1
	s_or_b64 exec, exec, s[28:29]
	v_lshrrev_b16_e32 v30, 8, v30
	v_cmp_ne_u16_e64 s[8:9], 0, v30
	s_and_saveexec_b64 s[28:29], s[8:9]
	s_cbranch_execz .LBB295_358
; %bb.353:                              ;   in Loop: Header=BB295_10 Depth=1
	v_cmp_ne_u16_e64 s[8:9], s19, v30
	v_bfrev_b32_e32 v27, 1
	s_and_saveexec_b64 s[30:31], s[8:9]
	s_cbranch_execz .LBB295_357
; %bb.354:                              ;   in Loop: Header=BB295_10 Depth=1
	v_and_b32_e32 v6, 0x7f, v30
	v_cmp_ne_u32_e64 s[8:9], s37, v6
	v_mov_b32_e32 v27, 0x7fc02000
	s_and_saveexec_b64 s[34:35], s[8:9]
	s_cbranch_execz .LBB295_356
; %bb.355:                              ;   in Loop: Header=BB295_10 Depth=1
	v_and_b32_e32 v7, 7, v30
	v_ffbh_u32_e32 v19, v7
	v_min_u32_e32 v19, 32, v19
	v_lshrrev_b32_e32 v18, 3, v6
	v_subrev_u32_e32 v27, 28, v19
	v_sub_u32_e32 v19, 29, v19
	v_cmp_gt_u32_e64 s[8:9], 8, v6
	v_lshlrev_b64 v[58:59], v27, v[30:31]
	v_cndmask_b32_e64 v6, v18, v19, s[8:9]
	v_mov_b32_e32 v2, 0x2000
	v_and_b32_e32 v27, 7, v58
	v_lshlrev_b32_e32 v18, 8, v30
	v_lshl_add_u32 v6, v6, 10, v2
	v_cndmask_b32_e64 v7, v7, v27, s[8:9]
	v_and_or_b32 v6, v18, s38, v6
	v_lshl_or_b32 v6, v7, 7, v6
	v_cvt_f32_f16_e32 v27, v6
.LBB295_356:                            ;   in Loop: Header=BB295_10 Depth=1
	s_or_b64 exec, exec, s[34:35]
.LBB295_357:                            ;   in Loop: Header=BB295_10 Depth=1
	s_or_b64 exec, exec, s[30:31]
.LBB295_358:                            ;   in Loop: Header=BB295_10 Depth=1
	s_or_b64 exec, exec, s[28:29]
	flat_load_ushort v6, v[28:29] offset:3592
	v_mov_b32_e32 v58, 0
	s_waitcnt vmcnt(0) lgkmcnt(0)
	v_and_b32_e32 v30, 0xffff, v6
	v_cmp_ne_u16_sdwa s[8:9], v6, v23 src0_sel:BYTE_0 src1_sel:DWORD
	v_mov_b32_e32 v6, 0
	s_and_saveexec_b64 s[28:29], s[8:9]
	s_cbranch_execz .LBB295_364
; %bb.359:                              ;   in Loop: Header=BB295_10 Depth=1
	v_cmp_ne_u16_sdwa s[8:9], v30, s19 src0_sel:BYTE_0 src1_sel:DWORD
	v_bfrev_b32_e32 v6, 1
	s_and_saveexec_b64 s[30:31], s[8:9]
	s_cbranch_execz .LBB295_363
; %bb.360:                              ;   in Loop: Header=BB295_10 Depth=1
	v_and_b32_e32 v7, 0x7f, v30
	v_cmp_ne_u32_e64 s[8:9], s37, v7
	v_mov_b32_e32 v6, 0x7fc02000
	s_and_saveexec_b64 s[34:35], s[8:9]
	s_cbranch_execz .LBB295_362
; %bb.361:                              ;   in Loop: Header=BB295_10 Depth=1
	v_and_b32_e32 v6, 7, v30
	v_ffbh_u32_e32 v19, v6
	v_min_u32_e32 v19, 32, v19
	v_subrev_u32_e32 v59, 28, v19
	v_lshrrev_b32_e32 v18, 3, v7
	v_mov_b32_e32 v2, v61
	v_lshlrev_b64 v[60:61], v59, v[30:31]
	v_sub_u32_e32 v19, 29, v19
	v_cmp_gt_u32_e64 s[8:9], 8, v7
	v_mov_b32_e32 v61, v2
	v_cndmask_b32_e64 v7, v18, v19, s[8:9]
	v_mov_b32_e32 v2, 0x2000
	v_and_b32_e32 v59, 7, v60
	v_lshlrev_b32_e32 v18, 8, v30
	v_lshl_add_u32 v7, v7, 10, v2
	v_cndmask_b32_e64 v6, v6, v59, s[8:9]
	v_and_or_b32 v7, v18, s38, v7
	v_lshl_or_b32 v6, v6, 7, v7
	v_cvt_f32_f16_e32 v6, v6
.LBB295_362:                            ;   in Loop: Header=BB295_10 Depth=1
	s_or_b64 exec, exec, s[34:35]
.LBB295_363:                            ;   in Loop: Header=BB295_10 Depth=1
	s_or_b64 exec, exec, s[30:31]
.LBB295_364:                            ;   in Loop: Header=BB295_10 Depth=1
	s_or_b64 exec, exec, s[28:29]
	v_lshrrev_b16_e32 v30, 8, v30
	v_cmp_ne_u16_e64 s[8:9], 0, v30
	s_and_saveexec_b64 s[28:29], s[8:9]
	s_cbranch_execz .LBB295_370
; %bb.365:                              ;   in Loop: Header=BB295_10 Depth=1
	v_cmp_ne_u16_e64 s[8:9], s19, v30
	v_bfrev_b32_e32 v58, 1
	s_and_saveexec_b64 s[30:31], s[8:9]
	s_cbranch_execz .LBB295_369
; %bb.366:                              ;   in Loop: Header=BB295_10 Depth=1
	v_and_b32_e32 v7, 0x7f, v30
	v_cmp_ne_u32_e64 s[8:9], s37, v7
	v_mov_b32_e32 v58, 0x7fc02000
	s_and_saveexec_b64 s[34:35], s[8:9]
	s_cbranch_execz .LBB295_368
; %bb.367:                              ;   in Loop: Header=BB295_10 Depth=1
	v_and_b32_e32 v18, 7, v30
	v_ffbh_u32_e32 v58, v18
	v_min_u32_e32 v60, 32, v58
	v_subrev_u32_e32 v58, 28, v60
	v_lshlrev_b64 v[58:59], v58, v[30:31]
	v_lshrrev_b32_e32 v19, 3, v7
	v_sub_u32_e32 v59, 29, v60
	v_cmp_gt_u32_e64 s[8:9], 8, v7
	v_cndmask_b32_e64 v7, v19, v59, s[8:9]
	v_mov_b32_e32 v2, 0x2000
	v_and_b32_e32 v58, 7, v58
	v_lshlrev_b32_e32 v19, 8, v30
	v_lshl_add_u32 v7, v7, 10, v2
	v_cndmask_b32_e64 v18, v18, v58, s[8:9]
	v_and_or_b32 v7, v19, s38, v7
	v_lshl_or_b32 v7, v18, 7, v7
	v_cvt_f32_f16_e32 v58, v7
.LBB295_368:                            ;   in Loop: Header=BB295_10 Depth=1
	s_or_b64 exec, exec, s[34:35]
.LBB295_369:                            ;   in Loop: Header=BB295_10 Depth=1
	s_or_b64 exec, exec, s[30:31]
.LBB295_370:                            ;   in Loop: Header=BB295_10 Depth=1
	s_or_b64 exec, exec, s[28:29]
	flat_load_ushort v7, v[28:29] offset:3840
	v_mov_b32_e32 v59, 0
	v_mov_b32_e32 v60, 0
	s_waitcnt vmcnt(0) lgkmcnt(0)
	v_and_b32_e32 v30, 0xffff, v7
	v_cmp_ne_u16_sdwa s[8:9], v7, v23 src0_sel:BYTE_0 src1_sel:DWORD
	s_mov_b64 s[28:29], exec
	s_and_b64 s[8:9], s[28:29], s[8:9]
	v_accvgpr_write_b32 a38, v32
	s_mov_b64 exec, s[8:9]
	s_cbranch_execz .LBB295_376
; %bb.371:                              ;   in Loop: Header=BB295_10 Depth=1
	v_cmp_ne_u16_sdwa s[8:9], v30, s19 src0_sel:BYTE_0 src1_sel:DWORD
	v_bfrev_b32_e32 v60, 1
	s_and_saveexec_b64 s[30:31], s[8:9]
	s_cbranch_execz .LBB295_375
; %bb.372:                              ;   in Loop: Header=BB295_10 Depth=1
	v_and_b32_e32 v7, 0x7f, v30
	v_cmp_ne_u32_e64 s[8:9], s37, v7
	v_mov_b32_e32 v60, 0x7fc02000
	s_and_saveexec_b64 s[34:35], s[8:9]
	s_cbranch_execz .LBB295_374
; %bb.373:                              ;   in Loop: Header=BB295_10 Depth=1
	v_and_b32_e32 v18, 7, v30
	v_ffbh_u32_e32 v60, v18
	v_min_u32_e32 v32, 32, v60
	v_subrev_u32_e32 v60, 28, v32
	v_lshrrev_b32_e32 v19, 3, v7
	v_mov_b32_e32 v2, v61
	v_lshlrev_b64 v[60:61], v60, v[30:31]
	v_sub_u32_e32 v32, 29, v32
	v_cmp_gt_u32_e64 s[8:9], 8, v7
	v_mov_b32_e32 v61, v2
	v_cndmask_b32_e64 v7, v19, v32, s[8:9]
	v_mov_b32_e32 v2, 0x2000
	v_and_b32_e32 v60, 7, v60
	v_lshlrev_b32_e32 v19, 8, v30
	v_lshl_add_u32 v7, v7, 10, v2
	v_cndmask_b32_e64 v18, v18, v60, s[8:9]
	v_and_or_b32 v7, v19, s38, v7
	v_lshl_or_b32 v7, v18, 7, v7
	v_cvt_f32_f16_e32 v60, v7
.LBB295_374:                            ;   in Loop: Header=BB295_10 Depth=1
	s_or_b64 exec, exec, s[34:35]
.LBB295_375:                            ;   in Loop: Header=BB295_10 Depth=1
	s_or_b64 exec, exec, s[30:31]
.LBB295_376:                            ;   in Loop: Header=BB295_10 Depth=1
	s_or_b64 exec, exec, s[28:29]
	v_lshrrev_b16_e32 v30, 8, v30
	v_cmp_ne_u16_e64 s[8:9], 0, v30
	s_and_saveexec_b64 s[28:29], s[8:9]
	s_cbranch_execz .LBB295_382
; %bb.377:                              ;   in Loop: Header=BB295_10 Depth=1
	v_cmp_ne_u16_e64 s[8:9], s19, v30
	v_bfrev_b32_e32 v59, 1
	s_and_saveexec_b64 s[30:31], s[8:9]
	s_cbranch_execz .LBB295_381
; %bb.378:                              ;   in Loop: Header=BB295_10 Depth=1
	v_and_b32_e32 v7, 0x7f, v30
	v_cmp_ne_u32_e64 s[8:9], s37, v7
	v_mov_b32_e32 v59, 0x7fc02000
	s_and_saveexec_b64 s[34:35], s[8:9]
	s_cbranch_execz .LBB295_380
; %bb.379:                              ;   in Loop: Header=BB295_10 Depth=1
	v_and_b32_e32 v32, 7, v30
	v_ffbh_u32_e32 v18, v32
	v_mov_b32_e32 v2, v61
	v_min_u32_e32 v61, 32, v18
	v_subrev_u32_e32 v18, 28, v61
	v_lshlrev_b64 v[18:19], v18, v[30:31]
	v_lshrrev_b32_e32 v59, 3, v7
	v_sub_u32_e32 v19, 29, v61
	v_cmp_gt_u32_e64 s[8:9], 8, v7
	v_mov_b32_e32 v61, v2
	v_cndmask_b32_e64 v7, v59, v19, s[8:9]
	v_mov_b32_e32 v2, 0x2000
	v_and_b32_e32 v18, 7, v18
	v_lshlrev_b32_e32 v19, 8, v30
	v_lshl_add_u32 v7, v7, 10, v2
	v_cndmask_b32_e64 v18, v32, v18, s[8:9]
	v_and_or_b32 v7, v19, s38, v7
	v_lshl_or_b32 v7, v18, 7, v7
	v_cvt_f32_f16_e32 v59, v7
.LBB295_380:                            ;   in Loop: Header=BB295_10 Depth=1
	s_or_b64 exec, exec, s[34:35]
.LBB295_381:                            ;   in Loop: Header=BB295_10 Depth=1
	s_or_b64 exec, exec, s[30:31]
.LBB295_382:                            ;   in Loop: Header=BB295_10 Depth=1
	s_or_b64 exec, exec, s[28:29]
	flat_load_ushort v18, v[28:29] offset:3848
	v_mov_b32_e32 v7, 0
	v_mov_b32_e32 v29, 0
	s_waitcnt vmcnt(0) lgkmcnt(0)
	v_and_b32_e32 v28, 0xffff, v18
	v_cmp_ne_u16_sdwa s[8:9], v18, v23 src0_sel:BYTE_0 src1_sel:DWORD
	s_and_saveexec_b64 s[28:29], s[8:9]
	s_cbranch_execz .LBB295_388
; %bb.383:                              ;   in Loop: Header=BB295_10 Depth=1
	v_cmp_ne_u16_sdwa s[8:9], v28, s19 src0_sel:BYTE_0 src1_sel:DWORD
	v_bfrev_b32_e32 v29, 1
	s_and_saveexec_b64 s[30:31], s[8:9]
	s_cbranch_execz .LBB295_387
; %bb.384:                              ;   in Loop: Header=BB295_10 Depth=1
	v_and_b32_e32 v30, 0x7f, v28
	v_cmp_ne_u32_e64 s[8:9], s37, v30
	v_mov_b32_e32 v29, 0x7fc02000
	s_and_saveexec_b64 s[34:35], s[8:9]
	s_cbranch_execz .LBB295_386
; %bb.385:                              ;   in Loop: Header=BB295_10 Depth=1
	v_and_b32_e32 v29, 7, v28
	v_ffbh_u32_e32 v18, v29
	v_mov_b32_e32 v2, v61
	v_min_u32_e32 v61, 32, v18
	v_subrev_u32_e32 v18, 28, v61
	v_lshlrev_b64 v[18:19], v18, v[28:29]
	v_lshrrev_b32_e32 v32, 3, v30
	v_sub_u32_e32 v19, 29, v61
	v_cmp_gt_u32_e64 s[8:9], 8, v30
	v_mov_b32_e32 v61, v2
	v_and_b32_e32 v18, 7, v18
	v_cndmask_b32_e64 v19, v32, v19, s[8:9]
	v_mov_b32_e32 v2, 0x2000
	v_cndmask_b32_e64 v18, v29, v18, s[8:9]
	v_lshlrev_b32_e32 v29, 8, v28
	v_lshl_add_u32 v19, v19, 10, v2
	v_and_or_b32 v19, v29, s38, v19
	v_lshl_or_b32 v18, v18, 7, v19
	v_cvt_f32_f16_e32 v29, v18
.LBB295_386:                            ;   in Loop: Header=BB295_10 Depth=1
	s_or_b64 exec, exec, s[34:35]
.LBB295_387:                            ;   in Loop: Header=BB295_10 Depth=1
	s_or_b64 exec, exec, s[30:31]
.LBB295_388:                            ;   in Loop: Header=BB295_10 Depth=1
	s_or_b64 exec, exec, s[28:29]
	v_lshrrev_b16_e32 v28, 8, v28
	v_accvgpr_write_b32 a40, v4
	v_mov_b32_e32 v8, v36
	v_cmp_ne_u16_e64 s[8:9], 0, v28
	s_and_saveexec_b64 s[28:29], s[8:9]
	s_cbranch_execz .LBB295_394
; %bb.389:                              ;   in Loop: Header=BB295_10 Depth=1
	v_cmp_ne_u16_e64 s[8:9], s19, v28
	v_bfrev_b32_e32 v7, 1
	s_and_saveexec_b64 s[30:31], s[8:9]
	s_cbranch_execz .LBB295_393
; %bb.390:                              ;   in Loop: Header=BB295_10 Depth=1
	v_and_b32_e32 v30, 0x7f, v28
	v_cmp_ne_u32_e64 s[8:9], s37, v30
	v_mov_b32_e32 v7, 0x7fc02000
	s_and_saveexec_b64 s[34:35], s[8:9]
	s_cbranch_execz .LBB295_392
; %bb.391:                              ;   in Loop: Header=BB295_10 Depth=1
	v_and_b32_e32 v7, 7, v28
	v_ffbh_u32_e32 v18, v7
	v_mov_b32_e32 v2, v61
	v_min_u32_e32 v61, 32, v18
	v_subrev_u32_e32 v18, 28, v61
	v_lshlrev_b64 v[18:19], v18, v[28:29]
	v_lshrrev_b32_e32 v32, 3, v30
	v_sub_u32_e32 v19, 29, v61
	v_cmp_gt_u32_e64 s[8:9], 8, v30
	v_mov_b32_e32 v61, v2
	v_and_b32_e32 v18, 7, v18
	v_cndmask_b32_e64 v19, v32, v19, s[8:9]
	v_mov_b32_e32 v2, 0x2000
	v_cndmask_b32_e64 v7, v7, v18, s[8:9]
	v_lshlrev_b32_e32 v18, 8, v28
	v_lshl_add_u32 v19, v19, 10, v2
	v_and_or_b32 v18, v18, s38, v19
	v_lshl_or_b32 v7, v7, 7, v18
	v_cvt_f32_f16_e32 v7, v7
.LBB295_392:                            ;   in Loop: Header=BB295_10 Depth=1
	s_or_b64 exec, exec, s[34:35]
.LBB295_393:                            ;   in Loop: Header=BB295_10 Depth=1
	s_or_b64 exec, exec, s[30:31]
.LBB295_394:                            ;   in Loop: Header=BB295_10 Depth=1
	s_or_b64 exec, exec, s[28:29]
	buffer_load_dword v2, off, s[0:3], s32 offset:96 ; 4-byte Folded Reload
	ds_read_b32 v30, v48
	v_fma_mixlo_f16 v28, v54, v61, 0
	v_and_b32_e32 v28, 0xffff, v28
	v_fma_mixlo_f16 v18, v54, v10, 0
	v_and_b32_e32 v18, 0xffff, v18
	s_waitcnt lgkmcnt(0)
	v_lshrrev_b32_e32 v32, 16, v30
	v_and_b32_e32 v30, 0xffff, v30
	;;#ASMSTART
	v_cvt_f32_f16 v30, v30;
	;;#ASMEND
	;;#ASMSTART
	v_cvt_f32_f16 v32, v32;
	;;#ASMEND
	v_fma_mixlo_f16 v52, v54, v52, 0
	v_and_b32_e32 v52, 0xffff, v52
	v_fma_mixlo_f16 v62, v54, v62, 0
	v_fma_mixlo_f16 v4, v54, v14, 0
	v_and_b32_e32 v4, 0xffff, v4
	v_fma_mixlo_f16 v5, v54, v5, 0
	;; [unrolled: 3-line block ×3, first 2 shown]
	v_and_b32_e32 v1, 0xffff, v1
	v_fma_mixlo_f16 v0, v54, v0, 0
	v_and_b32_e32 v0, 0xffff, v0
	v_fma_mixlo_f16 v15, v54, v15, 0
	;; [unrolled: 2-line block ×3, first 2 shown]
	v_fma_mixlo_f16 v25, v54, v25, 0
	v_fma_mixlo_f16 v24, v54, v24, 0
	;; [unrolled: 1-line block ×8, first 2 shown]
	v_and_b32_e32 v6, 0xffff, v6
	v_fma_mixlo_f16 v60, v54, v60, 0
	v_fma_mixlo_f16 v59, v54, v59, 0
	s_waitcnt vmcnt(0)
	v_fma_mixlo_f16 v19, v54, v2, 0
	v_and_b32_e32 v19, 0xffff, v19
	;;#ASMSTART
	v_cvt_f32_f16 v19, v19;
	;;#ASMEND
	;;#ASMSTART
	v_cvt_f32_f16 v61, v28;
	;;#ASMEND
	ds_read_b32 v28, v48 offset:4
	s_waitcnt lgkmcnt(0)
	v_lshrrev_b32_e32 v36, 16, v28
	v_and_b32_e32 v28, 0xffff, v28
	;;#ASMSTART
	v_cvt_f32_f16 v28, v28;
	;;#ASMEND
	;;#ASMSTART
	v_cvt_f32_f16 v36, v36;
	;;#ASMEND
	;; [unrolled: 3-line block ×3, first 2 shown]
	buffer_load_dword v2, off, s[0:3], s32 offset:100 ; 4-byte Folded Reload
	v_mul_f32_e32 v28, v28, v18
	v_fmac_f32_e32 v28, v30, v19
	s_waitcnt vmcnt(0)
	v_fma_mixlo_f16 v18, v54, v2, 0
	v_and_b32_e32 v18, 0xffff, v18
	;;#ASMSTART
	v_cvt_f32_f16 v18, v18;
	;;#ASMEND
	buffer_load_dword v2, off, s[0:3], s32 offset:104 ; 4-byte Folded Reload
	ds_read_b32 v19, v48 offset:8
	v_mul_f32_e32 v30, v36, v18
	v_fmac_f32_e32 v30, v32, v61
	v_fma_mixlo_f16 v36, v54, v51, 0
	v_fma_mixlo_f16 v61, v54, v31, 0
	s_waitcnt lgkmcnt(0)
	v_lshrrev_b32_e32 v32, 16, v19
	v_and_b32_e32 v19, 0xffff, v19
	;;#ASMSTART
	v_cvt_f32_f16 v19, v19;
	;;#ASMEND
	;;#ASMSTART
	v_cvt_f32_f16 v32, v32;
	;;#ASMEND
	s_waitcnt vmcnt(0)
	v_fma_mixlo_f16 v18, v54, v2, 0
	v_and_b32_e32 v18, 0xffff, v18
	;;#ASMSTART
	v_cvt_f32_f16 v18, v18;
	;;#ASMEND
	v_fmac_f32_e32 v28, v19, v18
	v_fma_mixlo_f16 v18, v54, v17, 0
	v_and_b32_e32 v18, 0xffff, v18
	;;#ASMSTART
	v_cvt_f32_f16 v18, v18;
	;;#ASMEND
	buffer_load_dword v2, off, s[0:3], s32 offset:108 ; 4-byte Folded Reload
	ds_read_b32 v19, v48 offset:12
	v_fmac_f32_e32 v30, v32, v18
	v_fma_mixlo_f16 v17, v54, v33, 0
	v_and_b32_e32 v17, 0xffff, v17
	v_fma_mixlo_f16 v33, v54, v22, 0
	s_waitcnt lgkmcnt(0)
	v_lshrrev_b32_e32 v32, 16, v19
	v_and_b32_e32 v19, 0xffff, v19
	;;#ASMSTART
	v_cvt_f32_f16 v19, v19;
	;;#ASMEND
	;;#ASMSTART
	v_cvt_f32_f16 v32, v32;
	;;#ASMEND
	s_waitcnt vmcnt(0)
	v_fma_mixlo_f16 v18, v54, v2, 0
	v_and_b32_e32 v18, 0xffff, v18
	;;#ASMSTART
	v_cvt_f32_f16 v18, v18;
	;;#ASMEND
	v_fmac_f32_e32 v28, v19, v18
	v_fma_mixlo_f16 v18, v54, v34, 0
	v_and_b32_e32 v18, 0xffff, v18
	;;#ASMSTART
	v_cvt_f32_f16 v18, v18;
	;;#ASMEND
	ds_read_b32 v19, v48 offset:16
	v_fmac_f32_e32 v30, v32, v18
	v_fma_mixlo_f16 v18, v54, v37, 0
	v_and_b32_e32 v18, 0xffff, v18
	v_accvgpr_read_b32 v2, a38
	s_waitcnt lgkmcnt(0)
	v_lshrrev_b32_e32 v32, 16, v19
	v_and_b32_e32 v19, 0xffff, v19
	;;#ASMSTART
	v_cvt_f32_f16 v19, v19;
	;;#ASMEND
	;;#ASMSTART
	v_cvt_f32_f16 v32, v32;
	;;#ASMEND
	;; [unrolled: 3-line block ×3, first 2 shown]
	v_fmac_f32_e32 v28, v19, v18
	v_fma_mixlo_f16 v18, v54, v35, 0
	v_and_b32_e32 v18, 0xffff, v18
	;;#ASMSTART
	v_cvt_f32_f16 v18, v18;
	;;#ASMEND
	v_fmac_f32_e32 v30, v32, v18
	ds_read_b32 v18, v48 offset:20
	v_fma_mixlo_f16 v19, v54, v49, 0
	v_and_b32_e32 v19, 0xffff, v19
	s_waitcnt lgkmcnt(0)
	v_lshrrev_b32_e32 v32, 16, v18
	v_and_b32_e32 v18, 0xffff, v18
	;;#ASMSTART
	v_cvt_f32_f16 v18, v18;
	;;#ASMEND
	;;#ASMSTART
	v_cvt_f32_f16 v32, v32;
	;;#ASMEND
	;; [unrolled: 3-line block ×3, first 2 shown]
	v_fmac_f32_e32 v28, v18, v19
	v_fma_mixlo_f16 v18, v54, v38, 0
	v_and_b32_e32 v18, 0xffff, v18
	;;#ASMSTART
	v_cvt_f32_f16 v18, v18;
	;;#ASMEND
	ds_read_b32 v19, v48 offset:24
	v_fmac_f32_e32 v30, v32, v18
	v_and_b32_e32 v32, 0xffff, v36
	v_and_b32_e32 v36, 0xffff, v61
	s_waitcnt lgkmcnt(0)
	v_lshrrev_b32_e32 v18, 16, v19
	v_and_b32_e32 v19, 0xffff, v19
	;;#ASMSTART
	v_cvt_f32_f16 v19, v19;
	;;#ASMEND
	;;#ASMSTART
	v_cvt_f32_f16 v18, v18;
	;;#ASMEND
	;; [unrolled: 3-line block ×4, first 2 shown]
	ds_read_b32 v61, v48 offset:28
	v_fmac_f32_e32 v28, v19, v32
	v_fmac_f32_e32 v30, v18, v36
	s_waitcnt lgkmcnt(0)
	v_lshrrev_b32_e32 v19, 16, v61
	v_and_b32_e32 v32, 0xffff, v61
	;;#ASMSTART
	v_cvt_f32_f16 v32, v32;
	;;#ASMEND
	;;#ASMSTART
	v_cvt_f32_f16 v19, v19;
	;;#ASMEND
	;; [unrolled: 3-line block ×4, first 2 shown]
	ds_read_b32 v61, v48 offset:32
	v_fmac_f32_e32 v28, v32, v17
	v_fmac_f32_e32 v30, v19, v52
	s_waitcnt lgkmcnt(0)
	v_lshrrev_b32_e32 v18, 16, v61
	v_and_b32_e32 v36, 0xffff, v61
	v_and_b32_e32 v61, 0xffff, v62
	;;#ASMSTART
	v_cvt_f32_f16 v36, v36;
	;;#ASMEND
	;;#ASMSTART
	v_cvt_f32_f16 v18, v18;
	;;#ASMEND
	;; [unrolled: 3-line block ×4, first 2 shown]
	ds_read_b32 v4, v48 offset:36
	v_fmac_f32_e32 v28, v36, v61
	v_fmac_f32_e32 v30, v18, v62
	s_waitcnt lgkmcnt(0)
	v_lshrrev_b32_e32 v17, 16, v4
	v_and_b32_e32 v4, 0xffff, v4
	;;#ASMSTART
	v_cvt_f32_f16 v32, v4;
	;;#ASMEND
	v_and_b32_e32 v4, 0xffff, v5
	;;#ASMSTART
	v_cvt_f32_f16 v31, v17;
	;;#ASMEND
	;;#ASMSTART
	v_cvt_f32_f16 v10, v4;
	;;#ASMEND
	v_and_b32_e32 v4, 0xffff, v33
	;;#ASMSTART
	v_cvt_f32_f16 v33, v4;
	;;#ASMEND
	ds_read_b32 v4, v48 offset:40
	v_fma_mixlo_f16 v5, v54, v8, 0
	v_fma_mixlo_f16 v17, v54, v58, 0
	v_fma_mixlo_f16 v58, v54, v13, 0
	v_fmac_f32_e32 v28, v32, v10
	s_waitcnt lgkmcnt(0)
	v_lshrrev_b32_e32 v19, 16, v4
	v_and_b32_e32 v4, 0xffff, v4
	;;#ASMSTART
	v_cvt_f32_f16 v52, v4;
	;;#ASMEND
	v_and_b32_e32 v4, 0xffff, v5
	;;#ASMSTART
	v_cvt_f32_f16 v49, v19;
	;;#ASMEND
	;;#ASMSTART
	v_cvt_f32_f16 v34, v4;
	;;#ASMEND
	v_and_b32_e32 v4, 0xffff, v58
	;;#ASMSTART
	v_cvt_f32_f16 v38, v4;
	;;#ASMEND
	ds_read_b32 v5, v48 offset:44
	v_fma_mixlo_f16 v19, v54, v2, 0
	v_fma_mixlo_f16 v4, v54, v26, 0
	v_fma_mixlo_f16 v26, v54, v9, 0
	v_fmac_f32_e32 v30, v31, v33
	s_waitcnt lgkmcnt(0)
	v_lshrrev_b32_e32 v36, 16, v5
	v_and_b32_e32 v5, 0xffff, v5
	;;#ASMSTART
	v_cvt_f32_f16 v2, v5;
	;;#ASMEND
	v_and_b32_e32 v5, 0xffff, v19
	;;#ASMSTART
	v_cvt_f32_f16 v35, v36;
	;;#ASMEND
	;;#ASMSTART
	v_cvt_f32_f16 v14, v5;
	;;#ASMEND
	v_and_b32_e32 v5, 0xffff, v26
	;;#ASMSTART
	v_cvt_f32_f16 v37, v5;
	;;#ASMEND
	ds_read_b32 v19, v48 offset:48
	v_fma_mixlo_f16 v26, v54, v16, 0
	v_fma_mixlo_f16 v5, v54, v27, 0
	v_fma_mixlo_f16 v27, v54, v50, 0
	v_fma_mixlo_f16 v36, v54, v3, 0
	s_waitcnt lgkmcnt(0)
	v_lshrrev_b32_e32 v18, 16, v19
	v_and_b32_e32 v19, 0xffff, v19
	;;#ASMSTART
	v_cvt_f32_f16 v51, v19;
	;;#ASMEND
	;;#ASMSTART
	v_cvt_f32_f16 v58, v18;
	;;#ASMEND
	;; [unrolled: 3-line block ×3, first 2 shown]
	v_and_b32_e32 v11, 0xffff, v26
	;;#ASMSTART
	v_cvt_f32_f16 v62, v11;
	;;#ASMEND
	ds_read_b32 v18, v48 offset:52
	v_fma_mixlo_f16 v19, v54, v21, 0
	v_fma_mixlo_f16 v11, v54, v57, 0
	;; [unrolled: 1-line block ×3, first 2 shown]
	v_fmac_f32_e32 v28, v52, v34
	s_waitcnt lgkmcnt(0)
	v_lshrrev_b32_e32 v10, 16, v18
	v_and_b32_e32 v18, 0xffff, v18
	;;#ASMSTART
	v_cvt_f32_f16 v57, v18;
	;;#ASMEND
	;;#ASMSTART
	v_cvt_f32_f16 v18, v10;
	;;#ASMEND
	v_and_b32_e32 v10, 0xffff, v19
	;;#ASMSTART
	v_cvt_f32_f16 v61, v10;
	;;#ASMEND
	v_and_b32_e32 v10, 0xffff, v26
	;;#ASMSTART
	v_cvt_f32_f16 v32, v10;
	;;#ASMEND
	ds_read_b32 v19, v48 offset:56
	v_accvgpr_read_b32 v8, a39
	v_fma_mixlo_f16 v10, v54, v56, 0
	v_fma_mixlo_f16 v56, v54, v8, 0
	v_fmac_f32_e32 v30, v49, v38
	s_waitcnt lgkmcnt(0)
	v_lshrrev_b32_e32 v26, 16, v19
	v_and_b32_e32 v19, 0xffff, v19
	;;#ASMSTART
	v_cvt_f32_f16 v19, v19;
	;;#ASMEND
	;;#ASMSTART
	v_cvt_f32_f16 v26, v26;
	;;#ASMEND
	;; [unrolled: 3-line block ×3, first 2 shown]
	v_and_b32_e32 v1, 0xffff, v27
	;;#ASMSTART
	v_cvt_f32_f16 v33, v1;
	;;#ASMEND
	ds_read_b32 v27, v48 offset:60
	v_fma_mixlo_f16 v1, v54, v47, 0
	v_fmac_f32_e32 v28, v2, v14
	v_fma_mixlo_f16 v8, v54, v53, 0
	v_accvgpr_read_b32 v9, a40
	s_waitcnt lgkmcnt(0)
	v_lshrrev_b32_e32 v34, 16, v27
	v_and_b32_e32 v3, 0xffff, v27
	;;#ASMSTART
	v_cvt_f32_f16 v3, v3;
	;;#ASMEND
	;;#ASMSTART
	v_cvt_f32_f16 v27, v34;
	;;#ASMEND
	v_and_b32_e32 v34, 0xffff, v36
	;;#ASMSTART
	v_cvt_f32_f16 v34, v34;
	;;#ASMEND
	;;#ASMSTART
	v_cvt_f32_f16 v36, v0;
	;;#ASMEND
	ds_read_b32 v52, v48 offset:64
	v_fma_mixlo_f16 v0, v54, v46, 0
	v_fmac_f32_e32 v30, v35, v37
	v_fmac_f32_e32 v28, v51, v13
	;; [unrolled: 1-line block ×3, first 2 shown]
	s_waitcnt lgkmcnt(0)
	v_lshrrev_b32_e32 v38, 16, v52
	v_and_b32_e32 v49, 0xffff, v52
	;;#ASMSTART
	v_cvt_f32_f16 v49, v49;
	;;#ASMEND
	;;#ASMSTART
	v_cvt_f32_f16 v46, v38;
	;;#ASMEND
	;; [unrolled: 3-line block ×3, first 2 shown]
	v_and_b32_e32 v15, 0xffff, v56
	;;#ASMSTART
	v_cvt_f32_f16 v56, v15;
	;;#ASMEND
	ds_read_b32 v38, v48 offset:68
	v_fma_mixlo_f16 v52, v54, v12, 0
	v_fma_mixlo_f16 v15, v54, v45, 0
	v_fmac_f32_e32 v28, v57, v61
	v_fmac_f32_e32 v30, v18, v32
	s_waitcnt lgkmcnt(0)
	v_lshrrev_b32_e32 v2, 16, v38
	v_and_b32_e32 v12, 0xffff, v38
	;;#ASMSTART
	v_cvt_f32_f16 v12, v12;
	;;#ASMEND
	;;#ASMSTART
	v_cvt_f32_f16 v14, v2;
	;;#ASMEND
	v_and_b32_e32 v2, 0xffff, v52
	;;#ASMSTART
	v_cvt_f32_f16 v45, v2;
	;;#ASMEND
	v_and_b32_e32 v2, 0xffff, v8
	;;#ASMSTART
	v_cvt_f32_f16 v38, v2;
	;;#ASMEND
	buffer_load_dword v8, off, s[0:3], s32 offset:112 ; 4-byte Folded Reload
	ds_read_b32 v2, v48 offset:72
	v_fma_mixlo_f16 v52, v54, v9, 0
	v_fmac_f32_e32 v28, v19, v31
	v_and_b32_e32 v21, 0xffff, v40
	v_fmac_f32_e32 v30, v26, v33
	s_waitcnt lgkmcnt(0)
	v_lshrrev_b32_e32 v35, 16, v2
	v_and_b32_e32 v2, 0xffff, v2
	;;#ASMSTART
	v_cvt_f32_f16 v37, v2;
	;;#ASMEND
	;;#ASMSTART
	v_cvt_f32_f16 v35, v35;
	;;#ASMEND
	v_fmac_f32_e32 v28, v3, v34
	v_fmac_f32_e32 v30, v27, v36
	v_and_b32_e32 v27, 0xffff, v43
	v_fmac_f32_e32 v28, v49, v47
	v_fmac_f32_e32 v30, v46, v56
	;; [unrolled: 1-line block ×4, first 2 shown]
	v_and_b32_e32 v15, 0xffff, v15
	v_and_b32_e32 v1, 0xffff, v1
	;; [unrolled: 1-line block ×7, first 2 shown]
	s_waitcnt vmcnt(0)
	v_fma_mixlo_f16 v8, v54, v8, 0
	v_and_b32_e32 v2, 0xffff, v8
	;;#ASMSTART
	v_cvt_f32_f16 v50, v2;
	;;#ASMEND
	v_and_b32_e32 v2, 0xffff, v52
	;;#ASMSTART
	v_cvt_f32_f16 v52, v2;
	;;#ASMEND
	buffer_load_dword v8, off, s[0:3], s32 offset:120 ; 4-byte Folded Reload
	buffer_load_dword v9, off, s[0:3], s32 offset:116 ; 4-byte Folded Reload
	ds_read_b32 v2, v48 offset:76
	v_fmac_f32_e32 v28, v37, v50
	v_fmac_f32_e32 v30, v35, v52
	s_waitcnt lgkmcnt(0)
	v_lshrrev_b32_e32 v13, 16, v2
	v_and_b32_e32 v2, 0xffff, v2
	;;#ASMSTART
	v_cvt_f32_f16 v51, v2;
	;;#ASMEND
	;;#ASMSTART
	v_cvt_f32_f16 v13, v13;
	;;#ASMEND
	s_waitcnt vmcnt(1)
	v_fma_mixlo_f16 v8, v54, v8, 0
	s_waitcnt vmcnt(0)
	v_fma_mixlo_f16 v53, v54, v9, 0
	v_and_b32_e32 v2, 0xffff, v8
	;;#ASMSTART
	v_cvt_f32_f16 v9, v2;
	;;#ASMEND
	v_and_b32_e32 v2, 0xffff, v53
	;;#ASMSTART
	v_cvt_f32_f16 v53, v2;
	;;#ASMEND
	buffer_load_dword v8, off, s[0:3], s32 offset:124 ; 4-byte Folded Reload
	ds_read_b32 v2, v48 offset:80
	v_fmac_f32_e32 v28, v51, v9
	v_fmac_f32_e32 v30, v13, v53
	s_waitcnt lgkmcnt(0)
	v_lshrrev_b32_e32 v58, 16, v2
	v_and_b32_e32 v2, 0xffff, v2
	;;#ASMSTART
	v_cvt_f32_f16 v62, v2;
	;;#ASMEND
	;;#ASMSTART
	v_cvt_f32_f16 v58, v58;
	;;#ASMEND
	s_waitcnt vmcnt(0)
	v_fma_mixlo_f16 v8, v54, v8, 0
	v_and_b32_e32 v2, 0xffff, v8
	;;#ASMSTART
	v_cvt_f32_f16 v22, v2;
	;;#ASMEND
	v_and_b32_e32 v2, 0xffff, v39
	;;#ASMSTART
	v_cvt_f32_f16 v39, v2;
	;;#ASMEND
	buffer_load_dword v8, off, s[0:3], s32 offset:128 ; 4-byte Folded Reload
	ds_read_b32 v2, v48 offset:84
	v_fmac_f32_e32 v28, v62, v22
	v_fmac_f32_e32 v30, v58, v39
	s_waitcnt lgkmcnt(0)
	v_lshrrev_b32_e32 v57, 16, v2
	v_and_b32_e32 v2, 0xffff, v2
	;;#ASMSTART
	v_cvt_f32_f16 v61, v2;
	;;#ASMEND
	;;#ASMSTART
	v_cvt_f32_f16 v57, v57;
	;;#ASMEND
	s_waitcnt vmcnt(0)
	v_fma_mixlo_f16 v8, v54, v8, 0
	v_and_b32_e32 v2, 0xffff, v8
	;;#ASMSTART
	v_cvt_f32_f16 v16, v2;
	;;#ASMEND
	v_and_b32_e32 v2, 0xffff, v25
	;;#ASMSTART
	v_cvt_f32_f16 v25, v2;
	;;#ASMEND
	ds_read_b32 v2, v48 offset:88
	v_fma_mixlo_f16 v8, v54, v55, 0
	v_fmac_f32_e32 v30, v57, v25
	v_fmac_f32_e32 v28, v61, v16
	s_waitcnt lgkmcnt(0)
	v_lshrrev_b32_e32 v18, 16, v2
	v_and_b32_e32 v2, 0xffff, v2
	;;#ASMSTART
	v_cvt_f32_f16 v32, v2;
	;;#ASMEND
	v_and_b32_e32 v2, 0xffff, v8
	;;#ASMSTART
	v_cvt_f32_f16 v18, v18;
	;;#ASMEND
	;;#ASMSTART
	v_cvt_f32_f16 v55, v2;
	;;#ASMEND
	v_and_b32_e32 v2, 0xffff, v24
	;;#ASMSTART
	v_cvt_f32_f16 v24, v2;
	;;#ASMEND
	ds_read_b32 v20, v48 offset:92
	v_fma_mixlo_f16 v2, v54, v7, 0
	v_fma_mixlo_f16 v8, v54, v29, 0
	v_and_b32_e32 v29, 0xffff, v42
	v_fmac_f32_e32 v30, v18, v24
	s_waitcnt lgkmcnt(0)
	v_lshrrev_b32_e32 v7, 16, v20
	v_and_b32_e32 v19, 0xffff, v20
	v_and_b32_e32 v20, 0xffff, v41
	;;#ASMSTART
	v_cvt_f32_f16 v19, v19;
	;;#ASMEND
	;;#ASMSTART
	v_cvt_f32_f16 v7, v7;
	;;#ASMEND
	;; [unrolled: 3-line block ×4, first 2 shown]
	ds_read_b32 v26, v48 offset:96
	v_fmac_f32_e32 v30, v7, v21
	v_fmac_f32_e32 v28, v32, v55
	;; [unrolled: 1-line block ×3, first 2 shown]
	v_and_b32_e32 v2, 0xffff, v2
	s_waitcnt lgkmcnt(0)
	v_lshrrev_b32_e32 v3, 16, v26
	v_and_b32_e32 v26, 0xffff, v26
	;;#ASMSTART
	v_cvt_f32_f16 v26, v26;
	;;#ASMEND
	;;#ASMSTART
	v_cvt_f32_f16 v3, v3;
	;;#ASMEND
	;; [unrolled: 3-line block ×4, first 2 shown]
	ds_read_b32 v31, v48 offset:100
	v_fmac_f32_e32 v30, v3, v29
	v_fmac_f32_e32 v28, v26, v27
	s_waitcnt lgkmcnt(0)
	v_lshrrev_b32_e32 v12, 16, v31
	v_and_b32_e32 v14, 0xffff, v31
	v_and_b32_e32 v31, 0xffff, v44
	;;#ASMSTART
	v_cvt_f32_f16 v14, v14;
	;;#ASMEND
	;;#ASMSTART
	v_cvt_f32_f16 v12, v12;
	;;#ASMEND
	;; [unrolled: 3-line block ×4, first 2 shown]
	ds_read_b32 v33, v48 offset:104
	v_fmac_f32_e32 v28, v14, v15
	v_fmac_f32_e32 v30, v12, v31
	s_waitcnt lgkmcnt(0)
	v_lshrrev_b32_e32 v9, 16, v33
	v_and_b32_e32 v13, 0xffff, v33
	;;#ASMSTART
	v_cvt_f32_f16 v13, v13;
	;;#ASMEND
	;;#ASMSTART
	v_cvt_f32_f16 v9, v9;
	;;#ASMEND
	;; [unrolled: 3-line block ×4, first 2 shown]
	ds_read_b32 v22, v48 offset:108
	v_fmac_f32_e32 v28, v13, v1
	v_fmac_f32_e32 v30, v9, v0
	v_and_b32_e32 v9, 0xffff, v17
	s_waitcnt lgkmcnt(0)
	v_lshrrev_b32_e32 v16, 16, v22
	v_and_b32_e32 v18, 0xffff, v22
	;;#ASMSTART
	v_cvt_f32_f16 v18, v18;
	;;#ASMEND
	;;#ASMSTART
	v_cvt_f32_f16 v16, v16;
	;;#ASMEND
	;; [unrolled: 3-line block ×4, first 2 shown]
	ds_read_b32 v22, v48 offset:112
	v_fmac_f32_e32 v28, v18, v11
	v_fmac_f32_e32 v30, v16, v10
	s_waitcnt lgkmcnt(0)
	v_lshrrev_b32_e32 v3, 16, v22
	v_and_b32_e32 v7, 0xffff, v22
	;;#ASMSTART
	v_cvt_f32_f16 v7, v7;
	;;#ASMEND
	;;#ASMSTART
	v_cvt_f32_f16 v3, v3;
	;;#ASMEND
	;; [unrolled: 3-line block ×4, first 2 shown]
	ds_read_b32 v19, v48 offset:116
	v_fmac_f32_e32 v28, v7, v4
	v_fmac_f32_e32 v30, v3, v5
	v_and_b32_e32 v5, 0xffff, v60
	v_and_b32_e32 v7, 0xffff, v59
	s_waitcnt lgkmcnt(0)
	v_lshrrev_b32_e32 v0, 16, v19
	v_and_b32_e32 v1, 0xffff, v19
	;;#ASMSTART
	v_cvt_f32_f16 v1, v1;
	;;#ASMEND
	;;#ASMSTART
	v_cvt_f32_f16 v0, v0;
	;;#ASMEND
	;; [unrolled: 3-line block ×4, first 2 shown]
	ds_read_b32 v12, v48 offset:120
	v_fmac_f32_e32 v30, v0, v9
	v_fmac_f32_e32 v28, v1, v6
	s_waitcnt lgkmcnt(0)
	v_lshrrev_b32_e32 v3, 16, v12
	v_and_b32_e32 v4, 0xffff, v12
	;;#ASMSTART
	v_cvt_f32_f16 v4, v4;
	;;#ASMEND
	;;#ASMSTART
	v_cvt_f32_f16 v3, v3;
	;;#ASMEND
	;;#ASMSTART
	v_cvt_f32_f16 v5, v5;
	;;#ASMEND
	;;#ASMSTART
	v_cvt_f32_f16 v7, v7;
	;;#ASMEND
	ds_read_b32 v10, v48 offset:124
	v_fmac_f32_e32 v30, v3, v7
	v_and_b32_e32 v3, 0xffff, v8
	v_fmac_f32_e32 v28, v4, v5
	s_waitcnt lgkmcnt(0)
	v_lshrrev_b32_e32 v0, 16, v10
	v_and_b32_e32 v1, 0xffff, v10
	;;#ASMSTART
	v_cvt_f32_f16 v1, v1;
	;;#ASMEND
	;;#ASMSTART
	v_cvt_f32_f16 v0, v0;
	;;#ASMEND
	;; [unrolled: 3-line block ×3, first 2 shown]
	v_fmac_f32_e32 v28, v1, v3
	v_accvgpr_read_b32 v3, a28
	;;#ASMSTART
	v_cvt_f32_f16 v2, v2;
	;;#ASMEND
	v_and_b32_e32 v1, 64, v3
	v_fmac_f32_e32 v30, v0, v2
	v_add_u32_e32 v2, 64, v1
	v_xor_b32_e32 v1, 2, v3
	v_cmp_lt_i32_e64 s[8:9], v1, v2
	v_cndmask_b32_e64 v1, v3, v1, s[8:9]
	v_add_f32_e32 v0, v28, v30
	v_lshlrev_b32_e32 v1, 2, v1
	ds_bpermute_b32 v1, v1, v0
	s_waitcnt lgkmcnt(0)
	v_add_f32_e32 v0, v0, v1
	v_xor_b32_e32 v1, 1, v3
	v_cmp_lt_i32_e64 s[8:9], v1, v2
	v_cndmask_b32_e64 v1, v3, v1, s[8:9]
	v_lshlrev_b32_e32 v1, 2, v1
	ds_bpermute_b32 v1, v1, v0
	s_mov_b64 s[28:29], exec
	s_and_b64 s[8:9], s[28:29], vcc
	v_accvgpr_read_b32 v6, a37
	s_mov_b64 exec, s[8:9]
	s_cbranch_execz .LBB295_9
; %bb.395:                              ;   in Loop: Header=BB295_10 Depth=1
	s_waitcnt lgkmcnt(0)
	v_add_f32_e32 v0, v0, v1
	buffer_load_dword v1, off, s[0:3], s32 offset:136 ; 4-byte Folded Reload
	v_accvgpr_read_b32 v3, a29
	v_accvgpr_read_b32 v5, a33
	v_add_u32_e32 v3, v3, v5
	v_cvt_f32_i32_e32 v3, v3
	s_load_dword s8, s[24:25], 0x0
	v_accvgpr_read_b32 v4, a25
	s_waitcnt vmcnt(0)
	v_mul_f32_e32 v1, v1, v3
	v_cndmask_b32_e64 v1, 0, v1, s[6:7]
	v_accvgpr_read_b32 v3, a36
	v_fmac_f32_e32 v1, v0, v4
	v_accvgpr_read_b32 v0, a8
	s_waitcnt lgkmcnt(0)
	v_add_u32_e32 v3, s8, v3
	v_cmp_lt_i32_e64 s[8:9], v5, v0
	v_cndmask_b32_e64 v0, 0, v1, s[8:9]
	ds_write_b32 v3, v0
	buffer_load_dword v3, off, s[0:3], s32 offset:132 ; 4-byte Folded Reload
	s_waitcnt vmcnt(0)
	v_max_f32_e32 v0, v3, v3
	v_max_f32_e32 v0, v0, v1
	v_cndmask_b32_e64 v3, v3, v0, s[8:9]
	buffer_store_dword v3, off, s[0:3], s32 offset:132 ; 4-byte Folded Spill
	s_branch .LBB295_9
.LBB295_396:
	s_or_b64 exec, exec, s[26:27]
	buffer_load_dword v7, off, s[0:3], s32 offset:132 ; 4-byte Folded Reload
	v_accvgpr_read_b32 v20, a0
	v_accvgpr_read_b32 v22, a1
	;; [unrolled: 1-line block ×15, first 2 shown]
.LBB295_397:
	s_or_b64 exec, exec, s[10:11]
	v_accvgpr_read_b32 v6, a28
	v_xor_b32_e32 v0, 32, v6
	v_cmp_lt_i32_e32 vcc, v0, v2
	v_cndmask_b32_e32 v0, v6, v0, vcc
	v_lshlrev_b32_e32 v3, 2, v0
	s_waitcnt vmcnt(0)
	ds_bpermute_b32 v0, v3, v7
	v_xor_b32_e32 v4, 16, v6
	s_waitcnt lgkmcnt(0)
	v_max_f32_e32 v1, v7, v7
	v_cmp_lt_i32_e32 vcc, v4, v2
	v_xor_b32_e32 v5, 8, v6
	v_max_f32_e32 v0, v0, v0
	v_max_f32_e32 v0, v1, v0
	v_cndmask_b32_e32 v1, v6, v4, vcc
	v_lshlrev_b32_e32 v4, 2, v1
	ds_bpermute_b32 v1, v4, v0
	v_cmp_lt_i32_e32 vcc, v5, v2
	v_and_b32_e32 v23, 63, v24
	s_lshr_b32 s28, s36, 16
	s_waitcnt lgkmcnt(0)
	v_max_f32_e32 v1, v1, v1
	v_max_f32_e32 v0, v0, v1
	v_cndmask_b32_e32 v1, v6, v5, vcc
	v_lshlrev_b32_e32 v7, 2, v1
	ds_bpermute_b32 v1, v7, v0
	v_xor_b32_e32 v5, 4, v6
	v_cmp_lt_i32_e32 vcc, v5, v2
	s_waitcnt lgkmcnt(0)
	v_max_f32_e32 v1, v1, v1
	v_max_f32_e32 v0, v0, v1
	v_cndmask_b32_e32 v1, v6, v5, vcc
	v_lshlrev_b32_e32 v8, 2, v1
	ds_bpermute_b32 v1, v8, v0
	v_cmp_eq_u32_e32 vcc, 0, v23
	v_lshlrev_b32_e32 v5, 2, v28
	s_and_saveexec_b64 s[6:7], vcc
	s_cbranch_execz .LBB295_399
; %bb.398:
	s_waitcnt lgkmcnt(0)
	v_max_f32_e32 v1, v1, v1
	v_max_f32_e32 v0, v0, v0
	;; [unrolled: 1-line block ×3, first 2 shown]
	ds_write_b32 v5, v0 offset:512
.LBB295_399:
	s_or_b64 exec, exec, s[6:7]
	v_cmp_gt_u32_e64 s[6:7], 2, v23
	v_mov_b32_e32 v0, 0xff7fffff
	v_lshlrev_b32_e32 v6, 2, v23
	s_waitcnt lgkmcnt(0)
	s_barrier
	s_and_saveexec_b64 s[8:9], s[6:7]
	s_cbranch_execz .LBB295_401
; %bb.400:
	ds_read_b32 v0, v6 offset:512
.LBB295_401:
	s_or_b64 exec, exec, s[8:9]
	v_accvgpr_read_b32 v12, a28
	v_xor_b32_e32 v1, 1, v12
	v_cmp_lt_i32_e64 s[8:9], v1, v2
	v_cndmask_b32_e64 v1, v12, v1, s[8:9]
	v_lshlrev_b32_e32 v37, 2, v1
	s_waitcnt lgkmcnt(0)
	ds_bpermute_b32 v1, v37, v0
	v_max_f32_e32 v0, v0, v0
	v_accvgpr_read_b32 v9, a3
	v_subrev_u32_e32 v9, s21, v9
	v_lshl_add_u32 v9, v9, 4, s23
	s_waitcnt lgkmcnt(0)
	v_max_f32_e32 v1, v1, v1
	v_max_f32_e32 v0, v0, v1
	v_lshlrev_b32_e32 v1, 2, v12
	v_and_b32_e32 v18, 0xffffff00, v1
	ds_bpermute_b32 v0, v18, v0
	v_accvgpr_read_b32 v12, a8
	v_min_i32_e32 v9, v9, v12
	v_subrev_u32_e32 v1, s23, v9
	v_cmp_lt_i32_e64 s[8:9], v24, v1
	v_mov_b32_e32 v17, 0
	s_and_saveexec_b64 s[24:25], s[8:9]
	s_cbranch_execz .LBB295_405
; %bb.402:
	s_ashr_i32 s19, s18, 31
	s_lshl_b64 s[10:11], s[18:19], 2
	s_getpc_b64 s[26:27]
	s_add_u32 s26, s26, llvm.amdgcn.dynlds.offset.table@rel32@lo+4
	s_addc_u32 s27, s27, llvm.amdgcn.dynlds.offset.table@rel32@hi+12
	s_add_u32 s10, s10, s26
	s_addc_u32 s11, s11, s27
	s_load_dword s10, s[10:11], 0x0
	s_mov_b64 s[26:27], 0
	v_mov_b32_e32 v17, 0
	v_mov_b32_e32 v13, v24
	s_waitcnt lgkmcnt(0)
	v_lshl_add_u32 v12, v24, 2, s10
.LBB295_403:                            ; =>This Inner Loop Header: Depth=1
	ds_read_b32 v16, v12
	v_add_u32_e32 v13, 0x80, v13
	v_cmp_ge_i32_e64 s[10:11], v13, v1
	s_or_b64 s[26:27], s[10:11], s[26:27]
	s_waitcnt lgkmcnt(0)
	v_sub_f32_e32 v16, v16, v0
	v_mul_f32_e32 v16, 0x3fb8aa3b, v16
	v_exp_f32_e32 v16, v16
	ds_write_b32 v12, v16
	v_add_f32_e32 v17, v17, v16
	v_add_u32_e32 v12, 0x200, v12
	s_andn2_b64 exec, exec, s[26:27]
	s_cbranch_execnz .LBB295_403
; %bb.404:
	s_or_b64 exec, exec, s[26:27]
.LBB295_405:
	s_or_b64 exec, exec, s[24:25]
	ds_bpermute_b32 v3, v3, v17
	s_waitcnt lgkmcnt(0)
	v_add_f32_e32 v3, v17, v3
	ds_bpermute_b32 v4, v4, v3
	s_waitcnt lgkmcnt(0)
	v_add_f32_e32 v3, v3, v4
	;; [unrolled: 3-line block ×3, first 2 shown]
	ds_bpermute_b32 v4, v8, v3
	v_accvgpr_read_b32 v8, a28
	v_xor_b32_e32 v7, 2, v8
	v_cmp_lt_i32_e64 s[10:11], v7, v2
	v_cndmask_b32_e64 v2, v8, v7, s[10:11]
	s_waitcnt lgkmcnt(0)
	v_add_f32_e32 v3, v3, v4
	v_lshlrev_b32_e32 v2, 2, v2
	ds_bpermute_b32 v2, v2, v3
	s_waitcnt lgkmcnt(0)
	v_add_f32_e32 v2, v3, v2
	ds_bpermute_b32 v3, v37, v2
	s_waitcnt lgkmcnt(0)
	v_add_f32_e32 v2, v2, v3
	s_and_saveexec_b64 s[10:11], vcc
	s_cbranch_execz .LBB295_407
; %bb.406:
	ds_write_b32 v5, v2 offset:520
.LBB295_407:
	s_or_b64 exec, exec, s[10:11]
	s_waitcnt lgkmcnt(0)
	s_barrier
	s_and_saveexec_b64 s[10:11], s[6:7]
	s_cbranch_execz .LBB295_409
; %bb.408:
	ds_read_b32 v2, v6 offset:520
.LBB295_409:
	s_or_b64 exec, exec, s[10:11]
	s_waitcnt lgkmcnt(0)
	ds_bpermute_b32 v3, v37, v2
	s_waitcnt lgkmcnt(0)
	v_add_f32_e32 v2, v2, v3
	ds_bpermute_b32 v2, v18, v2
	s_and_saveexec_b64 s[6:7], s[8:9]
	s_cbranch_execz .LBB295_422
; %bb.410:
	s_waitcnt lgkmcnt(0)
	v_add_f32_e32 v3, 0x358637bd, v2
	v_div_scale_f32 v4, s[8:9], v3, v3, 1.0
	v_rcp_f32_e32 v5, v4
	v_div_scale_f32 v6, vcc, 1.0, v3, 1.0
	s_movk_i32 s8, 0x7f
	v_fma_f32 v7, -v4, v5, 1.0
	v_fmac_f32_e32 v5, v7, v5
	v_mul_f32_e32 v7, v6, v5
	v_fma_f32 v8, -v4, v7, v6
	v_fmac_f32_e32 v7, v8, v5
	v_fma_f32 v4, -v4, v7, v6
	v_div_fmas_f32 v4, v4, v5, v7
	v_div_fixup_f32 v8, v4, v3, 1.0
	v_xad_u32 v3, v24, -1, v9
	v_subrev_u32_e32 v4, s23, v3
	v_cmp_lt_u32_e32 vcc, s8, v4
	s_mov_b64 s[10:11], -1
	v_mov_b32_e32 v3, v24
	s_and_saveexec_b64 s[8:9], vcc
	s_cbranch_execz .LBB295_419
; %bb.411:
	v_lshrrev_b32_e32 v3, 7, v4
	v_add_u32_e32 v5, -1, v3
	v_lshrrev_b32_e32 v4, 1, v5
	v_mov_b32_e32 v9, v8
	v_add_u32_e32 v4, 1, v4
	v_cmp_lt_u32_e32 vcc, 13, v5
	v_mov_b32_e32 v7, 0
	s_and_saveexec_b64 s[10:11], vcc
	s_cbranch_execz .LBB295_415
; %bb.412:
	s_ashr_i32 s19, s18, 31
	s_lshl_b64 s[24:25], s[18:19], 2
	s_getpc_b64 s[26:27]
	s_add_u32 s26, s26, llvm.amdgcn.dynlds.offset.table@rel32@lo+4
	s_addc_u32 s27, s27, llvm.amdgcn.dynlds.offset.table@rel32@hi+12
	s_add_u32 s24, s24, s26
	s_addc_u32 s25, s25, s27
	s_load_dword s21, s[24:25], 0x0
	v_and_b32_e32 v5, -8, v4
	s_mov_b32 s19, 0
	s_mov_b64 s[24:25], 0
	s_waitcnt lgkmcnt(0)
	v_lshl_add_u32 v6, v24, 2, s21
.LBB295_413:                            ; =>This Inner Loop Header: Depth=1
	ds_read2st64_b32 v[26:27], v6 offset1:2
	ds_read2st64_b32 v[12:13], v6 offset0:4 offset1:6
	ds_read2st64_b32 v[16:17], v6 offset0:8 offset1:10
	;; [unrolled: 1-line block ×3, first 2 shown]
	v_add_u32_e32 v5, -8, v5
	s_waitcnt lgkmcnt(3)
	v_pk_mul_f32 v[26:27], v[8:9], v[26:27]
	s_waitcnt lgkmcnt(2)
	v_pk_mul_f32 v[12:13], v[8:9], v[12:13]
	ds_write2st64_b32 v6, v26, v27 offset1:2
	ds_write2st64_b32 v6, v12, v13 offset0:4 offset1:6
	ds_read2st64_b32 v[12:13], v6 offset0:16 offset1:18
	s_waitcnt lgkmcnt(4)
	v_pk_mul_f32 v[16:17], v[8:9], v[16:17]
	ds_write2st64_b32 v6, v16, v17 offset0:8 offset1:10
	s_waitcnt lgkmcnt(4)
	v_pk_mul_f32 v[16:17], v[8:9], v[18:19]
	ds_write2st64_b32 v6, v16, v17 offset0:12 offset1:14
	s_waitcnt lgkmcnt(2)
	v_pk_mul_f32 v[12:13], v[8:9], v[12:13]
	ds_read2st64_b32 v[18:19], v6 offset0:20 offset1:22
	ds_read2st64_b32 v[16:17], v6 offset0:24 offset1:26
	ds_write2st64_b32 v6, v12, v13 offset0:16 offset1:18
	ds_read2st64_b32 v[12:13], v6 offset0:28 offset1:30
	s_add_i32 s19, s19, 16
	s_waitcnt lgkmcnt(3)
	v_pk_mul_f32 v[18:19], v[8:9], v[18:19]
	s_waitcnt lgkmcnt(2)
	v_pk_mul_f32 v[16:17], v[8:9], v[16:17]
	v_cmp_eq_u32_e32 vcc, 0, v5
	s_waitcnt lgkmcnt(0)
	v_pk_mul_f32 v[12:13], v[8:9], v[12:13]
	ds_write2st64_b32 v6, v18, v19 offset0:20 offset1:22
	ds_write2st64_b32 v6, v16, v17 offset0:24 offset1:26
	;; [unrolled: 1-line block ×3, first 2 shown]
	v_add_u32_e32 v6, 0x2000, v6
	s_or_b64 s[24:25], vcc, s[24:25]
	v_mov_b32_e32 v7, s19
	s_andn2_b64 exec, exec, s[24:25]
	s_cbranch_execnz .LBB295_413
; %bb.414:
	s_or_b64 exec, exec, s[24:25]
.LBB295_415:
	s_or_b64 exec, exec, s[10:11]
	v_and_b32_e32 v4, 7, v4
	v_cmp_ne_u32_e32 vcc, 0, v4
	s_and_saveexec_b64 s[10:11], vcc
	s_cbranch_execz .LBB295_418
; %bb.416:
	s_ashr_i32 s19, s18, 31
	s_lshl_b64 s[24:25], s[18:19], 2
	s_getpc_b64 s[26:27]
	s_add_u32 s26, s26, llvm.amdgcn.dynlds.offset.table@rel32@lo+4
	s_addc_u32 s27, s27, llvm.amdgcn.dynlds.offset.table@rel32@hi+12
	s_add_u32 s24, s24, s26
	s_addc_u32 s25, s25, s27
	s_load_dword s19, s[24:25], 0x0
	v_lshlrev_b32_e32 v5, 9, v7
	v_lshlrev_b32_e32 v6, 2, v24
	s_mov_b64 s[24:25], 0
	s_waitcnt lgkmcnt(0)
	v_add3_u32 v5, v5, v6, s19
.LBB295_417:                            ; =>This Inner Loop Header: Depth=1
	ds_read2st64_b32 v[6:7], v5 offset1:2
	v_add_u32_e32 v4, -1, v4
	v_cmp_eq_u32_e32 vcc, 0, v4
	s_or_b64 s[24:25], vcc, s[24:25]
	s_waitcnt lgkmcnt(0)
	v_pk_mul_f32 v[6:7], v[8:9], v[6:7]
	ds_write2st64_b32 v5, v6, v7 offset1:2
	v_add_u32_e32 v5, 0x400, v5
	s_andn2_b64 exec, exec, s[24:25]
	s_cbranch_execnz .LBB295_417
.LBB295_418:
	s_or_b64 exec, exec, s[10:11]
	v_add_u32_e32 v4, 1, v3
	v_and_b32_e32 v5, 0x3fffffe, v4
	v_cmp_ne_u32_e32 vcc, v4, v5
	v_lshl_add_u32 v3, v5, 7, v24
	s_orn2_b64 s[10:11], vcc, exec
.LBB295_419:
	s_or_b64 exec, exec, s[8:9]
	s_and_b64 exec, exec, s[10:11]
	s_cbranch_execz .LBB295_422
; %bb.420:
	s_ashr_i32 s19, s18, 31
	s_lshl_b64 s[8:9], s[18:19], 2
	s_getpc_b64 s[10:11]
	s_add_u32 s10, s10, llvm.amdgcn.dynlds.offset.table@rel32@lo+4
	s_addc_u32 s11, s11, llvm.amdgcn.dynlds.offset.table@rel32@hi+12
	s_add_u32 s8, s8, s10
	s_addc_u32 s9, s9, s11
	s_load_dword s8, s[8:9], 0x0
	s_waitcnt lgkmcnt(0)
	v_lshl_add_u32 v4, v3, 2, s8
	s_mov_b64 s[8:9], 0
.LBB295_421:                            ; =>This Inner Loop Header: Depth=1
	ds_read_b32 v5, v4
	v_add_u32_e32 v3, 0x80, v3
	v_cmp_ge_i32_e32 vcc, v3, v1
	s_or_b64 s[8:9], vcc, s[8:9]
	s_waitcnt lgkmcnt(0)
	v_mul_f32_e32 v5, v8, v5
	ds_write_b32 v4, v5
	v_add_u32_e32 v4, 0x200, v4
	s_andn2_b64 exec, exec, s[8:9]
	s_cbranch_execnz .LBB295_421
.LBB295_422:
	s_or_b64 exec, exec, s[6:7]
	v_cmp_ne_u16_e64 s[6:7], s28, 0
	s_cmp_lg_u64 s[6:7], 0
	s_addc_u32 s21, s13, 0
	s_mul_i32 s6, s21, s22
	v_cmp_eq_u32_e32 vcc, 0, v24
	s_mul_i32 s6, s6, s15
	s_waitcnt lgkmcnt(0)
	s_barrier
	s_and_saveexec_b64 s[8:9], vcc
	s_cbranch_execz .LBB295_424
; %bb.423:
	s_mul_i32 s12, s21, s12
	s_ashr_i32 s7, s6, 31
	s_ashr_i32 s13, s12, 31
	;; [unrolled: 1-line block ×3, first 2 shown]
	s_lshl_b64 s[10:11], s[6:7], 2
	s_lshl_b64 s[12:13], s[12:13], 2
	;; [unrolled: 1-line block ×3, first 2 shown]
	s_add_u32 s7, s24, s12
	s_addc_u32 s12, s25, s13
	s_add_u32 s7, s7, s10
	s_addc_u32 s10, s12, s11
	v_mov_b32_e32 v1, s10
	v_add_co_u32_e32 v4, vcc, s7, v35
	v_addc_co_u32_e32 v5, vcc, v1, v34, vcc
	flat_store_dword v[4:5], v0
	v_add_co_u32_e32 v0, vcc, s7, v30
	v_addc_co_u32_e32 v1, vcc, v1, v25, vcc
	flat_store_dword v[0:1], v2
.LBB295_424:
	s_or_b64 exec, exec, s[8:9]
	v_mov_b32_e32 v3, 0
	v_and_b32_e32 v38, 1, v24
	v_mov_b32_e32 v2, 0
	v_mov_b32_e32 v9, 0
	;; [unrolled: 1-line block ×7, first 2 shown]
	s_and_saveexec_b64 s[8:9], s[4:5]
	s_cbranch_execz .LBB295_828
; %bb.425:
	v_lshlrev_b32_e32 v0, 3, v24
	s_ashr_i32 s19, s18, 31
	v_add_co_u32_e32 v1, vcc, v10, v29
	v_and_b32_e32 v2, 8, v0
	s_lshl_b64 s[4:5], s[18:19], 2
	v_addc_co_u32_e32 v3, vcc, v11, v31, vcc
	v_and_b32_e32 v0, 0x1f8, v0
	v_accvgpr_write_b32 a0, v20
	s_getpc_b64 s[10:11]
	s_add_u32 s10, s10, llvm.amdgcn.dynlds.offset.table@rel32@lo+4
	s_addc_u32 s11, s11, llvm.amdgcn.dynlds.offset.table@rel32@hi+12
	v_add_co_u32_e32 v20, vcc, v1, v0
	v_accvgpr_read_b32 v0, a10
	s_add_u32 s4, s4, s10
	v_accvgpr_read_b32 v1, a11
	s_addc_u32 s5, s5, s11
	v_add_u32_e32 v36, -1, v21
	v_addc_co_u32_e32 v21, vcc, 0, v3, vcc
	v_lshlrev_b64 v[0:1], 2, v[0:1]
	v_accvgpr_read_b32 v4, a20
	s_load_dword s4, s[4:5], 0x0
	v_accvgpr_read_b32 v5, a21
	v_add_co_u32_e32 v0, vcc, v4, v0
	v_addc_co_u32_e32 v1, vcc, v5, v1, vcc
	v_add_co_u32_e32 v14, vcc, v14, v0
	v_accvgpr_read_b32 v0, a22
	v_add3_u32 v7, s23, v0, v2
	v_lshlrev_b32_e32 v0, 5, v38
	v_lshl_or_b32 v0, v28, 6, v0
	s_mov_b32 s10, -1
	s_waitcnt lgkmcnt(0)
	v_add_u32_e32 v39, s4, v0
	v_mov_b32_e32 v0, 0
	v_accvgpr_write_b32 a1, v22
	v_accvgpr_write_b32 a2, v24
	s_mov_b32 s11, 0xffffff
	v_mov_b32_e32 v11, 0
	v_accvgpr_read_b32 v17, a8
	v_addc_co_u32_e32 v15, vcc, v15, v1, vcc
	s_mov_b64 s[12:13], 0
	s_movk_i32 s7, 0x80
	s_movk_i32 s15, 0x7f
	s_mov_b32 s19, 0x8000
	s_movk_i32 s28, 0x380
	s_mov_b32 s29, 0x3020706
	s_mov_b32 s30, 0x1000504
	;; [unrolled: 1-line block ×3, first 2 shown]
	v_mov_b32_e32 v48, 0x2000
	v_mov_b32_e32 v1, v0
	;; [unrolled: 1-line block ×8, first 2 shown]
	s_branch .LBB295_427
.LBB295_426:                            ;   in Loop: Header=BB295_427 Depth=1
	s_or_b64 exec, exec, s[4:5]
	v_add_f32_e32 v4, v4, v5
	v_add_f32_e32 v12, v12, v4
	;; [unrolled: 1-line block ×10, first 2 shown]
	;;#ASMSTART
	v_pk_mul_f16 v4, v55, v24;

	;;#ASMEND
	;;#ASMSTART
	v_pk_mul_f16 v5, v40, v10;

	;;#ASMEND
	;;#ASMSTART
	v_pk_mul_f16 v6, v41, v6;

	;;#ASMEND
	;;#ASMSTART
	v_pk_mul_f16 v10, v42, v18;

	;;#ASMEND
	;;#ASMSTART
	v_pk_add_f16 v4, v4, v5;

	;;#ASMEND
	;;#ASMSTART
	v_pk_add_f16 v4, v4, v6;

	;;#ASMEND
	;; [unrolled: 4-line block ×3, first 2 shown]
	v_lshrrev_b32_e32 v5, 16, v4
	v_and_b32_e32 v4, 0xffff, v4
	;;#ASMSTART
	v_cvt_f32_f16 v4, v4;
	;;#ASMEND
	;;#ASMSTART
	v_cvt_f32_f16 v5, v5;
	;;#ASMEND
	v_add_f32_e32 v4, v4, v5
	v_accvgpr_read_b32 v6, a10
	v_add_co_u32_e32 v14, vcc, 8, v14
	v_add_f32_e32 v16, v44, v45
	v_add_f32_e32 v3, v3, v4
	v_add_u32_e32 v6, 2, v6
	v_addc_co_u32_e32 v15, vcc, 0, v15, vcc
	v_accvgpr_read_b32 v4, a3
	v_add_f32_e32 v0, v0, v16
	v_add_f32_e32 v16, v46, v47
	v_cmp_ge_i32_e32 vcc, v6, v4
	v_add_f32_e32 v1, v1, v16
	v_add_u32_e32 v7, 32, v7
	v_accvgpr_write_b32 a10, v6
	s_or_b64 s[12:13], vcc, s[12:13]
	v_add_u32_e32 v39, 0x80, v39
	s_andn2_b64 exec, exec, s[12:13]
	s_cbranch_execz .LBB295_827
.LBB295_427:                            ; =>This Inner Loop Header: Depth=1
	flat_load_dword v6, v[14:15]
	ds_read2_b64 v[24:27], v39 offset1:1
	ds_read2_b64 v[28:31], v39 offset0:2 offset1:3
	v_accvgpr_read_b32 v10, a6
	s_waitcnt lgkmcnt(0)
	;;#ASMSTART
	v_cvt_f16_f32 v4, v24;

	;;#ASMEND
	;;#ASMSTART
	v_cvt_f16_f32 v5, v25;

	;;#ASMEND
	;; [unrolled: 4-line block ×6, first 2 shown]
	v_accvgpr_read_b32 v29, a5
	;;#ASMSTART
	v_cvt_f16_f32 v34, v30;

	;;#ASMEND
	;;#ASMSTART
	v_cvt_f16_f32 v35, v31;

	;;#ASMEND
	v_accvgpr_read_b32 v28, a4
	flat_load_dword v24, v[28:29]
	v_mov_b32_e32 v28, 0
	s_waitcnt vmcnt(0)
	v_mad_i64_i32 v[18:19], s[4:5], v6, v10, v[20:21]
	flat_load_dwordx2 v[30:31], v[18:19]
	s_waitcnt vmcnt(0) lgkmcnt(0)
	v_cmp_ne_u16_sdwa s[22:23], v30, v11 src0_sel:BYTE_0 src1_sel:DWORD
	s_and_saveexec_b64 s[4:5], s[22:23]
	s_cbranch_execz .LBB295_433
; %bb.428:                              ;   in Loop: Header=BB295_427 Depth=1
	v_cmp_ne_u16_sdwa s[24:25], v30, s7 src0_sel:BYTE_0 src1_sel:DWORD
	v_bfrev_b32_e32 v28, 1
	s_and_saveexec_b64 s[22:23], s[24:25]
	s_cbranch_execz .LBB295_432
; %bb.429:                              ;   in Loop: Header=BB295_427 Depth=1
	v_and_b32_e32 v6, 0x7f, v30
	v_cmp_ne_u32_e32 vcc, s15, v6
	v_mov_b32_e32 v28, 0x7fc02000
	s_and_saveexec_b64 s[24:25], vcc
	s_cbranch_execz .LBB295_431
; %bb.430:                              ;   in Loop: Header=BB295_427 Depth=1
	v_and_b32_e32 v10, 7, v30
	v_ffbh_u32_e32 v10, v10
	v_min_u32_e32 v10, 32, v10
	v_subrev_u32_e32 v28, 28, v10
	v_cmp_gt_u32_e32 vcc, 8, v6
	v_lshrrev_b32_e32 v16, 3, v6
	v_sub_u32_e32 v10, 29, v10
	v_cndmask_b32_e32 v6, 0, v28, vcc
	v_lshlrev_b64 v[28:29], v6, v[30:31]
	v_cndmask_b32_e32 v6, v16, v10, vcc
	v_lshlrev_b32_e32 v16, 8, v30
	v_lshl_add_u32 v6, v6, 10, v48
	v_lshlrev_b32_e32 v10, 7, v28
	v_and_or_b32 v6, v16, s19, v6
	v_and_or_b32 v6, v10, s28, v6
	v_cvt_f32_f16_e32 v28, v6
.LBB295_431:                            ;   in Loop: Header=BB295_427 Depth=1
	s_or_b64 exec, exec, s[24:25]
.LBB295_432:                            ;   in Loop: Header=BB295_427 Depth=1
	s_or_b64 exec, exec, s[22:23]
.LBB295_433:                            ;   in Loop: Header=BB295_427 Depth=1
	s_or_b64 exec, exec, s[4:5]
	v_lshrrev_b16_e32 v10, 8, v30
	v_cmp_ne_u16_e32 vcc, 0, v10
	v_mov_b32_e32 v29, 0
	v_mov_b32_e32 v32, 0
	s_and_saveexec_b64 s[4:5], vcc
	s_cbranch_execz .LBB295_439
; %bb.434:                              ;   in Loop: Header=BB295_427 Depth=1
	v_cmp_ne_u16_e32 vcc, s7, v10
	v_bfrev_b32_e32 v32, 1
	s_and_saveexec_b64 s[22:23], vcc
	s_cbranch_execz .LBB295_438
; %bb.435:                              ;   in Loop: Header=BB295_427 Depth=1
	v_and_b32_e32 v6, 0x7f, v10
	v_cmp_ne_u32_e32 vcc, s15, v6
	v_mov_b32_e32 v32, 0x7fc02000
	s_and_saveexec_b64 s[24:25], vcc
	s_cbranch_execz .LBB295_437
; %bb.436:                              ;   in Loop: Header=BB295_427 Depth=1
	v_and_b32_e32 v16, 7, v10
	v_ffbh_u32_e32 v32, v16
	v_min_u32_e32 v50, 32, v32
	v_subrev_u32_e32 v32, 28, v50
	v_lshlrev_b64 v[32:33], v32, v[10:11]
	v_lshrrev_b32_e32 v49, 3, v6
	v_sub_u32_e32 v33, 29, v50
	v_cmp_gt_u32_e32 vcc, 8, v6
	v_cndmask_b32_e32 v6, v49, v33, vcc
	v_and_b32_e32 v32, 7, v32
	v_lshlrev_b32_e32 v10, 8, v10
	v_lshl_add_u32 v6, v6, 10, v48
	v_cndmask_b32_e32 v16, v16, v32, vcc
	v_and_or_b32 v6, v10, s19, v6
	v_lshl_or_b32 v6, v16, 7, v6
	v_cvt_f32_f16_e32 v32, v6
.LBB295_437:                            ;   in Loop: Header=BB295_427 Depth=1
	s_or_b64 exec, exec, s[24:25]
.LBB295_438:                            ;   in Loop: Header=BB295_427 Depth=1
	s_or_b64 exec, exec, s[22:23]
.LBB295_439:                            ;   in Loop: Header=BB295_427 Depth=1
	s_or_b64 exec, exec, s[4:5]
	v_lshrrev_b32_e32 v10, 16, v30
	v_cmp_ne_u16_sdwa s[22:23], v10, v11 src0_sel:BYTE_0 src1_sel:DWORD
	s_and_saveexec_b64 s[4:5], s[22:23]
	s_cbranch_execz .LBB295_445
; %bb.440:                              ;   in Loop: Header=BB295_427 Depth=1
	v_cmp_ne_u16_sdwa s[24:25], v10, s7 src0_sel:BYTE_0 src1_sel:DWORD
	v_bfrev_b32_e32 v29, 1
	s_and_saveexec_b64 s[22:23], s[24:25]
	s_cbranch_execz .LBB295_444
; %bb.441:                              ;   in Loop: Header=BB295_427 Depth=1
	v_bfe_u32 v6, v30, 16, 7
	v_cmp_ne_u32_e32 vcc, s15, v6
	v_mov_b32_e32 v29, 0x7fc02000
	s_and_saveexec_b64 s[24:25], vcc
	s_cbranch_execz .LBB295_443
; %bb.442:                              ;   in Loop: Header=BB295_427 Depth=1
	v_and_b32_e32 v16, 7, v10
	v_ffbh_u32_e32 v33, v16
	v_min_u32_e32 v33, 32, v33
	v_lshrrev_b32_e32 v29, 3, v6
	v_subrev_u32_e32 v49, 28, v33
	v_sub_u32_e32 v33, 29, v33
	v_cmp_gt_u32_e32 vcc, 8, v6
	v_lshlrev_b64 v[50:51], v49, v[10:11]
	v_cndmask_b32_e32 v6, v29, v33, vcc
	v_and_b32_e32 v49, 7, v50
	v_lshlrev_b32_e32 v10, 8, v10
	v_lshl_add_u32 v6, v6, 10, v48
	v_cndmask_b32_e32 v16, v16, v49, vcc
	v_and_or_b32 v6, v10, s19, v6
	v_lshl_or_b32 v6, v16, 7, v6
	v_cvt_f32_f16_e32 v29, v6
.LBB295_443:                            ;   in Loop: Header=BB295_427 Depth=1
	s_or_b64 exec, exec, s[24:25]
.LBB295_444:                            ;   in Loop: Header=BB295_427 Depth=1
	s_or_b64 exec, exec, s[22:23]
.LBB295_445:                            ;   in Loop: Header=BB295_427 Depth=1
	s_or_b64 exec, exec, s[4:5]
	v_cmp_lt_u32_e32 vcc, s11, v30
	v_mov_b32_e32 v6, 0
	v_mov_b32_e32 v33, 0
	s_and_saveexec_b64 s[4:5], vcc
	s_cbranch_execz .LBB295_451
; %bb.446:                              ;   in Loop: Header=BB295_427 Depth=1
	v_lshrrev_b32_e32 v10, 24, v30
	v_cmp_ne_u32_e32 vcc, s7, v10
	v_bfrev_b32_e32 v33, 1
	s_and_saveexec_b64 s[22:23], vcc
	s_cbranch_execz .LBB295_450
; %bb.447:                              ;   in Loop: Header=BB295_427 Depth=1
	v_and_b32_e32 v49, 0x7f, v10
	v_cmp_ne_u32_e32 vcc, s15, v49
	v_mov_b32_e32 v33, 0x7fc02000
	s_and_saveexec_b64 s[24:25], vcc
	s_cbranch_execz .LBB295_449
; %bb.448:                              ;   in Loop: Header=BB295_427 Depth=1
	v_and_b32_e32 v16, 7, v10
	v_ffbh_u32_e32 v50, v16
	v_min_u32_e32 v52, 32, v50
	v_subrev_u32_e32 v50, 28, v52
	v_lshlrev_b64 v[50:51], v50, v[10:11]
	v_lshrrev_b32_e32 v33, 3, v49
	v_sub_u32_e32 v51, 29, v52
	v_cmp_gt_u32_e32 vcc, 8, v49
	v_cndmask_b32_e32 v33, v33, v51, vcc
	v_and_b32_e32 v50, 7, v50
	v_lshlrev_b32_e32 v10, 8, v10
	v_lshl_add_u32 v33, v33, 10, v48
	v_cndmask_b32_e32 v16, v16, v50, vcc
	v_and_or_b32 v10, v10, s19, v33
	v_lshl_or_b32 v10, v16, 7, v10
	v_cvt_f32_f16_e32 v33, v10
.LBB295_449:                            ;   in Loop: Header=BB295_427 Depth=1
	s_or_b64 exec, exec, s[24:25]
.LBB295_450:                            ;   in Loop: Header=BB295_427 Depth=1
	s_or_b64 exec, exec, s[22:23]
.LBB295_451:                            ;   in Loop: Header=BB295_427 Depth=1
	s_or_b64 exec, exec, s[4:5]
	v_mov_b32_e32 v10, v31
	v_cmp_ne_u16_sdwa s[22:23], v31, v11 src0_sel:BYTE_0 src1_sel:DWORD
	s_and_saveexec_b64 s[4:5], s[22:23]
	s_cbranch_execz .LBB295_457
; %bb.452:                              ;   in Loop: Header=BB295_427 Depth=1
	v_cmp_ne_u16_sdwa s[24:25], v31, s7 src0_sel:BYTE_0 src1_sel:DWORD
	v_bfrev_b32_e32 v6, 1
	s_and_saveexec_b64 s[22:23], s[24:25]
	s_cbranch_execz .LBB295_456
; %bb.453:                              ;   in Loop: Header=BB295_427 Depth=1
	v_and_b32_e32 v49, 0x7f, v31
	v_cmp_ne_u32_e32 vcc, s15, v49
	v_mov_b32_e32 v6, 0x7fc02000
	s_and_saveexec_b64 s[24:25], vcc
	s_cbranch_execz .LBB295_455
; %bb.454:                              ;   in Loop: Header=BB295_427 Depth=1
	v_and_b32_e32 v6, 7, v31
	v_ffbh_u32_e32 v6, v6
	v_min_u32_e32 v6, 32, v6
	v_lshrrev_b32_e32 v16, 3, v49
	v_subrev_u32_e32 v50, 28, v6
	v_sub_u32_e32 v6, 29, v6
	v_cmp_gt_u32_e32 vcc, 8, v49
	v_cndmask_b32_e32 v49, 0, v50, vcc
	v_cndmask_b32_e32 v6, v16, v6, vcc
	v_lshlrev_b64 v[50:51], v49, v[10:11]
	v_lshlrev_b32_e32 v49, 8, v31
	v_lshl_add_u32 v6, v6, 10, v48
	v_lshlrev_b32_e32 v16, 7, v50
	v_and_or_b32 v6, v49, s19, v6
	v_and_or_b32 v6, v16, s28, v6
	v_cvt_f32_f16_e32 v6, v6
.LBB295_455:                            ;   in Loop: Header=BB295_427 Depth=1
	s_or_b64 exec, exec, s[24:25]
.LBB295_456:                            ;   in Loop: Header=BB295_427 Depth=1
	s_or_b64 exec, exec, s[22:23]
.LBB295_457:                            ;   in Loop: Header=BB295_427 Depth=1
	s_or_b64 exec, exec, s[4:5]
	v_lshrrev_b16_e32 v10, 8, v10
	v_cmp_ne_u16_e32 vcc, 0, v10
	v_mov_b32_e32 v49, 0
	v_mov_b32_e32 v50, 0
	s_and_saveexec_b64 s[4:5], vcc
	s_cbranch_execz .LBB295_463
; %bb.458:                              ;   in Loop: Header=BB295_427 Depth=1
	v_cmp_ne_u16_e32 vcc, s7, v10
	v_bfrev_b32_e32 v50, 1
	s_and_saveexec_b64 s[22:23], vcc
	s_cbranch_execz .LBB295_462
; %bb.459:                              ;   in Loop: Header=BB295_427 Depth=1
	v_and_b32_e32 v51, 0x7f, v10
	v_cmp_ne_u32_e32 vcc, s15, v51
	v_mov_b32_e32 v50, 0x7fc02000
	s_and_saveexec_b64 s[24:25], vcc
	s_cbranch_execz .LBB295_461
; %bb.460:                              ;   in Loop: Header=BB295_427 Depth=1
	v_and_b32_e32 v16, 7, v10
	v_ffbh_u32_e32 v52, v16
	v_min_u32_e32 v54, 32, v52
	v_subrev_u32_e32 v52, 28, v54
	v_lshlrev_b64 v[52:53], v52, v[10:11]
	v_lshrrev_b32_e32 v50, 3, v51
	v_sub_u32_e32 v53, 29, v54
	v_cmp_gt_u32_e32 vcc, 8, v51
	v_cndmask_b32_e32 v50, v50, v53, vcc
	v_and_b32_e32 v52, 7, v52
	v_lshlrev_b32_e32 v10, 8, v10
	v_lshl_add_u32 v50, v50, 10, v48
	v_cndmask_b32_e32 v16, v16, v52, vcc
	v_and_or_b32 v10, v10, s19, v50
	v_lshl_or_b32 v10, v16, 7, v10
	v_cvt_f32_f16_e32 v50, v10
.LBB295_461:                            ;   in Loop: Header=BB295_427 Depth=1
	s_or_b64 exec, exec, s[24:25]
.LBB295_462:                            ;   in Loop: Header=BB295_427 Depth=1
	s_or_b64 exec, exec, s[22:23]
.LBB295_463:                            ;   in Loop: Header=BB295_427 Depth=1
	s_or_b64 exec, exec, s[4:5]
	v_lshrrev_b32_e32 v10, 16, v31
	v_cmp_ne_u16_sdwa s[22:23], v10, v11 src0_sel:BYTE_0 src1_sel:DWORD
	s_and_saveexec_b64 s[4:5], s[22:23]
	s_cbranch_execz .LBB295_469
; %bb.464:                              ;   in Loop: Header=BB295_427 Depth=1
	v_cmp_ne_u16_sdwa s[24:25], v10, s7 src0_sel:BYTE_0 src1_sel:DWORD
	v_bfrev_b32_e32 v49, 1
	s_and_saveexec_b64 s[22:23], s[24:25]
	s_cbranch_execz .LBB295_468
; %bb.465:                              ;   in Loop: Header=BB295_427 Depth=1
	v_bfe_u32 v51, v31, 16, 7
	v_cmp_ne_u32_e32 vcc, s15, v51
	v_mov_b32_e32 v49, 0x7fc02000
	s_and_saveexec_b64 s[24:25], vcc
	s_cbranch_execz .LBB295_467
; %bb.466:                              ;   in Loop: Header=BB295_427 Depth=1
	v_and_b32_e32 v16, 7, v10
	v_ffbh_u32_e32 v52, v16
	v_min_u32_e32 v54, 32, v52
	v_subrev_u32_e32 v52, 28, v54
	v_lshlrev_b64 v[52:53], v52, v[10:11]
	v_lshrrev_b32_e32 v49, 3, v51
	v_sub_u32_e32 v53, 29, v54
	v_cmp_gt_u32_e32 vcc, 8, v51
	v_cndmask_b32_e32 v49, v49, v53, vcc
	v_and_b32_e32 v52, 7, v52
	v_lshlrev_b32_e32 v10, 8, v10
	v_lshl_add_u32 v49, v49, 10, v48
	v_cndmask_b32_e32 v16, v16, v52, vcc
	v_and_or_b32 v10, v10, s19, v49
	v_lshl_or_b32 v10, v16, 7, v10
	v_cvt_f32_f16_e32 v49, v10
.LBB295_467:                            ;   in Loop: Header=BB295_427 Depth=1
	s_or_b64 exec, exec, s[24:25]
.LBB295_468:                            ;   in Loop: Header=BB295_427 Depth=1
	s_or_b64 exec, exec, s[22:23]
.LBB295_469:                            ;   in Loop: Header=BB295_427 Depth=1
	s_or_b64 exec, exec, s[4:5]
	v_cmp_lt_u64_e32 vcc, s[10:11], v[30:31]
	v_mov_b32_e32 v30, 0
	s_and_saveexec_b64 s[4:5], vcc
	s_cbranch_execz .LBB295_475
; %bb.470:                              ;   in Loop: Header=BB295_427 Depth=1
	v_lshrrev_b32_e32 v10, 24, v31
	v_cmp_ne_u32_e32 vcc, s7, v10
	v_bfrev_b32_e32 v30, 1
	s_and_saveexec_b64 s[22:23], vcc
	s_cbranch_execz .LBB295_474
; %bb.471:                              ;   in Loop: Header=BB295_427 Depth=1
	v_and_b32_e32 v31, 0x7f, v10
	v_cmp_ne_u32_e32 vcc, s15, v31
	v_mov_b32_e32 v30, 0x7fc02000
	s_and_saveexec_b64 s[24:25], vcc
	s_cbranch_execz .LBB295_473
; %bb.472:                              ;   in Loop: Header=BB295_427 Depth=1
	v_and_b32_e32 v16, 7, v10
	v_ffbh_u32_e32 v51, v16
	v_min_u32_e32 v51, 32, v51
	v_lshrrev_b32_e32 v30, 3, v31
	v_subrev_u32_e32 v52, 28, v51
	v_sub_u32_e32 v51, 29, v51
	v_cmp_gt_u32_e32 vcc, 8, v31
	v_lshlrev_b64 v[52:53], v52, v[10:11]
	v_cndmask_b32_e32 v30, v30, v51, vcc
	v_and_b32_e32 v52, 7, v52
	v_lshlrev_b32_e32 v10, 8, v10
	v_lshl_add_u32 v30, v30, 10, v48
	v_cndmask_b32_e32 v16, v16, v52, vcc
	v_and_or_b32 v10, v10, s19, v30
	v_lshl_or_b32 v10, v16, 7, v10
	v_cvt_f32_f16_e32 v30, v10
.LBB295_473:                            ;   in Loop: Header=BB295_427 Depth=1
	s_or_b64 exec, exec, s[24:25]
.LBB295_474:                            ;   in Loop: Header=BB295_427 Depth=1
	s_or_b64 exec, exec, s[22:23]
.LBB295_475:                            ;   in Loop: Header=BB295_427 Depth=1
	s_or_b64 exec, exec, s[4:5]
	v_pk_mul_f32 v[32:33], v[24:25], v[32:33] op_sel_hi:[0,1]
	v_pk_mul_f32 v[28:29], v[24:25], v[28:29] op_sel_hi:[0,1]
	v_cvt_f16_f32_e32 v10, v33
	v_cvt_f16_f32_e32 v16, v32
	;; [unrolled: 1-line block ×4, first 2 shown]
	v_fma_mixlo_f16 v6, v24, v6, 0
	v_pack_b32_f16 v16, v16, v10
	v_accvgpr_read_b32 v32, a10
	v_pack_b32_f16 v28, v28, v29
	v_perm_b32 v10, v28, v16, s29
	v_perm_b32 v28, v28, v16, s30
	v_fma_mixlo_f16 v16, v24, v50, 0
	v_lshlrev_b32_e32 v16, 16, v16
	v_or_b32_sdwa v6, v16, v6 dst_sel:DWORD dst_unused:UNUSED_PAD src0_sel:DWORD src1_sel:WORD_0
	v_fma_mixlo_f16 v16, v24, v30, 0
	v_fma_mixlo_f16 v29, v24, v49, 0
	v_lshlrev_b32_e32 v16, 16, v16
	v_cmp_eq_u32_e32 vcc, v36, v32
	v_or_b32_sdwa v24, v16, v29 dst_sel:DWORD dst_unused:UNUSED_PAD src0_sel:DWORD src1_sel:WORD_0
	v_add_u32_e32 v43, 1, v7
	v_or_b32_e32 v54, 3, v7
	v_or_b32_e32 v53, 2, v7
	;; [unrolled: 1-line block ×6, first 2 shown]
	s_and_saveexec_b64 s[22:23], vcc
	s_cbranch_execz .LBB295_477
; %bb.476:                              ;   in Loop: Header=BB295_427 Depth=1
	v_lshrrev_b32_e32 v16, 16, v28
	v_cmp_lt_i32_e64 s[4:5], v43, v17
	v_accvgpr_read_b32 v30, a8
	v_cndmask_b32_e64 v16, 0, v16, s[4:5]
	v_cmp_lt_i32_e64 s[4:5], v7, v30
	v_cndmask_b32_e64 v28, 0, v28, s[4:5]
	v_perm_b32 v28, v16, v28, s31
	v_lshrrev_b32_e32 v16, 16, v10
	v_cmp_lt_i32_e64 s[4:5], v54, v17
	v_cndmask_b32_e64 v16, 0, v16, s[4:5]
	v_cmp_lt_i32_e64 s[4:5], v53, v30
	v_cndmask_b32_e64 v10, 0, v10, s[4:5]
	v_perm_b32 v10, v16, v10, s31
	v_lshrrev_b32_e32 v16, 16, v6
	v_cmp_lt_i32_e64 s[4:5], v52, v17
	;; [unrolled: 6-line block ×3, first 2 shown]
	v_cndmask_b32_e64 v16, 0, v16, s[4:5]
	v_cmp_lt_i32_e64 s[4:5], v49, v30
	v_cndmask_b32_e64 v24, 0, v29, s[4:5]
	v_perm_b32 v24, v16, v24, s31
.LBB295_477:                            ;   in Loop: Header=BB295_427 Depth=1
	s_or_b64 exec, exec, s[22:23]
	v_and_b32_e32 v4, 0xffff, v4
	v_lshl_or_b32 v55, v5, 16, v4
	v_and_b32_e32 v4, 0xffff, v22
	v_lshl_or_b32 v40, v25, 16, v4
	v_and_b32_e32 v4, 0xffff, v26
	v_lshl_or_b32 v41, v27, 16, v4
	v_and_b32_e32 v4, 0xffff, v34
	v_lshl_or_b32 v42, v35, 16, v4
	;;#ASMSTART
	v_pk_mul_f16 v4, v55, v28;

	;;#ASMEND
	;;#ASMSTART
	v_pk_mul_f16 v5, v40, v10;

	;;#ASMEND
	;; [unrolled: 4-line block ×4, first 2 shown]
	;;#ASMSTART
	v_pk_add_f16 v4, v4, v5;

	;;#ASMEND
	;;#ASMSTART
	v_pk_add_f16 v4, v4, v6;

	;;#ASMEND
	;;#ASMSTART
	v_pk_add_f16 v4, v4, v10;

	;;#ASMEND
	v_lshrrev_b32_e32 v5, 16, v4
	v_and_b32_e32 v4, 0xffff, v4
	;;#ASMSTART
	v_cvt_f32_f16 v44, v4;
	;;#ASMEND
	;;#ASMSTART
	v_cvt_f32_f16 v45, v5;
	;;#ASMEND
	v_accvgpr_read_b32 v4, a4
	flat_load_dwordx2 v[32:33], v[18:19] offset:512
	v_accvgpr_read_b32 v5, a5
	flat_load_dword v24, v[4:5]
	v_mov_b32_e32 v30, 0
	v_mov_b32_e32 v28, 0
	s_waitcnt vmcnt(0) lgkmcnt(0)
	v_cmp_ne_u16_sdwa s[4:5], v32, v11 src0_sel:BYTE_0 src1_sel:DWORD
	s_and_saveexec_b64 s[22:23], s[4:5]
	s_cbranch_execz .LBB295_483
; %bb.478:                              ;   in Loop: Header=BB295_427 Depth=1
	v_cmp_ne_u16_sdwa s[4:5], v32, s7 src0_sel:BYTE_0 src1_sel:DWORD
	v_bfrev_b32_e32 v28, 1
	s_and_saveexec_b64 s[24:25], s[4:5]
	s_cbranch_execz .LBB295_482
; %bb.479:                              ;   in Loop: Header=BB295_427 Depth=1
	v_and_b32_e32 v4, 0x7f, v32
	v_cmp_ne_u32_e64 s[4:5], s15, v4
	v_mov_b32_e32 v28, 0x7fc02000
	s_and_saveexec_b64 s[26:27], s[4:5]
	s_cbranch_execz .LBB295_481
; %bb.480:                              ;   in Loop: Header=BB295_427 Depth=1
	v_and_b32_e32 v5, 7, v32
	v_ffbh_u32_e32 v5, v5
	v_min_u32_e32 v5, 32, v5
	v_subrev_u32_e32 v10, 28, v5
	v_cmp_gt_u32_e64 s[4:5], 8, v4
	v_lshrrev_b32_e32 v6, 3, v4
	v_cndmask_b32_e64 v4, 0, v10, s[4:5]
	v_sub_u32_e32 v16, 29, v5
	v_lshlrev_b64 v[4:5], v4, v[32:33]
	v_cndmask_b32_e64 v5, v6, v16, s[4:5]
	v_lshlrev_b32_e32 v6, 8, v32
	v_lshl_add_u32 v5, v5, 10, v48
	v_lshlrev_b32_e32 v4, 7, v4
	v_and_or_b32 v5, v6, s19, v5
	v_and_or_b32 v4, v4, s28, v5
	v_cvt_f32_f16_e32 v28, v4
.LBB295_481:                            ;   in Loop: Header=BB295_427 Depth=1
	s_or_b64 exec, exec, s[26:27]
.LBB295_482:                            ;   in Loop: Header=BB295_427 Depth=1
	s_or_b64 exec, exec, s[24:25]
.LBB295_483:                            ;   in Loop: Header=BB295_427 Depth=1
	s_or_b64 exec, exec, s[22:23]
	v_lshrrev_b16_e32 v10, 8, v32
	v_cmp_ne_u16_e64 s[4:5], 0, v10
	s_and_saveexec_b64 s[22:23], s[4:5]
	s_cbranch_execz .LBB295_489
; %bb.484:                              ;   in Loop: Header=BB295_427 Depth=1
	v_cmp_ne_u16_e64 s[4:5], s7, v10
	v_bfrev_b32_e32 v30, 1
	s_and_saveexec_b64 s[24:25], s[4:5]
	s_cbranch_execz .LBB295_488
; %bb.485:                              ;   in Loop: Header=BB295_427 Depth=1
	v_and_b32_e32 v4, 0x7f, v10
	v_cmp_ne_u32_e64 s[4:5], s15, v4
	v_mov_b32_e32 v30, 0x7fc02000
	s_and_saveexec_b64 s[26:27], s[4:5]
	s_cbranch_execz .LBB295_487
; %bb.486:                              ;   in Loop: Header=BB295_427 Depth=1
	v_and_b32_e32 v5, 7, v10
	v_ffbh_u32_e32 v16, v5
	v_min_u32_e32 v16, 32, v16
	v_lshrrev_b32_e32 v6, 3, v4
	v_subrev_u32_e32 v22, 28, v16
	v_sub_u32_e32 v16, 29, v16
	v_cmp_gt_u32_e64 s[4:5], 8, v4
	v_lshlrev_b64 v[26:27], v22, v[10:11]
	v_cndmask_b32_e64 v4, v6, v16, s[4:5]
	v_and_b32_e32 v22, 7, v26
	v_lshlrev_b32_e32 v6, 8, v10
	v_lshl_add_u32 v4, v4, 10, v48
	v_cndmask_b32_e64 v5, v5, v22, s[4:5]
	v_and_or_b32 v4, v6, s19, v4
	v_lshl_or_b32 v4, v5, 7, v4
	v_cvt_f32_f16_e32 v30, v4
.LBB295_487:                            ;   in Loop: Header=BB295_427 Depth=1
	s_or_b64 exec, exec, s[26:27]
.LBB295_488:                            ;   in Loop: Header=BB295_427 Depth=1
	s_or_b64 exec, exec, s[24:25]
.LBB295_489:                            ;   in Loop: Header=BB295_427 Depth=1
	s_or_b64 exec, exec, s[22:23]
	v_lshrrev_b32_e32 v10, 16, v32
	v_cmp_ne_u16_sdwa s[4:5], v10, v11 src0_sel:BYTE_0 src1_sel:DWORD
	v_mov_b32_e32 v31, 0
	v_mov_b32_e32 v29, 0
	s_and_saveexec_b64 s[22:23], s[4:5]
	s_cbranch_execz .LBB295_495
; %bb.490:                              ;   in Loop: Header=BB295_427 Depth=1
	v_cmp_ne_u16_sdwa s[4:5], v10, s7 src0_sel:BYTE_0 src1_sel:DWORD
	v_bfrev_b32_e32 v29, 1
	s_and_saveexec_b64 s[24:25], s[4:5]
	s_cbranch_execz .LBB295_494
; %bb.491:                              ;   in Loop: Header=BB295_427 Depth=1
	v_bfe_u32 v4, v32, 16, 7
	v_cmp_ne_u32_e64 s[4:5], s15, v4
	v_mov_b32_e32 v29, 0x7fc02000
	s_and_saveexec_b64 s[26:27], s[4:5]
	s_cbranch_execz .LBB295_493
; %bb.492:                              ;   in Loop: Header=BB295_427 Depth=1
	v_and_b32_e32 v5, 7, v10
	v_ffbh_u32_e32 v16, v5
	v_min_u32_e32 v16, 32, v16
	v_lshrrev_b32_e32 v6, 3, v4
	v_subrev_u32_e32 v22, 28, v16
	v_sub_u32_e32 v16, 29, v16
	v_cmp_gt_u32_e64 s[4:5], 8, v4
	v_lshlrev_b64 v[26:27], v22, v[10:11]
	v_cndmask_b32_e64 v4, v6, v16, s[4:5]
	v_and_b32_e32 v22, 7, v26
	v_lshlrev_b32_e32 v6, 8, v10
	v_lshl_add_u32 v4, v4, 10, v48
	v_cndmask_b32_e64 v5, v5, v22, s[4:5]
	v_and_or_b32 v4, v6, s19, v4
	v_lshl_or_b32 v4, v5, 7, v4
	v_cvt_f32_f16_e32 v29, v4
.LBB295_493:                            ;   in Loop: Header=BB295_427 Depth=1
	s_or_b64 exec, exec, s[26:27]
.LBB295_494:                            ;   in Loop: Header=BB295_427 Depth=1
	s_or_b64 exec, exec, s[24:25]
.LBB295_495:                            ;   in Loop: Header=BB295_427 Depth=1
	s_or_b64 exec, exec, s[22:23]
	v_cmp_lt_u32_e64 s[4:5], s11, v32
	s_and_saveexec_b64 s[22:23], s[4:5]
	s_cbranch_execz .LBB295_501
; %bb.496:                              ;   in Loop: Header=BB295_427 Depth=1
	v_lshrrev_b32_e32 v10, 24, v32
	v_cmp_ne_u32_e64 s[4:5], s7, v10
	v_bfrev_b32_e32 v31, 1
	s_and_saveexec_b64 s[24:25], s[4:5]
	s_cbranch_execz .LBB295_500
; %bb.497:                              ;   in Loop: Header=BB295_427 Depth=1
	v_and_b32_e32 v4, 0x7f, v10
	v_cmp_ne_u32_e64 s[4:5], s15, v4
	v_mov_b32_e32 v31, 0x7fc02000
	s_and_saveexec_b64 s[26:27], s[4:5]
	s_cbranch_execz .LBB295_499
; %bb.498:                              ;   in Loop: Header=BB295_427 Depth=1
	v_and_b32_e32 v5, 7, v10
	v_ffbh_u32_e32 v16, v5
	v_min_u32_e32 v16, 32, v16
	v_lshrrev_b32_e32 v6, 3, v4
	v_subrev_u32_e32 v22, 28, v16
	v_sub_u32_e32 v16, 29, v16
	v_cmp_gt_u32_e64 s[4:5], 8, v4
	v_lshlrev_b64 v[26:27], v22, v[10:11]
	v_cndmask_b32_e64 v4, v6, v16, s[4:5]
	v_and_b32_e32 v22, 7, v26
	v_lshlrev_b32_e32 v6, 8, v10
	v_lshl_add_u32 v4, v4, 10, v48
	v_cndmask_b32_e64 v5, v5, v22, s[4:5]
	v_and_or_b32 v4, v6, s19, v4
	v_lshl_or_b32 v4, v5, 7, v4
	v_cvt_f32_f16_e32 v31, v4
.LBB295_499:                            ;   in Loop: Header=BB295_427 Depth=1
	s_or_b64 exec, exec, s[26:27]
.LBB295_500:                            ;   in Loop: Header=BB295_427 Depth=1
	s_or_b64 exec, exec, s[24:25]
.LBB295_501:                            ;   in Loop: Header=BB295_427 Depth=1
	s_or_b64 exec, exec, s[22:23]
	v_mov_b32_e32 v10, v33
	v_cmp_ne_u16_sdwa s[4:5], v33, v11 src0_sel:BYTE_0 src1_sel:DWORD
	v_mov_b32_e32 v5, 0
	v_mov_b32_e32 v4, 0
	s_and_saveexec_b64 s[22:23], s[4:5]
	s_cbranch_execz .LBB295_507
; %bb.502:                              ;   in Loop: Header=BB295_427 Depth=1
	v_cmp_ne_u16_sdwa s[4:5], v33, s7 src0_sel:BYTE_0 src1_sel:DWORD
	v_bfrev_b32_e32 v4, 1
	s_and_saveexec_b64 s[24:25], s[4:5]
	s_cbranch_execz .LBB295_506
; %bb.503:                              ;   in Loop: Header=BB295_427 Depth=1
	v_and_b32_e32 v6, 0x7f, v33
	v_cmp_ne_u32_e64 s[4:5], s15, v6
	v_mov_b32_e32 v4, 0x7fc02000
	s_and_saveexec_b64 s[26:27], s[4:5]
	s_cbranch_execz .LBB295_505
; %bb.504:                              ;   in Loop: Header=BB295_427 Depth=1
	v_and_b32_e32 v4, 7, v33
	v_ffbh_u32_e32 v4, v4
	v_min_u32_e32 v4, 32, v4
	v_lshrrev_b32_e32 v16, 3, v6
	v_subrev_u32_e32 v22, 28, v4
	v_sub_u32_e32 v4, 29, v4
	v_cmp_gt_u32_e64 s[4:5], 8, v6
	v_cndmask_b32_e64 v6, 0, v22, s[4:5]
	v_cndmask_b32_e64 v4, v16, v4, s[4:5]
	v_lshlrev_b64 v[26:27], v6, v[10:11]
	v_lshlrev_b32_e32 v16, 8, v33
	v_lshl_add_u32 v4, v4, 10, v48
	v_lshlrev_b32_e32 v6, 7, v26
	v_and_or_b32 v4, v16, s19, v4
	v_and_or_b32 v4, v6, s28, v4
	v_cvt_f32_f16_e32 v4, v4
.LBB295_505:                            ;   in Loop: Header=BB295_427 Depth=1
	s_or_b64 exec, exec, s[26:27]
.LBB295_506:                            ;   in Loop: Header=BB295_427 Depth=1
	s_or_b64 exec, exec, s[24:25]
.LBB295_507:                            ;   in Loop: Header=BB295_427 Depth=1
	s_or_b64 exec, exec, s[22:23]
	v_lshrrev_b16_e32 v10, 8, v10
	v_cmp_ne_u16_e64 s[4:5], 0, v10
	s_and_saveexec_b64 s[22:23], s[4:5]
	s_cbranch_execz .LBB295_513
; %bb.508:                              ;   in Loop: Header=BB295_427 Depth=1
	v_cmp_ne_u16_e64 s[4:5], s7, v10
	v_bfrev_b32_e32 v5, 1
	s_and_saveexec_b64 s[24:25], s[4:5]
	s_cbranch_execz .LBB295_512
; %bb.509:                              ;   in Loop: Header=BB295_427 Depth=1
	v_and_b32_e32 v6, 0x7f, v10
	v_cmp_ne_u32_e64 s[4:5], s15, v6
	v_mov_b32_e32 v5, 0x7fc02000
	s_and_saveexec_b64 s[26:27], s[4:5]
	s_cbranch_execz .LBB295_511
; %bb.510:                              ;   in Loop: Header=BB295_427 Depth=1
	v_and_b32_e32 v5, 7, v10
	v_ffbh_u32_e32 v22, v5
	v_min_u32_e32 v22, 32, v22
	v_lshrrev_b32_e32 v16, 3, v6
	v_subrev_u32_e32 v25, 28, v22
	v_sub_u32_e32 v22, 29, v22
	v_cmp_gt_u32_e64 s[4:5], 8, v6
	v_lshlrev_b64 v[26:27], v25, v[10:11]
	v_cndmask_b32_e64 v6, v16, v22, s[4:5]
	v_and_b32_e32 v25, 7, v26
	v_lshlrev_b32_e32 v10, 8, v10
	v_lshl_add_u32 v6, v6, 10, v48
	v_cndmask_b32_e64 v5, v5, v25, s[4:5]
	v_and_or_b32 v6, v10, s19, v6
	v_lshl_or_b32 v5, v5, 7, v6
	v_cvt_f32_f16_e32 v5, v5
.LBB295_511:                            ;   in Loop: Header=BB295_427 Depth=1
	s_or_b64 exec, exec, s[26:27]
.LBB295_512:                            ;   in Loop: Header=BB295_427 Depth=1
	s_or_b64 exec, exec, s[24:25]
.LBB295_513:                            ;   in Loop: Header=BB295_427 Depth=1
	s_or_b64 exec, exec, s[22:23]
	v_lshrrev_b32_e32 v10, 16, v33
	v_cmp_ne_u16_sdwa s[4:5], v10, v11 src0_sel:BYTE_0 src1_sel:DWORD
	v_mov_b32_e32 v6, 0
	v_mov_b32_e32 v22, 0
	s_and_saveexec_b64 s[22:23], s[4:5]
	s_cbranch_execz .LBB295_519
; %bb.514:                              ;   in Loop: Header=BB295_427 Depth=1
	v_cmp_ne_u16_sdwa s[4:5], v10, s7 src0_sel:BYTE_0 src1_sel:DWORD
	v_bfrev_b32_e32 v22, 1
	s_and_saveexec_b64 s[24:25], s[4:5]
	s_cbranch_execz .LBB295_518
; %bb.515:                              ;   in Loop: Header=BB295_427 Depth=1
	v_bfe_u32 v25, v33, 16, 7
	v_cmp_ne_u32_e64 s[4:5], s15, v25
	v_mov_b32_e32 v22, 0x7fc02000
	s_and_saveexec_b64 s[26:27], s[4:5]
	s_cbranch_execz .LBB295_517
; %bb.516:                              ;   in Loop: Header=BB295_427 Depth=1
	v_and_b32_e32 v16, 7, v10
	v_ffbh_u32_e32 v26, v16
	v_min_u32_e32 v34, 32, v26
	v_subrev_u32_e32 v26, 28, v34
	v_lshlrev_b64 v[26:27], v26, v[10:11]
	v_lshrrev_b32_e32 v22, 3, v25
	v_sub_u32_e32 v27, 29, v34
	v_cmp_gt_u32_e64 s[4:5], 8, v25
	v_cndmask_b32_e64 v22, v22, v27, s[4:5]
	v_and_b32_e32 v26, 7, v26
	v_lshlrev_b32_e32 v10, 8, v10
	v_lshl_add_u32 v22, v22, 10, v48
	v_cndmask_b32_e64 v16, v16, v26, s[4:5]
	v_and_or_b32 v10, v10, s19, v22
	v_lshl_or_b32 v10, v16, 7, v10
	v_cvt_f32_f16_e32 v22, v10
.LBB295_517:                            ;   in Loop: Header=BB295_427 Depth=1
	s_or_b64 exec, exec, s[26:27]
.LBB295_518:                            ;   in Loop: Header=BB295_427 Depth=1
	s_or_b64 exec, exec, s[24:25]
.LBB295_519:                            ;   in Loop: Header=BB295_427 Depth=1
	s_or_b64 exec, exec, s[22:23]
	v_cmp_lt_u64_e64 s[4:5], s[10:11], v[32:33]
	s_and_saveexec_b64 s[22:23], s[4:5]
	s_cbranch_execz .LBB295_525
; %bb.520:                              ;   in Loop: Header=BB295_427 Depth=1
	v_lshrrev_b32_e32 v10, 24, v33
	v_cmp_ne_u32_e64 s[4:5], s7, v10
	v_bfrev_b32_e32 v6, 1
	s_and_saveexec_b64 s[24:25], s[4:5]
	s_cbranch_execz .LBB295_524
; %bb.521:                              ;   in Loop: Header=BB295_427 Depth=1
	v_and_b32_e32 v25, 0x7f, v10
	v_cmp_ne_u32_e64 s[4:5], s15, v25
	v_mov_b32_e32 v6, 0x7fc02000
	s_and_saveexec_b64 s[26:27], s[4:5]
	s_cbranch_execz .LBB295_523
; %bb.522:                              ;   in Loop: Header=BB295_427 Depth=1
	v_and_b32_e32 v6, 7, v10
	v_ffbh_u32_e32 v26, v6
	v_min_u32_e32 v32, 32, v26
	v_subrev_u32_e32 v26, 28, v32
	v_lshlrev_b64 v[26:27], v26, v[10:11]
	v_lshrrev_b32_e32 v16, 3, v25
	v_sub_u32_e32 v27, 29, v32
	v_cmp_gt_u32_e64 s[4:5], 8, v25
	v_cndmask_b32_e64 v16, v16, v27, s[4:5]
	v_and_b32_e32 v26, 7, v26
	v_lshlrev_b32_e32 v10, 8, v10
	v_lshl_add_u32 v16, v16, 10, v48
	v_cndmask_b32_e64 v6, v6, v26, s[4:5]
	v_and_or_b32 v10, v10, s19, v16
	v_lshl_or_b32 v6, v6, 7, v10
	v_cvt_f32_f16_e32 v6, v6
.LBB295_523:                            ;   in Loop: Header=BB295_427 Depth=1
	s_or_b64 exec, exec, s[26:27]
.LBB295_524:                            ;   in Loop: Header=BB295_427 Depth=1
	s_or_b64 exec, exec, s[24:25]
.LBB295_525:                            ;   in Loop: Header=BB295_427 Depth=1
	s_or_b64 exec, exec, s[22:23]
	v_pk_mul_f32 v[26:27], v[24:25], v[30:31] op_sel_hi:[0,1]
	v_pk_mul_f32 v[28:29], v[24:25], v[28:29] op_sel_hi:[0,1]
	v_cvt_f16_f32_e32 v10, v27
	v_cvt_f16_f32_e32 v16, v26
	;; [unrolled: 1-line block ×4, first 2 shown]
	v_fma_mixlo_f16 v5, v24, v5, 0
	v_lshlrev_b32_e32 v5, 16, v5
	v_fma_mixlo_f16 v4, v24, v4, 0
	v_or_b32_sdwa v4, v5, v4 dst_sel:DWORD dst_unused:UNUSED_PAD src0_sel:DWORD src1_sel:WORD_0
	v_fma_mixlo_f16 v5, v24, v6, 0
	v_pack_b32_f16 v16, v16, v10
	v_pack_b32_f16 v25, v26, v25
	v_fma_mixlo_f16 v22, v24, v22, 0
	v_lshlrev_b32_e32 v5, 16, v5
	v_perm_b32 v10, v25, v16, s29
	v_perm_b32 v25, v25, v16, s30
	v_or_b32_sdwa v5, v5, v22 dst_sel:DWORD dst_unused:UNUSED_PAD src0_sel:DWORD src1_sel:WORD_0
	s_and_saveexec_b64 s[22:23], vcc
	s_cbranch_execz .LBB295_527
; %bb.526:                              ;   in Loop: Header=BB295_427 Depth=1
	v_lshrrev_b32_e32 v6, 16, v25
	v_cmp_lt_i32_e64 s[4:5], v43, v17
	v_accvgpr_read_b32 v24, a8
	v_cndmask_b32_e64 v6, 0, v6, s[4:5]
	v_cmp_lt_i32_e64 s[4:5], v7, v24
	v_cndmask_b32_e64 v16, 0, v25, s[4:5]
	v_perm_b32 v25, v6, v16, s31
	v_lshrrev_b32_e32 v6, 16, v10
	v_cmp_lt_i32_e64 s[4:5], v54, v17
	v_cndmask_b32_e64 v6, 0, v6, s[4:5]
	v_cmp_lt_i32_e64 s[4:5], v53, v24
	v_cndmask_b32_e64 v10, 0, v10, s[4:5]
	v_perm_b32 v10, v6, v10, s31
	v_lshrrev_b32_e32 v6, 16, v4
	v_cmp_lt_i32_e64 s[4:5], v52, v17
	v_cndmask_b32_e64 v6, 0, v6, s[4:5]
	v_cmp_lt_i32_e64 s[4:5], v51, v24
	v_cndmask_b32_e64 v4, 0, v4, s[4:5]
	v_lshrrev_b32_e32 v5, 16, v5
	v_cmp_lt_i32_e64 s[4:5], v50, v17
	v_cndmask_b32_e64 v5, 0, v5, s[4:5]
	v_cmp_lt_i32_e64 s[4:5], v49, v24
	v_perm_b32 v4, v6, v4, s31
	v_cndmask_b32_e64 v6, 0, v22, s[4:5]
	v_perm_b32 v5, v5, v6, s31
.LBB295_527:                            ;   in Loop: Header=BB295_427 Depth=1
	s_or_b64 exec, exec, s[22:23]
	;;#ASMSTART
	v_pk_mul_f16 v6, v55, v25;

	;;#ASMEND
	;;#ASMSTART
	v_pk_mul_f16 v10, v40, v10;

	;;#ASMEND
	;; [unrolled: 4-line block ×4, first 2 shown]
	;;#ASMSTART
	v_pk_add_f16 v6, v6, v10;

	;;#ASMEND
	;;#ASMSTART
	v_pk_add_f16 v4, v6, v4;

	;;#ASMEND
	;; [unrolled: 4-line block ×3, first 2 shown]
	v_lshrrev_b32_e32 v5, 16, v4
	v_and_b32_e32 v4, 0xffff, v4
	;;#ASMSTART
	v_cvt_f32_f16 v46, v4;
	;;#ASMEND
	;;#ASMSTART
	v_cvt_f32_f16 v47, v5;
	;;#ASMEND
	v_accvgpr_read_b32 v4, a4
	flat_load_dwordx2 v[32:33], v[18:19] offset:1024
	v_accvgpr_read_b32 v5, a5
	flat_load_dword v24, v[4:5]
	v_mov_b32_e32 v30, 0
	v_mov_b32_e32 v28, 0
	s_waitcnt vmcnt(0) lgkmcnt(0)
	v_cmp_ne_u16_sdwa s[4:5], v32, v11 src0_sel:BYTE_0 src1_sel:DWORD
	s_and_saveexec_b64 s[22:23], s[4:5]
	s_cbranch_execz .LBB295_533
; %bb.528:                              ;   in Loop: Header=BB295_427 Depth=1
	v_cmp_ne_u16_sdwa s[4:5], v32, s7 src0_sel:BYTE_0 src1_sel:DWORD
	v_bfrev_b32_e32 v28, 1
	s_and_saveexec_b64 s[24:25], s[4:5]
	s_cbranch_execz .LBB295_532
; %bb.529:                              ;   in Loop: Header=BB295_427 Depth=1
	v_and_b32_e32 v4, 0x7f, v32
	v_cmp_ne_u32_e64 s[4:5], s15, v4
	v_mov_b32_e32 v28, 0x7fc02000
	s_and_saveexec_b64 s[26:27], s[4:5]
	s_cbranch_execz .LBB295_531
; %bb.530:                              ;   in Loop: Header=BB295_427 Depth=1
	v_and_b32_e32 v5, 7, v32
	v_ffbh_u32_e32 v5, v5
	v_min_u32_e32 v5, 32, v5
	v_subrev_u32_e32 v10, 28, v5
	v_cmp_gt_u32_e64 s[4:5], 8, v4
	v_lshrrev_b32_e32 v6, 3, v4
	v_cndmask_b32_e64 v4, 0, v10, s[4:5]
	v_sub_u32_e32 v16, 29, v5
	v_lshlrev_b64 v[4:5], v4, v[32:33]
	v_cndmask_b32_e64 v5, v6, v16, s[4:5]
	v_lshlrev_b32_e32 v6, 8, v32
	v_lshl_add_u32 v5, v5, 10, v48
	v_lshlrev_b32_e32 v4, 7, v4
	v_and_or_b32 v5, v6, s19, v5
	v_and_or_b32 v4, v4, s28, v5
	v_cvt_f32_f16_e32 v28, v4
.LBB295_531:                            ;   in Loop: Header=BB295_427 Depth=1
	s_or_b64 exec, exec, s[26:27]
.LBB295_532:                            ;   in Loop: Header=BB295_427 Depth=1
	s_or_b64 exec, exec, s[24:25]
.LBB295_533:                            ;   in Loop: Header=BB295_427 Depth=1
	s_or_b64 exec, exec, s[22:23]
	v_lshrrev_b16_e32 v10, 8, v32
	v_cmp_ne_u16_e64 s[4:5], 0, v10
	s_and_saveexec_b64 s[22:23], s[4:5]
	s_cbranch_execz .LBB295_539
; %bb.534:                              ;   in Loop: Header=BB295_427 Depth=1
	v_cmp_ne_u16_e64 s[4:5], s7, v10
	v_bfrev_b32_e32 v30, 1
	s_and_saveexec_b64 s[24:25], s[4:5]
	s_cbranch_execz .LBB295_538
; %bb.535:                              ;   in Loop: Header=BB295_427 Depth=1
	v_and_b32_e32 v4, 0x7f, v10
	v_cmp_ne_u32_e64 s[4:5], s15, v4
	v_mov_b32_e32 v30, 0x7fc02000
	s_and_saveexec_b64 s[26:27], s[4:5]
	s_cbranch_execz .LBB295_537
; %bb.536:                              ;   in Loop: Header=BB295_427 Depth=1
	v_and_b32_e32 v5, 7, v10
	v_ffbh_u32_e32 v16, v5
	v_min_u32_e32 v16, 32, v16
	v_lshrrev_b32_e32 v6, 3, v4
	v_subrev_u32_e32 v22, 28, v16
	v_sub_u32_e32 v16, 29, v16
	v_cmp_gt_u32_e64 s[4:5], 8, v4
	v_lshlrev_b64 v[26:27], v22, v[10:11]
	v_cndmask_b32_e64 v4, v6, v16, s[4:5]
	v_and_b32_e32 v22, 7, v26
	v_lshlrev_b32_e32 v6, 8, v10
	v_lshl_add_u32 v4, v4, 10, v48
	v_cndmask_b32_e64 v5, v5, v22, s[4:5]
	v_and_or_b32 v4, v6, s19, v4
	v_lshl_or_b32 v4, v5, 7, v4
	v_cvt_f32_f16_e32 v30, v4
.LBB295_537:                            ;   in Loop: Header=BB295_427 Depth=1
	s_or_b64 exec, exec, s[26:27]
.LBB295_538:                            ;   in Loop: Header=BB295_427 Depth=1
	s_or_b64 exec, exec, s[24:25]
.LBB295_539:                            ;   in Loop: Header=BB295_427 Depth=1
	s_or_b64 exec, exec, s[22:23]
	v_lshrrev_b32_e32 v10, 16, v32
	v_cmp_ne_u16_sdwa s[4:5], v10, v11 src0_sel:BYTE_0 src1_sel:DWORD
	v_mov_b32_e32 v31, 0
	v_mov_b32_e32 v29, 0
	s_and_saveexec_b64 s[22:23], s[4:5]
	s_cbranch_execz .LBB295_545
; %bb.540:                              ;   in Loop: Header=BB295_427 Depth=1
	v_cmp_ne_u16_sdwa s[4:5], v10, s7 src0_sel:BYTE_0 src1_sel:DWORD
	v_bfrev_b32_e32 v29, 1
	s_and_saveexec_b64 s[24:25], s[4:5]
	s_cbranch_execz .LBB295_544
; %bb.541:                              ;   in Loop: Header=BB295_427 Depth=1
	v_bfe_u32 v4, v32, 16, 7
	v_cmp_ne_u32_e64 s[4:5], s15, v4
	v_mov_b32_e32 v29, 0x7fc02000
	s_and_saveexec_b64 s[26:27], s[4:5]
	s_cbranch_execz .LBB295_543
; %bb.542:                              ;   in Loop: Header=BB295_427 Depth=1
	v_and_b32_e32 v5, 7, v10
	v_ffbh_u32_e32 v16, v5
	v_min_u32_e32 v16, 32, v16
	v_lshrrev_b32_e32 v6, 3, v4
	v_subrev_u32_e32 v22, 28, v16
	v_sub_u32_e32 v16, 29, v16
	v_cmp_gt_u32_e64 s[4:5], 8, v4
	v_lshlrev_b64 v[26:27], v22, v[10:11]
	v_cndmask_b32_e64 v4, v6, v16, s[4:5]
	v_and_b32_e32 v22, 7, v26
	v_lshlrev_b32_e32 v6, 8, v10
	v_lshl_add_u32 v4, v4, 10, v48
	v_cndmask_b32_e64 v5, v5, v22, s[4:5]
	v_and_or_b32 v4, v6, s19, v4
	v_lshl_or_b32 v4, v5, 7, v4
	v_cvt_f32_f16_e32 v29, v4
.LBB295_543:                            ;   in Loop: Header=BB295_427 Depth=1
	s_or_b64 exec, exec, s[26:27]
.LBB295_544:                            ;   in Loop: Header=BB295_427 Depth=1
	s_or_b64 exec, exec, s[24:25]
.LBB295_545:                            ;   in Loop: Header=BB295_427 Depth=1
	s_or_b64 exec, exec, s[22:23]
	v_cmp_lt_u32_e64 s[4:5], s11, v32
	s_and_saveexec_b64 s[22:23], s[4:5]
	s_cbranch_execz .LBB295_551
; %bb.546:                              ;   in Loop: Header=BB295_427 Depth=1
	v_lshrrev_b32_e32 v10, 24, v32
	v_cmp_ne_u32_e64 s[4:5], s7, v10
	v_bfrev_b32_e32 v31, 1
	s_and_saveexec_b64 s[24:25], s[4:5]
	s_cbranch_execz .LBB295_550
; %bb.547:                              ;   in Loop: Header=BB295_427 Depth=1
	v_and_b32_e32 v4, 0x7f, v10
	v_cmp_ne_u32_e64 s[4:5], s15, v4
	v_mov_b32_e32 v31, 0x7fc02000
	s_and_saveexec_b64 s[26:27], s[4:5]
	s_cbranch_execz .LBB295_549
; %bb.548:                              ;   in Loop: Header=BB295_427 Depth=1
	v_and_b32_e32 v5, 7, v10
	v_ffbh_u32_e32 v16, v5
	v_min_u32_e32 v16, 32, v16
	v_lshrrev_b32_e32 v6, 3, v4
	v_subrev_u32_e32 v22, 28, v16
	v_sub_u32_e32 v16, 29, v16
	v_cmp_gt_u32_e64 s[4:5], 8, v4
	v_lshlrev_b64 v[26:27], v22, v[10:11]
	v_cndmask_b32_e64 v4, v6, v16, s[4:5]
	v_and_b32_e32 v22, 7, v26
	v_lshlrev_b32_e32 v6, 8, v10
	v_lshl_add_u32 v4, v4, 10, v48
	v_cndmask_b32_e64 v5, v5, v22, s[4:5]
	v_and_or_b32 v4, v6, s19, v4
	v_lshl_or_b32 v4, v5, 7, v4
	v_cvt_f32_f16_e32 v31, v4
.LBB295_549:                            ;   in Loop: Header=BB295_427 Depth=1
	s_or_b64 exec, exec, s[26:27]
.LBB295_550:                            ;   in Loop: Header=BB295_427 Depth=1
	s_or_b64 exec, exec, s[24:25]
.LBB295_551:                            ;   in Loop: Header=BB295_427 Depth=1
	s_or_b64 exec, exec, s[22:23]
	v_mov_b32_e32 v10, v33
	v_cmp_ne_u16_sdwa s[4:5], v33, v11 src0_sel:BYTE_0 src1_sel:DWORD
	v_mov_b32_e32 v5, 0
	v_mov_b32_e32 v4, 0
	s_and_saveexec_b64 s[22:23], s[4:5]
	s_cbranch_execz .LBB295_557
; %bb.552:                              ;   in Loop: Header=BB295_427 Depth=1
	v_cmp_ne_u16_sdwa s[4:5], v33, s7 src0_sel:BYTE_0 src1_sel:DWORD
	v_bfrev_b32_e32 v4, 1
	s_and_saveexec_b64 s[24:25], s[4:5]
	s_cbranch_execz .LBB295_556
; %bb.553:                              ;   in Loop: Header=BB295_427 Depth=1
	v_and_b32_e32 v6, 0x7f, v33
	v_cmp_ne_u32_e64 s[4:5], s15, v6
	v_mov_b32_e32 v4, 0x7fc02000
	s_and_saveexec_b64 s[26:27], s[4:5]
	s_cbranch_execz .LBB295_555
; %bb.554:                              ;   in Loop: Header=BB295_427 Depth=1
	v_and_b32_e32 v4, 7, v33
	v_ffbh_u32_e32 v4, v4
	v_min_u32_e32 v4, 32, v4
	v_lshrrev_b32_e32 v16, 3, v6
	v_subrev_u32_e32 v22, 28, v4
	v_sub_u32_e32 v4, 29, v4
	v_cmp_gt_u32_e64 s[4:5], 8, v6
	v_cndmask_b32_e64 v6, 0, v22, s[4:5]
	v_cndmask_b32_e64 v4, v16, v4, s[4:5]
	v_lshlrev_b64 v[26:27], v6, v[10:11]
	v_lshlrev_b32_e32 v16, 8, v33
	v_lshl_add_u32 v4, v4, 10, v48
	v_lshlrev_b32_e32 v6, 7, v26
	v_and_or_b32 v4, v16, s19, v4
	v_and_or_b32 v4, v6, s28, v4
	v_cvt_f32_f16_e32 v4, v4
.LBB295_555:                            ;   in Loop: Header=BB295_427 Depth=1
	s_or_b64 exec, exec, s[26:27]
.LBB295_556:                            ;   in Loop: Header=BB295_427 Depth=1
	s_or_b64 exec, exec, s[24:25]
.LBB295_557:                            ;   in Loop: Header=BB295_427 Depth=1
	s_or_b64 exec, exec, s[22:23]
	v_lshrrev_b16_e32 v10, 8, v10
	v_cmp_ne_u16_e64 s[4:5], 0, v10
	s_and_saveexec_b64 s[22:23], s[4:5]
	s_cbranch_execz .LBB295_563
; %bb.558:                              ;   in Loop: Header=BB295_427 Depth=1
	v_cmp_ne_u16_e64 s[4:5], s7, v10
	v_bfrev_b32_e32 v5, 1
	s_and_saveexec_b64 s[24:25], s[4:5]
	s_cbranch_execz .LBB295_562
; %bb.559:                              ;   in Loop: Header=BB295_427 Depth=1
	v_and_b32_e32 v6, 0x7f, v10
	v_cmp_ne_u32_e64 s[4:5], s15, v6
	v_mov_b32_e32 v5, 0x7fc02000
	s_and_saveexec_b64 s[26:27], s[4:5]
	s_cbranch_execz .LBB295_561
; %bb.560:                              ;   in Loop: Header=BB295_427 Depth=1
	v_and_b32_e32 v5, 7, v10
	v_ffbh_u32_e32 v22, v5
	v_min_u32_e32 v22, 32, v22
	v_lshrrev_b32_e32 v16, 3, v6
	v_subrev_u32_e32 v25, 28, v22
	v_sub_u32_e32 v22, 29, v22
	v_cmp_gt_u32_e64 s[4:5], 8, v6
	v_lshlrev_b64 v[26:27], v25, v[10:11]
	v_cndmask_b32_e64 v6, v16, v22, s[4:5]
	v_and_b32_e32 v25, 7, v26
	v_lshlrev_b32_e32 v10, 8, v10
	v_lshl_add_u32 v6, v6, 10, v48
	v_cndmask_b32_e64 v5, v5, v25, s[4:5]
	v_and_or_b32 v6, v10, s19, v6
	v_lshl_or_b32 v5, v5, 7, v6
	v_cvt_f32_f16_e32 v5, v5
.LBB295_561:                            ;   in Loop: Header=BB295_427 Depth=1
	s_or_b64 exec, exec, s[26:27]
.LBB295_562:                            ;   in Loop: Header=BB295_427 Depth=1
	s_or_b64 exec, exec, s[24:25]
.LBB295_563:                            ;   in Loop: Header=BB295_427 Depth=1
	s_or_b64 exec, exec, s[22:23]
	v_lshrrev_b32_e32 v10, 16, v33
	v_cmp_ne_u16_sdwa s[4:5], v10, v11 src0_sel:BYTE_0 src1_sel:DWORD
	v_mov_b32_e32 v6, 0
	v_mov_b32_e32 v22, 0
	s_and_saveexec_b64 s[22:23], s[4:5]
	s_cbranch_execz .LBB295_569
; %bb.564:                              ;   in Loop: Header=BB295_427 Depth=1
	v_cmp_ne_u16_sdwa s[4:5], v10, s7 src0_sel:BYTE_0 src1_sel:DWORD
	v_bfrev_b32_e32 v22, 1
	s_and_saveexec_b64 s[24:25], s[4:5]
	s_cbranch_execz .LBB295_568
; %bb.565:                              ;   in Loop: Header=BB295_427 Depth=1
	v_bfe_u32 v25, v33, 16, 7
	v_cmp_ne_u32_e64 s[4:5], s15, v25
	v_mov_b32_e32 v22, 0x7fc02000
	s_and_saveexec_b64 s[26:27], s[4:5]
	s_cbranch_execz .LBB295_567
; %bb.566:                              ;   in Loop: Header=BB295_427 Depth=1
	v_and_b32_e32 v16, 7, v10
	v_ffbh_u32_e32 v26, v16
	v_min_u32_e32 v34, 32, v26
	v_subrev_u32_e32 v26, 28, v34
	v_lshlrev_b64 v[26:27], v26, v[10:11]
	v_lshrrev_b32_e32 v22, 3, v25
	v_sub_u32_e32 v27, 29, v34
	v_cmp_gt_u32_e64 s[4:5], 8, v25
	v_cndmask_b32_e64 v22, v22, v27, s[4:5]
	v_and_b32_e32 v26, 7, v26
	v_lshlrev_b32_e32 v10, 8, v10
	v_lshl_add_u32 v22, v22, 10, v48
	v_cndmask_b32_e64 v16, v16, v26, s[4:5]
	v_and_or_b32 v10, v10, s19, v22
	v_lshl_or_b32 v10, v16, 7, v10
	v_cvt_f32_f16_e32 v22, v10
.LBB295_567:                            ;   in Loop: Header=BB295_427 Depth=1
	s_or_b64 exec, exec, s[26:27]
.LBB295_568:                            ;   in Loop: Header=BB295_427 Depth=1
	s_or_b64 exec, exec, s[24:25]
.LBB295_569:                            ;   in Loop: Header=BB295_427 Depth=1
	s_or_b64 exec, exec, s[22:23]
	v_cmp_lt_u64_e64 s[4:5], s[10:11], v[32:33]
	s_and_saveexec_b64 s[22:23], s[4:5]
	s_cbranch_execz .LBB295_575
; %bb.570:                              ;   in Loop: Header=BB295_427 Depth=1
	v_lshrrev_b32_e32 v10, 24, v33
	v_cmp_ne_u32_e64 s[4:5], s7, v10
	v_bfrev_b32_e32 v6, 1
	s_and_saveexec_b64 s[24:25], s[4:5]
	s_cbranch_execz .LBB295_574
; %bb.571:                              ;   in Loop: Header=BB295_427 Depth=1
	v_and_b32_e32 v25, 0x7f, v10
	v_cmp_ne_u32_e64 s[4:5], s15, v25
	v_mov_b32_e32 v6, 0x7fc02000
	s_and_saveexec_b64 s[26:27], s[4:5]
	s_cbranch_execz .LBB295_573
; %bb.572:                              ;   in Loop: Header=BB295_427 Depth=1
	v_and_b32_e32 v6, 7, v10
	v_ffbh_u32_e32 v26, v6
	v_min_u32_e32 v32, 32, v26
	v_subrev_u32_e32 v26, 28, v32
	v_lshlrev_b64 v[26:27], v26, v[10:11]
	v_lshrrev_b32_e32 v16, 3, v25
	v_sub_u32_e32 v27, 29, v32
	v_cmp_gt_u32_e64 s[4:5], 8, v25
	v_cndmask_b32_e64 v16, v16, v27, s[4:5]
	v_and_b32_e32 v26, 7, v26
	v_lshlrev_b32_e32 v10, 8, v10
	v_lshl_add_u32 v16, v16, 10, v48
	v_cndmask_b32_e64 v6, v6, v26, s[4:5]
	v_and_or_b32 v10, v10, s19, v16
	v_lshl_or_b32 v6, v6, 7, v10
	v_cvt_f32_f16_e32 v6, v6
.LBB295_573:                            ;   in Loop: Header=BB295_427 Depth=1
	s_or_b64 exec, exec, s[26:27]
.LBB295_574:                            ;   in Loop: Header=BB295_427 Depth=1
	s_or_b64 exec, exec, s[24:25]
.LBB295_575:                            ;   in Loop: Header=BB295_427 Depth=1
	s_or_b64 exec, exec, s[22:23]
	v_pk_mul_f32 v[26:27], v[24:25], v[30:31] op_sel_hi:[0,1]
	v_pk_mul_f32 v[28:29], v[24:25], v[28:29] op_sel_hi:[0,1]
	v_cvt_f16_f32_e32 v10, v27
	v_cvt_f16_f32_e32 v16, v26
	;; [unrolled: 1-line block ×4, first 2 shown]
	v_fma_mixlo_f16 v5, v24, v5, 0
	v_lshlrev_b32_e32 v5, 16, v5
	v_fma_mixlo_f16 v4, v24, v4, 0
	v_or_b32_sdwa v4, v5, v4 dst_sel:DWORD dst_unused:UNUSED_PAD src0_sel:DWORD src1_sel:WORD_0
	v_fma_mixlo_f16 v5, v24, v6, 0
	v_pack_b32_f16 v16, v16, v10
	v_pack_b32_f16 v25, v26, v25
	v_fma_mixlo_f16 v22, v24, v22, 0
	v_lshlrev_b32_e32 v5, 16, v5
	v_perm_b32 v10, v25, v16, s29
	v_perm_b32 v25, v25, v16, s30
	v_or_b32_sdwa v5, v5, v22 dst_sel:DWORD dst_unused:UNUSED_PAD src0_sel:DWORD src1_sel:WORD_0
	s_and_saveexec_b64 s[22:23], vcc
	s_cbranch_execz .LBB295_577
; %bb.576:                              ;   in Loop: Header=BB295_427 Depth=1
	v_lshrrev_b32_e32 v6, 16, v25
	v_cmp_lt_i32_e64 s[4:5], v43, v17
	v_accvgpr_read_b32 v24, a8
	v_cndmask_b32_e64 v6, 0, v6, s[4:5]
	v_cmp_lt_i32_e64 s[4:5], v7, v24
	v_cndmask_b32_e64 v16, 0, v25, s[4:5]
	v_perm_b32 v25, v6, v16, s31
	v_lshrrev_b32_e32 v6, 16, v10
	v_cmp_lt_i32_e64 s[4:5], v54, v17
	v_cndmask_b32_e64 v6, 0, v6, s[4:5]
	v_cmp_lt_i32_e64 s[4:5], v53, v24
	v_cndmask_b32_e64 v10, 0, v10, s[4:5]
	v_perm_b32 v10, v6, v10, s31
	v_lshrrev_b32_e32 v6, 16, v4
	v_cmp_lt_i32_e64 s[4:5], v52, v17
	v_cndmask_b32_e64 v6, 0, v6, s[4:5]
	v_cmp_lt_i32_e64 s[4:5], v51, v24
	v_cndmask_b32_e64 v4, 0, v4, s[4:5]
	v_lshrrev_b32_e32 v5, 16, v5
	v_cmp_lt_i32_e64 s[4:5], v50, v17
	v_cndmask_b32_e64 v5, 0, v5, s[4:5]
	v_cmp_lt_i32_e64 s[4:5], v49, v24
	v_perm_b32 v4, v6, v4, s31
	v_cndmask_b32_e64 v6, 0, v22, s[4:5]
	v_perm_b32 v5, v5, v6, s31
.LBB295_577:                            ;   in Loop: Header=BB295_427 Depth=1
	s_or_b64 exec, exec, s[22:23]
	;;#ASMSTART
	v_pk_mul_f16 v6, v55, v25;

	;;#ASMEND
	;;#ASMSTART
	v_pk_mul_f16 v10, v40, v10;

	;;#ASMEND
	;; [unrolled: 4-line block ×4, first 2 shown]
	;;#ASMSTART
	v_pk_add_f16 v6, v6, v10;

	;;#ASMEND
	;;#ASMSTART
	v_pk_add_f16 v4, v6, v4;

	;;#ASMEND
	;; [unrolled: 4-line block ×3, first 2 shown]
	v_lshrrev_b32_e32 v5, 16, v4
	v_and_b32_e32 v4, 0xffff, v4
	v_accvgpr_read_b32 v25, a5
	;;#ASMSTART
	v_cvt_f32_f16 v4, v4;
	;;#ASMEND
	;;#ASMSTART
	v_cvt_f32_f16 v5, v5;
	;;#ASMEND
	flat_load_dwordx2 v[32:33], v[18:19] offset:1536
	v_accvgpr_read_b32 v24, a4
	flat_load_dword v24, v[24:25]
	v_mov_b32_e32 v30, 0
	v_mov_b32_e32 v28, 0
	s_waitcnt vmcnt(0) lgkmcnt(0)
	v_cmp_ne_u16_sdwa s[4:5], v32, v11 src0_sel:BYTE_0 src1_sel:DWORD
	s_and_saveexec_b64 s[22:23], s[4:5]
	s_cbranch_execz .LBB295_583
; %bb.578:                              ;   in Loop: Header=BB295_427 Depth=1
	v_cmp_ne_u16_sdwa s[4:5], v32, s7 src0_sel:BYTE_0 src1_sel:DWORD
	v_bfrev_b32_e32 v28, 1
	s_and_saveexec_b64 s[24:25], s[4:5]
	s_cbranch_execz .LBB295_582
; %bb.579:                              ;   in Loop: Header=BB295_427 Depth=1
	v_and_b32_e32 v6, 0x7f, v32
	v_cmp_ne_u32_e64 s[4:5], s15, v6
	v_mov_b32_e32 v28, 0x7fc02000
	s_and_saveexec_b64 s[26:27], s[4:5]
	s_cbranch_execz .LBB295_581
; %bb.580:                              ;   in Loop: Header=BB295_427 Depth=1
	v_and_b32_e32 v10, 7, v32
	v_ffbh_u32_e32 v10, v10
	v_min_u32_e32 v10, 32, v10
	v_subrev_u32_e32 v22, 28, v10
	v_cmp_gt_u32_e64 s[4:5], 8, v6
	v_lshrrev_b32_e32 v16, 3, v6
	v_sub_u32_e32 v10, 29, v10
	v_cndmask_b32_e64 v6, 0, v22, s[4:5]
	v_lshlrev_b64 v[26:27], v6, v[32:33]
	v_cndmask_b32_e64 v6, v16, v10, s[4:5]
	v_lshlrev_b32_e32 v16, 8, v32
	v_lshl_add_u32 v6, v6, 10, v48
	v_lshlrev_b32_e32 v10, 7, v26
	v_and_or_b32 v6, v16, s19, v6
	v_and_or_b32 v6, v10, s28, v6
	v_cvt_f32_f16_e32 v28, v6
.LBB295_581:                            ;   in Loop: Header=BB295_427 Depth=1
	s_or_b64 exec, exec, s[26:27]
.LBB295_582:                            ;   in Loop: Header=BB295_427 Depth=1
	s_or_b64 exec, exec, s[24:25]
.LBB295_583:                            ;   in Loop: Header=BB295_427 Depth=1
	s_or_b64 exec, exec, s[22:23]
	v_lshrrev_b16_e32 v10, 8, v32
	v_cmp_ne_u16_e64 s[4:5], 0, v10
	s_and_saveexec_b64 s[22:23], s[4:5]
	s_cbranch_execz .LBB295_589
; %bb.584:                              ;   in Loop: Header=BB295_427 Depth=1
	v_cmp_ne_u16_e64 s[4:5], s7, v10
	v_bfrev_b32_e32 v30, 1
	s_and_saveexec_b64 s[24:25], s[4:5]
	s_cbranch_execz .LBB295_588
; %bb.585:                              ;   in Loop: Header=BB295_427 Depth=1
	v_and_b32_e32 v6, 0x7f, v10
	v_cmp_ne_u32_e64 s[4:5], s15, v6
	v_mov_b32_e32 v30, 0x7fc02000
	s_and_saveexec_b64 s[26:27], s[4:5]
	s_cbranch_execz .LBB295_587
; %bb.586:                              ;   in Loop: Header=BB295_427 Depth=1
	v_and_b32_e32 v16, 7, v10
	v_ffbh_u32_e32 v25, v16
	v_min_u32_e32 v25, 32, v25
	v_lshrrev_b32_e32 v22, 3, v6
	v_subrev_u32_e32 v26, 28, v25
	v_sub_u32_e32 v25, 29, v25
	v_cmp_gt_u32_e64 s[4:5], 8, v6
	v_lshlrev_b64 v[26:27], v26, v[10:11]
	v_cndmask_b32_e64 v6, v22, v25, s[4:5]
	v_and_b32_e32 v26, 7, v26
	v_lshlrev_b32_e32 v10, 8, v10
	v_lshl_add_u32 v6, v6, 10, v48
	v_cndmask_b32_e64 v16, v16, v26, s[4:5]
	v_and_or_b32 v6, v10, s19, v6
	v_lshl_or_b32 v6, v16, 7, v6
	v_cvt_f32_f16_e32 v30, v6
.LBB295_587:                            ;   in Loop: Header=BB295_427 Depth=1
	s_or_b64 exec, exec, s[26:27]
.LBB295_588:                            ;   in Loop: Header=BB295_427 Depth=1
	s_or_b64 exec, exec, s[24:25]
.LBB295_589:                            ;   in Loop: Header=BB295_427 Depth=1
	s_or_b64 exec, exec, s[22:23]
	v_lshrrev_b32_e32 v10, 16, v32
	v_cmp_ne_u16_sdwa s[4:5], v10, v11 src0_sel:BYTE_0 src1_sel:DWORD
	v_mov_b32_e32 v31, 0
	v_mov_b32_e32 v29, 0
	s_and_saveexec_b64 s[22:23], s[4:5]
	s_cbranch_execz .LBB295_595
; %bb.590:                              ;   in Loop: Header=BB295_427 Depth=1
	v_cmp_ne_u16_sdwa s[4:5], v10, s7 src0_sel:BYTE_0 src1_sel:DWORD
	v_bfrev_b32_e32 v29, 1
	s_and_saveexec_b64 s[24:25], s[4:5]
	s_cbranch_execz .LBB295_594
; %bb.591:                              ;   in Loop: Header=BB295_427 Depth=1
	v_bfe_u32 v6, v32, 16, 7
	v_cmp_ne_u32_e64 s[4:5], s15, v6
	v_mov_b32_e32 v29, 0x7fc02000
	s_and_saveexec_b64 s[26:27], s[4:5]
	s_cbranch_execz .LBB295_593
; %bb.592:                              ;   in Loop: Header=BB295_427 Depth=1
	v_and_b32_e32 v16, 7, v10
	v_ffbh_u32_e32 v25, v16
	v_min_u32_e32 v25, 32, v25
	v_lshrrev_b32_e32 v22, 3, v6
	v_subrev_u32_e32 v26, 28, v25
	v_sub_u32_e32 v25, 29, v25
	v_cmp_gt_u32_e64 s[4:5], 8, v6
	v_lshlrev_b64 v[26:27], v26, v[10:11]
	v_cndmask_b32_e64 v6, v22, v25, s[4:5]
	v_and_b32_e32 v26, 7, v26
	v_lshlrev_b32_e32 v10, 8, v10
	v_lshl_add_u32 v6, v6, 10, v48
	v_cndmask_b32_e64 v16, v16, v26, s[4:5]
	v_and_or_b32 v6, v10, s19, v6
	v_lshl_or_b32 v6, v16, 7, v6
	v_cvt_f32_f16_e32 v29, v6
.LBB295_593:                            ;   in Loop: Header=BB295_427 Depth=1
	s_or_b64 exec, exec, s[26:27]
.LBB295_594:                            ;   in Loop: Header=BB295_427 Depth=1
	s_or_b64 exec, exec, s[24:25]
.LBB295_595:                            ;   in Loop: Header=BB295_427 Depth=1
	s_or_b64 exec, exec, s[22:23]
	v_cmp_lt_u32_e64 s[4:5], s11, v32
	s_and_saveexec_b64 s[22:23], s[4:5]
	s_cbranch_execz .LBB295_601
; %bb.596:                              ;   in Loop: Header=BB295_427 Depth=1
	v_lshrrev_b32_e32 v10, 24, v32
	v_cmp_ne_u32_e64 s[4:5], s7, v10
	v_bfrev_b32_e32 v31, 1
	s_and_saveexec_b64 s[24:25], s[4:5]
	s_cbranch_execz .LBB295_600
; %bb.597:                              ;   in Loop: Header=BB295_427 Depth=1
	v_and_b32_e32 v6, 0x7f, v10
	v_cmp_ne_u32_e64 s[4:5], s15, v6
	v_mov_b32_e32 v31, 0x7fc02000
	s_and_saveexec_b64 s[26:27], s[4:5]
	s_cbranch_execz .LBB295_599
; %bb.598:                              ;   in Loop: Header=BB295_427 Depth=1
	v_and_b32_e32 v16, 7, v10
	v_ffbh_u32_e32 v25, v16
	v_min_u32_e32 v25, 32, v25
	v_lshrrev_b32_e32 v22, 3, v6
	v_subrev_u32_e32 v26, 28, v25
	v_sub_u32_e32 v25, 29, v25
	v_cmp_gt_u32_e64 s[4:5], 8, v6
	v_lshlrev_b64 v[26:27], v26, v[10:11]
	v_cndmask_b32_e64 v6, v22, v25, s[4:5]
	v_and_b32_e32 v26, 7, v26
	v_lshlrev_b32_e32 v10, 8, v10
	v_lshl_add_u32 v6, v6, 10, v48
	v_cndmask_b32_e64 v16, v16, v26, s[4:5]
	v_and_or_b32 v6, v10, s19, v6
	v_lshl_or_b32 v6, v16, 7, v6
	v_cvt_f32_f16_e32 v31, v6
.LBB295_599:                            ;   in Loop: Header=BB295_427 Depth=1
	s_or_b64 exec, exec, s[26:27]
.LBB295_600:                            ;   in Loop: Header=BB295_427 Depth=1
	s_or_b64 exec, exec, s[24:25]
.LBB295_601:                            ;   in Loop: Header=BB295_427 Depth=1
	s_or_b64 exec, exec, s[22:23]
	v_mov_b32_e32 v10, v33
	v_cmp_ne_u16_sdwa s[4:5], v33, v11 src0_sel:BYTE_0 src1_sel:DWORD
	v_mov_b32_e32 v22, 0
	v_mov_b32_e32 v6, 0
	s_and_saveexec_b64 s[22:23], s[4:5]
	s_cbranch_execz .LBB295_607
; %bb.602:                              ;   in Loop: Header=BB295_427 Depth=1
	v_cmp_ne_u16_sdwa s[4:5], v33, s7 src0_sel:BYTE_0 src1_sel:DWORD
	v_bfrev_b32_e32 v6, 1
	s_and_saveexec_b64 s[24:25], s[4:5]
	s_cbranch_execz .LBB295_606
; %bb.603:                              ;   in Loop: Header=BB295_427 Depth=1
	v_and_b32_e32 v25, 0x7f, v33
	v_cmp_ne_u32_e64 s[4:5], s15, v25
	v_mov_b32_e32 v6, 0x7fc02000
	s_and_saveexec_b64 s[26:27], s[4:5]
	s_cbranch_execz .LBB295_605
; %bb.604:                              ;   in Loop: Header=BB295_427 Depth=1
	v_and_b32_e32 v6, 7, v33
	v_ffbh_u32_e32 v6, v6
	v_min_u32_e32 v6, 32, v6
	v_lshrrev_b32_e32 v16, 3, v25
	v_subrev_u32_e32 v26, 28, v6
	v_sub_u32_e32 v6, 29, v6
	v_cmp_gt_u32_e64 s[4:5], 8, v25
	v_cndmask_b32_e64 v25, 0, v26, s[4:5]
	v_cndmask_b32_e64 v6, v16, v6, s[4:5]
	v_lshlrev_b64 v[26:27], v25, v[10:11]
	v_lshlrev_b32_e32 v25, 8, v33
	v_lshl_add_u32 v6, v6, 10, v48
	v_lshlrev_b32_e32 v16, 7, v26
	v_and_or_b32 v6, v25, s19, v6
	v_and_or_b32 v6, v16, s28, v6
	v_cvt_f32_f16_e32 v6, v6
.LBB295_605:                            ;   in Loop: Header=BB295_427 Depth=1
	s_or_b64 exec, exec, s[26:27]
.LBB295_606:                            ;   in Loop: Header=BB295_427 Depth=1
	s_or_b64 exec, exec, s[24:25]
.LBB295_607:                            ;   in Loop: Header=BB295_427 Depth=1
	s_or_b64 exec, exec, s[22:23]
	v_lshrrev_b16_e32 v10, 8, v10
	v_cmp_ne_u16_e64 s[4:5], 0, v10
	s_and_saveexec_b64 s[22:23], s[4:5]
	s_cbranch_execz .LBB295_613
; %bb.608:                              ;   in Loop: Header=BB295_427 Depth=1
	v_cmp_ne_u16_e64 s[4:5], s7, v10
	v_bfrev_b32_e32 v22, 1
	s_and_saveexec_b64 s[24:25], s[4:5]
	s_cbranch_execz .LBB295_612
; %bb.609:                              ;   in Loop: Header=BB295_427 Depth=1
	v_and_b32_e32 v25, 0x7f, v10
	v_cmp_ne_u32_e64 s[4:5], s15, v25
	v_mov_b32_e32 v22, 0x7fc02000
	s_and_saveexec_b64 s[26:27], s[4:5]
	s_cbranch_execz .LBB295_611
; %bb.610:                              ;   in Loop: Header=BB295_427 Depth=1
	v_and_b32_e32 v16, 7, v10
	v_ffbh_u32_e32 v26, v16
	v_min_u32_e32 v34, 32, v26
	v_subrev_u32_e32 v26, 28, v34
	v_lshlrev_b64 v[26:27], v26, v[10:11]
	v_lshrrev_b32_e32 v22, 3, v25
	v_sub_u32_e32 v27, 29, v34
	v_cmp_gt_u32_e64 s[4:5], 8, v25
	v_cndmask_b32_e64 v22, v22, v27, s[4:5]
	v_and_b32_e32 v26, 7, v26
	v_lshlrev_b32_e32 v10, 8, v10
	v_lshl_add_u32 v22, v22, 10, v48
	v_cndmask_b32_e64 v16, v16, v26, s[4:5]
	v_and_or_b32 v10, v10, s19, v22
	v_lshl_or_b32 v10, v16, 7, v10
	v_cvt_f32_f16_e32 v22, v10
.LBB295_611:                            ;   in Loop: Header=BB295_427 Depth=1
	s_or_b64 exec, exec, s[26:27]
.LBB295_612:                            ;   in Loop: Header=BB295_427 Depth=1
	s_or_b64 exec, exec, s[24:25]
.LBB295_613:                            ;   in Loop: Header=BB295_427 Depth=1
	s_or_b64 exec, exec, s[22:23]
	v_lshrrev_b32_e32 v10, 16, v33
	v_cmp_ne_u16_sdwa s[4:5], v10, v11 src0_sel:BYTE_0 src1_sel:DWORD
	v_mov_b32_e32 v25, 0
	v_mov_b32_e32 v26, 0
	s_and_saveexec_b64 s[22:23], s[4:5]
	s_cbranch_execz .LBB295_619
; %bb.614:                              ;   in Loop: Header=BB295_427 Depth=1
	v_cmp_ne_u16_sdwa s[4:5], v10, s7 src0_sel:BYTE_0 src1_sel:DWORD
	v_bfrev_b32_e32 v26, 1
	s_and_saveexec_b64 s[24:25], s[4:5]
	s_cbranch_execz .LBB295_618
; %bb.615:                              ;   in Loop: Header=BB295_427 Depth=1
	v_bfe_u32 v27, v33, 16, 7
	v_cmp_ne_u32_e64 s[4:5], s15, v27
	v_mov_b32_e32 v26, 0x7fc02000
	s_and_saveexec_b64 s[26:27], s[4:5]
	s_cbranch_execz .LBB295_617
; %bb.616:                              ;   in Loop: Header=BB295_427 Depth=1
	v_and_b32_e32 v16, 7, v10
	v_ffbh_u32_e32 v34, v16
	v_min_u32_e32 v56, 32, v34
	v_subrev_u32_e32 v34, 28, v56
	v_lshlrev_b64 v[34:35], v34, v[10:11]
	v_lshrrev_b32_e32 v26, 3, v27
	v_sub_u32_e32 v35, 29, v56
	v_cmp_gt_u32_e64 s[4:5], 8, v27
	v_cndmask_b32_e64 v26, v26, v35, s[4:5]
	v_and_b32_e32 v34, 7, v34
	v_lshlrev_b32_e32 v10, 8, v10
	v_lshl_add_u32 v26, v26, 10, v48
	v_cndmask_b32_e64 v16, v16, v34, s[4:5]
	v_and_or_b32 v10, v10, s19, v26
	v_lshl_or_b32 v10, v16, 7, v10
	v_cvt_f32_f16_e32 v26, v10
.LBB295_617:                            ;   in Loop: Header=BB295_427 Depth=1
	s_or_b64 exec, exec, s[26:27]
.LBB295_618:                            ;   in Loop: Header=BB295_427 Depth=1
	s_or_b64 exec, exec, s[24:25]
.LBB295_619:                            ;   in Loop: Header=BB295_427 Depth=1
	s_or_b64 exec, exec, s[22:23]
	v_cmp_lt_u64_e64 s[4:5], s[10:11], v[32:33]
	s_and_saveexec_b64 s[22:23], s[4:5]
	s_cbranch_execz .LBB295_625
; %bb.620:                              ;   in Loop: Header=BB295_427 Depth=1
	v_lshrrev_b32_e32 v10, 24, v33
	v_cmp_ne_u32_e64 s[4:5], s7, v10
	v_bfrev_b32_e32 v25, 1
	s_and_saveexec_b64 s[24:25], s[4:5]
	s_cbranch_execz .LBB295_624
; %bb.621:                              ;   in Loop: Header=BB295_427 Depth=1
	v_and_b32_e32 v27, 0x7f, v10
	v_cmp_ne_u32_e64 s[4:5], s15, v27
	v_mov_b32_e32 v25, 0x7fc02000
	s_and_saveexec_b64 s[26:27], s[4:5]
	s_cbranch_execz .LBB295_623
; %bb.622:                              ;   in Loop: Header=BB295_427 Depth=1
	v_and_b32_e32 v16, 7, v10
	v_ffbh_u32_e32 v32, v16
	v_min_u32_e32 v34, 32, v32
	v_subrev_u32_e32 v32, 28, v34
	v_lshlrev_b64 v[32:33], v32, v[10:11]
	v_lshrrev_b32_e32 v25, 3, v27
	v_sub_u32_e32 v33, 29, v34
	v_cmp_gt_u32_e64 s[4:5], 8, v27
	v_cndmask_b32_e64 v25, v25, v33, s[4:5]
	v_and_b32_e32 v32, 7, v32
	v_lshlrev_b32_e32 v10, 8, v10
	v_lshl_add_u32 v25, v25, 10, v48
	v_cndmask_b32_e64 v16, v16, v32, s[4:5]
	v_and_or_b32 v10, v10, s19, v25
	v_lshl_or_b32 v10, v16, 7, v10
	v_cvt_f32_f16_e32 v25, v10
.LBB295_623:                            ;   in Loop: Header=BB295_427 Depth=1
	s_or_b64 exec, exec, s[26:27]
.LBB295_624:                            ;   in Loop: Header=BB295_427 Depth=1
	s_or_b64 exec, exec, s[24:25]
.LBB295_625:                            ;   in Loop: Header=BB295_427 Depth=1
	s_or_b64 exec, exec, s[22:23]
	v_pk_mul_f32 v[30:31], v[24:25], v[30:31] op_sel_hi:[0,1]
	v_pk_mul_f32 v[28:29], v[24:25], v[28:29] op_sel_hi:[0,1]
	v_cvt_f16_f32_e32 v10, v31
	v_cvt_f16_f32_e32 v16, v30
	;; [unrolled: 1-line block ×4, first 2 shown]
	v_fma_mixlo_f16 v6, v24, v6, 0
	v_pack_b32_f16 v16, v16, v10
	v_fma_mixlo_f16 v26, v24, v26, 0
	v_pack_b32_f16 v27, v28, v27
	v_perm_b32 v10, v27, v16, s29
	v_perm_b32 v27, v27, v16, s30
	v_fma_mixlo_f16 v16, v24, v22, 0
	v_lshlrev_b32_e32 v16, 16, v16
	v_or_b32_sdwa v6, v16, v6 dst_sel:DWORD dst_unused:UNUSED_PAD src0_sel:DWORD src1_sel:WORD_0
	v_fma_mixlo_f16 v16, v24, v25, 0
	v_lshlrev_b32_e32 v16, 16, v16
	v_or_b32_sdwa v22, v16, v26 dst_sel:DWORD dst_unused:UNUSED_PAD src0_sel:DWORD src1_sel:WORD_0
	s_and_saveexec_b64 s[22:23], vcc
	s_cbranch_execz .LBB295_627
; %bb.626:                              ;   in Loop: Header=BB295_427 Depth=1
	v_lshrrev_b32_e32 v16, 16, v27
	v_cmp_lt_i32_e64 s[4:5], v43, v17
	v_accvgpr_read_b32 v28, a8
	v_cndmask_b32_e64 v16, 0, v16, s[4:5]
	v_cmp_lt_i32_e64 s[4:5], v7, v28
	v_cndmask_b32_e64 v24, 0, v27, s[4:5]
	v_perm_b32 v27, v16, v24, s31
	v_lshrrev_b32_e32 v16, 16, v10
	v_cmp_lt_i32_e64 s[4:5], v54, v17
	v_cndmask_b32_e64 v16, 0, v16, s[4:5]
	v_cmp_lt_i32_e64 s[4:5], v53, v28
	v_cndmask_b32_e64 v10, 0, v10, s[4:5]
	v_perm_b32 v10, v16, v10, s31
	v_lshrrev_b32_e32 v16, 16, v6
	v_cmp_lt_i32_e64 s[4:5], v52, v17
	v_cndmask_b32_e64 v16, 0, v16, s[4:5]
	v_cmp_lt_i32_e64 s[4:5], v51, v28
	v_cndmask_b32_e64 v6, 0, v6, s[4:5]
	v_perm_b32 v6, v16, v6, s31
	v_lshrrev_b32_e32 v16, 16, v22
	v_cmp_lt_i32_e64 s[4:5], v50, v17
	v_cndmask_b32_e64 v16, 0, v16, s[4:5]
	v_cmp_lt_i32_e64 s[4:5], v49, v28
	v_cndmask_b32_e64 v22, 0, v26, s[4:5]
	v_perm_b32 v22, v16, v22, s31
.LBB295_627:                            ;   in Loop: Header=BB295_427 Depth=1
	s_or_b64 exec, exec, s[22:23]
	;;#ASMSTART
	v_pk_mul_f16 v16, v55, v27;

	;;#ASMEND
	;;#ASMSTART
	v_pk_mul_f16 v10, v40, v10;

	;;#ASMEND
	;; [unrolled: 4-line block ×4, first 2 shown]
	;;#ASMSTART
	v_pk_add_f16 v10, v16, v10;

	;;#ASMEND
	;;#ASMSTART
	v_pk_add_f16 v6, v10, v6;

	;;#ASMEND
	;; [unrolled: 4-line block ×3, first 2 shown]
	v_accvgpr_read_b32 v25, a5
	v_lshrrev_b32_e32 v10, 16, v6
	v_and_b32_e32 v6, 0xffff, v6
	;;#ASMSTART
	v_cvt_f32_f16 v34, v6;
	;;#ASMEND
	;;#ASMSTART
	v_cvt_f32_f16 v56, v10;
	;;#ASMEND
	flat_load_dwordx2 v[32:33], v[18:19] offset:2048
	v_accvgpr_read_b32 v24, a4
	flat_load_dword v24, v[24:25]
	v_mov_b32_e32 v30, 0
	v_mov_b32_e32 v28, 0
	s_waitcnt vmcnt(0) lgkmcnt(0)
	v_cmp_ne_u16_sdwa s[4:5], v32, v11 src0_sel:BYTE_0 src1_sel:DWORD
	s_and_saveexec_b64 s[22:23], s[4:5]
	s_cbranch_execz .LBB295_633
; %bb.628:                              ;   in Loop: Header=BB295_427 Depth=1
	v_cmp_ne_u16_sdwa s[4:5], v32, s7 src0_sel:BYTE_0 src1_sel:DWORD
	v_bfrev_b32_e32 v28, 1
	s_and_saveexec_b64 s[24:25], s[4:5]
	s_cbranch_execz .LBB295_632
; %bb.629:                              ;   in Loop: Header=BB295_427 Depth=1
	v_and_b32_e32 v6, 0x7f, v32
	v_cmp_ne_u32_e64 s[4:5], s15, v6
	v_mov_b32_e32 v28, 0x7fc02000
	s_and_saveexec_b64 s[26:27], s[4:5]
	s_cbranch_execz .LBB295_631
; %bb.630:                              ;   in Loop: Header=BB295_427 Depth=1
	v_and_b32_e32 v10, 7, v32
	v_ffbh_u32_e32 v10, v10
	v_min_u32_e32 v10, 32, v10
	v_subrev_u32_e32 v22, 28, v10
	v_cmp_gt_u32_e64 s[4:5], 8, v6
	v_lshrrev_b32_e32 v16, 3, v6
	v_sub_u32_e32 v10, 29, v10
	v_cndmask_b32_e64 v6, 0, v22, s[4:5]
	v_lshlrev_b64 v[26:27], v6, v[32:33]
	v_cndmask_b32_e64 v6, v16, v10, s[4:5]
	v_lshlrev_b32_e32 v16, 8, v32
	v_lshl_add_u32 v6, v6, 10, v48
	v_lshlrev_b32_e32 v10, 7, v26
	v_and_or_b32 v6, v16, s19, v6
	v_and_or_b32 v6, v10, s28, v6
	v_cvt_f32_f16_e32 v28, v6
.LBB295_631:                            ;   in Loop: Header=BB295_427 Depth=1
	s_or_b64 exec, exec, s[26:27]
.LBB295_632:                            ;   in Loop: Header=BB295_427 Depth=1
	s_or_b64 exec, exec, s[24:25]
.LBB295_633:                            ;   in Loop: Header=BB295_427 Depth=1
	s_or_b64 exec, exec, s[22:23]
	v_lshrrev_b16_e32 v10, 8, v32
	v_cmp_ne_u16_e64 s[4:5], 0, v10
	s_and_saveexec_b64 s[22:23], s[4:5]
	s_cbranch_execz .LBB295_639
; %bb.634:                              ;   in Loop: Header=BB295_427 Depth=1
	v_cmp_ne_u16_e64 s[4:5], s7, v10
	v_bfrev_b32_e32 v30, 1
	s_and_saveexec_b64 s[24:25], s[4:5]
	s_cbranch_execz .LBB295_638
; %bb.635:                              ;   in Loop: Header=BB295_427 Depth=1
	v_and_b32_e32 v6, 0x7f, v10
	v_cmp_ne_u32_e64 s[4:5], s15, v6
	v_mov_b32_e32 v30, 0x7fc02000
	s_and_saveexec_b64 s[26:27], s[4:5]
	s_cbranch_execz .LBB295_637
; %bb.636:                              ;   in Loop: Header=BB295_427 Depth=1
	v_and_b32_e32 v16, 7, v10
	v_ffbh_u32_e32 v25, v16
	v_min_u32_e32 v25, 32, v25
	v_lshrrev_b32_e32 v22, 3, v6
	v_subrev_u32_e32 v26, 28, v25
	v_sub_u32_e32 v25, 29, v25
	v_cmp_gt_u32_e64 s[4:5], 8, v6
	v_lshlrev_b64 v[26:27], v26, v[10:11]
	v_cndmask_b32_e64 v6, v22, v25, s[4:5]
	v_and_b32_e32 v26, 7, v26
	v_lshlrev_b32_e32 v10, 8, v10
	v_lshl_add_u32 v6, v6, 10, v48
	v_cndmask_b32_e64 v16, v16, v26, s[4:5]
	v_and_or_b32 v6, v10, s19, v6
	v_lshl_or_b32 v6, v16, 7, v6
	v_cvt_f32_f16_e32 v30, v6
.LBB295_637:                            ;   in Loop: Header=BB295_427 Depth=1
	s_or_b64 exec, exec, s[26:27]
.LBB295_638:                            ;   in Loop: Header=BB295_427 Depth=1
	s_or_b64 exec, exec, s[24:25]
.LBB295_639:                            ;   in Loop: Header=BB295_427 Depth=1
	s_or_b64 exec, exec, s[22:23]
	v_lshrrev_b32_e32 v10, 16, v32
	v_cmp_ne_u16_sdwa s[4:5], v10, v11 src0_sel:BYTE_0 src1_sel:DWORD
	v_mov_b32_e32 v31, 0
	v_mov_b32_e32 v29, 0
	s_and_saveexec_b64 s[22:23], s[4:5]
	s_cbranch_execz .LBB295_645
; %bb.640:                              ;   in Loop: Header=BB295_427 Depth=1
	v_cmp_ne_u16_sdwa s[4:5], v10, s7 src0_sel:BYTE_0 src1_sel:DWORD
	v_bfrev_b32_e32 v29, 1
	s_and_saveexec_b64 s[24:25], s[4:5]
	s_cbranch_execz .LBB295_644
; %bb.641:                              ;   in Loop: Header=BB295_427 Depth=1
	v_bfe_u32 v6, v32, 16, 7
	v_cmp_ne_u32_e64 s[4:5], s15, v6
	v_mov_b32_e32 v29, 0x7fc02000
	s_and_saveexec_b64 s[26:27], s[4:5]
	s_cbranch_execz .LBB295_643
; %bb.642:                              ;   in Loop: Header=BB295_427 Depth=1
	v_and_b32_e32 v16, 7, v10
	v_ffbh_u32_e32 v25, v16
	v_min_u32_e32 v25, 32, v25
	v_lshrrev_b32_e32 v22, 3, v6
	v_subrev_u32_e32 v26, 28, v25
	v_sub_u32_e32 v25, 29, v25
	v_cmp_gt_u32_e64 s[4:5], 8, v6
	v_lshlrev_b64 v[26:27], v26, v[10:11]
	v_cndmask_b32_e64 v6, v22, v25, s[4:5]
	v_and_b32_e32 v26, 7, v26
	v_lshlrev_b32_e32 v10, 8, v10
	v_lshl_add_u32 v6, v6, 10, v48
	v_cndmask_b32_e64 v16, v16, v26, s[4:5]
	v_and_or_b32 v6, v10, s19, v6
	v_lshl_or_b32 v6, v16, 7, v6
	v_cvt_f32_f16_e32 v29, v6
.LBB295_643:                            ;   in Loop: Header=BB295_427 Depth=1
	s_or_b64 exec, exec, s[26:27]
.LBB295_644:                            ;   in Loop: Header=BB295_427 Depth=1
	s_or_b64 exec, exec, s[24:25]
.LBB295_645:                            ;   in Loop: Header=BB295_427 Depth=1
	s_or_b64 exec, exec, s[22:23]
	v_cmp_lt_u32_e64 s[4:5], s11, v32
	s_and_saveexec_b64 s[22:23], s[4:5]
	s_cbranch_execz .LBB295_651
; %bb.646:                              ;   in Loop: Header=BB295_427 Depth=1
	v_lshrrev_b32_e32 v10, 24, v32
	v_cmp_ne_u32_e64 s[4:5], s7, v10
	v_bfrev_b32_e32 v31, 1
	s_and_saveexec_b64 s[24:25], s[4:5]
	s_cbranch_execz .LBB295_650
; %bb.647:                              ;   in Loop: Header=BB295_427 Depth=1
	v_and_b32_e32 v6, 0x7f, v10
	v_cmp_ne_u32_e64 s[4:5], s15, v6
	v_mov_b32_e32 v31, 0x7fc02000
	s_and_saveexec_b64 s[26:27], s[4:5]
	s_cbranch_execz .LBB295_649
; %bb.648:                              ;   in Loop: Header=BB295_427 Depth=1
	v_and_b32_e32 v16, 7, v10
	v_ffbh_u32_e32 v25, v16
	v_min_u32_e32 v25, 32, v25
	v_lshrrev_b32_e32 v22, 3, v6
	v_subrev_u32_e32 v26, 28, v25
	v_sub_u32_e32 v25, 29, v25
	v_cmp_gt_u32_e64 s[4:5], 8, v6
	v_lshlrev_b64 v[26:27], v26, v[10:11]
	v_cndmask_b32_e64 v6, v22, v25, s[4:5]
	v_and_b32_e32 v26, 7, v26
	v_lshlrev_b32_e32 v10, 8, v10
	v_lshl_add_u32 v6, v6, 10, v48
	v_cndmask_b32_e64 v16, v16, v26, s[4:5]
	v_and_or_b32 v6, v10, s19, v6
	v_lshl_or_b32 v6, v16, 7, v6
	v_cvt_f32_f16_e32 v31, v6
.LBB295_649:                            ;   in Loop: Header=BB295_427 Depth=1
	s_or_b64 exec, exec, s[26:27]
.LBB295_650:                            ;   in Loop: Header=BB295_427 Depth=1
	s_or_b64 exec, exec, s[24:25]
.LBB295_651:                            ;   in Loop: Header=BB295_427 Depth=1
	s_or_b64 exec, exec, s[22:23]
	v_mov_b32_e32 v10, v33
	v_cmp_ne_u16_sdwa s[4:5], v33, v11 src0_sel:BYTE_0 src1_sel:DWORD
	v_mov_b32_e32 v22, 0
	v_mov_b32_e32 v6, 0
	s_and_saveexec_b64 s[22:23], s[4:5]
	s_cbranch_execz .LBB295_657
; %bb.652:                              ;   in Loop: Header=BB295_427 Depth=1
	v_cmp_ne_u16_sdwa s[4:5], v33, s7 src0_sel:BYTE_0 src1_sel:DWORD
	v_bfrev_b32_e32 v6, 1
	s_and_saveexec_b64 s[24:25], s[4:5]
	s_cbranch_execz .LBB295_656
; %bb.653:                              ;   in Loop: Header=BB295_427 Depth=1
	v_and_b32_e32 v25, 0x7f, v33
	v_cmp_ne_u32_e64 s[4:5], s15, v25
	v_mov_b32_e32 v6, 0x7fc02000
	s_and_saveexec_b64 s[26:27], s[4:5]
	s_cbranch_execz .LBB295_655
; %bb.654:                              ;   in Loop: Header=BB295_427 Depth=1
	v_and_b32_e32 v6, 7, v33
	v_ffbh_u32_e32 v6, v6
	v_min_u32_e32 v6, 32, v6
	v_lshrrev_b32_e32 v16, 3, v25
	v_subrev_u32_e32 v26, 28, v6
	v_sub_u32_e32 v6, 29, v6
	v_cmp_gt_u32_e64 s[4:5], 8, v25
	v_cndmask_b32_e64 v25, 0, v26, s[4:5]
	v_cndmask_b32_e64 v6, v16, v6, s[4:5]
	v_lshlrev_b64 v[26:27], v25, v[10:11]
	v_lshlrev_b32_e32 v25, 8, v33
	v_lshl_add_u32 v6, v6, 10, v48
	v_lshlrev_b32_e32 v16, 7, v26
	v_and_or_b32 v6, v25, s19, v6
	v_and_or_b32 v6, v16, s28, v6
	v_cvt_f32_f16_e32 v6, v6
.LBB295_655:                            ;   in Loop: Header=BB295_427 Depth=1
	s_or_b64 exec, exec, s[26:27]
.LBB295_656:                            ;   in Loop: Header=BB295_427 Depth=1
	s_or_b64 exec, exec, s[24:25]
.LBB295_657:                            ;   in Loop: Header=BB295_427 Depth=1
	s_or_b64 exec, exec, s[22:23]
	v_lshrrev_b16_e32 v10, 8, v10
	v_cmp_ne_u16_e64 s[4:5], 0, v10
	s_and_saveexec_b64 s[22:23], s[4:5]
	s_cbranch_execz .LBB295_663
; %bb.658:                              ;   in Loop: Header=BB295_427 Depth=1
	v_cmp_ne_u16_e64 s[4:5], s7, v10
	v_bfrev_b32_e32 v22, 1
	s_and_saveexec_b64 s[24:25], s[4:5]
	s_cbranch_execz .LBB295_662
; %bb.659:                              ;   in Loop: Header=BB295_427 Depth=1
	v_and_b32_e32 v25, 0x7f, v10
	v_cmp_ne_u32_e64 s[4:5], s15, v25
	v_mov_b32_e32 v22, 0x7fc02000
	s_and_saveexec_b64 s[26:27], s[4:5]
	s_cbranch_execz .LBB295_661
; %bb.660:                              ;   in Loop: Header=BB295_427 Depth=1
	v_and_b32_e32 v16, 7, v10
	v_ffbh_u32_e32 v26, v16
	v_min_u32_e32 v35, 32, v26
	v_subrev_u32_e32 v26, 28, v35
	v_lshlrev_b64 v[26:27], v26, v[10:11]
	v_lshrrev_b32_e32 v22, 3, v25
	v_sub_u32_e32 v27, 29, v35
	v_cmp_gt_u32_e64 s[4:5], 8, v25
	v_cndmask_b32_e64 v22, v22, v27, s[4:5]
	v_and_b32_e32 v26, 7, v26
	v_lshlrev_b32_e32 v10, 8, v10
	v_lshl_add_u32 v22, v22, 10, v48
	v_cndmask_b32_e64 v16, v16, v26, s[4:5]
	v_and_or_b32 v10, v10, s19, v22
	v_lshl_or_b32 v10, v16, 7, v10
	v_cvt_f32_f16_e32 v22, v10
.LBB295_661:                            ;   in Loop: Header=BB295_427 Depth=1
	s_or_b64 exec, exec, s[26:27]
.LBB295_662:                            ;   in Loop: Header=BB295_427 Depth=1
	s_or_b64 exec, exec, s[24:25]
.LBB295_663:                            ;   in Loop: Header=BB295_427 Depth=1
	s_or_b64 exec, exec, s[22:23]
	v_lshrrev_b32_e32 v10, 16, v33
	v_cmp_ne_u16_sdwa s[4:5], v10, v11 src0_sel:BYTE_0 src1_sel:DWORD
	v_mov_b32_e32 v25, 0
	v_mov_b32_e32 v26, 0
	s_and_saveexec_b64 s[22:23], s[4:5]
	s_cbranch_execz .LBB295_669
; %bb.664:                              ;   in Loop: Header=BB295_427 Depth=1
	v_cmp_ne_u16_sdwa s[4:5], v10, s7 src0_sel:BYTE_0 src1_sel:DWORD
	v_bfrev_b32_e32 v26, 1
	s_and_saveexec_b64 s[24:25], s[4:5]
	s_cbranch_execz .LBB295_668
; %bb.665:                              ;   in Loop: Header=BB295_427 Depth=1
	v_bfe_u32 v27, v33, 16, 7
	v_cmp_ne_u32_e64 s[4:5], s15, v27
	v_mov_b32_e32 v26, 0x7fc02000
	s_and_saveexec_b64 s[26:27], s[4:5]
	s_cbranch_execz .LBB295_667
; %bb.666:                              ;   in Loop: Header=BB295_427 Depth=1
	v_and_b32_e32 v16, 7, v10
	v_ffbh_u32_e32 v35, v16
	v_min_u32_e32 v35, 32, v35
	v_lshrrev_b32_e32 v26, 3, v27
	v_subrev_u32_e32 v57, 28, v35
	v_sub_u32_e32 v35, 29, v35
	v_cmp_gt_u32_e64 s[4:5], 8, v27
	v_lshlrev_b64 v[58:59], v57, v[10:11]
	v_cndmask_b32_e64 v26, v26, v35, s[4:5]
	v_and_b32_e32 v57, 7, v58
	v_lshlrev_b32_e32 v10, 8, v10
	v_lshl_add_u32 v26, v26, 10, v48
	v_cndmask_b32_e64 v16, v16, v57, s[4:5]
	v_and_or_b32 v10, v10, s19, v26
	v_lshl_or_b32 v10, v16, 7, v10
	v_cvt_f32_f16_e32 v26, v10
.LBB295_667:                            ;   in Loop: Header=BB295_427 Depth=1
	s_or_b64 exec, exec, s[26:27]
.LBB295_668:                            ;   in Loop: Header=BB295_427 Depth=1
	s_or_b64 exec, exec, s[24:25]
.LBB295_669:                            ;   in Loop: Header=BB295_427 Depth=1
	s_or_b64 exec, exec, s[22:23]
	v_cmp_lt_u64_e64 s[4:5], s[10:11], v[32:33]
	s_and_saveexec_b64 s[22:23], s[4:5]
	s_cbranch_execz .LBB295_675
; %bb.670:                              ;   in Loop: Header=BB295_427 Depth=1
	v_lshrrev_b32_e32 v10, 24, v33
	v_cmp_ne_u32_e64 s[4:5], s7, v10
	v_bfrev_b32_e32 v25, 1
	s_and_saveexec_b64 s[24:25], s[4:5]
	s_cbranch_execz .LBB295_674
; %bb.671:                              ;   in Loop: Header=BB295_427 Depth=1
	v_and_b32_e32 v27, 0x7f, v10
	v_cmp_ne_u32_e64 s[4:5], s15, v27
	v_mov_b32_e32 v25, 0x7fc02000
	s_and_saveexec_b64 s[26:27], s[4:5]
	s_cbranch_execz .LBB295_673
; %bb.672:                              ;   in Loop: Header=BB295_427 Depth=1
	v_and_b32_e32 v16, 7, v10
	v_ffbh_u32_e32 v32, v16
	v_min_u32_e32 v35, 32, v32
	v_subrev_u32_e32 v32, 28, v35
	v_lshlrev_b64 v[32:33], v32, v[10:11]
	v_lshrrev_b32_e32 v25, 3, v27
	v_sub_u32_e32 v33, 29, v35
	v_cmp_gt_u32_e64 s[4:5], 8, v27
	v_cndmask_b32_e64 v25, v25, v33, s[4:5]
	v_and_b32_e32 v32, 7, v32
	v_lshlrev_b32_e32 v10, 8, v10
	v_lshl_add_u32 v25, v25, 10, v48
	v_cndmask_b32_e64 v16, v16, v32, s[4:5]
	v_and_or_b32 v10, v10, s19, v25
	v_lshl_or_b32 v10, v16, 7, v10
	v_cvt_f32_f16_e32 v25, v10
.LBB295_673:                            ;   in Loop: Header=BB295_427 Depth=1
	s_or_b64 exec, exec, s[26:27]
.LBB295_674:                            ;   in Loop: Header=BB295_427 Depth=1
	s_or_b64 exec, exec, s[24:25]
.LBB295_675:                            ;   in Loop: Header=BB295_427 Depth=1
	s_or_b64 exec, exec, s[22:23]
	v_pk_mul_f32 v[30:31], v[24:25], v[30:31] op_sel_hi:[0,1]
	v_pk_mul_f32 v[28:29], v[24:25], v[28:29] op_sel_hi:[0,1]
	v_cvt_f16_f32_e32 v10, v31
	v_cvt_f16_f32_e32 v16, v30
	;; [unrolled: 1-line block ×4, first 2 shown]
	v_fma_mixlo_f16 v6, v24, v6, 0
	v_pack_b32_f16 v16, v16, v10
	v_fma_mixlo_f16 v26, v24, v26, 0
	v_pack_b32_f16 v27, v28, v27
	v_perm_b32 v10, v27, v16, s29
	v_perm_b32 v27, v27, v16, s30
	v_fma_mixlo_f16 v16, v24, v22, 0
	v_lshlrev_b32_e32 v16, 16, v16
	v_or_b32_sdwa v6, v16, v6 dst_sel:DWORD dst_unused:UNUSED_PAD src0_sel:DWORD src1_sel:WORD_0
	v_fma_mixlo_f16 v16, v24, v25, 0
	v_lshlrev_b32_e32 v16, 16, v16
	v_or_b32_sdwa v22, v16, v26 dst_sel:DWORD dst_unused:UNUSED_PAD src0_sel:DWORD src1_sel:WORD_0
	s_and_saveexec_b64 s[22:23], vcc
	s_cbranch_execz .LBB295_677
; %bb.676:                              ;   in Loop: Header=BB295_427 Depth=1
	v_lshrrev_b32_e32 v16, 16, v27
	v_cmp_lt_i32_e64 s[4:5], v43, v17
	v_accvgpr_read_b32 v28, a8
	v_cndmask_b32_e64 v16, 0, v16, s[4:5]
	v_cmp_lt_i32_e64 s[4:5], v7, v28
	v_cndmask_b32_e64 v24, 0, v27, s[4:5]
	v_perm_b32 v27, v16, v24, s31
	v_lshrrev_b32_e32 v16, 16, v10
	v_cmp_lt_i32_e64 s[4:5], v54, v17
	v_cndmask_b32_e64 v16, 0, v16, s[4:5]
	v_cmp_lt_i32_e64 s[4:5], v53, v28
	v_cndmask_b32_e64 v10, 0, v10, s[4:5]
	v_perm_b32 v10, v16, v10, s31
	v_lshrrev_b32_e32 v16, 16, v6
	v_cmp_lt_i32_e64 s[4:5], v52, v17
	;; [unrolled: 6-line block ×3, first 2 shown]
	v_cndmask_b32_e64 v16, 0, v16, s[4:5]
	v_cmp_lt_i32_e64 s[4:5], v49, v28
	v_cndmask_b32_e64 v22, 0, v26, s[4:5]
	v_perm_b32 v22, v16, v22, s31
.LBB295_677:                            ;   in Loop: Header=BB295_427 Depth=1
	s_or_b64 exec, exec, s[22:23]
	;;#ASMSTART
	v_pk_mul_f16 v16, v55, v27;

	;;#ASMEND
	;;#ASMSTART
	v_pk_mul_f16 v10, v40, v10;

	;;#ASMEND
	;; [unrolled: 4-line block ×4, first 2 shown]
	;;#ASMSTART
	v_pk_add_f16 v10, v16, v10;

	;;#ASMEND
	;;#ASMSTART
	v_pk_add_f16 v6, v10, v6;

	;;#ASMEND
	;; [unrolled: 4-line block ×3, first 2 shown]
	v_accvgpr_read_b32 v25, a5
	v_lshrrev_b32_e32 v10, 16, v6
	v_and_b32_e32 v6, 0xffff, v6
	;;#ASMSTART
	v_cvt_f32_f16 v22, v6;
	;;#ASMEND
	;;#ASMSTART
	v_cvt_f32_f16 v35, v10;
	;;#ASMEND
	flat_load_dwordx2 v[32:33], v[18:19] offset:2560
	v_accvgpr_read_b32 v24, a4
	flat_load_dword v24, v[24:25]
	v_mov_b32_e32 v30, 0
	v_mov_b32_e32 v28, 0
	s_waitcnt vmcnt(0) lgkmcnt(0)
	v_cmp_ne_u16_sdwa s[4:5], v32, v11 src0_sel:BYTE_0 src1_sel:DWORD
	s_and_saveexec_b64 s[22:23], s[4:5]
	s_cbranch_execz .LBB295_683
; %bb.678:                              ;   in Loop: Header=BB295_427 Depth=1
	v_cmp_ne_u16_sdwa s[4:5], v32, s7 src0_sel:BYTE_0 src1_sel:DWORD
	v_bfrev_b32_e32 v28, 1
	s_and_saveexec_b64 s[24:25], s[4:5]
	s_cbranch_execz .LBB295_682
; %bb.679:                              ;   in Loop: Header=BB295_427 Depth=1
	v_and_b32_e32 v6, 0x7f, v32
	v_cmp_ne_u32_e64 s[4:5], s15, v6
	v_mov_b32_e32 v28, 0x7fc02000
	s_and_saveexec_b64 s[26:27], s[4:5]
	s_cbranch_execz .LBB295_681
; %bb.680:                              ;   in Loop: Header=BB295_427 Depth=1
	v_and_b32_e32 v10, 7, v32
	v_ffbh_u32_e32 v10, v10
	v_min_u32_e32 v10, 32, v10
	v_subrev_u32_e32 v25, 28, v10
	v_cmp_gt_u32_e64 s[4:5], 8, v6
	v_lshrrev_b32_e32 v16, 3, v6
	v_sub_u32_e32 v10, 29, v10
	v_cndmask_b32_e64 v6, 0, v25, s[4:5]
	v_lshlrev_b64 v[26:27], v6, v[32:33]
	v_cndmask_b32_e64 v6, v16, v10, s[4:5]
	v_lshlrev_b32_e32 v16, 8, v32
	v_lshl_add_u32 v6, v6, 10, v48
	v_lshlrev_b32_e32 v10, 7, v26
	v_and_or_b32 v6, v16, s19, v6
	v_and_or_b32 v6, v10, s28, v6
	v_cvt_f32_f16_e32 v28, v6
.LBB295_681:                            ;   in Loop: Header=BB295_427 Depth=1
	s_or_b64 exec, exec, s[26:27]
.LBB295_682:                            ;   in Loop: Header=BB295_427 Depth=1
	s_or_b64 exec, exec, s[24:25]
.LBB295_683:                            ;   in Loop: Header=BB295_427 Depth=1
	s_or_b64 exec, exec, s[22:23]
	v_lshrrev_b16_e32 v10, 8, v32
	v_cmp_ne_u16_e64 s[4:5], 0, v10
	s_and_saveexec_b64 s[22:23], s[4:5]
	s_cbranch_execz .LBB295_689
; %bb.684:                              ;   in Loop: Header=BB295_427 Depth=1
	v_cmp_ne_u16_e64 s[4:5], s7, v10
	v_bfrev_b32_e32 v30, 1
	s_and_saveexec_b64 s[24:25], s[4:5]
	s_cbranch_execz .LBB295_688
; %bb.685:                              ;   in Loop: Header=BB295_427 Depth=1
	v_and_b32_e32 v6, 0x7f, v10
	v_cmp_ne_u32_e64 s[4:5], s15, v6
	v_mov_b32_e32 v30, 0x7fc02000
	s_and_saveexec_b64 s[26:27], s[4:5]
	s_cbranch_execz .LBB295_687
; %bb.686:                              ;   in Loop: Header=BB295_427 Depth=1
	v_and_b32_e32 v16, 7, v10
	v_ffbh_u32_e32 v26, v16
	v_min_u32_e32 v29, 32, v26
	v_subrev_u32_e32 v26, 28, v29
	v_lshlrev_b64 v[26:27], v26, v[10:11]
	v_lshrrev_b32_e32 v25, 3, v6
	v_sub_u32_e32 v27, 29, v29
	v_cmp_gt_u32_e64 s[4:5], 8, v6
	v_cndmask_b32_e64 v6, v25, v27, s[4:5]
	v_and_b32_e32 v26, 7, v26
	v_lshlrev_b32_e32 v10, 8, v10
	v_lshl_add_u32 v6, v6, 10, v48
	v_cndmask_b32_e64 v16, v16, v26, s[4:5]
	v_and_or_b32 v6, v10, s19, v6
	v_lshl_or_b32 v6, v16, 7, v6
	v_cvt_f32_f16_e32 v30, v6
.LBB295_687:                            ;   in Loop: Header=BB295_427 Depth=1
	s_or_b64 exec, exec, s[26:27]
.LBB295_688:                            ;   in Loop: Header=BB295_427 Depth=1
	s_or_b64 exec, exec, s[24:25]
.LBB295_689:                            ;   in Loop: Header=BB295_427 Depth=1
	s_or_b64 exec, exec, s[22:23]
	v_lshrrev_b32_e32 v10, 16, v32
	v_cmp_ne_u16_sdwa s[4:5], v10, v11 src0_sel:BYTE_0 src1_sel:DWORD
	v_mov_b32_e32 v31, 0
	v_mov_b32_e32 v29, 0
	s_and_saveexec_b64 s[22:23], s[4:5]
	s_cbranch_execz .LBB295_695
; %bb.690:                              ;   in Loop: Header=BB295_427 Depth=1
	v_cmp_ne_u16_sdwa s[4:5], v10, s7 src0_sel:BYTE_0 src1_sel:DWORD
	v_bfrev_b32_e32 v29, 1
	s_and_saveexec_b64 s[24:25], s[4:5]
	s_cbranch_execz .LBB295_694
; %bb.691:                              ;   in Loop: Header=BB295_427 Depth=1
	v_bfe_u32 v6, v32, 16, 7
	v_cmp_ne_u32_e64 s[4:5], s15, v6
	v_mov_b32_e32 v29, 0x7fc02000
	s_and_saveexec_b64 s[26:27], s[4:5]
	s_cbranch_execz .LBB295_693
; %bb.692:                              ;   in Loop: Header=BB295_427 Depth=1
	v_and_b32_e32 v16, 7, v10
	v_ffbh_u32_e32 v26, v16
	v_min_u32_e32 v29, 32, v26
	v_subrev_u32_e32 v26, 28, v29
	v_lshlrev_b64 v[26:27], v26, v[10:11]
	v_lshrrev_b32_e32 v25, 3, v6
	v_sub_u32_e32 v27, 29, v29
	v_cmp_gt_u32_e64 s[4:5], 8, v6
	v_cndmask_b32_e64 v6, v25, v27, s[4:5]
	v_and_b32_e32 v26, 7, v26
	v_lshlrev_b32_e32 v10, 8, v10
	v_lshl_add_u32 v6, v6, 10, v48
	v_cndmask_b32_e64 v16, v16, v26, s[4:5]
	v_and_or_b32 v6, v10, s19, v6
	v_lshl_or_b32 v6, v16, 7, v6
	v_cvt_f32_f16_e32 v29, v6
.LBB295_693:                            ;   in Loop: Header=BB295_427 Depth=1
	s_or_b64 exec, exec, s[26:27]
.LBB295_694:                            ;   in Loop: Header=BB295_427 Depth=1
	s_or_b64 exec, exec, s[24:25]
.LBB295_695:                            ;   in Loop: Header=BB295_427 Depth=1
	s_or_b64 exec, exec, s[22:23]
	v_cmp_lt_u32_e64 s[4:5], s11, v32
	s_and_saveexec_b64 s[22:23], s[4:5]
	s_cbranch_execz .LBB295_701
; %bb.696:                              ;   in Loop: Header=BB295_427 Depth=1
	v_lshrrev_b32_e32 v10, 24, v32
	v_cmp_ne_u32_e64 s[4:5], s7, v10
	v_bfrev_b32_e32 v31, 1
	s_and_saveexec_b64 s[24:25], s[4:5]
	s_cbranch_execz .LBB295_700
; %bb.697:                              ;   in Loop: Header=BB295_427 Depth=1
	v_and_b32_e32 v6, 0x7f, v10
	v_cmp_ne_u32_e64 s[4:5], s15, v6
	v_mov_b32_e32 v31, 0x7fc02000
	s_and_saveexec_b64 s[26:27], s[4:5]
	s_cbranch_execz .LBB295_699
; %bb.698:                              ;   in Loop: Header=BB295_427 Depth=1
	v_and_b32_e32 v16, 7, v10
	v_ffbh_u32_e32 v26, v16
	v_min_u32_e32 v31, 32, v26
	v_subrev_u32_e32 v26, 28, v31
	v_lshlrev_b64 v[26:27], v26, v[10:11]
	v_lshrrev_b32_e32 v25, 3, v6
	v_sub_u32_e32 v27, 29, v31
	v_cmp_gt_u32_e64 s[4:5], 8, v6
	v_cndmask_b32_e64 v6, v25, v27, s[4:5]
	v_and_b32_e32 v26, 7, v26
	v_lshlrev_b32_e32 v10, 8, v10
	v_lshl_add_u32 v6, v6, 10, v48
	v_cndmask_b32_e64 v16, v16, v26, s[4:5]
	v_and_or_b32 v6, v10, s19, v6
	v_lshl_or_b32 v6, v16, 7, v6
	v_cvt_f32_f16_e32 v31, v6
.LBB295_699:                            ;   in Loop: Header=BB295_427 Depth=1
	s_or_b64 exec, exec, s[26:27]
.LBB295_700:                            ;   in Loop: Header=BB295_427 Depth=1
	s_or_b64 exec, exec, s[24:25]
.LBB295_701:                            ;   in Loop: Header=BB295_427 Depth=1
	s_or_b64 exec, exec, s[22:23]
	v_mov_b32_e32 v10, v33
	v_cmp_ne_u16_sdwa s[4:5], v33, v11 src0_sel:BYTE_0 src1_sel:DWORD
	v_mov_b32_e32 v25, 0
	v_mov_b32_e32 v6, 0
	s_and_saveexec_b64 s[22:23], s[4:5]
	s_cbranch_execz .LBB295_707
; %bb.702:                              ;   in Loop: Header=BB295_427 Depth=1
	v_cmp_ne_u16_sdwa s[4:5], v33, s7 src0_sel:BYTE_0 src1_sel:DWORD
	v_bfrev_b32_e32 v6, 1
	s_and_saveexec_b64 s[24:25], s[4:5]
	s_cbranch_execz .LBB295_706
; %bb.703:                              ;   in Loop: Header=BB295_427 Depth=1
	v_and_b32_e32 v26, 0x7f, v33
	v_cmp_ne_u32_e64 s[4:5], s15, v26
	v_mov_b32_e32 v6, 0x7fc02000
	s_and_saveexec_b64 s[26:27], s[4:5]
	s_cbranch_execz .LBB295_705
; %bb.704:                              ;   in Loop: Header=BB295_427 Depth=1
	v_and_b32_e32 v6, 7, v33
	v_ffbh_u32_e32 v6, v6
	v_min_u32_e32 v6, 32, v6
	v_subrev_u32_e32 v27, 28, v6
	v_cmp_gt_u32_e64 s[4:5], 8, v26
	v_lshrrev_b32_e32 v16, 3, v26
	v_sub_u32_e32 v6, 29, v6
	v_cndmask_b32_e64 v26, 0, v27, s[4:5]
	v_lshlrev_b64 v[26:27], v26, v[10:11]
	v_cndmask_b32_e64 v6, v16, v6, s[4:5]
	v_lshlrev_b32_e32 v16, 7, v26
	v_lshlrev_b32_e32 v26, 8, v33
	v_lshl_add_u32 v6, v6, 10, v48
	v_and_or_b32 v6, v26, s19, v6
	v_and_or_b32 v6, v16, s28, v6
	v_cvt_f32_f16_e32 v6, v6
.LBB295_705:                            ;   in Loop: Header=BB295_427 Depth=1
	s_or_b64 exec, exec, s[26:27]
.LBB295_706:                            ;   in Loop: Header=BB295_427 Depth=1
	s_or_b64 exec, exec, s[24:25]
.LBB295_707:                            ;   in Loop: Header=BB295_427 Depth=1
	s_or_b64 exec, exec, s[22:23]
	v_lshrrev_b16_e32 v10, 8, v10
	v_cmp_ne_u16_e64 s[4:5], 0, v10
	s_and_saveexec_b64 s[22:23], s[4:5]
	s_cbranch_execz .LBB295_713
; %bb.708:                              ;   in Loop: Header=BB295_427 Depth=1
	v_cmp_ne_u16_e64 s[4:5], s7, v10
	v_bfrev_b32_e32 v25, 1
	s_and_saveexec_b64 s[24:25], s[4:5]
	s_cbranch_execz .LBB295_712
; %bb.709:                              ;   in Loop: Header=BB295_427 Depth=1
	v_and_b32_e32 v26, 0x7f, v10
	v_cmp_ne_u32_e64 s[4:5], s15, v26
	v_mov_b32_e32 v25, 0x7fc02000
	s_and_saveexec_b64 s[26:27], s[4:5]
	s_cbranch_execz .LBB295_711
; %bb.710:                              ;   in Loop: Header=BB295_427 Depth=1
	v_and_b32_e32 v16, 7, v10
	v_ffbh_u32_e32 v27, v16
	v_min_u32_e32 v27, 32, v27
	v_lshrrev_b32_e32 v25, 3, v26
	v_subrev_u32_e32 v57, 28, v27
	v_sub_u32_e32 v27, 29, v27
	v_cmp_gt_u32_e64 s[4:5], 8, v26
	v_lshlrev_b64 v[58:59], v57, v[10:11]
	v_cndmask_b32_e64 v25, v25, v27, s[4:5]
	v_and_b32_e32 v57, 7, v58
	v_lshlrev_b32_e32 v10, 8, v10
	v_lshl_add_u32 v25, v25, 10, v48
	v_cndmask_b32_e64 v16, v16, v57, s[4:5]
	v_and_or_b32 v10, v10, s19, v25
	v_lshl_or_b32 v10, v16, 7, v10
	v_cvt_f32_f16_e32 v25, v10
.LBB295_711:                            ;   in Loop: Header=BB295_427 Depth=1
	s_or_b64 exec, exec, s[26:27]
.LBB295_712:                            ;   in Loop: Header=BB295_427 Depth=1
	s_or_b64 exec, exec, s[24:25]
.LBB295_713:                            ;   in Loop: Header=BB295_427 Depth=1
	s_or_b64 exec, exec, s[22:23]
	v_lshrrev_b32_e32 v10, 16, v33
	v_cmp_ne_u16_sdwa s[4:5], v10, v11 src0_sel:BYTE_0 src1_sel:DWORD
	v_mov_b32_e32 v26, 0
	v_mov_b32_e32 v27, 0
	s_and_saveexec_b64 s[22:23], s[4:5]
	s_cbranch_execz .LBB295_719
; %bb.714:                              ;   in Loop: Header=BB295_427 Depth=1
	v_cmp_ne_u16_sdwa s[4:5], v10, s7 src0_sel:BYTE_0 src1_sel:DWORD
	v_bfrev_b32_e32 v27, 1
	s_and_saveexec_b64 s[24:25], s[4:5]
	s_cbranch_execz .LBB295_718
; %bb.715:                              ;   in Loop: Header=BB295_427 Depth=1
	v_bfe_u32 v57, v33, 16, 7
	v_cmp_ne_u32_e64 s[4:5], s15, v57
	v_mov_b32_e32 v27, 0x7fc02000
	s_and_saveexec_b64 s[26:27], s[4:5]
	s_cbranch_execz .LBB295_717
; %bb.716:                              ;   in Loop: Header=BB295_427 Depth=1
	v_and_b32_e32 v16, 7, v10
	v_ffbh_u32_e32 v58, v16
	v_min_u32_e32 v60, 32, v58
	v_subrev_u32_e32 v58, 28, v60
	v_lshlrev_b64 v[58:59], v58, v[10:11]
	v_lshrrev_b32_e32 v27, 3, v57
	v_sub_u32_e32 v59, 29, v60
	v_cmp_gt_u32_e64 s[4:5], 8, v57
	v_cndmask_b32_e64 v27, v27, v59, s[4:5]
	v_and_b32_e32 v58, 7, v58
	v_lshlrev_b32_e32 v10, 8, v10
	v_lshl_add_u32 v27, v27, 10, v48
	v_cndmask_b32_e64 v16, v16, v58, s[4:5]
	v_and_or_b32 v10, v10, s19, v27
	v_lshl_or_b32 v10, v16, 7, v10
	v_cvt_f32_f16_e32 v27, v10
.LBB295_717:                            ;   in Loop: Header=BB295_427 Depth=1
	s_or_b64 exec, exec, s[26:27]
.LBB295_718:                            ;   in Loop: Header=BB295_427 Depth=1
	s_or_b64 exec, exec, s[24:25]
.LBB295_719:                            ;   in Loop: Header=BB295_427 Depth=1
	s_or_b64 exec, exec, s[22:23]
	v_cmp_lt_u64_e64 s[4:5], s[10:11], v[32:33]
	s_and_saveexec_b64 s[22:23], s[4:5]
	s_cbranch_execz .LBB295_725
; %bb.720:                              ;   in Loop: Header=BB295_427 Depth=1
	v_lshrrev_b32_e32 v10, 24, v33
	v_cmp_ne_u32_e64 s[4:5], s7, v10
	v_bfrev_b32_e32 v26, 1
	s_and_saveexec_b64 s[24:25], s[4:5]
	s_cbranch_execz .LBB295_724
; %bb.721:                              ;   in Loop: Header=BB295_427 Depth=1
	v_and_b32_e32 v32, 0x7f, v10
	v_cmp_ne_u32_e64 s[4:5], s15, v32
	v_mov_b32_e32 v26, 0x7fc02000
	s_and_saveexec_b64 s[26:27], s[4:5]
	s_cbranch_execz .LBB295_723
; %bb.722:                              ;   in Loop: Header=BB295_427 Depth=1
	v_and_b32_e32 v16, 7, v10
	v_ffbh_u32_e32 v33, v16
	v_min_u32_e32 v33, 32, v33
	v_lshrrev_b32_e32 v26, 3, v32
	v_subrev_u32_e32 v57, 28, v33
	v_sub_u32_e32 v33, 29, v33
	v_cmp_gt_u32_e64 s[4:5], 8, v32
	v_lshlrev_b64 v[58:59], v57, v[10:11]
	v_cndmask_b32_e64 v26, v26, v33, s[4:5]
	v_and_b32_e32 v57, 7, v58
	v_lshlrev_b32_e32 v10, 8, v10
	v_lshl_add_u32 v26, v26, 10, v48
	v_cndmask_b32_e64 v16, v16, v57, s[4:5]
	v_and_or_b32 v10, v10, s19, v26
	v_lshl_or_b32 v10, v16, 7, v10
	v_cvt_f32_f16_e32 v26, v10
.LBB295_723:                            ;   in Loop: Header=BB295_427 Depth=1
	s_or_b64 exec, exec, s[26:27]
.LBB295_724:                            ;   in Loop: Header=BB295_427 Depth=1
	s_or_b64 exec, exec, s[24:25]
.LBB295_725:                            ;   in Loop: Header=BB295_427 Depth=1
	s_or_b64 exec, exec, s[22:23]
	v_pk_mul_f32 v[30:31], v[24:25], v[30:31] op_sel_hi:[0,1]
	v_pk_mul_f32 v[28:29], v[24:25], v[28:29] op_sel_hi:[0,1]
	v_cvt_f16_f32_e32 v10, v31
	v_cvt_f16_f32_e32 v16, v30
	;; [unrolled: 1-line block ×4, first 2 shown]
	v_fma_mixlo_f16 v6, v24, v6, 0
	v_pack_b32_f16 v16, v16, v10
	v_pack_b32_f16 v28, v28, v29
	v_perm_b32 v10, v28, v16, s29
	v_perm_b32 v28, v28, v16, s30
	v_fma_mixlo_f16 v16, v24, v25, 0
	v_lshlrev_b32_e32 v16, 16, v16
	v_or_b32_sdwa v6, v16, v6 dst_sel:DWORD dst_unused:UNUSED_PAD src0_sel:DWORD src1_sel:WORD_0
	v_fma_mixlo_f16 v16, v24, v26, 0
	v_fma_mixlo_f16 v25, v24, v27, 0
	v_lshlrev_b32_e32 v16, 16, v16
	v_or_b32_sdwa v24, v16, v25 dst_sel:DWORD dst_unused:UNUSED_PAD src0_sel:DWORD src1_sel:WORD_0
	s_and_saveexec_b64 s[22:23], vcc
	s_cbranch_execz .LBB295_727
; %bb.726:                              ;   in Loop: Header=BB295_427 Depth=1
	v_lshrrev_b32_e32 v16, 16, v28
	v_cmp_lt_i32_e64 s[4:5], v43, v17
	v_accvgpr_read_b32 v30, a8
	v_cndmask_b32_e64 v16, 0, v16, s[4:5]
	v_cmp_lt_i32_e64 s[4:5], v7, v30
	v_cndmask_b32_e64 v26, 0, v28, s[4:5]
	v_perm_b32 v28, v16, v26, s31
	v_lshrrev_b32_e32 v16, 16, v10
	v_cmp_lt_i32_e64 s[4:5], v54, v17
	v_cndmask_b32_e64 v16, 0, v16, s[4:5]
	v_cmp_lt_i32_e64 s[4:5], v53, v30
	v_cndmask_b32_e64 v10, 0, v10, s[4:5]
	v_perm_b32 v10, v16, v10, s31
	v_lshrrev_b32_e32 v16, 16, v6
	v_cmp_lt_i32_e64 s[4:5], v52, v17
	;; [unrolled: 6-line block ×3, first 2 shown]
	v_cndmask_b32_e64 v16, 0, v16, s[4:5]
	v_cmp_lt_i32_e64 s[4:5], v49, v30
	v_cndmask_b32_e64 v24, 0, v25, s[4:5]
	v_perm_b32 v24, v16, v24, s31
.LBB295_727:                            ;   in Loop: Header=BB295_427 Depth=1
	s_or_b64 exec, exec, s[22:23]
	;;#ASMSTART
	v_pk_mul_f16 v16, v55, v28;

	;;#ASMEND
	;;#ASMSTART
	v_pk_mul_f16 v10, v40, v10;

	;;#ASMEND
	;; [unrolled: 4-line block ×4, first 2 shown]
	;;#ASMSTART
	v_pk_add_f16 v10, v16, v10;

	;;#ASMEND
	;;#ASMSTART
	v_pk_add_f16 v6, v10, v6;

	;;#ASMEND
	;; [unrolled: 4-line block ×3, first 2 shown]
	v_accvgpr_read_b32 v25, a5
	v_lshrrev_b32_e32 v10, 16, v6
	v_and_b32_e32 v6, 0xffff, v6
	;;#ASMSTART
	v_cvt_f32_f16 v57, v6;
	;;#ASMEND
	;;#ASMSTART
	v_cvt_f32_f16 v58, v10;
	;;#ASMEND
	flat_load_dwordx2 v[32:33], v[18:19] offset:3072
	v_accvgpr_read_b32 v24, a4
	flat_load_dword v24, v[24:25]
	v_mov_b32_e32 v30, 0
	v_mov_b32_e32 v28, 0
	s_waitcnt vmcnt(0) lgkmcnt(0)
	v_cmp_ne_u16_sdwa s[4:5], v32, v11 src0_sel:BYTE_0 src1_sel:DWORD
	s_and_saveexec_b64 s[22:23], s[4:5]
	s_cbranch_execz .LBB295_733
; %bb.728:                              ;   in Loop: Header=BB295_427 Depth=1
	v_cmp_ne_u16_sdwa s[4:5], v32, s7 src0_sel:BYTE_0 src1_sel:DWORD
	v_bfrev_b32_e32 v28, 1
	s_and_saveexec_b64 s[24:25], s[4:5]
	s_cbranch_execz .LBB295_732
; %bb.729:                              ;   in Loop: Header=BB295_427 Depth=1
	v_and_b32_e32 v6, 0x7f, v32
	v_cmp_ne_u32_e64 s[4:5], s15, v6
	v_mov_b32_e32 v28, 0x7fc02000
	s_and_saveexec_b64 s[26:27], s[4:5]
	s_cbranch_execz .LBB295_731
; %bb.730:                              ;   in Loop: Header=BB295_427 Depth=1
	v_and_b32_e32 v10, 7, v32
	v_ffbh_u32_e32 v10, v10
	v_min_u32_e32 v10, 32, v10
	v_subrev_u32_e32 v25, 28, v10
	v_cmp_gt_u32_e64 s[4:5], 8, v6
	v_lshrrev_b32_e32 v16, 3, v6
	v_sub_u32_e32 v10, 29, v10
	v_cndmask_b32_e64 v6, 0, v25, s[4:5]
	v_lshlrev_b64 v[26:27], v6, v[32:33]
	v_cndmask_b32_e64 v6, v16, v10, s[4:5]
	v_lshlrev_b32_e32 v16, 8, v32
	v_lshl_add_u32 v6, v6, 10, v48
	v_lshlrev_b32_e32 v10, 7, v26
	v_and_or_b32 v6, v16, s19, v6
	v_and_or_b32 v6, v10, s28, v6
	v_cvt_f32_f16_e32 v28, v6
.LBB295_731:                            ;   in Loop: Header=BB295_427 Depth=1
	s_or_b64 exec, exec, s[26:27]
.LBB295_732:                            ;   in Loop: Header=BB295_427 Depth=1
	s_or_b64 exec, exec, s[24:25]
.LBB295_733:                            ;   in Loop: Header=BB295_427 Depth=1
	s_or_b64 exec, exec, s[22:23]
	v_lshrrev_b16_e32 v10, 8, v32
	v_cmp_ne_u16_e64 s[4:5], 0, v10
	s_and_saveexec_b64 s[22:23], s[4:5]
	s_cbranch_execz .LBB295_739
; %bb.734:                              ;   in Loop: Header=BB295_427 Depth=1
	v_cmp_ne_u16_e64 s[4:5], s7, v10
	v_bfrev_b32_e32 v30, 1
	s_and_saveexec_b64 s[24:25], s[4:5]
	s_cbranch_execz .LBB295_738
; %bb.735:                              ;   in Loop: Header=BB295_427 Depth=1
	v_and_b32_e32 v6, 0x7f, v10
	v_cmp_ne_u32_e64 s[4:5], s15, v6
	v_mov_b32_e32 v30, 0x7fc02000
	s_and_saveexec_b64 s[26:27], s[4:5]
	s_cbranch_execz .LBB295_737
; %bb.736:                              ;   in Loop: Header=BB295_427 Depth=1
	v_and_b32_e32 v16, 7, v10
	v_ffbh_u32_e32 v26, v16
	v_min_u32_e32 v29, 32, v26
	v_subrev_u32_e32 v26, 28, v29
	v_lshlrev_b64 v[26:27], v26, v[10:11]
	v_lshrrev_b32_e32 v25, 3, v6
	v_sub_u32_e32 v27, 29, v29
	v_cmp_gt_u32_e64 s[4:5], 8, v6
	v_cndmask_b32_e64 v6, v25, v27, s[4:5]
	v_and_b32_e32 v26, 7, v26
	v_lshlrev_b32_e32 v10, 8, v10
	v_lshl_add_u32 v6, v6, 10, v48
	v_cndmask_b32_e64 v16, v16, v26, s[4:5]
	v_and_or_b32 v6, v10, s19, v6
	v_lshl_or_b32 v6, v16, 7, v6
	v_cvt_f32_f16_e32 v30, v6
.LBB295_737:                            ;   in Loop: Header=BB295_427 Depth=1
	s_or_b64 exec, exec, s[26:27]
.LBB295_738:                            ;   in Loop: Header=BB295_427 Depth=1
	s_or_b64 exec, exec, s[24:25]
.LBB295_739:                            ;   in Loop: Header=BB295_427 Depth=1
	s_or_b64 exec, exec, s[22:23]
	v_lshrrev_b32_e32 v10, 16, v32
	v_cmp_ne_u16_sdwa s[4:5], v10, v11 src0_sel:BYTE_0 src1_sel:DWORD
	v_mov_b32_e32 v31, 0
	v_mov_b32_e32 v29, 0
	s_and_saveexec_b64 s[22:23], s[4:5]
	s_cbranch_execz .LBB295_745
; %bb.740:                              ;   in Loop: Header=BB295_427 Depth=1
	v_cmp_ne_u16_sdwa s[4:5], v10, s7 src0_sel:BYTE_0 src1_sel:DWORD
	v_bfrev_b32_e32 v29, 1
	s_and_saveexec_b64 s[24:25], s[4:5]
	s_cbranch_execz .LBB295_744
; %bb.741:                              ;   in Loop: Header=BB295_427 Depth=1
	v_bfe_u32 v6, v32, 16, 7
	v_cmp_ne_u32_e64 s[4:5], s15, v6
	v_mov_b32_e32 v29, 0x7fc02000
	s_and_saveexec_b64 s[26:27], s[4:5]
	s_cbranch_execz .LBB295_743
; %bb.742:                              ;   in Loop: Header=BB295_427 Depth=1
	v_and_b32_e32 v16, 7, v10
	v_ffbh_u32_e32 v26, v16
	v_min_u32_e32 v29, 32, v26
	v_subrev_u32_e32 v26, 28, v29
	v_lshlrev_b64 v[26:27], v26, v[10:11]
	v_lshrrev_b32_e32 v25, 3, v6
	v_sub_u32_e32 v27, 29, v29
	v_cmp_gt_u32_e64 s[4:5], 8, v6
	v_cndmask_b32_e64 v6, v25, v27, s[4:5]
	v_and_b32_e32 v26, 7, v26
	v_lshlrev_b32_e32 v10, 8, v10
	v_lshl_add_u32 v6, v6, 10, v48
	v_cndmask_b32_e64 v16, v16, v26, s[4:5]
	v_and_or_b32 v6, v10, s19, v6
	v_lshl_or_b32 v6, v16, 7, v6
	v_cvt_f32_f16_e32 v29, v6
.LBB295_743:                            ;   in Loop: Header=BB295_427 Depth=1
	s_or_b64 exec, exec, s[26:27]
.LBB295_744:                            ;   in Loop: Header=BB295_427 Depth=1
	s_or_b64 exec, exec, s[24:25]
.LBB295_745:                            ;   in Loop: Header=BB295_427 Depth=1
	s_or_b64 exec, exec, s[22:23]
	v_cmp_lt_u32_e64 s[4:5], s11, v32
	s_and_saveexec_b64 s[22:23], s[4:5]
	s_cbranch_execz .LBB295_751
; %bb.746:                              ;   in Loop: Header=BB295_427 Depth=1
	v_lshrrev_b32_e32 v10, 24, v32
	v_cmp_ne_u32_e64 s[4:5], s7, v10
	v_bfrev_b32_e32 v31, 1
	s_and_saveexec_b64 s[24:25], s[4:5]
	s_cbranch_execz .LBB295_750
; %bb.747:                              ;   in Loop: Header=BB295_427 Depth=1
	v_and_b32_e32 v6, 0x7f, v10
	v_cmp_ne_u32_e64 s[4:5], s15, v6
	v_mov_b32_e32 v31, 0x7fc02000
	s_and_saveexec_b64 s[26:27], s[4:5]
	s_cbranch_execz .LBB295_749
; %bb.748:                              ;   in Loop: Header=BB295_427 Depth=1
	v_and_b32_e32 v16, 7, v10
	v_ffbh_u32_e32 v26, v16
	v_min_u32_e32 v31, 32, v26
	v_subrev_u32_e32 v26, 28, v31
	v_lshlrev_b64 v[26:27], v26, v[10:11]
	v_lshrrev_b32_e32 v25, 3, v6
	v_sub_u32_e32 v27, 29, v31
	v_cmp_gt_u32_e64 s[4:5], 8, v6
	v_cndmask_b32_e64 v6, v25, v27, s[4:5]
	v_and_b32_e32 v26, 7, v26
	v_lshlrev_b32_e32 v10, 8, v10
	v_lshl_add_u32 v6, v6, 10, v48
	v_cndmask_b32_e64 v16, v16, v26, s[4:5]
	v_and_or_b32 v6, v10, s19, v6
	v_lshl_or_b32 v6, v16, 7, v6
	v_cvt_f32_f16_e32 v31, v6
.LBB295_749:                            ;   in Loop: Header=BB295_427 Depth=1
	s_or_b64 exec, exec, s[26:27]
.LBB295_750:                            ;   in Loop: Header=BB295_427 Depth=1
	s_or_b64 exec, exec, s[24:25]
.LBB295_751:                            ;   in Loop: Header=BB295_427 Depth=1
	s_or_b64 exec, exec, s[22:23]
	v_mov_b32_e32 v10, v33
	v_cmp_ne_u16_sdwa s[4:5], v33, v11 src0_sel:BYTE_0 src1_sel:DWORD
	v_mov_b32_e32 v25, 0
	v_mov_b32_e32 v6, 0
	s_and_saveexec_b64 s[22:23], s[4:5]
	s_cbranch_execz .LBB295_757
; %bb.752:                              ;   in Loop: Header=BB295_427 Depth=1
	v_cmp_ne_u16_sdwa s[4:5], v33, s7 src0_sel:BYTE_0 src1_sel:DWORD
	v_bfrev_b32_e32 v6, 1
	s_and_saveexec_b64 s[24:25], s[4:5]
	s_cbranch_execz .LBB295_756
; %bb.753:                              ;   in Loop: Header=BB295_427 Depth=1
	v_and_b32_e32 v26, 0x7f, v33
	v_cmp_ne_u32_e64 s[4:5], s15, v26
	v_mov_b32_e32 v6, 0x7fc02000
	s_and_saveexec_b64 s[26:27], s[4:5]
	s_cbranch_execz .LBB295_755
; %bb.754:                              ;   in Loop: Header=BB295_427 Depth=1
	v_and_b32_e32 v6, 7, v33
	v_ffbh_u32_e32 v6, v6
	v_min_u32_e32 v6, 32, v6
	v_subrev_u32_e32 v27, 28, v6
	v_cmp_gt_u32_e64 s[4:5], 8, v26
	v_lshrrev_b32_e32 v16, 3, v26
	v_sub_u32_e32 v6, 29, v6
	v_cndmask_b32_e64 v26, 0, v27, s[4:5]
	v_lshlrev_b64 v[26:27], v26, v[10:11]
	v_cndmask_b32_e64 v6, v16, v6, s[4:5]
	v_lshlrev_b32_e32 v16, 7, v26
	v_lshlrev_b32_e32 v26, 8, v33
	v_lshl_add_u32 v6, v6, 10, v48
	v_and_or_b32 v6, v26, s19, v6
	v_and_or_b32 v6, v16, s28, v6
	v_cvt_f32_f16_e32 v6, v6
.LBB295_755:                            ;   in Loop: Header=BB295_427 Depth=1
	s_or_b64 exec, exec, s[26:27]
.LBB295_756:                            ;   in Loop: Header=BB295_427 Depth=1
	s_or_b64 exec, exec, s[24:25]
.LBB295_757:                            ;   in Loop: Header=BB295_427 Depth=1
	s_or_b64 exec, exec, s[22:23]
	v_lshrrev_b16_e32 v10, 8, v10
	v_cmp_ne_u16_e64 s[4:5], 0, v10
	s_and_saveexec_b64 s[22:23], s[4:5]
	s_cbranch_execz .LBB295_763
; %bb.758:                              ;   in Loop: Header=BB295_427 Depth=1
	v_cmp_ne_u16_e64 s[4:5], s7, v10
	v_bfrev_b32_e32 v25, 1
	s_and_saveexec_b64 s[24:25], s[4:5]
	s_cbranch_execz .LBB295_762
; %bb.759:                              ;   in Loop: Header=BB295_427 Depth=1
	v_and_b32_e32 v26, 0x7f, v10
	v_cmp_ne_u32_e64 s[4:5], s15, v26
	v_mov_b32_e32 v25, 0x7fc02000
	s_and_saveexec_b64 s[26:27], s[4:5]
	s_cbranch_execz .LBB295_761
; %bb.760:                              ;   in Loop: Header=BB295_427 Depth=1
	v_and_b32_e32 v16, 7, v10
	v_ffbh_u32_e32 v27, v16
	v_min_u32_e32 v27, 32, v27
	v_lshrrev_b32_e32 v25, 3, v26
	v_subrev_u32_e32 v59, 28, v27
	v_sub_u32_e32 v27, 29, v27
	v_cmp_gt_u32_e64 s[4:5], 8, v26
	v_lshlrev_b64 v[60:61], v59, v[10:11]
	v_cndmask_b32_e64 v25, v25, v27, s[4:5]
	v_and_b32_e32 v59, 7, v60
	v_lshlrev_b32_e32 v10, 8, v10
	v_lshl_add_u32 v25, v25, 10, v48
	v_cndmask_b32_e64 v16, v16, v59, s[4:5]
	v_and_or_b32 v10, v10, s19, v25
	v_lshl_or_b32 v10, v16, 7, v10
	v_cvt_f32_f16_e32 v25, v10
.LBB295_761:                            ;   in Loop: Header=BB295_427 Depth=1
	s_or_b64 exec, exec, s[26:27]
.LBB295_762:                            ;   in Loop: Header=BB295_427 Depth=1
	s_or_b64 exec, exec, s[24:25]
.LBB295_763:                            ;   in Loop: Header=BB295_427 Depth=1
	s_or_b64 exec, exec, s[22:23]
	v_lshrrev_b32_e32 v10, 16, v33
	v_cmp_ne_u16_sdwa s[4:5], v10, v11 src0_sel:BYTE_0 src1_sel:DWORD
	v_mov_b32_e32 v26, 0
	v_mov_b32_e32 v27, 0
	s_and_saveexec_b64 s[22:23], s[4:5]
	s_cbranch_execz .LBB295_769
; %bb.764:                              ;   in Loop: Header=BB295_427 Depth=1
	v_cmp_ne_u16_sdwa s[4:5], v10, s7 src0_sel:BYTE_0 src1_sel:DWORD
	v_bfrev_b32_e32 v27, 1
	s_and_saveexec_b64 s[24:25], s[4:5]
	s_cbranch_execz .LBB295_768
; %bb.765:                              ;   in Loop: Header=BB295_427 Depth=1
	v_bfe_u32 v59, v33, 16, 7
	v_cmp_ne_u32_e64 s[4:5], s15, v59
	v_mov_b32_e32 v27, 0x7fc02000
	s_and_saveexec_b64 s[26:27], s[4:5]
	s_cbranch_execz .LBB295_767
; %bb.766:                              ;   in Loop: Header=BB295_427 Depth=1
	v_and_b32_e32 v16, 7, v10
	v_ffbh_u32_e32 v60, v16
	v_min_u32_e32 v62, 32, v60
	v_subrev_u32_e32 v60, 28, v62
	v_lshlrev_b64 v[60:61], v60, v[10:11]
	v_lshrrev_b32_e32 v27, 3, v59
	v_sub_u32_e32 v61, 29, v62
	v_cmp_gt_u32_e64 s[4:5], 8, v59
	v_cndmask_b32_e64 v27, v27, v61, s[4:5]
	v_and_b32_e32 v60, 7, v60
	v_lshlrev_b32_e32 v10, 8, v10
	v_lshl_add_u32 v27, v27, 10, v48
	v_cndmask_b32_e64 v16, v16, v60, s[4:5]
	v_and_or_b32 v10, v10, s19, v27
	v_lshl_or_b32 v10, v16, 7, v10
	v_cvt_f32_f16_e32 v27, v10
.LBB295_767:                            ;   in Loop: Header=BB295_427 Depth=1
	s_or_b64 exec, exec, s[26:27]
.LBB295_768:                            ;   in Loop: Header=BB295_427 Depth=1
	s_or_b64 exec, exec, s[24:25]
.LBB295_769:                            ;   in Loop: Header=BB295_427 Depth=1
	s_or_b64 exec, exec, s[22:23]
	v_cmp_lt_u64_e64 s[4:5], s[10:11], v[32:33]
	s_and_saveexec_b64 s[22:23], s[4:5]
	s_cbranch_execz .LBB295_775
; %bb.770:                              ;   in Loop: Header=BB295_427 Depth=1
	v_lshrrev_b32_e32 v10, 24, v33
	v_cmp_ne_u32_e64 s[4:5], s7, v10
	v_bfrev_b32_e32 v26, 1
	s_and_saveexec_b64 s[24:25], s[4:5]
	s_cbranch_execz .LBB295_774
; %bb.771:                              ;   in Loop: Header=BB295_427 Depth=1
	v_and_b32_e32 v32, 0x7f, v10
	v_cmp_ne_u32_e64 s[4:5], s15, v32
	v_mov_b32_e32 v26, 0x7fc02000
	s_and_saveexec_b64 s[26:27], s[4:5]
	s_cbranch_execz .LBB295_773
; %bb.772:                              ;   in Loop: Header=BB295_427 Depth=1
	v_and_b32_e32 v16, 7, v10
	v_ffbh_u32_e32 v33, v16
	v_min_u32_e32 v33, 32, v33
	v_lshrrev_b32_e32 v26, 3, v32
	v_subrev_u32_e32 v59, 28, v33
	v_sub_u32_e32 v33, 29, v33
	v_cmp_gt_u32_e64 s[4:5], 8, v32
	v_lshlrev_b64 v[60:61], v59, v[10:11]
	v_cndmask_b32_e64 v26, v26, v33, s[4:5]
	v_and_b32_e32 v59, 7, v60
	v_lshlrev_b32_e32 v10, 8, v10
	v_lshl_add_u32 v26, v26, 10, v48
	v_cndmask_b32_e64 v16, v16, v59, s[4:5]
	v_and_or_b32 v10, v10, s19, v26
	v_lshl_or_b32 v10, v16, 7, v10
	v_cvt_f32_f16_e32 v26, v10
.LBB295_773:                            ;   in Loop: Header=BB295_427 Depth=1
	s_or_b64 exec, exec, s[26:27]
.LBB295_774:                            ;   in Loop: Header=BB295_427 Depth=1
	s_or_b64 exec, exec, s[24:25]
.LBB295_775:                            ;   in Loop: Header=BB295_427 Depth=1
	s_or_b64 exec, exec, s[22:23]
	v_pk_mul_f32 v[30:31], v[24:25], v[30:31] op_sel_hi:[0,1]
	v_pk_mul_f32 v[28:29], v[24:25], v[28:29] op_sel_hi:[0,1]
	v_cvt_f16_f32_e32 v10, v31
	v_cvt_f16_f32_e32 v16, v30
	;; [unrolled: 1-line block ×4, first 2 shown]
	v_fma_mixlo_f16 v6, v24, v6, 0
	v_pack_b32_f16 v16, v16, v10
	v_pack_b32_f16 v28, v28, v29
	v_perm_b32 v10, v28, v16, s29
	v_perm_b32 v28, v28, v16, s30
	v_fma_mixlo_f16 v16, v24, v25, 0
	v_lshlrev_b32_e32 v16, 16, v16
	v_or_b32_sdwa v6, v16, v6 dst_sel:DWORD dst_unused:UNUSED_PAD src0_sel:DWORD src1_sel:WORD_0
	v_fma_mixlo_f16 v16, v24, v26, 0
	v_fma_mixlo_f16 v25, v24, v27, 0
	v_lshlrev_b32_e32 v16, 16, v16
	v_or_b32_sdwa v24, v16, v25 dst_sel:DWORD dst_unused:UNUSED_PAD src0_sel:DWORD src1_sel:WORD_0
	s_and_saveexec_b64 s[22:23], vcc
	s_cbranch_execz .LBB295_777
; %bb.776:                              ;   in Loop: Header=BB295_427 Depth=1
	v_lshrrev_b32_e32 v16, 16, v28
	v_cmp_lt_i32_e64 s[4:5], v43, v17
	v_accvgpr_read_b32 v30, a8
	v_cndmask_b32_e64 v16, 0, v16, s[4:5]
	v_cmp_lt_i32_e64 s[4:5], v7, v30
	v_cndmask_b32_e64 v26, 0, v28, s[4:5]
	v_perm_b32 v28, v16, v26, s31
	v_lshrrev_b32_e32 v16, 16, v10
	v_cmp_lt_i32_e64 s[4:5], v54, v17
	v_cndmask_b32_e64 v16, 0, v16, s[4:5]
	v_cmp_lt_i32_e64 s[4:5], v53, v30
	v_cndmask_b32_e64 v10, 0, v10, s[4:5]
	v_perm_b32 v10, v16, v10, s31
	v_lshrrev_b32_e32 v16, 16, v6
	v_cmp_lt_i32_e64 s[4:5], v52, v17
	;; [unrolled: 6-line block ×3, first 2 shown]
	v_cndmask_b32_e64 v16, 0, v16, s[4:5]
	v_cmp_lt_i32_e64 s[4:5], v49, v30
	v_cndmask_b32_e64 v24, 0, v25, s[4:5]
	v_perm_b32 v24, v16, v24, s31
.LBB295_777:                            ;   in Loop: Header=BB295_427 Depth=1
	s_or_b64 exec, exec, s[22:23]
	;;#ASMSTART
	v_pk_mul_f16 v16, v55, v28;

	;;#ASMEND
	;;#ASMSTART
	v_pk_mul_f16 v10, v40, v10;

	;;#ASMEND
	;; [unrolled: 4-line block ×4, first 2 shown]
	;;#ASMSTART
	v_pk_add_f16 v10, v16, v10;

	;;#ASMEND
	;;#ASMSTART
	v_pk_add_f16 v6, v10, v6;

	;;#ASMEND
	;; [unrolled: 4-line block ×3, first 2 shown]
	v_lshrrev_b32_e32 v10, 16, v6
	v_and_b32_e32 v6, 0xffff, v6
	;;#ASMSTART
	v_cvt_f32_f16 v26, v6;
	;;#ASMEND
	;;#ASMSTART
	v_cvt_f32_f16 v27, v10;
	;;#ASMEND
	flat_load_dwordx2 v[30:31], v[18:19] offset:3584
	v_accvgpr_read_b32 v19, a5
	v_accvgpr_read_b32 v18, a4
	flat_load_dword v18, v[18:19]
	v_mov_b32_e32 v28, 0
	v_mov_b32_e32 v24, 0
	s_waitcnt vmcnt(0) lgkmcnt(0)
	v_cmp_ne_u16_sdwa s[4:5], v30, v11 src0_sel:BYTE_0 src1_sel:DWORD
	s_and_saveexec_b64 s[22:23], s[4:5]
	s_cbranch_execz .LBB295_783
; %bb.778:                              ;   in Loop: Header=BB295_427 Depth=1
	v_cmp_ne_u16_sdwa s[4:5], v30, s7 src0_sel:BYTE_0 src1_sel:DWORD
	v_bfrev_b32_e32 v24, 1
	s_and_saveexec_b64 s[24:25], s[4:5]
	s_cbranch_execz .LBB295_782
; %bb.779:                              ;   in Loop: Header=BB295_427 Depth=1
	v_and_b32_e32 v6, 0x7f, v30
	v_cmp_ne_u32_e64 s[4:5], s15, v6
	v_mov_b32_e32 v24, 0x7fc02000
	s_and_saveexec_b64 s[26:27], s[4:5]
	s_cbranch_execz .LBB295_781
; %bb.780:                              ;   in Loop: Header=BB295_427 Depth=1
	v_and_b32_e32 v10, 7, v30
	v_ffbh_u32_e32 v10, v10
	v_min_u32_e32 v10, 32, v10
	v_subrev_u32_e32 v19, 28, v10
	v_cmp_gt_u32_e64 s[4:5], 8, v6
	v_lshrrev_b32_e32 v16, 3, v6
	v_sub_u32_e32 v10, 29, v10
	v_cndmask_b32_e64 v6, 0, v19, s[4:5]
	v_lshlrev_b64 v[24:25], v6, v[30:31]
	v_cndmask_b32_e64 v6, v16, v10, s[4:5]
	v_lshlrev_b32_e32 v16, 8, v30
	v_lshl_add_u32 v6, v6, 10, v48
	v_lshlrev_b32_e32 v10, 7, v24
	v_and_or_b32 v6, v16, s19, v6
	v_and_or_b32 v6, v10, s28, v6
	v_cvt_f32_f16_e32 v24, v6
.LBB295_781:                            ;   in Loop: Header=BB295_427 Depth=1
	s_or_b64 exec, exec, s[26:27]
.LBB295_782:                            ;   in Loop: Header=BB295_427 Depth=1
	s_or_b64 exec, exec, s[24:25]
.LBB295_783:                            ;   in Loop: Header=BB295_427 Depth=1
	s_or_b64 exec, exec, s[22:23]
	v_lshrrev_b16_e32 v10, 8, v30
	v_cmp_ne_u16_e64 s[4:5], 0, v10
	s_and_saveexec_b64 s[22:23], s[4:5]
	s_cbranch_execz .LBB295_789
; %bb.784:                              ;   in Loop: Header=BB295_427 Depth=1
	v_cmp_ne_u16_e64 s[4:5], s7, v10
	v_bfrev_b32_e32 v28, 1
	s_and_saveexec_b64 s[24:25], s[4:5]
	s_cbranch_execz .LBB295_788
; %bb.785:                              ;   in Loop: Header=BB295_427 Depth=1
	v_and_b32_e32 v6, 0x7f, v10
	v_cmp_ne_u32_e64 s[4:5], s15, v6
	v_mov_b32_e32 v28, 0x7fc02000
	s_and_saveexec_b64 s[26:27], s[4:5]
	s_cbranch_execz .LBB295_787
; %bb.786:                              ;   in Loop: Header=BB295_427 Depth=1
	v_and_b32_e32 v16, 7, v10
	v_ffbh_u32_e32 v25, v16
	v_min_u32_e32 v25, 32, v25
	v_lshrrev_b32_e32 v19, 3, v6
	v_subrev_u32_e32 v28, 28, v25
	v_sub_u32_e32 v25, 29, v25
	v_cmp_gt_u32_e64 s[4:5], 8, v6
	v_lshlrev_b64 v[28:29], v28, v[10:11]
	v_cndmask_b32_e64 v6, v19, v25, s[4:5]
	v_and_b32_e32 v28, 7, v28
	v_lshlrev_b32_e32 v10, 8, v10
	v_lshl_add_u32 v6, v6, 10, v48
	v_cndmask_b32_e64 v16, v16, v28, s[4:5]
	v_and_or_b32 v6, v10, s19, v6
	v_lshl_or_b32 v6, v16, 7, v6
	v_cvt_f32_f16_e32 v28, v6
.LBB295_787:                            ;   in Loop: Header=BB295_427 Depth=1
	s_or_b64 exec, exec, s[26:27]
.LBB295_788:                            ;   in Loop: Header=BB295_427 Depth=1
	s_or_b64 exec, exec, s[24:25]
.LBB295_789:                            ;   in Loop: Header=BB295_427 Depth=1
	s_or_b64 exec, exec, s[22:23]
	v_lshrrev_b32_e32 v10, 16, v30
	v_cmp_ne_u16_sdwa s[4:5], v10, v11 src0_sel:BYTE_0 src1_sel:DWORD
	v_mov_b32_e32 v29, 0
	v_mov_b32_e32 v25, 0
	s_and_saveexec_b64 s[22:23], s[4:5]
	s_cbranch_execz .LBB295_795
; %bb.790:                              ;   in Loop: Header=BB295_427 Depth=1
	v_cmp_ne_u16_sdwa s[4:5], v10, s7 src0_sel:BYTE_0 src1_sel:DWORD
	v_bfrev_b32_e32 v25, 1
	s_and_saveexec_b64 s[24:25], s[4:5]
	s_cbranch_execz .LBB295_794
; %bb.791:                              ;   in Loop: Header=BB295_427 Depth=1
	v_bfe_u32 v6, v30, 16, 7
	v_cmp_ne_u32_e64 s[4:5], s15, v6
	v_mov_b32_e32 v25, 0x7fc02000
	s_and_saveexec_b64 s[26:27], s[4:5]
	s_cbranch_execz .LBB295_793
; %bb.792:                              ;   in Loop: Header=BB295_427 Depth=1
	v_and_b32_e32 v16, 7, v10
	v_ffbh_u32_e32 v25, v16
	v_min_u32_e32 v25, 32, v25
	v_lshrrev_b32_e32 v19, 3, v6
	v_subrev_u32_e32 v32, 28, v25
	v_sub_u32_e32 v25, 29, v25
	v_cmp_gt_u32_e64 s[4:5], 8, v6
	v_lshlrev_b64 v[32:33], v32, v[10:11]
	v_cndmask_b32_e64 v6, v19, v25, s[4:5]
	v_and_b32_e32 v32, 7, v32
	v_lshlrev_b32_e32 v10, 8, v10
	v_lshl_add_u32 v6, v6, 10, v48
	v_cndmask_b32_e64 v16, v16, v32, s[4:5]
	v_and_or_b32 v6, v10, s19, v6
	v_lshl_or_b32 v6, v16, 7, v6
	v_cvt_f32_f16_e32 v25, v6
.LBB295_793:                            ;   in Loop: Header=BB295_427 Depth=1
	s_or_b64 exec, exec, s[26:27]
.LBB295_794:                            ;   in Loop: Header=BB295_427 Depth=1
	s_or_b64 exec, exec, s[24:25]
.LBB295_795:                            ;   in Loop: Header=BB295_427 Depth=1
	s_or_b64 exec, exec, s[22:23]
	v_cmp_lt_u32_e64 s[4:5], s11, v30
	s_and_saveexec_b64 s[22:23], s[4:5]
	s_cbranch_execz .LBB295_801
; %bb.796:                              ;   in Loop: Header=BB295_427 Depth=1
	v_lshrrev_b32_e32 v10, 24, v30
	v_cmp_ne_u32_e64 s[4:5], s7, v10
	v_bfrev_b32_e32 v29, 1
	s_and_saveexec_b64 s[24:25], s[4:5]
	s_cbranch_execz .LBB295_800
; %bb.797:                              ;   in Loop: Header=BB295_427 Depth=1
	v_and_b32_e32 v6, 0x7f, v10
	v_cmp_ne_u32_e64 s[4:5], s15, v6
	v_mov_b32_e32 v29, 0x7fc02000
	s_and_saveexec_b64 s[26:27], s[4:5]
	s_cbranch_execz .LBB295_799
; %bb.798:                              ;   in Loop: Header=BB295_427 Depth=1
	v_and_b32_e32 v16, 7, v10
	v_ffbh_u32_e32 v29, v16
	v_min_u32_e32 v29, 32, v29
	v_lshrrev_b32_e32 v19, 3, v6
	v_subrev_u32_e32 v32, 28, v29
	v_sub_u32_e32 v29, 29, v29
	v_cmp_gt_u32_e64 s[4:5], 8, v6
	v_lshlrev_b64 v[32:33], v32, v[10:11]
	v_cndmask_b32_e64 v6, v19, v29, s[4:5]
	v_and_b32_e32 v32, 7, v32
	v_lshlrev_b32_e32 v10, 8, v10
	v_lshl_add_u32 v6, v6, 10, v48
	v_cndmask_b32_e64 v16, v16, v32, s[4:5]
	v_and_or_b32 v6, v10, s19, v6
	v_lshl_or_b32 v6, v16, 7, v6
	v_cvt_f32_f16_e32 v29, v6
.LBB295_799:                            ;   in Loop: Header=BB295_427 Depth=1
	s_or_b64 exec, exec, s[26:27]
.LBB295_800:                            ;   in Loop: Header=BB295_427 Depth=1
	s_or_b64 exec, exec, s[24:25]
.LBB295_801:                            ;   in Loop: Header=BB295_427 Depth=1
	s_or_b64 exec, exec, s[22:23]
	v_mov_b32_e32 v10, v31
	v_cmp_ne_u16_sdwa s[4:5], v31, v11 src0_sel:BYTE_0 src1_sel:DWORD
	v_mov_b32_e32 v19, 0
	v_mov_b32_e32 v6, 0
	s_and_saveexec_b64 s[22:23], s[4:5]
	s_cbranch_execz .LBB295_807
; %bb.802:                              ;   in Loop: Header=BB295_427 Depth=1
	v_cmp_ne_u16_sdwa s[4:5], v31, s7 src0_sel:BYTE_0 src1_sel:DWORD
	v_bfrev_b32_e32 v6, 1
	s_and_saveexec_b64 s[24:25], s[4:5]
	s_cbranch_execz .LBB295_806
; %bb.803:                              ;   in Loop: Header=BB295_427 Depth=1
	v_and_b32_e32 v32, 0x7f, v31
	v_cmp_ne_u32_e64 s[4:5], s15, v32
	v_mov_b32_e32 v6, 0x7fc02000
	s_and_saveexec_b64 s[26:27], s[4:5]
	s_cbranch_execz .LBB295_805
; %bb.804:                              ;   in Loop: Header=BB295_427 Depth=1
	v_and_b32_e32 v6, 7, v31
	v_ffbh_u32_e32 v6, v6
	v_min_u32_e32 v6, 32, v6
	v_subrev_u32_e32 v33, 28, v6
	v_cmp_gt_u32_e64 s[4:5], 8, v32
	v_lshrrev_b32_e32 v16, 3, v32
	v_sub_u32_e32 v6, 29, v6
	v_cndmask_b32_e64 v32, 0, v33, s[4:5]
	v_lshlrev_b64 v[32:33], v32, v[10:11]
	v_cndmask_b32_e64 v6, v16, v6, s[4:5]
	v_lshlrev_b32_e32 v16, 7, v32
	v_lshlrev_b32_e32 v32, 8, v31
	v_lshl_add_u32 v6, v6, 10, v48
	v_and_or_b32 v6, v32, s19, v6
	v_and_or_b32 v6, v16, s28, v6
	v_cvt_f32_f16_e32 v6, v6
.LBB295_805:                            ;   in Loop: Header=BB295_427 Depth=1
	s_or_b64 exec, exec, s[26:27]
.LBB295_806:                            ;   in Loop: Header=BB295_427 Depth=1
	s_or_b64 exec, exec, s[24:25]
.LBB295_807:                            ;   in Loop: Header=BB295_427 Depth=1
	s_or_b64 exec, exec, s[22:23]
	v_lshrrev_b16_e32 v10, 8, v10
	v_cmp_ne_u16_e64 s[4:5], 0, v10
	s_and_saveexec_b64 s[22:23], s[4:5]
	s_cbranch_execz .LBB295_813
; %bb.808:                              ;   in Loop: Header=BB295_427 Depth=1
	v_cmp_ne_u16_e64 s[4:5], s7, v10
	v_bfrev_b32_e32 v19, 1
	s_and_saveexec_b64 s[24:25], s[4:5]
	s_cbranch_execz .LBB295_812
; %bb.809:                              ;   in Loop: Header=BB295_427 Depth=1
	v_and_b32_e32 v32, 0x7f, v10
	v_cmp_ne_u32_e64 s[4:5], s15, v32
	v_mov_b32_e32 v19, 0x7fc02000
	s_and_saveexec_b64 s[26:27], s[4:5]
	s_cbranch_execz .LBB295_811
; %bb.810:                              ;   in Loop: Header=BB295_427 Depth=1
	v_and_b32_e32 v16, 7, v10
	v_ffbh_u32_e32 v33, v16
	v_min_u32_e32 v33, 32, v33
	v_lshrrev_b32_e32 v19, 3, v32
	v_subrev_u32_e32 v59, 28, v33
	v_sub_u32_e32 v33, 29, v33
	v_cmp_gt_u32_e64 s[4:5], 8, v32
	v_lshlrev_b64 v[60:61], v59, v[10:11]
	v_cndmask_b32_e64 v19, v19, v33, s[4:5]
	v_and_b32_e32 v59, 7, v60
	v_lshlrev_b32_e32 v10, 8, v10
	v_lshl_add_u32 v19, v19, 10, v48
	v_cndmask_b32_e64 v16, v16, v59, s[4:5]
	v_and_or_b32 v10, v10, s19, v19
	v_lshl_or_b32 v10, v16, 7, v10
	v_cvt_f32_f16_e32 v19, v10
.LBB295_811:                            ;   in Loop: Header=BB295_427 Depth=1
	s_or_b64 exec, exec, s[26:27]
.LBB295_812:                            ;   in Loop: Header=BB295_427 Depth=1
	s_or_b64 exec, exec, s[24:25]
.LBB295_813:                            ;   in Loop: Header=BB295_427 Depth=1
	s_or_b64 exec, exec, s[22:23]
	v_lshrrev_b32_e32 v10, 16, v31
	v_cmp_ne_u16_sdwa s[4:5], v10, v11 src0_sel:BYTE_0 src1_sel:DWORD
	v_mov_b32_e32 v32, 0
	v_mov_b32_e32 v33, 0
	s_and_saveexec_b64 s[22:23], s[4:5]
	s_cbranch_execz .LBB295_819
; %bb.814:                              ;   in Loop: Header=BB295_427 Depth=1
	v_cmp_ne_u16_sdwa s[4:5], v10, s7 src0_sel:BYTE_0 src1_sel:DWORD
	v_bfrev_b32_e32 v33, 1
	s_and_saveexec_b64 s[24:25], s[4:5]
	s_cbranch_execz .LBB295_818
; %bb.815:                              ;   in Loop: Header=BB295_427 Depth=1
	v_bfe_u32 v59, v31, 16, 7
	v_cmp_ne_u32_e64 s[4:5], s15, v59
	v_mov_b32_e32 v33, 0x7fc02000
	s_and_saveexec_b64 s[26:27], s[4:5]
	s_cbranch_execz .LBB295_817
; %bb.816:                              ;   in Loop: Header=BB295_427 Depth=1
	v_and_b32_e32 v16, 7, v10
	v_ffbh_u32_e32 v60, v16
	v_min_u32_e32 v62, 32, v60
	v_subrev_u32_e32 v60, 28, v62
	v_lshlrev_b64 v[60:61], v60, v[10:11]
	v_lshrrev_b32_e32 v33, 3, v59
	v_sub_u32_e32 v61, 29, v62
	v_cmp_gt_u32_e64 s[4:5], 8, v59
	v_cndmask_b32_e64 v33, v33, v61, s[4:5]
	v_and_b32_e32 v60, 7, v60
	v_lshlrev_b32_e32 v10, 8, v10
	v_lshl_add_u32 v33, v33, 10, v48
	v_cndmask_b32_e64 v16, v16, v60, s[4:5]
	v_and_or_b32 v10, v10, s19, v33
	v_lshl_or_b32 v10, v16, 7, v10
	v_cvt_f32_f16_e32 v33, v10
.LBB295_817:                            ;   in Loop: Header=BB295_427 Depth=1
	s_or_b64 exec, exec, s[26:27]
.LBB295_818:                            ;   in Loop: Header=BB295_427 Depth=1
	s_or_b64 exec, exec, s[24:25]
.LBB295_819:                            ;   in Loop: Header=BB295_427 Depth=1
	s_or_b64 exec, exec, s[22:23]
	v_cmp_lt_u64_e64 s[4:5], s[10:11], v[30:31]
	s_and_saveexec_b64 s[22:23], s[4:5]
	s_cbranch_execz .LBB295_825
; %bb.820:                              ;   in Loop: Header=BB295_427 Depth=1
	v_lshrrev_b32_e32 v10, 24, v31
	v_cmp_ne_u32_e64 s[4:5], s7, v10
	v_bfrev_b32_e32 v32, 1
	s_and_saveexec_b64 s[24:25], s[4:5]
	s_cbranch_execz .LBB295_824
; %bb.821:                              ;   in Loop: Header=BB295_427 Depth=1
	v_and_b32_e32 v30, 0x7f, v10
	v_cmp_ne_u32_e64 s[4:5], s15, v30
	v_mov_b32_e32 v32, 0x7fc02000
	s_and_saveexec_b64 s[26:27], s[4:5]
	s_cbranch_execz .LBB295_823
; %bb.822:                              ;   in Loop: Header=BB295_427 Depth=1
	v_and_b32_e32 v16, 7, v10
	v_ffbh_u32_e32 v32, v16
	v_min_u32_e32 v32, 32, v32
	v_lshrrev_b32_e32 v31, 3, v30
	v_subrev_u32_e32 v59, 28, v32
	v_sub_u32_e32 v32, 29, v32
	v_cmp_gt_u32_e64 s[4:5], 8, v30
	v_lshlrev_b64 v[60:61], v59, v[10:11]
	v_cndmask_b32_e64 v30, v31, v32, s[4:5]
	v_and_b32_e32 v59, 7, v60
	v_lshlrev_b32_e32 v10, 8, v10
	v_lshl_add_u32 v30, v30, 10, v48
	v_cndmask_b32_e64 v16, v16, v59, s[4:5]
	v_and_or_b32 v10, v10, s19, v30
	v_lshl_or_b32 v10, v16, 7, v10
	v_cvt_f32_f16_e32 v32, v10
.LBB295_823:                            ;   in Loop: Header=BB295_427 Depth=1
	s_or_b64 exec, exec, s[26:27]
.LBB295_824:                            ;   in Loop: Header=BB295_427 Depth=1
	s_or_b64 exec, exec, s[24:25]
.LBB295_825:                            ;   in Loop: Header=BB295_427 Depth=1
	s_or_b64 exec, exec, s[22:23]
	v_pk_mul_f32 v[28:29], v[18:19], v[28:29] op_sel_hi:[0,1]
	v_pk_mul_f32 v[24:25], v[18:19], v[24:25] op_sel_hi:[0,1]
	v_cvt_f16_f32_e32 v10, v29
	v_cvt_f16_f32_e32 v16, v28
	;; [unrolled: 1-line block ×4, first 2 shown]
	v_fma_mixlo_f16 v6, v18, v6, 0
	v_pack_b32_f16 v16, v16, v10
	v_pack_b32_f16 v24, v24, v25
	v_perm_b32 v10, v24, v16, s29
	v_perm_b32 v24, v24, v16, s30
	v_fma_mixlo_f16 v16, v18, v19, 0
	v_lshlrev_b32_e32 v16, 16, v16
	v_or_b32_sdwa v6, v16, v6 dst_sel:DWORD dst_unused:UNUSED_PAD src0_sel:DWORD src1_sel:WORD_0
	v_fma_mixlo_f16 v16, v18, v32, 0
	v_fma_mixlo_f16 v19, v18, v33, 0
	v_lshlrev_b32_e32 v16, 16, v16
	v_or_b32_sdwa v18, v16, v19 dst_sel:DWORD dst_unused:UNUSED_PAD src0_sel:DWORD src1_sel:WORD_0
	s_and_saveexec_b64 s[4:5], vcc
	s_cbranch_execz .LBB295_426
; %bb.826:                              ;   in Loop: Header=BB295_427 Depth=1
	v_lshrrev_b32_e32 v16, 16, v24
	v_cmp_lt_i32_e32 vcc, v43, v17
	v_accvgpr_read_b32 v28, a8
	v_cndmask_b32_e32 v16, 0, v16, vcc
	v_cmp_lt_i32_e32 vcc, v7, v28
	v_cndmask_b32_e32 v24, 0, v24, vcc
	v_perm_b32 v24, v16, v24, s31
	v_lshrrev_b32_e32 v16, 16, v10
	v_cmp_lt_i32_e32 vcc, v54, v17
	v_cndmask_b32_e32 v16, 0, v16, vcc
	v_cmp_lt_i32_e32 vcc, v53, v28
	v_cndmask_b32_e32 v10, 0, v10, vcc
	v_perm_b32 v10, v16, v10, s31
	v_lshrrev_b32_e32 v16, 16, v6
	v_cmp_lt_i32_e32 vcc, v52, v17
	;; [unrolled: 6-line block ×3, first 2 shown]
	v_cndmask_b32_e32 v16, 0, v16, vcc
	v_cmp_lt_i32_e32 vcc, v49, v28
	v_cndmask_b32_e32 v18, 0, v19, vcc
	v_perm_b32 v18, v16, v18, s31
	s_branch .LBB295_426
.LBB295_827:
	s_or_b64 exec, exec, s[12:13]
	v_accvgpr_read_b32 v20, a0
	v_accvgpr_read_b32 v22, a1
	;; [unrolled: 1-line block ×3, first 2 shown]
.LBB295_828:
	s_or_b64 exec, exec, s[8:9]
	ds_bpermute_b32 v4, v37, v0
	ds_bpermute_b32 v5, v37, v1
	ds_bpermute_b32 v18, v37, v2
	ds_bpermute_b32 v19, v37, v3
	ds_bpermute_b32 v6, v37, v12
	ds_bpermute_b32 v7, v37, v13
	ds_bpermute_b32 v16, v37, v8
	ds_bpermute_b32 v17, v37, v9
	s_waitcnt lgkmcnt(0)
	v_pk_add_f32 v[14:15], v[0:1], v[4:5]
	v_pk_add_f32 v[0:1], v[2:3], v[18:19]
	v_and_b32_e32 v2, 0x3c1, v24
	v_pk_add_f32 v[10:11], v[12:13], v[6:7]
	v_pk_add_f32 v[6:7], v[8:9], v[16:17]
	v_cmp_eq_u32_e32 vcc, 64, v2
	s_barrier
	s_and_saveexec_b64 s[4:5], vcc
	s_cbranch_execz .LBB295_830
; %bb.829:
	s_ashr_i32 s19, s18, 31
	s_lshl_b64 s[8:9], s[18:19], 2
	s_getpc_b64 s[10:11]
	s_add_u32 s10, s10, llvm.amdgcn.dynlds.offset.table@rel32@lo+4
	s_addc_u32 s11, s11, llvm.amdgcn.dynlds.offset.table@rel32@hi+12
	s_add_u32 s8, s8, s10
	s_addc_u32 s9, s9, s11
	s_load_dword s7, s[8:9], 0x0
	s_waitcnt lgkmcnt(0)
	v_lshl_add_u32 v3, v23, 1, s7
	ds_write2_b32 v3, v14, v15 offset1:32
	ds_write2_b32 v3, v10, v11 offset0:64 offset1:96
	ds_write2_b32 v3, v6, v7 offset0:128 offset1:160
	;; [unrolled: 1-line block ×3, first 2 shown]
.LBB295_830:
	s_or_b64 exec, exec, s[4:5]
	v_cmp_gt_u32_e32 vcc, 64, v24
	s_waitcnt lgkmcnt(0)
	s_barrier
	s_and_saveexec_b64 s[4:5], vcc
	s_cbranch_execz .LBB295_841
; %bb.831:
	v_cmp_eq_u32_e32 vcc, 0, v38
	v_lshrrev_b32_e32 v3, 1, v24
	s_and_saveexec_b64 s[8:9], vcc
	s_cbranch_execnz .LBB295_844
; %bb.832:
	s_or_b64 exec, exec, s[8:9]
	s_and_saveexec_b64 s[8:9], vcc
	s_cbranch_execnz .LBB295_845
.LBB295_833:
	s_or_b64 exec, exec, s[8:9]
	s_and_saveexec_b64 s[8:9], vcc
	s_cbranch_execnz .LBB295_846
.LBB295_834:
	s_or_b64 exec, exec, s[8:9]
	s_and_saveexec_b64 s[8:9], vcc
	s_cbranch_execnz .LBB295_847
.LBB295_835:
	s_or_b64 exec, exec, s[8:9]
	s_and_saveexec_b64 s[8:9], vcc
	s_cbranch_execnz .LBB295_848
.LBB295_836:
	s_or_b64 exec, exec, s[8:9]
	s_and_saveexec_b64 s[8:9], vcc
	s_cbranch_execnz .LBB295_849
.LBB295_837:
	s_or_b64 exec, exec, s[8:9]
	s_and_saveexec_b64 s[8:9], vcc
	s_cbranch_execnz .LBB295_850
.LBB295_838:
	s_or_b64 exec, exec, s[8:9]
	s_and_saveexec_b64 s[8:9], vcc
	s_cbranch_execz .LBB295_840
.LBB295_839:
	s_ashr_i32 s19, s18, 31
	s_lshl_b64 s[10:11], s[18:19], 2
	s_getpc_b64 s[12:13]
	s_add_u32 s12, s12, llvm.amdgcn.dynlds.offset.table@rel32@lo+4
	s_addc_u32 s13, s13, llvm.amdgcn.dynlds.offset.table@rel32@hi+12
	s_add_u32 s10, s10, s12
	s_addc_u32 s11, s11, s13
	s_load_dword s7, s[10:11], 0x0
	s_waitcnt lgkmcnt(0)
	v_lshl_add_u32 v3, v3, 2, s7
	ds_read_b32 v3, v3 offset:896
	s_waitcnt lgkmcnt(0)
	v_add_f32_e32 v1, v1, v3
.LBB295_840:
	s_or_b64 exec, exec, s[8:9]
.LBB295_841:
	s_or_b64 exec, exec, s[4:5]
	v_cmp_eq_u32_e32 vcc, 0, v2
	s_barrier
	s_and_b64 exec, exec, vcc
	s_cbranch_execz .LBB295_843
; %bb.842:
	s_lshl_b32 s4, s6, 8
	s_mul_i32 s6, s20, s21
	s_lshl_b32 s8, s14, 8
	s_ashr_i32 s5, s4, 31
	s_ashr_i32 s7, s6, 31
	;; [unrolled: 1-line block ×3, first 2 shown]
	s_lshl_b64 s[4:5], s[4:5], 1
	s_lshl_b64 s[6:7], s[6:7], 1
	;; [unrolled: 1-line block ×3, first 2 shown]
	s_add_u32 s6, s8, s6
	s_addc_u32 s7, s9, s7
	s_add_u32 s4, s6, s4
	s_addc_u32 s5, s7, s5
	v_mov_b32_e32 v2, s5
	v_add_co_u32_e32 v3, vcc, s4, v22
	v_addc_co_u32_e32 v4, vcc, v2, v20, vcc
	v_add_co_u32_e32 v2, vcc, v3, v24
	v_addc_co_u32_e32 v3, vcc, 0, v4, vcc
	;;#ASMSTART
	v_cvt_f16_f32 v4, v14;

	;;#ASMEND
	flat_store_short v[2:3], v4
	;;#ASMSTART
	v_cvt_f16_f32 v4, v15;

	;;#ASMEND
	flat_store_short v[2:3], v4 offset:64
	;;#ASMSTART
	v_cvt_f16_f32 v4, v10;

	;;#ASMEND
	flat_store_short v[2:3], v4 offset:128
	;; [unrolled: 5-line block ×7, first 2 shown]
.LBB295_843:
	s_or_b64 exec, exec, s[16:17]
	buffer_load_dword a40, off, s[0:3], s32 ; 4-byte Folded Reload
	buffer_load_dword a39, off, s[0:3], s32 offset:4 ; 4-byte Folded Reload
	buffer_load_dword a38, off, s[0:3], s32 offset:8 ; 4-byte Folded Reload
	;; [unrolled: 1-line block ×23, first 2 shown]
	v_readlane_b32 s30, v63, 5
	v_readlane_b32 s31, v63, 6
	;; [unrolled: 1-line block ×7, first 2 shown]
	s_or_saveexec_b64 s[4:5], -1
	buffer_load_dword v63, off, s[0:3], s32 offset:140 ; 4-byte Folded Reload
	s_mov_b64 exec, s[4:5]
	s_waitcnt vmcnt(0) lgkmcnt(0)
	s_setpc_b64 s[30:31]
.LBB295_844:
	s_ashr_i32 s19, s18, 31
	s_lshl_b64 s[10:11], s[18:19], 2
	s_getpc_b64 s[12:13]
	s_add_u32 s12, s12, llvm.amdgcn.dynlds.offset.table@rel32@lo+4
	s_addc_u32 s13, s13, llvm.amdgcn.dynlds.offset.table@rel32@hi+12
	s_add_u32 s10, s10, s12
	s_addc_u32 s11, s11, s13
	s_load_dword s7, s[10:11], 0x0
	s_waitcnt lgkmcnt(0)
	v_lshl_add_u32 v4, v3, 2, s7
	ds_read_b32 v4, v4
	s_waitcnt lgkmcnt(0)
	v_add_f32_e32 v14, v14, v4
	s_or_b64 exec, exec, s[8:9]
	s_and_saveexec_b64 s[8:9], vcc
	s_cbranch_execz .LBB295_833
.LBB295_845:
	s_ashr_i32 s19, s18, 31
	s_lshl_b64 s[10:11], s[18:19], 2
	s_getpc_b64 s[12:13]
	s_add_u32 s12, s12, llvm.amdgcn.dynlds.offset.table@rel32@lo+4
	s_addc_u32 s13, s13, llvm.amdgcn.dynlds.offset.table@rel32@hi+12
	s_add_u32 s10, s10, s12
	s_addc_u32 s11, s11, s13
	s_load_dword s7, s[10:11], 0x0
	s_waitcnt lgkmcnt(0)
	v_lshl_add_u32 v4, v3, 2, s7
	ds_read_b32 v4, v4 offset:128
	s_waitcnt lgkmcnt(0)
	v_add_f32_e32 v15, v15, v4
	s_or_b64 exec, exec, s[8:9]
	s_and_saveexec_b64 s[8:9], vcc
	s_cbranch_execz .LBB295_834
.LBB295_846:
	s_ashr_i32 s19, s18, 31
	s_lshl_b64 s[10:11], s[18:19], 2
	s_getpc_b64 s[12:13]
	s_add_u32 s12, s12, llvm.amdgcn.dynlds.offset.table@rel32@lo+4
	s_addc_u32 s13, s13, llvm.amdgcn.dynlds.offset.table@rel32@hi+12
	s_add_u32 s10, s10, s12
	s_addc_u32 s11, s11, s13
	s_load_dword s7, s[10:11], 0x0
	s_waitcnt lgkmcnt(0)
	v_lshl_add_u32 v4, v3, 2, s7
	ds_read_b32 v4, v4 offset:256
	s_waitcnt lgkmcnt(0)
	v_add_f32_e32 v10, v10, v4
	s_or_b64 exec, exec, s[8:9]
	s_and_saveexec_b64 s[8:9], vcc
	s_cbranch_execz .LBB295_835
.LBB295_847:
	s_ashr_i32 s19, s18, 31
	s_lshl_b64 s[10:11], s[18:19], 2
	s_getpc_b64 s[12:13]
	s_add_u32 s12, s12, llvm.amdgcn.dynlds.offset.table@rel32@lo+4
	s_addc_u32 s13, s13, llvm.amdgcn.dynlds.offset.table@rel32@hi+12
	s_add_u32 s10, s10, s12
	s_addc_u32 s11, s11, s13
	s_load_dword s7, s[10:11], 0x0
	s_waitcnt lgkmcnt(0)
	v_lshl_add_u32 v4, v3, 2, s7
	ds_read_b32 v4, v4 offset:384
	s_waitcnt lgkmcnt(0)
	v_add_f32_e32 v11, v11, v4
	s_or_b64 exec, exec, s[8:9]
	s_and_saveexec_b64 s[8:9], vcc
	s_cbranch_execz .LBB295_836
.LBB295_848:
	s_ashr_i32 s19, s18, 31
	s_lshl_b64 s[10:11], s[18:19], 2
	s_getpc_b64 s[12:13]
	s_add_u32 s12, s12, llvm.amdgcn.dynlds.offset.table@rel32@lo+4
	s_addc_u32 s13, s13, llvm.amdgcn.dynlds.offset.table@rel32@hi+12
	s_add_u32 s10, s10, s12
	s_addc_u32 s11, s11, s13
	s_load_dword s7, s[10:11], 0x0
	s_waitcnt lgkmcnt(0)
	v_lshl_add_u32 v4, v3, 2, s7
	ds_read_b32 v4, v4 offset:512
	s_waitcnt lgkmcnt(0)
	v_add_f32_e32 v6, v6, v4
	s_or_b64 exec, exec, s[8:9]
	s_and_saveexec_b64 s[8:9], vcc
	s_cbranch_execz .LBB295_837
.LBB295_849:
	s_ashr_i32 s19, s18, 31
	s_lshl_b64 s[10:11], s[18:19], 2
	s_getpc_b64 s[12:13]
	s_add_u32 s12, s12, llvm.amdgcn.dynlds.offset.table@rel32@lo+4
	s_addc_u32 s13, s13, llvm.amdgcn.dynlds.offset.table@rel32@hi+12
	s_add_u32 s10, s10, s12
	s_addc_u32 s11, s11, s13
	s_load_dword s7, s[10:11], 0x0
	s_waitcnt lgkmcnt(0)
	v_lshl_add_u32 v4, v3, 2, s7
	ds_read_b32 v4, v4 offset:640
	s_waitcnt lgkmcnt(0)
	v_add_f32_e32 v7, v7, v4
	s_or_b64 exec, exec, s[8:9]
	s_and_saveexec_b64 s[8:9], vcc
	s_cbranch_execz .LBB295_838
.LBB295_850:
	s_ashr_i32 s19, s18, 31
	s_lshl_b64 s[10:11], s[18:19], 2
	s_getpc_b64 s[12:13]
	s_add_u32 s12, s12, llvm.amdgcn.dynlds.offset.table@rel32@lo+4
	s_addc_u32 s13, s13, llvm.amdgcn.dynlds.offset.table@rel32@hi+12
	s_add_u32 s10, s10, s12
	s_addc_u32 s11, s11, s13
	s_load_dword s7, s[10:11], 0x0
	s_waitcnt lgkmcnt(0)
	v_lshl_add_u32 v4, v3, 2, s7
	ds_read_b32 v4, v4 offset:768
	s_waitcnt lgkmcnt(0)
	v_add_f32_e32 v0, v0, v4
	s_or_b64 exec, exec, s[8:9]
	s_and_saveexec_b64 s[8:9], vcc
	s_cbranch_execnz .LBB295_839
	s_branch .LBB295_840
.Lfunc_end295:
	.size	_ZN4vllm22paged_attention_kernelIthLi256ELi16ELi128ELNS_18Fp8KVCacheDataTypeE1ELb0ELi512EEEvPfS2_PT_PKS3_PKT0_S9_ifPKiSB_iPKfiiiSD_SD_iiiii, .Lfunc_end295-_ZN4vllm22paged_attention_kernelIthLi256ELi16ELi128ELNS_18Fp8KVCacheDataTypeE1ELb0ELi512EEEvPfS2_PT_PKS3_PKT0_S9_ifPKiSB_iPKfiiiSD_SD_iiiii
                                        ; -- End function
	.section	.AMDGPU.csdata,"",@progbits
; Function info:
; codeLenInByte = 37160
; NumSgprs: 43
; NumVgprs: 64
; NumAgprs: 41
; TotalNumVgprs: 105
; ScratchSize: 148
; MemoryBound: 0
	.section	.text._ZN4vllm25paged_attention_v2_kernelIthLi256ELi16ELi128ELNS_18Fp8KVCacheDataTypeE1ELb0ELi512EEEvPfS2_PT_PKS3_PKT0_S9_ifPKiSB_iPKfiiiSD_SD_iiiii,"axG",@progbits,_ZN4vllm25paged_attention_v2_kernelIthLi256ELi16ELi128ELNS_18Fp8KVCacheDataTypeE1ELb0ELi512EEEvPfS2_PT_PKS3_PKT0_S9_ifPKiSB_iPKfiiiSD_SD_iiiii,comdat
	.protected	_ZN4vllm25paged_attention_v2_kernelIthLi256ELi16ELi128ELNS_18Fp8KVCacheDataTypeE1ELb0ELi512EEEvPfS2_PT_PKS3_PKT0_S9_ifPKiSB_iPKfiiiSD_SD_iiiii ; -- Begin function _ZN4vllm25paged_attention_v2_kernelIthLi256ELi16ELi128ELNS_18Fp8KVCacheDataTypeE1ELb0ELi512EEEvPfS2_PT_PKS3_PKT0_S9_ifPKiSB_iPKfiiiSD_SD_iiiii
	.globl	_ZN4vllm25paged_attention_v2_kernelIthLi256ELi16ELi128ELNS_18Fp8KVCacheDataTypeE1ELb0ELi512EEEvPfS2_PT_PKS3_PKT0_S9_ifPKiSB_iPKfiiiSD_SD_iiiii
	.p2align	8
	.type	_ZN4vllm25paged_attention_v2_kernelIthLi256ELi16ELi128ELNS_18Fp8KVCacheDataTypeE1ELb0ELi512EEEvPfS2_PT_PKS3_PKT0_S9_ifPKiSB_iPKfiiiSD_SD_iiiii,@function
_ZN4vllm25paged_attention_v2_kernelIthLi256ELi16ELi128ELNS_18Fp8KVCacheDataTypeE1ELb0ELi512EEEvPfS2_PT_PKS3_PKT0_S9_ifPKiSB_iPKfiiiSD_SD_iiiii: ; @_ZN4vllm25paged_attention_v2_kernelIthLi256ELi16ELi128ELNS_18Fp8KVCacheDataTypeE1ELb0ELi512EEEvPfS2_PT_PKS3_PKT0_S9_ifPKiSB_iPKfiiiSD_SD_iiiii
; %bb.0:
	s_add_u32 flat_scratch_lo, s6, s11
	s_addc_u32 flat_scratch_hi, s7, 0
	s_add_u32 s0, s0, s11
	s_load_dwordx8 s[24:31], s[4:5], 0x0
	s_load_dwordx8 s[16:23], s[4:5], 0x20
	s_load_dwordx2 s[6:7], s[4:5], 0x40
	s_load_dwordx2 s[34:35], s[4:5], 0x50
	s_load_dword s11, s[4:5], 0x48
	s_load_dwordx8 s[36:43], s[4:5], 0x58
	s_addc_u32 s1, s1, 0
	s_mov_b32 s12, s8
	s_add_u32 s8, s4, 0x90
	s_mov_b32 s13, s9
	s_addc_u32 s9, s5, 0
	s_mov_b32 s14, s10
	s_mov_b32 s15, 50
	v_mov_b32_e32 v31, v0
	s_waitcnt lgkmcnt(0)
	v_mov_b32_e32 v0, s24
	v_mov_b32_e32 v1, s25
	;; [unrolled: 1-line block ×28, first 2 shown]
	s_mov_b32 s32, 0
	s_getpc_b64 s[4:5]
	s_add_u32 s4, s4, _ZN4vllm22paged_attention_kernelIthLi256ELi16ELi128ELNS_18Fp8KVCacheDataTypeE1ELb0ELi512EEEvPfS2_PT_PKS3_PKT0_S9_ifPKiSB_iPKfiiiSD_SD_iiiii@rel32@lo+4
	s_addc_u32 s5, s5, _ZN4vllm22paged_attention_kernelIthLi256ELi16ELi128ELNS_18Fp8KVCacheDataTypeE1ELb0ELi512EEEvPfS2_PT_PKS3_PKT0_S9_ifPKiSB_iPKfiiiSD_SD_iiiii@rel32@hi+12
	s_swappc_b64 s[30:31], s[4:5]
	s_endpgm
	.section	.rodata,"a",@progbits
	.p2align	6, 0x0
	.amdhsa_kernel _ZN4vllm25paged_attention_v2_kernelIthLi256ELi16ELi128ELNS_18Fp8KVCacheDataTypeE1ELb0ELi512EEEvPfS2_PT_PKS3_PKT0_S9_ifPKiSB_iPKfiiiSD_SD_iiiii
		.amdhsa_group_segment_fixed_size 528
		.amdhsa_private_segment_fixed_size 148
		.amdhsa_kernarg_size 400
		.amdhsa_user_sgpr_count 8
		.amdhsa_user_sgpr_private_segment_buffer 1
		.amdhsa_user_sgpr_dispatch_ptr 0
		.amdhsa_user_sgpr_queue_ptr 0
		.amdhsa_user_sgpr_kernarg_segment_ptr 1
		.amdhsa_user_sgpr_dispatch_id 0
		.amdhsa_user_sgpr_flat_scratch_init 1
		.amdhsa_user_sgpr_kernarg_preload_length 0
		.amdhsa_user_sgpr_kernarg_preload_offset 0
		.amdhsa_user_sgpr_private_segment_size 0
		.amdhsa_uses_dynamic_stack 0
		.amdhsa_system_sgpr_private_segment_wavefront_offset 1
		.amdhsa_system_sgpr_workgroup_id_x 1
		.amdhsa_system_sgpr_workgroup_id_y 1
		.amdhsa_system_sgpr_workgroup_id_z 1
		.amdhsa_system_sgpr_workgroup_info 0
		.amdhsa_system_vgpr_workitem_id 0
		.amdhsa_next_free_vgpr 105
		.amdhsa_next_free_sgpr 44
		.amdhsa_accum_offset 64
		.amdhsa_reserve_vcc 1
		.amdhsa_reserve_flat_scratch 1
		.amdhsa_float_round_mode_32 0
		.amdhsa_float_round_mode_16_64 0
		.amdhsa_float_denorm_mode_32 3
		.amdhsa_float_denorm_mode_16_64 3
		.amdhsa_dx10_clamp 1
		.amdhsa_ieee_mode 1
		.amdhsa_fp16_overflow 0
		.amdhsa_tg_split 0
		.amdhsa_exception_fp_ieee_invalid_op 0
		.amdhsa_exception_fp_denorm_src 0
		.amdhsa_exception_fp_ieee_div_zero 0
		.amdhsa_exception_fp_ieee_overflow 0
		.amdhsa_exception_fp_ieee_underflow 0
		.amdhsa_exception_fp_ieee_inexact 0
		.amdhsa_exception_int_div_zero 0
	.end_amdhsa_kernel
	.section	.text._ZN4vllm25paged_attention_v2_kernelIthLi256ELi16ELi128ELNS_18Fp8KVCacheDataTypeE1ELb0ELi512EEEvPfS2_PT_PKS3_PKT0_S9_ifPKiSB_iPKfiiiSD_SD_iiiii,"axG",@progbits,_ZN4vllm25paged_attention_v2_kernelIthLi256ELi16ELi128ELNS_18Fp8KVCacheDataTypeE1ELb0ELi512EEEvPfS2_PT_PKS3_PKT0_S9_ifPKiSB_iPKfiiiSD_SD_iiiii,comdat
.Lfunc_end296:
	.size	_ZN4vllm25paged_attention_v2_kernelIthLi256ELi16ELi128ELNS_18Fp8KVCacheDataTypeE1ELb0ELi512EEEvPfS2_PT_PKS3_PKT0_S9_ifPKiSB_iPKfiiiSD_SD_iiiii, .Lfunc_end296-_ZN4vllm25paged_attention_v2_kernelIthLi256ELi16ELi128ELNS_18Fp8KVCacheDataTypeE1ELb0ELi512EEEvPfS2_PT_PKS3_PKT0_S9_ifPKiSB_iPKfiiiSD_SD_iiiii
                                        ; -- End function
	.section	.AMDGPU.csdata,"",@progbits
; Kernel info:
; codeLenInByte = 244
; NumSgprs: 50
; NumVgprs: 64
; NumAgprs: 41
; TotalNumVgprs: 105
; ScratchSize: 148
; MemoryBound: 0
; FloatMode: 240
; IeeeMode: 1
; LDSByteSize: 528 bytes/workgroup (compile time only)
; SGPRBlocks: 6
; VGPRBlocks: 13
; NumSGPRsForWavesPerEU: 50
; NumVGPRsForWavesPerEU: 105
; AccumOffset: 64
; Occupancy: 4
; WaveLimiterHint : 1
; COMPUTE_PGM_RSRC2:SCRATCH_EN: 1
; COMPUTE_PGM_RSRC2:USER_SGPR: 8
; COMPUTE_PGM_RSRC2:TRAP_HANDLER: 0
; COMPUTE_PGM_RSRC2:TGID_X_EN: 1
; COMPUTE_PGM_RSRC2:TGID_Y_EN: 1
; COMPUTE_PGM_RSRC2:TGID_Z_EN: 1
; COMPUTE_PGM_RSRC2:TIDIG_COMP_CNT: 0
; COMPUTE_PGM_RSRC3_GFX90A:ACCUM_OFFSET: 15
; COMPUTE_PGM_RSRC3_GFX90A:TG_SPLIT: 0
	.section	.text._ZN4vllm25paged_attention_v2_kernelIthLi32ELi32ELi128ELNS_18Fp8KVCacheDataTypeE1ELb1ELi512EEEvPfS2_PT_PKS3_PKT0_S9_ifPKiSB_iPKfiiiSD_SD_iiiii,"axG",@progbits,_ZN4vllm25paged_attention_v2_kernelIthLi32ELi32ELi128ELNS_18Fp8KVCacheDataTypeE1ELb1ELi512EEEvPfS2_PT_PKS3_PKT0_S9_ifPKiSB_iPKfiiiSD_SD_iiiii,comdat
	.protected	_ZN4vllm25paged_attention_v2_kernelIthLi32ELi32ELi128ELNS_18Fp8KVCacheDataTypeE1ELb1ELi512EEEvPfS2_PT_PKS3_PKT0_S9_ifPKiSB_iPKfiiiSD_SD_iiiii ; -- Begin function _ZN4vllm25paged_attention_v2_kernelIthLi32ELi32ELi128ELNS_18Fp8KVCacheDataTypeE1ELb1ELi512EEEvPfS2_PT_PKS3_PKT0_S9_ifPKiSB_iPKfiiiSD_SD_iiiii
	.globl	_ZN4vllm25paged_attention_v2_kernelIthLi32ELi32ELi128ELNS_18Fp8KVCacheDataTypeE1ELb1ELi512EEEvPfS2_PT_PKS3_PKT0_S9_ifPKiSB_iPKfiiiSD_SD_iiiii
	.p2align	8
	.type	_ZN4vllm25paged_attention_v2_kernelIthLi32ELi32ELi128ELNS_18Fp8KVCacheDataTypeE1ELb1ELi512EEEvPfS2_PT_PKS3_PKT0_S9_ifPKiSB_iPKfiiiSD_SD_iiiii,@function
_ZN4vllm25paged_attention_v2_kernelIthLi32ELi32ELi128ELNS_18Fp8KVCacheDataTypeE1ELb1ELi512EEEvPfS2_PT_PKS3_PKT0_S9_ifPKiSB_iPKfiiiSD_SD_iiiii: ; @_ZN4vllm25paged_attention_v2_kernelIthLi32ELi32ELi128ELNS_18Fp8KVCacheDataTypeE1ELb1ELi512EEEvPfS2_PT_PKS3_PKT0_S9_ifPKiSB_iPKfiiiSD_SD_iiiii
; %bb.0:
	s_load_dwordx2 s[0:1], s[4:5], 0x40
	s_mov_b32 s34, s7
	s_ashr_i32 s35, s7, 31
	s_lshl_b64 s[2:3], s[34:35], 2
	s_waitcnt lgkmcnt(0)
	s_add_u32 s0, s0, s2
	s_addc_u32 s1, s1, s3
	s_load_dword s33, s[0:1], 0x0
	s_lshl_b32 s54, s8, 9
	s_waitcnt lgkmcnt(0)
	s_cmp_ge_i32 s54, s33
	s_cbranch_scc1 .LBB297_259
; %bb.1:
	s_load_dword s9, s[4:5], 0x90
	s_load_dwordx2 s[42:43], s[4:5], 0x30
	s_mov_b32 s55, 0
	s_waitcnt lgkmcnt(0)
	s_abs_i32 s2, s9
	s_abs_i32 s0, s42
	v_cvt_f32_u32_e32 v1, s0
	s_sub_i32 s3, 0, s0
	s_xor_b32 s1, s9, s42
	s_ashr_i32 s1, s1, 31
	v_rcp_iflag_f32_e32 v1, v1
	v_mul_f32_e32 v1, 0x4f7ffffe, v1
	v_cvt_u32_f32_e32 v1, v1
	v_readfirstlane_b32 s7, v1
	s_mul_i32 s3, s3, s7
	s_mul_hi_u32 s3, s7, s3
	s_add_i32 s7, s7, s3
	s_mul_hi_u32 s3, s2, s7
	s_mul_i32 s7, s3, s0
	s_sub_i32 s2, s2, s7
	s_add_i32 s10, s3, 1
	s_sub_i32 s7, s2, s0
	s_cmp_ge_u32 s2, s0
	s_cselect_b32 s3, s10, s3
	s_cselect_b32 s2, s7, s2
	s_add_i32 s7, s3, 1
	s_cmp_ge_u32 s2, s0
	s_cselect_b32 s0, s7, s3
	s_xor_b32 s0, s0, s1
	s_sub_i32 s11, s0, s1
	s_abs_i32 s2, s11
	v_cvt_f32_u32_e32 v1, s2
	s_load_dwordx2 s[0:1], s[4:5], 0x50
	s_sub_i32 s7, 0, s2
	s_abs_i32 s3, s6
	v_rcp_iflag_f32_e32 v1, v1
	v_mul_f32_e32 v1, 0x4f7ffffe, v1
	v_cvt_u32_f32_e32 v1, v1
	v_readfirstlane_b32 s10, v1
	s_mul_i32 s7, s7, s10
	s_mul_hi_u32 s7, s10, s7
	s_add_i32 s10, s10, s7
	s_waitcnt lgkmcnt(0)
	s_cmp_eq_u64 s[0:1], 0
	s_mul_hi_u32 s10, s3, s10
	s_cbranch_scc1 .LBB297_3
; %bb.2:
	s_ashr_i32 s7, s6, 31
	s_lshl_b64 s[12:13], s[6:7], 2
	s_add_u32 s0, s0, s12
	s_addc_u32 s1, s1, s13
	s_load_dword s55, s[0:1], 0x0
.LBB297_3:
	s_load_dwordx4 s[16:19], s[4:5], 0x58
	s_ashr_i32 s7, s6, 31
	s_ashr_i32 s11, s11, 31
	v_and_b32_e32 v8, 1, v0
	s_lshl_b32 s28, s6, 5
	v_cmp_gt_u32_e32 vcc, 8, v0
	v_lshlrev_b32_e32 v7, 3, v0
	s_and_saveexec_b64 s[0:1], vcc
	s_cbranch_execz .LBB297_5
; %bb.4:
	s_load_dwordx2 s[12:13], s[4:5], 0x18
	s_waitcnt lgkmcnt(0)
	s_mul_i32 s14, s34, s16
	s_ashr_i32 s15, s14, 31
	s_lshl_b64 s[14:15], s[14:15], 1
	v_lshlrev_b32_e32 v1, 2, v0
	s_add_u32 s14, s12, s14
	s_addc_u32 s15, s13, s15
	s_ashr_i32 s29, s28, 31
	s_lshl_b64 s[12:13], s[28:29], 1
	s_add_u32 s12, s14, s12
	s_addc_u32 s13, s15, s13
	global_load_dwordx2 v[2:3], v7, s[12:13]
	v_and_b32_e32 v1, 0xff8, v1
	v_lshl_add_u32 v1, v8, 5, v1
	s_waitcnt vmcnt(0)
	ds_write_b64 v1, v[2:3]
.LBB297_5:
	s_or_b64 exec, exec, s[0:1]
	s_mul_i32 s1, s10, s2
	s_sub_i32 s1, s3, s1
	s_xor_b32 s0, s7, s11
	s_add_i32 s3, s10, 1
	s_sub_i32 s7, s1, s2
	s_load_dwordx4 s[20:23], s[4:5], 0x78
	s_cmp_ge_u32 s1, s2
	s_cselect_b32 s3, s3, s10
	s_load_dword s10, s[4:5], 0x88
	s_cselect_b32 s1, s7, s1
	s_add_i32 s7, s3, 1
	s_cmp_ge_u32 s1, s2
	s_cselect_b32 s1, s7, s3
	s_waitcnt lgkmcnt(0)
	s_abs_i32 s29, s23
	v_cvt_f32_u32_e32 v1, s29
	s_xor_b32 s1, s1, s0
	s_sub_i32 s2, s1, s0
	s_sub_i32 s0, 0, s29
	v_rcp_iflag_f32_e32 v1, v1
	s_add_i32 s11, s33, -1
	s_abs_i32 s3, s11
	v_mul_f32_e32 v1, 0x4f7ffffe, v1
	v_cvt_u32_f32_e32 v1, v1
	s_barrier
	v_readfirstlane_b32 s35, v1
	s_mul_i32 s0, s0, s35
	s_mul_hi_u32 s0, s35, s0
	s_add_i32 s35, s35, s0
	s_cmp_lt_i32 s10, 0
	s_mul_hi_u32 s7, s3, s35
	s_cbranch_scc0 .LBB297_7
; %bb.6:
	s_mul_i32 s0, s20, s42
	s_add_i32 s0, s2, s0
	s_mul_i32 s0, s0, s10
	s_sub_i32 s42, 1, s0
	s_mov_b64 s[0:1], 0
	s_branch .LBB297_8
.LBB297_7:
	s_mov_b64 s[0:1], -1
                                        ; implicit-def: $sgpr42
.LBB297_8:
	s_load_dwordx2 s[36:37], s[4:5], 0x38
	s_ashr_i32 s11, s11, 31
	s_andn2_b64 vcc, exec, s[0:1]
	s_ashr_i32 s52, s23, 31
	s_cbranch_vccnz .LBB297_10
; %bb.9:
	s_mul_i32 s0, s9, s20
	s_add_i32 s0, s0, s6
	s_mul_i32 s0, s0, s10
	s_add_i32 s42, s0, 1
.LBB297_10:
	s_load_dwordx2 s[40:41], s[4:5], 0x28
	s_load_dword s0, s[4:5], 0x48
	s_load_dwordx4 s[24:27], s[4:5], 0x0
	s_load_dwordx2 s[30:31], s[4:5], 0x10
	s_load_dword s23, s[4:5], 0x98
	s_load_dwordx4 s[12:15], s[4:5], 0x68
	s_mul_i32 s1, s7, s29
	s_waitcnt lgkmcnt(0)
	s_mul_i32 s38, s34, s0
	s_sub_i32 s1, s3, s1
	s_ashr_i32 s39, s38, 31
	s_xor_b32 s0, s11, s52
	s_add_i32 s3, s7, 1
	s_sub_i32 s10, s1, s29
	s_cmp_ge_u32 s1, s29
	s_cselect_b32 s3, s3, s7
	s_cselect_b32 s1, s10, s1
	s_add_i32 s7, s3, 1
	s_cmp_ge_u32 s1, s29
	s_cselect_b32 s1, s7, s3
	s_xor_b32 s1, s1, s0
	s_sub_i32 s7, s1, s0
	s_add_i32 s0, s33, 31
	s_ashr_i32 s1, s0, 31
	s_lshr_b32 s1, s1, 27
	s_add_i32 s0, s0, s1
	s_lshl_b32 s56, s8, 4
	s_ashr_i32 s16, s0, 5
	s_add_i32 s0, s56, 16
	v_lshrrev_b32_e32 v13, 6, v0
	s_min_i32 s53, s0, s16
	v_or_b32_e32 v2, s56, v13
	v_cmp_gt_i32_e64 s[0:1], s53, v2
	v_mov_b32_e32 v20, 0xff7fffff
	s_mul_i32 s20, s2, s18
	v_ashrrev_i32_e32 v3, 31, v2
	v_lshl_add_u32 v1, v13, 5, s54
	v_mbcnt_lo_u32_b32 v15, -1, 0
	s_and_saveexec_b64 s[18:19], s[0:1]
	s_cbranch_execz .LBB297_116
; %bb.11:
	s_load_dwordx2 s[2:3], s[4:5], 0x20
	s_sub_i32 s57, s7, s21
	s_ashr_i32 s4, s20, 31
	v_bfe_u32 v16, v0, 1, 5
	v_lshlrev_b32_e32 v5, 4, v16
	s_waitcnt lgkmcnt(0)
	s_add_u32 s2, s2, s20
	s_addc_u32 s3, s3, s4
	s_abs_i32 s59, s22
	v_cvt_f32_u32_e32 v4, s59
	v_mov_b32_e32 v6, s3
	s_sub_i32 s4, 0, s59
	v_cmp_eq_u32_e32 vcc, 0, v8
	v_rcp_iflag_f32_e32 v9, v4
	v_add_co_u32_e64 v4, s[2:3], s2, v5
	v_addc_co_u32_e64 v5, s[2:3], 0, v6, s[2:3]
	v_mul_f32_e32 v9, 0x4f7ffffe, v9
	v_cvt_u32_f32_e32 v9, v9
	v_lshlrev_b32_e32 v6, 2, v8
	v_lshlrev_b32_e32 v18, 5, v8
	s_mov_b32 s58, s17
	v_mul_lo_u32 v8, s4, v9
	s_lshl_b64 s[4:5], s[38:39], 2
	v_mul_hi_u32 v8, v9, v8
	s_add_u32 s4, s36, s4
	v_add_u32_e32 v19, v9, v8
	v_lshlrev_b64 v[8:9], 2, v[2:3]
	s_addc_u32 s5, s37, s5
	v_mov_b32_e32 v10, s5
	v_add_co_u32_e64 v8, s[4:5], s4, v8
	v_addc_co_u32_e64 v9, s[4:5], v10, v9, s[4:5]
	v_lshlrev_b32_e32 v10, 2, v16
	v_lshl_or_b32 v10, v13, 7, v10
	v_add_u32_e32 v22, 0x50, v10
	v_subrev_u32_e32 v10, s33, v16
	v_mov_b32_e32 v17, 0
	v_cmp_neq_f32_e64 s[2:3], s55, 0
	v_lshl_add_u32 v21, v13, 5, s54
	v_add_u32_e32 v23, 1, v10
	s_mov_b64 s[44:45], 0
	v_mov_b32_e32 v24, 0xff7fffff
	s_movk_i32 s60, 0x80
	s_movk_i32 s61, 0x7f
	s_mov_b32 s62, 0x8000
	s_mov_b32 s63, 0xffffff
	v_mov_b32_e32 v25, 0x2000
	v_mbcnt_hi_u32_b32 v26, -1, v15
	v_mov_b32_e32 v20, 0xff7fffff
	v_mov_b32_e32 v27, v2
	s_branch .LBB297_14
.LBB297_12:                             ;   in Loop: Header=BB297_14 Depth=1
	s_or_b64 exec, exec, s[46:47]
.LBB297_13:                             ;   in Loop: Header=BB297_14 Depth=1
	s_or_b64 exec, exec, s[10:11]
	v_add_co_u32_e64 v8, s[4:5], 8, v8
	v_add_u32_e32 v27, 2, v27
	v_addc_co_u32_e64 v9, s[4:5], 0, v9, s[4:5]
	v_cmp_le_i32_e64 s[4:5], s53, v27
	v_add_u32_e32 v21, 64, v21
	s_or_b64 s[44:45], s[4:5], s[44:45]
	v_add_u32_e32 v22, 0x100, v22
	s_andn2_b64 exec, exec, s[44:45]
	s_cbranch_execz .LBB297_115
.LBB297_14:                             ; =>This Inner Loop Header: Depth=1
	s_waitcnt lgkmcnt(0)
	v_sub_u32_e32 v11, 0, v21
	v_max_i32_e32 v11, v21, v11
	v_mul_hi_u32 v12, v11, s35
	v_mul_lo_u32 v14, v12, s29
	v_sub_u32_e32 v11, v11, v14
	v_add_u32_e32 v14, 1, v12
	v_cmp_le_u32_e64 s[4:5], s29, v11
	v_cndmask_b32_e64 v12, v12, v14, s[4:5]
	v_subrev_u32_e32 v14, s29, v11
	v_cndmask_b32_e64 v11, v11, v14, s[4:5]
	v_ashrrev_i32_e32 v10, 31, v21
	v_add_u32_e32 v14, 1, v12
	v_cmp_le_u32_e64 s[4:5], s29, v11
	v_xor_b32_e32 v10, s52, v10
	v_cndmask_b32_e64 v11, v12, v14, s[4:5]
	v_xor_b32_e32 v11, v11, v10
	v_sub_u32_e32 v10, v11, v10
	v_add_u32_e32 v11, s42, v10
	v_sub_u32_e32 v14, 0, v11
	v_ashrrev_i32_e32 v12, 31, v11
	v_max_i32_e32 v11, v11, v14
	v_mul_hi_u32 v14, v11, v19
	v_mul_lo_u32 v14, v14, s59
	v_sub_u32_e32 v11, v11, v14
	v_subrev_u32_e32 v14, s59, v11
	v_cmp_le_u32_e64 s[4:5], s59, v11
	v_cndmask_b32_e64 v11, v11, v14, s[4:5]
	v_subrev_u32_e32 v14, s59, v11
	v_cmp_le_u32_e64 s[4:5], s59, v11
	v_cndmask_b32_e64 v11, v11, v14, s[4:5]
	v_xor_b32_e32 v11, v11, v12
	v_sub_u32_e32 v11, v11, v12
	v_cmp_ne_u32_e64 s[4:5], 0, v11
	v_cmp_ge_i32_e64 s[10:11], s57, v10
	s_and_b64 s[4:5], s[4:5], s[10:11]
	s_and_b64 s[46:47], vcc, s[4:5]
	s_and_saveexec_b64 s[10:11], s[46:47]
	s_cbranch_execz .LBB297_16
; %bb.15:                               ;   in Loop: Header=BB297_14 Depth=1
	ds_write_b32 v22, v24
.LBB297_16:                             ;   in Loop: Header=BB297_14 Depth=1
	s_or_b64 exec, exec, s[10:11]
	s_xor_b64 s[4:5], s[4:5], -1
	s_and_saveexec_b64 s[10:11], s[4:5]
	s_cbranch_execz .LBB297_13
; %bb.17:                               ;   in Loop: Header=BB297_14 Depth=1
	global_load_dword v10, v[8:9], off
	v_mov_b32_e32 v29, 0
	v_mov_b32_e32 v30, 0
	s_waitcnt vmcnt(0)
	v_mad_i64_i32 v[10:11], s[4:5], v10, s58, v[4:5]
	v_add_co_u32_e64 v10, s[4:5], v10, v6
	v_addc_co_u32_e64 v11, s[4:5], 0, v11, s[4:5]
	global_load_dword v12, v[10:11], off
	global_load_dword v28, v17, s[12:13]
	s_waitcnt vmcnt(1)
	v_cmp_ne_u16_sdwa s[4:5], v12, v17 src0_sel:BYTE_0 src1_sel:DWORD
	s_and_saveexec_b64 s[46:47], s[4:5]
	s_cbranch_execz .LBB297_23
; %bb.18:                               ;   in Loop: Header=BB297_14 Depth=1
	v_cmp_ne_u16_sdwa s[4:5], v12, s60 src0_sel:BYTE_0 src1_sel:DWORD
	v_bfrev_b32_e32 v30, 1
	s_and_saveexec_b64 s[48:49], s[4:5]
	s_cbranch_execz .LBB297_22
; %bb.19:                               ;   in Loop: Header=BB297_14 Depth=1
	v_and_b32_e32 v14, 0x7f, v12
	v_cmp_ne_u32_e64 s[4:5], s61, v14
	v_mov_b32_e32 v30, 0x7fc02000
	s_and_saveexec_b64 s[50:51], s[4:5]
	s_cbranch_execz .LBB297_21
; %bb.20:                               ;   in Loop: Header=BB297_14 Depth=1
	v_and_b32_e32 v32, 7, v12
	v_ffbh_u32_e32 v30, v32
	v_min_u32_e32 v34, 32, v30
	v_subrev_u32_e32 v30, 28, v34
	v_lshlrev_b64 v[30:31], v30, v[12:13]
	v_lshrrev_b32_e32 v33, 3, v14
	v_sub_u32_e32 v31, 29, v34
	v_cmp_gt_u32_e64 s[4:5], 8, v14
	v_cndmask_b32_e64 v14, v33, v31, s[4:5]
	v_and_b32_e32 v30, 7, v30
	v_lshlrev_b32_e32 v31, 8, v12
	v_lshl_add_u32 v14, v14, 10, v25
	v_cndmask_b32_e64 v30, v32, v30, s[4:5]
	v_and_or_b32 v14, v31, s62, v14
	v_lshl_or_b32 v14, v30, 7, v14
	v_cvt_f32_f16_e32 v30, v14
.LBB297_21:                             ;   in Loop: Header=BB297_14 Depth=1
	s_or_b64 exec, exec, s[50:51]
.LBB297_22:                             ;   in Loop: Header=BB297_14 Depth=1
	s_or_b64 exec, exec, s[48:49]
.LBB297_23:                             ;   in Loop: Header=BB297_14 Depth=1
	s_or_b64 exec, exec, s[46:47]
	v_lshrrev_b16_e32 v14, 8, v12
	v_cmp_ne_u16_e64 s[4:5], 0, v14
	s_and_saveexec_b64 s[46:47], s[4:5]
	s_cbranch_execz .LBB297_29
; %bb.24:                               ;   in Loop: Header=BB297_14 Depth=1
	v_cmp_ne_u16_e64 s[4:5], s60, v14
	v_bfrev_b32_e32 v29, 1
	s_and_saveexec_b64 s[48:49], s[4:5]
	s_cbranch_execz .LBB297_28
; %bb.25:                               ;   in Loop: Header=BB297_14 Depth=1
	v_and_b32_e32 v31, 0x7f, v14
	v_cmp_ne_u32_e64 s[4:5], s61, v31
	v_mov_b32_e32 v29, 0x7fc02000
	s_and_saveexec_b64 s[50:51], s[4:5]
	s_cbranch_execz .LBB297_27
; %bb.26:                               ;   in Loop: Header=BB297_14 Depth=1
	v_and_b32_e32 v29, 7, v14
	v_ffbh_u32_e32 v32, v29
	v_min_u32_e32 v35, 32, v32
	v_subrev_u32_e32 v32, 28, v35
	v_lshlrev_b64 v[32:33], v32, v[14:15]
	v_lshrrev_b32_e32 v34, 3, v31
	v_sub_u32_e32 v33, 29, v35
	v_cmp_gt_u32_e64 s[4:5], 8, v31
	v_cndmask_b32_e64 v31, v34, v33, s[4:5]
	v_and_b32_e32 v32, 7, v32
	v_lshlrev_b32_e32 v14, 8, v14
	v_lshl_add_u32 v31, v31, 10, v25
	v_cndmask_b32_e64 v29, v29, v32, s[4:5]
	v_and_or_b32 v14, v14, s62, v31
	v_lshl_or_b32 v14, v29, 7, v14
	v_cvt_f32_f16_e32 v29, v14
.LBB297_27:                             ;   in Loop: Header=BB297_14 Depth=1
	s_or_b64 exec, exec, s[50:51]
.LBB297_28:                             ;   in Loop: Header=BB297_14 Depth=1
	s_or_b64 exec, exec, s[48:49]
.LBB297_29:                             ;   in Loop: Header=BB297_14 Depth=1
	s_or_b64 exec, exec, s[46:47]
	v_lshrrev_b32_e32 v14, 16, v12
	v_cmp_ne_u16_sdwa s[4:5], v14, v17 src0_sel:BYTE_0 src1_sel:DWORD
	v_mov_b32_e32 v31, 0
	v_mov_b32_e32 v32, 0
	s_and_saveexec_b64 s[46:47], s[4:5]
	s_cbranch_execz .LBB297_35
; %bb.30:                               ;   in Loop: Header=BB297_14 Depth=1
	v_cmp_ne_u16_sdwa s[4:5], v14, s60 src0_sel:BYTE_0 src1_sel:DWORD
	v_bfrev_b32_e32 v32, 1
	s_and_saveexec_b64 s[48:49], s[4:5]
	s_cbranch_execz .LBB297_34
; %bb.31:                               ;   in Loop: Header=BB297_14 Depth=1
	v_bfe_u32 v33, v12, 16, 7
	v_cmp_ne_u32_e64 s[4:5], s61, v33
	v_mov_b32_e32 v32, 0x7fc02000
	s_and_saveexec_b64 s[50:51], s[4:5]
	s_cbranch_execz .LBB297_33
; %bb.32:                               ;   in Loop: Header=BB297_14 Depth=1
	v_and_b32_e32 v32, 7, v14
	v_ffbh_u32_e32 v34, v32
	v_min_u32_e32 v37, 32, v34
	v_subrev_u32_e32 v34, 28, v37
	v_lshlrev_b64 v[34:35], v34, v[14:15]
	v_lshrrev_b32_e32 v36, 3, v33
	v_sub_u32_e32 v35, 29, v37
	v_cmp_gt_u32_e64 s[4:5], 8, v33
	v_cndmask_b32_e64 v33, v36, v35, s[4:5]
	v_and_b32_e32 v34, 7, v34
	v_lshlrev_b32_e32 v14, 8, v14
	v_lshl_add_u32 v33, v33, 10, v25
	v_cndmask_b32_e64 v32, v32, v34, s[4:5]
	v_and_or_b32 v14, v14, s62, v33
	v_lshl_or_b32 v14, v32, 7, v14
	v_cvt_f32_f16_e32 v32, v14
.LBB297_33:                             ;   in Loop: Header=BB297_14 Depth=1
	s_or_b64 exec, exec, s[50:51]
.LBB297_34:                             ;   in Loop: Header=BB297_14 Depth=1
	s_or_b64 exec, exec, s[48:49]
.LBB297_35:                             ;   in Loop: Header=BB297_14 Depth=1
	s_or_b64 exec, exec, s[46:47]
	v_cmp_lt_u32_e64 s[4:5], s63, v12
	s_and_saveexec_b64 s[46:47], s[4:5]
	s_cbranch_execz .LBB297_41
; %bb.36:                               ;   in Loop: Header=BB297_14 Depth=1
	v_lshrrev_b32_e32 v12, 24, v12
	v_cmp_ne_u32_e64 s[4:5], s60, v12
	v_bfrev_b32_e32 v31, 1
	s_and_saveexec_b64 s[48:49], s[4:5]
	s_cbranch_execz .LBB297_40
; %bb.37:                               ;   in Loop: Header=BB297_14 Depth=1
	v_and_b32_e32 v14, 0x7f, v12
	v_cmp_ne_u32_e64 s[4:5], s61, v14
	v_mov_b32_e32 v31, 0x7fc02000
	s_and_saveexec_b64 s[50:51], s[4:5]
	s_cbranch_execz .LBB297_39
; %bb.38:                               ;   in Loop: Header=BB297_14 Depth=1
	v_and_b32_e32 v31, 7, v12
	v_ffbh_u32_e32 v34, v31
	v_min_u32_e32 v36, 32, v34
	v_subrev_u32_e32 v34, 28, v36
	v_lshlrev_b64 v[34:35], v34, v[12:13]
	v_lshrrev_b32_e32 v33, 3, v14
	v_sub_u32_e32 v35, 29, v36
	v_cmp_gt_u32_e64 s[4:5], 8, v14
	v_cndmask_b32_e64 v14, v33, v35, s[4:5]
	v_and_b32_e32 v34, 7, v34
	v_lshlrev_b32_e32 v12, 8, v12
	v_lshl_add_u32 v14, v14, 10, v25
	v_cndmask_b32_e64 v31, v31, v34, s[4:5]
	v_and_or_b32 v12, v12, s62, v14
	v_lshl_or_b32 v12, v31, 7, v12
	v_cvt_f32_f16_e32 v31, v12
.LBB297_39:                             ;   in Loop: Header=BB297_14 Depth=1
	s_or_b64 exec, exec, s[50:51]
.LBB297_40:                             ;   in Loop: Header=BB297_14 Depth=1
	s_or_b64 exec, exec, s[48:49]
.LBB297_41:                             ;   in Loop: Header=BB297_14 Depth=1
	s_or_b64 exec, exec, s[46:47]
	global_load_dword v12, v[10:11], off offset:8
	v_mov_b32_e32 v33, 0
	v_mov_b32_e32 v34, 0
	s_waitcnt vmcnt(0)
	v_cmp_ne_u16_sdwa s[4:5], v12, v17 src0_sel:BYTE_0 src1_sel:DWORD
	s_and_saveexec_b64 s[46:47], s[4:5]
	s_cbranch_execz .LBB297_47
; %bb.42:                               ;   in Loop: Header=BB297_14 Depth=1
	v_cmp_ne_u16_sdwa s[4:5], v12, s60 src0_sel:BYTE_0 src1_sel:DWORD
	v_bfrev_b32_e32 v34, 1
	s_and_saveexec_b64 s[48:49], s[4:5]
	s_cbranch_execz .LBB297_46
; %bb.43:                               ;   in Loop: Header=BB297_14 Depth=1
	v_and_b32_e32 v14, 0x7f, v12
	v_cmp_ne_u32_e64 s[4:5], s61, v14
	v_mov_b32_e32 v34, 0x7fc02000
	s_and_saveexec_b64 s[50:51], s[4:5]
	s_cbranch_execz .LBB297_45
; %bb.44:                               ;   in Loop: Header=BB297_14 Depth=1
	v_and_b32_e32 v36, 7, v12
	v_ffbh_u32_e32 v34, v36
	v_min_u32_e32 v38, 32, v34
	v_subrev_u32_e32 v34, 28, v38
	v_lshlrev_b64 v[34:35], v34, v[12:13]
	v_lshrrev_b32_e32 v37, 3, v14
	v_sub_u32_e32 v35, 29, v38
	v_cmp_gt_u32_e64 s[4:5], 8, v14
	v_cndmask_b32_e64 v14, v37, v35, s[4:5]
	v_and_b32_e32 v34, 7, v34
	v_lshlrev_b32_e32 v35, 8, v12
	v_lshl_add_u32 v14, v14, 10, v25
	v_cndmask_b32_e64 v34, v36, v34, s[4:5]
	v_and_or_b32 v14, v35, s62, v14
	v_lshl_or_b32 v14, v34, 7, v14
	v_cvt_f32_f16_e32 v34, v14
.LBB297_45:                             ;   in Loop: Header=BB297_14 Depth=1
	s_or_b64 exec, exec, s[50:51]
.LBB297_46:                             ;   in Loop: Header=BB297_14 Depth=1
	s_or_b64 exec, exec, s[48:49]
.LBB297_47:                             ;   in Loop: Header=BB297_14 Depth=1
	s_or_b64 exec, exec, s[46:47]
	v_lshrrev_b16_e32 v14, 8, v12
	v_cmp_ne_u16_e64 s[4:5], 0, v14
	s_and_saveexec_b64 s[46:47], s[4:5]
	s_cbranch_execz .LBB297_53
; %bb.48:                               ;   in Loop: Header=BB297_14 Depth=1
	v_cmp_ne_u16_e64 s[4:5], s60, v14
	v_bfrev_b32_e32 v33, 1
	s_and_saveexec_b64 s[48:49], s[4:5]
	s_cbranch_execz .LBB297_52
; %bb.49:                               ;   in Loop: Header=BB297_14 Depth=1
	v_and_b32_e32 v35, 0x7f, v14
	v_cmp_ne_u32_e64 s[4:5], s61, v35
	v_mov_b32_e32 v33, 0x7fc02000
	s_and_saveexec_b64 s[50:51], s[4:5]
	s_cbranch_execz .LBB297_51
; %bb.50:                               ;   in Loop: Header=BB297_14 Depth=1
	v_and_b32_e32 v33, 7, v14
	v_ffbh_u32_e32 v36, v33
	v_min_u32_e32 v39, 32, v36
	v_subrev_u32_e32 v36, 28, v39
	v_lshlrev_b64 v[36:37], v36, v[14:15]
	v_lshrrev_b32_e32 v38, 3, v35
	v_sub_u32_e32 v37, 29, v39
	v_cmp_gt_u32_e64 s[4:5], 8, v35
	v_cndmask_b32_e64 v35, v38, v37, s[4:5]
	v_and_b32_e32 v36, 7, v36
	v_lshlrev_b32_e32 v14, 8, v14
	v_lshl_add_u32 v35, v35, 10, v25
	v_cndmask_b32_e64 v33, v33, v36, s[4:5]
	v_and_or_b32 v14, v14, s62, v35
	v_lshl_or_b32 v14, v33, 7, v14
	v_cvt_f32_f16_e32 v33, v14
.LBB297_51:                             ;   in Loop: Header=BB297_14 Depth=1
	s_or_b64 exec, exec, s[50:51]
.LBB297_52:                             ;   in Loop: Header=BB297_14 Depth=1
	s_or_b64 exec, exec, s[48:49]
.LBB297_53:                             ;   in Loop: Header=BB297_14 Depth=1
	s_or_b64 exec, exec, s[46:47]
	v_lshrrev_b32_e32 v14, 16, v12
	v_cmp_ne_u16_sdwa s[4:5], v14, v17 src0_sel:BYTE_0 src1_sel:DWORD
	v_mov_b32_e32 v35, 0
	v_mov_b32_e32 v36, 0
	s_and_saveexec_b64 s[46:47], s[4:5]
	s_cbranch_execz .LBB297_59
; %bb.54:                               ;   in Loop: Header=BB297_14 Depth=1
	v_cmp_ne_u16_sdwa s[4:5], v14, s60 src0_sel:BYTE_0 src1_sel:DWORD
	v_bfrev_b32_e32 v36, 1
	s_and_saveexec_b64 s[48:49], s[4:5]
	s_cbranch_execz .LBB297_58
; %bb.55:                               ;   in Loop: Header=BB297_14 Depth=1
	v_bfe_u32 v37, v12, 16, 7
	v_cmp_ne_u32_e64 s[4:5], s61, v37
	v_mov_b32_e32 v36, 0x7fc02000
	s_and_saveexec_b64 s[50:51], s[4:5]
	s_cbranch_execz .LBB297_57
; %bb.56:                               ;   in Loop: Header=BB297_14 Depth=1
	v_and_b32_e32 v36, 7, v14
	v_ffbh_u32_e32 v38, v36
	v_min_u32_e32 v41, 32, v38
	v_subrev_u32_e32 v38, 28, v41
	v_lshlrev_b64 v[38:39], v38, v[14:15]
	v_lshrrev_b32_e32 v40, 3, v37
	v_sub_u32_e32 v39, 29, v41
	v_cmp_gt_u32_e64 s[4:5], 8, v37
	v_cndmask_b32_e64 v37, v40, v39, s[4:5]
	v_and_b32_e32 v38, 7, v38
	v_lshlrev_b32_e32 v14, 8, v14
	v_lshl_add_u32 v37, v37, 10, v25
	v_cndmask_b32_e64 v36, v36, v38, s[4:5]
	v_and_or_b32 v14, v14, s62, v37
	v_lshl_or_b32 v14, v36, 7, v14
	v_cvt_f32_f16_e32 v36, v14
.LBB297_57:                             ;   in Loop: Header=BB297_14 Depth=1
	s_or_b64 exec, exec, s[50:51]
.LBB297_58:                             ;   in Loop: Header=BB297_14 Depth=1
	s_or_b64 exec, exec, s[48:49]
.LBB297_59:                             ;   in Loop: Header=BB297_14 Depth=1
	s_or_b64 exec, exec, s[46:47]
	v_cmp_lt_u32_e64 s[4:5], s63, v12
	s_and_saveexec_b64 s[46:47], s[4:5]
	s_cbranch_execz .LBB297_65
; %bb.60:                               ;   in Loop: Header=BB297_14 Depth=1
	v_lshrrev_b32_e32 v12, 24, v12
	v_cmp_ne_u32_e64 s[4:5], s60, v12
	v_bfrev_b32_e32 v35, 1
	s_and_saveexec_b64 s[48:49], s[4:5]
	s_cbranch_execz .LBB297_64
; %bb.61:                               ;   in Loop: Header=BB297_14 Depth=1
	v_and_b32_e32 v14, 0x7f, v12
	v_cmp_ne_u32_e64 s[4:5], s61, v14
	v_mov_b32_e32 v35, 0x7fc02000
	s_and_saveexec_b64 s[50:51], s[4:5]
	s_cbranch_execz .LBB297_63
; %bb.62:                               ;   in Loop: Header=BB297_14 Depth=1
	v_and_b32_e32 v35, 7, v12
	v_ffbh_u32_e32 v38, v35
	v_min_u32_e32 v40, 32, v38
	v_subrev_u32_e32 v38, 28, v40
	v_lshlrev_b64 v[38:39], v38, v[12:13]
	v_lshrrev_b32_e32 v37, 3, v14
	v_sub_u32_e32 v39, 29, v40
	v_cmp_gt_u32_e64 s[4:5], 8, v14
	v_cndmask_b32_e64 v14, v37, v39, s[4:5]
	v_and_b32_e32 v38, 7, v38
	v_lshlrev_b32_e32 v12, 8, v12
	v_lshl_add_u32 v14, v14, 10, v25
	v_cndmask_b32_e64 v35, v35, v38, s[4:5]
	v_and_or_b32 v12, v12, s62, v14
	v_lshl_or_b32 v12, v35, 7, v12
	v_cvt_f32_f16_e32 v35, v12
.LBB297_63:                             ;   in Loop: Header=BB297_14 Depth=1
	s_or_b64 exec, exec, s[50:51]
.LBB297_64:                             ;   in Loop: Header=BB297_14 Depth=1
	s_or_b64 exec, exec, s[48:49]
.LBB297_65:                             ;   in Loop: Header=BB297_14 Depth=1
	s_or_b64 exec, exec, s[46:47]
	global_load_dword v12, v[10:11], off offset:512
	v_mov_b32_e32 v37, 0
	v_mov_b32_e32 v38, 0
	s_waitcnt vmcnt(0)
	v_cmp_ne_u16_sdwa s[4:5], v12, v17 src0_sel:BYTE_0 src1_sel:DWORD
	s_and_saveexec_b64 s[46:47], s[4:5]
	s_cbranch_execz .LBB297_71
; %bb.66:                               ;   in Loop: Header=BB297_14 Depth=1
	v_cmp_ne_u16_sdwa s[4:5], v12, s60 src0_sel:BYTE_0 src1_sel:DWORD
	v_bfrev_b32_e32 v38, 1
	s_and_saveexec_b64 s[48:49], s[4:5]
	s_cbranch_execz .LBB297_70
; %bb.67:                               ;   in Loop: Header=BB297_14 Depth=1
	v_and_b32_e32 v14, 0x7f, v12
	v_cmp_ne_u32_e64 s[4:5], s61, v14
	v_mov_b32_e32 v38, 0x7fc02000
	s_and_saveexec_b64 s[50:51], s[4:5]
	s_cbranch_execz .LBB297_69
; %bb.68:                               ;   in Loop: Header=BB297_14 Depth=1
	v_and_b32_e32 v40, 7, v12
	v_ffbh_u32_e32 v38, v40
	v_min_u32_e32 v42, 32, v38
	v_subrev_u32_e32 v38, 28, v42
	v_lshlrev_b64 v[38:39], v38, v[12:13]
	v_lshrrev_b32_e32 v41, 3, v14
	v_sub_u32_e32 v39, 29, v42
	v_cmp_gt_u32_e64 s[4:5], 8, v14
	v_cndmask_b32_e64 v14, v41, v39, s[4:5]
	v_and_b32_e32 v38, 7, v38
	v_lshlrev_b32_e32 v39, 8, v12
	v_lshl_add_u32 v14, v14, 10, v25
	v_cndmask_b32_e64 v38, v40, v38, s[4:5]
	v_and_or_b32 v14, v39, s62, v14
	v_lshl_or_b32 v14, v38, 7, v14
	v_cvt_f32_f16_e32 v38, v14
.LBB297_69:                             ;   in Loop: Header=BB297_14 Depth=1
	s_or_b64 exec, exec, s[50:51]
.LBB297_70:                             ;   in Loop: Header=BB297_14 Depth=1
	s_or_b64 exec, exec, s[48:49]
.LBB297_71:                             ;   in Loop: Header=BB297_14 Depth=1
	s_or_b64 exec, exec, s[46:47]
	v_lshrrev_b16_e32 v14, 8, v12
	v_cmp_ne_u16_e64 s[4:5], 0, v14
	s_and_saveexec_b64 s[46:47], s[4:5]
	s_cbranch_execz .LBB297_77
; %bb.72:                               ;   in Loop: Header=BB297_14 Depth=1
	v_cmp_ne_u16_e64 s[4:5], s60, v14
	v_bfrev_b32_e32 v37, 1
	s_and_saveexec_b64 s[48:49], s[4:5]
	s_cbranch_execz .LBB297_76
; %bb.73:                               ;   in Loop: Header=BB297_14 Depth=1
	v_and_b32_e32 v39, 0x7f, v14
	v_cmp_ne_u32_e64 s[4:5], s61, v39
	v_mov_b32_e32 v37, 0x7fc02000
	s_and_saveexec_b64 s[50:51], s[4:5]
	s_cbranch_execz .LBB297_75
; %bb.74:                               ;   in Loop: Header=BB297_14 Depth=1
	v_and_b32_e32 v37, 7, v14
	v_ffbh_u32_e32 v40, v37
	v_min_u32_e32 v43, 32, v40
	v_subrev_u32_e32 v40, 28, v43
	v_lshlrev_b64 v[40:41], v40, v[14:15]
	v_lshrrev_b32_e32 v42, 3, v39
	v_sub_u32_e32 v41, 29, v43
	v_cmp_gt_u32_e64 s[4:5], 8, v39
	v_cndmask_b32_e64 v39, v42, v41, s[4:5]
	v_and_b32_e32 v40, 7, v40
	v_lshlrev_b32_e32 v14, 8, v14
	v_lshl_add_u32 v39, v39, 10, v25
	v_cndmask_b32_e64 v37, v37, v40, s[4:5]
	v_and_or_b32 v14, v14, s62, v39
	v_lshl_or_b32 v14, v37, 7, v14
	v_cvt_f32_f16_e32 v37, v14
.LBB297_75:                             ;   in Loop: Header=BB297_14 Depth=1
	s_or_b64 exec, exec, s[50:51]
.LBB297_76:                             ;   in Loop: Header=BB297_14 Depth=1
	s_or_b64 exec, exec, s[48:49]
.LBB297_77:                             ;   in Loop: Header=BB297_14 Depth=1
	s_or_b64 exec, exec, s[46:47]
	v_lshrrev_b32_e32 v14, 16, v12
	v_cmp_ne_u16_sdwa s[4:5], v14, v17 src0_sel:BYTE_0 src1_sel:DWORD
	v_mov_b32_e32 v39, 0
	v_mov_b32_e32 v40, 0
	s_and_saveexec_b64 s[46:47], s[4:5]
	s_cbranch_execz .LBB297_83
; %bb.78:                               ;   in Loop: Header=BB297_14 Depth=1
	v_cmp_ne_u16_sdwa s[4:5], v14, s60 src0_sel:BYTE_0 src1_sel:DWORD
	v_bfrev_b32_e32 v40, 1
	s_and_saveexec_b64 s[48:49], s[4:5]
	s_cbranch_execz .LBB297_82
; %bb.79:                               ;   in Loop: Header=BB297_14 Depth=1
	v_bfe_u32 v41, v12, 16, 7
	v_cmp_ne_u32_e64 s[4:5], s61, v41
	v_mov_b32_e32 v40, 0x7fc02000
	s_and_saveexec_b64 s[50:51], s[4:5]
	s_cbranch_execz .LBB297_81
; %bb.80:                               ;   in Loop: Header=BB297_14 Depth=1
	v_and_b32_e32 v40, 7, v14
	v_ffbh_u32_e32 v42, v40
	v_min_u32_e32 v45, 32, v42
	v_subrev_u32_e32 v42, 28, v45
	v_lshlrev_b64 v[42:43], v42, v[14:15]
	v_lshrrev_b32_e32 v44, 3, v41
	v_sub_u32_e32 v43, 29, v45
	v_cmp_gt_u32_e64 s[4:5], 8, v41
	v_cndmask_b32_e64 v41, v44, v43, s[4:5]
	v_and_b32_e32 v42, 7, v42
	v_lshlrev_b32_e32 v14, 8, v14
	v_lshl_add_u32 v41, v41, 10, v25
	v_cndmask_b32_e64 v40, v40, v42, s[4:5]
	v_and_or_b32 v14, v14, s62, v41
	v_lshl_or_b32 v14, v40, 7, v14
	v_cvt_f32_f16_e32 v40, v14
.LBB297_81:                             ;   in Loop: Header=BB297_14 Depth=1
	s_or_b64 exec, exec, s[50:51]
.LBB297_82:                             ;   in Loop: Header=BB297_14 Depth=1
	s_or_b64 exec, exec, s[48:49]
.LBB297_83:                             ;   in Loop: Header=BB297_14 Depth=1
	s_or_b64 exec, exec, s[46:47]
	v_cmp_lt_u32_e64 s[4:5], s63, v12
	s_and_saveexec_b64 s[46:47], s[4:5]
	s_cbranch_execz .LBB297_89
; %bb.84:                               ;   in Loop: Header=BB297_14 Depth=1
	v_lshrrev_b32_e32 v12, 24, v12
	v_cmp_ne_u32_e64 s[4:5], s60, v12
	v_bfrev_b32_e32 v39, 1
	s_and_saveexec_b64 s[48:49], s[4:5]
	s_cbranch_execz .LBB297_88
; %bb.85:                               ;   in Loop: Header=BB297_14 Depth=1
	v_and_b32_e32 v14, 0x7f, v12
	v_cmp_ne_u32_e64 s[4:5], s61, v14
	v_mov_b32_e32 v39, 0x7fc02000
	s_and_saveexec_b64 s[50:51], s[4:5]
	s_cbranch_execz .LBB297_87
; %bb.86:                               ;   in Loop: Header=BB297_14 Depth=1
	v_and_b32_e32 v39, 7, v12
	v_ffbh_u32_e32 v42, v39
	v_min_u32_e32 v44, 32, v42
	v_subrev_u32_e32 v42, 28, v44
	v_lshlrev_b64 v[42:43], v42, v[12:13]
	v_lshrrev_b32_e32 v41, 3, v14
	v_sub_u32_e32 v43, 29, v44
	v_cmp_gt_u32_e64 s[4:5], 8, v14
	v_cndmask_b32_e64 v14, v41, v43, s[4:5]
	v_and_b32_e32 v42, 7, v42
	v_lshlrev_b32_e32 v12, 8, v12
	v_lshl_add_u32 v14, v14, 10, v25
	v_cndmask_b32_e64 v39, v39, v42, s[4:5]
	v_and_or_b32 v12, v12, s62, v14
	v_lshl_or_b32 v12, v39, 7, v12
	v_cvt_f32_f16_e32 v39, v12
.LBB297_87:                             ;   in Loop: Header=BB297_14 Depth=1
	s_or_b64 exec, exec, s[50:51]
.LBB297_88:                             ;   in Loop: Header=BB297_14 Depth=1
	s_or_b64 exec, exec, s[48:49]
.LBB297_89:                             ;   in Loop: Header=BB297_14 Depth=1
	s_or_b64 exec, exec, s[46:47]
	global_load_dword v10, v[10:11], off offset:520
	v_mov_b32_e32 v11, 0
	v_mov_b32_e32 v14, 0
	s_waitcnt vmcnt(0)
	v_cmp_ne_u16_sdwa s[4:5], v10, v17 src0_sel:BYTE_0 src1_sel:DWORD
	s_and_saveexec_b64 s[46:47], s[4:5]
	s_cbranch_execz .LBB297_95
; %bb.90:                               ;   in Loop: Header=BB297_14 Depth=1
	v_cmp_ne_u16_sdwa s[4:5], v10, s60 src0_sel:BYTE_0 src1_sel:DWORD
	v_bfrev_b32_e32 v14, 1
	s_and_saveexec_b64 s[48:49], s[4:5]
	s_cbranch_execz .LBB297_94
; %bb.91:                               ;   in Loop: Header=BB297_14 Depth=1
	v_and_b32_e32 v12, 0x7f, v10
	v_cmp_ne_u32_e64 s[4:5], s61, v12
	v_mov_b32_e32 v14, 0x7fc02000
	s_and_saveexec_b64 s[50:51], s[4:5]
	s_cbranch_execz .LBB297_93
; %bb.92:                               ;   in Loop: Header=BB297_14 Depth=1
	v_and_b32_e32 v14, 7, v10
	v_ffbh_u32_e32 v42, v14
	v_min_u32_e32 v44, 32, v42
	v_subrev_u32_e32 v42, 28, v44
	v_lshlrev_b64 v[42:43], v42, v[10:11]
	v_lshrrev_b32_e32 v41, 3, v12
	v_sub_u32_e32 v43, 29, v44
	v_cmp_gt_u32_e64 s[4:5], 8, v12
	v_cndmask_b32_e64 v12, v41, v43, s[4:5]
	v_and_b32_e32 v42, 7, v42
	v_lshlrev_b32_e32 v41, 8, v10
	v_lshl_add_u32 v12, v12, 10, v25
	v_cndmask_b32_e64 v14, v14, v42, s[4:5]
	v_and_or_b32 v12, v41, s62, v12
	v_lshl_or_b32 v12, v14, 7, v12
	v_cvt_f32_f16_e32 v14, v12
.LBB297_93:                             ;   in Loop: Header=BB297_14 Depth=1
	s_or_b64 exec, exec, s[50:51]
.LBB297_94:                             ;   in Loop: Header=BB297_14 Depth=1
	s_or_b64 exec, exec, s[48:49]
.LBB297_95:                             ;   in Loop: Header=BB297_14 Depth=1
	s_or_b64 exec, exec, s[46:47]
	v_lshrrev_b16_e32 v12, 8, v10
	v_cmp_ne_u16_e64 s[4:5], 0, v12
	s_and_saveexec_b64 s[46:47], s[4:5]
	s_cbranch_execz .LBB297_101
; %bb.96:                               ;   in Loop: Header=BB297_14 Depth=1
	v_cmp_ne_u16_e64 s[4:5], s60, v12
	v_bfrev_b32_e32 v11, 1
	s_and_saveexec_b64 s[48:49], s[4:5]
	s_cbranch_execz .LBB297_100
; %bb.97:                               ;   in Loop: Header=BB297_14 Depth=1
	v_and_b32_e32 v41, 0x7f, v12
	v_cmp_ne_u32_e64 s[4:5], s61, v41
	v_mov_b32_e32 v11, 0x7fc02000
	s_and_saveexec_b64 s[50:51], s[4:5]
	s_cbranch_execz .LBB297_99
; %bb.98:                               ;   in Loop: Header=BB297_14 Depth=1
	v_and_b32_e32 v11, 7, v12
	v_ffbh_u32_e32 v42, v11
	v_min_u32_e32 v45, 32, v42
	v_subrev_u32_e32 v42, 28, v45
	v_lshlrev_b64 v[42:43], v42, v[12:13]
	v_lshrrev_b32_e32 v44, 3, v41
	v_sub_u32_e32 v43, 29, v45
	v_cmp_gt_u32_e64 s[4:5], 8, v41
	v_cndmask_b32_e64 v41, v44, v43, s[4:5]
	v_and_b32_e32 v42, 7, v42
	v_lshlrev_b32_e32 v12, 8, v12
	v_lshl_add_u32 v41, v41, 10, v25
	v_cndmask_b32_e64 v11, v11, v42, s[4:5]
	v_and_or_b32 v12, v12, s62, v41
	v_lshl_or_b32 v11, v11, 7, v12
	v_cvt_f32_f16_e32 v11, v11
.LBB297_99:                             ;   in Loop: Header=BB297_14 Depth=1
	s_or_b64 exec, exec, s[50:51]
.LBB297_100:                            ;   in Loop: Header=BB297_14 Depth=1
	s_or_b64 exec, exec, s[48:49]
.LBB297_101:                            ;   in Loop: Header=BB297_14 Depth=1
	s_or_b64 exec, exec, s[46:47]
	v_lshrrev_b32_e32 v12, 16, v10
	v_cmp_ne_u16_sdwa s[4:5], v12, v17 src0_sel:BYTE_0 src1_sel:DWORD
	v_mov_b32_e32 v41, 0
	v_mov_b32_e32 v42, 0
	s_and_saveexec_b64 s[46:47], s[4:5]
	s_cbranch_execz .LBB297_107
; %bb.102:                              ;   in Loop: Header=BB297_14 Depth=1
	v_cmp_ne_u16_sdwa s[4:5], v12, s60 src0_sel:BYTE_0 src1_sel:DWORD
	v_bfrev_b32_e32 v42, 1
	s_and_saveexec_b64 s[48:49], s[4:5]
	s_cbranch_execz .LBB297_106
; %bb.103:                              ;   in Loop: Header=BB297_14 Depth=1
	v_bfe_u32 v43, v10, 16, 7
	v_cmp_ne_u32_e64 s[4:5], s61, v43
	v_mov_b32_e32 v42, 0x7fc02000
	s_and_saveexec_b64 s[50:51], s[4:5]
	s_cbranch_execz .LBB297_105
; %bb.104:                              ;   in Loop: Header=BB297_14 Depth=1
	v_and_b32_e32 v42, 7, v12
	v_ffbh_u32_e32 v44, v42
	v_min_u32_e32 v47, 32, v44
	v_subrev_u32_e32 v44, 28, v47
	v_lshlrev_b64 v[44:45], v44, v[12:13]
	v_lshrrev_b32_e32 v46, 3, v43
	v_sub_u32_e32 v45, 29, v47
	v_cmp_gt_u32_e64 s[4:5], 8, v43
	v_cndmask_b32_e64 v43, v46, v45, s[4:5]
	v_and_b32_e32 v44, 7, v44
	v_lshlrev_b32_e32 v12, 8, v12
	v_lshl_add_u32 v43, v43, 10, v25
	v_cndmask_b32_e64 v42, v42, v44, s[4:5]
	v_and_or_b32 v12, v12, s62, v43
	v_lshl_or_b32 v12, v42, 7, v12
	v_cvt_f32_f16_e32 v42, v12
.LBB297_105:                            ;   in Loop: Header=BB297_14 Depth=1
	s_or_b64 exec, exec, s[50:51]
.LBB297_106:                            ;   in Loop: Header=BB297_14 Depth=1
	s_or_b64 exec, exec, s[48:49]
.LBB297_107:                            ;   in Loop: Header=BB297_14 Depth=1
	s_or_b64 exec, exec, s[46:47]
	v_cmp_lt_u32_e64 s[4:5], s63, v10
	s_and_saveexec_b64 s[46:47], s[4:5]
	s_cbranch_execz .LBB297_113
; %bb.108:                              ;   in Loop: Header=BB297_14 Depth=1
	v_lshrrev_b32_e32 v10, 24, v10
	v_cmp_ne_u32_e64 s[4:5], s60, v10
	v_bfrev_b32_e32 v41, 1
	s_and_saveexec_b64 s[48:49], s[4:5]
	s_cbranch_execz .LBB297_112
; %bb.109:                              ;   in Loop: Header=BB297_14 Depth=1
	v_and_b32_e32 v12, 0x7f, v10
	v_cmp_ne_u32_e64 s[4:5], s61, v12
	v_mov_b32_e32 v41, 0x7fc02000
	s_and_saveexec_b64 s[50:51], s[4:5]
	s_cbranch_execz .LBB297_111
; %bb.110:                              ;   in Loop: Header=BB297_14 Depth=1
	v_and_b32_e32 v41, 7, v10
	v_ffbh_u32_e32 v44, v41
	v_min_u32_e32 v46, 32, v44
	v_subrev_u32_e32 v44, 28, v46
	v_lshlrev_b64 v[44:45], v44, v[10:11]
	v_lshrrev_b32_e32 v43, 3, v12
	v_sub_u32_e32 v45, 29, v46
	v_cmp_gt_u32_e64 s[4:5], 8, v12
	v_cndmask_b32_e64 v12, v43, v45, s[4:5]
	v_and_b32_e32 v44, 7, v44
	v_lshlrev_b32_e32 v10, 8, v10
	v_lshl_add_u32 v12, v12, 10, v25
	v_cndmask_b32_e64 v41, v41, v44, s[4:5]
	v_and_or_b32 v10, v10, s62, v12
	v_lshl_or_b32 v10, v41, 7, v10
	v_cvt_f32_f16_e32 v41, v10
.LBB297_111:                            ;   in Loop: Header=BB297_14 Depth=1
	s_or_b64 exec, exec, s[50:51]
.LBB297_112:                            ;   in Loop: Header=BB297_14 Depth=1
	s_or_b64 exec, exec, s[48:49]
.LBB297_113:                            ;   in Loop: Header=BB297_14 Depth=1
	s_or_b64 exec, exec, s[46:47]
	v_fma_mixlo_f16 v12, v28, v37, 0
	v_fma_mixlo_f16 v37, v28, v38, 0
	;; [unrolled: 1-line block ×6, first 2 shown]
	ds_read_b64 v[34:35], v18
	v_fma_mixlo_f16 v30, v28, v30, 0
	v_fma_mixlo_f16 v29, v28, v29, 0
	v_and_b32_e32 v30, 0xffff, v30
	v_fma_mixlo_f16 v32, v28, v32, 0
	s_waitcnt lgkmcnt(0)
	v_lshrrev_b32_e32 v43, 16, v34
	v_and_b32_e32 v34, 0xffff, v34
	;;#ASMSTART
	v_cvt_f32_f16 v34, v34;
	;;#ASMEND
	;;#ASMSTART
	v_cvt_f32_f16 v43, v43;
	;;#ASMEND
	;; [unrolled: 3-line block ×3, first 2 shown]
	v_and_b32_e32 v29, 0xffff, v29
	v_lshrrev_b32_e32 v30, 16, v35
	v_and_b32_e32 v35, 0xffff, v35
	v_fma_mixlo_f16 v31, v28, v31, 0
	;;#ASMSTART
	v_cvt_f32_f16 v29, v29;
	;;#ASMEND
	;;#ASMSTART
	v_cvt_f32_f16 v35, v35;
	;;#ASMEND
	;; [unrolled: 3-line block ×3, first 2 shown]
	v_and_b32_e32 v30, 0xffff, v32
	;;#ASMSTART
	v_cvt_f32_f16 v32, v30;
	;;#ASMEND
	v_and_b32_e32 v30, 0xffff, v31
	;;#ASMSTART
	v_cvt_f32_f16 v46, v30;
	;;#ASMEND
	ds_read_b64 v[30:31], v18 offset:8
	v_fma_mixlo_f16 v47, v28, v11, 0
	v_and_b32_e32 v33, 0xffff, v33
	v_and_b32_e32 v10, 0xffff, v10
	v_fma_mixlo_f16 v36, v28, v36, 0
	s_waitcnt lgkmcnt(0)
	v_lshrrev_b32_e32 v11, 16, v30
	v_and_b32_e32 v30, 0xffff, v30
	;;#ASMSTART
	v_cvt_f32_f16 v30, v30;
	;;#ASMEND
	;;#ASMSTART
	v_cvt_f32_f16 v11, v11;
	;;#ASMEND
	;; [unrolled: 3-line block ×4, first 2 shown]
	v_mul_f32_e32 v30, v30, v33
	v_mul_f32_e32 v33, v11, v10
	v_lshrrev_b32_e32 v10, 16, v31
	v_fmac_f32_e32 v33, v43, v29
	v_and_b32_e32 v11, 0xffff, v31
	;;#ASMSTART
	v_cvt_f32_f16 v29, v11;
	;;#ASMEND
	;;#ASMSTART
	v_cvt_f32_f16 v31, v10;
	;;#ASMEND
	v_and_b32_e32 v10, 0xffff, v36
	v_fmac_f32_e32 v30, v34, v44
	;;#ASMSTART
	v_cvt_f32_f16 v34, v10;
	;;#ASMEND
	v_and_b32_e32 v10, 0xffff, v40
	;;#ASMSTART
	v_cvt_f32_f16 v36, v10;
	;;#ASMEND
	ds_read_b64 v[10:11], v18 offset:16
	v_mul_f32_e32 v29, v29, v34
	v_fmac_f32_e32 v29, v35, v32
	v_fma_mixlo_f16 v39, v28, v39, 0
	v_mul_f32_e32 v31, v31, v36
	s_waitcnt lgkmcnt(0)
	v_lshrrev_b32_e32 v32, 16, v10
	v_and_b32_e32 v10, 0xffff, v10
	;;#ASMSTART
	v_cvt_f32_f16 v34, v10;
	;;#ASMEND
	v_and_b32_e32 v10, 0xffff, v37
	;;#ASMSTART
	v_cvt_f32_f16 v32, v32;
	;;#ASMEND
	;;#ASMSTART
	v_cvt_f32_f16 v35, v10;
	;;#ASMEND
	v_and_b32_e32 v10, 0xffff, v12
	;;#ASMSTART
	v_cvt_f32_f16 v12, v10;
	;;#ASMEND
	v_lshrrev_b32_e32 v10, 16, v11
	v_and_b32_e32 v11, 0xffff, v11
	;;#ASMSTART
	v_cvt_f32_f16 v36, v11;
	;;#ASMEND
	;;#ASMSTART
	v_cvt_f32_f16 v37, v10;
	;;#ASMEND
	v_and_b32_e32 v10, 0xffff, v38
	;;#ASMSTART
	v_cvt_f32_f16 v38, v10;
	;;#ASMEND
	v_and_b32_e32 v10, 0xffff, v39
	;;#ASMSTART
	v_cvt_f32_f16 v39, v10;
	;;#ASMEND
	ds_read_b64 v[10:11], v18 offset:24
	v_fma_mixlo_f16 v14, v28, v14, 0
	v_fmac_f32_e32 v33, v32, v12
	v_fma_mixlo_f16 v42, v28, v42, 0
	v_fmac_f32_e32 v30, v34, v35
	s_waitcnt lgkmcnt(0)
	v_lshrrev_b32_e32 v12, 16, v10
	v_and_b32_e32 v10, 0xffff, v10
	;;#ASMSTART
	v_cvt_f32_f16 v10, v10;
	;;#ASMEND
	;;#ASMSTART
	v_cvt_f32_f16 v12, v12;
	;;#ASMEND
	v_and_b32_e32 v14, 0xffff, v14
	v_and_b32_e32 v32, 0xffff, v47
	;;#ASMSTART
	v_cvt_f32_f16 v14, v14;
	;;#ASMEND
	;;#ASMSTART
	v_cvt_f32_f16 v32, v32;
	;;#ASMEND
	v_fmac_f32_e32 v30, v10, v14
	v_fmac_f32_e32 v33, v12, v32
	v_lshrrev_b32_e32 v10, 16, v11
	v_and_b32_e32 v11, 0xffff, v11
	v_and_b32_e32 v12, 0xffff, v42
	v_fmac_f32_e32 v29, v36, v38
	;;#ASMSTART
	v_cvt_f32_f16 v11, v11;
	;;#ASMEND
	;;#ASMSTART
	v_cvt_f32_f16 v10, v10;
	;;#ASMEND
	;; [unrolled: 3-line block ×3, first 2 shown]
	v_fma_mixlo_f16 v28, v28, v41, 0
	v_fmac_f32_e32 v31, v45, v46
	v_fmac_f32_e32 v29, v11, v12
	v_and_b32_e32 v12, 64, v26
	v_fmac_f32_e32 v31, v37, v39
	v_and_b32_e32 v14, 0xffff, v28
	v_xor_b32_e32 v11, 1, v26
	v_add_u32_e32 v12, 64, v12
	;;#ASMSTART
	v_cvt_f32_f16 v14, v14;
	;;#ASMEND
	v_fmac_f32_e32 v31, v10, v14
	v_add_f32_e32 v10, v30, v33
	v_cmp_lt_i32_e64 s[4:5], v11, v12
	v_add_f32_e32 v10, v10, v29
	v_cndmask_b32_e64 v11, v26, v11, s[4:5]
	v_add_f32_e32 v10, v31, v10
	v_lshlrev_b32_e32 v11, 2, v11
	ds_bpermute_b32 v11, v11, v10
	s_and_saveexec_b64 s[46:47], vcc
	s_cbranch_execz .LBB297_12
; %bb.114:                              ;   in Loop: Header=BB297_14 Depth=1
	v_add_u32_e32 v12, v23, v21
	v_cvt_f32_i32_e32 v12, v12
	s_waitcnt lgkmcnt(0)
	v_add_f32_e32 v10, v10, v11
	v_add_u32_e32 v14, v16, v21
	v_cmp_gt_i32_e64 s[4:5], s33, v14
	v_mul_f32_e32 v11, s55, v12
	v_cndmask_b32_e64 v11, 0, v11, s[2:3]
	v_fmac_f32_e32 v11, s43, v10
	v_cndmask_b32_e64 v10, 0, v11, s[4:5]
	ds_write_b32 v22, v10
	v_max_f32_e32 v10, v20, v20
	v_max_f32_e32 v10, v10, v11
	v_cndmask_b32_e64 v20, v20, v10, s[4:5]
	s_branch .LBB297_12
.LBB297_115:
	s_or_b64 exec, exec, s[44:45]
.LBB297_116:
	s_or_b64 exec, exec, s[18:19]
	v_mbcnt_hi_u32_b32 v6, -1, v15
	v_and_b32_e32 v4, 64, v6
	v_add_u32_e32 v12, 64, v4
	v_xor_b32_e32 v4, 32, v6
	v_cmp_lt_i32_e32 vcc, v4, v12
	v_cndmask_b32_e32 v4, v6, v4, vcc
	v_lshlrev_b32_e32 v4, 2, v4
	ds_bpermute_b32 v5, v4, v20
	v_xor_b32_e32 v9, 16, v6
	v_max_f32_e32 v8, v20, v20
	v_cmp_lt_i32_e32 vcc, v9, v12
	v_xor_b32_e32 v10, 8, v6
	s_waitcnt lgkmcnt(0)
	v_max_f32_e32 v5, v5, v5
	v_max_f32_e32 v8, v8, v5
	v_cndmask_b32_e32 v5, v6, v9, vcc
	v_lshlrev_b32_e32 v5, 2, v5
	ds_bpermute_b32 v9, v5, v8
	v_cmp_lt_i32_e32 vcc, v10, v12
	v_xor_b32_e32 v11, 4, v6
	v_xor_b32_e32 v14, 2, v6
	v_and_b32_e32 v15, 63, v0
	s_waitcnt lgkmcnt(0)
	v_max_f32_e32 v9, v9, v9
	v_max_f32_e32 v9, v8, v9
	v_cndmask_b32_e32 v8, v6, v10, vcc
	v_lshlrev_b32_e32 v8, 2, v8
	ds_bpermute_b32 v10, v8, v9
	v_cmp_lt_i32_e32 vcc, v11, v12
	s_waitcnt lgkmcnt(0)
	v_max_f32_e32 v10, v10, v10
	v_max_f32_e32 v10, v9, v10
	v_cndmask_b32_e32 v9, v6, v11, vcc
	v_lshlrev_b32_e32 v9, 2, v9
	ds_bpermute_b32 v11, v9, v10
	v_cmp_lt_i32_e32 vcc, v14, v12
	s_waitcnt lgkmcnt(0)
	v_max_f32_e32 v11, v11, v11
	v_max_f32_e32 v11, v10, v11
	v_cndmask_b32_e32 v10, v6, v14, vcc
	v_lshlrev_b32_e32 v22, 2, v10
	ds_bpermute_b32 v14, v22, v11
	v_cmp_eq_u32_e32 vcc, 0, v15
	v_lshlrev_b32_e32 v10, 2, v13
	s_and_saveexec_b64 s[2:3], vcc
	s_cbranch_execz .LBB297_118
; %bb.117:
	s_waitcnt lgkmcnt(0)
	v_max_f32_e32 v14, v14, v14
	v_max_f32_e32 v11, v11, v11
	;; [unrolled: 1-line block ×3, first 2 shown]
	ds_write_b32 v10, v11 offset:64
.LBB297_118:
	s_or_b64 exec, exec, s[2:3]
	v_cmp_gt_u32_e64 s[2:3], 2, v15
	s_waitcnt lgkmcnt(0)
	v_mov_b32_e32 v14, 0xff7fffff
	v_lshlrev_b32_e32 v11, 2, v15
	s_barrier
	s_and_saveexec_b64 s[4:5], s[2:3]
	s_cbranch_execz .LBB297_120
; %bb.119:
	ds_read_b32 v14, v11 offset:64
.LBB297_120:
	s_or_b64 exec, exec, s[4:5]
	v_xor_b32_e32 v16, 1, v6
	v_cmp_lt_i32_e64 s[4:5], v16, v12
	v_cndmask_b32_e64 v12, v6, v16, s[4:5]
	v_lshlrev_b32_e32 v23, 2, v12
	s_waitcnt lgkmcnt(0)
	ds_bpermute_b32 v12, v23, v14
	v_max_f32_e32 v14, v14, v14
	v_lshlrev_b32_e32 v6, 2, v6
	s_sub_i32 s4, s53, s56
	s_lshl_b32 s4, s4, 5
	s_waitcnt lgkmcnt(0)
	v_max_f32_e32 v12, v12, v12
	v_max_f32_e32 v14, v14, v12
	v_and_b32_e32 v12, 0x100, v6
	ds_bpermute_b32 v6, v12, v14
	s_add_i32 s4, s4, s54
	s_min_i32 s44, s4, s33
	s_sub_i32 s43, s44, s54
	v_cmp_gt_i32_e64 s[4:5], s43, v0
	v_mov_b32_e32 v14, 0
	s_and_saveexec_b64 s[12:13], s[4:5]
	s_cbranch_execz .LBB297_124
; %bb.121:
	v_mov_b32_e32 v14, 0x50
	v_lshl_add_u32 v16, v0, 2, v14
	s_mov_b64 s[18:19], 0
	v_mov_b32_e32 v14, 0
	v_mov_b32_e32 v17, v0
.LBB297_122:                            ; =>This Inner Loop Header: Depth=1
	ds_read_b32 v18, v16
	v_add_u32_e32 v17, 0x80, v17
	v_cmp_le_i32_e64 s[10:11], s43, v17
	s_or_b64 s[18:19], s[10:11], s[18:19]
	s_waitcnt lgkmcnt(0)
	v_sub_f32_e32 v18, v18, v6
	v_mul_f32_e32 v18, 0x3fb8aa3b, v18
	v_exp_f32_e32 v18, v18
	ds_write_b32 v16, v18
	v_add_f32_e32 v14, v14, v18
	v_add_u32_e32 v16, 0x200, v16
	s_andn2_b64 exec, exec, s[18:19]
	s_cbranch_execnz .LBB297_122
; %bb.123:
	s_or_b64 exec, exec, s[18:19]
.LBB297_124:
	s_or_b64 exec, exec, s[12:13]
	ds_bpermute_b32 v4, v4, v14
	s_waitcnt lgkmcnt(0)
	v_add_f32_e32 v4, v14, v4
	ds_bpermute_b32 v5, v5, v4
	s_waitcnt lgkmcnt(0)
	v_add_f32_e32 v4, v4, v5
	;; [unrolled: 3-line block ×6, first 2 shown]
	s_and_saveexec_b64 s[10:11], vcc
	s_cbranch_execz .LBB297_126
; %bb.125:
	ds_write_b32 v10, v4 offset:72
.LBB297_126:
	s_or_b64 exec, exec, s[10:11]
	s_waitcnt lgkmcnt(0)
	s_barrier
	s_and_saveexec_b64 s[10:11], s[2:3]
	s_cbranch_execz .LBB297_128
; %bb.127:
	ds_read_b32 v4, v11 offset:72
.LBB297_128:
	s_or_b64 exec, exec, s[10:11]
	s_waitcnt lgkmcnt(0)
	ds_bpermute_b32 v5, v23, v4
	s_waitcnt lgkmcnt(0)
	v_add_f32_e32 v4, v4, v5
	ds_bpermute_b32 v8, v12, v4
	s_and_saveexec_b64 s[2:3], s[4:5]
	s_cbranch_execz .LBB297_141
; %bb.129:
	s_waitcnt lgkmcnt(0)
	v_add_f32_e32 v4, 0x358637bd, v8
	v_div_scale_f32 v5, s[4:5], v4, v4, 1.0
	v_rcp_f32_e32 v9, v5
	v_div_scale_f32 v10, vcc, 1.0, v4, 1.0
	s_movk_i32 s4, 0x7f
	v_fma_f32 v11, -v5, v9, 1.0
	v_fmac_f32_e32 v9, v11, v9
	v_mul_f32_e32 v11, v10, v9
	v_fma_f32 v12, -v5, v11, v10
	v_fmac_f32_e32 v11, v12, v9
	v_fma_f32 v5, -v5, v11, v10
	v_div_fmas_f32 v5, v5, v9, v11
	v_div_fixup_f32 v4, v5, v4, 1.0
	v_xad_u32 v5, v0, -1, s44
	v_subrev_u32_e32 v9, s54, v5
	v_cmp_lt_u32_e32 vcc, s4, v9
	s_mov_b64 s[10:11], -1
	v_mov_b32_e32 v5, v0
	s_and_saveexec_b64 s[4:5], vcc
	s_cbranch_execz .LBB297_138
; %bb.130:
	v_lshrrev_b32_e32 v9, 7, v9
	v_add_u32_e32 v11, -1, v9
	v_lshrrev_b32_e32 v10, 1, v11
	v_mov_b32_e32 v5, v4
	v_add_u32_e32 v10, 1, v10
	v_cmp_lt_u32_e32 vcc, 13, v11
	v_mov_b32_e32 v14, 0
	s_and_saveexec_b64 s[10:11], vcc
	s_cbranch_execz .LBB297_134
; %bb.131:
	v_mov_b32_e32 v12, 0x50
	v_and_b32_e32 v11, -8, v10
	v_lshl_add_u32 v12, v0, 2, v12
	s_mov_b32 s18, 0
	s_mov_b64 s[12:13], 0
.LBB297_132:                            ; =>This Inner Loop Header: Depth=1
	ds_read2st64_b32 v[16:17], v12 offset1:2
	ds_read2st64_b32 v[18:19], v12 offset0:4 offset1:6
	ds_read2st64_b32 v[20:21], v12 offset0:8 offset1:10
	;; [unrolled: 1-line block ×3, first 2 shown]
	v_add_u32_e32 v11, -8, v11
	s_waitcnt lgkmcnt(3)
	v_pk_mul_f32 v[16:17], v[4:5], v[16:17]
	s_waitcnt lgkmcnt(2)
	v_pk_mul_f32 v[18:19], v[4:5], v[18:19]
	ds_write2st64_b32 v12, v16, v17 offset1:2
	ds_write2st64_b32 v12, v18, v19 offset0:4 offset1:6
	ds_read2st64_b32 v[18:19], v12 offset0:16 offset1:18
	s_waitcnt lgkmcnt(4)
	v_pk_mul_f32 v[16:17], v[4:5], v[20:21]
	ds_write2st64_b32 v12, v16, v17 offset0:8 offset1:10
	s_waitcnt lgkmcnt(4)
	v_pk_mul_f32 v[16:17], v[4:5], v[24:25]
	ds_write2st64_b32 v12, v16, v17 offset0:12 offset1:14
	ds_read2st64_b32 v[16:17], v12 offset0:20 offset1:22
	s_waitcnt lgkmcnt(3)
	v_pk_mul_f32 v[18:19], v[4:5], v[18:19]
	ds_read2st64_b32 v[20:21], v12 offset0:24 offset1:26
	ds_write2st64_b32 v12, v18, v19 offset0:16 offset1:18
	ds_read2st64_b32 v[18:19], v12 offset0:28 offset1:30
	s_waitcnt lgkmcnt(3)
	v_pk_mul_f32 v[16:17], v[4:5], v[16:17]
	ds_write2st64_b32 v12, v16, v17 offset0:20 offset1:22
	s_waitcnt lgkmcnt(3)
	v_pk_mul_f32 v[16:17], v[4:5], v[20:21]
	ds_write2st64_b32 v12, v16, v17 offset0:24 offset1:26
	s_waitcnt lgkmcnt(2)
	v_pk_mul_f32 v[16:17], v[4:5], v[18:19]
	s_add_i32 s18, s18, 16
	v_cmp_eq_u32_e32 vcc, 0, v11
	ds_write2st64_b32 v12, v16, v17 offset0:28 offset1:30
	v_add_u32_e32 v12, 0x2000, v12
	s_or_b64 s[12:13], vcc, s[12:13]
	v_mov_b32_e32 v14, s18
	s_andn2_b64 exec, exec, s[12:13]
	s_cbranch_execnz .LBB297_132
; %bb.133:
	s_or_b64 exec, exec, s[12:13]
.LBB297_134:
	s_or_b64 exec, exec, s[10:11]
	v_and_b32_e32 v10, 7, v10
	v_cmp_ne_u32_e32 vcc, 0, v10
	s_and_saveexec_b64 s[10:11], vcc
	s_cbranch_execz .LBB297_137
; %bb.135:
	v_lshlrev_b32_e32 v11, 9, v14
	v_lshlrev_b32_e32 v12, 2, v0
	s_movk_i32 s12, 0x50
	v_add3_u32 v11, v11, v12, s12
	s_mov_b64 s[12:13], 0
.LBB297_136:                            ; =>This Inner Loop Header: Depth=1
	ds_read2st64_b32 v[16:17], v11 offset1:2
	v_add_u32_e32 v10, -1, v10
	v_cmp_eq_u32_e32 vcc, 0, v10
	s_or_b64 s[12:13], vcc, s[12:13]
	s_waitcnt lgkmcnt(0)
	v_pk_mul_f32 v[16:17], v[4:5], v[16:17]
	ds_write2st64_b32 v11, v16, v17 offset1:2
	v_add_u32_e32 v11, 0x400, v11
	s_andn2_b64 exec, exec, s[12:13]
	s_cbranch_execnz .LBB297_136
.LBB297_137:
	s_or_b64 exec, exec, s[10:11]
	v_add_u32_e32 v9, 1, v9
	v_and_b32_e32 v10, 0x3fffffe, v9
	v_cmp_ne_u32_e32 vcc, v9, v10
	v_lshl_add_u32 v5, v10, 7, v0
	s_orn2_b64 s[10:11], vcc, exec
.LBB297_138:
	s_or_b64 exec, exec, s[4:5]
	s_and_b64 exec, exec, s[10:11]
	s_cbranch_execz .LBB297_141
; %bb.139:
	v_mov_b32_e32 v9, 0x50
	v_lshl_add_u32 v9, v5, 2, v9
	s_mov_b64 s[4:5], 0
.LBB297_140:                            ; =>This Inner Loop Header: Depth=1
	ds_read_b32 v10, v9
	v_add_u32_e32 v5, 0x80, v5
	v_cmp_le_i32_e32 vcc, s43, v5
	s_or_b64 s[4:5], vcc, s[4:5]
	s_waitcnt lgkmcnt(0)
	v_mul_f32_e32 v10, v4, v10
	ds_write_b32 v9, v10
	v_add_u32_e32 v9, 0x200, v9
	s_andn2_b64 exec, exec, s[4:5]
	s_cbranch_execnz .LBB297_140
.LBB297_141:
	s_or_b64 exec, exec, s[2:3]
	s_mul_i32 s2, s23, s34
	v_cmp_eq_u32_e32 vcc, 0, v0
	s_mul_i32 s2, s2, s9
	s_waitcnt lgkmcnt(0)
	s_barrier
	s_and_saveexec_b64 s[4:5], vcc
	s_cbranch_execz .LBB297_143
; %bb.142:
	s_ashr_i32 s3, s2, 31
	s_lshl_b64 s[10:11], s[2:3], 2
	s_add_u32 s3, s26, s10
	s_mul_i32 s12, s23, s6
	s_addc_u32 s9, s27, s11
	s_ashr_i32 s13, s12, 31
	s_lshl_b64 s[12:13], s[12:13], 2
	s_add_u32 s3, s3, s12
	s_addc_u32 s6, s9, s13
	s_ashr_i32 s9, s8, 31
	s_lshl_b64 s[18:19], s[8:9], 2
	s_add_u32 s26, s3, s18
	s_addc_u32 s27, s6, s19
	s_add_u32 s3, s24, s10
	s_addc_u32 s6, s25, s11
	;; [unrolled: 2-line block ×3, first 2 shown]
	s_add_u32 s10, s3, s18
	v_mov_b32_e32 v4, 0
	s_addc_u32 s11, s6, s19
	global_store_dword v4, v6, s[26:27]
	global_store_dword v4, v8, s[10:11]
.LBB297_143:
	s_or_b64 exec, exec, s[4:5]
	s_mov_b32 s12, 0
	v_mov_b32_e32 v5, 0
	v_and_b32_e32 v24, 3, v0
	v_mov_b32_e32 v4, 0
	s_and_saveexec_b64 s[4:5], s[0:1]
	s_cbranch_execz .LBB297_249
; %bb.144:
	s_sub_i32 s3, s7, s21
	s_ashr_i32 s0, s20, 31
	s_add_u32 s1, s40, s20
	s_addc_u32 s0, s41, s0
	s_abs_i32 s9, s22
	v_cvt_f32_u32_e32 v4, s9
	s_sub_i32 s10, 0, s9
	v_and_b32_e32 v5, 0x1f8, v7
	s_add_i32 s24, s16, -1
	v_rcp_iflag_f32_e32 v4, v4
	v_and_b32_e32 v25, 24, v7
	s_mov_b32 s6, -1
	s_mov_b32 s13, s12
	v_mul_f32_e32 v4, 0x4f7ffffe, v4
	v_cvt_u32_f32_e32 v4, v4
	s_mov_b32 s22, s17
	s_mov_b32 s7, 0xffffff
	;; [unrolled: 1-line block ×3, first 2 shown]
	v_mul_lo_u32 v6, s10, v4
	v_mul_hi_u32 v6, v4, v6
	v_add_u32_e32 v26, v4, v6
	v_mov_b32_e32 v4, s0
	v_add_co_u32_e32 v6, vcc, s1, v5
	s_lshl_b64 s[0:1], s[38:39], 2
	s_add_u32 s0, s36, s0
	v_addc_co_u32_e32 v7, vcc, 0, v4, vcc
	v_lshlrev_b64 v[4:5], 2, v[2:3]
	s_addc_u32 s1, s37, s1
	v_mov_b32_e32 v3, s1
	v_add_co_u32_e32 v8, vcc, s0, v4
	v_addc_co_u32_e32 v9, vcc, v3, v5, vcc
	v_lshlrev_b32_e32 v3, 5, v24
	v_lshl_or_b32 v3, v13, 7, v3
	v_add_u32_e32 v3, 0x50, v3
	s_mov_b64 s[10:11], 0
	v_pk_mov_b32 v[4:5], s[12:13], s[12:13] op_sel:[0,1]
	v_mov_b32_e32 v11, 0
	s_movk_i32 s26, 0x80
	s_movk_i32 s27, 0x7f
	s_mov_b32 s34, 0x8000
	s_movk_i32 s36, 0x380
	s_mov_b32 s37, 0x3020706
	s_mov_b32 s38, 0x1000504
	;; [unrolled: 1-line block ×3, first 2 shown]
	v_mov_b32_e32 v27, 0x2000
	s_branch .LBB297_147
.LBB297_145:                            ;   in Loop: Header=BB297_147 Depth=1
	s_or_b64 exec, exec, s[0:1]
	;;#ASMSTART
	v_pk_mul_f16 v13, v37, v13;

	;;#ASMEND
	;;#ASMSTART
	v_pk_mul_f16 v10, v36, v10;

	;;#ASMEND
	;; [unrolled: 4-line block ×4, first 2 shown]
	;;#ASMSTART
	v_pk_add_f16 v10, v13, v10;

	;;#ASMEND
	;;#ASMSTART
	v_pk_add_f16 v10, v10, v12;

	;;#ASMEND
	;; [unrolled: 4-line block ×3, first 2 shown]
	v_lshrrev_b32_e32 v12, 16, v10
	v_and_b32_e32 v10, 0xffff, v10
	;;#ASMSTART
	v_cvt_f32_f16 v10, v10;
	;;#ASMEND
	v_add_f32_e32 v16, v38, v39
	;;#ASMSTART
	v_cvt_f32_f16 v12, v12;
	;;#ASMEND
	v_add_f32_e32 v10, v10, v12
	v_add_f32_e32 v4, v4, v16
	v_add_f32_e32 v5, v5, v10
.LBB297_146:                            ;   in Loop: Header=BB297_147 Depth=1
	s_or_b64 exec, exec, s[12:13]
	v_add_co_u32_e32 v8, vcc, 8, v8
	v_add_u32_e32 v2, 2, v2
	v_addc_co_u32_e32 v9, vcc, 0, v9, vcc
	v_cmp_le_i32_e32 vcc, s53, v2
	v_add_u32_e32 v1, 64, v1
	s_or_b64 s[10:11], vcc, s[10:11]
	v_add_u32_e32 v3, 0x100, v3
	s_andn2_b64 exec, exec, s[10:11]
	s_cbranch_execz .LBB297_248
.LBB297_147:                            ; =>This Inner Loop Header: Depth=1
	v_sub_u32_e32 v12, 0, v1
	v_max_i32_e32 v12, v1, v12
	v_mul_hi_u32 v13, v12, s35
	v_mul_lo_u32 v14, v13, s29
	v_sub_u32_e32 v12, v12, v14
	v_add_u32_e32 v14, 1, v13
	v_cmp_le_u32_e32 vcc, s29, v12
	v_cndmask_b32_e32 v13, v13, v14, vcc
	v_subrev_u32_e32 v14, s29, v12
	v_cndmask_b32_e32 v12, v12, v14, vcc
	v_ashrrev_i32_e32 v10, 31, v1
	v_add_u32_e32 v14, 1, v13
	v_cmp_le_u32_e32 vcc, s29, v12
	v_xor_b32_e32 v10, s52, v10
	v_cndmask_b32_e32 v12, v13, v14, vcc
	v_xor_b32_e32 v12, v12, v10
	v_sub_u32_e32 v10, v12, v10
	v_add_u32_e32 v12, s42, v10
	v_sub_u32_e32 v14, 0, v12
	v_ashrrev_i32_e32 v13, 31, v12
	v_max_i32_e32 v12, v12, v14
	v_mul_hi_u32 v14, v12, v26
	v_mul_lo_u32 v14, v14, s9
	v_sub_u32_e32 v12, v12, v14
	v_subrev_u32_e32 v14, s9, v12
	v_cmp_le_u32_e32 vcc, s9, v12
	v_cndmask_b32_e32 v12, v12, v14, vcc
	v_subrev_u32_e32 v14, s9, v12
	v_cmp_le_u32_e32 vcc, s9, v12
	v_cndmask_b32_e32 v12, v12, v14, vcc
	v_xor_b32_e32 v12, v12, v13
	v_sub_u32_e32 v12, v12, v13
	v_cmp_eq_u32_e32 vcc, 0, v12
	v_cmp_lt_i32_e64 s[0:1], s3, v10
	s_or_b64 s[0:1], vcc, s[0:1]
	s_and_saveexec_b64 s[12:13], s[0:1]
	s_cbranch_execz .LBB297_146
; %bb.148:                              ;   in Loop: Header=BB297_147 Depth=1
	global_load_dword v10, v[8:9], off
	ds_read2_b64 v[16:19], v3 offset1:1
	ds_read2_b64 v[28:31], v3 offset0:2 offset1:3
	s_waitcnt lgkmcnt(1)
	;;#ASMSTART
	v_cvt_f16_f32 v34, v16;

	;;#ASMEND
	;;#ASMSTART
	v_cvt_f16_f32 v35, v17;

	;;#ASMEND
	;; [unrolled: 4-line block ×4, first 2 shown]
	s_waitcnt lgkmcnt(0)
	;;#ASMSTART
	v_cvt_f16_f32 v39, v28;

	;;#ASMEND
	;;#ASMSTART
	v_cvt_f16_f32 v40, v29;

	;;#ASMEND
	;; [unrolled: 4-line block ×4, first 2 shown]
	v_mov_b32_e32 v18, 0
	v_mov_b32_e32 v16, 0
	s_waitcnt vmcnt(0)
	v_mad_i64_i32 v[12:13], s[0:1], v10, s22, v[6:7]
	global_load_dwordx2 v[20:21], v[12:13], off
	global_load_dword v14, v11, s[14:15]
	s_waitcnt vmcnt(1)
	v_cmp_ne_u16_sdwa s[16:17], v20, v11 src0_sel:BYTE_0 src1_sel:DWORD
	s_and_saveexec_b64 s[0:1], s[16:17]
	s_cbranch_execz .LBB297_154
; %bb.149:                              ;   in Loop: Header=BB297_147 Depth=1
	v_cmp_ne_u16_sdwa s[18:19], v20, s26 src0_sel:BYTE_0 src1_sel:DWORD
	v_bfrev_b32_e32 v16, 1
	s_and_saveexec_b64 s[16:17], s[18:19]
	s_cbranch_execz .LBB297_153
; %bb.150:                              ;   in Loop: Header=BB297_147 Depth=1
	v_and_b32_e32 v10, 0x7f, v20
	v_cmp_ne_u32_e32 vcc, s27, v10
	v_mov_b32_e32 v16, 0x7fc02000
	s_and_saveexec_b64 s[18:19], vcc
	s_cbranch_execz .LBB297_152
; %bb.151:                              ;   in Loop: Header=BB297_147 Depth=1
	v_and_b32_e32 v16, 7, v20
	v_ffbh_u32_e32 v16, v16
	v_min_u32_e32 v16, 32, v16
	v_subrev_u32_e32 v17, 28, v16
	v_cmp_gt_u32_e32 vcc, 8, v10
	v_lshrrev_b32_e32 v19, 3, v10
	v_sub_u32_e32 v28, 29, v16
	v_cndmask_b32_e32 v10, 0, v17, vcc
	v_lshlrev_b64 v[16:17], v10, v[20:21]
	v_cndmask_b32_e32 v10, v19, v28, vcc
	v_lshlrev_b32_e32 v17, 8, v20
	v_lshl_add_u32 v10, v10, 10, v27
	v_lshlrev_b32_e32 v16, 7, v16
	v_and_or_b32 v10, v17, s34, v10
	v_and_or_b32 v10, v16, s36, v10
	v_cvt_f32_f16_e32 v16, v10
.LBB297_152:                            ;   in Loop: Header=BB297_147 Depth=1
	s_or_b64 exec, exec, s[18:19]
.LBB297_153:                            ;   in Loop: Header=BB297_147 Depth=1
	s_or_b64 exec, exec, s[16:17]
.LBB297_154:                            ;   in Loop: Header=BB297_147 Depth=1
	s_or_b64 exec, exec, s[0:1]
	v_lshrrev_b16_e32 v10, 8, v20
	v_cmp_ne_u16_e32 vcc, 0, v10
	s_and_saveexec_b64 s[0:1], vcc
	s_cbranch_execz .LBB297_160
; %bb.155:                              ;   in Loop: Header=BB297_147 Depth=1
	v_cmp_ne_u16_e32 vcc, s26, v10
	v_bfrev_b32_e32 v18, 1
	s_and_saveexec_b64 s[16:17], vcc
	s_cbranch_execz .LBB297_159
; %bb.156:                              ;   in Loop: Header=BB297_147 Depth=1
	v_and_b32_e32 v17, 0x7f, v10
	v_cmp_ne_u32_e32 vcc, s27, v17
	v_mov_b32_e32 v18, 0x7fc02000
	s_and_saveexec_b64 s[18:19], vcc
	s_cbranch_execz .LBB297_158
; %bb.157:                              ;   in Loop: Header=BB297_147 Depth=1
	v_and_b32_e32 v28, 7, v10
	v_ffbh_u32_e32 v18, v28
	v_min_u32_e32 v30, 32, v18
	v_subrev_u32_e32 v18, 28, v30
	v_lshlrev_b64 v[18:19], v18, v[10:11]
	v_lshrrev_b32_e32 v29, 3, v17
	v_sub_u32_e32 v19, 29, v30
	v_cmp_gt_u32_e32 vcc, 8, v17
	v_cndmask_b32_e32 v17, v29, v19, vcc
	v_and_b32_e32 v18, 7, v18
	v_lshlrev_b32_e32 v10, 8, v10
	v_lshl_add_u32 v17, v17, 10, v27
	v_cndmask_b32_e32 v18, v28, v18, vcc
	v_and_or_b32 v10, v10, s34, v17
	v_lshl_or_b32 v10, v18, 7, v10
	v_cvt_f32_f16_e32 v18, v10
.LBB297_158:                            ;   in Loop: Header=BB297_147 Depth=1
	s_or_b64 exec, exec, s[18:19]
.LBB297_159:                            ;   in Loop: Header=BB297_147 Depth=1
	s_or_b64 exec, exec, s[16:17]
.LBB297_160:                            ;   in Loop: Header=BB297_147 Depth=1
	s_or_b64 exec, exec, s[0:1]
	v_lshrrev_b32_e32 v10, 16, v20
	v_cmp_ne_u16_sdwa s[16:17], v10, v11 src0_sel:BYTE_0 src1_sel:DWORD
	v_mov_b32_e32 v19, 0
	v_mov_b32_e32 v17, 0
	s_and_saveexec_b64 s[0:1], s[16:17]
	s_cbranch_execz .LBB297_166
; %bb.161:                              ;   in Loop: Header=BB297_147 Depth=1
	v_cmp_ne_u16_sdwa s[18:19], v10, s26 src0_sel:BYTE_0 src1_sel:DWORD
	v_bfrev_b32_e32 v17, 1
	s_and_saveexec_b64 s[16:17], s[18:19]
	s_cbranch_execz .LBB297_165
; %bb.162:                              ;   in Loop: Header=BB297_147 Depth=1
	v_bfe_u32 v28, v20, 16, 7
	v_cmp_ne_u32_e32 vcc, s27, v28
	v_mov_b32_e32 v17, 0x7fc02000
	s_and_saveexec_b64 s[18:19], vcc
	s_cbranch_execz .LBB297_164
; %bb.163:                              ;   in Loop: Header=BB297_147 Depth=1
	v_and_b32_e32 v17, 7, v10
	v_ffbh_u32_e32 v30, v17
	v_min_u32_e32 v32, 32, v30
	v_subrev_u32_e32 v30, 28, v32
	v_lshlrev_b64 v[30:31], v30, v[10:11]
	v_lshrrev_b32_e32 v29, 3, v28
	v_sub_u32_e32 v31, 29, v32
	v_cmp_gt_u32_e32 vcc, 8, v28
	v_cndmask_b32_e32 v28, v29, v31, vcc
	v_and_b32_e32 v30, 7, v30
	v_lshlrev_b32_e32 v10, 8, v10
	v_lshl_add_u32 v28, v28, 10, v27
	v_cndmask_b32_e32 v17, v17, v30, vcc
	v_and_or_b32 v10, v10, s34, v28
	v_lshl_or_b32 v10, v17, 7, v10
	v_cvt_f32_f16_e32 v17, v10
.LBB297_164:                            ;   in Loop: Header=BB297_147 Depth=1
	s_or_b64 exec, exec, s[18:19]
.LBB297_165:                            ;   in Loop: Header=BB297_147 Depth=1
	s_or_b64 exec, exec, s[16:17]
.LBB297_166:                            ;   in Loop: Header=BB297_147 Depth=1
	s_or_b64 exec, exec, s[0:1]
	v_cmp_lt_u32_e32 vcc, s7, v20
	s_and_saveexec_b64 s[0:1], vcc
	s_cbranch_execz .LBB297_172
; %bb.167:                              ;   in Loop: Header=BB297_147 Depth=1
	v_lshrrev_b32_e32 v10, 24, v20
	v_cmp_ne_u32_e32 vcc, s26, v10
	v_bfrev_b32_e32 v19, 1
	s_and_saveexec_b64 s[16:17], vcc
	s_cbranch_execz .LBB297_171
; %bb.168:                              ;   in Loop: Header=BB297_147 Depth=1
	v_and_b32_e32 v28, 0x7f, v10
	v_cmp_ne_u32_e32 vcc, s27, v28
	v_mov_b32_e32 v19, 0x7fc02000
	s_and_saveexec_b64 s[18:19], vcc
	s_cbranch_execz .LBB297_170
; %bb.169:                              ;   in Loop: Header=BB297_147 Depth=1
	v_and_b32_e32 v19, 7, v10
	v_ffbh_u32_e32 v30, v19
	v_min_u32_e32 v32, 32, v30
	v_subrev_u32_e32 v30, 28, v32
	v_lshlrev_b64 v[30:31], v30, v[10:11]
	v_lshrrev_b32_e32 v29, 3, v28
	v_sub_u32_e32 v31, 29, v32
	v_cmp_gt_u32_e32 vcc, 8, v28
	v_cndmask_b32_e32 v28, v29, v31, vcc
	v_and_b32_e32 v30, 7, v30
	v_lshlrev_b32_e32 v10, 8, v10
	v_lshl_add_u32 v28, v28, 10, v27
	v_cndmask_b32_e32 v19, v19, v30, vcc
	v_and_or_b32 v10, v10, s34, v28
	v_lshl_or_b32 v10, v19, 7, v10
	v_cvt_f32_f16_e32 v19, v10
.LBB297_170:                            ;   in Loop: Header=BB297_147 Depth=1
	s_or_b64 exec, exec, s[18:19]
.LBB297_171:                            ;   in Loop: Header=BB297_147 Depth=1
	s_or_b64 exec, exec, s[16:17]
.LBB297_172:                            ;   in Loop: Header=BB297_147 Depth=1
	s_or_b64 exec, exec, s[0:1]
	v_mov_b32_e32 v10, v21
	v_cmp_ne_u16_sdwa s[16:17], v21, v11 src0_sel:BYTE_0 src1_sel:DWORD
	v_mov_b32_e32 v30, 0
	v_mov_b32_e32 v29, 0
	s_and_saveexec_b64 s[0:1], s[16:17]
	s_cbranch_execz .LBB297_178
; %bb.173:                              ;   in Loop: Header=BB297_147 Depth=1
	v_cmp_ne_u16_sdwa s[18:19], v21, s26 src0_sel:BYTE_0 src1_sel:DWORD
	v_bfrev_b32_e32 v29, 1
	s_and_saveexec_b64 s[16:17], s[18:19]
	s_cbranch_execz .LBB297_177
; %bb.174:                              ;   in Loop: Header=BB297_147 Depth=1
	v_and_b32_e32 v28, 0x7f, v21
	v_cmp_ne_u32_e32 vcc, s27, v28
	v_mov_b32_e32 v29, 0x7fc02000
	s_and_saveexec_b64 s[18:19], vcc
	s_cbranch_execz .LBB297_176
; %bb.175:                              ;   in Loop: Header=BB297_147 Depth=1
	v_and_b32_e32 v29, 7, v21
	v_ffbh_u32_e32 v29, v29
	v_min_u32_e32 v29, 32, v29
	v_subrev_u32_e32 v32, 28, v29
	v_cmp_gt_u32_e32 vcc, 8, v28
	v_lshrrev_b32_e32 v31, 3, v28
	v_cndmask_b32_e32 v28, 0, v32, vcc
	v_sub_u32_e32 v33, 29, v29
	v_lshlrev_b64 v[28:29], v28, v[10:11]
	v_cndmask_b32_e32 v29, v31, v33, vcc
	v_lshlrev_b32_e32 v31, 8, v21
	v_lshl_add_u32 v29, v29, 10, v27
	v_lshlrev_b32_e32 v28, 7, v28
	v_and_or_b32 v29, v31, s34, v29
	v_and_or_b32 v28, v28, s36, v29
	v_cvt_f32_f16_e32 v29, v28
.LBB297_176:                            ;   in Loop: Header=BB297_147 Depth=1
	s_or_b64 exec, exec, s[18:19]
.LBB297_177:                            ;   in Loop: Header=BB297_147 Depth=1
	s_or_b64 exec, exec, s[16:17]
.LBB297_178:                            ;   in Loop: Header=BB297_147 Depth=1
	s_or_b64 exec, exec, s[0:1]
	v_lshrrev_b16_e32 v10, 8, v10
	v_cmp_ne_u16_e32 vcc, 0, v10
	s_and_saveexec_b64 s[0:1], vcc
	s_cbranch_execz .LBB297_184
; %bb.179:                              ;   in Loop: Header=BB297_147 Depth=1
	v_cmp_ne_u16_e32 vcc, s26, v10
	v_bfrev_b32_e32 v30, 1
	s_and_saveexec_b64 s[16:17], vcc
	s_cbranch_execz .LBB297_183
; %bb.180:                              ;   in Loop: Header=BB297_147 Depth=1
	v_and_b32_e32 v28, 0x7f, v10
	v_cmp_ne_u32_e32 vcc, s27, v28
	v_mov_b32_e32 v30, 0x7fc02000
	s_and_saveexec_b64 s[18:19], vcc
	s_cbranch_execz .LBB297_182
; %bb.181:                              ;   in Loop: Header=BB297_147 Depth=1
	v_and_b32_e32 v32, 7, v10
	v_ffbh_u32_e32 v30, v32
	v_min_u32_e32 v37, 32, v30
	v_subrev_u32_e32 v30, 28, v37
	v_lshlrev_b64 v[30:31], v30, v[10:11]
	v_lshrrev_b32_e32 v33, 3, v28
	v_sub_u32_e32 v31, 29, v37
	v_cmp_gt_u32_e32 vcc, 8, v28
	v_cndmask_b32_e32 v28, v33, v31, vcc
	v_and_b32_e32 v30, 7, v30
	v_lshlrev_b32_e32 v10, 8, v10
	v_lshl_add_u32 v28, v28, 10, v27
	v_cndmask_b32_e32 v30, v32, v30, vcc
	v_and_or_b32 v10, v10, s34, v28
	v_lshl_or_b32 v10, v30, 7, v10
	v_cvt_f32_f16_e32 v30, v10
.LBB297_182:                            ;   in Loop: Header=BB297_147 Depth=1
	s_or_b64 exec, exec, s[18:19]
.LBB297_183:                            ;   in Loop: Header=BB297_147 Depth=1
	s_or_b64 exec, exec, s[16:17]
.LBB297_184:                            ;   in Loop: Header=BB297_147 Depth=1
	s_or_b64 exec, exec, s[0:1]
	v_lshrrev_b32_e32 v10, 16, v21
	v_cmp_ne_u16_sdwa s[16:17], v10, v11 src0_sel:BYTE_0 src1_sel:DWORD
	v_mov_b32_e32 v31, 0
	v_mov_b32_e32 v32, 0
	s_and_saveexec_b64 s[0:1], s[16:17]
	s_cbranch_execz .LBB297_190
; %bb.185:                              ;   in Loop: Header=BB297_147 Depth=1
	v_cmp_ne_u16_sdwa s[18:19], v10, s26 src0_sel:BYTE_0 src1_sel:DWORD
	v_bfrev_b32_e32 v32, 1
	s_and_saveexec_b64 s[16:17], s[18:19]
	s_cbranch_execz .LBB297_189
; %bb.186:                              ;   in Loop: Header=BB297_147 Depth=1
	v_bfe_u32 v28, v21, 16, 7
	v_cmp_ne_u32_e32 vcc, s27, v28
	v_mov_b32_e32 v32, 0x7fc02000
	s_and_saveexec_b64 s[18:19], vcc
	s_cbranch_execz .LBB297_188
; %bb.187:                              ;   in Loop: Header=BB297_147 Depth=1
	v_and_b32_e32 v37, 7, v10
	v_ffbh_u32_e32 v32, v37
	v_min_u32_e32 v44, 32, v32
	v_subrev_u32_e32 v32, 28, v44
	v_lshlrev_b64 v[32:33], v32, v[10:11]
	v_lshrrev_b32_e32 v43, 3, v28
	v_sub_u32_e32 v33, 29, v44
	v_cmp_gt_u32_e32 vcc, 8, v28
	v_cndmask_b32_e32 v28, v43, v33, vcc
	v_and_b32_e32 v32, 7, v32
	v_lshlrev_b32_e32 v10, 8, v10
	v_lshl_add_u32 v28, v28, 10, v27
	v_cndmask_b32_e32 v32, v37, v32, vcc
	v_and_or_b32 v10, v10, s34, v28
	v_lshl_or_b32 v10, v32, 7, v10
	v_cvt_f32_f16_e32 v32, v10
.LBB297_188:                            ;   in Loop: Header=BB297_147 Depth=1
	s_or_b64 exec, exec, s[18:19]
.LBB297_189:                            ;   in Loop: Header=BB297_147 Depth=1
	s_or_b64 exec, exec, s[16:17]
.LBB297_190:                            ;   in Loop: Header=BB297_147 Depth=1
	s_or_b64 exec, exec, s[0:1]
	v_cmp_lt_u64_e32 vcc, s[6:7], v[20:21]
	s_and_saveexec_b64 s[0:1], vcc
	s_cbranch_execz .LBB297_196
; %bb.191:                              ;   in Loop: Header=BB297_147 Depth=1
	v_lshrrev_b32_e32 v10, 24, v21
	v_cmp_ne_u32_e32 vcc, s26, v10
	v_bfrev_b32_e32 v31, 1
	s_and_saveexec_b64 s[16:17], vcc
	s_cbranch_execz .LBB297_195
; %bb.192:                              ;   in Loop: Header=BB297_147 Depth=1
	v_and_b32_e32 v20, 0x7f, v10
	v_cmp_ne_u32_e32 vcc, s27, v20
	v_mov_b32_e32 v31, 0x7fc02000
	s_and_saveexec_b64 s[18:19], vcc
	s_cbranch_execz .LBB297_194
; %bb.193:                              ;   in Loop: Header=BB297_147 Depth=1
	v_and_b32_e32 v21, 7, v10
	v_ffbh_u32_e32 v31, v21
	v_min_u32_e32 v31, 32, v31
	v_lshrrev_b32_e32 v28, 3, v20
	v_subrev_u32_e32 v33, 28, v31
	v_sub_u32_e32 v31, 29, v31
	v_cmp_gt_u32_e32 vcc, 8, v20
	v_lshlrev_b64 v[44:45], v33, v[10:11]
	v_cndmask_b32_e32 v20, v28, v31, vcc
	v_and_b32_e32 v33, 7, v44
	v_lshlrev_b32_e32 v10, 8, v10
	v_lshl_add_u32 v20, v20, 10, v27
	v_cndmask_b32_e32 v21, v21, v33, vcc
	v_and_or_b32 v10, v10, s34, v20
	v_lshl_or_b32 v10, v21, 7, v10
	v_cvt_f32_f16_e32 v31, v10
.LBB297_194:                            ;   in Loop: Header=BB297_147 Depth=1
	s_or_b64 exec, exec, s[18:19]
.LBB297_195:                            ;   in Loop: Header=BB297_147 Depth=1
	s_or_b64 exec, exec, s[16:17]
.LBB297_196:                            ;   in Loop: Header=BB297_147 Depth=1
	s_or_b64 exec, exec, s[0:1]
	s_waitcnt vmcnt(0)
	v_pk_mul_f32 v[18:19], v[14:15], v[18:19] op_sel_hi:[0,1]
	v_pk_mul_f32 v[16:17], v[14:15], v[16:17] op_sel_hi:[0,1]
	v_cvt_f16_f32_e32 v10, v19
	v_cvt_f16_f32_e32 v18, v18
	;; [unrolled: 1-line block ×4, first 2 shown]
	v_add_u32_e32 v28, v25, v1
	v_pack_b32_f16 v18, v18, v10
	v_cmp_eq_u32_e32 vcc, s24, v2
	v_pack_b32_f16 v16, v16, v17
	v_fma_mixlo_f16 v17, v14, v30, 0
	v_perm_b32 v10, v16, v18, s37
	v_perm_b32 v16, v16, v18, s38
	v_lshlrev_b32_e32 v17, 16, v17
	v_fma_mixlo_f16 v18, v14, v29, 0
	v_or_b32_sdwa v17, v17, v18 dst_sel:DWORD dst_unused:UNUSED_PAD src0_sel:DWORD src1_sel:WORD_0
	v_fma_mixlo_f16 v18, v14, v32, 0
	v_fma_mixlo_f16 v14, v14, v31, 0
	v_lshlrev_b32_e32 v14, 16, v14
	v_or_b32_sdwa v14, v14, v18 dst_sel:DWORD dst_unused:UNUSED_PAD src0_sel:DWORD src1_sel:WORD_0
	v_add_u32_e32 v33, 1, v28
	v_or_b32_e32 v32, 3, v28
	v_or_b32_e32 v31, 2, v28
	;; [unrolled: 1-line block ×6, first 2 shown]
	s_and_saveexec_b64 s[16:17], vcc
	s_cbranch_execz .LBB297_198
; %bb.197:                              ;   in Loop: Header=BB297_147 Depth=1
	v_lshrrev_b32_e32 v19, 16, v16
	v_cmp_gt_i32_e64 s[0:1], s25, v33
	v_cndmask_b32_e64 v19, 0, v19, s[0:1]
	v_cmp_gt_i32_e64 s[0:1], s33, v28
	v_cndmask_b32_e64 v16, 0, v16, s[0:1]
	v_perm_b32 v16, v19, v16, s39
	v_lshrrev_b32_e32 v19, 16, v10
	v_cmp_gt_i32_e64 s[0:1], s25, v32
	v_cndmask_b32_e64 v19, 0, v19, s[0:1]
	v_cmp_gt_i32_e64 s[0:1], s33, v31
	v_cndmask_b32_e64 v10, 0, v10, s[0:1]
	v_perm_b32 v10, v19, v10, s39
	v_lshrrev_b32_e32 v19, 16, v17
	v_cmp_gt_i32_e64 s[0:1], s25, v30
	v_cndmask_b32_e64 v19, 0, v19, s[0:1]
	v_cmp_gt_i32_e64 s[0:1], s33, v29
	v_cndmask_b32_e64 v17, 0, v17, s[0:1]
	v_lshrrev_b32_e32 v14, 16, v14
	v_cmp_gt_i32_e64 s[0:1], s25, v21
	v_cndmask_b32_e64 v14, 0, v14, s[0:1]
	v_cmp_gt_i32_e64 s[0:1], s33, v20
	v_cndmask_b32_e64 v18, 0, v18, s[0:1]
	v_perm_b32 v17, v19, v17, s39
	v_perm_b32 v14, v14, v18, s39
.LBB297_198:                            ;   in Loop: Header=BB297_147 Depth=1
	s_or_b64 exec, exec, s[16:17]
	v_and_b32_e32 v18, 0xffff, v34
	v_lshl_or_b32 v37, v35, 16, v18
	v_and_b32_e32 v18, 0xffff, v36
	v_lshl_or_b32 v36, v38, 16, v18
	;; [unrolled: 2-line block ×3, first 2 shown]
	v_and_b32_e32 v18, 0xffff, v41
	;;#ASMSTART
	v_pk_mul_f16 v16, v37, v16;

	;;#ASMEND
	;;#ASMSTART
	v_pk_mul_f16 v10, v36, v10;

	;;#ASMEND
	v_lshl_or_b32 v34, v42, 16, v18
	;;#ASMSTART
	v_pk_mul_f16 v17, v35, v17;

	;;#ASMEND
	;;#ASMSTART
	v_pk_mul_f16 v14, v34, v14;

	;;#ASMEND
	;;#ASMSTART
	v_pk_add_f16 v10, v16, v10;

	;;#ASMEND
	;;#ASMSTART
	v_pk_add_f16 v10, v10, v17;
	;; [unrolled: 4-line block ×3, first 2 shown]

	;;#ASMEND
	v_lshrrev_b32_e32 v14, 16, v10
	v_and_b32_e32 v10, 0xffff, v10
	;;#ASMSTART
	v_cvt_f32_f16 v38, v10;
	;;#ASMEND
	;;#ASMSTART
	v_cvt_f32_f16 v39, v14;
	;;#ASMEND
	global_load_dwordx2 v[18:19], v[12:13], off offset:512
	global_load_dword v14, v11, s[14:15]
	v_mov_b32_e32 v16, 0
	v_mov_b32_e32 v12, 0
	s_waitcnt vmcnt(1)
	v_cmp_ne_u16_sdwa s[0:1], v18, v11 src0_sel:BYTE_0 src1_sel:DWORD
	s_and_saveexec_b64 s[16:17], s[0:1]
	s_cbranch_execz .LBB297_204
; %bb.199:                              ;   in Loop: Header=BB297_147 Depth=1
	v_cmp_ne_u16_sdwa s[0:1], v18, s26 src0_sel:BYTE_0 src1_sel:DWORD
	v_bfrev_b32_e32 v12, 1
	s_and_saveexec_b64 s[18:19], s[0:1]
	s_cbranch_execz .LBB297_203
; %bb.200:                              ;   in Loop: Header=BB297_147 Depth=1
	v_and_b32_e32 v10, 0x7f, v18
	v_cmp_ne_u32_e64 s[0:1], s27, v10
	v_mov_b32_e32 v12, 0x7fc02000
	s_and_saveexec_b64 s[20:21], s[0:1]
	s_cbranch_execz .LBB297_202
; %bb.201:                              ;   in Loop: Header=BB297_147 Depth=1
	v_and_b32_e32 v12, 7, v18
	v_ffbh_u32_e32 v12, v12
	v_min_u32_e32 v12, 32, v12
	v_subrev_u32_e32 v13, 28, v12
	v_cmp_gt_u32_e64 s[0:1], 8, v10
	v_lshrrev_b32_e32 v17, 3, v10
	v_sub_u32_e32 v40, 29, v12
	v_cndmask_b32_e64 v10, 0, v13, s[0:1]
	v_lshlrev_b64 v[12:13], v10, v[18:19]
	v_cndmask_b32_e64 v10, v17, v40, s[0:1]
	v_lshlrev_b32_e32 v13, 8, v18
	v_lshl_add_u32 v10, v10, 10, v27
	v_lshlrev_b32_e32 v12, 7, v12
	v_and_or_b32 v10, v13, s34, v10
	v_and_or_b32 v10, v12, s36, v10
	v_cvt_f32_f16_e32 v12, v10
.LBB297_202:                            ;   in Loop: Header=BB297_147 Depth=1
	s_or_b64 exec, exec, s[20:21]
.LBB297_203:                            ;   in Loop: Header=BB297_147 Depth=1
	s_or_b64 exec, exec, s[18:19]
.LBB297_204:                            ;   in Loop: Header=BB297_147 Depth=1
	s_or_b64 exec, exec, s[16:17]
	v_lshrrev_b16_e32 v10, 8, v18
	v_cmp_ne_u16_e64 s[0:1], 0, v10
	s_and_saveexec_b64 s[16:17], s[0:1]
	s_cbranch_execz .LBB297_210
; %bb.205:                              ;   in Loop: Header=BB297_147 Depth=1
	v_cmp_ne_u16_e64 s[0:1], s26, v10
	v_bfrev_b32_e32 v16, 1
	s_and_saveexec_b64 s[18:19], s[0:1]
	s_cbranch_execz .LBB297_209
; %bb.206:                              ;   in Loop: Header=BB297_147 Depth=1
	v_and_b32_e32 v13, 0x7f, v10
	v_cmp_ne_u32_e64 s[0:1], s27, v13
	v_mov_b32_e32 v16, 0x7fc02000
	s_and_saveexec_b64 s[20:21], s[0:1]
	s_cbranch_execz .LBB297_208
; %bb.207:                              ;   in Loop: Header=BB297_147 Depth=1
	v_and_b32_e32 v40, 7, v10
	v_ffbh_u32_e32 v16, v40
	v_min_u32_e32 v42, 32, v16
	v_subrev_u32_e32 v16, 28, v42
	v_lshlrev_b64 v[16:17], v16, v[10:11]
	v_lshrrev_b32_e32 v41, 3, v13
	v_sub_u32_e32 v17, 29, v42
	v_cmp_gt_u32_e64 s[0:1], 8, v13
	v_cndmask_b32_e64 v13, v41, v17, s[0:1]
	v_and_b32_e32 v16, 7, v16
	v_lshlrev_b32_e32 v10, 8, v10
	v_lshl_add_u32 v13, v13, 10, v27
	v_cndmask_b32_e64 v16, v40, v16, s[0:1]
	v_and_or_b32 v10, v10, s34, v13
	v_lshl_or_b32 v10, v16, 7, v10
	v_cvt_f32_f16_e32 v16, v10
.LBB297_208:                            ;   in Loop: Header=BB297_147 Depth=1
	s_or_b64 exec, exec, s[20:21]
.LBB297_209:                            ;   in Loop: Header=BB297_147 Depth=1
	s_or_b64 exec, exec, s[18:19]
.LBB297_210:                            ;   in Loop: Header=BB297_147 Depth=1
	s_or_b64 exec, exec, s[16:17]
	v_lshrrev_b32_e32 v10, 16, v18
	v_cmp_ne_u16_sdwa s[0:1], v10, v11 src0_sel:BYTE_0 src1_sel:DWORD
	v_mov_b32_e32 v17, 0
	v_mov_b32_e32 v13, 0
	s_and_saveexec_b64 s[16:17], s[0:1]
	s_cbranch_execz .LBB297_216
; %bb.211:                              ;   in Loop: Header=BB297_147 Depth=1
	v_cmp_ne_u16_sdwa s[0:1], v10, s26 src0_sel:BYTE_0 src1_sel:DWORD
	v_bfrev_b32_e32 v13, 1
	s_and_saveexec_b64 s[18:19], s[0:1]
	s_cbranch_execz .LBB297_215
; %bb.212:                              ;   in Loop: Header=BB297_147 Depth=1
	v_bfe_u32 v40, v18, 16, 7
	v_cmp_ne_u32_e64 s[0:1], s27, v40
	v_mov_b32_e32 v13, 0x7fc02000
	s_and_saveexec_b64 s[20:21], s[0:1]
	s_cbranch_execz .LBB297_214
; %bb.213:                              ;   in Loop: Header=BB297_147 Depth=1
	v_and_b32_e32 v13, 7, v10
	v_ffbh_u32_e32 v42, v13
	v_min_u32_e32 v44, 32, v42
	v_subrev_u32_e32 v42, 28, v44
	v_lshlrev_b64 v[42:43], v42, v[10:11]
	v_lshrrev_b32_e32 v41, 3, v40
	v_sub_u32_e32 v43, 29, v44
	v_cmp_gt_u32_e64 s[0:1], 8, v40
	v_cndmask_b32_e64 v40, v41, v43, s[0:1]
	v_and_b32_e32 v42, 7, v42
	v_lshlrev_b32_e32 v10, 8, v10
	v_lshl_add_u32 v40, v40, 10, v27
	v_cndmask_b32_e64 v13, v13, v42, s[0:1]
	v_and_or_b32 v10, v10, s34, v40
	v_lshl_or_b32 v10, v13, 7, v10
	v_cvt_f32_f16_e32 v13, v10
.LBB297_214:                            ;   in Loop: Header=BB297_147 Depth=1
	s_or_b64 exec, exec, s[20:21]
.LBB297_215:                            ;   in Loop: Header=BB297_147 Depth=1
	s_or_b64 exec, exec, s[18:19]
.LBB297_216:                            ;   in Loop: Header=BB297_147 Depth=1
	s_or_b64 exec, exec, s[16:17]
	v_cmp_lt_u32_e64 s[0:1], s7, v18
	s_and_saveexec_b64 s[16:17], s[0:1]
	s_cbranch_execz .LBB297_222
; %bb.217:                              ;   in Loop: Header=BB297_147 Depth=1
	v_lshrrev_b32_e32 v10, 24, v18
	v_cmp_ne_u32_e64 s[0:1], s26, v10
	v_bfrev_b32_e32 v17, 1
	s_and_saveexec_b64 s[18:19], s[0:1]
	s_cbranch_execz .LBB297_221
; %bb.218:                              ;   in Loop: Header=BB297_147 Depth=1
	v_and_b32_e32 v40, 0x7f, v10
	v_cmp_ne_u32_e64 s[0:1], s27, v40
	v_mov_b32_e32 v17, 0x7fc02000
	s_and_saveexec_b64 s[20:21], s[0:1]
	s_cbranch_execz .LBB297_220
; %bb.219:                              ;   in Loop: Header=BB297_147 Depth=1
	v_and_b32_e32 v17, 7, v10
	v_ffbh_u32_e32 v42, v17
	v_min_u32_e32 v44, 32, v42
	v_subrev_u32_e32 v42, 28, v44
	v_lshlrev_b64 v[42:43], v42, v[10:11]
	v_lshrrev_b32_e32 v41, 3, v40
	v_sub_u32_e32 v43, 29, v44
	v_cmp_gt_u32_e64 s[0:1], 8, v40
	v_cndmask_b32_e64 v40, v41, v43, s[0:1]
	v_and_b32_e32 v42, 7, v42
	v_lshlrev_b32_e32 v10, 8, v10
	v_lshl_add_u32 v40, v40, 10, v27
	v_cndmask_b32_e64 v17, v17, v42, s[0:1]
	v_and_or_b32 v10, v10, s34, v40
	v_lshl_or_b32 v10, v17, 7, v10
	v_cvt_f32_f16_e32 v17, v10
.LBB297_220:                            ;   in Loop: Header=BB297_147 Depth=1
	s_or_b64 exec, exec, s[20:21]
.LBB297_221:                            ;   in Loop: Header=BB297_147 Depth=1
	s_or_b64 exec, exec, s[18:19]
.LBB297_222:                            ;   in Loop: Header=BB297_147 Depth=1
	s_or_b64 exec, exec, s[16:17]
	v_mov_b32_e32 v10, v19
	v_cmp_ne_u16_sdwa s[0:1], v19, v11 src0_sel:BYTE_0 src1_sel:DWORD
	v_mov_b32_e32 v41, 0
	v_mov_b32_e32 v40, 0
	s_and_saveexec_b64 s[16:17], s[0:1]
	s_cbranch_execz .LBB297_228
; %bb.223:                              ;   in Loop: Header=BB297_147 Depth=1
	v_cmp_ne_u16_sdwa s[0:1], v19, s26 src0_sel:BYTE_0 src1_sel:DWORD
	v_bfrev_b32_e32 v40, 1
	s_and_saveexec_b64 s[18:19], s[0:1]
	s_cbranch_execz .LBB297_227
; %bb.224:                              ;   in Loop: Header=BB297_147 Depth=1
	v_and_b32_e32 v42, 0x7f, v19
	v_cmp_ne_u32_e64 s[0:1], s27, v42
	v_mov_b32_e32 v40, 0x7fc02000
	s_and_saveexec_b64 s[20:21], s[0:1]
	s_cbranch_execz .LBB297_226
; %bb.225:                              ;   in Loop: Header=BB297_147 Depth=1
	v_and_b32_e32 v40, 7, v19
	v_ffbh_u32_e32 v40, v40
	v_min_u32_e32 v40, 32, v40
	v_subrev_u32_e32 v43, 28, v40
	v_cmp_gt_u32_e64 s[0:1], 8, v42
	v_lshrrev_b32_e32 v44, 3, v42
	v_sub_u32_e32 v40, 29, v40
	v_cndmask_b32_e64 v42, 0, v43, s[0:1]
	v_lshlrev_b64 v[42:43], v42, v[10:11]
	v_cndmask_b32_e64 v40, v44, v40, s[0:1]
	v_lshlrev_b32_e32 v43, 8, v19
	v_lshl_add_u32 v40, v40, 10, v27
	v_lshlrev_b32_e32 v42, 7, v42
	v_and_or_b32 v40, v43, s34, v40
	v_and_or_b32 v40, v42, s36, v40
	v_cvt_f32_f16_e32 v40, v40
.LBB297_226:                            ;   in Loop: Header=BB297_147 Depth=1
	s_or_b64 exec, exec, s[20:21]
.LBB297_227:                            ;   in Loop: Header=BB297_147 Depth=1
	s_or_b64 exec, exec, s[18:19]
.LBB297_228:                            ;   in Loop: Header=BB297_147 Depth=1
	s_or_b64 exec, exec, s[16:17]
	v_lshrrev_b16_e32 v10, 8, v10
	v_cmp_ne_u16_e64 s[0:1], 0, v10
	s_and_saveexec_b64 s[16:17], s[0:1]
	s_cbranch_execz .LBB297_234
; %bb.229:                              ;   in Loop: Header=BB297_147 Depth=1
	v_cmp_ne_u16_e64 s[0:1], s26, v10
	v_bfrev_b32_e32 v41, 1
	s_and_saveexec_b64 s[18:19], s[0:1]
	s_cbranch_execz .LBB297_233
; %bb.230:                              ;   in Loop: Header=BB297_147 Depth=1
	v_and_b32_e32 v42, 0x7f, v10
	v_cmp_ne_u32_e64 s[0:1], s27, v42
	v_mov_b32_e32 v41, 0x7fc02000
	s_and_saveexec_b64 s[20:21], s[0:1]
	s_cbranch_execz .LBB297_232
; %bb.231:                              ;   in Loop: Header=BB297_147 Depth=1
	v_and_b32_e32 v41, 7, v10
	v_ffbh_u32_e32 v44, v41
	v_min_u32_e32 v46, 32, v44
	v_subrev_u32_e32 v44, 28, v46
	v_lshlrev_b64 v[44:45], v44, v[10:11]
	v_lshrrev_b32_e32 v43, 3, v42
	v_sub_u32_e32 v45, 29, v46
	v_cmp_gt_u32_e64 s[0:1], 8, v42
	v_cndmask_b32_e64 v42, v43, v45, s[0:1]
	v_and_b32_e32 v44, 7, v44
	v_lshlrev_b32_e32 v10, 8, v10
	v_lshl_add_u32 v42, v42, 10, v27
	v_cndmask_b32_e64 v41, v41, v44, s[0:1]
	v_and_or_b32 v10, v10, s34, v42
	v_lshl_or_b32 v10, v41, 7, v10
	v_cvt_f32_f16_e32 v41, v10
.LBB297_232:                            ;   in Loop: Header=BB297_147 Depth=1
	s_or_b64 exec, exec, s[20:21]
.LBB297_233:                            ;   in Loop: Header=BB297_147 Depth=1
	s_or_b64 exec, exec, s[18:19]
.LBB297_234:                            ;   in Loop: Header=BB297_147 Depth=1
	s_or_b64 exec, exec, s[16:17]
	v_lshrrev_b32_e32 v10, 16, v19
	v_cmp_ne_u16_sdwa s[0:1], v10, v11 src0_sel:BYTE_0 src1_sel:DWORD
	v_mov_b32_e32 v42, 0
	v_mov_b32_e32 v43, 0
	s_and_saveexec_b64 s[16:17], s[0:1]
	s_cbranch_execz .LBB297_240
; %bb.235:                              ;   in Loop: Header=BB297_147 Depth=1
	v_cmp_ne_u16_sdwa s[0:1], v10, s26 src0_sel:BYTE_0 src1_sel:DWORD
	v_bfrev_b32_e32 v43, 1
	s_and_saveexec_b64 s[18:19], s[0:1]
	s_cbranch_execz .LBB297_239
; %bb.236:                              ;   in Loop: Header=BB297_147 Depth=1
	v_bfe_u32 v44, v19, 16, 7
	v_cmp_ne_u32_e64 s[0:1], s27, v44
	v_mov_b32_e32 v43, 0x7fc02000
	s_and_saveexec_b64 s[20:21], s[0:1]
	s_cbranch_execz .LBB297_238
; %bb.237:                              ;   in Loop: Header=BB297_147 Depth=1
	v_and_b32_e32 v43, 7, v10
	v_ffbh_u32_e32 v46, v43
	v_min_u32_e32 v48, 32, v46
	v_subrev_u32_e32 v46, 28, v48
	v_lshlrev_b64 v[46:47], v46, v[10:11]
	v_lshrrev_b32_e32 v45, 3, v44
	v_sub_u32_e32 v47, 29, v48
	v_cmp_gt_u32_e64 s[0:1], 8, v44
	v_cndmask_b32_e64 v44, v45, v47, s[0:1]
	v_and_b32_e32 v46, 7, v46
	v_lshlrev_b32_e32 v10, 8, v10
	v_lshl_add_u32 v44, v44, 10, v27
	v_cndmask_b32_e64 v43, v43, v46, s[0:1]
	v_and_or_b32 v10, v10, s34, v44
	v_lshl_or_b32 v10, v43, 7, v10
	v_cvt_f32_f16_e32 v43, v10
.LBB297_238:                            ;   in Loop: Header=BB297_147 Depth=1
	s_or_b64 exec, exec, s[20:21]
.LBB297_239:                            ;   in Loop: Header=BB297_147 Depth=1
	s_or_b64 exec, exec, s[18:19]
.LBB297_240:                            ;   in Loop: Header=BB297_147 Depth=1
	s_or_b64 exec, exec, s[16:17]
	v_cmp_lt_u64_e64 s[0:1], s[6:7], v[18:19]
	s_and_saveexec_b64 s[16:17], s[0:1]
	s_cbranch_execz .LBB297_246
; %bb.241:                              ;   in Loop: Header=BB297_147 Depth=1
	v_lshrrev_b32_e32 v10, 24, v19
	v_cmp_ne_u32_e64 s[0:1], s26, v10
	v_bfrev_b32_e32 v42, 1
	s_and_saveexec_b64 s[18:19], s[0:1]
	s_cbranch_execz .LBB297_245
; %bb.242:                              ;   in Loop: Header=BB297_147 Depth=1
	v_and_b32_e32 v18, 0x7f, v10
	v_cmp_ne_u32_e64 s[0:1], s27, v18
	v_mov_b32_e32 v42, 0x7fc02000
	s_and_saveexec_b64 s[20:21], s[0:1]
	s_cbranch_execz .LBB297_244
; %bb.243:                              ;   in Loop: Header=BB297_147 Depth=1
	v_and_b32_e32 v19, 7, v10
	v_ffbh_u32_e32 v44, v19
	v_min_u32_e32 v46, 32, v44
	v_subrev_u32_e32 v44, 28, v46
	v_lshlrev_b64 v[44:45], v44, v[10:11]
	v_lshrrev_b32_e32 v42, 3, v18
	v_sub_u32_e32 v45, 29, v46
	v_cmp_gt_u32_e64 s[0:1], 8, v18
	v_cndmask_b32_e64 v18, v42, v45, s[0:1]
	v_and_b32_e32 v44, 7, v44
	v_lshlrev_b32_e32 v10, 8, v10
	v_lshl_add_u32 v18, v18, 10, v27
	v_cndmask_b32_e64 v19, v19, v44, s[0:1]
	v_and_or_b32 v10, v10, s34, v18
	v_lshl_or_b32 v10, v19, 7, v10
	v_cvt_f32_f16_e32 v42, v10
.LBB297_244:                            ;   in Loop: Header=BB297_147 Depth=1
	s_or_b64 exec, exec, s[20:21]
.LBB297_245:                            ;   in Loop: Header=BB297_147 Depth=1
	s_or_b64 exec, exec, s[18:19]
.LBB297_246:                            ;   in Loop: Header=BB297_147 Depth=1
	s_or_b64 exec, exec, s[16:17]
	s_waitcnt vmcnt(0)
	v_pk_mul_f32 v[16:17], v[14:15], v[16:17] op_sel_hi:[0,1]
	v_pk_mul_f32 v[12:13], v[14:15], v[12:13] op_sel_hi:[0,1]
	v_cvt_f16_f32_e32 v10, v17
	v_cvt_f16_f32_e32 v16, v16
	;; [unrolled: 1-line block ×4, first 2 shown]
	v_pack_b32_f16 v16, v16, v10
	v_pack_b32_f16 v12, v12, v13
	v_perm_b32 v10, v12, v16, s37
	v_perm_b32 v13, v12, v16, s38
	v_fma_mixlo_f16 v12, v14, v41, 0
	v_lshlrev_b32_e32 v12, 16, v12
	v_fma_mixlo_f16 v16, v14, v40, 0
	v_or_b32_sdwa v12, v12, v16 dst_sel:DWORD dst_unused:UNUSED_PAD src0_sel:DWORD src1_sel:WORD_0
	v_fma_mixlo_f16 v16, v14, v43, 0
	v_fma_mixlo_f16 v14, v14, v42, 0
	v_lshlrev_b32_e32 v14, 16, v14
	v_or_b32_sdwa v14, v14, v16 dst_sel:DWORD dst_unused:UNUSED_PAD src0_sel:DWORD src1_sel:WORD_0
	s_and_saveexec_b64 s[0:1], vcc
	s_cbranch_execz .LBB297_145
; %bb.247:                              ;   in Loop: Header=BB297_147 Depth=1
	v_lshrrev_b32_e32 v17, 16, v13
	v_cmp_gt_i32_e32 vcc, s25, v33
	v_cndmask_b32_e32 v17, 0, v17, vcc
	v_cmp_gt_i32_e32 vcc, s33, v28
	v_cndmask_b32_e32 v13, 0, v13, vcc
	v_perm_b32 v13, v17, v13, s39
	v_lshrrev_b32_e32 v17, 16, v10
	v_cmp_gt_i32_e32 vcc, s25, v32
	v_cndmask_b32_e32 v17, 0, v17, vcc
	v_cmp_gt_i32_e32 vcc, s33, v31
	v_cndmask_b32_e32 v10, 0, v10, vcc
	v_perm_b32 v10, v17, v10, s39
	v_lshrrev_b32_e32 v17, 16, v12
	v_cmp_gt_i32_e32 vcc, s25, v30
	v_cndmask_b32_e32 v17, 0, v17, vcc
	v_cmp_gt_i32_e32 vcc, s33, v29
	v_cndmask_b32_e32 v12, 0, v12, vcc
	v_lshrrev_b32_e32 v14, 16, v14
	v_cmp_gt_i32_e32 vcc, s25, v21
	v_cndmask_b32_e32 v14, 0, v14, vcc
	v_cmp_gt_i32_e32 vcc, s33, v20
	v_cndmask_b32_e32 v16, 0, v16, vcc
	v_perm_b32 v12, v17, v12, s39
	v_perm_b32 v14, v14, v16, s39
	s_branch .LBB297_145
.LBB297_248:
	s_or_b64 exec, exec, s[10:11]
.LBB297_249:
	s_or_b64 exec, exec, s[4:5]
	ds_bpermute_b32 v2, v22, v4
	ds_bpermute_b32 v3, v22, v5
	v_and_b32_e32 v1, 0x3c3, v0
	v_cmp_eq_u32_e32 vcc, 64, v1
	s_waitcnt lgkmcnt(0)
	s_barrier
	v_pk_add_f32 v[2:3], v[4:5], v[2:3]
	ds_bpermute_b32 v4, v23, v2
	ds_bpermute_b32 v5, v23, v3
	s_waitcnt lgkmcnt(0)
	v_pk_add_f32 v[2:3], v[2:3], v[4:5]
	s_and_saveexec_b64 s[0:1], vcc
	s_cbranch_execz .LBB297_251
; %bb.250:
	v_add_u32_e32 v5, 0x50, v15
	v_add_u32_e32 v4, 0x50, v0
	ds_write_b32 v5, v2
	ds_write_b32 v4, v3
.LBB297_251:
	s_or_b64 exec, exec, s[0:1]
	v_cmp_gt_u32_e32 vcc, 64, v0
	s_waitcnt lgkmcnt(0)
	s_barrier
	s_and_saveexec_b64 s[0:1], vcc
	s_cbranch_execz .LBB297_257
; %bb.252:
	v_cmp_eq_u32_e32 vcc, 0, v24
	v_lshrrev_b32_e32 v4, 2, v0
	s_and_saveexec_b64 s[4:5], vcc
	s_cbranch_execz .LBB297_254
; %bb.253:
	v_mov_b32_e32 v5, 0x50
	v_lshl_add_u32 v5, v4, 2, v5
	ds_read_b32 v5, v5
	s_waitcnt lgkmcnt(0)
	v_add_f32_e32 v2, v2, v5
.LBB297_254:
	s_or_b64 exec, exec, s[4:5]
	s_and_saveexec_b64 s[4:5], vcc
	s_cbranch_execz .LBB297_256
; %bb.255:
	v_mov_b32_e32 v5, 0x50
	v_lshl_add_u32 v4, v4, 2, v5
	ds_read_b32 v4, v4 offset:64
	s_waitcnt lgkmcnt(0)
	v_add_f32_e32 v3, v3, v4
.LBB297_256:
	s_or_b64 exec, exec, s[4:5]
.LBB297_257:
	s_or_b64 exec, exec, s[0:1]
	v_cmp_eq_u32_e32 vcc, 0, v1
	s_barrier
	s_and_saveexec_b64 s[0:1], vcc
	s_cbranch_execz .LBB297_259
; %bb.258:
	s_lshl_b32 s0, s2, 5
	s_ashr_i32 s1, s0, 31
	s_lshl_b64 s[0:1], s[0:1], 1
	s_add_u32 s2, s30, s0
	s_mul_i32 s0, s23, s28
	s_addc_u32 s3, s31, s1
	s_ashr_i32 s1, s0, 31
	s_lshl_b64 s[0:1], s[0:1], 1
	s_add_u32 s2, s2, s0
	s_addc_u32 s3, s3, s1
	s_lshl_b32 s0, s8, 5
	s_ashr_i32 s1, s0, 31
	s_lshl_b64 s[0:1], s[0:1], 1
	s_add_u32 s0, s2, s0
	s_addc_u32 s1, s3, s1
	v_lshrrev_b32_e32 v0, 1, v0
	;;#ASMSTART
	v_cvt_f16_f32 v1, v2;

	;;#ASMEND
	global_store_short v0, v1, s[0:1]
	;;#ASMSTART
	v_cvt_f16_f32 v1, v3;

	;;#ASMEND
	global_store_short v0, v1, s[0:1] offset:32
.LBB297_259:
	s_endpgm
	.section	.rodata,"a",@progbits
	.p2align	6, 0x0
	.amdhsa_kernel _ZN4vllm25paged_attention_v2_kernelIthLi32ELi32ELi128ELNS_18Fp8KVCacheDataTypeE1ELb1ELi512EEEvPfS2_PT_PKS3_PKT0_S9_ifPKiSB_iPKfiiiSD_SD_iiiii
		.amdhsa_group_segment_fixed_size 80
		.amdhsa_private_segment_fixed_size 0
		.amdhsa_kernarg_size 400
		.amdhsa_user_sgpr_count 6
		.amdhsa_user_sgpr_private_segment_buffer 1
		.amdhsa_user_sgpr_dispatch_ptr 0
		.amdhsa_user_sgpr_queue_ptr 0
		.amdhsa_user_sgpr_kernarg_segment_ptr 1
		.amdhsa_user_sgpr_dispatch_id 0
		.amdhsa_user_sgpr_flat_scratch_init 0
		.amdhsa_user_sgpr_kernarg_preload_length 0
		.amdhsa_user_sgpr_kernarg_preload_offset 0
		.amdhsa_user_sgpr_private_segment_size 0
		.amdhsa_uses_dynamic_stack 0
		.amdhsa_system_sgpr_private_segment_wavefront_offset 0
		.amdhsa_system_sgpr_workgroup_id_x 1
		.amdhsa_system_sgpr_workgroup_id_y 1
		.amdhsa_system_sgpr_workgroup_id_z 1
		.amdhsa_system_sgpr_workgroup_info 0
		.amdhsa_system_vgpr_workitem_id 0
		.amdhsa_next_free_vgpr 49
		.amdhsa_next_free_sgpr 64
		.amdhsa_accum_offset 52
		.amdhsa_reserve_vcc 1
		.amdhsa_reserve_flat_scratch 0
		.amdhsa_float_round_mode_32 0
		.amdhsa_float_round_mode_16_64 0
		.amdhsa_float_denorm_mode_32 3
		.amdhsa_float_denorm_mode_16_64 3
		.amdhsa_dx10_clamp 1
		.amdhsa_ieee_mode 1
		.amdhsa_fp16_overflow 0
		.amdhsa_tg_split 0
		.amdhsa_exception_fp_ieee_invalid_op 0
		.amdhsa_exception_fp_denorm_src 0
		.amdhsa_exception_fp_ieee_div_zero 0
		.amdhsa_exception_fp_ieee_overflow 0
		.amdhsa_exception_fp_ieee_underflow 0
		.amdhsa_exception_fp_ieee_inexact 0
		.amdhsa_exception_int_div_zero 0
	.end_amdhsa_kernel
	.section	.text._ZN4vllm25paged_attention_v2_kernelIthLi32ELi32ELi128ELNS_18Fp8KVCacheDataTypeE1ELb1ELi512EEEvPfS2_PT_PKS3_PKT0_S9_ifPKiSB_iPKfiiiSD_SD_iiiii,"axG",@progbits,_ZN4vllm25paged_attention_v2_kernelIthLi32ELi32ELi128ELNS_18Fp8KVCacheDataTypeE1ELb1ELi512EEEvPfS2_PT_PKS3_PKT0_S9_ifPKiSB_iPKfiiiSD_SD_iiiii,comdat
.Lfunc_end297:
	.size	_ZN4vllm25paged_attention_v2_kernelIthLi32ELi32ELi128ELNS_18Fp8KVCacheDataTypeE1ELb1ELi512EEEvPfS2_PT_PKS3_PKT0_S9_ifPKiSB_iPKfiiiSD_SD_iiiii, .Lfunc_end297-_ZN4vllm25paged_attention_v2_kernelIthLi32ELi32ELi128ELNS_18Fp8KVCacheDataTypeE1ELb1ELi512EEEvPfS2_PT_PKS3_PKT0_S9_ifPKiSB_iPKfiiiSD_SD_iiiii
                                        ; -- End function
	.section	.AMDGPU.csdata,"",@progbits
; Kernel info:
; codeLenInByte = 11260
; NumSgprs: 68
; NumVgprs: 49
; NumAgprs: 0
; TotalNumVgprs: 49
; ScratchSize: 0
; MemoryBound: 0
; FloatMode: 240
; IeeeMode: 1
; LDSByteSize: 80 bytes/workgroup (compile time only)
; SGPRBlocks: 8
; VGPRBlocks: 6
; NumSGPRsForWavesPerEU: 68
; NumVGPRsForWavesPerEU: 49
; AccumOffset: 52
; Occupancy: 8
; WaveLimiterHint : 1
; COMPUTE_PGM_RSRC2:SCRATCH_EN: 0
; COMPUTE_PGM_RSRC2:USER_SGPR: 6
; COMPUTE_PGM_RSRC2:TRAP_HANDLER: 0
; COMPUTE_PGM_RSRC2:TGID_X_EN: 1
; COMPUTE_PGM_RSRC2:TGID_Y_EN: 1
; COMPUTE_PGM_RSRC2:TGID_Z_EN: 1
; COMPUTE_PGM_RSRC2:TIDIG_COMP_CNT: 0
; COMPUTE_PGM_RSRC3_GFX90A:ACCUM_OFFSET: 12
; COMPUTE_PGM_RSRC3_GFX90A:TG_SPLIT: 0
	.section	.text._ZN4vllm25paged_attention_v2_kernelIthLi64ELi32ELi128ELNS_18Fp8KVCacheDataTypeE1ELb1ELi512EEEvPfS2_PT_PKS3_PKT0_S9_ifPKiSB_iPKfiiiSD_SD_iiiii,"axG",@progbits,_ZN4vllm25paged_attention_v2_kernelIthLi64ELi32ELi128ELNS_18Fp8KVCacheDataTypeE1ELb1ELi512EEEvPfS2_PT_PKS3_PKT0_S9_ifPKiSB_iPKfiiiSD_SD_iiiii,comdat
	.protected	_ZN4vllm25paged_attention_v2_kernelIthLi64ELi32ELi128ELNS_18Fp8KVCacheDataTypeE1ELb1ELi512EEEvPfS2_PT_PKS3_PKT0_S9_ifPKiSB_iPKfiiiSD_SD_iiiii ; -- Begin function _ZN4vllm25paged_attention_v2_kernelIthLi64ELi32ELi128ELNS_18Fp8KVCacheDataTypeE1ELb1ELi512EEEvPfS2_PT_PKS3_PKT0_S9_ifPKiSB_iPKfiiiSD_SD_iiiii
	.globl	_ZN4vllm25paged_attention_v2_kernelIthLi64ELi32ELi128ELNS_18Fp8KVCacheDataTypeE1ELb1ELi512EEEvPfS2_PT_PKS3_PKT0_S9_ifPKiSB_iPKfiiiSD_SD_iiiii
	.p2align	8
	.type	_ZN4vllm25paged_attention_v2_kernelIthLi64ELi32ELi128ELNS_18Fp8KVCacheDataTypeE1ELb1ELi512EEEvPfS2_PT_PKS3_PKT0_S9_ifPKiSB_iPKfiiiSD_SD_iiiii,@function
_ZN4vllm25paged_attention_v2_kernelIthLi64ELi32ELi128ELNS_18Fp8KVCacheDataTypeE1ELb1ELi512EEEvPfS2_PT_PKS3_PKT0_S9_ifPKiSB_iPKfiiiSD_SD_iiiii: ; @_ZN4vllm25paged_attention_v2_kernelIthLi64ELi32ELi128ELNS_18Fp8KVCacheDataTypeE1ELb1ELi512EEEvPfS2_PT_PKS3_PKT0_S9_ifPKiSB_iPKfiiiSD_SD_iiiii
; %bb.0:
	s_load_dwordx2 s[0:1], s[4:5], 0x40
	s_mov_b32 s34, s7
	s_ashr_i32 s35, s7, 31
	s_lshl_b64 s[2:3], s[34:35], 2
	s_waitcnt lgkmcnt(0)
	s_add_u32 s0, s0, s2
	s_addc_u32 s1, s1, s3
	s_load_dword s33, s[0:1], 0x0
	s_lshl_b32 s54, s8, 9
	s_waitcnt lgkmcnt(0)
	s_cmp_ge_i32 s54, s33
	s_cbranch_scc1 .LBB298_456
; %bb.1:
	s_load_dword s9, s[4:5], 0x90
	s_load_dwordx2 s[42:43], s[4:5], 0x30
	s_mov_b32 s55, 0
	s_waitcnt lgkmcnt(0)
	s_abs_i32 s2, s9
	s_abs_i32 s0, s42
	v_cvt_f32_u32_e32 v1, s0
	s_sub_i32 s3, 0, s0
	s_xor_b32 s1, s9, s42
	s_ashr_i32 s1, s1, 31
	v_rcp_iflag_f32_e32 v1, v1
	v_mul_f32_e32 v1, 0x4f7ffffe, v1
	v_cvt_u32_f32_e32 v1, v1
	v_readfirstlane_b32 s7, v1
	s_mul_i32 s3, s3, s7
	s_mul_hi_u32 s3, s7, s3
	s_add_i32 s7, s7, s3
	s_mul_hi_u32 s3, s2, s7
	s_mul_i32 s7, s3, s0
	s_sub_i32 s2, s2, s7
	s_add_i32 s10, s3, 1
	s_sub_i32 s7, s2, s0
	s_cmp_ge_u32 s2, s0
	s_cselect_b32 s3, s10, s3
	s_cselect_b32 s2, s7, s2
	s_add_i32 s7, s3, 1
	s_cmp_ge_u32 s2, s0
	s_cselect_b32 s0, s7, s3
	s_xor_b32 s0, s0, s1
	s_sub_i32 s11, s0, s1
	s_abs_i32 s2, s11
	v_cvt_f32_u32_e32 v1, s2
	s_load_dwordx2 s[0:1], s[4:5], 0x50
	s_sub_i32 s7, 0, s2
	s_abs_i32 s3, s6
	v_rcp_iflag_f32_e32 v1, v1
	v_mul_f32_e32 v1, 0x4f7ffffe, v1
	v_cvt_u32_f32_e32 v1, v1
	v_readfirstlane_b32 s10, v1
	s_mul_i32 s7, s7, s10
	s_mul_hi_u32 s7, s10, s7
	s_add_i32 s10, s10, s7
	s_waitcnt lgkmcnt(0)
	s_cmp_eq_u64 s[0:1], 0
	s_mul_hi_u32 s10, s3, s10
	s_cbranch_scc1 .LBB298_3
; %bb.2:
	s_ashr_i32 s7, s6, 31
	s_lshl_b64 s[12:13], s[6:7], 2
	s_add_u32 s0, s0, s12
	s_addc_u32 s1, s1, s13
	s_load_dword s55, s[0:1], 0x0
.LBB298_3:
	s_load_dwordx4 s[16:19], s[4:5], 0x58
	s_ashr_i32 s7, s6, 31
	s_ashr_i32 s11, s11, 31
	v_and_b32_e32 v8, 1, v0
	s_lshl_b32 s28, s6, 6
	v_cmp_gt_u32_e32 vcc, 16, v0
	v_lshlrev_b32_e32 v13, 3, v0
	s_and_saveexec_b64 s[0:1], vcc
	s_cbranch_execz .LBB298_5
; %bb.4:
	s_load_dwordx2 s[12:13], s[4:5], 0x18
	s_waitcnt lgkmcnt(0)
	s_mul_i32 s14, s34, s16
	s_ashr_i32 s15, s14, 31
	s_lshl_b64 s[14:15], s[14:15], 1
	v_lshlrev_b32_e32 v1, 2, v0
	s_add_u32 s14, s12, s14
	s_addc_u32 s15, s13, s15
	s_ashr_i32 s29, s28, 31
	s_lshl_b64 s[12:13], s[28:29], 1
	s_add_u32 s12, s14, s12
	s_addc_u32 s13, s15, s13
	global_load_dwordx2 v[2:3], v13, s[12:13]
	v_and_b32_e32 v1, 0xff8, v1
	v_lshl_add_u32 v1, v8, 6, v1
	s_waitcnt vmcnt(0)
	ds_write_b64 v1, v[2:3]
.LBB298_5:
	s_or_b64 exec, exec, s[0:1]
	s_mul_i32 s1, s10, s2
	s_sub_i32 s1, s3, s1
	s_xor_b32 s0, s7, s11
	s_add_i32 s3, s10, 1
	s_sub_i32 s7, s1, s2
	s_load_dwordx4 s[20:23], s[4:5], 0x78
	s_cmp_ge_u32 s1, s2
	s_cselect_b32 s3, s3, s10
	s_load_dword s10, s[4:5], 0x88
	s_cselect_b32 s1, s7, s1
	s_add_i32 s7, s3, 1
	s_cmp_ge_u32 s1, s2
	s_cselect_b32 s1, s7, s3
	s_waitcnt lgkmcnt(0)
	s_abs_i32 s29, s23
	v_cvt_f32_u32_e32 v1, s29
	s_xor_b32 s1, s1, s0
	s_sub_i32 s2, s1, s0
	s_sub_i32 s0, 0, s29
	v_rcp_iflag_f32_e32 v1, v1
	s_add_i32 s11, s33, -1
	s_abs_i32 s3, s11
	v_mul_f32_e32 v1, 0x4f7ffffe, v1
	v_cvt_u32_f32_e32 v1, v1
	s_barrier
	v_readfirstlane_b32 s35, v1
	s_mul_i32 s0, s0, s35
	s_mul_hi_u32 s0, s35, s0
	s_add_i32 s35, s35, s0
	s_cmp_lt_i32 s10, 0
	s_mul_hi_u32 s7, s3, s35
	s_cbranch_scc0 .LBB298_7
; %bb.6:
	s_mul_i32 s0, s20, s42
	s_add_i32 s0, s2, s0
	s_mul_i32 s0, s0, s10
	s_sub_i32 s42, 1, s0
	s_mov_b64 s[0:1], 0
	s_branch .LBB298_8
.LBB298_7:
	s_mov_b64 s[0:1], -1
                                        ; implicit-def: $sgpr42
.LBB298_8:
	s_load_dwordx2 s[36:37], s[4:5], 0x38
	s_ashr_i32 s11, s11, 31
	s_andn2_b64 vcc, exec, s[0:1]
	s_ashr_i32 s52, s23, 31
	s_cbranch_vccnz .LBB298_10
; %bb.9:
	s_mul_i32 s0, s9, s20
	s_add_i32 s0, s0, s6
	s_mul_i32 s0, s0, s10
	s_add_i32 s42, s0, 1
.LBB298_10:
	s_load_dwordx2 s[40:41], s[4:5], 0x28
	s_load_dword s0, s[4:5], 0x48
	s_load_dwordx4 s[24:27], s[4:5], 0x0
	s_load_dwordx2 s[30:31], s[4:5], 0x10
	s_load_dword s23, s[4:5], 0x98
	s_load_dwordx4 s[12:15], s[4:5], 0x68
	s_mul_i32 s1, s7, s29
	s_waitcnt lgkmcnt(0)
	s_mul_i32 s38, s34, s0
	s_sub_i32 s1, s3, s1
	s_ashr_i32 s39, s38, 31
	s_xor_b32 s0, s11, s52
	s_add_i32 s3, s7, 1
	s_sub_i32 s10, s1, s29
	s_cmp_ge_u32 s1, s29
	s_cselect_b32 s3, s3, s7
	s_cselect_b32 s1, s10, s1
	s_add_i32 s7, s3, 1
	s_cmp_ge_u32 s1, s29
	s_cselect_b32 s1, s7, s3
	s_xor_b32 s1, s1, s0
	s_sub_i32 s16, s1, s0
	s_add_i32 s0, s33, 31
	s_ashr_i32 s1, s0, 31
	s_lshr_b32 s1, s1, 27
	s_add_i32 s0, s0, s1
	s_lshl_b32 s56, s8, 4
	s_ashr_i32 s7, s0, 5
	s_add_i32 s0, s56, 16
	v_lshrrev_b32_e32 v15, 6, v0
	s_min_i32 s53, s0, s7
	v_or_b32_e32 v6, s56, v15
	v_cmp_gt_i32_e64 s[0:1], s53, v6
	v_mov_b32_e32 v20, 0xff7fffff
	s_mul_i32 s20, s2, s18
	v_ashrrev_i32_e32 v7, 31, v6
	v_lshl_add_u32 v1, v15, 5, s54
	v_mbcnt_lo_u32_b32 v5, -1, 0
	s_and_saveexec_b64 s[18:19], s[0:1]
	s_cbranch_execz .LBB298_212
; %bb.11:
	s_load_dwordx2 s[2:3], s[4:5], 0x20
	s_sub_i32 s57, s16, s21
	s_ashr_i32 s4, s20, 31
	v_bfe_u32 v16, v0, 1, 5
	v_lshlrev_b32_e32 v3, 4, v16
	s_waitcnt lgkmcnt(0)
	s_add_u32 s2, s2, s20
	s_addc_u32 s3, s3, s4
	s_abs_i32 s59, s22
	v_cvt_f32_u32_e32 v2, s59
	v_mov_b32_e32 v4, s3
	s_sub_i32 s4, 0, s59
	v_cmp_eq_u32_e32 vcc, 0, v8
	v_rcp_iflag_f32_e32 v9, v2
	v_add_co_u32_e64 v2, s[2:3], s2, v3
	v_addc_co_u32_e64 v3, s[2:3], 0, v4, s[2:3]
	v_mul_f32_e32 v9, 0x4f7ffffe, v9
	v_cvt_u32_f32_e32 v9, v9
	v_lshlrev_b32_e32 v4, 2, v8
	v_lshlrev_b32_e32 v18, 6, v8
	s_mov_b32 s58, s17
	v_mul_lo_u32 v8, s4, v9
	s_lshl_b64 s[4:5], s[38:39], 2
	v_mul_hi_u32 v8, v9, v8
	s_add_u32 s4, s36, s4
	v_add_u32_e32 v19, v9, v8
	v_lshlrev_b64 v[8:9], 2, v[6:7]
	s_addc_u32 s5, s37, s5
	v_mov_b32_e32 v10, s5
	v_add_co_u32_e64 v8, s[4:5], s4, v8
	v_addc_co_u32_e64 v9, s[4:5], v10, v9, s[4:5]
	v_lshlrev_b32_e32 v10, 2, v16
	v_lshl_or_b32 v10, v15, 7, v10
	v_add_u32_e32 v22, 0x90, v10
	v_subrev_u32_e32 v10, s33, v16
	v_mov_b32_e32 v17, 0
	v_cmp_neq_f32_e64 s[2:3], s55, 0
	v_lshl_add_u32 v21, v15, 5, s54
	v_add_u32_e32 v23, 1, v10
	s_mov_b64 s[44:45], 0
	s_movk_i32 s60, 0x80
	s_movk_i32 s61, 0x7f
	s_mov_b32 s62, 0x8000
	s_mov_b32 s63, 0xffffff
	v_mov_b32_e32 v24, 0x2000
	v_mbcnt_hi_u32_b32 v25, -1, v5
	v_mov_b32_e32 v20, 0xff7fffff
	v_mov_b32_e32 v26, v6
	s_branch .LBB298_14
.LBB298_12:                             ;   in Loop: Header=BB298_14 Depth=1
	s_or_b64 exec, exec, s[46:47]
.LBB298_13:                             ;   in Loop: Header=BB298_14 Depth=1
	s_or_b64 exec, exec, s[10:11]
	v_add_co_u32_e64 v8, s[4:5], 8, v8
	v_add_u32_e32 v26, 2, v26
	v_addc_co_u32_e64 v9, s[4:5], 0, v9, s[4:5]
	v_cmp_le_i32_e64 s[4:5], s53, v26
	v_add_u32_e32 v21, 64, v21
	s_or_b64 s[44:45], s[4:5], s[44:45]
	v_add_u32_e32 v22, 0x100, v22
	s_andn2_b64 exec, exec, s[44:45]
	s_cbranch_execz .LBB298_211
.LBB298_14:                             ; =>This Inner Loop Header: Depth=1
	s_waitcnt lgkmcnt(0)
	v_sub_u32_e32 v11, 0, v21
	v_max_i32_e32 v11, v21, v11
	v_mul_hi_u32 v12, v11, s35
	v_mul_lo_u32 v14, v12, s29
	v_sub_u32_e32 v11, v11, v14
	v_add_u32_e32 v14, 1, v12
	v_cmp_le_u32_e64 s[4:5], s29, v11
	v_cndmask_b32_e64 v12, v12, v14, s[4:5]
	v_subrev_u32_e32 v14, s29, v11
	v_cndmask_b32_e64 v11, v11, v14, s[4:5]
	v_ashrrev_i32_e32 v10, 31, v21
	v_add_u32_e32 v14, 1, v12
	v_cmp_le_u32_e64 s[4:5], s29, v11
	v_xor_b32_e32 v10, s52, v10
	v_cndmask_b32_e64 v11, v12, v14, s[4:5]
	v_xor_b32_e32 v11, v11, v10
	v_sub_u32_e32 v10, v11, v10
	v_add_u32_e32 v11, s42, v10
	v_sub_u32_e32 v14, 0, v11
	v_ashrrev_i32_e32 v12, 31, v11
	v_max_i32_e32 v11, v11, v14
	v_mul_hi_u32 v14, v11, v19
	v_mul_lo_u32 v14, v14, s59
	v_sub_u32_e32 v11, v11, v14
	v_subrev_u32_e32 v14, s59, v11
	v_cmp_le_u32_e64 s[4:5], s59, v11
	v_cndmask_b32_e64 v11, v11, v14, s[4:5]
	v_subrev_u32_e32 v14, s59, v11
	v_cmp_le_u32_e64 s[4:5], s59, v11
	v_cndmask_b32_e64 v11, v11, v14, s[4:5]
	v_xor_b32_e32 v11, v11, v12
	v_sub_u32_e32 v11, v11, v12
	v_cmp_ne_u32_e64 s[4:5], 0, v11
	v_cmp_ge_i32_e64 s[10:11], s57, v10
	s_and_b64 s[4:5], s[4:5], s[10:11]
	s_and_b64 s[46:47], vcc, s[4:5]
	s_and_saveexec_b64 s[10:11], s[46:47]
	s_cbranch_execz .LBB298_16
; %bb.15:                               ;   in Loop: Header=BB298_14 Depth=1
	v_mov_b32_e32 v10, 0xff7fffff
	ds_write_b32 v22, v10
.LBB298_16:                             ;   in Loop: Header=BB298_14 Depth=1
	s_or_b64 exec, exec, s[10:11]
	s_xor_b64 s[4:5], s[4:5], -1
	s_and_saveexec_b64 s[10:11], s[4:5]
	s_cbranch_execz .LBB298_13
; %bb.17:                               ;   in Loop: Header=BB298_14 Depth=1
	global_load_dword v10, v[8:9], off
	v_mov_b32_e32 v28, 0
	v_mov_b32_e32 v29, 0
	s_waitcnt vmcnt(0)
	v_mad_i64_i32 v[10:11], s[4:5], v10, s58, v[2:3]
	v_add_co_u32_e64 v10, s[4:5], v10, v4
	v_addc_co_u32_e64 v11, s[4:5], 0, v11, s[4:5]
	global_load_dword v12, v[10:11], off
	global_load_dword v27, v17, s[12:13]
	s_waitcnt vmcnt(1)
	v_cmp_ne_u16_sdwa s[4:5], v12, v17 src0_sel:BYTE_0 src1_sel:DWORD
	s_and_saveexec_b64 s[46:47], s[4:5]
	s_cbranch_execz .LBB298_23
; %bb.18:                               ;   in Loop: Header=BB298_14 Depth=1
	v_cmp_ne_u16_sdwa s[4:5], v12, s60 src0_sel:BYTE_0 src1_sel:DWORD
	v_bfrev_b32_e32 v29, 1
	s_and_saveexec_b64 s[48:49], s[4:5]
	s_cbranch_execz .LBB298_22
; %bb.19:                               ;   in Loop: Header=BB298_14 Depth=1
	v_and_b32_e32 v14, 0x7f, v12
	v_cmp_ne_u32_e64 s[4:5], s61, v14
	v_mov_b32_e32 v29, 0x7fc02000
	s_and_saveexec_b64 s[50:51], s[4:5]
	s_cbranch_execz .LBB298_21
; %bb.20:                               ;   in Loop: Header=BB298_14 Depth=1
	v_and_b32_e32 v29, 7, v12
	v_ffbh_u32_e32 v30, v29
	v_min_u32_e32 v33, 32, v30
	v_subrev_u32_e32 v30, 28, v33
	v_lshlrev_b64 v[30:31], v30, v[12:13]
	v_lshrrev_b32_e32 v32, 3, v14
	v_sub_u32_e32 v31, 29, v33
	v_cmp_gt_u32_e64 s[4:5], 8, v14
	v_and_b32_e32 v30, 7, v30
	v_cndmask_b32_e64 v14, v32, v31, s[4:5]
	v_cndmask_b32_e64 v29, v29, v30, s[4:5]
	v_lshlrev_b32_e32 v30, 8, v12
	v_lshl_add_u32 v14, v14, 10, v24
	v_and_or_b32 v14, v30, s62, v14
	v_lshl_or_b32 v14, v29, 7, v14
	v_cvt_f32_f16_e32 v29, v14
.LBB298_21:                             ;   in Loop: Header=BB298_14 Depth=1
	s_or_b64 exec, exec, s[50:51]
.LBB298_22:                             ;   in Loop: Header=BB298_14 Depth=1
	s_or_b64 exec, exec, s[48:49]
.LBB298_23:                             ;   in Loop: Header=BB298_14 Depth=1
	s_or_b64 exec, exec, s[46:47]
	v_lshrrev_b16_e32 v14, 8, v12
	v_cmp_ne_u16_e64 s[4:5], 0, v14
	s_and_saveexec_b64 s[46:47], s[4:5]
	s_cbranch_execz .LBB298_29
; %bb.24:                               ;   in Loop: Header=BB298_14 Depth=1
	v_cmp_ne_u16_e64 s[4:5], s60, v14
	v_bfrev_b32_e32 v28, 1
	s_and_saveexec_b64 s[48:49], s[4:5]
	s_cbranch_execz .LBB298_28
; %bb.25:                               ;   in Loop: Header=BB298_14 Depth=1
	v_and_b32_e32 v30, 0x7f, v14
	v_cmp_ne_u32_e64 s[4:5], s61, v30
	v_mov_b32_e32 v28, 0x7fc02000
	s_and_saveexec_b64 s[50:51], s[4:5]
	s_cbranch_execz .LBB298_27
; %bb.26:                               ;   in Loop: Header=BB298_14 Depth=1
	v_and_b32_e32 v28, 7, v14
	v_ffbh_u32_e32 v32, v28
	v_min_u32_e32 v34, 32, v32
	v_subrev_u32_e32 v32, 28, v34
	v_lshlrev_b64 v[32:33], v32, v[14:15]
	v_lshrrev_b32_e32 v31, 3, v30
	v_sub_u32_e32 v33, 29, v34
	v_cmp_gt_u32_e64 s[4:5], 8, v30
	v_cndmask_b32_e64 v30, v31, v33, s[4:5]
	v_and_b32_e32 v32, 7, v32
	v_lshlrev_b32_e32 v14, 8, v14
	v_lshl_add_u32 v30, v30, 10, v24
	v_cndmask_b32_e64 v28, v28, v32, s[4:5]
	v_and_or_b32 v14, v14, s62, v30
	v_lshl_or_b32 v14, v28, 7, v14
	v_cvt_f32_f16_e32 v28, v14
.LBB298_27:                             ;   in Loop: Header=BB298_14 Depth=1
	s_or_b64 exec, exec, s[50:51]
.LBB298_28:                             ;   in Loop: Header=BB298_14 Depth=1
	s_or_b64 exec, exec, s[48:49]
.LBB298_29:                             ;   in Loop: Header=BB298_14 Depth=1
	s_or_b64 exec, exec, s[46:47]
	v_lshrrev_b32_e32 v14, 16, v12
	v_cmp_ne_u16_sdwa s[4:5], v14, v17 src0_sel:BYTE_0 src1_sel:DWORD
	v_mov_b32_e32 v30, 0
	v_mov_b32_e32 v31, 0
	s_and_saveexec_b64 s[46:47], s[4:5]
	s_cbranch_execz .LBB298_35
; %bb.30:                               ;   in Loop: Header=BB298_14 Depth=1
	v_cmp_ne_u16_sdwa s[4:5], v14, s60 src0_sel:BYTE_0 src1_sel:DWORD
	v_bfrev_b32_e32 v31, 1
	s_and_saveexec_b64 s[48:49], s[4:5]
	s_cbranch_execz .LBB298_34
; %bb.31:                               ;   in Loop: Header=BB298_14 Depth=1
	v_bfe_u32 v32, v12, 16, 7
	v_cmp_ne_u32_e64 s[4:5], s61, v32
	v_mov_b32_e32 v31, 0x7fc02000
	s_and_saveexec_b64 s[50:51], s[4:5]
	s_cbranch_execz .LBB298_33
; %bb.32:                               ;   in Loop: Header=BB298_14 Depth=1
	v_and_b32_e32 v31, 7, v14
	v_ffbh_u32_e32 v34, v31
	v_min_u32_e32 v36, 32, v34
	v_subrev_u32_e32 v34, 28, v36
	v_lshlrev_b64 v[34:35], v34, v[14:15]
	v_lshrrev_b32_e32 v33, 3, v32
	v_sub_u32_e32 v35, 29, v36
	v_cmp_gt_u32_e64 s[4:5], 8, v32
	v_cndmask_b32_e64 v32, v33, v35, s[4:5]
	v_and_b32_e32 v34, 7, v34
	v_lshlrev_b32_e32 v14, 8, v14
	v_lshl_add_u32 v32, v32, 10, v24
	v_cndmask_b32_e64 v31, v31, v34, s[4:5]
	v_and_or_b32 v14, v14, s62, v32
	v_lshl_or_b32 v14, v31, 7, v14
	v_cvt_f32_f16_e32 v31, v14
.LBB298_33:                             ;   in Loop: Header=BB298_14 Depth=1
	s_or_b64 exec, exec, s[50:51]
.LBB298_34:                             ;   in Loop: Header=BB298_14 Depth=1
	s_or_b64 exec, exec, s[48:49]
.LBB298_35:                             ;   in Loop: Header=BB298_14 Depth=1
	s_or_b64 exec, exec, s[46:47]
	v_cmp_lt_u32_e64 s[4:5], s63, v12
	s_and_saveexec_b64 s[46:47], s[4:5]
	s_cbranch_execz .LBB298_41
; %bb.36:                               ;   in Loop: Header=BB298_14 Depth=1
	v_lshrrev_b32_e32 v12, 24, v12
	v_cmp_ne_u32_e64 s[4:5], s60, v12
	v_bfrev_b32_e32 v30, 1
	s_and_saveexec_b64 s[48:49], s[4:5]
	s_cbranch_execz .LBB298_40
; %bb.37:                               ;   in Loop: Header=BB298_14 Depth=1
	v_and_b32_e32 v14, 0x7f, v12
	v_cmp_ne_u32_e64 s[4:5], s61, v14
	v_mov_b32_e32 v30, 0x7fc02000
	s_and_saveexec_b64 s[50:51], s[4:5]
	s_cbranch_execz .LBB298_39
; %bb.38:                               ;   in Loop: Header=BB298_14 Depth=1
	v_and_b32_e32 v30, 7, v12
	v_ffbh_u32_e32 v32, v30
	v_min_u32_e32 v35, 32, v32
	v_subrev_u32_e32 v32, 28, v35
	v_lshlrev_b64 v[32:33], v32, v[12:13]
	v_lshrrev_b32_e32 v34, 3, v14
	v_sub_u32_e32 v33, 29, v35
	v_cmp_gt_u32_e64 s[4:5], 8, v14
	v_cndmask_b32_e64 v14, v34, v33, s[4:5]
	v_and_b32_e32 v32, 7, v32
	v_lshlrev_b32_e32 v12, 8, v12
	v_lshl_add_u32 v14, v14, 10, v24
	v_cndmask_b32_e64 v30, v30, v32, s[4:5]
	v_and_or_b32 v12, v12, s62, v14
	v_lshl_or_b32 v12, v30, 7, v12
	v_cvt_f32_f16_e32 v30, v12
.LBB298_39:                             ;   in Loop: Header=BB298_14 Depth=1
	s_or_b64 exec, exec, s[50:51]
.LBB298_40:                             ;   in Loop: Header=BB298_14 Depth=1
	s_or_b64 exec, exec, s[48:49]
.LBB298_41:                             ;   in Loop: Header=BB298_14 Depth=1
	s_or_b64 exec, exec, s[46:47]
	global_load_dword v12, v[10:11], off offset:8
	v_mov_b32_e32 v32, 0
	v_mov_b32_e32 v33, 0
	s_waitcnt vmcnt(0)
	v_cmp_ne_u16_sdwa s[4:5], v12, v17 src0_sel:BYTE_0 src1_sel:DWORD
	s_and_saveexec_b64 s[46:47], s[4:5]
	s_cbranch_execz .LBB298_47
; %bb.42:                               ;   in Loop: Header=BB298_14 Depth=1
	v_cmp_ne_u16_sdwa s[4:5], v12, s60 src0_sel:BYTE_0 src1_sel:DWORD
	v_bfrev_b32_e32 v33, 1
	s_and_saveexec_b64 s[48:49], s[4:5]
	s_cbranch_execz .LBB298_46
; %bb.43:                               ;   in Loop: Header=BB298_14 Depth=1
	v_and_b32_e32 v14, 0x7f, v12
	v_cmp_ne_u32_e64 s[4:5], s61, v14
	v_mov_b32_e32 v33, 0x7fc02000
	s_and_saveexec_b64 s[50:51], s[4:5]
	s_cbranch_execz .LBB298_45
; %bb.44:                               ;   in Loop: Header=BB298_14 Depth=1
	v_and_b32_e32 v33, 7, v12
	v_ffbh_u32_e32 v34, v33
	v_min_u32_e32 v37, 32, v34
	v_subrev_u32_e32 v34, 28, v37
	v_lshlrev_b64 v[34:35], v34, v[12:13]
	v_lshrrev_b32_e32 v36, 3, v14
	v_sub_u32_e32 v35, 29, v37
	v_cmp_gt_u32_e64 s[4:5], 8, v14
	v_and_b32_e32 v34, 7, v34
	v_cndmask_b32_e64 v14, v36, v35, s[4:5]
	v_cndmask_b32_e64 v33, v33, v34, s[4:5]
	v_lshlrev_b32_e32 v34, 8, v12
	v_lshl_add_u32 v14, v14, 10, v24
	v_and_or_b32 v14, v34, s62, v14
	v_lshl_or_b32 v14, v33, 7, v14
	v_cvt_f32_f16_e32 v33, v14
.LBB298_45:                             ;   in Loop: Header=BB298_14 Depth=1
	s_or_b64 exec, exec, s[50:51]
.LBB298_46:                             ;   in Loop: Header=BB298_14 Depth=1
	s_or_b64 exec, exec, s[48:49]
.LBB298_47:                             ;   in Loop: Header=BB298_14 Depth=1
	s_or_b64 exec, exec, s[46:47]
	v_lshrrev_b16_e32 v14, 8, v12
	v_cmp_ne_u16_e64 s[4:5], 0, v14
	s_and_saveexec_b64 s[46:47], s[4:5]
	s_cbranch_execz .LBB298_53
; %bb.48:                               ;   in Loop: Header=BB298_14 Depth=1
	v_cmp_ne_u16_e64 s[4:5], s60, v14
	v_bfrev_b32_e32 v32, 1
	s_and_saveexec_b64 s[48:49], s[4:5]
	s_cbranch_execz .LBB298_52
; %bb.49:                               ;   in Loop: Header=BB298_14 Depth=1
	v_and_b32_e32 v34, 0x7f, v14
	v_cmp_ne_u32_e64 s[4:5], s61, v34
	v_mov_b32_e32 v32, 0x7fc02000
	s_and_saveexec_b64 s[50:51], s[4:5]
	s_cbranch_execz .LBB298_51
; %bb.50:                               ;   in Loop: Header=BB298_14 Depth=1
	v_and_b32_e32 v32, 7, v14
	v_ffbh_u32_e32 v36, v32
	v_min_u32_e32 v38, 32, v36
	v_subrev_u32_e32 v36, 28, v38
	v_lshlrev_b64 v[36:37], v36, v[14:15]
	v_lshrrev_b32_e32 v35, 3, v34
	v_sub_u32_e32 v37, 29, v38
	v_cmp_gt_u32_e64 s[4:5], 8, v34
	v_cndmask_b32_e64 v34, v35, v37, s[4:5]
	v_and_b32_e32 v36, 7, v36
	v_lshlrev_b32_e32 v14, 8, v14
	v_lshl_add_u32 v34, v34, 10, v24
	v_cndmask_b32_e64 v32, v32, v36, s[4:5]
	v_and_or_b32 v14, v14, s62, v34
	v_lshl_or_b32 v14, v32, 7, v14
	v_cvt_f32_f16_e32 v32, v14
.LBB298_51:                             ;   in Loop: Header=BB298_14 Depth=1
	s_or_b64 exec, exec, s[50:51]
.LBB298_52:                             ;   in Loop: Header=BB298_14 Depth=1
	s_or_b64 exec, exec, s[48:49]
.LBB298_53:                             ;   in Loop: Header=BB298_14 Depth=1
	s_or_b64 exec, exec, s[46:47]
	v_lshrrev_b32_e32 v14, 16, v12
	v_cmp_ne_u16_sdwa s[4:5], v14, v17 src0_sel:BYTE_0 src1_sel:DWORD
	v_mov_b32_e32 v34, 0
	v_mov_b32_e32 v35, 0
	s_and_saveexec_b64 s[46:47], s[4:5]
	s_cbranch_execz .LBB298_59
; %bb.54:                               ;   in Loop: Header=BB298_14 Depth=1
	v_cmp_ne_u16_sdwa s[4:5], v14, s60 src0_sel:BYTE_0 src1_sel:DWORD
	v_bfrev_b32_e32 v35, 1
	s_and_saveexec_b64 s[48:49], s[4:5]
	s_cbranch_execz .LBB298_58
; %bb.55:                               ;   in Loop: Header=BB298_14 Depth=1
	v_bfe_u32 v36, v12, 16, 7
	v_cmp_ne_u32_e64 s[4:5], s61, v36
	v_mov_b32_e32 v35, 0x7fc02000
	s_and_saveexec_b64 s[50:51], s[4:5]
	s_cbranch_execz .LBB298_57
; %bb.56:                               ;   in Loop: Header=BB298_14 Depth=1
	v_and_b32_e32 v35, 7, v14
	v_ffbh_u32_e32 v38, v35
	v_min_u32_e32 v40, 32, v38
	v_subrev_u32_e32 v38, 28, v40
	v_lshlrev_b64 v[38:39], v38, v[14:15]
	v_lshrrev_b32_e32 v37, 3, v36
	v_sub_u32_e32 v39, 29, v40
	v_cmp_gt_u32_e64 s[4:5], 8, v36
	v_cndmask_b32_e64 v36, v37, v39, s[4:5]
	v_and_b32_e32 v38, 7, v38
	v_lshlrev_b32_e32 v14, 8, v14
	v_lshl_add_u32 v36, v36, 10, v24
	v_cndmask_b32_e64 v35, v35, v38, s[4:5]
	v_and_or_b32 v14, v14, s62, v36
	v_lshl_or_b32 v14, v35, 7, v14
	v_cvt_f32_f16_e32 v35, v14
.LBB298_57:                             ;   in Loop: Header=BB298_14 Depth=1
	s_or_b64 exec, exec, s[50:51]
.LBB298_58:                             ;   in Loop: Header=BB298_14 Depth=1
	s_or_b64 exec, exec, s[48:49]
.LBB298_59:                             ;   in Loop: Header=BB298_14 Depth=1
	s_or_b64 exec, exec, s[46:47]
	v_cmp_lt_u32_e64 s[4:5], s63, v12
	s_and_saveexec_b64 s[46:47], s[4:5]
	s_cbranch_execz .LBB298_65
; %bb.60:                               ;   in Loop: Header=BB298_14 Depth=1
	v_lshrrev_b32_e32 v12, 24, v12
	v_cmp_ne_u32_e64 s[4:5], s60, v12
	v_bfrev_b32_e32 v34, 1
	s_and_saveexec_b64 s[48:49], s[4:5]
	s_cbranch_execz .LBB298_64
; %bb.61:                               ;   in Loop: Header=BB298_14 Depth=1
	v_and_b32_e32 v14, 0x7f, v12
	v_cmp_ne_u32_e64 s[4:5], s61, v14
	v_mov_b32_e32 v34, 0x7fc02000
	s_and_saveexec_b64 s[50:51], s[4:5]
	s_cbranch_execz .LBB298_63
; %bb.62:                               ;   in Loop: Header=BB298_14 Depth=1
	v_and_b32_e32 v34, 7, v12
	v_ffbh_u32_e32 v36, v34
	v_min_u32_e32 v39, 32, v36
	v_subrev_u32_e32 v36, 28, v39
	v_lshlrev_b64 v[36:37], v36, v[12:13]
	v_lshrrev_b32_e32 v38, 3, v14
	v_sub_u32_e32 v37, 29, v39
	v_cmp_gt_u32_e64 s[4:5], 8, v14
	v_cndmask_b32_e64 v14, v38, v37, s[4:5]
	v_and_b32_e32 v36, 7, v36
	v_lshlrev_b32_e32 v12, 8, v12
	v_lshl_add_u32 v14, v14, 10, v24
	v_cndmask_b32_e64 v34, v34, v36, s[4:5]
	v_and_or_b32 v12, v12, s62, v14
	v_lshl_or_b32 v12, v34, 7, v12
	v_cvt_f32_f16_e32 v34, v12
.LBB298_63:                             ;   in Loop: Header=BB298_14 Depth=1
	s_or_b64 exec, exec, s[50:51]
.LBB298_64:                             ;   in Loop: Header=BB298_14 Depth=1
	s_or_b64 exec, exec, s[48:49]
.LBB298_65:                             ;   in Loop: Header=BB298_14 Depth=1
	s_or_b64 exec, exec, s[46:47]
	global_load_dword v12, v[10:11], off offset:512
	v_mov_b32_e32 v36, 0
	v_mov_b32_e32 v37, 0
	s_waitcnt vmcnt(0)
	v_cmp_ne_u16_sdwa s[4:5], v12, v17 src0_sel:BYTE_0 src1_sel:DWORD
	s_and_saveexec_b64 s[46:47], s[4:5]
	s_cbranch_execz .LBB298_71
; %bb.66:                               ;   in Loop: Header=BB298_14 Depth=1
	v_cmp_ne_u16_sdwa s[4:5], v12, s60 src0_sel:BYTE_0 src1_sel:DWORD
	v_bfrev_b32_e32 v37, 1
	s_and_saveexec_b64 s[48:49], s[4:5]
	s_cbranch_execz .LBB298_70
; %bb.67:                               ;   in Loop: Header=BB298_14 Depth=1
	v_and_b32_e32 v14, 0x7f, v12
	v_cmp_ne_u32_e64 s[4:5], s61, v14
	v_mov_b32_e32 v37, 0x7fc02000
	s_and_saveexec_b64 s[50:51], s[4:5]
	s_cbranch_execz .LBB298_69
; %bb.68:                               ;   in Loop: Header=BB298_14 Depth=1
	v_and_b32_e32 v37, 7, v12
	v_ffbh_u32_e32 v38, v37
	v_min_u32_e32 v41, 32, v38
	v_subrev_u32_e32 v38, 28, v41
	v_lshlrev_b64 v[38:39], v38, v[12:13]
	v_lshrrev_b32_e32 v40, 3, v14
	v_sub_u32_e32 v39, 29, v41
	v_cmp_gt_u32_e64 s[4:5], 8, v14
	v_and_b32_e32 v38, 7, v38
	v_cndmask_b32_e64 v14, v40, v39, s[4:5]
	v_cndmask_b32_e64 v37, v37, v38, s[4:5]
	v_lshlrev_b32_e32 v38, 8, v12
	v_lshl_add_u32 v14, v14, 10, v24
	v_and_or_b32 v14, v38, s62, v14
	v_lshl_or_b32 v14, v37, 7, v14
	v_cvt_f32_f16_e32 v37, v14
.LBB298_69:                             ;   in Loop: Header=BB298_14 Depth=1
	s_or_b64 exec, exec, s[50:51]
.LBB298_70:                             ;   in Loop: Header=BB298_14 Depth=1
	s_or_b64 exec, exec, s[48:49]
.LBB298_71:                             ;   in Loop: Header=BB298_14 Depth=1
	s_or_b64 exec, exec, s[46:47]
	v_lshrrev_b16_e32 v14, 8, v12
	v_cmp_ne_u16_e64 s[4:5], 0, v14
	s_and_saveexec_b64 s[46:47], s[4:5]
	s_cbranch_execz .LBB298_77
; %bb.72:                               ;   in Loop: Header=BB298_14 Depth=1
	v_cmp_ne_u16_e64 s[4:5], s60, v14
	v_bfrev_b32_e32 v36, 1
	s_and_saveexec_b64 s[48:49], s[4:5]
	s_cbranch_execz .LBB298_76
; %bb.73:                               ;   in Loop: Header=BB298_14 Depth=1
	v_and_b32_e32 v38, 0x7f, v14
	v_cmp_ne_u32_e64 s[4:5], s61, v38
	v_mov_b32_e32 v36, 0x7fc02000
	s_and_saveexec_b64 s[50:51], s[4:5]
	s_cbranch_execz .LBB298_75
; %bb.74:                               ;   in Loop: Header=BB298_14 Depth=1
	v_and_b32_e32 v36, 7, v14
	v_ffbh_u32_e32 v40, v36
	v_min_u32_e32 v42, 32, v40
	v_subrev_u32_e32 v40, 28, v42
	v_lshlrev_b64 v[40:41], v40, v[14:15]
	v_lshrrev_b32_e32 v39, 3, v38
	v_sub_u32_e32 v41, 29, v42
	v_cmp_gt_u32_e64 s[4:5], 8, v38
	v_cndmask_b32_e64 v38, v39, v41, s[4:5]
	v_and_b32_e32 v40, 7, v40
	v_lshlrev_b32_e32 v14, 8, v14
	v_lshl_add_u32 v38, v38, 10, v24
	v_cndmask_b32_e64 v36, v36, v40, s[4:5]
	v_and_or_b32 v14, v14, s62, v38
	v_lshl_or_b32 v14, v36, 7, v14
	v_cvt_f32_f16_e32 v36, v14
.LBB298_75:                             ;   in Loop: Header=BB298_14 Depth=1
	s_or_b64 exec, exec, s[50:51]
.LBB298_76:                             ;   in Loop: Header=BB298_14 Depth=1
	s_or_b64 exec, exec, s[48:49]
.LBB298_77:                             ;   in Loop: Header=BB298_14 Depth=1
	s_or_b64 exec, exec, s[46:47]
	v_lshrrev_b32_e32 v14, 16, v12
	v_cmp_ne_u16_sdwa s[4:5], v14, v17 src0_sel:BYTE_0 src1_sel:DWORD
	v_mov_b32_e32 v38, 0
	v_mov_b32_e32 v39, 0
	s_and_saveexec_b64 s[46:47], s[4:5]
	s_cbranch_execz .LBB298_83
; %bb.78:                               ;   in Loop: Header=BB298_14 Depth=1
	v_cmp_ne_u16_sdwa s[4:5], v14, s60 src0_sel:BYTE_0 src1_sel:DWORD
	v_bfrev_b32_e32 v39, 1
	s_and_saveexec_b64 s[48:49], s[4:5]
	s_cbranch_execz .LBB298_82
; %bb.79:                               ;   in Loop: Header=BB298_14 Depth=1
	v_bfe_u32 v40, v12, 16, 7
	v_cmp_ne_u32_e64 s[4:5], s61, v40
	v_mov_b32_e32 v39, 0x7fc02000
	s_and_saveexec_b64 s[50:51], s[4:5]
	s_cbranch_execz .LBB298_81
; %bb.80:                               ;   in Loop: Header=BB298_14 Depth=1
	v_and_b32_e32 v39, 7, v14
	v_ffbh_u32_e32 v42, v39
	v_min_u32_e32 v44, 32, v42
	v_subrev_u32_e32 v42, 28, v44
	v_lshlrev_b64 v[42:43], v42, v[14:15]
	v_lshrrev_b32_e32 v41, 3, v40
	v_sub_u32_e32 v43, 29, v44
	v_cmp_gt_u32_e64 s[4:5], 8, v40
	v_cndmask_b32_e64 v40, v41, v43, s[4:5]
	v_and_b32_e32 v42, 7, v42
	v_lshlrev_b32_e32 v14, 8, v14
	v_lshl_add_u32 v40, v40, 10, v24
	v_cndmask_b32_e64 v39, v39, v42, s[4:5]
	v_and_or_b32 v14, v14, s62, v40
	v_lshl_or_b32 v14, v39, 7, v14
	v_cvt_f32_f16_e32 v39, v14
.LBB298_81:                             ;   in Loop: Header=BB298_14 Depth=1
	s_or_b64 exec, exec, s[50:51]
.LBB298_82:                             ;   in Loop: Header=BB298_14 Depth=1
	s_or_b64 exec, exec, s[48:49]
.LBB298_83:                             ;   in Loop: Header=BB298_14 Depth=1
	s_or_b64 exec, exec, s[46:47]
	v_cmp_lt_u32_e64 s[4:5], s63, v12
	s_and_saveexec_b64 s[46:47], s[4:5]
	s_cbranch_execz .LBB298_89
; %bb.84:                               ;   in Loop: Header=BB298_14 Depth=1
	v_lshrrev_b32_e32 v12, 24, v12
	v_cmp_ne_u32_e64 s[4:5], s60, v12
	v_bfrev_b32_e32 v38, 1
	s_and_saveexec_b64 s[48:49], s[4:5]
	s_cbranch_execz .LBB298_88
; %bb.85:                               ;   in Loop: Header=BB298_14 Depth=1
	v_and_b32_e32 v14, 0x7f, v12
	v_cmp_ne_u32_e64 s[4:5], s61, v14
	v_mov_b32_e32 v38, 0x7fc02000
	s_and_saveexec_b64 s[50:51], s[4:5]
	s_cbranch_execz .LBB298_87
; %bb.86:                               ;   in Loop: Header=BB298_14 Depth=1
	v_and_b32_e32 v38, 7, v12
	v_ffbh_u32_e32 v40, v38
	v_min_u32_e32 v43, 32, v40
	v_subrev_u32_e32 v40, 28, v43
	v_lshlrev_b64 v[40:41], v40, v[12:13]
	v_lshrrev_b32_e32 v42, 3, v14
	v_sub_u32_e32 v41, 29, v43
	v_cmp_gt_u32_e64 s[4:5], 8, v14
	v_cndmask_b32_e64 v14, v42, v41, s[4:5]
	v_and_b32_e32 v40, 7, v40
	v_lshlrev_b32_e32 v12, 8, v12
	v_lshl_add_u32 v14, v14, 10, v24
	v_cndmask_b32_e64 v38, v38, v40, s[4:5]
	v_and_or_b32 v12, v12, s62, v14
	v_lshl_or_b32 v12, v38, 7, v12
	v_cvt_f32_f16_e32 v38, v12
.LBB298_87:                             ;   in Loop: Header=BB298_14 Depth=1
	s_or_b64 exec, exec, s[50:51]
.LBB298_88:                             ;   in Loop: Header=BB298_14 Depth=1
	s_or_b64 exec, exec, s[48:49]
.LBB298_89:                             ;   in Loop: Header=BB298_14 Depth=1
	s_or_b64 exec, exec, s[46:47]
	global_load_dword v12, v[10:11], off offset:520
	v_mov_b32_e32 v40, 0
	v_mov_b32_e32 v41, 0
	s_waitcnt vmcnt(0)
	v_cmp_ne_u16_sdwa s[4:5], v12, v17 src0_sel:BYTE_0 src1_sel:DWORD
	s_and_saveexec_b64 s[46:47], s[4:5]
	s_cbranch_execz .LBB298_95
; %bb.90:                               ;   in Loop: Header=BB298_14 Depth=1
	v_cmp_ne_u16_sdwa s[4:5], v12, s60 src0_sel:BYTE_0 src1_sel:DWORD
	v_bfrev_b32_e32 v41, 1
	s_and_saveexec_b64 s[48:49], s[4:5]
	s_cbranch_execz .LBB298_94
; %bb.91:                               ;   in Loop: Header=BB298_14 Depth=1
	v_and_b32_e32 v14, 0x7f, v12
	v_cmp_ne_u32_e64 s[4:5], s61, v14
	v_mov_b32_e32 v41, 0x7fc02000
	s_and_saveexec_b64 s[50:51], s[4:5]
	s_cbranch_execz .LBB298_93
; %bb.92:                               ;   in Loop: Header=BB298_14 Depth=1
	v_and_b32_e32 v41, 7, v12
	v_ffbh_u32_e32 v42, v41
	v_min_u32_e32 v45, 32, v42
	v_subrev_u32_e32 v42, 28, v45
	v_lshlrev_b64 v[42:43], v42, v[12:13]
	v_lshrrev_b32_e32 v44, 3, v14
	v_sub_u32_e32 v43, 29, v45
	v_cmp_gt_u32_e64 s[4:5], 8, v14
	v_and_b32_e32 v42, 7, v42
	v_cndmask_b32_e64 v14, v44, v43, s[4:5]
	v_cndmask_b32_e64 v41, v41, v42, s[4:5]
	v_lshlrev_b32_e32 v42, 8, v12
	v_lshl_add_u32 v14, v14, 10, v24
	v_and_or_b32 v14, v42, s62, v14
	v_lshl_or_b32 v14, v41, 7, v14
	v_cvt_f32_f16_e32 v41, v14
.LBB298_93:                             ;   in Loop: Header=BB298_14 Depth=1
	s_or_b64 exec, exec, s[50:51]
.LBB298_94:                             ;   in Loop: Header=BB298_14 Depth=1
	s_or_b64 exec, exec, s[48:49]
.LBB298_95:                             ;   in Loop: Header=BB298_14 Depth=1
	s_or_b64 exec, exec, s[46:47]
	v_lshrrev_b16_e32 v14, 8, v12
	v_cmp_ne_u16_e64 s[4:5], 0, v14
	s_and_saveexec_b64 s[46:47], s[4:5]
	s_cbranch_execz .LBB298_101
; %bb.96:                               ;   in Loop: Header=BB298_14 Depth=1
	v_cmp_ne_u16_e64 s[4:5], s60, v14
	v_bfrev_b32_e32 v40, 1
	s_and_saveexec_b64 s[48:49], s[4:5]
	s_cbranch_execz .LBB298_100
; %bb.97:                               ;   in Loop: Header=BB298_14 Depth=1
	v_and_b32_e32 v42, 0x7f, v14
	v_cmp_ne_u32_e64 s[4:5], s61, v42
	v_mov_b32_e32 v40, 0x7fc02000
	s_and_saveexec_b64 s[50:51], s[4:5]
	s_cbranch_execz .LBB298_99
; %bb.98:                               ;   in Loop: Header=BB298_14 Depth=1
	v_and_b32_e32 v40, 7, v14
	v_ffbh_u32_e32 v44, v40
	v_min_u32_e32 v46, 32, v44
	v_subrev_u32_e32 v44, 28, v46
	v_lshlrev_b64 v[44:45], v44, v[14:15]
	v_lshrrev_b32_e32 v43, 3, v42
	v_sub_u32_e32 v45, 29, v46
	v_cmp_gt_u32_e64 s[4:5], 8, v42
	v_cndmask_b32_e64 v42, v43, v45, s[4:5]
	v_and_b32_e32 v44, 7, v44
	v_lshlrev_b32_e32 v14, 8, v14
	v_lshl_add_u32 v42, v42, 10, v24
	v_cndmask_b32_e64 v40, v40, v44, s[4:5]
	v_and_or_b32 v14, v14, s62, v42
	v_lshl_or_b32 v14, v40, 7, v14
	v_cvt_f32_f16_e32 v40, v14
.LBB298_99:                             ;   in Loop: Header=BB298_14 Depth=1
	s_or_b64 exec, exec, s[50:51]
.LBB298_100:                            ;   in Loop: Header=BB298_14 Depth=1
	s_or_b64 exec, exec, s[48:49]
.LBB298_101:                            ;   in Loop: Header=BB298_14 Depth=1
	s_or_b64 exec, exec, s[46:47]
	v_lshrrev_b32_e32 v14, 16, v12
	v_cmp_ne_u16_sdwa s[4:5], v14, v17 src0_sel:BYTE_0 src1_sel:DWORD
	v_mov_b32_e32 v42, 0
	v_mov_b32_e32 v43, 0
	s_and_saveexec_b64 s[46:47], s[4:5]
	s_cbranch_execz .LBB298_107
; %bb.102:                              ;   in Loop: Header=BB298_14 Depth=1
	v_cmp_ne_u16_sdwa s[4:5], v14, s60 src0_sel:BYTE_0 src1_sel:DWORD
	v_bfrev_b32_e32 v43, 1
	s_and_saveexec_b64 s[48:49], s[4:5]
	s_cbranch_execz .LBB298_106
; %bb.103:                              ;   in Loop: Header=BB298_14 Depth=1
	v_bfe_u32 v44, v12, 16, 7
	v_cmp_ne_u32_e64 s[4:5], s61, v44
	v_mov_b32_e32 v43, 0x7fc02000
	s_and_saveexec_b64 s[50:51], s[4:5]
	s_cbranch_execz .LBB298_105
; %bb.104:                              ;   in Loop: Header=BB298_14 Depth=1
	v_and_b32_e32 v43, 7, v14
	v_ffbh_u32_e32 v46, v43
	v_min_u32_e32 v48, 32, v46
	v_subrev_u32_e32 v46, 28, v48
	v_lshlrev_b64 v[46:47], v46, v[14:15]
	v_lshrrev_b32_e32 v45, 3, v44
	v_sub_u32_e32 v47, 29, v48
	v_cmp_gt_u32_e64 s[4:5], 8, v44
	v_cndmask_b32_e64 v44, v45, v47, s[4:5]
	v_and_b32_e32 v46, 7, v46
	v_lshlrev_b32_e32 v14, 8, v14
	v_lshl_add_u32 v44, v44, 10, v24
	v_cndmask_b32_e64 v43, v43, v46, s[4:5]
	v_and_or_b32 v14, v14, s62, v44
	v_lshl_or_b32 v14, v43, 7, v14
	v_cvt_f32_f16_e32 v43, v14
.LBB298_105:                            ;   in Loop: Header=BB298_14 Depth=1
	s_or_b64 exec, exec, s[50:51]
.LBB298_106:                            ;   in Loop: Header=BB298_14 Depth=1
	s_or_b64 exec, exec, s[48:49]
.LBB298_107:                            ;   in Loop: Header=BB298_14 Depth=1
	s_or_b64 exec, exec, s[46:47]
	v_cmp_lt_u32_e64 s[4:5], s63, v12
	s_and_saveexec_b64 s[46:47], s[4:5]
	s_cbranch_execz .LBB298_113
; %bb.108:                              ;   in Loop: Header=BB298_14 Depth=1
	v_lshrrev_b32_e32 v12, 24, v12
	v_cmp_ne_u32_e64 s[4:5], s60, v12
	v_bfrev_b32_e32 v42, 1
	s_and_saveexec_b64 s[48:49], s[4:5]
	s_cbranch_execz .LBB298_112
; %bb.109:                              ;   in Loop: Header=BB298_14 Depth=1
	v_and_b32_e32 v14, 0x7f, v12
	v_cmp_ne_u32_e64 s[4:5], s61, v14
	v_mov_b32_e32 v42, 0x7fc02000
	s_and_saveexec_b64 s[50:51], s[4:5]
	s_cbranch_execz .LBB298_111
; %bb.110:                              ;   in Loop: Header=BB298_14 Depth=1
	v_and_b32_e32 v42, 7, v12
	v_ffbh_u32_e32 v44, v42
	v_min_u32_e32 v47, 32, v44
	v_subrev_u32_e32 v44, 28, v47
	v_lshlrev_b64 v[44:45], v44, v[12:13]
	v_lshrrev_b32_e32 v46, 3, v14
	v_sub_u32_e32 v45, 29, v47
	v_cmp_gt_u32_e64 s[4:5], 8, v14
	v_cndmask_b32_e64 v14, v46, v45, s[4:5]
	v_and_b32_e32 v44, 7, v44
	v_lshlrev_b32_e32 v12, 8, v12
	v_lshl_add_u32 v14, v14, 10, v24
	v_cndmask_b32_e64 v42, v42, v44, s[4:5]
	v_and_or_b32 v12, v12, s62, v14
	v_lshl_or_b32 v12, v42, 7, v12
	v_cvt_f32_f16_e32 v42, v12
.LBB298_111:                            ;   in Loop: Header=BB298_14 Depth=1
	s_or_b64 exec, exec, s[50:51]
.LBB298_112:                            ;   in Loop: Header=BB298_14 Depth=1
	s_or_b64 exec, exec, s[48:49]
.LBB298_113:                            ;   in Loop: Header=BB298_14 Depth=1
	s_or_b64 exec, exec, s[46:47]
	global_load_dword v12, v[10:11], off offset:1024
	v_mov_b32_e32 v44, 0
	v_mov_b32_e32 v45, 0
	s_waitcnt vmcnt(0)
	v_cmp_ne_u16_sdwa s[4:5], v12, v17 src0_sel:BYTE_0 src1_sel:DWORD
	s_and_saveexec_b64 s[46:47], s[4:5]
	s_cbranch_execz .LBB298_119
; %bb.114:                              ;   in Loop: Header=BB298_14 Depth=1
	v_cmp_ne_u16_sdwa s[4:5], v12, s60 src0_sel:BYTE_0 src1_sel:DWORD
	v_bfrev_b32_e32 v45, 1
	s_and_saveexec_b64 s[48:49], s[4:5]
	s_cbranch_execz .LBB298_118
; %bb.115:                              ;   in Loop: Header=BB298_14 Depth=1
	v_and_b32_e32 v14, 0x7f, v12
	v_cmp_ne_u32_e64 s[4:5], s61, v14
	v_mov_b32_e32 v45, 0x7fc02000
	s_and_saveexec_b64 s[50:51], s[4:5]
	s_cbranch_execz .LBB298_117
; %bb.116:                              ;   in Loop: Header=BB298_14 Depth=1
	v_and_b32_e32 v45, 7, v12
	v_ffbh_u32_e32 v46, v45
	v_min_u32_e32 v49, 32, v46
	v_subrev_u32_e32 v46, 28, v49
	v_lshlrev_b64 v[46:47], v46, v[12:13]
	v_lshrrev_b32_e32 v48, 3, v14
	v_sub_u32_e32 v47, 29, v49
	v_cmp_gt_u32_e64 s[4:5], 8, v14
	v_and_b32_e32 v46, 7, v46
	v_cndmask_b32_e64 v14, v48, v47, s[4:5]
	v_cndmask_b32_e64 v45, v45, v46, s[4:5]
	v_lshlrev_b32_e32 v46, 8, v12
	v_lshl_add_u32 v14, v14, 10, v24
	v_and_or_b32 v14, v46, s62, v14
	v_lshl_or_b32 v14, v45, 7, v14
	v_cvt_f32_f16_e32 v45, v14
.LBB298_117:                            ;   in Loop: Header=BB298_14 Depth=1
	s_or_b64 exec, exec, s[50:51]
.LBB298_118:                            ;   in Loop: Header=BB298_14 Depth=1
	s_or_b64 exec, exec, s[48:49]
.LBB298_119:                            ;   in Loop: Header=BB298_14 Depth=1
	s_or_b64 exec, exec, s[46:47]
	v_lshrrev_b16_e32 v14, 8, v12
	v_cmp_ne_u16_e64 s[4:5], 0, v14
	s_and_saveexec_b64 s[46:47], s[4:5]
	s_cbranch_execz .LBB298_125
; %bb.120:                              ;   in Loop: Header=BB298_14 Depth=1
	v_cmp_ne_u16_e64 s[4:5], s60, v14
	v_bfrev_b32_e32 v44, 1
	s_and_saveexec_b64 s[48:49], s[4:5]
	s_cbranch_execz .LBB298_124
; %bb.121:                              ;   in Loop: Header=BB298_14 Depth=1
	v_and_b32_e32 v46, 0x7f, v14
	v_cmp_ne_u32_e64 s[4:5], s61, v46
	v_mov_b32_e32 v44, 0x7fc02000
	s_and_saveexec_b64 s[50:51], s[4:5]
	s_cbranch_execz .LBB298_123
; %bb.122:                              ;   in Loop: Header=BB298_14 Depth=1
	v_and_b32_e32 v44, 7, v14
	v_ffbh_u32_e32 v48, v44
	v_min_u32_e32 v50, 32, v48
	v_subrev_u32_e32 v48, 28, v50
	v_lshlrev_b64 v[48:49], v48, v[14:15]
	v_lshrrev_b32_e32 v47, 3, v46
	v_sub_u32_e32 v49, 29, v50
	v_cmp_gt_u32_e64 s[4:5], 8, v46
	v_cndmask_b32_e64 v46, v47, v49, s[4:5]
	v_and_b32_e32 v48, 7, v48
	v_lshlrev_b32_e32 v14, 8, v14
	v_lshl_add_u32 v46, v46, 10, v24
	v_cndmask_b32_e64 v44, v44, v48, s[4:5]
	v_and_or_b32 v14, v14, s62, v46
	v_lshl_or_b32 v14, v44, 7, v14
	v_cvt_f32_f16_e32 v44, v14
.LBB298_123:                            ;   in Loop: Header=BB298_14 Depth=1
	s_or_b64 exec, exec, s[50:51]
.LBB298_124:                            ;   in Loop: Header=BB298_14 Depth=1
	s_or_b64 exec, exec, s[48:49]
.LBB298_125:                            ;   in Loop: Header=BB298_14 Depth=1
	s_or_b64 exec, exec, s[46:47]
	v_lshrrev_b32_e32 v14, 16, v12
	v_cmp_ne_u16_sdwa s[4:5], v14, v17 src0_sel:BYTE_0 src1_sel:DWORD
	v_mov_b32_e32 v46, 0
	v_mov_b32_e32 v47, 0
	s_and_saveexec_b64 s[46:47], s[4:5]
	s_cbranch_execz .LBB298_131
; %bb.126:                              ;   in Loop: Header=BB298_14 Depth=1
	v_cmp_ne_u16_sdwa s[4:5], v14, s60 src0_sel:BYTE_0 src1_sel:DWORD
	v_bfrev_b32_e32 v47, 1
	s_and_saveexec_b64 s[48:49], s[4:5]
	s_cbranch_execz .LBB298_130
; %bb.127:                              ;   in Loop: Header=BB298_14 Depth=1
	v_bfe_u32 v48, v12, 16, 7
	v_cmp_ne_u32_e64 s[4:5], s61, v48
	v_mov_b32_e32 v47, 0x7fc02000
	s_and_saveexec_b64 s[50:51], s[4:5]
	s_cbranch_execz .LBB298_129
; %bb.128:                              ;   in Loop: Header=BB298_14 Depth=1
	v_and_b32_e32 v47, 7, v14
	v_ffbh_u32_e32 v50, v47
	v_min_u32_e32 v52, 32, v50
	v_subrev_u32_e32 v50, 28, v52
	v_lshlrev_b64 v[50:51], v50, v[14:15]
	v_lshrrev_b32_e32 v49, 3, v48
	v_sub_u32_e32 v51, 29, v52
	v_cmp_gt_u32_e64 s[4:5], 8, v48
	v_cndmask_b32_e64 v48, v49, v51, s[4:5]
	v_and_b32_e32 v50, 7, v50
	v_lshlrev_b32_e32 v14, 8, v14
	v_lshl_add_u32 v48, v48, 10, v24
	v_cndmask_b32_e64 v47, v47, v50, s[4:5]
	v_and_or_b32 v14, v14, s62, v48
	v_lshl_or_b32 v14, v47, 7, v14
	v_cvt_f32_f16_e32 v47, v14
.LBB298_129:                            ;   in Loop: Header=BB298_14 Depth=1
	s_or_b64 exec, exec, s[50:51]
.LBB298_130:                            ;   in Loop: Header=BB298_14 Depth=1
	s_or_b64 exec, exec, s[48:49]
.LBB298_131:                            ;   in Loop: Header=BB298_14 Depth=1
	s_or_b64 exec, exec, s[46:47]
	v_cmp_lt_u32_e64 s[4:5], s63, v12
	s_and_saveexec_b64 s[46:47], s[4:5]
	s_cbranch_execz .LBB298_137
; %bb.132:                              ;   in Loop: Header=BB298_14 Depth=1
	v_lshrrev_b32_e32 v12, 24, v12
	v_cmp_ne_u32_e64 s[4:5], s60, v12
	v_bfrev_b32_e32 v46, 1
	s_and_saveexec_b64 s[48:49], s[4:5]
	s_cbranch_execz .LBB298_136
; %bb.133:                              ;   in Loop: Header=BB298_14 Depth=1
	v_and_b32_e32 v14, 0x7f, v12
	v_cmp_ne_u32_e64 s[4:5], s61, v14
	v_mov_b32_e32 v46, 0x7fc02000
	s_and_saveexec_b64 s[50:51], s[4:5]
	s_cbranch_execz .LBB298_135
; %bb.134:                              ;   in Loop: Header=BB298_14 Depth=1
	v_and_b32_e32 v46, 7, v12
	v_ffbh_u32_e32 v48, v46
	v_min_u32_e32 v51, 32, v48
	v_subrev_u32_e32 v48, 28, v51
	v_lshlrev_b64 v[48:49], v48, v[12:13]
	v_lshrrev_b32_e32 v50, 3, v14
	v_sub_u32_e32 v49, 29, v51
	v_cmp_gt_u32_e64 s[4:5], 8, v14
	v_cndmask_b32_e64 v14, v50, v49, s[4:5]
	v_and_b32_e32 v48, 7, v48
	v_lshlrev_b32_e32 v12, 8, v12
	v_lshl_add_u32 v14, v14, 10, v24
	v_cndmask_b32_e64 v46, v46, v48, s[4:5]
	v_and_or_b32 v12, v12, s62, v14
	v_lshl_or_b32 v12, v46, 7, v12
	v_cvt_f32_f16_e32 v46, v12
.LBB298_135:                            ;   in Loop: Header=BB298_14 Depth=1
	s_or_b64 exec, exec, s[50:51]
.LBB298_136:                            ;   in Loop: Header=BB298_14 Depth=1
	s_or_b64 exec, exec, s[48:49]
.LBB298_137:                            ;   in Loop: Header=BB298_14 Depth=1
	s_or_b64 exec, exec, s[46:47]
	global_load_dword v12, v[10:11], off offset:1032
	v_mov_b32_e32 v48, 0
	v_mov_b32_e32 v49, 0
	s_waitcnt vmcnt(0)
	v_cmp_ne_u16_sdwa s[4:5], v12, v17 src0_sel:BYTE_0 src1_sel:DWORD
	s_and_saveexec_b64 s[46:47], s[4:5]
	s_cbranch_execz .LBB298_143
; %bb.138:                              ;   in Loop: Header=BB298_14 Depth=1
	v_cmp_ne_u16_sdwa s[4:5], v12, s60 src0_sel:BYTE_0 src1_sel:DWORD
	v_bfrev_b32_e32 v49, 1
	s_and_saveexec_b64 s[48:49], s[4:5]
	s_cbranch_execz .LBB298_142
; %bb.139:                              ;   in Loop: Header=BB298_14 Depth=1
	v_and_b32_e32 v14, 0x7f, v12
	v_cmp_ne_u32_e64 s[4:5], s61, v14
	v_mov_b32_e32 v49, 0x7fc02000
	s_and_saveexec_b64 s[50:51], s[4:5]
	s_cbranch_execz .LBB298_141
; %bb.140:                              ;   in Loop: Header=BB298_14 Depth=1
	v_and_b32_e32 v49, 7, v12
	v_ffbh_u32_e32 v50, v49
	v_min_u32_e32 v53, 32, v50
	v_subrev_u32_e32 v50, 28, v53
	v_lshlrev_b64 v[50:51], v50, v[12:13]
	v_lshrrev_b32_e32 v52, 3, v14
	v_sub_u32_e32 v51, 29, v53
	v_cmp_gt_u32_e64 s[4:5], 8, v14
	v_and_b32_e32 v50, 7, v50
	v_cndmask_b32_e64 v14, v52, v51, s[4:5]
	v_cndmask_b32_e64 v49, v49, v50, s[4:5]
	v_lshlrev_b32_e32 v50, 8, v12
	v_lshl_add_u32 v14, v14, 10, v24
	v_and_or_b32 v14, v50, s62, v14
	v_lshl_or_b32 v14, v49, 7, v14
	v_cvt_f32_f16_e32 v49, v14
.LBB298_141:                            ;   in Loop: Header=BB298_14 Depth=1
	s_or_b64 exec, exec, s[50:51]
.LBB298_142:                            ;   in Loop: Header=BB298_14 Depth=1
	s_or_b64 exec, exec, s[48:49]
.LBB298_143:                            ;   in Loop: Header=BB298_14 Depth=1
	s_or_b64 exec, exec, s[46:47]
	v_lshrrev_b16_e32 v14, 8, v12
	v_cmp_ne_u16_e64 s[4:5], 0, v14
	s_and_saveexec_b64 s[46:47], s[4:5]
	s_cbranch_execz .LBB298_149
; %bb.144:                              ;   in Loop: Header=BB298_14 Depth=1
	v_cmp_ne_u16_e64 s[4:5], s60, v14
	v_bfrev_b32_e32 v48, 1
	s_and_saveexec_b64 s[48:49], s[4:5]
	s_cbranch_execz .LBB298_148
; %bb.145:                              ;   in Loop: Header=BB298_14 Depth=1
	v_and_b32_e32 v50, 0x7f, v14
	v_cmp_ne_u32_e64 s[4:5], s61, v50
	v_mov_b32_e32 v48, 0x7fc02000
	s_and_saveexec_b64 s[50:51], s[4:5]
	s_cbranch_execz .LBB298_147
; %bb.146:                              ;   in Loop: Header=BB298_14 Depth=1
	v_and_b32_e32 v48, 7, v14
	v_ffbh_u32_e32 v52, v48
	v_min_u32_e32 v54, 32, v52
	v_subrev_u32_e32 v52, 28, v54
	v_lshlrev_b64 v[52:53], v52, v[14:15]
	v_lshrrev_b32_e32 v51, 3, v50
	v_sub_u32_e32 v53, 29, v54
	v_cmp_gt_u32_e64 s[4:5], 8, v50
	v_cndmask_b32_e64 v50, v51, v53, s[4:5]
	v_and_b32_e32 v52, 7, v52
	v_lshlrev_b32_e32 v14, 8, v14
	v_lshl_add_u32 v50, v50, 10, v24
	v_cndmask_b32_e64 v48, v48, v52, s[4:5]
	v_and_or_b32 v14, v14, s62, v50
	v_lshl_or_b32 v14, v48, 7, v14
	v_cvt_f32_f16_e32 v48, v14
.LBB298_147:                            ;   in Loop: Header=BB298_14 Depth=1
	s_or_b64 exec, exec, s[50:51]
.LBB298_148:                            ;   in Loop: Header=BB298_14 Depth=1
	s_or_b64 exec, exec, s[48:49]
.LBB298_149:                            ;   in Loop: Header=BB298_14 Depth=1
	s_or_b64 exec, exec, s[46:47]
	v_lshrrev_b32_e32 v14, 16, v12
	v_cmp_ne_u16_sdwa s[4:5], v14, v17 src0_sel:BYTE_0 src1_sel:DWORD
	v_mov_b32_e32 v50, 0
	v_mov_b32_e32 v51, 0
	s_and_saveexec_b64 s[46:47], s[4:5]
	s_cbranch_execz .LBB298_155
; %bb.150:                              ;   in Loop: Header=BB298_14 Depth=1
	v_cmp_ne_u16_sdwa s[4:5], v14, s60 src0_sel:BYTE_0 src1_sel:DWORD
	v_bfrev_b32_e32 v51, 1
	s_and_saveexec_b64 s[48:49], s[4:5]
	s_cbranch_execz .LBB298_154
; %bb.151:                              ;   in Loop: Header=BB298_14 Depth=1
	v_bfe_u32 v52, v12, 16, 7
	v_cmp_ne_u32_e64 s[4:5], s61, v52
	v_mov_b32_e32 v51, 0x7fc02000
	s_and_saveexec_b64 s[50:51], s[4:5]
	s_cbranch_execz .LBB298_153
; %bb.152:                              ;   in Loop: Header=BB298_14 Depth=1
	v_and_b32_e32 v51, 7, v14
	v_ffbh_u32_e32 v54, v51
	v_min_u32_e32 v56, 32, v54
	v_subrev_u32_e32 v54, 28, v56
	v_lshlrev_b64 v[54:55], v54, v[14:15]
	v_lshrrev_b32_e32 v53, 3, v52
	v_sub_u32_e32 v55, 29, v56
	v_cmp_gt_u32_e64 s[4:5], 8, v52
	v_cndmask_b32_e64 v52, v53, v55, s[4:5]
	v_and_b32_e32 v54, 7, v54
	v_lshlrev_b32_e32 v14, 8, v14
	v_lshl_add_u32 v52, v52, 10, v24
	v_cndmask_b32_e64 v51, v51, v54, s[4:5]
	v_and_or_b32 v14, v14, s62, v52
	v_lshl_or_b32 v14, v51, 7, v14
	v_cvt_f32_f16_e32 v51, v14
.LBB298_153:                            ;   in Loop: Header=BB298_14 Depth=1
	s_or_b64 exec, exec, s[50:51]
.LBB298_154:                            ;   in Loop: Header=BB298_14 Depth=1
	s_or_b64 exec, exec, s[48:49]
.LBB298_155:                            ;   in Loop: Header=BB298_14 Depth=1
	s_or_b64 exec, exec, s[46:47]
	v_cmp_lt_u32_e64 s[4:5], s63, v12
	s_and_saveexec_b64 s[46:47], s[4:5]
	s_cbranch_execz .LBB298_161
; %bb.156:                              ;   in Loop: Header=BB298_14 Depth=1
	v_lshrrev_b32_e32 v12, 24, v12
	v_cmp_ne_u32_e64 s[4:5], s60, v12
	v_bfrev_b32_e32 v50, 1
	s_and_saveexec_b64 s[48:49], s[4:5]
	s_cbranch_execz .LBB298_160
; %bb.157:                              ;   in Loop: Header=BB298_14 Depth=1
	v_and_b32_e32 v14, 0x7f, v12
	v_cmp_ne_u32_e64 s[4:5], s61, v14
	v_mov_b32_e32 v50, 0x7fc02000
	s_and_saveexec_b64 s[50:51], s[4:5]
	s_cbranch_execz .LBB298_159
; %bb.158:                              ;   in Loop: Header=BB298_14 Depth=1
	v_and_b32_e32 v50, 7, v12
	v_ffbh_u32_e32 v52, v50
	v_min_u32_e32 v55, 32, v52
	v_subrev_u32_e32 v52, 28, v55
	v_lshlrev_b64 v[52:53], v52, v[12:13]
	v_lshrrev_b32_e32 v54, 3, v14
	v_sub_u32_e32 v53, 29, v55
	v_cmp_gt_u32_e64 s[4:5], 8, v14
	v_cndmask_b32_e64 v14, v54, v53, s[4:5]
	v_and_b32_e32 v52, 7, v52
	v_lshlrev_b32_e32 v12, 8, v12
	v_lshl_add_u32 v14, v14, 10, v24
	v_cndmask_b32_e64 v50, v50, v52, s[4:5]
	v_and_or_b32 v12, v12, s62, v14
	v_lshl_or_b32 v12, v50, 7, v12
	v_cvt_f32_f16_e32 v50, v12
.LBB298_159:                            ;   in Loop: Header=BB298_14 Depth=1
	s_or_b64 exec, exec, s[50:51]
.LBB298_160:                            ;   in Loop: Header=BB298_14 Depth=1
	s_or_b64 exec, exec, s[48:49]
.LBB298_161:                            ;   in Loop: Header=BB298_14 Depth=1
	s_or_b64 exec, exec, s[46:47]
	global_load_dword v12, v[10:11], off offset:1536
	v_mov_b32_e32 v52, 0
	v_mov_b32_e32 v53, 0
	s_waitcnt vmcnt(0)
	v_cmp_ne_u16_sdwa s[4:5], v12, v17 src0_sel:BYTE_0 src1_sel:DWORD
	s_and_saveexec_b64 s[46:47], s[4:5]
	s_cbranch_execz .LBB298_167
; %bb.162:                              ;   in Loop: Header=BB298_14 Depth=1
	v_cmp_ne_u16_sdwa s[4:5], v12, s60 src0_sel:BYTE_0 src1_sel:DWORD
	v_bfrev_b32_e32 v53, 1
	s_and_saveexec_b64 s[48:49], s[4:5]
	s_cbranch_execz .LBB298_166
; %bb.163:                              ;   in Loop: Header=BB298_14 Depth=1
	v_and_b32_e32 v14, 0x7f, v12
	v_cmp_ne_u32_e64 s[4:5], s61, v14
	v_mov_b32_e32 v53, 0x7fc02000
	s_and_saveexec_b64 s[50:51], s[4:5]
	s_cbranch_execz .LBB298_165
; %bb.164:                              ;   in Loop: Header=BB298_14 Depth=1
	v_and_b32_e32 v53, 7, v12
	v_ffbh_u32_e32 v54, v53
	v_min_u32_e32 v57, 32, v54
	v_subrev_u32_e32 v54, 28, v57
	v_lshlrev_b64 v[54:55], v54, v[12:13]
	v_lshrrev_b32_e32 v56, 3, v14
	v_sub_u32_e32 v55, 29, v57
	v_cmp_gt_u32_e64 s[4:5], 8, v14
	v_and_b32_e32 v54, 7, v54
	v_cndmask_b32_e64 v14, v56, v55, s[4:5]
	v_cndmask_b32_e64 v53, v53, v54, s[4:5]
	v_lshlrev_b32_e32 v54, 8, v12
	v_lshl_add_u32 v14, v14, 10, v24
	v_and_or_b32 v14, v54, s62, v14
	v_lshl_or_b32 v14, v53, 7, v14
	v_cvt_f32_f16_e32 v53, v14
.LBB298_165:                            ;   in Loop: Header=BB298_14 Depth=1
	s_or_b64 exec, exec, s[50:51]
.LBB298_166:                            ;   in Loop: Header=BB298_14 Depth=1
	s_or_b64 exec, exec, s[48:49]
.LBB298_167:                            ;   in Loop: Header=BB298_14 Depth=1
	s_or_b64 exec, exec, s[46:47]
	v_lshrrev_b16_e32 v14, 8, v12
	v_cmp_ne_u16_e64 s[4:5], 0, v14
	s_and_saveexec_b64 s[46:47], s[4:5]
	s_cbranch_execz .LBB298_173
; %bb.168:                              ;   in Loop: Header=BB298_14 Depth=1
	v_cmp_ne_u16_e64 s[4:5], s60, v14
	v_bfrev_b32_e32 v52, 1
	s_and_saveexec_b64 s[48:49], s[4:5]
	s_cbranch_execz .LBB298_172
; %bb.169:                              ;   in Loop: Header=BB298_14 Depth=1
	v_and_b32_e32 v54, 0x7f, v14
	v_cmp_ne_u32_e64 s[4:5], s61, v54
	v_mov_b32_e32 v52, 0x7fc02000
	s_and_saveexec_b64 s[50:51], s[4:5]
	s_cbranch_execz .LBB298_171
; %bb.170:                              ;   in Loop: Header=BB298_14 Depth=1
	v_and_b32_e32 v52, 7, v14
	v_ffbh_u32_e32 v56, v52
	v_min_u32_e32 v58, 32, v56
	v_subrev_u32_e32 v56, 28, v58
	v_lshlrev_b64 v[56:57], v56, v[14:15]
	v_lshrrev_b32_e32 v55, 3, v54
	v_sub_u32_e32 v57, 29, v58
	v_cmp_gt_u32_e64 s[4:5], 8, v54
	v_cndmask_b32_e64 v54, v55, v57, s[4:5]
	v_and_b32_e32 v56, 7, v56
	v_lshlrev_b32_e32 v14, 8, v14
	v_lshl_add_u32 v54, v54, 10, v24
	v_cndmask_b32_e64 v52, v52, v56, s[4:5]
	v_and_or_b32 v14, v14, s62, v54
	v_lshl_or_b32 v14, v52, 7, v14
	v_cvt_f32_f16_e32 v52, v14
.LBB298_171:                            ;   in Loop: Header=BB298_14 Depth=1
	s_or_b64 exec, exec, s[50:51]
.LBB298_172:                            ;   in Loop: Header=BB298_14 Depth=1
	s_or_b64 exec, exec, s[48:49]
.LBB298_173:                            ;   in Loop: Header=BB298_14 Depth=1
	s_or_b64 exec, exec, s[46:47]
	v_lshrrev_b32_e32 v14, 16, v12
	v_cmp_ne_u16_sdwa s[4:5], v14, v17 src0_sel:BYTE_0 src1_sel:DWORD
	v_mov_b32_e32 v54, 0
	v_mov_b32_e32 v55, 0
	s_and_saveexec_b64 s[46:47], s[4:5]
	s_cbranch_execz .LBB298_179
; %bb.174:                              ;   in Loop: Header=BB298_14 Depth=1
	v_cmp_ne_u16_sdwa s[4:5], v14, s60 src0_sel:BYTE_0 src1_sel:DWORD
	v_bfrev_b32_e32 v55, 1
	s_and_saveexec_b64 s[48:49], s[4:5]
	s_cbranch_execz .LBB298_178
; %bb.175:                              ;   in Loop: Header=BB298_14 Depth=1
	v_bfe_u32 v56, v12, 16, 7
	v_cmp_ne_u32_e64 s[4:5], s61, v56
	v_mov_b32_e32 v55, 0x7fc02000
	s_and_saveexec_b64 s[50:51], s[4:5]
	s_cbranch_execz .LBB298_177
; %bb.176:                              ;   in Loop: Header=BB298_14 Depth=1
	v_and_b32_e32 v55, 7, v14
	v_ffbh_u32_e32 v58, v55
	v_min_u32_e32 v60, 32, v58
	v_subrev_u32_e32 v58, 28, v60
	v_lshlrev_b64 v[58:59], v58, v[14:15]
	v_lshrrev_b32_e32 v57, 3, v56
	v_sub_u32_e32 v59, 29, v60
	v_cmp_gt_u32_e64 s[4:5], 8, v56
	v_cndmask_b32_e64 v56, v57, v59, s[4:5]
	v_and_b32_e32 v58, 7, v58
	v_lshlrev_b32_e32 v14, 8, v14
	v_lshl_add_u32 v56, v56, 10, v24
	v_cndmask_b32_e64 v55, v55, v58, s[4:5]
	v_and_or_b32 v14, v14, s62, v56
	v_lshl_or_b32 v14, v55, 7, v14
	v_cvt_f32_f16_e32 v55, v14
.LBB298_177:                            ;   in Loop: Header=BB298_14 Depth=1
	s_or_b64 exec, exec, s[50:51]
.LBB298_178:                            ;   in Loop: Header=BB298_14 Depth=1
	s_or_b64 exec, exec, s[48:49]
.LBB298_179:                            ;   in Loop: Header=BB298_14 Depth=1
	s_or_b64 exec, exec, s[46:47]
	v_cmp_lt_u32_e64 s[4:5], s63, v12
	s_and_saveexec_b64 s[46:47], s[4:5]
	s_cbranch_execz .LBB298_185
; %bb.180:                              ;   in Loop: Header=BB298_14 Depth=1
	v_lshrrev_b32_e32 v12, 24, v12
	v_cmp_ne_u32_e64 s[4:5], s60, v12
	v_bfrev_b32_e32 v54, 1
	s_and_saveexec_b64 s[48:49], s[4:5]
	s_cbranch_execz .LBB298_184
; %bb.181:                              ;   in Loop: Header=BB298_14 Depth=1
	v_and_b32_e32 v14, 0x7f, v12
	v_cmp_ne_u32_e64 s[4:5], s61, v14
	v_mov_b32_e32 v54, 0x7fc02000
	s_and_saveexec_b64 s[50:51], s[4:5]
	s_cbranch_execz .LBB298_183
; %bb.182:                              ;   in Loop: Header=BB298_14 Depth=1
	v_and_b32_e32 v54, 7, v12
	v_ffbh_u32_e32 v56, v54
	v_min_u32_e32 v59, 32, v56
	v_subrev_u32_e32 v56, 28, v59
	v_lshlrev_b64 v[56:57], v56, v[12:13]
	v_lshrrev_b32_e32 v58, 3, v14
	v_sub_u32_e32 v57, 29, v59
	v_cmp_gt_u32_e64 s[4:5], 8, v14
	v_cndmask_b32_e64 v14, v58, v57, s[4:5]
	v_and_b32_e32 v56, 7, v56
	v_lshlrev_b32_e32 v12, 8, v12
	v_lshl_add_u32 v14, v14, 10, v24
	v_cndmask_b32_e64 v54, v54, v56, s[4:5]
	v_and_or_b32 v12, v12, s62, v14
	v_lshl_or_b32 v12, v54, 7, v12
	v_cvt_f32_f16_e32 v54, v12
.LBB298_183:                            ;   in Loop: Header=BB298_14 Depth=1
	s_or_b64 exec, exec, s[50:51]
.LBB298_184:                            ;   in Loop: Header=BB298_14 Depth=1
	s_or_b64 exec, exec, s[48:49]
.LBB298_185:                            ;   in Loop: Header=BB298_14 Depth=1
	s_or_b64 exec, exec, s[46:47]
	global_load_dword v10, v[10:11], off offset:1544
	v_mov_b32_e32 v11, 0
	v_mov_b32_e32 v14, 0
	s_waitcnt vmcnt(0)
	v_cmp_ne_u16_sdwa s[4:5], v10, v17 src0_sel:BYTE_0 src1_sel:DWORD
	s_and_saveexec_b64 s[46:47], s[4:5]
	s_cbranch_execz .LBB298_191
; %bb.186:                              ;   in Loop: Header=BB298_14 Depth=1
	v_cmp_ne_u16_sdwa s[4:5], v10, s60 src0_sel:BYTE_0 src1_sel:DWORD
	v_bfrev_b32_e32 v14, 1
	s_and_saveexec_b64 s[48:49], s[4:5]
	s_cbranch_execz .LBB298_190
; %bb.187:                              ;   in Loop: Header=BB298_14 Depth=1
	v_and_b32_e32 v12, 0x7f, v10
	v_cmp_ne_u32_e64 s[4:5], s61, v12
	v_mov_b32_e32 v14, 0x7fc02000
	s_and_saveexec_b64 s[50:51], s[4:5]
	s_cbranch_execz .LBB298_189
; %bb.188:                              ;   in Loop: Header=BB298_14 Depth=1
	v_and_b32_e32 v14, 7, v10
	v_ffbh_u32_e32 v56, v14
	v_min_u32_e32 v59, 32, v56
	v_subrev_u32_e32 v56, 28, v59
	v_lshlrev_b64 v[56:57], v56, v[10:11]
	v_lshrrev_b32_e32 v58, 3, v12
	v_sub_u32_e32 v57, 29, v59
	v_cmp_gt_u32_e64 s[4:5], 8, v12
	v_and_b32_e32 v56, 7, v56
	v_cndmask_b32_e64 v12, v58, v57, s[4:5]
	v_cndmask_b32_e64 v14, v14, v56, s[4:5]
	v_lshlrev_b32_e32 v56, 8, v10
	v_lshl_add_u32 v12, v12, 10, v24
	v_and_or_b32 v12, v56, s62, v12
	v_lshl_or_b32 v12, v14, 7, v12
	v_cvt_f32_f16_e32 v14, v12
.LBB298_189:                            ;   in Loop: Header=BB298_14 Depth=1
	s_or_b64 exec, exec, s[50:51]
.LBB298_190:                            ;   in Loop: Header=BB298_14 Depth=1
	s_or_b64 exec, exec, s[48:49]
.LBB298_191:                            ;   in Loop: Header=BB298_14 Depth=1
	s_or_b64 exec, exec, s[46:47]
	v_lshrrev_b16_e32 v12, 8, v10
	v_cmp_ne_u16_e64 s[4:5], 0, v12
	s_and_saveexec_b64 s[46:47], s[4:5]
	s_cbranch_execz .LBB298_197
; %bb.192:                              ;   in Loop: Header=BB298_14 Depth=1
	v_cmp_ne_u16_e64 s[4:5], s60, v12
	v_bfrev_b32_e32 v11, 1
	s_and_saveexec_b64 s[48:49], s[4:5]
	s_cbranch_execz .LBB298_196
; %bb.193:                              ;   in Loop: Header=BB298_14 Depth=1
	v_and_b32_e32 v56, 0x7f, v12
	v_cmp_ne_u32_e64 s[4:5], s61, v56
	v_mov_b32_e32 v11, 0x7fc02000
	s_and_saveexec_b64 s[50:51], s[4:5]
	s_cbranch_execz .LBB298_195
; %bb.194:                              ;   in Loop: Header=BB298_14 Depth=1
	v_and_b32_e32 v11, 7, v12
	v_ffbh_u32_e32 v58, v11
	v_min_u32_e32 v60, 32, v58
	v_subrev_u32_e32 v58, 28, v60
	v_lshlrev_b64 v[58:59], v58, v[12:13]
	v_lshrrev_b32_e32 v57, 3, v56
	v_sub_u32_e32 v59, 29, v60
	v_cmp_gt_u32_e64 s[4:5], 8, v56
	v_cndmask_b32_e64 v56, v57, v59, s[4:5]
	v_and_b32_e32 v58, 7, v58
	v_lshlrev_b32_e32 v12, 8, v12
	v_lshl_add_u32 v56, v56, 10, v24
	v_cndmask_b32_e64 v11, v11, v58, s[4:5]
	v_and_or_b32 v12, v12, s62, v56
	v_lshl_or_b32 v11, v11, 7, v12
	v_cvt_f32_f16_e32 v11, v11
.LBB298_195:                            ;   in Loop: Header=BB298_14 Depth=1
	s_or_b64 exec, exec, s[50:51]
.LBB298_196:                            ;   in Loop: Header=BB298_14 Depth=1
	s_or_b64 exec, exec, s[48:49]
.LBB298_197:                            ;   in Loop: Header=BB298_14 Depth=1
	s_or_b64 exec, exec, s[46:47]
	v_lshrrev_b32_e32 v12, 16, v10
	v_cmp_ne_u16_sdwa s[4:5], v12, v17 src0_sel:BYTE_0 src1_sel:DWORD
	v_mov_b32_e32 v56, 0
	v_mov_b32_e32 v57, 0
	s_and_saveexec_b64 s[46:47], s[4:5]
	s_cbranch_execz .LBB298_203
; %bb.198:                              ;   in Loop: Header=BB298_14 Depth=1
	v_cmp_ne_u16_sdwa s[4:5], v12, s60 src0_sel:BYTE_0 src1_sel:DWORD
	v_bfrev_b32_e32 v57, 1
	s_and_saveexec_b64 s[48:49], s[4:5]
	s_cbranch_execz .LBB298_202
; %bb.199:                              ;   in Loop: Header=BB298_14 Depth=1
	v_bfe_u32 v58, v10, 16, 7
	v_cmp_ne_u32_e64 s[4:5], s61, v58
	v_mov_b32_e32 v57, 0x7fc02000
	s_and_saveexec_b64 s[50:51], s[4:5]
	s_cbranch_execz .LBB298_201
; %bb.200:                              ;   in Loop: Header=BB298_14 Depth=1
	v_and_b32_e32 v57, 7, v12
	v_ffbh_u32_e32 v60, v57
	v_min_u32_e32 v62, 32, v60
	v_subrev_u32_e32 v60, 28, v62
	v_lshlrev_b64 v[60:61], v60, v[12:13]
	v_lshrrev_b32_e32 v59, 3, v58
	v_sub_u32_e32 v61, 29, v62
	v_cmp_gt_u32_e64 s[4:5], 8, v58
	v_cndmask_b32_e64 v58, v59, v61, s[4:5]
	v_and_b32_e32 v60, 7, v60
	v_lshlrev_b32_e32 v12, 8, v12
	v_lshl_add_u32 v58, v58, 10, v24
	v_cndmask_b32_e64 v57, v57, v60, s[4:5]
	v_and_or_b32 v12, v12, s62, v58
	v_lshl_or_b32 v12, v57, 7, v12
	v_cvt_f32_f16_e32 v57, v12
.LBB298_201:                            ;   in Loop: Header=BB298_14 Depth=1
	s_or_b64 exec, exec, s[50:51]
.LBB298_202:                            ;   in Loop: Header=BB298_14 Depth=1
	s_or_b64 exec, exec, s[48:49]
.LBB298_203:                            ;   in Loop: Header=BB298_14 Depth=1
	s_or_b64 exec, exec, s[46:47]
	v_cmp_lt_u32_e64 s[4:5], s63, v10
	s_and_saveexec_b64 s[46:47], s[4:5]
	s_cbranch_execz .LBB298_209
; %bb.204:                              ;   in Loop: Header=BB298_14 Depth=1
	v_lshrrev_b32_e32 v10, 24, v10
	v_cmp_ne_u32_e64 s[4:5], s60, v10
	v_bfrev_b32_e32 v56, 1
	s_and_saveexec_b64 s[48:49], s[4:5]
	s_cbranch_execz .LBB298_208
; %bb.205:                              ;   in Loop: Header=BB298_14 Depth=1
	v_and_b32_e32 v12, 0x7f, v10
	v_cmp_ne_u32_e64 s[4:5], s61, v12
	v_mov_b32_e32 v56, 0x7fc02000
	s_and_saveexec_b64 s[50:51], s[4:5]
	s_cbranch_execz .LBB298_207
; %bb.206:                              ;   in Loop: Header=BB298_14 Depth=1
	v_and_b32_e32 v56, 7, v10
	v_ffbh_u32_e32 v58, v56
	v_min_u32_e32 v61, 32, v58
	v_subrev_u32_e32 v58, 28, v61
	v_lshlrev_b64 v[58:59], v58, v[10:11]
	v_lshrrev_b32_e32 v60, 3, v12
	v_sub_u32_e32 v59, 29, v61
	v_cmp_gt_u32_e64 s[4:5], 8, v12
	v_cndmask_b32_e64 v12, v60, v59, s[4:5]
	v_and_b32_e32 v58, 7, v58
	v_lshlrev_b32_e32 v10, 8, v10
	v_lshl_add_u32 v12, v12, 10, v24
	v_cndmask_b32_e64 v56, v56, v58, s[4:5]
	v_and_or_b32 v10, v10, s62, v12
	v_lshl_or_b32 v10, v56, 7, v10
	v_cvt_f32_f16_e32 v56, v10
.LBB298_207:                            ;   in Loop: Header=BB298_14 Depth=1
	s_or_b64 exec, exec, s[50:51]
.LBB298_208:                            ;   in Loop: Header=BB298_14 Depth=1
	s_or_b64 exec, exec, s[48:49]
.LBB298_209:                            ;   in Loop: Header=BB298_14 Depth=1
	s_or_b64 exec, exec, s[46:47]
	v_fma_mixlo_f16 v12, v27, v52, 0
	v_fma_mixlo_f16 v52, v27, v53, 0
	;; [unrolled: 1-line block ×5, first 2 shown]
	ds_read_b64 v[32:33], v18
	v_fma_mixlo_f16 v28, v27, v28, 0
	v_fma_mixlo_f16 v29, v27, v29, 0
	v_and_b32_e32 v28, 0xffff, v28
	v_fma_mixlo_f16 v31, v27, v31, 0
	s_waitcnt lgkmcnt(0)
	v_lshrrev_b32_e32 v58, 16, v32
	v_and_b32_e32 v32, 0xffff, v32
	;;#ASMSTART
	v_cvt_f32_f16 v32, v32;
	;;#ASMEND
	;;#ASMSTART
	v_cvt_f32_f16 v58, v58;
	;;#ASMEND
	v_and_b32_e32 v29, 0xffff, v29
	;;#ASMSTART
	v_cvt_f32_f16 v59, v29;
	;;#ASMEND
	;;#ASMSTART
	v_cvt_f32_f16 v60, v28;
	;;#ASMEND
	v_lshrrev_b32_e32 v28, 16, v33
	v_fma_mixlo_f16 v30, v27, v30, 0
	v_and_b32_e32 v29, 0xffff, v33
	;;#ASMSTART
	v_cvt_f32_f16 v33, v29;
	;;#ASMEND
	;;#ASMSTART
	v_cvt_f32_f16 v61, v28;
	;;#ASMEND
	v_and_b32_e32 v28, 0xffff, v31
	;;#ASMSTART
	v_cvt_f32_f16 v31, v28;
	;;#ASMEND
	v_and_b32_e32 v28, 0xffff, v30
	;;#ASMSTART
	v_cvt_f32_f16 v30, v28;
	;;#ASMEND
	ds_read_b64 v[28:29], v18 offset:8
	v_fma_mixlo_f16 v62, v27, v11, 0
	v_and_b32_e32 v55, 0xffff, v55
	v_and_b32_e32 v10, 0xffff, v10
	v_fma_mixlo_f16 v35, v27, v35, 0
	s_waitcnt lgkmcnt(0)
	v_lshrrev_b32_e32 v11, 16, v28
	v_and_b32_e32 v28, 0xffff, v28
	;;#ASMSTART
	v_cvt_f32_f16 v28, v28;
	;;#ASMEND
	;;#ASMSTART
	v_cvt_f32_f16 v11, v11;
	;;#ASMEND
	;; [unrolled: 3-line block ×4, first 2 shown]
	v_mul_f32_e32 v28, v28, v55
	v_fmac_f32_e32 v28, v32, v59
	v_mul_f32_e32 v32, v11, v10
	v_lshrrev_b32_e32 v10, 16, v29
	v_fma_mixlo_f16 v34, v27, v34, 0
	v_and_b32_e32 v11, 0xffff, v29
	;;#ASMSTART
	v_cvt_f32_f16 v29, v11;
	;;#ASMEND
	;;#ASMSTART
	v_cvt_f32_f16 v55, v10;
	;;#ASMEND
	v_and_b32_e32 v10, 0xffff, v35
	;;#ASMSTART
	v_cvt_f32_f16 v35, v10;
	;;#ASMEND
	v_and_b32_e32 v10, 0xffff, v34
	;;#ASMSTART
	v_cvt_f32_f16 v34, v10;
	;;#ASMEND
	ds_read_b64 v[10:11], v18 offset:16
	v_mul_f32_e32 v29, v29, v35
	v_fmac_f32_e32 v29, v33, v31
	v_mul_f32_e32 v31, v55, v34
	v_fma_mixlo_f16 v37, v27, v37, 0
	v_fmac_f32_e32 v31, v61, v30
	s_waitcnt lgkmcnt(0)
	v_lshrrev_b32_e32 v30, 16, v10
	v_and_b32_e32 v10, 0xffff, v10
	v_fma_mixlo_f16 v36, v27, v36, 0
	;;#ASMSTART
	v_cvt_f32_f16 v33, v10;
	;;#ASMEND
	v_and_b32_e32 v10, 0xffff, v37
	;;#ASMSTART
	v_cvt_f32_f16 v30, v30;
	;;#ASMEND
	;;#ASMSTART
	v_cvt_f32_f16 v34, v10;
	;;#ASMEND
	v_and_b32_e32 v10, 0xffff, v36
	v_fma_mixlo_f16 v39, v27, v39, 0
	;;#ASMSTART
	v_cvt_f32_f16 v35, v10;
	;;#ASMEND
	v_lshrrev_b32_e32 v10, 16, v11
	v_fma_mixlo_f16 v38, v27, v38, 0
	v_and_b32_e32 v11, 0xffff, v11
	;;#ASMSTART
	v_cvt_f32_f16 v36, v11;
	;;#ASMEND
	;;#ASMSTART
	v_cvt_f32_f16 v37, v10;
	;;#ASMEND
	v_and_b32_e32 v10, 0xffff, v39
	;;#ASMSTART
	v_cvt_f32_f16 v39, v10;
	;;#ASMEND
	v_and_b32_e32 v10, 0xffff, v38
	;;#ASMSTART
	v_cvt_f32_f16 v38, v10;
	;;#ASMEND
	ds_read_b64 v[10:11], v18 offset:24
	v_fmac_f32_e32 v32, v58, v60
	v_fma_mixlo_f16 v41, v27, v41, 0
	v_fmac_f32_e32 v32, v30, v35
	v_fma_mixlo_f16 v40, v27, v40, 0
	s_waitcnt lgkmcnt(0)
	v_lshrrev_b32_e32 v30, 16, v10
	v_and_b32_e32 v10, 0xffff, v10
	v_fmac_f32_e32 v28, v33, v34
	;;#ASMSTART
	v_cvt_f32_f16 v33, v10;
	;;#ASMEND
	v_and_b32_e32 v10, 0xffff, v41
	;;#ASMSTART
	v_cvt_f32_f16 v30, v30;
	;;#ASMEND
	;;#ASMSTART
	v_cvt_f32_f16 v34, v10;
	;;#ASMEND
	v_and_b32_e32 v10, 0xffff, v40
	v_fma_mixlo_f16 v43, v27, v43, 0
	;;#ASMSTART
	v_cvt_f32_f16 v35, v10;
	;;#ASMEND
	v_lshrrev_b32_e32 v10, 16, v11
	v_fma_mixlo_f16 v42, v27, v42, 0
	v_fmac_f32_e32 v29, v36, v39
	v_fmac_f32_e32 v31, v37, v38
	v_and_b32_e32 v11, 0xffff, v11
	;;#ASMSTART
	v_cvt_f32_f16 v36, v11;
	;;#ASMEND
	;;#ASMSTART
	v_cvt_f32_f16 v37, v10;
	;;#ASMEND
	v_and_b32_e32 v10, 0xffff, v43
	;;#ASMSTART
	v_cvt_f32_f16 v38, v10;
	;;#ASMEND
	v_and_b32_e32 v10, 0xffff, v42
	;;#ASMSTART
	v_cvt_f32_f16 v39, v10;
	;;#ASMEND
	ds_read_b64 v[10:11], v18 offset:32
	v_fma_mixlo_f16 v45, v27, v45, 0
	v_fmac_f32_e32 v32, v30, v35
	v_fma_mixlo_f16 v44, v27, v44, 0
	v_fmac_f32_e32 v28, v33, v34
	s_waitcnt lgkmcnt(0)
	v_lshrrev_b32_e32 v30, 16, v10
	v_and_b32_e32 v10, 0xffff, v10
	;;#ASMSTART
	v_cvt_f32_f16 v33, v10;
	;;#ASMEND
	v_and_b32_e32 v10, 0xffff, v45
	;;#ASMSTART
	v_cvt_f32_f16 v30, v30;
	;;#ASMEND
	;;#ASMSTART
	v_cvt_f32_f16 v34, v10;
	;;#ASMEND
	v_and_b32_e32 v10, 0xffff, v44
	v_fma_mixlo_f16 v47, v27, v47, 0
	;;#ASMSTART
	v_cvt_f32_f16 v35, v10;
	;;#ASMEND
	v_lshrrev_b32_e32 v10, 16, v11
	v_fma_mixlo_f16 v46, v27, v46, 0
	v_fmac_f32_e32 v29, v36, v38
	v_fmac_f32_e32 v31, v37, v39
	v_and_b32_e32 v11, 0xffff, v11
	;;#ASMSTART
	v_cvt_f32_f16 v36, v11;
	;;#ASMEND
	;;#ASMSTART
	v_cvt_f32_f16 v37, v10;
	;;#ASMEND
	v_and_b32_e32 v10, 0xffff, v47
	;;#ASMSTART
	v_cvt_f32_f16 v38, v10;
	;;#ASMEND
	v_and_b32_e32 v10, 0xffff, v46
	;;#ASMSTART
	v_cvt_f32_f16 v39, v10;
	;;#ASMEND
	ds_read_b64 v[10:11], v18 offset:40
	v_fma_mixlo_f16 v49, v27, v49, 0
	v_fmac_f32_e32 v32, v30, v35
	v_fma_mixlo_f16 v48, v27, v48, 0
	v_fmac_f32_e32 v28, v33, v34
	s_waitcnt lgkmcnt(0)
	v_lshrrev_b32_e32 v30, 16, v10
	v_and_b32_e32 v10, 0xffff, v10
	;;#ASMSTART
	v_cvt_f32_f16 v33, v10;
	;;#ASMEND
	v_and_b32_e32 v10, 0xffff, v49
	;;#ASMSTART
	v_cvt_f32_f16 v30, v30;
	;;#ASMEND
	;;#ASMSTART
	v_cvt_f32_f16 v34, v10;
	;;#ASMEND
	v_and_b32_e32 v10, 0xffff, v48
	v_fma_mixlo_f16 v51, v27, v51, 0
	;;#ASMSTART
	v_cvt_f32_f16 v35, v10;
	;;#ASMEND
	v_lshrrev_b32_e32 v10, 16, v11
	v_fma_mixlo_f16 v50, v27, v50, 0
	v_fmac_f32_e32 v29, v36, v38
	v_fmac_f32_e32 v31, v37, v39
	v_and_b32_e32 v11, 0xffff, v11
	;;#ASMSTART
	v_cvt_f32_f16 v36, v11;
	;;#ASMEND
	;;#ASMSTART
	v_cvt_f32_f16 v37, v10;
	;;#ASMEND
	v_and_b32_e32 v10, 0xffff, v51
	;;#ASMSTART
	v_cvt_f32_f16 v38, v10;
	;;#ASMEND
	v_and_b32_e32 v10, 0xffff, v50
	;;#ASMSTART
	v_cvt_f32_f16 v39, v10;
	;;#ASMEND
	ds_read_b64 v[10:11], v18 offset:48
	v_fmac_f32_e32 v32, v30, v35
	v_fmac_f32_e32 v28, v33, v34
	v_fma_mixlo_f16 v54, v27, v54, 0
	v_fmac_f32_e32 v29, v36, v38
	s_waitcnt lgkmcnt(0)
	v_lshrrev_b32_e32 v30, 16, v10
	v_and_b32_e32 v10, 0xffff, v10
	;;#ASMSTART
	v_cvt_f32_f16 v33, v10;
	;;#ASMEND
	v_and_b32_e32 v10, 0xffff, v52
	;;#ASMSTART
	v_cvt_f32_f16 v30, v30;
	;;#ASMEND
	;;#ASMSTART
	v_cvt_f32_f16 v34, v10;
	;;#ASMEND
	v_and_b32_e32 v10, 0xffff, v12
	;;#ASMSTART
	v_cvt_f32_f16 v12, v10;
	;;#ASMEND
	v_lshrrev_b32_e32 v10, 16, v11
	v_and_b32_e32 v11, 0xffff, v11
	;;#ASMSTART
	v_cvt_f32_f16 v35, v11;
	;;#ASMEND
	;;#ASMSTART
	v_cvt_f32_f16 v36, v10;
	;;#ASMEND
	v_and_b32_e32 v10, 0xffff, v53
	v_fmac_f32_e32 v31, v37, v39
	;;#ASMSTART
	v_cvt_f32_f16 v37, v10;
	;;#ASMEND
	v_and_b32_e32 v10, 0xffff, v54
	;;#ASMSTART
	v_cvt_f32_f16 v38, v10;
	;;#ASMEND
	ds_read_b64 v[10:11], v18 offset:56
	v_fma_mixlo_f16 v14, v27, v14, 0
	v_fmac_f32_e32 v32, v30, v12
	v_fma_mixlo_f16 v57, v27, v57, 0
	v_fmac_f32_e32 v28, v33, v34
	s_waitcnt lgkmcnt(0)
	v_lshrrev_b32_e32 v12, 16, v10
	v_and_b32_e32 v10, 0xffff, v10
	;;#ASMSTART
	v_cvt_f32_f16 v10, v10;
	;;#ASMEND
	;;#ASMSTART
	v_cvt_f32_f16 v12, v12;
	;;#ASMEND
	v_and_b32_e32 v14, 0xffff, v14
	v_and_b32_e32 v30, 0xffff, v62
	;;#ASMSTART
	v_cvt_f32_f16 v14, v14;
	;;#ASMEND
	;;#ASMSTART
	v_cvt_f32_f16 v30, v30;
	;;#ASMEND
	v_fmac_f32_e32 v28, v10, v14
	v_fmac_f32_e32 v32, v12, v30
	v_lshrrev_b32_e32 v10, 16, v11
	v_and_b32_e32 v11, 0xffff, v11
	v_and_b32_e32 v12, 0xffff, v57
	v_fmac_f32_e32 v29, v35, v37
	;;#ASMSTART
	v_cvt_f32_f16 v11, v11;
	;;#ASMEND
	;;#ASMSTART
	v_cvt_f32_f16 v10, v10;
	;;#ASMEND
	;;#ASMSTART
	v_cvt_f32_f16 v12, v12;
	;;#ASMEND
	v_fma_mixlo_f16 v27, v27, v56, 0
	v_fmac_f32_e32 v29, v11, v12
	v_and_b32_e32 v12, 64, v25
	v_fmac_f32_e32 v31, v36, v38
	v_and_b32_e32 v14, 0xffff, v27
	v_xor_b32_e32 v11, 1, v25
	v_add_u32_e32 v12, 64, v12
	;;#ASMSTART
	v_cvt_f32_f16 v14, v14;
	;;#ASMEND
	v_fmac_f32_e32 v31, v10, v14
	v_add_f32_e32 v10, v28, v32
	v_cmp_lt_i32_e64 s[4:5], v11, v12
	v_add_f32_e32 v10, v10, v29
	v_cndmask_b32_e64 v11, v25, v11, s[4:5]
	v_add_f32_e32 v10, v31, v10
	v_lshlrev_b32_e32 v11, 2, v11
	ds_bpermute_b32 v11, v11, v10
	s_and_saveexec_b64 s[46:47], vcc
	s_cbranch_execz .LBB298_12
; %bb.210:                              ;   in Loop: Header=BB298_14 Depth=1
	v_add_u32_e32 v12, v23, v21
	v_cvt_f32_i32_e32 v12, v12
	s_waitcnt lgkmcnt(0)
	v_add_f32_e32 v10, v10, v11
	v_add_u32_e32 v14, v16, v21
	v_cmp_gt_i32_e64 s[4:5], s33, v14
	v_mul_f32_e32 v11, s55, v12
	v_cndmask_b32_e64 v11, 0, v11, s[2:3]
	v_fmac_f32_e32 v11, s43, v10
	v_cndmask_b32_e64 v10, 0, v11, s[4:5]
	ds_write_b32 v22, v10
	v_max_f32_e32 v10, v20, v20
	v_max_f32_e32 v10, v10, v11
	v_cndmask_b32_e64 v20, v20, v10, s[4:5]
	s_branch .LBB298_12
.LBB298_211:
	s_or_b64 exec, exec, s[44:45]
.LBB298_212:
	s_or_b64 exec, exec, s[18:19]
	v_mbcnt_hi_u32_b32 v4, -1, v5
	v_and_b32_e32 v2, 64, v4
	s_waitcnt lgkmcnt(0)
	v_add_u32_e32 v11, 64, v2
	v_xor_b32_e32 v2, 32, v4
	v_cmp_lt_i32_e32 vcc, v2, v11
	v_cndmask_b32_e32 v2, v4, v2, vcc
	v_lshlrev_b32_e32 v2, 2, v2
	ds_bpermute_b32 v3, v2, v20
	v_xor_b32_e32 v8, 16, v4
	v_max_f32_e32 v5, v20, v20
	v_cmp_lt_i32_e32 vcc, v8, v11
	v_xor_b32_e32 v9, 8, v4
	s_waitcnt lgkmcnt(0)
	v_max_f32_e32 v3, v3, v3
	v_max_f32_e32 v5, v5, v3
	v_cndmask_b32_e32 v3, v4, v8, vcc
	v_lshlrev_b32_e32 v3, 2, v3
	ds_bpermute_b32 v8, v3, v5
	v_cmp_lt_i32_e32 vcc, v9, v11
	v_xor_b32_e32 v10, 4, v4
	v_xor_b32_e32 v12, 2, v4
	v_and_b32_e32 v17, 63, v0
	s_waitcnt lgkmcnt(0)
	v_max_f32_e32 v8, v8, v8
	v_max_f32_e32 v8, v5, v8
	v_cndmask_b32_e32 v5, v4, v9, vcc
	v_lshlrev_b32_e32 v5, 2, v5
	ds_bpermute_b32 v9, v5, v8
	v_cmp_lt_i32_e32 vcc, v10, v11
	s_waitcnt lgkmcnt(0)
	v_max_f32_e32 v9, v9, v9
	v_max_f32_e32 v9, v8, v9
	v_cndmask_b32_e32 v8, v4, v10, vcc
	v_lshlrev_b32_e32 v8, 2, v8
	ds_bpermute_b32 v10, v8, v9
	v_cmp_lt_i32_e32 vcc, v12, v11
	s_waitcnt lgkmcnt(0)
	v_max_f32_e32 v10, v10, v10
	v_max_f32_e32 v10, v9, v10
	v_cndmask_b32_e32 v9, v4, v12, vcc
	v_lshlrev_b32_e32 v24, 2, v9
	ds_bpermute_b32 v12, v24, v10
	v_cmp_eq_u32_e32 vcc, 0, v17
	v_lshlrev_b32_e32 v9, 2, v15
	s_and_saveexec_b64 s[2:3], vcc
	s_cbranch_execz .LBB298_214
; %bb.213:
	s_waitcnt lgkmcnt(0)
	v_max_f32_e32 v12, v12, v12
	v_max_f32_e32 v10, v10, v10
	;; [unrolled: 1-line block ×3, first 2 shown]
	ds_write_b32 v9, v10 offset:128
.LBB298_214:
	s_or_b64 exec, exec, s[2:3]
	v_cmp_gt_u32_e64 s[2:3], 2, v17
	s_waitcnt lgkmcnt(0)
	v_mov_b32_e32 v12, 0xff7fffff
	v_lshlrev_b32_e32 v10, 2, v17
	s_barrier
	s_and_saveexec_b64 s[4:5], s[2:3]
	s_cbranch_execz .LBB298_216
; %bb.215:
	ds_read_b32 v12, v10 offset:128
.LBB298_216:
	s_or_b64 exec, exec, s[4:5]
	v_xor_b32_e32 v14, 1, v4
	v_cmp_lt_i32_e64 s[4:5], v14, v11
	v_cndmask_b32_e64 v11, v4, v14, s[4:5]
	v_lshlrev_b32_e32 v25, 2, v11
	s_waitcnt lgkmcnt(0)
	ds_bpermute_b32 v11, v25, v12
	v_max_f32_e32 v12, v12, v12
	v_lshlrev_b32_e32 v4, 2, v4
	s_sub_i32 s4, s53, s56
	s_lshl_b32 s4, s4, 5
	s_waitcnt lgkmcnt(0)
	v_max_f32_e32 v11, v11, v11
	v_max_f32_e32 v12, v12, v11
	v_and_b32_e32 v11, 0x100, v4
	ds_bpermute_b32 v4, v11, v12
	s_add_i32 s4, s4, s54
	s_min_i32 s44, s4, s33
	s_sub_i32 s43, s44, s54
	v_cmp_gt_i32_e64 s[4:5], s43, v0
	v_mov_b32_e32 v12, 0
	s_and_saveexec_b64 s[12:13], s[4:5]
	s_cbranch_execz .LBB298_220
; %bb.217:
	v_mov_b32_e32 v12, 0x90
	v_lshl_add_u32 v14, v0, 2, v12
	s_mov_b64 s[18:19], 0
	v_mov_b32_e32 v12, 0
	v_mov_b32_e32 v16, v0
.LBB298_218:                            ; =>This Inner Loop Header: Depth=1
	ds_read_b32 v18, v14
	v_add_u32_e32 v16, 0x80, v16
	v_cmp_le_i32_e64 s[10:11], s43, v16
	s_or_b64 s[18:19], s[10:11], s[18:19]
	s_waitcnt lgkmcnt(0)
	v_sub_f32_e32 v18, v18, v4
	v_mul_f32_e32 v18, 0x3fb8aa3b, v18
	v_exp_f32_e32 v18, v18
	ds_write_b32 v14, v18
	v_add_f32_e32 v12, v12, v18
	v_add_u32_e32 v14, 0x200, v14
	s_andn2_b64 exec, exec, s[18:19]
	s_cbranch_execnz .LBB298_218
; %bb.219:
	s_or_b64 exec, exec, s[18:19]
.LBB298_220:
	s_or_b64 exec, exec, s[12:13]
	ds_bpermute_b32 v2, v2, v12
	s_waitcnt lgkmcnt(0)
	v_add_f32_e32 v2, v12, v2
	ds_bpermute_b32 v3, v3, v2
	s_waitcnt lgkmcnt(0)
	v_add_f32_e32 v2, v2, v3
	;; [unrolled: 3-line block ×6, first 2 shown]
	s_and_saveexec_b64 s[10:11], vcc
	s_cbranch_execz .LBB298_222
; %bb.221:
	ds_write_b32 v9, v2 offset:136
.LBB298_222:
	s_or_b64 exec, exec, s[10:11]
	s_waitcnt lgkmcnt(0)
	s_barrier
	s_and_saveexec_b64 s[10:11], s[2:3]
	s_cbranch_execz .LBB298_224
; %bb.223:
	ds_read_b32 v2, v10 offset:136
.LBB298_224:
	s_or_b64 exec, exec, s[10:11]
	s_waitcnt lgkmcnt(0)
	ds_bpermute_b32 v3, v25, v2
	s_waitcnt lgkmcnt(0)
	v_add_f32_e32 v2, v2, v3
	ds_bpermute_b32 v5, v11, v2
	s_and_saveexec_b64 s[2:3], s[4:5]
	s_cbranch_execz .LBB298_237
; %bb.225:
	s_waitcnt lgkmcnt(0)
	v_add_f32_e32 v2, 0x358637bd, v5
	v_div_scale_f32 v3, s[4:5], v2, v2, 1.0
	v_rcp_f32_e32 v8, v3
	v_div_scale_f32 v9, vcc, 1.0, v2, 1.0
	s_movk_i32 s4, 0x7f
	v_fma_f32 v10, -v3, v8, 1.0
	v_fmac_f32_e32 v8, v10, v8
	v_mul_f32_e32 v10, v9, v8
	v_fma_f32 v11, -v3, v10, v9
	v_fmac_f32_e32 v10, v11, v8
	v_fma_f32 v3, -v3, v10, v9
	v_div_fmas_f32 v3, v3, v8, v10
	v_div_fixup_f32 v2, v3, v2, 1.0
	v_xad_u32 v3, v0, -1, s44
	v_subrev_u32_e32 v8, s54, v3
	v_cmp_lt_u32_e32 vcc, s4, v8
	s_mov_b64 s[10:11], -1
	v_mov_b32_e32 v3, v0
	s_and_saveexec_b64 s[4:5], vcc
	s_cbranch_execz .LBB298_234
; %bb.226:
	v_lshrrev_b32_e32 v8, 7, v8
	v_add_u32_e32 v10, -1, v8
	v_lshrrev_b32_e32 v9, 1, v10
	v_mov_b32_e32 v3, v2
	v_add_u32_e32 v9, 1, v9
	v_cmp_lt_u32_e32 vcc, 13, v10
	v_mov_b32_e32 v12, 0
	s_and_saveexec_b64 s[10:11], vcc
	s_cbranch_execz .LBB298_230
; %bb.227:
	v_mov_b32_e32 v11, 0x90
	v_and_b32_e32 v10, -8, v9
	v_lshl_add_u32 v11, v0, 2, v11
	s_mov_b32 s18, 0
	s_mov_b64 s[12:13], 0
.LBB298_228:                            ; =>This Inner Loop Header: Depth=1
	ds_read2st64_b32 v[18:19], v11 offset1:2
	ds_read2st64_b32 v[20:21], v11 offset0:4 offset1:6
	ds_read2st64_b32 v[22:23], v11 offset0:8 offset1:10
	;; [unrolled: 1-line block ×3, first 2 shown]
	v_add_u32_e32 v10, -8, v10
	s_waitcnt lgkmcnt(3)
	v_pk_mul_f32 v[18:19], v[2:3], v[18:19]
	s_waitcnt lgkmcnt(2)
	v_pk_mul_f32 v[20:21], v[2:3], v[20:21]
	ds_write2st64_b32 v11, v18, v19 offset1:2
	ds_write2st64_b32 v11, v20, v21 offset0:4 offset1:6
	ds_read2st64_b32 v[20:21], v11 offset0:16 offset1:18
	s_waitcnt lgkmcnt(4)
	v_pk_mul_f32 v[18:19], v[2:3], v[22:23]
	ds_write2st64_b32 v11, v18, v19 offset0:8 offset1:10
	s_waitcnt lgkmcnt(4)
	v_pk_mul_f32 v[18:19], v[2:3], v[26:27]
	ds_write2st64_b32 v11, v18, v19 offset0:12 offset1:14
	ds_read2st64_b32 v[18:19], v11 offset0:20 offset1:22
	s_waitcnt lgkmcnt(3)
	v_pk_mul_f32 v[20:21], v[2:3], v[20:21]
	ds_read2st64_b32 v[22:23], v11 offset0:24 offset1:26
	ds_write2st64_b32 v11, v20, v21 offset0:16 offset1:18
	ds_read2st64_b32 v[20:21], v11 offset0:28 offset1:30
	s_waitcnt lgkmcnt(3)
	v_pk_mul_f32 v[18:19], v[2:3], v[18:19]
	ds_write2st64_b32 v11, v18, v19 offset0:20 offset1:22
	s_waitcnt lgkmcnt(3)
	v_pk_mul_f32 v[18:19], v[2:3], v[22:23]
	ds_write2st64_b32 v11, v18, v19 offset0:24 offset1:26
	s_waitcnt lgkmcnt(2)
	v_pk_mul_f32 v[18:19], v[2:3], v[20:21]
	s_add_i32 s18, s18, 16
	v_cmp_eq_u32_e32 vcc, 0, v10
	ds_write2st64_b32 v11, v18, v19 offset0:28 offset1:30
	v_add_u32_e32 v11, 0x2000, v11
	s_or_b64 s[12:13], vcc, s[12:13]
	v_mov_b32_e32 v12, s18
	s_andn2_b64 exec, exec, s[12:13]
	s_cbranch_execnz .LBB298_228
; %bb.229:
	s_or_b64 exec, exec, s[12:13]
.LBB298_230:
	s_or_b64 exec, exec, s[10:11]
	v_and_b32_e32 v9, 7, v9
	v_cmp_ne_u32_e32 vcc, 0, v9
	s_and_saveexec_b64 s[10:11], vcc
	s_cbranch_execz .LBB298_233
; %bb.231:
	v_lshlrev_b32_e32 v10, 9, v12
	v_lshlrev_b32_e32 v11, 2, v0
	s_movk_i32 s12, 0x90
	v_add3_u32 v10, v10, v11, s12
	s_mov_b64 s[12:13], 0
.LBB298_232:                            ; =>This Inner Loop Header: Depth=1
	ds_read2st64_b32 v[18:19], v10 offset1:2
	v_add_u32_e32 v9, -1, v9
	v_cmp_eq_u32_e32 vcc, 0, v9
	s_or_b64 s[12:13], vcc, s[12:13]
	s_waitcnt lgkmcnt(0)
	v_pk_mul_f32 v[18:19], v[2:3], v[18:19]
	ds_write2st64_b32 v10, v18, v19 offset1:2
	v_add_u32_e32 v10, 0x400, v10
	s_andn2_b64 exec, exec, s[12:13]
	s_cbranch_execnz .LBB298_232
.LBB298_233:
	s_or_b64 exec, exec, s[10:11]
	v_add_u32_e32 v8, 1, v8
	v_and_b32_e32 v9, 0x3fffffe, v8
	v_cmp_ne_u32_e32 vcc, v8, v9
	v_lshl_add_u32 v3, v9, 7, v0
	s_orn2_b64 s[10:11], vcc, exec
.LBB298_234:
	s_or_b64 exec, exec, s[4:5]
	s_and_b64 exec, exec, s[10:11]
	s_cbranch_execz .LBB298_237
; %bb.235:
	v_mov_b32_e32 v8, 0x90
	v_lshl_add_u32 v8, v3, 2, v8
	s_mov_b64 s[4:5], 0
.LBB298_236:                            ; =>This Inner Loop Header: Depth=1
	ds_read_b32 v9, v8
	v_add_u32_e32 v3, 0x80, v3
	v_cmp_le_i32_e32 vcc, s43, v3
	s_or_b64 s[4:5], vcc, s[4:5]
	s_waitcnt lgkmcnt(0)
	v_mul_f32_e32 v9, v2, v9
	ds_write_b32 v8, v9
	v_add_u32_e32 v8, 0x200, v8
	s_andn2_b64 exec, exec, s[4:5]
	s_cbranch_execnz .LBB298_236
.LBB298_237:
	s_or_b64 exec, exec, s[2:3]
	s_mul_i32 s2, s23, s34
	v_cmp_eq_u32_e32 vcc, 0, v0
	s_mul_i32 s2, s2, s9
	s_waitcnt lgkmcnt(0)
	s_barrier
	s_and_saveexec_b64 s[4:5], vcc
	s_cbranch_execz .LBB298_239
; %bb.238:
	s_ashr_i32 s3, s2, 31
	s_lshl_b64 s[10:11], s[2:3], 2
	s_add_u32 s3, s26, s10
	s_mul_i32 s12, s23, s6
	s_addc_u32 s9, s27, s11
	s_ashr_i32 s13, s12, 31
	s_lshl_b64 s[12:13], s[12:13], 2
	s_add_u32 s3, s3, s12
	s_addc_u32 s6, s9, s13
	s_ashr_i32 s9, s8, 31
	s_lshl_b64 s[18:19], s[8:9], 2
	s_add_u32 s26, s3, s18
	s_addc_u32 s27, s6, s19
	s_add_u32 s3, s24, s10
	s_addc_u32 s6, s25, s11
	s_add_u32 s3, s3, s12
	s_addc_u32 s6, s6, s13
	s_add_u32 s10, s3, s18
	v_mov_b32_e32 v2, 0
	s_addc_u32 s11, s6, s19
	global_store_dword v2, v4, s[26:27]
	global_store_dword v2, v5, s[10:11]
.LBB298_239:
	s_or_b64 exec, exec, s[4:5]
	s_mov_b32 s4, 0
	v_mov_b32_e32 v5, 0
	v_and_b32_e32 v26, 3, v0
	v_mov_b32_e32 v4, 0
	v_mov_b32_e32 v3, 0
	;; [unrolled: 1-line block ×3, first 2 shown]
	s_and_saveexec_b64 s[10:11], s[0:1]
	s_cbranch_execz .LBB298_445
; %bb.240:
	s_sub_i32 s3, s16, s21
	s_ashr_i32 s0, s20, 31
	s_add_u32 s1, s40, s20
	s_addc_u32 s0, s41, s0
	s_abs_i32 s9, s22
	v_cvt_f32_u32_e32 v2, s9
	s_sub_i32 s5, 0, s9
	v_and_b32_e32 v3, 0x1f8, v13
	s_add_i32 s24, s7, -1
	v_rcp_iflag_f32_e32 v2, v2
	v_add_co_u32_e32 v8, vcc, s1, v3
	s_mov_b32 s12, -1
	v_mul_f32_e32 v2, 0x4f7ffffe, v2
	v_cvt_u32_f32_e32 v2, v2
	s_mov_b32 s6, s4
	s_mov_b32 s7, s4
	v_and_b32_e32 v27, 24, v13
	v_mul_lo_u32 v4, s5, v2
	v_mul_hi_u32 v4, v2, v4
	v_add_u32_e32 v28, v2, v4
	v_mov_b32_e32 v2, s0
	s_lshl_b64 s[0:1], s[38:39], 2
	v_addc_co_u32_e32 v9, vcc, 0, v2, vcc
	v_lshlrev_b64 v[2:3], 2, v[6:7]
	s_add_u32 s0, s36, s0
	s_addc_u32 s1, s37, s1
	v_add_co_u32_e32 v10, vcc, s0, v2
	v_lshlrev_b32_e32 v2, 5, v26
	v_mov_b32_e32 v4, s1
	v_lshl_or_b32 v2, v15, 7, v2
	s_mov_b32 s5, s4
	v_addc_co_u32_e32 v11, vcc, v4, v3, vcc
	v_add_u32_e32 v7, 0x90, v2
	v_pk_mov_b32 v[2:3], s[4:5], s[4:5] op_sel:[0,1]
	s_mov_b32 s22, s17
	s_mov_b32 s13, 0xffffff
	;; [unrolled: 1-line block ×3, first 2 shown]
	s_mov_b64 s[16:17], 0
	v_pk_mov_b32 v[4:5], s[6:7], s[6:7] op_sel:[0,1]
	v_mov_b32_e32 v13, 0
	s_movk_i32 s26, 0x80
	s_movk_i32 s27, 0x7f
	s_mov_b32 s34, 0x8000
	s_movk_i32 s36, 0x380
	s_mov_b32 s37, 0x3020706
	s_mov_b32 s38, 0x1000504
	;; [unrolled: 1-line block ×3, first 2 shown]
	v_mov_b32_e32 v29, 0x2000
	s_branch .LBB298_243
.LBB298_241:                            ;   in Loop: Header=BB298_243 Depth=1
	s_or_b64 exec, exec, s[0:1]
	;;#ASMSTART
	v_pk_mul_f16 v15, v41, v15;

	;;#ASMEND
	;;#ASMSTART
	v_pk_mul_f16 v12, v40, v12;

	;;#ASMEND
	;; [unrolled: 4-line block ×4, first 2 shown]
	;;#ASMSTART
	v_pk_add_f16 v12, v15, v12;

	;;#ASMEND
	;;#ASMSTART
	v_pk_add_f16 v12, v12, v14;

	;;#ASMEND
	;; [unrolled: 4-line block ×3, first 2 shown]
	v_add_f32_e32 v18, v42, v43
	v_lshrrev_b32_e32 v14, 16, v12
	v_and_b32_e32 v12, 0xffff, v12
	v_add_f32_e32 v2, v2, v18
	v_add_f32_e32 v18, v44, v45
	;;#ASMSTART
	v_cvt_f32_f16 v12, v12;
	;;#ASMEND
	v_add_f32_e32 v3, v3, v18
	v_add_f32_e32 v18, v22, v23
	;;#ASMSTART
	v_cvt_f32_f16 v14, v14;
	;;#ASMEND
	v_add_f32_e32 v12, v12, v14
	v_add_f32_e32 v4, v4, v18
	;; [unrolled: 1-line block ×3, first 2 shown]
.LBB298_242:                            ;   in Loop: Header=BB298_243 Depth=1
	s_or_b64 exec, exec, s[4:5]
	v_add_co_u32_e32 v10, vcc, 8, v10
	v_add_u32_e32 v6, 2, v6
	v_addc_co_u32_e32 v11, vcc, 0, v11, vcc
	v_cmp_le_i32_e32 vcc, s53, v6
	v_add_u32_e32 v1, 64, v1
	s_or_b64 s[16:17], vcc, s[16:17]
	v_add_u32_e32 v7, 0x100, v7
	s_andn2_b64 exec, exec, s[16:17]
	s_cbranch_execz .LBB298_444
.LBB298_243:                            ; =>This Inner Loop Header: Depth=1
	v_sub_u32_e32 v14, 0, v1
	v_max_i32_e32 v14, v1, v14
	v_mul_hi_u32 v15, v14, s35
	v_mul_lo_u32 v16, v15, s29
	v_sub_u32_e32 v14, v14, v16
	v_add_u32_e32 v16, 1, v15
	v_cmp_le_u32_e32 vcc, s29, v14
	v_cndmask_b32_e32 v15, v15, v16, vcc
	v_subrev_u32_e32 v16, s29, v14
	v_cndmask_b32_e32 v14, v14, v16, vcc
	v_ashrrev_i32_e32 v12, 31, v1
	v_add_u32_e32 v16, 1, v15
	v_cmp_le_u32_e32 vcc, s29, v14
	v_xor_b32_e32 v12, s52, v12
	v_cndmask_b32_e32 v14, v15, v16, vcc
	v_xor_b32_e32 v14, v14, v12
	v_sub_u32_e32 v12, v14, v12
	v_add_u32_e32 v14, s42, v12
	v_sub_u32_e32 v16, 0, v14
	v_ashrrev_i32_e32 v15, 31, v14
	v_max_i32_e32 v14, v14, v16
	v_mul_hi_u32 v16, v14, v28
	v_mul_lo_u32 v16, v16, s9
	v_sub_u32_e32 v14, v14, v16
	v_subrev_u32_e32 v16, s9, v14
	v_cmp_le_u32_e32 vcc, s9, v14
	v_cndmask_b32_e32 v14, v14, v16, vcc
	v_subrev_u32_e32 v16, s9, v14
	v_cmp_le_u32_e32 vcc, s9, v14
	v_cndmask_b32_e32 v14, v14, v16, vcc
	v_xor_b32_e32 v14, v14, v15
	v_sub_u32_e32 v14, v14, v15
	v_cmp_eq_u32_e32 vcc, 0, v14
	v_cmp_lt_i32_e64 s[0:1], s3, v12
	s_or_b64 s[0:1], vcc, s[0:1]
	s_and_saveexec_b64 s[4:5], s[0:1]
	s_cbranch_execz .LBB298_242
; %bb.244:                              ;   in Loop: Header=BB298_243 Depth=1
	global_load_dword v12, v[10:11], off
	ds_read2_b64 v[18:21], v7 offset1:1
	ds_read2_b64 v[30:33], v7 offset0:2 offset1:3
	s_waitcnt lgkmcnt(1)
	;;#ASMSTART
	v_cvt_f16_f32 v38, v18;

	;;#ASMEND
	;;#ASMSTART
	v_cvt_f16_f32 v39, v19;

	;;#ASMEND
	;; [unrolled: 4-line block ×4, first 2 shown]
	s_waitcnt lgkmcnt(0)
	;;#ASMSTART
	v_cvt_f16_f32 v43, v30;

	;;#ASMEND
	;;#ASMSTART
	v_cvt_f16_f32 v44, v31;

	;;#ASMEND
	;; [unrolled: 4-line block ×4, first 2 shown]
	v_mov_b32_e32 v20, 0
	v_mov_b32_e32 v18, 0
	s_waitcnt vmcnt(0)
	v_mad_i64_i32 v[14:15], s[0:1], v12, s22, v[8:9]
	global_load_dwordx2 v[22:23], v[14:15], off
	global_load_dword v16, v13, s[14:15]
	s_waitcnt vmcnt(1)
	v_cmp_ne_u16_sdwa s[6:7], v22, v13 src0_sel:BYTE_0 src1_sel:DWORD
	s_and_saveexec_b64 s[0:1], s[6:7]
	s_cbranch_execz .LBB298_250
; %bb.245:                              ;   in Loop: Header=BB298_243 Depth=1
	v_cmp_ne_u16_sdwa s[18:19], v22, s26 src0_sel:BYTE_0 src1_sel:DWORD
	v_bfrev_b32_e32 v18, 1
	s_and_saveexec_b64 s[6:7], s[18:19]
	s_cbranch_execz .LBB298_249
; %bb.246:                              ;   in Loop: Header=BB298_243 Depth=1
	v_and_b32_e32 v12, 0x7f, v22
	v_cmp_ne_u32_e32 vcc, s27, v12
	v_mov_b32_e32 v18, 0x7fc02000
	s_and_saveexec_b64 s[18:19], vcc
	s_cbranch_execz .LBB298_248
; %bb.247:                              ;   in Loop: Header=BB298_243 Depth=1
	v_and_b32_e32 v18, 7, v22
	v_ffbh_u32_e32 v18, v18
	v_min_u32_e32 v18, 32, v18
	v_subrev_u32_e32 v19, 28, v18
	v_cmp_gt_u32_e32 vcc, 8, v12
	v_lshrrev_b32_e32 v21, 3, v12
	v_sub_u32_e32 v30, 29, v18
	v_cndmask_b32_e32 v12, 0, v19, vcc
	v_lshlrev_b64 v[18:19], v12, v[22:23]
	v_cndmask_b32_e32 v12, v21, v30, vcc
	v_lshlrev_b32_e32 v19, 8, v22
	v_lshl_add_u32 v12, v12, 10, v29
	v_lshlrev_b32_e32 v18, 7, v18
	v_and_or_b32 v12, v19, s34, v12
	v_and_or_b32 v12, v18, s36, v12
	v_cvt_f32_f16_e32 v18, v12
.LBB298_248:                            ;   in Loop: Header=BB298_243 Depth=1
	s_or_b64 exec, exec, s[18:19]
.LBB298_249:                            ;   in Loop: Header=BB298_243 Depth=1
	s_or_b64 exec, exec, s[6:7]
.LBB298_250:                            ;   in Loop: Header=BB298_243 Depth=1
	s_or_b64 exec, exec, s[0:1]
	v_lshrrev_b16_e32 v12, 8, v22
	v_cmp_ne_u16_e32 vcc, 0, v12
	s_and_saveexec_b64 s[0:1], vcc
	s_cbranch_execz .LBB298_256
; %bb.251:                              ;   in Loop: Header=BB298_243 Depth=1
	v_cmp_ne_u16_e32 vcc, s26, v12
	v_bfrev_b32_e32 v20, 1
	s_and_saveexec_b64 s[6:7], vcc
	s_cbranch_execz .LBB298_255
; %bb.252:                              ;   in Loop: Header=BB298_243 Depth=1
	v_and_b32_e32 v19, 0x7f, v12
	v_cmp_ne_u32_e32 vcc, s27, v19
	v_mov_b32_e32 v20, 0x7fc02000
	s_and_saveexec_b64 s[18:19], vcc
	s_cbranch_execz .LBB298_254
; %bb.253:                              ;   in Loop: Header=BB298_243 Depth=1
	v_and_b32_e32 v30, 7, v12
	v_ffbh_u32_e32 v20, v30
	v_min_u32_e32 v32, 32, v20
	v_subrev_u32_e32 v20, 28, v32
	v_lshlrev_b64 v[20:21], v20, v[12:13]
	v_lshrrev_b32_e32 v31, 3, v19
	v_sub_u32_e32 v21, 29, v32
	v_cmp_gt_u32_e32 vcc, 8, v19
	v_cndmask_b32_e32 v19, v31, v21, vcc
	v_and_b32_e32 v20, 7, v20
	v_lshlrev_b32_e32 v12, 8, v12
	v_lshl_add_u32 v19, v19, 10, v29
	v_cndmask_b32_e32 v20, v30, v20, vcc
	v_and_or_b32 v12, v12, s34, v19
	v_lshl_or_b32 v12, v20, 7, v12
	v_cvt_f32_f16_e32 v20, v12
.LBB298_254:                            ;   in Loop: Header=BB298_243 Depth=1
	s_or_b64 exec, exec, s[18:19]
.LBB298_255:                            ;   in Loop: Header=BB298_243 Depth=1
	s_or_b64 exec, exec, s[6:7]
.LBB298_256:                            ;   in Loop: Header=BB298_243 Depth=1
	s_or_b64 exec, exec, s[0:1]
	v_lshrrev_b32_e32 v12, 16, v22
	v_cmp_ne_u16_sdwa s[6:7], v12, v13 src0_sel:BYTE_0 src1_sel:DWORD
	v_mov_b32_e32 v21, 0
	v_mov_b32_e32 v19, 0
	s_and_saveexec_b64 s[0:1], s[6:7]
	s_cbranch_execz .LBB298_262
; %bb.257:                              ;   in Loop: Header=BB298_243 Depth=1
	v_cmp_ne_u16_sdwa s[18:19], v12, s26 src0_sel:BYTE_0 src1_sel:DWORD
	v_bfrev_b32_e32 v19, 1
	s_and_saveexec_b64 s[6:7], s[18:19]
	s_cbranch_execz .LBB298_261
; %bb.258:                              ;   in Loop: Header=BB298_243 Depth=1
	v_bfe_u32 v30, v22, 16, 7
	v_cmp_ne_u32_e32 vcc, s27, v30
	v_mov_b32_e32 v19, 0x7fc02000
	s_and_saveexec_b64 s[18:19], vcc
	s_cbranch_execz .LBB298_260
; %bb.259:                              ;   in Loop: Header=BB298_243 Depth=1
	v_and_b32_e32 v19, 7, v12
	v_ffbh_u32_e32 v32, v19
	v_min_u32_e32 v34, 32, v32
	v_subrev_u32_e32 v32, 28, v34
	v_lshlrev_b64 v[32:33], v32, v[12:13]
	v_lshrrev_b32_e32 v31, 3, v30
	v_sub_u32_e32 v33, 29, v34
	v_cmp_gt_u32_e32 vcc, 8, v30
	v_cndmask_b32_e32 v30, v31, v33, vcc
	v_and_b32_e32 v32, 7, v32
	v_lshlrev_b32_e32 v12, 8, v12
	v_lshl_add_u32 v30, v30, 10, v29
	v_cndmask_b32_e32 v19, v19, v32, vcc
	v_and_or_b32 v12, v12, s34, v30
	v_lshl_or_b32 v12, v19, 7, v12
	v_cvt_f32_f16_e32 v19, v12
.LBB298_260:                            ;   in Loop: Header=BB298_243 Depth=1
	s_or_b64 exec, exec, s[18:19]
.LBB298_261:                            ;   in Loop: Header=BB298_243 Depth=1
	s_or_b64 exec, exec, s[6:7]
.LBB298_262:                            ;   in Loop: Header=BB298_243 Depth=1
	s_or_b64 exec, exec, s[0:1]
	v_cmp_lt_u32_e32 vcc, s13, v22
	s_and_saveexec_b64 s[0:1], vcc
	s_cbranch_execz .LBB298_268
; %bb.263:                              ;   in Loop: Header=BB298_243 Depth=1
	v_lshrrev_b32_e32 v12, 24, v22
	v_cmp_ne_u32_e32 vcc, s26, v12
	v_bfrev_b32_e32 v21, 1
	s_and_saveexec_b64 s[6:7], vcc
	s_cbranch_execz .LBB298_267
; %bb.264:                              ;   in Loop: Header=BB298_243 Depth=1
	v_and_b32_e32 v30, 0x7f, v12
	v_cmp_ne_u32_e32 vcc, s27, v30
	v_mov_b32_e32 v21, 0x7fc02000
	s_and_saveexec_b64 s[18:19], vcc
	s_cbranch_execz .LBB298_266
; %bb.265:                              ;   in Loop: Header=BB298_243 Depth=1
	v_and_b32_e32 v21, 7, v12
	v_ffbh_u32_e32 v32, v21
	v_min_u32_e32 v34, 32, v32
	v_subrev_u32_e32 v32, 28, v34
	v_lshlrev_b64 v[32:33], v32, v[12:13]
	v_lshrrev_b32_e32 v31, 3, v30
	v_sub_u32_e32 v33, 29, v34
	v_cmp_gt_u32_e32 vcc, 8, v30
	v_cndmask_b32_e32 v30, v31, v33, vcc
	v_and_b32_e32 v32, 7, v32
	v_lshlrev_b32_e32 v12, 8, v12
	v_lshl_add_u32 v30, v30, 10, v29
	v_cndmask_b32_e32 v21, v21, v32, vcc
	v_and_or_b32 v12, v12, s34, v30
	v_lshl_or_b32 v12, v21, 7, v12
	v_cvt_f32_f16_e32 v21, v12
.LBB298_266:                            ;   in Loop: Header=BB298_243 Depth=1
	s_or_b64 exec, exec, s[18:19]
.LBB298_267:                            ;   in Loop: Header=BB298_243 Depth=1
	s_or_b64 exec, exec, s[6:7]
.LBB298_268:                            ;   in Loop: Header=BB298_243 Depth=1
	s_or_b64 exec, exec, s[0:1]
	v_mov_b32_e32 v12, v23
	v_cmp_ne_u16_sdwa s[6:7], v23, v13 src0_sel:BYTE_0 src1_sel:DWORD
	v_mov_b32_e32 v31, 0
	v_mov_b32_e32 v30, 0
	s_and_saveexec_b64 s[0:1], s[6:7]
	s_cbranch_execz .LBB298_274
; %bb.269:                              ;   in Loop: Header=BB298_243 Depth=1
	v_cmp_ne_u16_sdwa s[18:19], v23, s26 src0_sel:BYTE_0 src1_sel:DWORD
	v_bfrev_b32_e32 v30, 1
	s_and_saveexec_b64 s[6:7], s[18:19]
	s_cbranch_execz .LBB298_273
; %bb.270:                              ;   in Loop: Header=BB298_243 Depth=1
	v_and_b32_e32 v32, 0x7f, v23
	v_cmp_ne_u32_e32 vcc, s27, v32
	v_mov_b32_e32 v30, 0x7fc02000
	s_and_saveexec_b64 s[18:19], vcc
	s_cbranch_execz .LBB298_272
; %bb.271:                              ;   in Loop: Header=BB298_243 Depth=1
	v_and_b32_e32 v30, 7, v23
	v_ffbh_u32_e32 v30, v30
	v_min_u32_e32 v30, 32, v30
	v_subrev_u32_e32 v33, 28, v30
	v_cmp_gt_u32_e32 vcc, 8, v32
	v_lshrrev_b32_e32 v34, 3, v32
	v_sub_u32_e32 v30, 29, v30
	v_cndmask_b32_e32 v32, 0, v33, vcc
	v_lshlrev_b64 v[32:33], v32, v[12:13]
	v_cndmask_b32_e32 v30, v34, v30, vcc
	v_lshlrev_b32_e32 v33, 8, v23
	v_lshl_add_u32 v30, v30, 10, v29
	v_lshlrev_b32_e32 v32, 7, v32
	v_and_or_b32 v30, v33, s34, v30
	v_and_or_b32 v30, v32, s36, v30
	v_cvt_f32_f16_e32 v30, v30
.LBB298_272:                            ;   in Loop: Header=BB298_243 Depth=1
	s_or_b64 exec, exec, s[18:19]
.LBB298_273:                            ;   in Loop: Header=BB298_243 Depth=1
	s_or_b64 exec, exec, s[6:7]
.LBB298_274:                            ;   in Loop: Header=BB298_243 Depth=1
	s_or_b64 exec, exec, s[0:1]
	v_lshrrev_b16_e32 v12, 8, v12
	v_cmp_ne_u16_e32 vcc, 0, v12
	s_and_saveexec_b64 s[0:1], vcc
	s_cbranch_execz .LBB298_280
; %bb.275:                              ;   in Loop: Header=BB298_243 Depth=1
	v_cmp_ne_u16_e32 vcc, s26, v12
	v_bfrev_b32_e32 v31, 1
	s_and_saveexec_b64 s[6:7], vcc
	s_cbranch_execz .LBB298_279
; %bb.276:                              ;   in Loop: Header=BB298_243 Depth=1
	v_and_b32_e32 v32, 0x7f, v12
	v_cmp_ne_u32_e32 vcc, s27, v32
	v_mov_b32_e32 v31, 0x7fc02000
	s_and_saveexec_b64 s[18:19], vcc
	s_cbranch_execz .LBB298_278
; %bb.277:                              ;   in Loop: Header=BB298_243 Depth=1
	v_and_b32_e32 v31, 7, v12
	v_ffbh_u32_e32 v34, v31
	v_min_u32_e32 v36, 32, v34
	v_subrev_u32_e32 v34, 28, v36
	v_lshlrev_b64 v[34:35], v34, v[12:13]
	v_lshrrev_b32_e32 v33, 3, v32
	v_sub_u32_e32 v35, 29, v36
	v_cmp_gt_u32_e32 vcc, 8, v32
	v_cndmask_b32_e32 v32, v33, v35, vcc
	v_and_b32_e32 v34, 7, v34
	v_lshlrev_b32_e32 v12, 8, v12
	v_lshl_add_u32 v32, v32, 10, v29
	v_cndmask_b32_e32 v31, v31, v34, vcc
	v_and_or_b32 v12, v12, s34, v32
	v_lshl_or_b32 v12, v31, 7, v12
	v_cvt_f32_f16_e32 v31, v12
.LBB298_278:                            ;   in Loop: Header=BB298_243 Depth=1
	s_or_b64 exec, exec, s[18:19]
.LBB298_279:                            ;   in Loop: Header=BB298_243 Depth=1
	s_or_b64 exec, exec, s[6:7]
.LBB298_280:                            ;   in Loop: Header=BB298_243 Depth=1
	s_or_b64 exec, exec, s[0:1]
	v_lshrrev_b32_e32 v12, 16, v23
	v_cmp_ne_u16_sdwa s[6:7], v12, v13 src0_sel:BYTE_0 src1_sel:DWORD
	v_mov_b32_e32 v33, 0
	v_mov_b32_e32 v34, 0
	s_and_saveexec_b64 s[0:1], s[6:7]
	s_cbranch_execz .LBB298_286
; %bb.281:                              ;   in Loop: Header=BB298_243 Depth=1
	v_cmp_ne_u16_sdwa s[18:19], v12, s26 src0_sel:BYTE_0 src1_sel:DWORD
	v_bfrev_b32_e32 v34, 1
	s_and_saveexec_b64 s[6:7], s[18:19]
	s_cbranch_execz .LBB298_285
; %bb.282:                              ;   in Loop: Header=BB298_243 Depth=1
	v_bfe_u32 v32, v23, 16, 7
	v_cmp_ne_u32_e32 vcc, s27, v32
	v_mov_b32_e32 v34, 0x7fc02000
	s_and_saveexec_b64 s[18:19], vcc
	s_cbranch_execz .LBB298_284
; %bb.283:                              ;   in Loop: Header=BB298_243 Depth=1
	v_and_b32_e32 v36, 7, v12
	v_ffbh_u32_e32 v34, v36
	v_min_u32_e32 v41, 32, v34
	v_subrev_u32_e32 v34, 28, v41
	v_lshlrev_b64 v[34:35], v34, v[12:13]
	v_lshrrev_b32_e32 v37, 3, v32
	v_sub_u32_e32 v35, 29, v41
	v_cmp_gt_u32_e32 vcc, 8, v32
	v_cndmask_b32_e32 v32, v37, v35, vcc
	v_and_b32_e32 v34, 7, v34
	v_lshlrev_b32_e32 v12, 8, v12
	v_lshl_add_u32 v32, v32, 10, v29
	v_cndmask_b32_e32 v34, v36, v34, vcc
	v_and_or_b32 v12, v12, s34, v32
	v_lshl_or_b32 v12, v34, 7, v12
	v_cvt_f32_f16_e32 v34, v12
.LBB298_284:                            ;   in Loop: Header=BB298_243 Depth=1
	s_or_b64 exec, exec, s[18:19]
.LBB298_285:                            ;   in Loop: Header=BB298_243 Depth=1
	s_or_b64 exec, exec, s[6:7]
.LBB298_286:                            ;   in Loop: Header=BB298_243 Depth=1
	s_or_b64 exec, exec, s[0:1]
	v_cmp_lt_u64_e32 vcc, s[12:13], v[22:23]
	s_and_saveexec_b64 s[0:1], vcc
	s_cbranch_execz .LBB298_292
; %bb.287:                              ;   in Loop: Header=BB298_243 Depth=1
	v_lshrrev_b32_e32 v12, 24, v23
	v_cmp_ne_u32_e32 vcc, s26, v12
	v_bfrev_b32_e32 v33, 1
	s_and_saveexec_b64 s[6:7], vcc
	s_cbranch_execz .LBB298_291
; %bb.288:                              ;   in Loop: Header=BB298_243 Depth=1
	v_and_b32_e32 v22, 0x7f, v12
	v_cmp_ne_u32_e32 vcc, s27, v22
	v_mov_b32_e32 v33, 0x7fc02000
	s_and_saveexec_b64 s[18:19], vcc
	s_cbranch_execz .LBB298_290
; %bb.289:                              ;   in Loop: Header=BB298_243 Depth=1
	v_and_b32_e32 v23, 7, v12
	v_ffbh_u32_e32 v32, v23
	v_min_u32_e32 v36, 32, v32
	v_subrev_u32_e32 v32, 28, v36
	v_lshlrev_b64 v[32:33], v32, v[12:13]
	v_lshrrev_b32_e32 v35, 3, v22
	v_sub_u32_e32 v33, 29, v36
	v_cmp_gt_u32_e32 vcc, 8, v22
	v_cndmask_b32_e32 v22, v35, v33, vcc
	v_and_b32_e32 v32, 7, v32
	v_lshlrev_b32_e32 v12, 8, v12
	v_lshl_add_u32 v22, v22, 10, v29
	v_cndmask_b32_e32 v23, v23, v32, vcc
	v_and_or_b32 v12, v12, s34, v22
	v_lshl_or_b32 v12, v23, 7, v12
	v_cvt_f32_f16_e32 v33, v12
.LBB298_290:                            ;   in Loop: Header=BB298_243 Depth=1
	s_or_b64 exec, exec, s[18:19]
.LBB298_291:                            ;   in Loop: Header=BB298_243 Depth=1
	s_or_b64 exec, exec, s[6:7]
.LBB298_292:                            ;   in Loop: Header=BB298_243 Depth=1
	s_or_b64 exec, exec, s[0:1]
	s_waitcnt vmcnt(0)
	v_pk_mul_f32 v[20:21], v[16:17], v[20:21] op_sel_hi:[0,1]
	v_pk_mul_f32 v[18:19], v[16:17], v[18:19] op_sel_hi:[0,1]
	v_cvt_f16_f32_e32 v12, v21
	v_cvt_f16_f32_e32 v20, v20
	;; [unrolled: 1-line block ×4, first 2 shown]
	v_add_u32_e32 v32, v27, v1
	v_pack_b32_f16 v20, v20, v12
	v_cmp_eq_u32_e32 vcc, s24, v6
	v_pack_b32_f16 v18, v18, v19
	v_fma_mixlo_f16 v19, v16, v31, 0
	v_perm_b32 v12, v18, v20, s37
	v_perm_b32 v18, v18, v20, s38
	v_lshlrev_b32_e32 v19, 16, v19
	v_fma_mixlo_f16 v20, v16, v30, 0
	v_or_b32_sdwa v19, v19, v20 dst_sel:DWORD dst_unused:UNUSED_PAD src0_sel:DWORD src1_sel:WORD_0
	v_fma_mixlo_f16 v20, v16, v34, 0
	v_fma_mixlo_f16 v16, v16, v33, 0
	v_lshlrev_b32_e32 v16, 16, v16
	v_or_b32_sdwa v16, v16, v20 dst_sel:DWORD dst_unused:UNUSED_PAD src0_sel:DWORD src1_sel:WORD_0
	v_add_u32_e32 v37, 1, v32
	v_or_b32_e32 v36, 3, v32
	v_or_b32_e32 v35, 2, v32
	;; [unrolled: 1-line block ×6, first 2 shown]
	s_and_saveexec_b64 s[6:7], vcc
	s_cbranch_execz .LBB298_294
; %bb.293:                              ;   in Loop: Header=BB298_243 Depth=1
	v_lshrrev_b32_e32 v21, 16, v18
	v_cmp_gt_i32_e64 s[0:1], s25, v37
	v_cndmask_b32_e64 v21, 0, v21, s[0:1]
	v_cmp_gt_i32_e64 s[0:1], s33, v32
	v_cndmask_b32_e64 v18, 0, v18, s[0:1]
	v_perm_b32 v18, v21, v18, s39
	v_lshrrev_b32_e32 v21, 16, v12
	v_cmp_gt_i32_e64 s[0:1], s25, v36
	v_cndmask_b32_e64 v21, 0, v21, s[0:1]
	v_cmp_gt_i32_e64 s[0:1], s33, v35
	v_cndmask_b32_e64 v12, 0, v12, s[0:1]
	v_perm_b32 v12, v21, v12, s39
	v_lshrrev_b32_e32 v21, 16, v19
	v_cmp_gt_i32_e64 s[0:1], s25, v34
	v_cndmask_b32_e64 v21, 0, v21, s[0:1]
	v_cmp_gt_i32_e64 s[0:1], s33, v33
	v_cndmask_b32_e64 v19, 0, v19, s[0:1]
	v_lshrrev_b32_e32 v16, 16, v16
	v_cmp_gt_i32_e64 s[0:1], s25, v31
	v_cndmask_b32_e64 v16, 0, v16, s[0:1]
	v_cmp_gt_i32_e64 s[0:1], s33, v30
	v_cndmask_b32_e64 v20, 0, v20, s[0:1]
	v_perm_b32 v19, v21, v19, s39
	v_perm_b32 v16, v16, v20, s39
.LBB298_294:                            ;   in Loop: Header=BB298_243 Depth=1
	s_or_b64 exec, exec, s[6:7]
	v_and_b32_e32 v20, 0xffff, v38
	v_lshl_or_b32 v41, v39, 16, v20
	v_and_b32_e32 v20, 0xffff, v40
	v_lshl_or_b32 v40, v42, 16, v20
	v_and_b32_e32 v20, 0xffff, v43
	v_lshl_or_b32 v39, v44, 16, v20
	v_and_b32_e32 v20, 0xffff, v45
	;;#ASMSTART
	v_pk_mul_f16 v18, v41, v18;

	;;#ASMEND
	;;#ASMSTART
	v_pk_mul_f16 v12, v40, v12;

	;;#ASMEND
	v_lshl_or_b32 v38, v46, 16, v20
	;;#ASMSTART
	v_pk_mul_f16 v19, v39, v19;

	;;#ASMEND
	;;#ASMSTART
	v_pk_mul_f16 v16, v38, v16;

	;;#ASMEND
	;;#ASMSTART
	v_pk_add_f16 v12, v18, v12;

	;;#ASMEND
	;;#ASMSTART
	v_pk_add_f16 v12, v12, v19;
	;; [unrolled: 4-line block ×3, first 2 shown]

	;;#ASMEND
	v_lshrrev_b32_e32 v16, 16, v12
	v_and_b32_e32 v12, 0xffff, v12
	;;#ASMSTART
	v_cvt_f32_f16 v42, v12;
	;;#ASMEND
	;;#ASMSTART
	v_cvt_f32_f16 v43, v16;
	;;#ASMEND
	global_load_dwordx2 v[22:23], v[14:15], off offset:512
	global_load_dword v16, v13, s[14:15]
	v_mov_b32_e32 v20, 0
	v_mov_b32_e32 v18, 0
	s_waitcnt vmcnt(1)
	v_cmp_ne_u16_sdwa s[0:1], v22, v13 src0_sel:BYTE_0 src1_sel:DWORD
	s_and_saveexec_b64 s[6:7], s[0:1]
	s_cbranch_execz .LBB298_300
; %bb.295:                              ;   in Loop: Header=BB298_243 Depth=1
	v_cmp_ne_u16_sdwa s[0:1], v22, s26 src0_sel:BYTE_0 src1_sel:DWORD
	v_bfrev_b32_e32 v18, 1
	s_and_saveexec_b64 s[18:19], s[0:1]
	s_cbranch_execz .LBB298_299
; %bb.296:                              ;   in Loop: Header=BB298_243 Depth=1
	v_and_b32_e32 v12, 0x7f, v22
	v_cmp_ne_u32_e64 s[0:1], s27, v12
	v_mov_b32_e32 v18, 0x7fc02000
	s_and_saveexec_b64 s[20:21], s[0:1]
	s_cbranch_execz .LBB298_298
; %bb.297:                              ;   in Loop: Header=BB298_243 Depth=1
	v_and_b32_e32 v18, 7, v22
	v_ffbh_u32_e32 v18, v18
	v_min_u32_e32 v18, 32, v18
	v_subrev_u32_e32 v19, 28, v18
	v_cmp_gt_u32_e64 s[0:1], 8, v12
	v_lshrrev_b32_e32 v21, 3, v12
	v_sub_u32_e32 v44, 29, v18
	v_cndmask_b32_e64 v12, 0, v19, s[0:1]
	v_lshlrev_b64 v[18:19], v12, v[22:23]
	v_cndmask_b32_e64 v12, v21, v44, s[0:1]
	v_lshlrev_b32_e32 v19, 8, v22
	v_lshl_add_u32 v12, v12, 10, v29
	v_lshlrev_b32_e32 v18, 7, v18
	v_and_or_b32 v12, v19, s34, v12
	v_and_or_b32 v12, v18, s36, v12
	v_cvt_f32_f16_e32 v18, v12
.LBB298_298:                            ;   in Loop: Header=BB298_243 Depth=1
	s_or_b64 exec, exec, s[20:21]
.LBB298_299:                            ;   in Loop: Header=BB298_243 Depth=1
	s_or_b64 exec, exec, s[18:19]
.LBB298_300:                            ;   in Loop: Header=BB298_243 Depth=1
	s_or_b64 exec, exec, s[6:7]
	v_lshrrev_b16_e32 v12, 8, v22
	v_cmp_ne_u16_e64 s[0:1], 0, v12
	s_and_saveexec_b64 s[6:7], s[0:1]
	s_cbranch_execz .LBB298_306
; %bb.301:                              ;   in Loop: Header=BB298_243 Depth=1
	v_cmp_ne_u16_e64 s[0:1], s26, v12
	v_bfrev_b32_e32 v20, 1
	s_and_saveexec_b64 s[18:19], s[0:1]
	s_cbranch_execz .LBB298_305
; %bb.302:                              ;   in Loop: Header=BB298_243 Depth=1
	v_and_b32_e32 v19, 0x7f, v12
	v_cmp_ne_u32_e64 s[0:1], s27, v19
	v_mov_b32_e32 v20, 0x7fc02000
	s_and_saveexec_b64 s[20:21], s[0:1]
	s_cbranch_execz .LBB298_304
; %bb.303:                              ;   in Loop: Header=BB298_243 Depth=1
	v_and_b32_e32 v44, 7, v12
	v_ffbh_u32_e32 v20, v44
	v_min_u32_e32 v46, 32, v20
	v_subrev_u32_e32 v20, 28, v46
	v_lshlrev_b64 v[20:21], v20, v[12:13]
	v_lshrrev_b32_e32 v45, 3, v19
	v_sub_u32_e32 v21, 29, v46
	v_cmp_gt_u32_e64 s[0:1], 8, v19
	v_cndmask_b32_e64 v19, v45, v21, s[0:1]
	v_and_b32_e32 v20, 7, v20
	v_lshlrev_b32_e32 v12, 8, v12
	v_lshl_add_u32 v19, v19, 10, v29
	v_cndmask_b32_e64 v20, v44, v20, s[0:1]
	v_and_or_b32 v12, v12, s34, v19
	v_lshl_or_b32 v12, v20, 7, v12
	v_cvt_f32_f16_e32 v20, v12
.LBB298_304:                            ;   in Loop: Header=BB298_243 Depth=1
	s_or_b64 exec, exec, s[20:21]
.LBB298_305:                            ;   in Loop: Header=BB298_243 Depth=1
	s_or_b64 exec, exec, s[18:19]
.LBB298_306:                            ;   in Loop: Header=BB298_243 Depth=1
	s_or_b64 exec, exec, s[6:7]
	v_lshrrev_b32_e32 v12, 16, v22
	v_cmp_ne_u16_sdwa s[0:1], v12, v13 src0_sel:BYTE_0 src1_sel:DWORD
	v_mov_b32_e32 v21, 0
	v_mov_b32_e32 v19, 0
	s_and_saveexec_b64 s[6:7], s[0:1]
	s_cbranch_execz .LBB298_312
; %bb.307:                              ;   in Loop: Header=BB298_243 Depth=1
	v_cmp_ne_u16_sdwa s[0:1], v12, s26 src0_sel:BYTE_0 src1_sel:DWORD
	v_bfrev_b32_e32 v19, 1
	s_and_saveexec_b64 s[18:19], s[0:1]
	s_cbranch_execz .LBB298_311
; %bb.308:                              ;   in Loop: Header=BB298_243 Depth=1
	v_bfe_u32 v44, v22, 16, 7
	v_cmp_ne_u32_e64 s[0:1], s27, v44
	v_mov_b32_e32 v19, 0x7fc02000
	s_and_saveexec_b64 s[20:21], s[0:1]
	s_cbranch_execz .LBB298_310
; %bb.309:                              ;   in Loop: Header=BB298_243 Depth=1
	v_and_b32_e32 v19, 7, v12
	v_ffbh_u32_e32 v46, v19
	v_min_u32_e32 v48, 32, v46
	v_subrev_u32_e32 v46, 28, v48
	v_lshlrev_b64 v[46:47], v46, v[12:13]
	v_lshrrev_b32_e32 v45, 3, v44
	v_sub_u32_e32 v47, 29, v48
	v_cmp_gt_u32_e64 s[0:1], 8, v44
	v_cndmask_b32_e64 v44, v45, v47, s[0:1]
	v_and_b32_e32 v46, 7, v46
	v_lshlrev_b32_e32 v12, 8, v12
	v_lshl_add_u32 v44, v44, 10, v29
	v_cndmask_b32_e64 v19, v19, v46, s[0:1]
	v_and_or_b32 v12, v12, s34, v44
	v_lshl_or_b32 v12, v19, 7, v12
	v_cvt_f32_f16_e32 v19, v12
.LBB298_310:                            ;   in Loop: Header=BB298_243 Depth=1
	s_or_b64 exec, exec, s[20:21]
.LBB298_311:                            ;   in Loop: Header=BB298_243 Depth=1
	s_or_b64 exec, exec, s[18:19]
.LBB298_312:                            ;   in Loop: Header=BB298_243 Depth=1
	s_or_b64 exec, exec, s[6:7]
	v_cmp_lt_u32_e64 s[0:1], s13, v22
	s_and_saveexec_b64 s[6:7], s[0:1]
	s_cbranch_execz .LBB298_318
; %bb.313:                              ;   in Loop: Header=BB298_243 Depth=1
	v_lshrrev_b32_e32 v12, 24, v22
	v_cmp_ne_u32_e64 s[0:1], s26, v12
	v_bfrev_b32_e32 v21, 1
	s_and_saveexec_b64 s[18:19], s[0:1]
	s_cbranch_execz .LBB298_317
; %bb.314:                              ;   in Loop: Header=BB298_243 Depth=1
	v_and_b32_e32 v44, 0x7f, v12
	v_cmp_ne_u32_e64 s[0:1], s27, v44
	v_mov_b32_e32 v21, 0x7fc02000
	s_and_saveexec_b64 s[20:21], s[0:1]
	s_cbranch_execz .LBB298_316
; %bb.315:                              ;   in Loop: Header=BB298_243 Depth=1
	v_and_b32_e32 v21, 7, v12
	v_ffbh_u32_e32 v46, v21
	v_min_u32_e32 v48, 32, v46
	v_subrev_u32_e32 v46, 28, v48
	v_lshlrev_b64 v[46:47], v46, v[12:13]
	v_lshrrev_b32_e32 v45, 3, v44
	v_sub_u32_e32 v47, 29, v48
	v_cmp_gt_u32_e64 s[0:1], 8, v44
	v_cndmask_b32_e64 v44, v45, v47, s[0:1]
	v_and_b32_e32 v46, 7, v46
	v_lshlrev_b32_e32 v12, 8, v12
	v_lshl_add_u32 v44, v44, 10, v29
	v_cndmask_b32_e64 v21, v21, v46, s[0:1]
	v_and_or_b32 v12, v12, s34, v44
	v_lshl_or_b32 v12, v21, 7, v12
	v_cvt_f32_f16_e32 v21, v12
.LBB298_316:                            ;   in Loop: Header=BB298_243 Depth=1
	s_or_b64 exec, exec, s[20:21]
.LBB298_317:                            ;   in Loop: Header=BB298_243 Depth=1
	s_or_b64 exec, exec, s[18:19]
.LBB298_318:                            ;   in Loop: Header=BB298_243 Depth=1
	s_or_b64 exec, exec, s[6:7]
	v_mov_b32_e32 v12, v23
	v_cmp_ne_u16_sdwa s[0:1], v23, v13 src0_sel:BYTE_0 src1_sel:DWORD
	v_mov_b32_e32 v45, 0
	v_mov_b32_e32 v44, 0
	s_and_saveexec_b64 s[6:7], s[0:1]
	s_cbranch_execz .LBB298_324
; %bb.319:                              ;   in Loop: Header=BB298_243 Depth=1
	v_cmp_ne_u16_sdwa s[0:1], v23, s26 src0_sel:BYTE_0 src1_sel:DWORD
	v_bfrev_b32_e32 v44, 1
	s_and_saveexec_b64 s[18:19], s[0:1]
	s_cbranch_execz .LBB298_323
; %bb.320:                              ;   in Loop: Header=BB298_243 Depth=1
	v_and_b32_e32 v46, 0x7f, v23
	v_cmp_ne_u32_e64 s[0:1], s27, v46
	v_mov_b32_e32 v44, 0x7fc02000
	s_and_saveexec_b64 s[20:21], s[0:1]
	s_cbranch_execz .LBB298_322
; %bb.321:                              ;   in Loop: Header=BB298_243 Depth=1
	v_and_b32_e32 v44, 7, v23
	v_ffbh_u32_e32 v44, v44
	v_min_u32_e32 v44, 32, v44
	v_subrev_u32_e32 v47, 28, v44
	v_cmp_gt_u32_e64 s[0:1], 8, v46
	v_lshrrev_b32_e32 v48, 3, v46
	v_sub_u32_e32 v44, 29, v44
	v_cndmask_b32_e64 v46, 0, v47, s[0:1]
	v_lshlrev_b64 v[46:47], v46, v[12:13]
	v_cndmask_b32_e64 v44, v48, v44, s[0:1]
	v_lshlrev_b32_e32 v47, 8, v23
	v_lshl_add_u32 v44, v44, 10, v29
	v_lshlrev_b32_e32 v46, 7, v46
	v_and_or_b32 v44, v47, s34, v44
	v_and_or_b32 v44, v46, s36, v44
	v_cvt_f32_f16_e32 v44, v44
.LBB298_322:                            ;   in Loop: Header=BB298_243 Depth=1
	s_or_b64 exec, exec, s[20:21]
.LBB298_323:                            ;   in Loop: Header=BB298_243 Depth=1
	s_or_b64 exec, exec, s[18:19]
.LBB298_324:                            ;   in Loop: Header=BB298_243 Depth=1
	s_or_b64 exec, exec, s[6:7]
	v_lshrrev_b16_e32 v12, 8, v12
	v_cmp_ne_u16_e64 s[0:1], 0, v12
	s_and_saveexec_b64 s[6:7], s[0:1]
	s_cbranch_execz .LBB298_330
; %bb.325:                              ;   in Loop: Header=BB298_243 Depth=1
	v_cmp_ne_u16_e64 s[0:1], s26, v12
	v_bfrev_b32_e32 v45, 1
	s_and_saveexec_b64 s[18:19], s[0:1]
	s_cbranch_execz .LBB298_329
; %bb.326:                              ;   in Loop: Header=BB298_243 Depth=1
	v_and_b32_e32 v46, 0x7f, v12
	v_cmp_ne_u32_e64 s[0:1], s27, v46
	v_mov_b32_e32 v45, 0x7fc02000
	s_and_saveexec_b64 s[20:21], s[0:1]
	s_cbranch_execz .LBB298_328
; %bb.327:                              ;   in Loop: Header=BB298_243 Depth=1
	v_and_b32_e32 v45, 7, v12
	v_ffbh_u32_e32 v48, v45
	v_min_u32_e32 v50, 32, v48
	v_subrev_u32_e32 v48, 28, v50
	v_lshlrev_b64 v[48:49], v48, v[12:13]
	v_lshrrev_b32_e32 v47, 3, v46
	v_sub_u32_e32 v49, 29, v50
	v_cmp_gt_u32_e64 s[0:1], 8, v46
	v_cndmask_b32_e64 v46, v47, v49, s[0:1]
	v_and_b32_e32 v48, 7, v48
	v_lshlrev_b32_e32 v12, 8, v12
	v_lshl_add_u32 v46, v46, 10, v29
	v_cndmask_b32_e64 v45, v45, v48, s[0:1]
	v_and_or_b32 v12, v12, s34, v46
	v_lshl_or_b32 v12, v45, 7, v12
	v_cvt_f32_f16_e32 v45, v12
.LBB298_328:                            ;   in Loop: Header=BB298_243 Depth=1
	s_or_b64 exec, exec, s[20:21]
.LBB298_329:                            ;   in Loop: Header=BB298_243 Depth=1
	s_or_b64 exec, exec, s[18:19]
.LBB298_330:                            ;   in Loop: Header=BB298_243 Depth=1
	s_or_b64 exec, exec, s[6:7]
	v_lshrrev_b32_e32 v12, 16, v23
	v_cmp_ne_u16_sdwa s[0:1], v12, v13 src0_sel:BYTE_0 src1_sel:DWORD
	v_mov_b32_e32 v46, 0
	v_mov_b32_e32 v47, 0
	s_and_saveexec_b64 s[6:7], s[0:1]
	s_cbranch_execz .LBB298_336
; %bb.331:                              ;   in Loop: Header=BB298_243 Depth=1
	v_cmp_ne_u16_sdwa s[0:1], v12, s26 src0_sel:BYTE_0 src1_sel:DWORD
	v_bfrev_b32_e32 v47, 1
	s_and_saveexec_b64 s[18:19], s[0:1]
	s_cbranch_execz .LBB298_335
; %bb.332:                              ;   in Loop: Header=BB298_243 Depth=1
	v_bfe_u32 v48, v23, 16, 7
	v_cmp_ne_u32_e64 s[0:1], s27, v48
	v_mov_b32_e32 v47, 0x7fc02000
	s_and_saveexec_b64 s[20:21], s[0:1]
	s_cbranch_execz .LBB298_334
; %bb.333:                              ;   in Loop: Header=BB298_243 Depth=1
	v_and_b32_e32 v47, 7, v12
	v_ffbh_u32_e32 v50, v47
	v_min_u32_e32 v52, 32, v50
	v_subrev_u32_e32 v50, 28, v52
	v_lshlrev_b64 v[50:51], v50, v[12:13]
	v_lshrrev_b32_e32 v49, 3, v48
	v_sub_u32_e32 v51, 29, v52
	v_cmp_gt_u32_e64 s[0:1], 8, v48
	v_cndmask_b32_e64 v48, v49, v51, s[0:1]
	v_and_b32_e32 v50, 7, v50
	v_lshlrev_b32_e32 v12, 8, v12
	v_lshl_add_u32 v48, v48, 10, v29
	v_cndmask_b32_e64 v47, v47, v50, s[0:1]
	v_and_or_b32 v12, v12, s34, v48
	v_lshl_or_b32 v12, v47, 7, v12
	v_cvt_f32_f16_e32 v47, v12
.LBB298_334:                            ;   in Loop: Header=BB298_243 Depth=1
	s_or_b64 exec, exec, s[20:21]
.LBB298_335:                            ;   in Loop: Header=BB298_243 Depth=1
	s_or_b64 exec, exec, s[18:19]
.LBB298_336:                            ;   in Loop: Header=BB298_243 Depth=1
	s_or_b64 exec, exec, s[6:7]
	v_cmp_lt_u64_e64 s[0:1], s[12:13], v[22:23]
	s_and_saveexec_b64 s[6:7], s[0:1]
	s_cbranch_execz .LBB298_342
; %bb.337:                              ;   in Loop: Header=BB298_243 Depth=1
	v_lshrrev_b32_e32 v12, 24, v23
	v_cmp_ne_u32_e64 s[0:1], s26, v12
	v_bfrev_b32_e32 v46, 1
	s_and_saveexec_b64 s[18:19], s[0:1]
	s_cbranch_execz .LBB298_341
; %bb.338:                              ;   in Loop: Header=BB298_243 Depth=1
	v_and_b32_e32 v22, 0x7f, v12
	v_cmp_ne_u32_e64 s[0:1], s27, v22
	v_mov_b32_e32 v46, 0x7fc02000
	s_and_saveexec_b64 s[20:21], s[0:1]
	s_cbranch_execz .LBB298_340
; %bb.339:                              ;   in Loop: Header=BB298_243 Depth=1
	v_and_b32_e32 v23, 7, v12
	v_ffbh_u32_e32 v48, v23
	v_min_u32_e32 v50, 32, v48
	v_subrev_u32_e32 v48, 28, v50
	v_lshlrev_b64 v[48:49], v48, v[12:13]
	v_lshrrev_b32_e32 v46, 3, v22
	v_sub_u32_e32 v49, 29, v50
	v_cmp_gt_u32_e64 s[0:1], 8, v22
	v_cndmask_b32_e64 v22, v46, v49, s[0:1]
	v_and_b32_e32 v48, 7, v48
	v_lshlrev_b32_e32 v12, 8, v12
	v_lshl_add_u32 v22, v22, 10, v29
	v_cndmask_b32_e64 v23, v23, v48, s[0:1]
	v_and_or_b32 v12, v12, s34, v22
	v_lshl_or_b32 v12, v23, 7, v12
	v_cvt_f32_f16_e32 v46, v12
.LBB298_340:                            ;   in Loop: Header=BB298_243 Depth=1
	s_or_b64 exec, exec, s[20:21]
.LBB298_341:                            ;   in Loop: Header=BB298_243 Depth=1
	s_or_b64 exec, exec, s[18:19]
.LBB298_342:                            ;   in Loop: Header=BB298_243 Depth=1
	s_or_b64 exec, exec, s[6:7]
	s_waitcnt vmcnt(0)
	v_pk_mul_f32 v[20:21], v[16:17], v[20:21] op_sel_hi:[0,1]
	v_pk_mul_f32 v[18:19], v[16:17], v[18:19] op_sel_hi:[0,1]
	v_cvt_f16_f32_e32 v12, v21
	v_cvt_f16_f32_e32 v20, v20
	;; [unrolled: 1-line block ×4, first 2 shown]
	v_pack_b32_f16 v20, v20, v12
	v_pack_b32_f16 v18, v18, v19
	v_fma_mixlo_f16 v19, v16, v45, 0
	v_perm_b32 v12, v18, v20, s37
	v_perm_b32 v18, v18, v20, s38
	v_lshlrev_b32_e32 v19, 16, v19
	v_fma_mixlo_f16 v20, v16, v44, 0
	v_or_b32_sdwa v19, v19, v20 dst_sel:DWORD dst_unused:UNUSED_PAD src0_sel:DWORD src1_sel:WORD_0
	v_fma_mixlo_f16 v20, v16, v47, 0
	v_fma_mixlo_f16 v16, v16, v46, 0
	v_lshlrev_b32_e32 v16, 16, v16
	v_or_b32_sdwa v16, v16, v20 dst_sel:DWORD dst_unused:UNUSED_PAD src0_sel:DWORD src1_sel:WORD_0
	s_and_saveexec_b64 s[6:7], vcc
	s_cbranch_execz .LBB298_344
; %bb.343:                              ;   in Loop: Header=BB298_243 Depth=1
	v_lshrrev_b32_e32 v21, 16, v18
	v_cmp_gt_i32_e64 s[0:1], s25, v37
	v_cndmask_b32_e64 v21, 0, v21, s[0:1]
	v_cmp_gt_i32_e64 s[0:1], s33, v32
	v_cndmask_b32_e64 v18, 0, v18, s[0:1]
	v_perm_b32 v18, v21, v18, s39
	v_lshrrev_b32_e32 v21, 16, v12
	v_cmp_gt_i32_e64 s[0:1], s25, v36
	v_cndmask_b32_e64 v21, 0, v21, s[0:1]
	v_cmp_gt_i32_e64 s[0:1], s33, v35
	v_cndmask_b32_e64 v12, 0, v12, s[0:1]
	v_perm_b32 v12, v21, v12, s39
	v_lshrrev_b32_e32 v21, 16, v19
	v_cmp_gt_i32_e64 s[0:1], s25, v34
	v_cndmask_b32_e64 v21, 0, v21, s[0:1]
	v_cmp_gt_i32_e64 s[0:1], s33, v33
	v_cndmask_b32_e64 v19, 0, v19, s[0:1]
	v_lshrrev_b32_e32 v16, 16, v16
	v_cmp_gt_i32_e64 s[0:1], s25, v31
	v_cndmask_b32_e64 v16, 0, v16, s[0:1]
	v_cmp_gt_i32_e64 s[0:1], s33, v30
	v_cndmask_b32_e64 v20, 0, v20, s[0:1]
	v_perm_b32 v19, v21, v19, s39
	v_perm_b32 v16, v16, v20, s39
.LBB298_344:                            ;   in Loop: Header=BB298_243 Depth=1
	s_or_b64 exec, exec, s[6:7]
	;;#ASMSTART
	v_pk_mul_f16 v18, v41, v18;

	;;#ASMEND
	;;#ASMSTART
	v_pk_mul_f16 v12, v40, v12;

	;;#ASMEND
	;; [unrolled: 4-line block ×4, first 2 shown]
	;;#ASMSTART
	v_pk_add_f16 v12, v18, v12;

	;;#ASMEND
	;;#ASMSTART
	v_pk_add_f16 v12, v12, v19;

	;;#ASMEND
	;; [unrolled: 4-line block ×3, first 2 shown]
	v_lshrrev_b32_e32 v16, 16, v12
	v_and_b32_e32 v12, 0xffff, v12
	;;#ASMSTART
	v_cvt_f32_f16 v44, v12;
	;;#ASMEND
	;;#ASMSTART
	v_cvt_f32_f16 v45, v16;
	;;#ASMEND
	global_load_dwordx2 v[22:23], v[14:15], off offset:1024
	global_load_dword v16, v13, s[14:15]
	v_mov_b32_e32 v20, 0
	v_mov_b32_e32 v18, 0
	s_waitcnt vmcnt(1)
	v_cmp_ne_u16_sdwa s[0:1], v22, v13 src0_sel:BYTE_0 src1_sel:DWORD
	s_and_saveexec_b64 s[6:7], s[0:1]
	s_cbranch_execz .LBB298_350
; %bb.345:                              ;   in Loop: Header=BB298_243 Depth=1
	v_cmp_ne_u16_sdwa s[0:1], v22, s26 src0_sel:BYTE_0 src1_sel:DWORD
	v_bfrev_b32_e32 v18, 1
	s_and_saveexec_b64 s[18:19], s[0:1]
	s_cbranch_execz .LBB298_349
; %bb.346:                              ;   in Loop: Header=BB298_243 Depth=1
	v_and_b32_e32 v12, 0x7f, v22
	v_cmp_ne_u32_e64 s[0:1], s27, v12
	v_mov_b32_e32 v18, 0x7fc02000
	s_and_saveexec_b64 s[20:21], s[0:1]
	s_cbranch_execz .LBB298_348
; %bb.347:                              ;   in Loop: Header=BB298_243 Depth=1
	v_and_b32_e32 v18, 7, v22
	v_ffbh_u32_e32 v18, v18
	v_min_u32_e32 v18, 32, v18
	v_subrev_u32_e32 v19, 28, v18
	v_cmp_gt_u32_e64 s[0:1], 8, v12
	v_lshrrev_b32_e32 v21, 3, v12
	v_sub_u32_e32 v46, 29, v18
	v_cndmask_b32_e64 v12, 0, v19, s[0:1]
	v_lshlrev_b64 v[18:19], v12, v[22:23]
	v_cndmask_b32_e64 v12, v21, v46, s[0:1]
	v_lshlrev_b32_e32 v19, 8, v22
	v_lshl_add_u32 v12, v12, 10, v29
	v_lshlrev_b32_e32 v18, 7, v18
	v_and_or_b32 v12, v19, s34, v12
	v_and_or_b32 v12, v18, s36, v12
	v_cvt_f32_f16_e32 v18, v12
.LBB298_348:                            ;   in Loop: Header=BB298_243 Depth=1
	s_or_b64 exec, exec, s[20:21]
.LBB298_349:                            ;   in Loop: Header=BB298_243 Depth=1
	s_or_b64 exec, exec, s[18:19]
.LBB298_350:                            ;   in Loop: Header=BB298_243 Depth=1
	s_or_b64 exec, exec, s[6:7]
	v_lshrrev_b16_e32 v12, 8, v22
	v_cmp_ne_u16_e64 s[0:1], 0, v12
	s_and_saveexec_b64 s[6:7], s[0:1]
	s_cbranch_execz .LBB298_356
; %bb.351:                              ;   in Loop: Header=BB298_243 Depth=1
	v_cmp_ne_u16_e64 s[0:1], s26, v12
	v_bfrev_b32_e32 v20, 1
	s_and_saveexec_b64 s[18:19], s[0:1]
	s_cbranch_execz .LBB298_355
; %bb.352:                              ;   in Loop: Header=BB298_243 Depth=1
	v_and_b32_e32 v19, 0x7f, v12
	v_cmp_ne_u32_e64 s[0:1], s27, v19
	v_mov_b32_e32 v20, 0x7fc02000
	s_and_saveexec_b64 s[20:21], s[0:1]
	s_cbranch_execz .LBB298_354
; %bb.353:                              ;   in Loop: Header=BB298_243 Depth=1
	v_and_b32_e32 v46, 7, v12
	v_ffbh_u32_e32 v20, v46
	v_min_u32_e32 v48, 32, v20
	v_subrev_u32_e32 v20, 28, v48
	v_lshlrev_b64 v[20:21], v20, v[12:13]
	v_lshrrev_b32_e32 v47, 3, v19
	v_sub_u32_e32 v21, 29, v48
	v_cmp_gt_u32_e64 s[0:1], 8, v19
	v_cndmask_b32_e64 v19, v47, v21, s[0:1]
	v_and_b32_e32 v20, 7, v20
	v_lshlrev_b32_e32 v12, 8, v12
	v_lshl_add_u32 v19, v19, 10, v29
	v_cndmask_b32_e64 v20, v46, v20, s[0:1]
	v_and_or_b32 v12, v12, s34, v19
	v_lshl_or_b32 v12, v20, 7, v12
	v_cvt_f32_f16_e32 v20, v12
.LBB298_354:                            ;   in Loop: Header=BB298_243 Depth=1
	s_or_b64 exec, exec, s[20:21]
.LBB298_355:                            ;   in Loop: Header=BB298_243 Depth=1
	s_or_b64 exec, exec, s[18:19]
.LBB298_356:                            ;   in Loop: Header=BB298_243 Depth=1
	s_or_b64 exec, exec, s[6:7]
	v_lshrrev_b32_e32 v12, 16, v22
	v_cmp_ne_u16_sdwa s[0:1], v12, v13 src0_sel:BYTE_0 src1_sel:DWORD
	v_mov_b32_e32 v21, 0
	v_mov_b32_e32 v19, 0
	s_and_saveexec_b64 s[6:7], s[0:1]
	s_cbranch_execz .LBB298_362
; %bb.357:                              ;   in Loop: Header=BB298_243 Depth=1
	v_cmp_ne_u16_sdwa s[0:1], v12, s26 src0_sel:BYTE_0 src1_sel:DWORD
	v_bfrev_b32_e32 v19, 1
	s_and_saveexec_b64 s[18:19], s[0:1]
	s_cbranch_execz .LBB298_361
; %bb.358:                              ;   in Loop: Header=BB298_243 Depth=1
	v_bfe_u32 v46, v22, 16, 7
	v_cmp_ne_u32_e64 s[0:1], s27, v46
	v_mov_b32_e32 v19, 0x7fc02000
	s_and_saveexec_b64 s[20:21], s[0:1]
	s_cbranch_execz .LBB298_360
; %bb.359:                              ;   in Loop: Header=BB298_243 Depth=1
	v_and_b32_e32 v19, 7, v12
	v_ffbh_u32_e32 v48, v19
	v_min_u32_e32 v50, 32, v48
	v_subrev_u32_e32 v48, 28, v50
	v_lshlrev_b64 v[48:49], v48, v[12:13]
	v_lshrrev_b32_e32 v47, 3, v46
	v_sub_u32_e32 v49, 29, v50
	v_cmp_gt_u32_e64 s[0:1], 8, v46
	v_cndmask_b32_e64 v46, v47, v49, s[0:1]
	v_and_b32_e32 v48, 7, v48
	v_lshlrev_b32_e32 v12, 8, v12
	v_lshl_add_u32 v46, v46, 10, v29
	v_cndmask_b32_e64 v19, v19, v48, s[0:1]
	v_and_or_b32 v12, v12, s34, v46
	v_lshl_or_b32 v12, v19, 7, v12
	v_cvt_f32_f16_e32 v19, v12
.LBB298_360:                            ;   in Loop: Header=BB298_243 Depth=1
	s_or_b64 exec, exec, s[20:21]
.LBB298_361:                            ;   in Loop: Header=BB298_243 Depth=1
	s_or_b64 exec, exec, s[18:19]
.LBB298_362:                            ;   in Loop: Header=BB298_243 Depth=1
	s_or_b64 exec, exec, s[6:7]
	v_cmp_lt_u32_e64 s[0:1], s13, v22
	s_and_saveexec_b64 s[6:7], s[0:1]
	s_cbranch_execz .LBB298_368
; %bb.363:                              ;   in Loop: Header=BB298_243 Depth=1
	v_lshrrev_b32_e32 v12, 24, v22
	v_cmp_ne_u32_e64 s[0:1], s26, v12
	v_bfrev_b32_e32 v21, 1
	s_and_saveexec_b64 s[18:19], s[0:1]
	s_cbranch_execz .LBB298_367
; %bb.364:                              ;   in Loop: Header=BB298_243 Depth=1
	v_and_b32_e32 v46, 0x7f, v12
	v_cmp_ne_u32_e64 s[0:1], s27, v46
	v_mov_b32_e32 v21, 0x7fc02000
	s_and_saveexec_b64 s[20:21], s[0:1]
	s_cbranch_execz .LBB298_366
; %bb.365:                              ;   in Loop: Header=BB298_243 Depth=1
	v_and_b32_e32 v21, 7, v12
	v_ffbh_u32_e32 v48, v21
	v_min_u32_e32 v50, 32, v48
	v_subrev_u32_e32 v48, 28, v50
	v_lshlrev_b64 v[48:49], v48, v[12:13]
	v_lshrrev_b32_e32 v47, 3, v46
	v_sub_u32_e32 v49, 29, v50
	v_cmp_gt_u32_e64 s[0:1], 8, v46
	v_cndmask_b32_e64 v46, v47, v49, s[0:1]
	v_and_b32_e32 v48, 7, v48
	v_lshlrev_b32_e32 v12, 8, v12
	v_lshl_add_u32 v46, v46, 10, v29
	v_cndmask_b32_e64 v21, v21, v48, s[0:1]
	v_and_or_b32 v12, v12, s34, v46
	v_lshl_or_b32 v12, v21, 7, v12
	v_cvt_f32_f16_e32 v21, v12
.LBB298_366:                            ;   in Loop: Header=BB298_243 Depth=1
	s_or_b64 exec, exec, s[20:21]
.LBB298_367:                            ;   in Loop: Header=BB298_243 Depth=1
	s_or_b64 exec, exec, s[18:19]
.LBB298_368:                            ;   in Loop: Header=BB298_243 Depth=1
	s_or_b64 exec, exec, s[6:7]
	v_mov_b32_e32 v12, v23
	v_cmp_ne_u16_sdwa s[0:1], v23, v13 src0_sel:BYTE_0 src1_sel:DWORD
	v_mov_b32_e32 v47, 0
	v_mov_b32_e32 v46, 0
	s_and_saveexec_b64 s[6:7], s[0:1]
	s_cbranch_execz .LBB298_374
; %bb.369:                              ;   in Loop: Header=BB298_243 Depth=1
	v_cmp_ne_u16_sdwa s[0:1], v23, s26 src0_sel:BYTE_0 src1_sel:DWORD
	v_bfrev_b32_e32 v46, 1
	s_and_saveexec_b64 s[18:19], s[0:1]
	s_cbranch_execz .LBB298_373
; %bb.370:                              ;   in Loop: Header=BB298_243 Depth=1
	v_and_b32_e32 v48, 0x7f, v23
	v_cmp_ne_u32_e64 s[0:1], s27, v48
	v_mov_b32_e32 v46, 0x7fc02000
	s_and_saveexec_b64 s[20:21], s[0:1]
	s_cbranch_execz .LBB298_372
; %bb.371:                              ;   in Loop: Header=BB298_243 Depth=1
	v_and_b32_e32 v46, 7, v23
	v_ffbh_u32_e32 v46, v46
	v_min_u32_e32 v46, 32, v46
	v_subrev_u32_e32 v49, 28, v46
	v_cmp_gt_u32_e64 s[0:1], 8, v48
	v_lshrrev_b32_e32 v50, 3, v48
	v_sub_u32_e32 v46, 29, v46
	v_cndmask_b32_e64 v48, 0, v49, s[0:1]
	v_lshlrev_b64 v[48:49], v48, v[12:13]
	v_cndmask_b32_e64 v46, v50, v46, s[0:1]
	v_lshlrev_b32_e32 v49, 8, v23
	v_lshl_add_u32 v46, v46, 10, v29
	v_lshlrev_b32_e32 v48, 7, v48
	v_and_or_b32 v46, v49, s34, v46
	v_and_or_b32 v46, v48, s36, v46
	v_cvt_f32_f16_e32 v46, v46
.LBB298_372:                            ;   in Loop: Header=BB298_243 Depth=1
	s_or_b64 exec, exec, s[20:21]
.LBB298_373:                            ;   in Loop: Header=BB298_243 Depth=1
	s_or_b64 exec, exec, s[18:19]
.LBB298_374:                            ;   in Loop: Header=BB298_243 Depth=1
	s_or_b64 exec, exec, s[6:7]
	v_lshrrev_b16_e32 v12, 8, v12
	v_cmp_ne_u16_e64 s[0:1], 0, v12
	s_and_saveexec_b64 s[6:7], s[0:1]
	s_cbranch_execz .LBB298_380
; %bb.375:                              ;   in Loop: Header=BB298_243 Depth=1
	v_cmp_ne_u16_e64 s[0:1], s26, v12
	v_bfrev_b32_e32 v47, 1
	s_and_saveexec_b64 s[18:19], s[0:1]
	s_cbranch_execz .LBB298_379
; %bb.376:                              ;   in Loop: Header=BB298_243 Depth=1
	v_and_b32_e32 v48, 0x7f, v12
	v_cmp_ne_u32_e64 s[0:1], s27, v48
	v_mov_b32_e32 v47, 0x7fc02000
	s_and_saveexec_b64 s[20:21], s[0:1]
	s_cbranch_execz .LBB298_378
; %bb.377:                              ;   in Loop: Header=BB298_243 Depth=1
	v_and_b32_e32 v47, 7, v12
	v_ffbh_u32_e32 v50, v47
	v_min_u32_e32 v52, 32, v50
	v_subrev_u32_e32 v50, 28, v52
	v_lshlrev_b64 v[50:51], v50, v[12:13]
	v_lshrrev_b32_e32 v49, 3, v48
	v_sub_u32_e32 v51, 29, v52
	v_cmp_gt_u32_e64 s[0:1], 8, v48
	v_cndmask_b32_e64 v48, v49, v51, s[0:1]
	v_and_b32_e32 v50, 7, v50
	v_lshlrev_b32_e32 v12, 8, v12
	v_lshl_add_u32 v48, v48, 10, v29
	v_cndmask_b32_e64 v47, v47, v50, s[0:1]
	v_and_or_b32 v12, v12, s34, v48
	v_lshl_or_b32 v12, v47, 7, v12
	v_cvt_f32_f16_e32 v47, v12
.LBB298_378:                            ;   in Loop: Header=BB298_243 Depth=1
	s_or_b64 exec, exec, s[20:21]
.LBB298_379:                            ;   in Loop: Header=BB298_243 Depth=1
	s_or_b64 exec, exec, s[18:19]
.LBB298_380:                            ;   in Loop: Header=BB298_243 Depth=1
	s_or_b64 exec, exec, s[6:7]
	v_lshrrev_b32_e32 v12, 16, v23
	v_cmp_ne_u16_sdwa s[0:1], v12, v13 src0_sel:BYTE_0 src1_sel:DWORD
	v_mov_b32_e32 v48, 0
	v_mov_b32_e32 v49, 0
	s_and_saveexec_b64 s[6:7], s[0:1]
	s_cbranch_execz .LBB298_386
; %bb.381:                              ;   in Loop: Header=BB298_243 Depth=1
	v_cmp_ne_u16_sdwa s[0:1], v12, s26 src0_sel:BYTE_0 src1_sel:DWORD
	v_bfrev_b32_e32 v49, 1
	s_and_saveexec_b64 s[18:19], s[0:1]
	s_cbranch_execz .LBB298_385
; %bb.382:                              ;   in Loop: Header=BB298_243 Depth=1
	v_bfe_u32 v50, v23, 16, 7
	v_cmp_ne_u32_e64 s[0:1], s27, v50
	v_mov_b32_e32 v49, 0x7fc02000
	s_and_saveexec_b64 s[20:21], s[0:1]
	s_cbranch_execz .LBB298_384
; %bb.383:                              ;   in Loop: Header=BB298_243 Depth=1
	v_and_b32_e32 v49, 7, v12
	v_ffbh_u32_e32 v52, v49
	v_min_u32_e32 v54, 32, v52
	v_subrev_u32_e32 v52, 28, v54
	v_lshlrev_b64 v[52:53], v52, v[12:13]
	v_lshrrev_b32_e32 v51, 3, v50
	v_sub_u32_e32 v53, 29, v54
	v_cmp_gt_u32_e64 s[0:1], 8, v50
	v_cndmask_b32_e64 v50, v51, v53, s[0:1]
	v_and_b32_e32 v52, 7, v52
	v_lshlrev_b32_e32 v12, 8, v12
	v_lshl_add_u32 v50, v50, 10, v29
	v_cndmask_b32_e64 v49, v49, v52, s[0:1]
	v_and_or_b32 v12, v12, s34, v50
	v_lshl_or_b32 v12, v49, 7, v12
	v_cvt_f32_f16_e32 v49, v12
.LBB298_384:                            ;   in Loop: Header=BB298_243 Depth=1
	s_or_b64 exec, exec, s[20:21]
.LBB298_385:                            ;   in Loop: Header=BB298_243 Depth=1
	s_or_b64 exec, exec, s[18:19]
.LBB298_386:                            ;   in Loop: Header=BB298_243 Depth=1
	s_or_b64 exec, exec, s[6:7]
	v_cmp_lt_u64_e64 s[0:1], s[12:13], v[22:23]
	s_and_saveexec_b64 s[6:7], s[0:1]
	s_cbranch_execz .LBB298_392
; %bb.387:                              ;   in Loop: Header=BB298_243 Depth=1
	v_lshrrev_b32_e32 v12, 24, v23
	v_cmp_ne_u32_e64 s[0:1], s26, v12
	v_bfrev_b32_e32 v48, 1
	s_and_saveexec_b64 s[18:19], s[0:1]
	s_cbranch_execz .LBB298_391
; %bb.388:                              ;   in Loop: Header=BB298_243 Depth=1
	v_and_b32_e32 v22, 0x7f, v12
	v_cmp_ne_u32_e64 s[0:1], s27, v22
	v_mov_b32_e32 v48, 0x7fc02000
	s_and_saveexec_b64 s[20:21], s[0:1]
	s_cbranch_execz .LBB298_390
; %bb.389:                              ;   in Loop: Header=BB298_243 Depth=1
	v_and_b32_e32 v23, 7, v12
	v_ffbh_u32_e32 v50, v23
	v_min_u32_e32 v52, 32, v50
	v_subrev_u32_e32 v50, 28, v52
	v_lshlrev_b64 v[50:51], v50, v[12:13]
	v_lshrrev_b32_e32 v48, 3, v22
	v_sub_u32_e32 v51, 29, v52
	v_cmp_gt_u32_e64 s[0:1], 8, v22
	v_cndmask_b32_e64 v22, v48, v51, s[0:1]
	v_and_b32_e32 v50, 7, v50
	v_lshlrev_b32_e32 v12, 8, v12
	v_lshl_add_u32 v22, v22, 10, v29
	v_cndmask_b32_e64 v23, v23, v50, s[0:1]
	v_and_or_b32 v12, v12, s34, v22
	v_lshl_or_b32 v12, v23, 7, v12
	v_cvt_f32_f16_e32 v48, v12
.LBB298_390:                            ;   in Loop: Header=BB298_243 Depth=1
	s_or_b64 exec, exec, s[20:21]
.LBB298_391:                            ;   in Loop: Header=BB298_243 Depth=1
	s_or_b64 exec, exec, s[18:19]
.LBB298_392:                            ;   in Loop: Header=BB298_243 Depth=1
	s_or_b64 exec, exec, s[6:7]
	s_waitcnt vmcnt(0)
	v_pk_mul_f32 v[20:21], v[16:17], v[20:21] op_sel_hi:[0,1]
	v_pk_mul_f32 v[18:19], v[16:17], v[18:19] op_sel_hi:[0,1]
	v_cvt_f16_f32_e32 v12, v21
	v_cvt_f16_f32_e32 v20, v20
	;; [unrolled: 1-line block ×4, first 2 shown]
	v_pack_b32_f16 v20, v20, v12
	v_pack_b32_f16 v18, v18, v19
	v_fma_mixlo_f16 v19, v16, v47, 0
	v_perm_b32 v12, v18, v20, s37
	v_perm_b32 v18, v18, v20, s38
	v_lshlrev_b32_e32 v19, 16, v19
	v_fma_mixlo_f16 v20, v16, v46, 0
	v_or_b32_sdwa v19, v19, v20 dst_sel:DWORD dst_unused:UNUSED_PAD src0_sel:DWORD src1_sel:WORD_0
	v_fma_mixlo_f16 v20, v16, v49, 0
	v_fma_mixlo_f16 v16, v16, v48, 0
	v_lshlrev_b32_e32 v16, 16, v16
	v_or_b32_sdwa v16, v16, v20 dst_sel:DWORD dst_unused:UNUSED_PAD src0_sel:DWORD src1_sel:WORD_0
	s_and_saveexec_b64 s[6:7], vcc
	s_cbranch_execz .LBB298_394
; %bb.393:                              ;   in Loop: Header=BB298_243 Depth=1
	v_lshrrev_b32_e32 v21, 16, v18
	v_cmp_gt_i32_e64 s[0:1], s25, v37
	v_cndmask_b32_e64 v21, 0, v21, s[0:1]
	v_cmp_gt_i32_e64 s[0:1], s33, v32
	v_cndmask_b32_e64 v18, 0, v18, s[0:1]
	v_perm_b32 v18, v21, v18, s39
	v_lshrrev_b32_e32 v21, 16, v12
	v_cmp_gt_i32_e64 s[0:1], s25, v36
	v_cndmask_b32_e64 v21, 0, v21, s[0:1]
	v_cmp_gt_i32_e64 s[0:1], s33, v35
	v_cndmask_b32_e64 v12, 0, v12, s[0:1]
	v_perm_b32 v12, v21, v12, s39
	v_lshrrev_b32_e32 v21, 16, v19
	v_cmp_gt_i32_e64 s[0:1], s25, v34
	v_cndmask_b32_e64 v21, 0, v21, s[0:1]
	v_cmp_gt_i32_e64 s[0:1], s33, v33
	v_cndmask_b32_e64 v19, 0, v19, s[0:1]
	v_lshrrev_b32_e32 v16, 16, v16
	v_cmp_gt_i32_e64 s[0:1], s25, v31
	v_cndmask_b32_e64 v16, 0, v16, s[0:1]
	v_cmp_gt_i32_e64 s[0:1], s33, v30
	v_cndmask_b32_e64 v20, 0, v20, s[0:1]
	v_perm_b32 v19, v21, v19, s39
	v_perm_b32 v16, v16, v20, s39
.LBB298_394:                            ;   in Loop: Header=BB298_243 Depth=1
	s_or_b64 exec, exec, s[6:7]
	;;#ASMSTART
	v_pk_mul_f16 v18, v41, v18;

	;;#ASMEND
	;;#ASMSTART
	v_pk_mul_f16 v12, v40, v12;

	;;#ASMEND
	;; [unrolled: 4-line block ×4, first 2 shown]
	;;#ASMSTART
	v_pk_add_f16 v12, v18, v12;

	;;#ASMEND
	;;#ASMSTART
	v_pk_add_f16 v12, v12, v19;

	;;#ASMEND
	;; [unrolled: 4-line block ×3, first 2 shown]
	v_lshrrev_b32_e32 v16, 16, v12
	v_and_b32_e32 v12, 0xffff, v12
	;;#ASMSTART
	v_cvt_f32_f16 v22, v12;
	;;#ASMEND
	;;#ASMSTART
	v_cvt_f32_f16 v23, v16;
	;;#ASMEND
	global_load_dwordx2 v[20:21], v[14:15], off offset:1536
	global_load_dword v16, v13, s[14:15]
	v_mov_b32_e32 v18, 0
	v_mov_b32_e32 v14, 0
	s_waitcnt vmcnt(1)
	v_cmp_ne_u16_sdwa s[0:1], v20, v13 src0_sel:BYTE_0 src1_sel:DWORD
	s_and_saveexec_b64 s[6:7], s[0:1]
	s_cbranch_execz .LBB298_400
; %bb.395:                              ;   in Loop: Header=BB298_243 Depth=1
	v_cmp_ne_u16_sdwa s[0:1], v20, s26 src0_sel:BYTE_0 src1_sel:DWORD
	v_bfrev_b32_e32 v14, 1
	s_and_saveexec_b64 s[18:19], s[0:1]
	s_cbranch_execz .LBB298_399
; %bb.396:                              ;   in Loop: Header=BB298_243 Depth=1
	v_and_b32_e32 v12, 0x7f, v20
	v_cmp_ne_u32_e64 s[0:1], s27, v12
	v_mov_b32_e32 v14, 0x7fc02000
	s_and_saveexec_b64 s[20:21], s[0:1]
	s_cbranch_execz .LBB298_398
; %bb.397:                              ;   in Loop: Header=BB298_243 Depth=1
	v_and_b32_e32 v14, 7, v20
	v_ffbh_u32_e32 v14, v14
	v_min_u32_e32 v14, 32, v14
	v_subrev_u32_e32 v15, 28, v14
	v_cmp_gt_u32_e64 s[0:1], 8, v12
	v_lshrrev_b32_e32 v19, 3, v12
	v_sub_u32_e32 v46, 29, v14
	v_cndmask_b32_e64 v12, 0, v15, s[0:1]
	v_lshlrev_b64 v[14:15], v12, v[20:21]
	v_cndmask_b32_e64 v12, v19, v46, s[0:1]
	v_lshlrev_b32_e32 v15, 8, v20
	v_lshl_add_u32 v12, v12, 10, v29
	v_lshlrev_b32_e32 v14, 7, v14
	v_and_or_b32 v12, v15, s34, v12
	v_and_or_b32 v12, v14, s36, v12
	v_cvt_f32_f16_e32 v14, v12
.LBB298_398:                            ;   in Loop: Header=BB298_243 Depth=1
	s_or_b64 exec, exec, s[20:21]
.LBB298_399:                            ;   in Loop: Header=BB298_243 Depth=1
	s_or_b64 exec, exec, s[18:19]
.LBB298_400:                            ;   in Loop: Header=BB298_243 Depth=1
	s_or_b64 exec, exec, s[6:7]
	v_lshrrev_b16_e32 v12, 8, v20
	v_cmp_ne_u16_e64 s[0:1], 0, v12
	s_and_saveexec_b64 s[6:7], s[0:1]
	s_cbranch_execz .LBB298_406
; %bb.401:                              ;   in Loop: Header=BB298_243 Depth=1
	v_cmp_ne_u16_e64 s[0:1], s26, v12
	v_bfrev_b32_e32 v18, 1
	s_and_saveexec_b64 s[18:19], s[0:1]
	s_cbranch_execz .LBB298_405
; %bb.402:                              ;   in Loop: Header=BB298_243 Depth=1
	v_and_b32_e32 v15, 0x7f, v12
	v_cmp_ne_u32_e64 s[0:1], s27, v15
	v_mov_b32_e32 v18, 0x7fc02000
	s_and_saveexec_b64 s[20:21], s[0:1]
	s_cbranch_execz .LBB298_404
; %bb.403:                              ;   in Loop: Header=BB298_243 Depth=1
	v_and_b32_e32 v46, 7, v12
	v_ffbh_u32_e32 v18, v46
	v_min_u32_e32 v48, 32, v18
	v_subrev_u32_e32 v18, 28, v48
	v_lshlrev_b64 v[18:19], v18, v[12:13]
	v_lshrrev_b32_e32 v47, 3, v15
	v_sub_u32_e32 v19, 29, v48
	v_cmp_gt_u32_e64 s[0:1], 8, v15
	v_cndmask_b32_e64 v15, v47, v19, s[0:1]
	v_and_b32_e32 v18, 7, v18
	v_lshlrev_b32_e32 v12, 8, v12
	v_lshl_add_u32 v15, v15, 10, v29
	v_cndmask_b32_e64 v18, v46, v18, s[0:1]
	v_and_or_b32 v12, v12, s34, v15
	v_lshl_or_b32 v12, v18, 7, v12
	v_cvt_f32_f16_e32 v18, v12
.LBB298_404:                            ;   in Loop: Header=BB298_243 Depth=1
	s_or_b64 exec, exec, s[20:21]
.LBB298_405:                            ;   in Loop: Header=BB298_243 Depth=1
	s_or_b64 exec, exec, s[18:19]
.LBB298_406:                            ;   in Loop: Header=BB298_243 Depth=1
	s_or_b64 exec, exec, s[6:7]
	v_lshrrev_b32_e32 v12, 16, v20
	v_cmp_ne_u16_sdwa s[0:1], v12, v13 src0_sel:BYTE_0 src1_sel:DWORD
	v_mov_b32_e32 v19, 0
	v_mov_b32_e32 v15, 0
	s_and_saveexec_b64 s[6:7], s[0:1]
	s_cbranch_execz .LBB298_412
; %bb.407:                              ;   in Loop: Header=BB298_243 Depth=1
	v_cmp_ne_u16_sdwa s[0:1], v12, s26 src0_sel:BYTE_0 src1_sel:DWORD
	v_bfrev_b32_e32 v15, 1
	s_and_saveexec_b64 s[18:19], s[0:1]
	s_cbranch_execz .LBB298_411
; %bb.408:                              ;   in Loop: Header=BB298_243 Depth=1
	v_bfe_u32 v46, v20, 16, 7
	v_cmp_ne_u32_e64 s[0:1], s27, v46
	v_mov_b32_e32 v15, 0x7fc02000
	s_and_saveexec_b64 s[20:21], s[0:1]
	s_cbranch_execz .LBB298_410
; %bb.409:                              ;   in Loop: Header=BB298_243 Depth=1
	v_and_b32_e32 v15, 7, v12
	v_ffbh_u32_e32 v48, v15
	v_min_u32_e32 v50, 32, v48
	v_subrev_u32_e32 v48, 28, v50
	v_lshlrev_b64 v[48:49], v48, v[12:13]
	v_lshrrev_b32_e32 v47, 3, v46
	v_sub_u32_e32 v49, 29, v50
	v_cmp_gt_u32_e64 s[0:1], 8, v46
	v_cndmask_b32_e64 v46, v47, v49, s[0:1]
	v_and_b32_e32 v48, 7, v48
	v_lshlrev_b32_e32 v12, 8, v12
	v_lshl_add_u32 v46, v46, 10, v29
	v_cndmask_b32_e64 v15, v15, v48, s[0:1]
	v_and_or_b32 v12, v12, s34, v46
	v_lshl_or_b32 v12, v15, 7, v12
	v_cvt_f32_f16_e32 v15, v12
.LBB298_410:                            ;   in Loop: Header=BB298_243 Depth=1
	s_or_b64 exec, exec, s[20:21]
.LBB298_411:                            ;   in Loop: Header=BB298_243 Depth=1
	s_or_b64 exec, exec, s[18:19]
.LBB298_412:                            ;   in Loop: Header=BB298_243 Depth=1
	s_or_b64 exec, exec, s[6:7]
	v_cmp_lt_u32_e64 s[0:1], s13, v20
	s_and_saveexec_b64 s[6:7], s[0:1]
	s_cbranch_execz .LBB298_418
; %bb.413:                              ;   in Loop: Header=BB298_243 Depth=1
	v_lshrrev_b32_e32 v12, 24, v20
	v_cmp_ne_u32_e64 s[0:1], s26, v12
	v_bfrev_b32_e32 v19, 1
	s_and_saveexec_b64 s[18:19], s[0:1]
	s_cbranch_execz .LBB298_417
; %bb.414:                              ;   in Loop: Header=BB298_243 Depth=1
	v_and_b32_e32 v46, 0x7f, v12
	v_cmp_ne_u32_e64 s[0:1], s27, v46
	v_mov_b32_e32 v19, 0x7fc02000
	s_and_saveexec_b64 s[20:21], s[0:1]
	s_cbranch_execz .LBB298_416
; %bb.415:                              ;   in Loop: Header=BB298_243 Depth=1
	v_and_b32_e32 v19, 7, v12
	v_ffbh_u32_e32 v48, v19
	v_min_u32_e32 v50, 32, v48
	v_subrev_u32_e32 v48, 28, v50
	v_lshlrev_b64 v[48:49], v48, v[12:13]
	v_lshrrev_b32_e32 v47, 3, v46
	v_sub_u32_e32 v49, 29, v50
	v_cmp_gt_u32_e64 s[0:1], 8, v46
	v_cndmask_b32_e64 v46, v47, v49, s[0:1]
	v_and_b32_e32 v48, 7, v48
	v_lshlrev_b32_e32 v12, 8, v12
	v_lshl_add_u32 v46, v46, 10, v29
	v_cndmask_b32_e64 v19, v19, v48, s[0:1]
	v_and_or_b32 v12, v12, s34, v46
	v_lshl_or_b32 v12, v19, 7, v12
	v_cvt_f32_f16_e32 v19, v12
.LBB298_416:                            ;   in Loop: Header=BB298_243 Depth=1
	s_or_b64 exec, exec, s[20:21]
.LBB298_417:                            ;   in Loop: Header=BB298_243 Depth=1
	s_or_b64 exec, exec, s[18:19]
.LBB298_418:                            ;   in Loop: Header=BB298_243 Depth=1
	s_or_b64 exec, exec, s[6:7]
	v_mov_b32_e32 v12, v21
	v_cmp_ne_u16_sdwa s[0:1], v21, v13 src0_sel:BYTE_0 src1_sel:DWORD
	v_mov_b32_e32 v47, 0
	v_mov_b32_e32 v46, 0
	s_and_saveexec_b64 s[6:7], s[0:1]
	s_cbranch_execz .LBB298_424
; %bb.419:                              ;   in Loop: Header=BB298_243 Depth=1
	v_cmp_ne_u16_sdwa s[0:1], v21, s26 src0_sel:BYTE_0 src1_sel:DWORD
	v_bfrev_b32_e32 v46, 1
	s_and_saveexec_b64 s[18:19], s[0:1]
	s_cbranch_execz .LBB298_423
; %bb.420:                              ;   in Loop: Header=BB298_243 Depth=1
	v_and_b32_e32 v48, 0x7f, v21
	v_cmp_ne_u32_e64 s[0:1], s27, v48
	v_mov_b32_e32 v46, 0x7fc02000
	s_and_saveexec_b64 s[20:21], s[0:1]
	s_cbranch_execz .LBB298_422
; %bb.421:                              ;   in Loop: Header=BB298_243 Depth=1
	v_and_b32_e32 v46, 7, v21
	v_ffbh_u32_e32 v46, v46
	v_min_u32_e32 v46, 32, v46
	v_subrev_u32_e32 v49, 28, v46
	v_cmp_gt_u32_e64 s[0:1], 8, v48
	v_lshrrev_b32_e32 v50, 3, v48
	v_sub_u32_e32 v46, 29, v46
	v_cndmask_b32_e64 v48, 0, v49, s[0:1]
	v_lshlrev_b64 v[48:49], v48, v[12:13]
	v_cndmask_b32_e64 v46, v50, v46, s[0:1]
	v_lshlrev_b32_e32 v49, 8, v21
	v_lshl_add_u32 v46, v46, 10, v29
	v_lshlrev_b32_e32 v48, 7, v48
	v_and_or_b32 v46, v49, s34, v46
	v_and_or_b32 v46, v48, s36, v46
	v_cvt_f32_f16_e32 v46, v46
.LBB298_422:                            ;   in Loop: Header=BB298_243 Depth=1
	s_or_b64 exec, exec, s[20:21]
.LBB298_423:                            ;   in Loop: Header=BB298_243 Depth=1
	s_or_b64 exec, exec, s[18:19]
.LBB298_424:                            ;   in Loop: Header=BB298_243 Depth=1
	s_or_b64 exec, exec, s[6:7]
	v_lshrrev_b16_e32 v12, 8, v12
	v_cmp_ne_u16_e64 s[0:1], 0, v12
	s_and_saveexec_b64 s[6:7], s[0:1]
	s_cbranch_execz .LBB298_430
; %bb.425:                              ;   in Loop: Header=BB298_243 Depth=1
	v_cmp_ne_u16_e64 s[0:1], s26, v12
	v_bfrev_b32_e32 v47, 1
	s_and_saveexec_b64 s[18:19], s[0:1]
	s_cbranch_execz .LBB298_429
; %bb.426:                              ;   in Loop: Header=BB298_243 Depth=1
	v_and_b32_e32 v48, 0x7f, v12
	v_cmp_ne_u32_e64 s[0:1], s27, v48
	v_mov_b32_e32 v47, 0x7fc02000
	s_and_saveexec_b64 s[20:21], s[0:1]
	s_cbranch_execz .LBB298_428
; %bb.427:                              ;   in Loop: Header=BB298_243 Depth=1
	v_and_b32_e32 v47, 7, v12
	v_ffbh_u32_e32 v50, v47
	v_min_u32_e32 v52, 32, v50
	v_subrev_u32_e32 v50, 28, v52
	v_lshlrev_b64 v[50:51], v50, v[12:13]
	v_lshrrev_b32_e32 v49, 3, v48
	v_sub_u32_e32 v51, 29, v52
	v_cmp_gt_u32_e64 s[0:1], 8, v48
	v_cndmask_b32_e64 v48, v49, v51, s[0:1]
	v_and_b32_e32 v50, 7, v50
	v_lshlrev_b32_e32 v12, 8, v12
	v_lshl_add_u32 v48, v48, 10, v29
	v_cndmask_b32_e64 v47, v47, v50, s[0:1]
	v_and_or_b32 v12, v12, s34, v48
	v_lshl_or_b32 v12, v47, 7, v12
	v_cvt_f32_f16_e32 v47, v12
.LBB298_428:                            ;   in Loop: Header=BB298_243 Depth=1
	s_or_b64 exec, exec, s[20:21]
.LBB298_429:                            ;   in Loop: Header=BB298_243 Depth=1
	s_or_b64 exec, exec, s[18:19]
.LBB298_430:                            ;   in Loop: Header=BB298_243 Depth=1
	s_or_b64 exec, exec, s[6:7]
	v_lshrrev_b32_e32 v12, 16, v21
	v_cmp_ne_u16_sdwa s[0:1], v12, v13 src0_sel:BYTE_0 src1_sel:DWORD
	v_mov_b32_e32 v48, 0
	v_mov_b32_e32 v49, 0
	s_and_saveexec_b64 s[6:7], s[0:1]
	s_cbranch_execz .LBB298_436
; %bb.431:                              ;   in Loop: Header=BB298_243 Depth=1
	v_cmp_ne_u16_sdwa s[0:1], v12, s26 src0_sel:BYTE_0 src1_sel:DWORD
	v_bfrev_b32_e32 v49, 1
	s_and_saveexec_b64 s[18:19], s[0:1]
	s_cbranch_execz .LBB298_435
; %bb.432:                              ;   in Loop: Header=BB298_243 Depth=1
	v_bfe_u32 v50, v21, 16, 7
	v_cmp_ne_u32_e64 s[0:1], s27, v50
	v_mov_b32_e32 v49, 0x7fc02000
	s_and_saveexec_b64 s[20:21], s[0:1]
	s_cbranch_execz .LBB298_434
; %bb.433:                              ;   in Loop: Header=BB298_243 Depth=1
	v_and_b32_e32 v49, 7, v12
	v_ffbh_u32_e32 v52, v49
	v_min_u32_e32 v54, 32, v52
	v_subrev_u32_e32 v52, 28, v54
	v_lshlrev_b64 v[52:53], v52, v[12:13]
	v_lshrrev_b32_e32 v51, 3, v50
	v_sub_u32_e32 v53, 29, v54
	v_cmp_gt_u32_e64 s[0:1], 8, v50
	v_cndmask_b32_e64 v50, v51, v53, s[0:1]
	v_and_b32_e32 v52, 7, v52
	v_lshlrev_b32_e32 v12, 8, v12
	v_lshl_add_u32 v50, v50, 10, v29
	v_cndmask_b32_e64 v49, v49, v52, s[0:1]
	v_and_or_b32 v12, v12, s34, v50
	v_lshl_or_b32 v12, v49, 7, v12
	v_cvt_f32_f16_e32 v49, v12
.LBB298_434:                            ;   in Loop: Header=BB298_243 Depth=1
	s_or_b64 exec, exec, s[20:21]
.LBB298_435:                            ;   in Loop: Header=BB298_243 Depth=1
	s_or_b64 exec, exec, s[18:19]
.LBB298_436:                            ;   in Loop: Header=BB298_243 Depth=1
	s_or_b64 exec, exec, s[6:7]
	v_cmp_lt_u64_e64 s[0:1], s[12:13], v[20:21]
	s_and_saveexec_b64 s[6:7], s[0:1]
	s_cbranch_execz .LBB298_442
; %bb.437:                              ;   in Loop: Header=BB298_243 Depth=1
	v_lshrrev_b32_e32 v12, 24, v21
	v_cmp_ne_u32_e64 s[0:1], s26, v12
	v_bfrev_b32_e32 v48, 1
	s_and_saveexec_b64 s[18:19], s[0:1]
	s_cbranch_execz .LBB298_441
; %bb.438:                              ;   in Loop: Header=BB298_243 Depth=1
	v_and_b32_e32 v20, 0x7f, v12
	v_cmp_ne_u32_e64 s[0:1], s27, v20
	v_mov_b32_e32 v48, 0x7fc02000
	s_and_saveexec_b64 s[20:21], s[0:1]
	s_cbranch_execz .LBB298_440
; %bb.439:                              ;   in Loop: Header=BB298_243 Depth=1
	v_and_b32_e32 v21, 7, v12
	v_ffbh_u32_e32 v50, v21
	v_min_u32_e32 v52, 32, v50
	v_subrev_u32_e32 v50, 28, v52
	v_lshlrev_b64 v[50:51], v50, v[12:13]
	v_lshrrev_b32_e32 v48, 3, v20
	v_sub_u32_e32 v51, 29, v52
	v_cmp_gt_u32_e64 s[0:1], 8, v20
	v_cndmask_b32_e64 v20, v48, v51, s[0:1]
	v_and_b32_e32 v50, 7, v50
	v_lshlrev_b32_e32 v12, 8, v12
	v_lshl_add_u32 v20, v20, 10, v29
	v_cndmask_b32_e64 v21, v21, v50, s[0:1]
	v_and_or_b32 v12, v12, s34, v20
	v_lshl_or_b32 v12, v21, 7, v12
	v_cvt_f32_f16_e32 v48, v12
.LBB298_440:                            ;   in Loop: Header=BB298_243 Depth=1
	s_or_b64 exec, exec, s[20:21]
.LBB298_441:                            ;   in Loop: Header=BB298_243 Depth=1
	s_or_b64 exec, exec, s[18:19]
.LBB298_442:                            ;   in Loop: Header=BB298_243 Depth=1
	s_or_b64 exec, exec, s[6:7]
	s_waitcnt vmcnt(0)
	v_pk_mul_f32 v[18:19], v[16:17], v[18:19] op_sel_hi:[0,1]
	v_pk_mul_f32 v[14:15], v[16:17], v[14:15] op_sel_hi:[0,1]
	v_cvt_f16_f32_e32 v12, v19
	v_cvt_f16_f32_e32 v18, v18
	;; [unrolled: 1-line block ×4, first 2 shown]
	v_pack_b32_f16 v18, v18, v12
	v_pack_b32_f16 v14, v14, v15
	v_perm_b32 v12, v14, v18, s37
	v_perm_b32 v15, v14, v18, s38
	v_fma_mixlo_f16 v14, v16, v47, 0
	v_lshlrev_b32_e32 v14, 16, v14
	v_fma_mixlo_f16 v18, v16, v46, 0
	v_or_b32_sdwa v14, v14, v18 dst_sel:DWORD dst_unused:UNUSED_PAD src0_sel:DWORD src1_sel:WORD_0
	v_fma_mixlo_f16 v18, v16, v49, 0
	v_fma_mixlo_f16 v16, v16, v48, 0
	v_lshlrev_b32_e32 v16, 16, v16
	v_or_b32_sdwa v16, v16, v18 dst_sel:DWORD dst_unused:UNUSED_PAD src0_sel:DWORD src1_sel:WORD_0
	s_and_saveexec_b64 s[0:1], vcc
	s_cbranch_execz .LBB298_241
; %bb.443:                              ;   in Loop: Header=BB298_243 Depth=1
	v_lshrrev_b32_e32 v19, 16, v15
	v_cmp_gt_i32_e32 vcc, s25, v37
	v_cndmask_b32_e32 v19, 0, v19, vcc
	v_cmp_gt_i32_e32 vcc, s33, v32
	v_cndmask_b32_e32 v15, 0, v15, vcc
	v_perm_b32 v15, v19, v15, s39
	v_lshrrev_b32_e32 v19, 16, v12
	v_cmp_gt_i32_e32 vcc, s25, v36
	v_cndmask_b32_e32 v19, 0, v19, vcc
	v_cmp_gt_i32_e32 vcc, s33, v35
	v_cndmask_b32_e32 v12, 0, v12, vcc
	v_perm_b32 v12, v19, v12, s39
	v_lshrrev_b32_e32 v19, 16, v14
	v_cmp_gt_i32_e32 vcc, s25, v34
	v_cndmask_b32_e32 v19, 0, v19, vcc
	v_cmp_gt_i32_e32 vcc, s33, v33
	v_cndmask_b32_e32 v14, 0, v14, vcc
	v_lshrrev_b32_e32 v16, 16, v16
	v_cmp_gt_i32_e32 vcc, s25, v31
	v_cndmask_b32_e32 v16, 0, v16, vcc
	v_cmp_gt_i32_e32 vcc, s33, v30
	v_cndmask_b32_e32 v18, 0, v18, vcc
	v_perm_b32 v14, v19, v14, s39
	v_perm_b32 v16, v16, v18, s39
	s_branch .LBB298_241
.LBB298_444:
	s_or_b64 exec, exec, s[16:17]
.LBB298_445:
	s_or_b64 exec, exec, s[10:11]
	ds_bpermute_b32 v6, v24, v2
	ds_bpermute_b32 v7, v24, v3
	;; [unrolled: 1-line block ×4, first 2 shown]
	v_and_b32_e32 v1, 0x3c3, v0
	v_cmp_eq_u32_e32 vcc, 64, v1
	s_waitcnt lgkmcnt(2)
	v_pk_add_f32 v[2:3], v[2:3], v[6:7]
	ds_bpermute_b32 v6, v25, v2
	s_waitcnt lgkmcnt(1)
	v_pk_add_f32 v[8:9], v[4:5], v[8:9]
	ds_bpermute_b32 v7, v25, v3
	ds_bpermute_b32 v10, v25, v8
	;; [unrolled: 1-line block ×3, first 2 shown]
	s_waitcnt lgkmcnt(0)
	s_barrier
	v_pk_add_f32 v[4:5], v[2:3], v[6:7]
	v_pk_add_f32 v[2:3], v[8:9], v[10:11]
	s_and_saveexec_b64 s[0:1], vcc
	s_cbranch_execz .LBB298_447
; %bb.446:
	v_add_u32_e32 v6, 0x90, v17
	ds_write2_b32 v6, v4, v5 offset1:16
	ds_write2_b32 v6, v2, v3 offset0:32 offset1:48
.LBB298_447:
	s_or_b64 exec, exec, s[0:1]
	v_cmp_gt_u32_e32 vcc, 64, v0
	s_waitcnt lgkmcnt(0)
	s_barrier
	s_and_saveexec_b64 s[0:1], vcc
	s_cbranch_execz .LBB298_454
; %bb.448:
	v_cmp_eq_u32_e32 vcc, 0, v26
	v_lshrrev_b32_e32 v6, 2, v0
	s_and_saveexec_b64 s[4:5], vcc
	s_cbranch_execnz .LBB298_457
; %bb.449:
	s_or_b64 exec, exec, s[4:5]
	s_and_saveexec_b64 s[4:5], vcc
	s_cbranch_execnz .LBB298_458
.LBB298_450:
	s_or_b64 exec, exec, s[4:5]
	s_and_saveexec_b64 s[4:5], vcc
	s_cbranch_execnz .LBB298_459
.LBB298_451:
	s_or_b64 exec, exec, s[4:5]
	s_and_saveexec_b64 s[4:5], vcc
	s_cbranch_execz .LBB298_453
.LBB298_452:
	v_mov_b32_e32 v7, 0x90
	v_lshl_add_u32 v6, v6, 2, v7
	ds_read_b32 v6, v6 offset:192
	s_waitcnt lgkmcnt(0)
	v_add_f32_e32 v3, v3, v6
.LBB298_453:
	s_or_b64 exec, exec, s[4:5]
.LBB298_454:
	s_or_b64 exec, exec, s[0:1]
	v_cmp_eq_u32_e32 vcc, 0, v1
	s_barrier
	s_and_saveexec_b64 s[0:1], vcc
	s_cbranch_execz .LBB298_456
; %bb.455:
	s_lshl_b32 s0, s2, 6
	s_ashr_i32 s1, s0, 31
	s_lshl_b64 s[0:1], s[0:1], 1
	s_add_u32 s2, s30, s0
	s_mul_i32 s0, s23, s28
	s_addc_u32 s3, s31, s1
	s_ashr_i32 s1, s0, 31
	s_lshl_b64 s[0:1], s[0:1], 1
	s_add_u32 s2, s2, s0
	s_addc_u32 s3, s3, s1
	s_lshl_b32 s0, s8, 6
	s_ashr_i32 s1, s0, 31
	s_lshl_b64 s[0:1], s[0:1], 1
	s_add_u32 s0, s2, s0
	s_addc_u32 s1, s3, s1
	v_lshrrev_b32_e32 v0, 1, v0
	;;#ASMSTART
	v_cvt_f16_f32 v1, v4;

	;;#ASMEND
	global_store_short v0, v1, s[0:1]
	;;#ASMSTART
	v_cvt_f16_f32 v1, v5;

	;;#ASMEND
	global_store_short v0, v1, s[0:1] offset:32
	;;#ASMSTART
	v_cvt_f16_f32 v1, v2;

	;;#ASMEND
	global_store_short v0, v1, s[0:1] offset:64
	;; [unrolled: 5-line block ×3, first 2 shown]
.LBB298_456:
	s_endpgm
.LBB298_457:
	v_mov_b32_e32 v7, 0x90
	v_lshl_add_u32 v7, v6, 2, v7
	ds_read_b32 v7, v7
	s_waitcnt lgkmcnt(0)
	v_add_f32_e32 v4, v4, v7
	s_or_b64 exec, exec, s[4:5]
	s_and_saveexec_b64 s[4:5], vcc
	s_cbranch_execz .LBB298_450
.LBB298_458:
	v_mov_b32_e32 v7, 0x90
	v_lshl_add_u32 v7, v6, 2, v7
	ds_read_b32 v7, v7 offset:64
	s_waitcnt lgkmcnt(0)
	v_add_f32_e32 v5, v5, v7
	s_or_b64 exec, exec, s[4:5]
	s_and_saveexec_b64 s[4:5], vcc
	s_cbranch_execz .LBB298_451
.LBB298_459:
	v_mov_b32_e32 v7, 0x90
	v_lshl_add_u32 v7, v6, 2, v7
	ds_read_b32 v7, v7 offset:128
	s_waitcnt lgkmcnt(0)
	v_add_f32_e32 v2, v2, v7
	s_or_b64 exec, exec, s[4:5]
	s_and_saveexec_b64 s[4:5], vcc
	s_cbranch_execnz .LBB298_452
	s_branch .LBB298_453
	.section	.rodata,"a",@progbits
	.p2align	6, 0x0
	.amdhsa_kernel _ZN4vllm25paged_attention_v2_kernelIthLi64ELi32ELi128ELNS_18Fp8KVCacheDataTypeE1ELb1ELi512EEEvPfS2_PT_PKS3_PKT0_S9_ifPKiSB_iPKfiiiSD_SD_iiiii
		.amdhsa_group_segment_fixed_size 144
		.amdhsa_private_segment_fixed_size 0
		.amdhsa_kernarg_size 400
		.amdhsa_user_sgpr_count 6
		.amdhsa_user_sgpr_private_segment_buffer 1
		.amdhsa_user_sgpr_dispatch_ptr 0
		.amdhsa_user_sgpr_queue_ptr 0
		.amdhsa_user_sgpr_kernarg_segment_ptr 1
		.amdhsa_user_sgpr_dispatch_id 0
		.amdhsa_user_sgpr_flat_scratch_init 0
		.amdhsa_user_sgpr_kernarg_preload_length 0
		.amdhsa_user_sgpr_kernarg_preload_offset 0
		.amdhsa_user_sgpr_private_segment_size 0
		.amdhsa_uses_dynamic_stack 0
		.amdhsa_system_sgpr_private_segment_wavefront_offset 0
		.amdhsa_system_sgpr_workgroup_id_x 1
		.amdhsa_system_sgpr_workgroup_id_y 1
		.amdhsa_system_sgpr_workgroup_id_z 1
		.amdhsa_system_sgpr_workgroup_info 0
		.amdhsa_system_vgpr_workitem_id 0
		.amdhsa_next_free_vgpr 63
		.amdhsa_next_free_sgpr 64
		.amdhsa_accum_offset 64
		.amdhsa_reserve_vcc 1
		.amdhsa_reserve_flat_scratch 0
		.amdhsa_float_round_mode_32 0
		.amdhsa_float_round_mode_16_64 0
		.amdhsa_float_denorm_mode_32 3
		.amdhsa_float_denorm_mode_16_64 3
		.amdhsa_dx10_clamp 1
		.amdhsa_ieee_mode 1
		.amdhsa_fp16_overflow 0
		.amdhsa_tg_split 0
		.amdhsa_exception_fp_ieee_invalid_op 0
		.amdhsa_exception_fp_denorm_src 0
		.amdhsa_exception_fp_ieee_div_zero 0
		.amdhsa_exception_fp_ieee_overflow 0
		.amdhsa_exception_fp_ieee_underflow 0
		.amdhsa_exception_fp_ieee_inexact 0
		.amdhsa_exception_int_div_zero 0
	.end_amdhsa_kernel
	.section	.text._ZN4vllm25paged_attention_v2_kernelIthLi64ELi32ELi128ELNS_18Fp8KVCacheDataTypeE1ELb1ELi512EEEvPfS2_PT_PKS3_PKT0_S9_ifPKiSB_iPKfiiiSD_SD_iiiii,"axG",@progbits,_ZN4vllm25paged_attention_v2_kernelIthLi64ELi32ELi128ELNS_18Fp8KVCacheDataTypeE1ELb1ELi512EEEvPfS2_PT_PKS3_PKT0_S9_ifPKiSB_iPKfiiiSD_SD_iiiii,comdat
.Lfunc_end298:
	.size	_ZN4vllm25paged_attention_v2_kernelIthLi64ELi32ELi128ELNS_18Fp8KVCacheDataTypeE1ELb1ELi512EEEvPfS2_PT_PKS3_PKT0_S9_ifPKiSB_iPKfiiiSD_SD_iiiii, .Lfunc_end298-_ZN4vllm25paged_attention_v2_kernelIthLi64ELi32ELi128ELNS_18Fp8KVCacheDataTypeE1ELb1ELi512EEEvPfS2_PT_PKS3_PKT0_S9_ifPKiSB_iPKfiiiSD_SD_iiiii
                                        ; -- End function
	.section	.AMDGPU.csdata,"",@progbits
; Kernel info:
; codeLenInByte = 18844
; NumSgprs: 68
; NumVgprs: 63
; NumAgprs: 0
; TotalNumVgprs: 63
; ScratchSize: 0
; MemoryBound: 0
; FloatMode: 240
; IeeeMode: 1
; LDSByteSize: 144 bytes/workgroup (compile time only)
; SGPRBlocks: 8
; VGPRBlocks: 7
; NumSGPRsForWavesPerEU: 68
; NumVGPRsForWavesPerEU: 63
; AccumOffset: 64
; Occupancy: 8
; WaveLimiterHint : 1
; COMPUTE_PGM_RSRC2:SCRATCH_EN: 0
; COMPUTE_PGM_RSRC2:USER_SGPR: 6
; COMPUTE_PGM_RSRC2:TRAP_HANDLER: 0
; COMPUTE_PGM_RSRC2:TGID_X_EN: 1
; COMPUTE_PGM_RSRC2:TGID_Y_EN: 1
; COMPUTE_PGM_RSRC2:TGID_Z_EN: 1
; COMPUTE_PGM_RSRC2:TIDIG_COMP_CNT: 0
; COMPUTE_PGM_RSRC3_GFX90A:ACCUM_OFFSET: 15
; COMPUTE_PGM_RSRC3_GFX90A:TG_SPLIT: 0
	.section	.text._ZN4vllm25paged_attention_v2_kernelIthLi80ELi32ELi128ELNS_18Fp8KVCacheDataTypeE1ELb1ELi512EEEvPfS2_PT_PKS3_PKT0_S9_ifPKiSB_iPKfiiiSD_SD_iiiii,"axG",@progbits,_ZN4vllm25paged_attention_v2_kernelIthLi80ELi32ELi128ELNS_18Fp8KVCacheDataTypeE1ELb1ELi512EEEvPfS2_PT_PKS3_PKT0_S9_ifPKiSB_iPKfiiiSD_SD_iiiii,comdat
	.protected	_ZN4vllm25paged_attention_v2_kernelIthLi80ELi32ELi128ELNS_18Fp8KVCacheDataTypeE1ELb1ELi512EEEvPfS2_PT_PKS3_PKT0_S9_ifPKiSB_iPKfiiiSD_SD_iiiii ; -- Begin function _ZN4vllm25paged_attention_v2_kernelIthLi80ELi32ELi128ELNS_18Fp8KVCacheDataTypeE1ELb1ELi512EEEvPfS2_PT_PKS3_PKT0_S9_ifPKiSB_iPKfiiiSD_SD_iiiii
	.globl	_ZN4vllm25paged_attention_v2_kernelIthLi80ELi32ELi128ELNS_18Fp8KVCacheDataTypeE1ELb1ELi512EEEvPfS2_PT_PKS3_PKT0_S9_ifPKiSB_iPKfiiiSD_SD_iiiii
	.p2align	8
	.type	_ZN4vllm25paged_attention_v2_kernelIthLi80ELi32ELi128ELNS_18Fp8KVCacheDataTypeE1ELb1ELi512EEEvPfS2_PT_PKS3_PKT0_S9_ifPKiSB_iPKfiiiSD_SD_iiiii,@function
_ZN4vllm25paged_attention_v2_kernelIthLi80ELi32ELi128ELNS_18Fp8KVCacheDataTypeE1ELb1ELi512EEEvPfS2_PT_PKS3_PKT0_S9_ifPKiSB_iPKfiiiSD_SD_iiiii: ; @_ZN4vllm25paged_attention_v2_kernelIthLi80ELi32ELi128ELNS_18Fp8KVCacheDataTypeE1ELb1ELi512EEEvPfS2_PT_PKS3_PKT0_S9_ifPKiSB_iPKfiiiSD_SD_iiiii
; %bb.0:
	s_load_dwordx2 s[0:1], s[4:5], 0x40
	s_mov_b32 s34, s7
	s_ashr_i32 s35, s7, 31
	s_lshl_b64 s[2:3], s[34:35], 2
	s_waitcnt lgkmcnt(0)
	s_add_u32 s0, s0, s2
	s_addc_u32 s1, s1, s3
	s_load_dword s33, s[0:1], 0x0
	s_lshl_b32 s55, s8, 9
	s_waitcnt lgkmcnt(0)
	s_cmp_ge_i32 s55, s33
	s_cbranch_scc1 .LBB299_555
; %bb.1:
	s_load_dword s9, s[4:5], 0x90
	s_load_dwordx2 s[42:43], s[4:5], 0x30
	s_mov_b32 s56, 0
	s_waitcnt lgkmcnt(0)
	s_abs_i32 s2, s9
	s_abs_i32 s0, s42
	v_cvt_f32_u32_e32 v1, s0
	s_sub_i32 s3, 0, s0
	s_xor_b32 s1, s9, s42
	s_ashr_i32 s1, s1, 31
	v_rcp_iflag_f32_e32 v1, v1
	v_mul_f32_e32 v1, 0x4f7ffffe, v1
	v_cvt_u32_f32_e32 v1, v1
	v_readfirstlane_b32 s7, v1
	s_mul_i32 s3, s3, s7
	s_mul_hi_u32 s3, s7, s3
	s_add_i32 s7, s7, s3
	s_mul_hi_u32 s3, s2, s7
	s_mul_i32 s7, s3, s0
	s_sub_i32 s2, s2, s7
	s_add_i32 s10, s3, 1
	s_sub_i32 s7, s2, s0
	s_cmp_ge_u32 s2, s0
	s_cselect_b32 s3, s10, s3
	s_cselect_b32 s2, s7, s2
	s_add_i32 s7, s3, 1
	s_cmp_ge_u32 s2, s0
	s_cselect_b32 s0, s7, s3
	s_xor_b32 s0, s0, s1
	s_sub_i32 s11, s0, s1
	s_abs_i32 s2, s11
	v_cvt_f32_u32_e32 v1, s2
	s_load_dwordx2 s[0:1], s[4:5], 0x50
	s_sub_i32 s7, 0, s2
	s_abs_i32 s3, s6
	v_rcp_iflag_f32_e32 v1, v1
	v_mul_f32_e32 v1, 0x4f7ffffe, v1
	v_cvt_u32_f32_e32 v1, v1
	v_readfirstlane_b32 s10, v1
	s_mul_i32 s7, s7, s10
	s_mul_hi_u32 s7, s10, s7
	s_add_i32 s10, s10, s7
	s_waitcnt lgkmcnt(0)
	s_cmp_eq_u64 s[0:1], 0
	s_mul_hi_u32 s10, s3, s10
	s_cbranch_scc1 .LBB299_3
; %bb.2:
	s_ashr_i32 s7, s6, 31
	s_lshl_b64 s[12:13], s[6:7], 2
	s_add_u32 s0, s0, s12
	s_addc_u32 s1, s1, s13
	s_load_dword s56, s[0:1], 0x0
.LBB299_3:
	s_load_dwordx4 s[12:15], s[4:5], 0x58
	s_ashr_i32 s7, s6, 31
	s_ashr_i32 s11, s11, 31
	v_and_b32_e32 v6, 1, v0
	s_waitcnt lgkmcnt(0)
	s_movk_i32 s15, 0x50
	s_mul_i32 s28, s6, 0x50
	v_cmp_gt_u32_e32 vcc, 20, v0
	v_lshlrev_b32_e32 v13, 3, v0
	s_and_saveexec_b64 s[0:1], vcc
	s_cbranch_execz .LBB299_5
; %bb.4:
	s_load_dwordx2 s[16:17], s[4:5], 0x18
	s_mul_i32 s18, s34, s12
	s_ashr_i32 s19, s18, 31
	s_lshl_b64 s[18:19], s[18:19], 1
	v_lshlrev_b32_e32 v1, 2, v0
	s_waitcnt lgkmcnt(0)
	s_add_u32 s12, s16, s18
	s_addc_u32 s18, s17, s19
	s_ashr_i32 s29, s28, 31
	s_lshl_b64 s[16:17], s[28:29], 1
	s_add_u32 s16, s12, s16
	s_addc_u32 s17, s18, s17
	global_load_dwordx2 v[2:3], v13, s[16:17]
	v_and_b32_e32 v1, 0xff8, v1
	v_mad_u32_u24 v1, v6, s15, v1
	s_waitcnt vmcnt(0)
	ds_write_b64 v1, v[2:3]
.LBB299_5:
	s_or_b64 exec, exec, s[0:1]
	s_mul_i32 s1, s10, s2
	s_sub_i32 s1, s3, s1
	s_xor_b32 s0, s7, s11
	s_add_i32 s3, s10, 1
	s_sub_i32 s7, s1, s2
	s_load_dwordx4 s[20:23], s[4:5], 0x78
	s_cmp_ge_u32 s1, s2
	s_cselect_b32 s3, s3, s10
	s_cselect_b32 s1, s7, s1
	s_add_i32 s7, s3, 1
	s_cmp_ge_u32 s1, s2
	s_cselect_b32 s1, s7, s3
	s_load_dword s7, s[4:5], 0x88
	s_waitcnt lgkmcnt(0)
	s_abs_i32 s29, s23
	v_cvt_f32_u32_e32 v1, s29
	s_xor_b32 s1, s1, s0
	s_sub_i32 s54, s1, s0
	s_sub_i32 s0, 0, s29
	v_rcp_iflag_f32_e32 v1, v1
	s_add_i32 s10, s33, -1
	s_abs_i32 s2, s10
	v_mul_f32_e32 v1, 0x4f7ffffe, v1
	v_cvt_u32_f32_e32 v1, v1
	s_barrier
	v_readfirstlane_b32 s35, v1
	s_mul_i32 s0, s0, s35
	s_mul_hi_u32 s0, s35, s0
	s_add_i32 s35, s35, s0
	s_cmp_lt_i32 s7, 0
	s_mul_hi_u32 s3, s2, s35
	s_cbranch_scc0 .LBB299_7
; %bb.6:
	s_mul_i32 s0, s20, s42
	s_add_i32 s0, s54, s0
	s_mul_i32 s0, s0, s7
	s_sub_i32 s42, 1, s0
	s_mov_b64 s[0:1], 0
	s_branch .LBB299_8
.LBB299_7:
	s_mov_b64 s[0:1], -1
                                        ; implicit-def: $sgpr42
.LBB299_8:
	s_load_dwordx2 s[36:37], s[4:5], 0x38
	s_ashr_i32 s10, s10, 31
	s_andn2_b64 vcc, exec, s[0:1]
	s_ashr_i32 s52, s23, 31
	s_cbranch_vccnz .LBB299_10
; %bb.9:
	s_mul_i32 s0, s9, s20
	s_add_i32 s0, s0, s6
	s_mul_i32 s0, s0, s7
	s_add_i32 s42, s0, 1
.LBB299_10:
	s_load_dwordx2 s[40:41], s[4:5], 0x28
	s_load_dword s0, s[4:5], 0x48
	s_load_dwordx4 s[24:27], s[4:5], 0x0
	s_load_dwordx2 s[30:31], s[4:5], 0x10
	s_load_dword s23, s[4:5], 0x98
	s_load_dwordx4 s[16:19], s[4:5], 0x68
	s_mul_i32 s1, s3, s29
	s_waitcnt lgkmcnt(0)
	s_mul_i32 s38, s34, s0
	s_sub_i32 s1, s2, s1
	s_ashr_i32 s39, s38, 31
	s_xor_b32 s0, s10, s52
	s_add_i32 s2, s3, 1
	s_sub_i32 s7, s1, s29
	s_cmp_ge_u32 s1, s29
	s_cselect_b32 s2, s2, s3
	s_cselect_b32 s1, s7, s1
	s_add_i32 s3, s2, 1
	s_cmp_ge_u32 s1, s29
	s_cselect_b32 s1, s3, s2
	s_xor_b32 s1, s1, s0
	s_sub_i32 s7, s1, s0
	s_add_i32 s0, s33, 31
	s_ashr_i32 s1, s0, 31
	s_lshr_b32 s1, s1, 27
	s_add_i32 s0, s0, s1
	s_lshl_b32 s12, s8, 4
	s_ashr_i32 s20, s0, 5
	s_add_i32 s0, s12, 16
	v_lshrrev_b32_e32 v15, 6, v0
	s_min_i32 s53, s0, s20
	v_or_b32_e32 v8, s12, v15
	v_cmp_gt_i32_e64 s[0:1], s53, v8
	v_mov_b32_e32 v20, 0xff7fffff
	s_mul_i32 s54, s54, s14
	v_ashrrev_i32_e32 v9, 31, v8
	v_lshl_add_u32 v1, v15, 5, s55
	v_mbcnt_lo_u32_b32 v5, -1, 0
	s_and_saveexec_b64 s[14:15], s[0:1]
	s_cbranch_execz .LBB299_260
; %bb.11:
	s_load_dwordx2 s[2:3], s[4:5], 0x20
	s_sub_i32 s57, s7, s21
	s_ashr_i32 s4, s54, 31
	v_bfe_u32 v16, v0, 1, 5
	v_lshlrev_b32_e32 v3, 4, v16
	s_waitcnt lgkmcnt(0)
	s_add_u32 s2, s2, s54
	s_addc_u32 s3, s3, s4
	s_abs_i32 s59, s22
	v_cvt_f32_u32_e32 v2, s59
	v_mov_b32_e32 v4, s3
	s_sub_i32 s4, 0, s59
	v_cmp_eq_u32_e32 vcc, 0, v6
	v_rcp_iflag_f32_e32 v7, v2
	v_add_co_u32_e64 v2, s[2:3], s2, v3
	v_addc_co_u32_e64 v3, s[2:3], 0, v4, s[2:3]
	v_mul_f32_e32 v7, 0x4f7ffffe, v7
	v_cvt_u32_f32_e32 v7, v7
	v_lshlrev_b32_e32 v4, 2, v6
	v_mul_u32_u24_e32 v18, 0x50, v6
	s_mov_b32 s58, s13
	v_mul_lo_u32 v6, s4, v7
	s_lshl_b64 s[4:5], s[38:39], 2
	v_mul_hi_u32 v6, v7, v6
	s_add_u32 s4, s36, s4
	v_add_u32_e32 v19, v7, v6
	v_lshlrev_b64 v[6:7], 2, v[8:9]
	s_addc_u32 s5, s37, s5
	v_mov_b32_e32 v10, s5
	v_add_co_u32_e64 v6, s[4:5], s4, v6
	v_addc_co_u32_e64 v7, s[4:5], v10, v7, s[4:5]
	v_lshlrev_b32_e32 v10, 2, v16
	v_lshl_or_b32 v10, v15, 7, v10
	v_add_u32_e32 v22, 0xb0, v10
	v_subrev_u32_e32 v10, s33, v16
	v_mov_b32_e32 v17, 0
	v_cmp_neq_f32_e64 s[2:3], s56, 0
	v_lshl_add_u32 v21, v15, 5, s55
	v_add_u32_e32 v23, 1, v10
	s_mov_b64 s[44:45], 0
	s_movk_i32 s60, 0x80
	s_movk_i32 s61, 0x7f
	s_mov_b32 s62, 0x8000
	s_mov_b32 s63, 0xffffff
	v_mov_b32_e32 v24, 0x2000
	v_mbcnt_hi_u32_b32 v25, -1, v5
	v_mov_b32_e32 v20, 0xff7fffff
	v_mov_b32_e32 v26, v8
	s_branch .LBB299_14
.LBB299_12:                             ;   in Loop: Header=BB299_14 Depth=1
	s_or_b64 exec, exec, s[46:47]
.LBB299_13:                             ;   in Loop: Header=BB299_14 Depth=1
	s_or_b64 exec, exec, s[10:11]
	v_add_co_u32_e64 v6, s[4:5], 8, v6
	v_add_u32_e32 v26, 2, v26
	v_addc_co_u32_e64 v7, s[4:5], 0, v7, s[4:5]
	v_cmp_le_i32_e64 s[4:5], s53, v26
	v_add_u32_e32 v21, 64, v21
	s_or_b64 s[44:45], s[4:5], s[44:45]
	v_add_u32_e32 v22, 0x100, v22
	s_andn2_b64 exec, exec, s[44:45]
	s_cbranch_execz .LBB299_259
.LBB299_14:                             ; =>This Inner Loop Header: Depth=1
	s_waitcnt lgkmcnt(0)
	v_sub_u32_e32 v11, 0, v21
	v_max_i32_e32 v11, v21, v11
	v_mul_hi_u32 v12, v11, s35
	v_mul_lo_u32 v14, v12, s29
	v_sub_u32_e32 v11, v11, v14
	v_add_u32_e32 v14, 1, v12
	v_cmp_le_u32_e64 s[4:5], s29, v11
	v_cndmask_b32_e64 v12, v12, v14, s[4:5]
	v_subrev_u32_e32 v14, s29, v11
	v_cndmask_b32_e64 v11, v11, v14, s[4:5]
	v_ashrrev_i32_e32 v10, 31, v21
	v_add_u32_e32 v14, 1, v12
	v_cmp_le_u32_e64 s[4:5], s29, v11
	v_xor_b32_e32 v10, s52, v10
	v_cndmask_b32_e64 v11, v12, v14, s[4:5]
	v_xor_b32_e32 v11, v11, v10
	v_sub_u32_e32 v10, v11, v10
	v_add_u32_e32 v11, s42, v10
	v_sub_u32_e32 v14, 0, v11
	v_ashrrev_i32_e32 v12, 31, v11
	v_max_i32_e32 v11, v11, v14
	v_mul_hi_u32 v14, v11, v19
	v_mul_lo_u32 v14, v14, s59
	v_sub_u32_e32 v11, v11, v14
	v_subrev_u32_e32 v14, s59, v11
	v_cmp_le_u32_e64 s[4:5], s59, v11
	v_cndmask_b32_e64 v11, v11, v14, s[4:5]
	v_subrev_u32_e32 v14, s59, v11
	v_cmp_le_u32_e64 s[4:5], s59, v11
	v_cndmask_b32_e64 v11, v11, v14, s[4:5]
	v_xor_b32_e32 v11, v11, v12
	v_sub_u32_e32 v11, v11, v12
	v_cmp_ne_u32_e64 s[4:5], 0, v11
	v_cmp_ge_i32_e64 s[10:11], s57, v10
	s_and_b64 s[4:5], s[4:5], s[10:11]
	s_and_b64 s[46:47], vcc, s[4:5]
	s_and_saveexec_b64 s[10:11], s[46:47]
	s_cbranch_execz .LBB299_16
; %bb.15:                               ;   in Loop: Header=BB299_14 Depth=1
	v_mov_b32_e32 v10, 0xff7fffff
	ds_write_b32 v22, v10
.LBB299_16:                             ;   in Loop: Header=BB299_14 Depth=1
	s_or_b64 exec, exec, s[10:11]
	s_xor_b64 s[4:5], s[4:5], -1
	s_and_saveexec_b64 s[10:11], s[4:5]
	s_cbranch_execz .LBB299_13
; %bb.17:                               ;   in Loop: Header=BB299_14 Depth=1
	global_load_dword v10, v[6:7], off
	v_mov_b32_e32 v28, 0
	v_mov_b32_e32 v29, 0
	s_waitcnt vmcnt(0)
	v_mad_i64_i32 v[10:11], s[4:5], v10, s58, v[2:3]
	v_add_co_u32_e64 v10, s[4:5], v10, v4
	v_addc_co_u32_e64 v11, s[4:5], 0, v11, s[4:5]
	global_load_dword v12, v[10:11], off
	global_load_dword v27, v17, s[16:17]
	s_waitcnt vmcnt(1)
	v_cmp_ne_u16_sdwa s[4:5], v12, v17 src0_sel:BYTE_0 src1_sel:DWORD
	s_and_saveexec_b64 s[46:47], s[4:5]
	s_cbranch_execz .LBB299_23
; %bb.18:                               ;   in Loop: Header=BB299_14 Depth=1
	v_cmp_ne_u16_sdwa s[4:5], v12, s60 src0_sel:BYTE_0 src1_sel:DWORD
	v_bfrev_b32_e32 v29, 1
	s_and_saveexec_b64 s[48:49], s[4:5]
	s_cbranch_execz .LBB299_22
; %bb.19:                               ;   in Loop: Header=BB299_14 Depth=1
	v_and_b32_e32 v14, 0x7f, v12
	v_cmp_ne_u32_e64 s[4:5], s61, v14
	v_mov_b32_e32 v29, 0x7fc02000
	s_and_saveexec_b64 s[50:51], s[4:5]
	s_cbranch_execz .LBB299_21
; %bb.20:                               ;   in Loop: Header=BB299_14 Depth=1
	v_and_b32_e32 v29, 7, v12
	v_ffbh_u32_e32 v30, v29
	v_min_u32_e32 v33, 32, v30
	v_subrev_u32_e32 v30, 28, v33
	v_lshlrev_b64 v[30:31], v30, v[12:13]
	v_lshrrev_b32_e32 v32, 3, v14
	v_sub_u32_e32 v31, 29, v33
	v_cmp_gt_u32_e64 s[4:5], 8, v14
	v_and_b32_e32 v30, 7, v30
	v_cndmask_b32_e64 v14, v32, v31, s[4:5]
	v_cndmask_b32_e64 v29, v29, v30, s[4:5]
	v_lshlrev_b32_e32 v30, 8, v12
	v_lshl_add_u32 v14, v14, 10, v24
	v_and_or_b32 v14, v30, s62, v14
	v_lshl_or_b32 v14, v29, 7, v14
	v_cvt_f32_f16_e32 v29, v14
.LBB299_21:                             ;   in Loop: Header=BB299_14 Depth=1
	s_or_b64 exec, exec, s[50:51]
.LBB299_22:                             ;   in Loop: Header=BB299_14 Depth=1
	s_or_b64 exec, exec, s[48:49]
.LBB299_23:                             ;   in Loop: Header=BB299_14 Depth=1
	s_or_b64 exec, exec, s[46:47]
	v_lshrrev_b16_e32 v14, 8, v12
	v_cmp_ne_u16_e64 s[4:5], 0, v14
	s_and_saveexec_b64 s[46:47], s[4:5]
	s_cbranch_execz .LBB299_29
; %bb.24:                               ;   in Loop: Header=BB299_14 Depth=1
	v_cmp_ne_u16_e64 s[4:5], s60, v14
	v_bfrev_b32_e32 v28, 1
	s_and_saveexec_b64 s[48:49], s[4:5]
	s_cbranch_execz .LBB299_28
; %bb.25:                               ;   in Loop: Header=BB299_14 Depth=1
	v_and_b32_e32 v30, 0x7f, v14
	v_cmp_ne_u32_e64 s[4:5], s61, v30
	v_mov_b32_e32 v28, 0x7fc02000
	s_and_saveexec_b64 s[50:51], s[4:5]
	s_cbranch_execz .LBB299_27
; %bb.26:                               ;   in Loop: Header=BB299_14 Depth=1
	v_and_b32_e32 v28, 7, v14
	v_ffbh_u32_e32 v32, v28
	v_min_u32_e32 v34, 32, v32
	v_subrev_u32_e32 v32, 28, v34
	v_lshlrev_b64 v[32:33], v32, v[14:15]
	v_lshrrev_b32_e32 v31, 3, v30
	v_sub_u32_e32 v33, 29, v34
	v_cmp_gt_u32_e64 s[4:5], 8, v30
	v_cndmask_b32_e64 v30, v31, v33, s[4:5]
	v_and_b32_e32 v32, 7, v32
	v_lshlrev_b32_e32 v14, 8, v14
	v_lshl_add_u32 v30, v30, 10, v24
	v_cndmask_b32_e64 v28, v28, v32, s[4:5]
	v_and_or_b32 v14, v14, s62, v30
	v_lshl_or_b32 v14, v28, 7, v14
	v_cvt_f32_f16_e32 v28, v14
.LBB299_27:                             ;   in Loop: Header=BB299_14 Depth=1
	s_or_b64 exec, exec, s[50:51]
.LBB299_28:                             ;   in Loop: Header=BB299_14 Depth=1
	s_or_b64 exec, exec, s[48:49]
.LBB299_29:                             ;   in Loop: Header=BB299_14 Depth=1
	s_or_b64 exec, exec, s[46:47]
	v_lshrrev_b32_e32 v14, 16, v12
	v_cmp_ne_u16_sdwa s[4:5], v14, v17 src0_sel:BYTE_0 src1_sel:DWORD
	v_mov_b32_e32 v30, 0
	v_mov_b32_e32 v31, 0
	s_and_saveexec_b64 s[46:47], s[4:5]
	s_cbranch_execz .LBB299_35
; %bb.30:                               ;   in Loop: Header=BB299_14 Depth=1
	v_cmp_ne_u16_sdwa s[4:5], v14, s60 src0_sel:BYTE_0 src1_sel:DWORD
	v_bfrev_b32_e32 v31, 1
	s_and_saveexec_b64 s[48:49], s[4:5]
	s_cbranch_execz .LBB299_34
; %bb.31:                               ;   in Loop: Header=BB299_14 Depth=1
	v_bfe_u32 v32, v12, 16, 7
	v_cmp_ne_u32_e64 s[4:5], s61, v32
	v_mov_b32_e32 v31, 0x7fc02000
	s_and_saveexec_b64 s[50:51], s[4:5]
	s_cbranch_execz .LBB299_33
; %bb.32:                               ;   in Loop: Header=BB299_14 Depth=1
	v_and_b32_e32 v31, 7, v14
	v_ffbh_u32_e32 v34, v31
	v_min_u32_e32 v36, 32, v34
	v_subrev_u32_e32 v34, 28, v36
	v_lshlrev_b64 v[34:35], v34, v[14:15]
	v_lshrrev_b32_e32 v33, 3, v32
	v_sub_u32_e32 v35, 29, v36
	v_cmp_gt_u32_e64 s[4:5], 8, v32
	v_cndmask_b32_e64 v32, v33, v35, s[4:5]
	v_and_b32_e32 v34, 7, v34
	v_lshlrev_b32_e32 v14, 8, v14
	v_lshl_add_u32 v32, v32, 10, v24
	v_cndmask_b32_e64 v31, v31, v34, s[4:5]
	v_and_or_b32 v14, v14, s62, v32
	v_lshl_or_b32 v14, v31, 7, v14
	v_cvt_f32_f16_e32 v31, v14
.LBB299_33:                             ;   in Loop: Header=BB299_14 Depth=1
	s_or_b64 exec, exec, s[50:51]
.LBB299_34:                             ;   in Loop: Header=BB299_14 Depth=1
	s_or_b64 exec, exec, s[48:49]
.LBB299_35:                             ;   in Loop: Header=BB299_14 Depth=1
	s_or_b64 exec, exec, s[46:47]
	v_cmp_lt_u32_e64 s[4:5], s63, v12
	s_and_saveexec_b64 s[46:47], s[4:5]
	s_cbranch_execz .LBB299_41
; %bb.36:                               ;   in Loop: Header=BB299_14 Depth=1
	v_lshrrev_b32_e32 v12, 24, v12
	v_cmp_ne_u32_e64 s[4:5], s60, v12
	v_bfrev_b32_e32 v30, 1
	s_and_saveexec_b64 s[48:49], s[4:5]
	s_cbranch_execz .LBB299_40
; %bb.37:                               ;   in Loop: Header=BB299_14 Depth=1
	v_and_b32_e32 v14, 0x7f, v12
	v_cmp_ne_u32_e64 s[4:5], s61, v14
	v_mov_b32_e32 v30, 0x7fc02000
	s_and_saveexec_b64 s[50:51], s[4:5]
	s_cbranch_execz .LBB299_39
; %bb.38:                               ;   in Loop: Header=BB299_14 Depth=1
	v_and_b32_e32 v30, 7, v12
	v_ffbh_u32_e32 v32, v30
	v_min_u32_e32 v35, 32, v32
	v_subrev_u32_e32 v32, 28, v35
	v_lshlrev_b64 v[32:33], v32, v[12:13]
	v_lshrrev_b32_e32 v34, 3, v14
	v_sub_u32_e32 v33, 29, v35
	v_cmp_gt_u32_e64 s[4:5], 8, v14
	v_cndmask_b32_e64 v14, v34, v33, s[4:5]
	v_and_b32_e32 v32, 7, v32
	v_lshlrev_b32_e32 v12, 8, v12
	v_lshl_add_u32 v14, v14, 10, v24
	v_cndmask_b32_e64 v30, v30, v32, s[4:5]
	v_and_or_b32 v12, v12, s62, v14
	v_lshl_or_b32 v12, v30, 7, v12
	v_cvt_f32_f16_e32 v30, v12
.LBB299_39:                             ;   in Loop: Header=BB299_14 Depth=1
	s_or_b64 exec, exec, s[50:51]
.LBB299_40:                             ;   in Loop: Header=BB299_14 Depth=1
	s_or_b64 exec, exec, s[48:49]
.LBB299_41:                             ;   in Loop: Header=BB299_14 Depth=1
	s_or_b64 exec, exec, s[46:47]
	global_load_dword v12, v[10:11], off offset:8
	v_mov_b32_e32 v32, 0
	v_mov_b32_e32 v33, 0
	s_waitcnt vmcnt(0)
	v_cmp_ne_u16_sdwa s[4:5], v12, v17 src0_sel:BYTE_0 src1_sel:DWORD
	s_and_saveexec_b64 s[46:47], s[4:5]
	s_cbranch_execz .LBB299_47
; %bb.42:                               ;   in Loop: Header=BB299_14 Depth=1
	v_cmp_ne_u16_sdwa s[4:5], v12, s60 src0_sel:BYTE_0 src1_sel:DWORD
	v_bfrev_b32_e32 v33, 1
	s_and_saveexec_b64 s[48:49], s[4:5]
	s_cbranch_execz .LBB299_46
; %bb.43:                               ;   in Loop: Header=BB299_14 Depth=1
	v_and_b32_e32 v14, 0x7f, v12
	v_cmp_ne_u32_e64 s[4:5], s61, v14
	v_mov_b32_e32 v33, 0x7fc02000
	s_and_saveexec_b64 s[50:51], s[4:5]
	s_cbranch_execz .LBB299_45
; %bb.44:                               ;   in Loop: Header=BB299_14 Depth=1
	v_and_b32_e32 v33, 7, v12
	v_ffbh_u32_e32 v34, v33
	v_min_u32_e32 v37, 32, v34
	v_subrev_u32_e32 v34, 28, v37
	v_lshlrev_b64 v[34:35], v34, v[12:13]
	v_lshrrev_b32_e32 v36, 3, v14
	v_sub_u32_e32 v35, 29, v37
	v_cmp_gt_u32_e64 s[4:5], 8, v14
	v_and_b32_e32 v34, 7, v34
	v_cndmask_b32_e64 v14, v36, v35, s[4:5]
	v_cndmask_b32_e64 v33, v33, v34, s[4:5]
	v_lshlrev_b32_e32 v34, 8, v12
	v_lshl_add_u32 v14, v14, 10, v24
	v_and_or_b32 v14, v34, s62, v14
	v_lshl_or_b32 v14, v33, 7, v14
	v_cvt_f32_f16_e32 v33, v14
.LBB299_45:                             ;   in Loop: Header=BB299_14 Depth=1
	s_or_b64 exec, exec, s[50:51]
.LBB299_46:                             ;   in Loop: Header=BB299_14 Depth=1
	s_or_b64 exec, exec, s[48:49]
.LBB299_47:                             ;   in Loop: Header=BB299_14 Depth=1
	s_or_b64 exec, exec, s[46:47]
	v_lshrrev_b16_e32 v14, 8, v12
	v_cmp_ne_u16_e64 s[4:5], 0, v14
	s_and_saveexec_b64 s[46:47], s[4:5]
	s_cbranch_execz .LBB299_53
; %bb.48:                               ;   in Loop: Header=BB299_14 Depth=1
	v_cmp_ne_u16_e64 s[4:5], s60, v14
	v_bfrev_b32_e32 v32, 1
	s_and_saveexec_b64 s[48:49], s[4:5]
	s_cbranch_execz .LBB299_52
; %bb.49:                               ;   in Loop: Header=BB299_14 Depth=1
	v_and_b32_e32 v34, 0x7f, v14
	v_cmp_ne_u32_e64 s[4:5], s61, v34
	v_mov_b32_e32 v32, 0x7fc02000
	s_and_saveexec_b64 s[50:51], s[4:5]
	s_cbranch_execz .LBB299_51
; %bb.50:                               ;   in Loop: Header=BB299_14 Depth=1
	v_and_b32_e32 v32, 7, v14
	v_ffbh_u32_e32 v36, v32
	v_min_u32_e32 v38, 32, v36
	v_subrev_u32_e32 v36, 28, v38
	v_lshlrev_b64 v[36:37], v36, v[14:15]
	v_lshrrev_b32_e32 v35, 3, v34
	v_sub_u32_e32 v37, 29, v38
	v_cmp_gt_u32_e64 s[4:5], 8, v34
	v_cndmask_b32_e64 v34, v35, v37, s[4:5]
	v_and_b32_e32 v36, 7, v36
	v_lshlrev_b32_e32 v14, 8, v14
	v_lshl_add_u32 v34, v34, 10, v24
	v_cndmask_b32_e64 v32, v32, v36, s[4:5]
	v_and_or_b32 v14, v14, s62, v34
	v_lshl_or_b32 v14, v32, 7, v14
	v_cvt_f32_f16_e32 v32, v14
.LBB299_51:                             ;   in Loop: Header=BB299_14 Depth=1
	s_or_b64 exec, exec, s[50:51]
.LBB299_52:                             ;   in Loop: Header=BB299_14 Depth=1
	s_or_b64 exec, exec, s[48:49]
.LBB299_53:                             ;   in Loop: Header=BB299_14 Depth=1
	s_or_b64 exec, exec, s[46:47]
	v_lshrrev_b32_e32 v14, 16, v12
	v_cmp_ne_u16_sdwa s[4:5], v14, v17 src0_sel:BYTE_0 src1_sel:DWORD
	v_mov_b32_e32 v34, 0
	v_mov_b32_e32 v35, 0
	s_and_saveexec_b64 s[46:47], s[4:5]
	s_cbranch_execz .LBB299_59
; %bb.54:                               ;   in Loop: Header=BB299_14 Depth=1
	v_cmp_ne_u16_sdwa s[4:5], v14, s60 src0_sel:BYTE_0 src1_sel:DWORD
	v_bfrev_b32_e32 v35, 1
	s_and_saveexec_b64 s[48:49], s[4:5]
	s_cbranch_execz .LBB299_58
; %bb.55:                               ;   in Loop: Header=BB299_14 Depth=1
	v_bfe_u32 v36, v12, 16, 7
	v_cmp_ne_u32_e64 s[4:5], s61, v36
	v_mov_b32_e32 v35, 0x7fc02000
	s_and_saveexec_b64 s[50:51], s[4:5]
	s_cbranch_execz .LBB299_57
; %bb.56:                               ;   in Loop: Header=BB299_14 Depth=1
	v_and_b32_e32 v35, 7, v14
	v_ffbh_u32_e32 v38, v35
	v_min_u32_e32 v40, 32, v38
	v_subrev_u32_e32 v38, 28, v40
	v_lshlrev_b64 v[38:39], v38, v[14:15]
	v_lshrrev_b32_e32 v37, 3, v36
	v_sub_u32_e32 v39, 29, v40
	v_cmp_gt_u32_e64 s[4:5], 8, v36
	v_cndmask_b32_e64 v36, v37, v39, s[4:5]
	v_and_b32_e32 v38, 7, v38
	v_lshlrev_b32_e32 v14, 8, v14
	v_lshl_add_u32 v36, v36, 10, v24
	v_cndmask_b32_e64 v35, v35, v38, s[4:5]
	v_and_or_b32 v14, v14, s62, v36
	v_lshl_or_b32 v14, v35, 7, v14
	v_cvt_f32_f16_e32 v35, v14
.LBB299_57:                             ;   in Loop: Header=BB299_14 Depth=1
	s_or_b64 exec, exec, s[50:51]
.LBB299_58:                             ;   in Loop: Header=BB299_14 Depth=1
	s_or_b64 exec, exec, s[48:49]
.LBB299_59:                             ;   in Loop: Header=BB299_14 Depth=1
	s_or_b64 exec, exec, s[46:47]
	v_cmp_lt_u32_e64 s[4:5], s63, v12
	s_and_saveexec_b64 s[46:47], s[4:5]
	s_cbranch_execz .LBB299_65
; %bb.60:                               ;   in Loop: Header=BB299_14 Depth=1
	v_lshrrev_b32_e32 v12, 24, v12
	v_cmp_ne_u32_e64 s[4:5], s60, v12
	v_bfrev_b32_e32 v34, 1
	s_and_saveexec_b64 s[48:49], s[4:5]
	s_cbranch_execz .LBB299_64
; %bb.61:                               ;   in Loop: Header=BB299_14 Depth=1
	v_and_b32_e32 v14, 0x7f, v12
	v_cmp_ne_u32_e64 s[4:5], s61, v14
	v_mov_b32_e32 v34, 0x7fc02000
	s_and_saveexec_b64 s[50:51], s[4:5]
	s_cbranch_execz .LBB299_63
; %bb.62:                               ;   in Loop: Header=BB299_14 Depth=1
	v_and_b32_e32 v34, 7, v12
	v_ffbh_u32_e32 v36, v34
	v_min_u32_e32 v39, 32, v36
	v_subrev_u32_e32 v36, 28, v39
	v_lshlrev_b64 v[36:37], v36, v[12:13]
	v_lshrrev_b32_e32 v38, 3, v14
	v_sub_u32_e32 v37, 29, v39
	v_cmp_gt_u32_e64 s[4:5], 8, v14
	v_cndmask_b32_e64 v14, v38, v37, s[4:5]
	v_and_b32_e32 v36, 7, v36
	v_lshlrev_b32_e32 v12, 8, v12
	v_lshl_add_u32 v14, v14, 10, v24
	v_cndmask_b32_e64 v34, v34, v36, s[4:5]
	v_and_or_b32 v12, v12, s62, v14
	v_lshl_or_b32 v12, v34, 7, v12
	v_cvt_f32_f16_e32 v34, v12
.LBB299_63:                             ;   in Loop: Header=BB299_14 Depth=1
	s_or_b64 exec, exec, s[50:51]
.LBB299_64:                             ;   in Loop: Header=BB299_14 Depth=1
	s_or_b64 exec, exec, s[48:49]
.LBB299_65:                             ;   in Loop: Header=BB299_14 Depth=1
	s_or_b64 exec, exec, s[46:47]
	global_load_dword v12, v[10:11], off offset:512
	v_mov_b32_e32 v36, 0
	v_mov_b32_e32 v37, 0
	s_waitcnt vmcnt(0)
	v_cmp_ne_u16_sdwa s[4:5], v12, v17 src0_sel:BYTE_0 src1_sel:DWORD
	s_and_saveexec_b64 s[46:47], s[4:5]
	s_cbranch_execz .LBB299_71
; %bb.66:                               ;   in Loop: Header=BB299_14 Depth=1
	v_cmp_ne_u16_sdwa s[4:5], v12, s60 src0_sel:BYTE_0 src1_sel:DWORD
	v_bfrev_b32_e32 v37, 1
	s_and_saveexec_b64 s[48:49], s[4:5]
	s_cbranch_execz .LBB299_70
; %bb.67:                               ;   in Loop: Header=BB299_14 Depth=1
	v_and_b32_e32 v14, 0x7f, v12
	v_cmp_ne_u32_e64 s[4:5], s61, v14
	v_mov_b32_e32 v37, 0x7fc02000
	s_and_saveexec_b64 s[50:51], s[4:5]
	s_cbranch_execz .LBB299_69
; %bb.68:                               ;   in Loop: Header=BB299_14 Depth=1
	v_and_b32_e32 v37, 7, v12
	v_ffbh_u32_e32 v38, v37
	v_min_u32_e32 v41, 32, v38
	v_subrev_u32_e32 v38, 28, v41
	v_lshlrev_b64 v[38:39], v38, v[12:13]
	v_lshrrev_b32_e32 v40, 3, v14
	v_sub_u32_e32 v39, 29, v41
	v_cmp_gt_u32_e64 s[4:5], 8, v14
	v_and_b32_e32 v38, 7, v38
	v_cndmask_b32_e64 v14, v40, v39, s[4:5]
	v_cndmask_b32_e64 v37, v37, v38, s[4:5]
	v_lshlrev_b32_e32 v38, 8, v12
	v_lshl_add_u32 v14, v14, 10, v24
	v_and_or_b32 v14, v38, s62, v14
	v_lshl_or_b32 v14, v37, 7, v14
	v_cvt_f32_f16_e32 v37, v14
.LBB299_69:                             ;   in Loop: Header=BB299_14 Depth=1
	s_or_b64 exec, exec, s[50:51]
.LBB299_70:                             ;   in Loop: Header=BB299_14 Depth=1
	s_or_b64 exec, exec, s[48:49]
.LBB299_71:                             ;   in Loop: Header=BB299_14 Depth=1
	s_or_b64 exec, exec, s[46:47]
	v_lshrrev_b16_e32 v14, 8, v12
	v_cmp_ne_u16_e64 s[4:5], 0, v14
	s_and_saveexec_b64 s[46:47], s[4:5]
	s_cbranch_execz .LBB299_77
; %bb.72:                               ;   in Loop: Header=BB299_14 Depth=1
	v_cmp_ne_u16_e64 s[4:5], s60, v14
	v_bfrev_b32_e32 v36, 1
	s_and_saveexec_b64 s[48:49], s[4:5]
	s_cbranch_execz .LBB299_76
; %bb.73:                               ;   in Loop: Header=BB299_14 Depth=1
	v_and_b32_e32 v38, 0x7f, v14
	v_cmp_ne_u32_e64 s[4:5], s61, v38
	v_mov_b32_e32 v36, 0x7fc02000
	s_and_saveexec_b64 s[50:51], s[4:5]
	s_cbranch_execz .LBB299_75
; %bb.74:                               ;   in Loop: Header=BB299_14 Depth=1
	v_and_b32_e32 v36, 7, v14
	v_ffbh_u32_e32 v40, v36
	v_min_u32_e32 v42, 32, v40
	v_subrev_u32_e32 v40, 28, v42
	v_lshlrev_b64 v[40:41], v40, v[14:15]
	v_lshrrev_b32_e32 v39, 3, v38
	v_sub_u32_e32 v41, 29, v42
	v_cmp_gt_u32_e64 s[4:5], 8, v38
	v_cndmask_b32_e64 v38, v39, v41, s[4:5]
	v_and_b32_e32 v40, 7, v40
	v_lshlrev_b32_e32 v14, 8, v14
	v_lshl_add_u32 v38, v38, 10, v24
	v_cndmask_b32_e64 v36, v36, v40, s[4:5]
	v_and_or_b32 v14, v14, s62, v38
	v_lshl_or_b32 v14, v36, 7, v14
	v_cvt_f32_f16_e32 v36, v14
.LBB299_75:                             ;   in Loop: Header=BB299_14 Depth=1
	s_or_b64 exec, exec, s[50:51]
.LBB299_76:                             ;   in Loop: Header=BB299_14 Depth=1
	s_or_b64 exec, exec, s[48:49]
.LBB299_77:                             ;   in Loop: Header=BB299_14 Depth=1
	s_or_b64 exec, exec, s[46:47]
	v_lshrrev_b32_e32 v14, 16, v12
	v_cmp_ne_u16_sdwa s[4:5], v14, v17 src0_sel:BYTE_0 src1_sel:DWORD
	v_mov_b32_e32 v38, 0
	v_mov_b32_e32 v39, 0
	s_and_saveexec_b64 s[46:47], s[4:5]
	s_cbranch_execz .LBB299_83
; %bb.78:                               ;   in Loop: Header=BB299_14 Depth=1
	v_cmp_ne_u16_sdwa s[4:5], v14, s60 src0_sel:BYTE_0 src1_sel:DWORD
	v_bfrev_b32_e32 v39, 1
	s_and_saveexec_b64 s[48:49], s[4:5]
	s_cbranch_execz .LBB299_82
; %bb.79:                               ;   in Loop: Header=BB299_14 Depth=1
	v_bfe_u32 v40, v12, 16, 7
	v_cmp_ne_u32_e64 s[4:5], s61, v40
	v_mov_b32_e32 v39, 0x7fc02000
	s_and_saveexec_b64 s[50:51], s[4:5]
	s_cbranch_execz .LBB299_81
; %bb.80:                               ;   in Loop: Header=BB299_14 Depth=1
	v_and_b32_e32 v39, 7, v14
	v_ffbh_u32_e32 v42, v39
	v_min_u32_e32 v44, 32, v42
	v_subrev_u32_e32 v42, 28, v44
	v_lshlrev_b64 v[42:43], v42, v[14:15]
	v_lshrrev_b32_e32 v41, 3, v40
	v_sub_u32_e32 v43, 29, v44
	v_cmp_gt_u32_e64 s[4:5], 8, v40
	v_cndmask_b32_e64 v40, v41, v43, s[4:5]
	v_and_b32_e32 v42, 7, v42
	v_lshlrev_b32_e32 v14, 8, v14
	v_lshl_add_u32 v40, v40, 10, v24
	v_cndmask_b32_e64 v39, v39, v42, s[4:5]
	v_and_or_b32 v14, v14, s62, v40
	v_lshl_or_b32 v14, v39, 7, v14
	v_cvt_f32_f16_e32 v39, v14
.LBB299_81:                             ;   in Loop: Header=BB299_14 Depth=1
	s_or_b64 exec, exec, s[50:51]
.LBB299_82:                             ;   in Loop: Header=BB299_14 Depth=1
	s_or_b64 exec, exec, s[48:49]
.LBB299_83:                             ;   in Loop: Header=BB299_14 Depth=1
	s_or_b64 exec, exec, s[46:47]
	v_cmp_lt_u32_e64 s[4:5], s63, v12
	s_and_saveexec_b64 s[46:47], s[4:5]
	s_cbranch_execz .LBB299_89
; %bb.84:                               ;   in Loop: Header=BB299_14 Depth=1
	v_lshrrev_b32_e32 v12, 24, v12
	v_cmp_ne_u32_e64 s[4:5], s60, v12
	v_bfrev_b32_e32 v38, 1
	s_and_saveexec_b64 s[48:49], s[4:5]
	s_cbranch_execz .LBB299_88
; %bb.85:                               ;   in Loop: Header=BB299_14 Depth=1
	v_and_b32_e32 v14, 0x7f, v12
	v_cmp_ne_u32_e64 s[4:5], s61, v14
	v_mov_b32_e32 v38, 0x7fc02000
	s_and_saveexec_b64 s[50:51], s[4:5]
	s_cbranch_execz .LBB299_87
; %bb.86:                               ;   in Loop: Header=BB299_14 Depth=1
	v_and_b32_e32 v38, 7, v12
	v_ffbh_u32_e32 v40, v38
	v_min_u32_e32 v43, 32, v40
	v_subrev_u32_e32 v40, 28, v43
	v_lshlrev_b64 v[40:41], v40, v[12:13]
	v_lshrrev_b32_e32 v42, 3, v14
	v_sub_u32_e32 v41, 29, v43
	v_cmp_gt_u32_e64 s[4:5], 8, v14
	v_cndmask_b32_e64 v14, v42, v41, s[4:5]
	v_and_b32_e32 v40, 7, v40
	v_lshlrev_b32_e32 v12, 8, v12
	v_lshl_add_u32 v14, v14, 10, v24
	v_cndmask_b32_e64 v38, v38, v40, s[4:5]
	v_and_or_b32 v12, v12, s62, v14
	v_lshl_or_b32 v12, v38, 7, v12
	v_cvt_f32_f16_e32 v38, v12
.LBB299_87:                             ;   in Loop: Header=BB299_14 Depth=1
	s_or_b64 exec, exec, s[50:51]
.LBB299_88:                             ;   in Loop: Header=BB299_14 Depth=1
	s_or_b64 exec, exec, s[48:49]
.LBB299_89:                             ;   in Loop: Header=BB299_14 Depth=1
	s_or_b64 exec, exec, s[46:47]
	global_load_dword v12, v[10:11], off offset:520
	v_mov_b32_e32 v40, 0
	v_mov_b32_e32 v41, 0
	s_waitcnt vmcnt(0)
	v_cmp_ne_u16_sdwa s[4:5], v12, v17 src0_sel:BYTE_0 src1_sel:DWORD
	s_and_saveexec_b64 s[46:47], s[4:5]
	s_cbranch_execz .LBB299_95
; %bb.90:                               ;   in Loop: Header=BB299_14 Depth=1
	v_cmp_ne_u16_sdwa s[4:5], v12, s60 src0_sel:BYTE_0 src1_sel:DWORD
	v_bfrev_b32_e32 v41, 1
	s_and_saveexec_b64 s[48:49], s[4:5]
	s_cbranch_execz .LBB299_94
; %bb.91:                               ;   in Loop: Header=BB299_14 Depth=1
	v_and_b32_e32 v14, 0x7f, v12
	v_cmp_ne_u32_e64 s[4:5], s61, v14
	v_mov_b32_e32 v41, 0x7fc02000
	s_and_saveexec_b64 s[50:51], s[4:5]
	s_cbranch_execz .LBB299_93
; %bb.92:                               ;   in Loop: Header=BB299_14 Depth=1
	v_and_b32_e32 v41, 7, v12
	v_ffbh_u32_e32 v42, v41
	v_min_u32_e32 v45, 32, v42
	v_subrev_u32_e32 v42, 28, v45
	v_lshlrev_b64 v[42:43], v42, v[12:13]
	v_lshrrev_b32_e32 v44, 3, v14
	v_sub_u32_e32 v43, 29, v45
	v_cmp_gt_u32_e64 s[4:5], 8, v14
	v_and_b32_e32 v42, 7, v42
	v_cndmask_b32_e64 v14, v44, v43, s[4:5]
	v_cndmask_b32_e64 v41, v41, v42, s[4:5]
	v_lshlrev_b32_e32 v42, 8, v12
	v_lshl_add_u32 v14, v14, 10, v24
	v_and_or_b32 v14, v42, s62, v14
	v_lshl_or_b32 v14, v41, 7, v14
	v_cvt_f32_f16_e32 v41, v14
.LBB299_93:                             ;   in Loop: Header=BB299_14 Depth=1
	s_or_b64 exec, exec, s[50:51]
.LBB299_94:                             ;   in Loop: Header=BB299_14 Depth=1
	s_or_b64 exec, exec, s[48:49]
.LBB299_95:                             ;   in Loop: Header=BB299_14 Depth=1
	s_or_b64 exec, exec, s[46:47]
	v_lshrrev_b16_e32 v14, 8, v12
	v_cmp_ne_u16_e64 s[4:5], 0, v14
	s_and_saveexec_b64 s[46:47], s[4:5]
	s_cbranch_execz .LBB299_101
; %bb.96:                               ;   in Loop: Header=BB299_14 Depth=1
	v_cmp_ne_u16_e64 s[4:5], s60, v14
	v_bfrev_b32_e32 v40, 1
	s_and_saveexec_b64 s[48:49], s[4:5]
	s_cbranch_execz .LBB299_100
; %bb.97:                               ;   in Loop: Header=BB299_14 Depth=1
	v_and_b32_e32 v42, 0x7f, v14
	v_cmp_ne_u32_e64 s[4:5], s61, v42
	v_mov_b32_e32 v40, 0x7fc02000
	s_and_saveexec_b64 s[50:51], s[4:5]
	s_cbranch_execz .LBB299_99
; %bb.98:                               ;   in Loop: Header=BB299_14 Depth=1
	v_and_b32_e32 v40, 7, v14
	v_ffbh_u32_e32 v44, v40
	v_min_u32_e32 v46, 32, v44
	v_subrev_u32_e32 v44, 28, v46
	v_lshlrev_b64 v[44:45], v44, v[14:15]
	v_lshrrev_b32_e32 v43, 3, v42
	v_sub_u32_e32 v45, 29, v46
	v_cmp_gt_u32_e64 s[4:5], 8, v42
	v_cndmask_b32_e64 v42, v43, v45, s[4:5]
	v_and_b32_e32 v44, 7, v44
	v_lshlrev_b32_e32 v14, 8, v14
	v_lshl_add_u32 v42, v42, 10, v24
	v_cndmask_b32_e64 v40, v40, v44, s[4:5]
	v_and_or_b32 v14, v14, s62, v42
	v_lshl_or_b32 v14, v40, 7, v14
	v_cvt_f32_f16_e32 v40, v14
.LBB299_99:                             ;   in Loop: Header=BB299_14 Depth=1
	s_or_b64 exec, exec, s[50:51]
.LBB299_100:                            ;   in Loop: Header=BB299_14 Depth=1
	s_or_b64 exec, exec, s[48:49]
.LBB299_101:                            ;   in Loop: Header=BB299_14 Depth=1
	s_or_b64 exec, exec, s[46:47]
	v_lshrrev_b32_e32 v14, 16, v12
	v_cmp_ne_u16_sdwa s[4:5], v14, v17 src0_sel:BYTE_0 src1_sel:DWORD
	v_mov_b32_e32 v42, 0
	v_mov_b32_e32 v43, 0
	s_and_saveexec_b64 s[46:47], s[4:5]
	s_cbranch_execz .LBB299_107
; %bb.102:                              ;   in Loop: Header=BB299_14 Depth=1
	v_cmp_ne_u16_sdwa s[4:5], v14, s60 src0_sel:BYTE_0 src1_sel:DWORD
	v_bfrev_b32_e32 v43, 1
	s_and_saveexec_b64 s[48:49], s[4:5]
	s_cbranch_execz .LBB299_106
; %bb.103:                              ;   in Loop: Header=BB299_14 Depth=1
	v_bfe_u32 v44, v12, 16, 7
	v_cmp_ne_u32_e64 s[4:5], s61, v44
	v_mov_b32_e32 v43, 0x7fc02000
	s_and_saveexec_b64 s[50:51], s[4:5]
	s_cbranch_execz .LBB299_105
; %bb.104:                              ;   in Loop: Header=BB299_14 Depth=1
	v_and_b32_e32 v43, 7, v14
	v_ffbh_u32_e32 v46, v43
	v_min_u32_e32 v48, 32, v46
	v_subrev_u32_e32 v46, 28, v48
	v_lshlrev_b64 v[46:47], v46, v[14:15]
	v_lshrrev_b32_e32 v45, 3, v44
	v_sub_u32_e32 v47, 29, v48
	v_cmp_gt_u32_e64 s[4:5], 8, v44
	v_cndmask_b32_e64 v44, v45, v47, s[4:5]
	v_and_b32_e32 v46, 7, v46
	v_lshlrev_b32_e32 v14, 8, v14
	v_lshl_add_u32 v44, v44, 10, v24
	v_cndmask_b32_e64 v43, v43, v46, s[4:5]
	v_and_or_b32 v14, v14, s62, v44
	v_lshl_or_b32 v14, v43, 7, v14
	v_cvt_f32_f16_e32 v43, v14
.LBB299_105:                            ;   in Loop: Header=BB299_14 Depth=1
	s_or_b64 exec, exec, s[50:51]
.LBB299_106:                            ;   in Loop: Header=BB299_14 Depth=1
	s_or_b64 exec, exec, s[48:49]
.LBB299_107:                            ;   in Loop: Header=BB299_14 Depth=1
	s_or_b64 exec, exec, s[46:47]
	v_cmp_lt_u32_e64 s[4:5], s63, v12
	s_and_saveexec_b64 s[46:47], s[4:5]
	s_cbranch_execz .LBB299_113
; %bb.108:                              ;   in Loop: Header=BB299_14 Depth=1
	v_lshrrev_b32_e32 v12, 24, v12
	v_cmp_ne_u32_e64 s[4:5], s60, v12
	v_bfrev_b32_e32 v42, 1
	s_and_saveexec_b64 s[48:49], s[4:5]
	s_cbranch_execz .LBB299_112
; %bb.109:                              ;   in Loop: Header=BB299_14 Depth=1
	v_and_b32_e32 v14, 0x7f, v12
	v_cmp_ne_u32_e64 s[4:5], s61, v14
	v_mov_b32_e32 v42, 0x7fc02000
	s_and_saveexec_b64 s[50:51], s[4:5]
	s_cbranch_execz .LBB299_111
; %bb.110:                              ;   in Loop: Header=BB299_14 Depth=1
	v_and_b32_e32 v42, 7, v12
	v_ffbh_u32_e32 v44, v42
	v_min_u32_e32 v47, 32, v44
	v_subrev_u32_e32 v44, 28, v47
	v_lshlrev_b64 v[44:45], v44, v[12:13]
	v_lshrrev_b32_e32 v46, 3, v14
	v_sub_u32_e32 v45, 29, v47
	v_cmp_gt_u32_e64 s[4:5], 8, v14
	v_cndmask_b32_e64 v14, v46, v45, s[4:5]
	v_and_b32_e32 v44, 7, v44
	v_lshlrev_b32_e32 v12, 8, v12
	v_lshl_add_u32 v14, v14, 10, v24
	v_cndmask_b32_e64 v42, v42, v44, s[4:5]
	v_and_or_b32 v12, v12, s62, v14
	v_lshl_or_b32 v12, v42, 7, v12
	v_cvt_f32_f16_e32 v42, v12
.LBB299_111:                            ;   in Loop: Header=BB299_14 Depth=1
	s_or_b64 exec, exec, s[50:51]
.LBB299_112:                            ;   in Loop: Header=BB299_14 Depth=1
	s_or_b64 exec, exec, s[48:49]
.LBB299_113:                            ;   in Loop: Header=BB299_14 Depth=1
	s_or_b64 exec, exec, s[46:47]
	global_load_dword v12, v[10:11], off offset:1024
	v_mov_b32_e32 v44, 0
	v_mov_b32_e32 v45, 0
	s_waitcnt vmcnt(0)
	v_cmp_ne_u16_sdwa s[4:5], v12, v17 src0_sel:BYTE_0 src1_sel:DWORD
	s_and_saveexec_b64 s[46:47], s[4:5]
	s_cbranch_execz .LBB299_119
; %bb.114:                              ;   in Loop: Header=BB299_14 Depth=1
	v_cmp_ne_u16_sdwa s[4:5], v12, s60 src0_sel:BYTE_0 src1_sel:DWORD
	v_bfrev_b32_e32 v45, 1
	s_and_saveexec_b64 s[48:49], s[4:5]
	s_cbranch_execz .LBB299_118
; %bb.115:                              ;   in Loop: Header=BB299_14 Depth=1
	v_and_b32_e32 v14, 0x7f, v12
	v_cmp_ne_u32_e64 s[4:5], s61, v14
	v_mov_b32_e32 v45, 0x7fc02000
	s_and_saveexec_b64 s[50:51], s[4:5]
	s_cbranch_execz .LBB299_117
; %bb.116:                              ;   in Loop: Header=BB299_14 Depth=1
	v_and_b32_e32 v45, 7, v12
	v_ffbh_u32_e32 v46, v45
	v_min_u32_e32 v49, 32, v46
	v_subrev_u32_e32 v46, 28, v49
	v_lshlrev_b64 v[46:47], v46, v[12:13]
	v_lshrrev_b32_e32 v48, 3, v14
	v_sub_u32_e32 v47, 29, v49
	v_cmp_gt_u32_e64 s[4:5], 8, v14
	v_and_b32_e32 v46, 7, v46
	v_cndmask_b32_e64 v14, v48, v47, s[4:5]
	v_cndmask_b32_e64 v45, v45, v46, s[4:5]
	v_lshlrev_b32_e32 v46, 8, v12
	v_lshl_add_u32 v14, v14, 10, v24
	v_and_or_b32 v14, v46, s62, v14
	v_lshl_or_b32 v14, v45, 7, v14
	v_cvt_f32_f16_e32 v45, v14
.LBB299_117:                            ;   in Loop: Header=BB299_14 Depth=1
	s_or_b64 exec, exec, s[50:51]
.LBB299_118:                            ;   in Loop: Header=BB299_14 Depth=1
	s_or_b64 exec, exec, s[48:49]
.LBB299_119:                            ;   in Loop: Header=BB299_14 Depth=1
	s_or_b64 exec, exec, s[46:47]
	v_lshrrev_b16_e32 v14, 8, v12
	v_cmp_ne_u16_e64 s[4:5], 0, v14
	s_and_saveexec_b64 s[46:47], s[4:5]
	s_cbranch_execz .LBB299_125
; %bb.120:                              ;   in Loop: Header=BB299_14 Depth=1
	v_cmp_ne_u16_e64 s[4:5], s60, v14
	v_bfrev_b32_e32 v44, 1
	s_and_saveexec_b64 s[48:49], s[4:5]
	s_cbranch_execz .LBB299_124
; %bb.121:                              ;   in Loop: Header=BB299_14 Depth=1
	v_and_b32_e32 v46, 0x7f, v14
	v_cmp_ne_u32_e64 s[4:5], s61, v46
	v_mov_b32_e32 v44, 0x7fc02000
	s_and_saveexec_b64 s[50:51], s[4:5]
	s_cbranch_execz .LBB299_123
; %bb.122:                              ;   in Loop: Header=BB299_14 Depth=1
	v_and_b32_e32 v44, 7, v14
	v_ffbh_u32_e32 v48, v44
	v_min_u32_e32 v50, 32, v48
	v_subrev_u32_e32 v48, 28, v50
	v_lshlrev_b64 v[48:49], v48, v[14:15]
	v_lshrrev_b32_e32 v47, 3, v46
	v_sub_u32_e32 v49, 29, v50
	v_cmp_gt_u32_e64 s[4:5], 8, v46
	v_cndmask_b32_e64 v46, v47, v49, s[4:5]
	v_and_b32_e32 v48, 7, v48
	v_lshlrev_b32_e32 v14, 8, v14
	v_lshl_add_u32 v46, v46, 10, v24
	v_cndmask_b32_e64 v44, v44, v48, s[4:5]
	v_and_or_b32 v14, v14, s62, v46
	v_lshl_or_b32 v14, v44, 7, v14
	v_cvt_f32_f16_e32 v44, v14
.LBB299_123:                            ;   in Loop: Header=BB299_14 Depth=1
	s_or_b64 exec, exec, s[50:51]
.LBB299_124:                            ;   in Loop: Header=BB299_14 Depth=1
	s_or_b64 exec, exec, s[48:49]
.LBB299_125:                            ;   in Loop: Header=BB299_14 Depth=1
	s_or_b64 exec, exec, s[46:47]
	v_lshrrev_b32_e32 v14, 16, v12
	v_cmp_ne_u16_sdwa s[4:5], v14, v17 src0_sel:BYTE_0 src1_sel:DWORD
	v_mov_b32_e32 v46, 0
	v_mov_b32_e32 v47, 0
	s_and_saveexec_b64 s[46:47], s[4:5]
	s_cbranch_execz .LBB299_131
; %bb.126:                              ;   in Loop: Header=BB299_14 Depth=1
	v_cmp_ne_u16_sdwa s[4:5], v14, s60 src0_sel:BYTE_0 src1_sel:DWORD
	v_bfrev_b32_e32 v47, 1
	s_and_saveexec_b64 s[48:49], s[4:5]
	s_cbranch_execz .LBB299_130
; %bb.127:                              ;   in Loop: Header=BB299_14 Depth=1
	v_bfe_u32 v48, v12, 16, 7
	v_cmp_ne_u32_e64 s[4:5], s61, v48
	v_mov_b32_e32 v47, 0x7fc02000
	s_and_saveexec_b64 s[50:51], s[4:5]
	s_cbranch_execz .LBB299_129
; %bb.128:                              ;   in Loop: Header=BB299_14 Depth=1
	v_and_b32_e32 v47, 7, v14
	v_ffbh_u32_e32 v50, v47
	v_min_u32_e32 v52, 32, v50
	v_subrev_u32_e32 v50, 28, v52
	v_lshlrev_b64 v[50:51], v50, v[14:15]
	v_lshrrev_b32_e32 v49, 3, v48
	v_sub_u32_e32 v51, 29, v52
	v_cmp_gt_u32_e64 s[4:5], 8, v48
	v_cndmask_b32_e64 v48, v49, v51, s[4:5]
	v_and_b32_e32 v50, 7, v50
	v_lshlrev_b32_e32 v14, 8, v14
	v_lshl_add_u32 v48, v48, 10, v24
	v_cndmask_b32_e64 v47, v47, v50, s[4:5]
	v_and_or_b32 v14, v14, s62, v48
	v_lshl_or_b32 v14, v47, 7, v14
	v_cvt_f32_f16_e32 v47, v14
.LBB299_129:                            ;   in Loop: Header=BB299_14 Depth=1
	s_or_b64 exec, exec, s[50:51]
.LBB299_130:                            ;   in Loop: Header=BB299_14 Depth=1
	s_or_b64 exec, exec, s[48:49]
.LBB299_131:                            ;   in Loop: Header=BB299_14 Depth=1
	s_or_b64 exec, exec, s[46:47]
	v_cmp_lt_u32_e64 s[4:5], s63, v12
	s_and_saveexec_b64 s[46:47], s[4:5]
	s_cbranch_execz .LBB299_137
; %bb.132:                              ;   in Loop: Header=BB299_14 Depth=1
	v_lshrrev_b32_e32 v12, 24, v12
	v_cmp_ne_u32_e64 s[4:5], s60, v12
	v_bfrev_b32_e32 v46, 1
	s_and_saveexec_b64 s[48:49], s[4:5]
	s_cbranch_execz .LBB299_136
; %bb.133:                              ;   in Loop: Header=BB299_14 Depth=1
	v_and_b32_e32 v14, 0x7f, v12
	v_cmp_ne_u32_e64 s[4:5], s61, v14
	v_mov_b32_e32 v46, 0x7fc02000
	s_and_saveexec_b64 s[50:51], s[4:5]
	s_cbranch_execz .LBB299_135
; %bb.134:                              ;   in Loop: Header=BB299_14 Depth=1
	v_and_b32_e32 v46, 7, v12
	v_ffbh_u32_e32 v48, v46
	v_min_u32_e32 v51, 32, v48
	v_subrev_u32_e32 v48, 28, v51
	v_lshlrev_b64 v[48:49], v48, v[12:13]
	v_lshrrev_b32_e32 v50, 3, v14
	v_sub_u32_e32 v49, 29, v51
	v_cmp_gt_u32_e64 s[4:5], 8, v14
	v_cndmask_b32_e64 v14, v50, v49, s[4:5]
	v_and_b32_e32 v48, 7, v48
	v_lshlrev_b32_e32 v12, 8, v12
	v_lshl_add_u32 v14, v14, 10, v24
	v_cndmask_b32_e64 v46, v46, v48, s[4:5]
	v_and_or_b32 v12, v12, s62, v14
	v_lshl_or_b32 v12, v46, 7, v12
	v_cvt_f32_f16_e32 v46, v12
.LBB299_135:                            ;   in Loop: Header=BB299_14 Depth=1
	s_or_b64 exec, exec, s[50:51]
.LBB299_136:                            ;   in Loop: Header=BB299_14 Depth=1
	s_or_b64 exec, exec, s[48:49]
.LBB299_137:                            ;   in Loop: Header=BB299_14 Depth=1
	s_or_b64 exec, exec, s[46:47]
	global_load_dword v12, v[10:11], off offset:1032
	v_mov_b32_e32 v48, 0
	v_mov_b32_e32 v49, 0
	s_waitcnt vmcnt(0)
	v_cmp_ne_u16_sdwa s[4:5], v12, v17 src0_sel:BYTE_0 src1_sel:DWORD
	s_and_saveexec_b64 s[46:47], s[4:5]
	s_cbranch_execz .LBB299_143
; %bb.138:                              ;   in Loop: Header=BB299_14 Depth=1
	v_cmp_ne_u16_sdwa s[4:5], v12, s60 src0_sel:BYTE_0 src1_sel:DWORD
	v_bfrev_b32_e32 v49, 1
	s_and_saveexec_b64 s[48:49], s[4:5]
	s_cbranch_execz .LBB299_142
; %bb.139:                              ;   in Loop: Header=BB299_14 Depth=1
	v_and_b32_e32 v14, 0x7f, v12
	v_cmp_ne_u32_e64 s[4:5], s61, v14
	v_mov_b32_e32 v49, 0x7fc02000
	s_and_saveexec_b64 s[50:51], s[4:5]
	s_cbranch_execz .LBB299_141
; %bb.140:                              ;   in Loop: Header=BB299_14 Depth=1
	v_and_b32_e32 v49, 7, v12
	v_ffbh_u32_e32 v50, v49
	v_min_u32_e32 v53, 32, v50
	v_subrev_u32_e32 v50, 28, v53
	v_lshlrev_b64 v[50:51], v50, v[12:13]
	v_lshrrev_b32_e32 v52, 3, v14
	v_sub_u32_e32 v51, 29, v53
	v_cmp_gt_u32_e64 s[4:5], 8, v14
	v_and_b32_e32 v50, 7, v50
	v_cndmask_b32_e64 v14, v52, v51, s[4:5]
	v_cndmask_b32_e64 v49, v49, v50, s[4:5]
	v_lshlrev_b32_e32 v50, 8, v12
	v_lshl_add_u32 v14, v14, 10, v24
	v_and_or_b32 v14, v50, s62, v14
	v_lshl_or_b32 v14, v49, 7, v14
	v_cvt_f32_f16_e32 v49, v14
.LBB299_141:                            ;   in Loop: Header=BB299_14 Depth=1
	s_or_b64 exec, exec, s[50:51]
.LBB299_142:                            ;   in Loop: Header=BB299_14 Depth=1
	s_or_b64 exec, exec, s[48:49]
.LBB299_143:                            ;   in Loop: Header=BB299_14 Depth=1
	s_or_b64 exec, exec, s[46:47]
	v_lshrrev_b16_e32 v14, 8, v12
	v_cmp_ne_u16_e64 s[4:5], 0, v14
	s_and_saveexec_b64 s[46:47], s[4:5]
	s_cbranch_execz .LBB299_149
; %bb.144:                              ;   in Loop: Header=BB299_14 Depth=1
	v_cmp_ne_u16_e64 s[4:5], s60, v14
	v_bfrev_b32_e32 v48, 1
	s_and_saveexec_b64 s[48:49], s[4:5]
	s_cbranch_execz .LBB299_148
; %bb.145:                              ;   in Loop: Header=BB299_14 Depth=1
	v_and_b32_e32 v50, 0x7f, v14
	v_cmp_ne_u32_e64 s[4:5], s61, v50
	v_mov_b32_e32 v48, 0x7fc02000
	s_and_saveexec_b64 s[50:51], s[4:5]
	s_cbranch_execz .LBB299_147
; %bb.146:                              ;   in Loop: Header=BB299_14 Depth=1
	v_and_b32_e32 v48, 7, v14
	v_ffbh_u32_e32 v52, v48
	v_min_u32_e32 v54, 32, v52
	v_subrev_u32_e32 v52, 28, v54
	v_lshlrev_b64 v[52:53], v52, v[14:15]
	v_lshrrev_b32_e32 v51, 3, v50
	v_sub_u32_e32 v53, 29, v54
	v_cmp_gt_u32_e64 s[4:5], 8, v50
	v_cndmask_b32_e64 v50, v51, v53, s[4:5]
	v_and_b32_e32 v52, 7, v52
	v_lshlrev_b32_e32 v14, 8, v14
	v_lshl_add_u32 v50, v50, 10, v24
	v_cndmask_b32_e64 v48, v48, v52, s[4:5]
	v_and_or_b32 v14, v14, s62, v50
	v_lshl_or_b32 v14, v48, 7, v14
	v_cvt_f32_f16_e32 v48, v14
.LBB299_147:                            ;   in Loop: Header=BB299_14 Depth=1
	s_or_b64 exec, exec, s[50:51]
.LBB299_148:                            ;   in Loop: Header=BB299_14 Depth=1
	s_or_b64 exec, exec, s[48:49]
.LBB299_149:                            ;   in Loop: Header=BB299_14 Depth=1
	s_or_b64 exec, exec, s[46:47]
	v_lshrrev_b32_e32 v14, 16, v12
	v_cmp_ne_u16_sdwa s[4:5], v14, v17 src0_sel:BYTE_0 src1_sel:DWORD
	v_mov_b32_e32 v50, 0
	v_mov_b32_e32 v51, 0
	s_and_saveexec_b64 s[46:47], s[4:5]
	s_cbranch_execz .LBB299_155
; %bb.150:                              ;   in Loop: Header=BB299_14 Depth=1
	v_cmp_ne_u16_sdwa s[4:5], v14, s60 src0_sel:BYTE_0 src1_sel:DWORD
	v_bfrev_b32_e32 v51, 1
	s_and_saveexec_b64 s[48:49], s[4:5]
	s_cbranch_execz .LBB299_154
; %bb.151:                              ;   in Loop: Header=BB299_14 Depth=1
	v_bfe_u32 v52, v12, 16, 7
	v_cmp_ne_u32_e64 s[4:5], s61, v52
	v_mov_b32_e32 v51, 0x7fc02000
	s_and_saveexec_b64 s[50:51], s[4:5]
	s_cbranch_execz .LBB299_153
; %bb.152:                              ;   in Loop: Header=BB299_14 Depth=1
	v_and_b32_e32 v51, 7, v14
	v_ffbh_u32_e32 v54, v51
	v_min_u32_e32 v56, 32, v54
	v_subrev_u32_e32 v54, 28, v56
	v_lshlrev_b64 v[54:55], v54, v[14:15]
	v_lshrrev_b32_e32 v53, 3, v52
	v_sub_u32_e32 v55, 29, v56
	v_cmp_gt_u32_e64 s[4:5], 8, v52
	v_cndmask_b32_e64 v52, v53, v55, s[4:5]
	v_and_b32_e32 v54, 7, v54
	v_lshlrev_b32_e32 v14, 8, v14
	v_lshl_add_u32 v52, v52, 10, v24
	v_cndmask_b32_e64 v51, v51, v54, s[4:5]
	v_and_or_b32 v14, v14, s62, v52
	v_lshl_or_b32 v14, v51, 7, v14
	v_cvt_f32_f16_e32 v51, v14
.LBB299_153:                            ;   in Loop: Header=BB299_14 Depth=1
	s_or_b64 exec, exec, s[50:51]
.LBB299_154:                            ;   in Loop: Header=BB299_14 Depth=1
	s_or_b64 exec, exec, s[48:49]
.LBB299_155:                            ;   in Loop: Header=BB299_14 Depth=1
	s_or_b64 exec, exec, s[46:47]
	v_cmp_lt_u32_e64 s[4:5], s63, v12
	s_and_saveexec_b64 s[46:47], s[4:5]
	s_cbranch_execz .LBB299_161
; %bb.156:                              ;   in Loop: Header=BB299_14 Depth=1
	v_lshrrev_b32_e32 v12, 24, v12
	v_cmp_ne_u32_e64 s[4:5], s60, v12
	v_bfrev_b32_e32 v50, 1
	s_and_saveexec_b64 s[48:49], s[4:5]
	s_cbranch_execz .LBB299_160
; %bb.157:                              ;   in Loop: Header=BB299_14 Depth=1
	v_and_b32_e32 v14, 0x7f, v12
	v_cmp_ne_u32_e64 s[4:5], s61, v14
	v_mov_b32_e32 v50, 0x7fc02000
	s_and_saveexec_b64 s[50:51], s[4:5]
	s_cbranch_execz .LBB299_159
; %bb.158:                              ;   in Loop: Header=BB299_14 Depth=1
	v_and_b32_e32 v50, 7, v12
	v_ffbh_u32_e32 v52, v50
	v_min_u32_e32 v55, 32, v52
	v_subrev_u32_e32 v52, 28, v55
	v_lshlrev_b64 v[52:53], v52, v[12:13]
	v_lshrrev_b32_e32 v54, 3, v14
	v_sub_u32_e32 v53, 29, v55
	v_cmp_gt_u32_e64 s[4:5], 8, v14
	v_cndmask_b32_e64 v14, v54, v53, s[4:5]
	v_and_b32_e32 v52, 7, v52
	v_lshlrev_b32_e32 v12, 8, v12
	v_lshl_add_u32 v14, v14, 10, v24
	v_cndmask_b32_e64 v50, v50, v52, s[4:5]
	v_and_or_b32 v12, v12, s62, v14
	v_lshl_or_b32 v12, v50, 7, v12
	v_cvt_f32_f16_e32 v50, v12
.LBB299_159:                            ;   in Loop: Header=BB299_14 Depth=1
	s_or_b64 exec, exec, s[50:51]
.LBB299_160:                            ;   in Loop: Header=BB299_14 Depth=1
	s_or_b64 exec, exec, s[48:49]
.LBB299_161:                            ;   in Loop: Header=BB299_14 Depth=1
	s_or_b64 exec, exec, s[46:47]
	global_load_dword v12, v[10:11], off offset:1536
	v_mov_b32_e32 v52, 0
	v_mov_b32_e32 v53, 0
	s_waitcnt vmcnt(0)
	v_cmp_ne_u16_sdwa s[4:5], v12, v17 src0_sel:BYTE_0 src1_sel:DWORD
	s_and_saveexec_b64 s[46:47], s[4:5]
	s_cbranch_execz .LBB299_167
; %bb.162:                              ;   in Loop: Header=BB299_14 Depth=1
	v_cmp_ne_u16_sdwa s[4:5], v12, s60 src0_sel:BYTE_0 src1_sel:DWORD
	v_bfrev_b32_e32 v53, 1
	s_and_saveexec_b64 s[48:49], s[4:5]
	s_cbranch_execz .LBB299_166
; %bb.163:                              ;   in Loop: Header=BB299_14 Depth=1
	v_and_b32_e32 v14, 0x7f, v12
	v_cmp_ne_u32_e64 s[4:5], s61, v14
	v_mov_b32_e32 v53, 0x7fc02000
	s_and_saveexec_b64 s[50:51], s[4:5]
	s_cbranch_execz .LBB299_165
; %bb.164:                              ;   in Loop: Header=BB299_14 Depth=1
	v_and_b32_e32 v53, 7, v12
	v_ffbh_u32_e32 v54, v53
	v_min_u32_e32 v57, 32, v54
	v_subrev_u32_e32 v54, 28, v57
	v_lshlrev_b64 v[54:55], v54, v[12:13]
	v_lshrrev_b32_e32 v56, 3, v14
	v_sub_u32_e32 v55, 29, v57
	v_cmp_gt_u32_e64 s[4:5], 8, v14
	v_and_b32_e32 v54, 7, v54
	v_cndmask_b32_e64 v14, v56, v55, s[4:5]
	v_cndmask_b32_e64 v53, v53, v54, s[4:5]
	v_lshlrev_b32_e32 v54, 8, v12
	v_lshl_add_u32 v14, v14, 10, v24
	v_and_or_b32 v14, v54, s62, v14
	v_lshl_or_b32 v14, v53, 7, v14
	v_cvt_f32_f16_e32 v53, v14
.LBB299_165:                            ;   in Loop: Header=BB299_14 Depth=1
	s_or_b64 exec, exec, s[50:51]
.LBB299_166:                            ;   in Loop: Header=BB299_14 Depth=1
	s_or_b64 exec, exec, s[48:49]
.LBB299_167:                            ;   in Loop: Header=BB299_14 Depth=1
	s_or_b64 exec, exec, s[46:47]
	v_lshrrev_b16_e32 v14, 8, v12
	v_cmp_ne_u16_e64 s[4:5], 0, v14
	s_and_saveexec_b64 s[46:47], s[4:5]
	s_cbranch_execz .LBB299_173
; %bb.168:                              ;   in Loop: Header=BB299_14 Depth=1
	v_cmp_ne_u16_e64 s[4:5], s60, v14
	v_bfrev_b32_e32 v52, 1
	s_and_saveexec_b64 s[48:49], s[4:5]
	s_cbranch_execz .LBB299_172
; %bb.169:                              ;   in Loop: Header=BB299_14 Depth=1
	v_and_b32_e32 v54, 0x7f, v14
	v_cmp_ne_u32_e64 s[4:5], s61, v54
	v_mov_b32_e32 v52, 0x7fc02000
	s_and_saveexec_b64 s[50:51], s[4:5]
	s_cbranch_execz .LBB299_171
; %bb.170:                              ;   in Loop: Header=BB299_14 Depth=1
	v_and_b32_e32 v52, 7, v14
	v_ffbh_u32_e32 v56, v52
	v_min_u32_e32 v58, 32, v56
	v_subrev_u32_e32 v56, 28, v58
	v_lshlrev_b64 v[56:57], v56, v[14:15]
	v_lshrrev_b32_e32 v55, 3, v54
	v_sub_u32_e32 v57, 29, v58
	v_cmp_gt_u32_e64 s[4:5], 8, v54
	v_cndmask_b32_e64 v54, v55, v57, s[4:5]
	v_and_b32_e32 v56, 7, v56
	v_lshlrev_b32_e32 v14, 8, v14
	v_lshl_add_u32 v54, v54, 10, v24
	v_cndmask_b32_e64 v52, v52, v56, s[4:5]
	v_and_or_b32 v14, v14, s62, v54
	v_lshl_or_b32 v14, v52, 7, v14
	v_cvt_f32_f16_e32 v52, v14
.LBB299_171:                            ;   in Loop: Header=BB299_14 Depth=1
	s_or_b64 exec, exec, s[50:51]
.LBB299_172:                            ;   in Loop: Header=BB299_14 Depth=1
	s_or_b64 exec, exec, s[48:49]
.LBB299_173:                            ;   in Loop: Header=BB299_14 Depth=1
	s_or_b64 exec, exec, s[46:47]
	v_lshrrev_b32_e32 v14, 16, v12
	v_cmp_ne_u16_sdwa s[4:5], v14, v17 src0_sel:BYTE_0 src1_sel:DWORD
	v_mov_b32_e32 v54, 0
	v_mov_b32_e32 v55, 0
	s_and_saveexec_b64 s[46:47], s[4:5]
	s_cbranch_execz .LBB299_179
; %bb.174:                              ;   in Loop: Header=BB299_14 Depth=1
	v_cmp_ne_u16_sdwa s[4:5], v14, s60 src0_sel:BYTE_0 src1_sel:DWORD
	v_bfrev_b32_e32 v55, 1
	s_and_saveexec_b64 s[48:49], s[4:5]
	s_cbranch_execz .LBB299_178
; %bb.175:                              ;   in Loop: Header=BB299_14 Depth=1
	v_bfe_u32 v56, v12, 16, 7
	v_cmp_ne_u32_e64 s[4:5], s61, v56
	v_mov_b32_e32 v55, 0x7fc02000
	s_and_saveexec_b64 s[50:51], s[4:5]
	s_cbranch_execz .LBB299_177
; %bb.176:                              ;   in Loop: Header=BB299_14 Depth=1
	v_and_b32_e32 v55, 7, v14
	v_ffbh_u32_e32 v58, v55
	v_min_u32_e32 v60, 32, v58
	v_subrev_u32_e32 v58, 28, v60
	v_lshlrev_b64 v[58:59], v58, v[14:15]
	v_lshrrev_b32_e32 v57, 3, v56
	v_sub_u32_e32 v59, 29, v60
	v_cmp_gt_u32_e64 s[4:5], 8, v56
	v_cndmask_b32_e64 v56, v57, v59, s[4:5]
	v_and_b32_e32 v58, 7, v58
	v_lshlrev_b32_e32 v14, 8, v14
	v_lshl_add_u32 v56, v56, 10, v24
	v_cndmask_b32_e64 v55, v55, v58, s[4:5]
	v_and_or_b32 v14, v14, s62, v56
	v_lshl_or_b32 v14, v55, 7, v14
	v_cvt_f32_f16_e32 v55, v14
.LBB299_177:                            ;   in Loop: Header=BB299_14 Depth=1
	s_or_b64 exec, exec, s[50:51]
.LBB299_178:                            ;   in Loop: Header=BB299_14 Depth=1
	s_or_b64 exec, exec, s[48:49]
.LBB299_179:                            ;   in Loop: Header=BB299_14 Depth=1
	s_or_b64 exec, exec, s[46:47]
	v_cmp_lt_u32_e64 s[4:5], s63, v12
	s_and_saveexec_b64 s[46:47], s[4:5]
	s_cbranch_execz .LBB299_185
; %bb.180:                              ;   in Loop: Header=BB299_14 Depth=1
	v_lshrrev_b32_e32 v12, 24, v12
	v_cmp_ne_u32_e64 s[4:5], s60, v12
	v_bfrev_b32_e32 v54, 1
	s_and_saveexec_b64 s[48:49], s[4:5]
	s_cbranch_execz .LBB299_184
; %bb.181:                              ;   in Loop: Header=BB299_14 Depth=1
	v_and_b32_e32 v14, 0x7f, v12
	v_cmp_ne_u32_e64 s[4:5], s61, v14
	v_mov_b32_e32 v54, 0x7fc02000
	s_and_saveexec_b64 s[50:51], s[4:5]
	s_cbranch_execz .LBB299_183
; %bb.182:                              ;   in Loop: Header=BB299_14 Depth=1
	v_and_b32_e32 v54, 7, v12
	v_ffbh_u32_e32 v56, v54
	v_min_u32_e32 v59, 32, v56
	v_subrev_u32_e32 v56, 28, v59
	v_lshlrev_b64 v[56:57], v56, v[12:13]
	v_lshrrev_b32_e32 v58, 3, v14
	v_sub_u32_e32 v57, 29, v59
	v_cmp_gt_u32_e64 s[4:5], 8, v14
	v_cndmask_b32_e64 v14, v58, v57, s[4:5]
	v_and_b32_e32 v56, 7, v56
	v_lshlrev_b32_e32 v12, 8, v12
	v_lshl_add_u32 v14, v14, 10, v24
	v_cndmask_b32_e64 v54, v54, v56, s[4:5]
	v_and_or_b32 v12, v12, s62, v14
	v_lshl_or_b32 v12, v54, 7, v12
	v_cvt_f32_f16_e32 v54, v12
.LBB299_183:                            ;   in Loop: Header=BB299_14 Depth=1
	s_or_b64 exec, exec, s[50:51]
.LBB299_184:                            ;   in Loop: Header=BB299_14 Depth=1
	s_or_b64 exec, exec, s[48:49]
.LBB299_185:                            ;   in Loop: Header=BB299_14 Depth=1
	s_or_b64 exec, exec, s[46:47]
	global_load_dword v12, v[10:11], off offset:1544
	v_mov_b32_e32 v56, 0
	v_mov_b32_e32 v57, 0
	s_waitcnt vmcnt(0)
	v_cmp_ne_u16_sdwa s[4:5], v12, v17 src0_sel:BYTE_0 src1_sel:DWORD
	s_and_saveexec_b64 s[46:47], s[4:5]
	s_cbranch_execz .LBB299_191
; %bb.186:                              ;   in Loop: Header=BB299_14 Depth=1
	v_cmp_ne_u16_sdwa s[4:5], v12, s60 src0_sel:BYTE_0 src1_sel:DWORD
	v_bfrev_b32_e32 v57, 1
	s_and_saveexec_b64 s[48:49], s[4:5]
	s_cbranch_execz .LBB299_190
; %bb.187:                              ;   in Loop: Header=BB299_14 Depth=1
	v_and_b32_e32 v14, 0x7f, v12
	v_cmp_ne_u32_e64 s[4:5], s61, v14
	v_mov_b32_e32 v57, 0x7fc02000
	s_and_saveexec_b64 s[50:51], s[4:5]
	s_cbranch_execz .LBB299_189
; %bb.188:                              ;   in Loop: Header=BB299_14 Depth=1
	v_and_b32_e32 v57, 7, v12
	v_ffbh_u32_e32 v58, v57
	v_min_u32_e32 v61, 32, v58
	v_subrev_u32_e32 v58, 28, v61
	v_lshlrev_b64 v[58:59], v58, v[12:13]
	v_lshrrev_b32_e32 v60, 3, v14
	v_sub_u32_e32 v59, 29, v61
	v_cmp_gt_u32_e64 s[4:5], 8, v14
	v_and_b32_e32 v58, 7, v58
	v_cndmask_b32_e64 v14, v60, v59, s[4:5]
	v_cndmask_b32_e64 v57, v57, v58, s[4:5]
	v_lshlrev_b32_e32 v58, 8, v12
	v_lshl_add_u32 v14, v14, 10, v24
	v_and_or_b32 v14, v58, s62, v14
	v_lshl_or_b32 v14, v57, 7, v14
	v_cvt_f32_f16_e32 v57, v14
.LBB299_189:                            ;   in Loop: Header=BB299_14 Depth=1
	s_or_b64 exec, exec, s[50:51]
.LBB299_190:                            ;   in Loop: Header=BB299_14 Depth=1
	s_or_b64 exec, exec, s[48:49]
.LBB299_191:                            ;   in Loop: Header=BB299_14 Depth=1
	s_or_b64 exec, exec, s[46:47]
	v_lshrrev_b16_e32 v14, 8, v12
	v_cmp_ne_u16_e64 s[4:5], 0, v14
	s_and_saveexec_b64 s[46:47], s[4:5]
	s_cbranch_execz .LBB299_197
; %bb.192:                              ;   in Loop: Header=BB299_14 Depth=1
	v_cmp_ne_u16_e64 s[4:5], s60, v14
	v_bfrev_b32_e32 v56, 1
	s_and_saveexec_b64 s[48:49], s[4:5]
	s_cbranch_execz .LBB299_196
; %bb.193:                              ;   in Loop: Header=BB299_14 Depth=1
	v_and_b32_e32 v58, 0x7f, v14
	v_cmp_ne_u32_e64 s[4:5], s61, v58
	v_mov_b32_e32 v56, 0x7fc02000
	s_and_saveexec_b64 s[50:51], s[4:5]
	s_cbranch_execz .LBB299_195
; %bb.194:                              ;   in Loop: Header=BB299_14 Depth=1
	v_and_b32_e32 v56, 7, v14
	v_ffbh_u32_e32 v60, v56
	v_min_u32_e32 v62, 32, v60
	v_subrev_u32_e32 v60, 28, v62
	v_lshlrev_b64 v[60:61], v60, v[14:15]
	v_lshrrev_b32_e32 v59, 3, v58
	v_sub_u32_e32 v61, 29, v62
	v_cmp_gt_u32_e64 s[4:5], 8, v58
	v_cndmask_b32_e64 v58, v59, v61, s[4:5]
	v_and_b32_e32 v60, 7, v60
	v_lshlrev_b32_e32 v14, 8, v14
	v_lshl_add_u32 v58, v58, 10, v24
	v_cndmask_b32_e64 v56, v56, v60, s[4:5]
	v_and_or_b32 v14, v14, s62, v58
	v_lshl_or_b32 v14, v56, 7, v14
	v_cvt_f32_f16_e32 v56, v14
.LBB299_195:                            ;   in Loop: Header=BB299_14 Depth=1
	s_or_b64 exec, exec, s[50:51]
.LBB299_196:                            ;   in Loop: Header=BB299_14 Depth=1
	s_or_b64 exec, exec, s[48:49]
.LBB299_197:                            ;   in Loop: Header=BB299_14 Depth=1
	s_or_b64 exec, exec, s[46:47]
	v_lshrrev_b32_e32 v14, 16, v12
	v_cmp_ne_u16_sdwa s[4:5], v14, v17 src0_sel:BYTE_0 src1_sel:DWORD
	v_mov_b32_e32 v58, 0
	v_mov_b32_e32 v59, 0
	s_and_saveexec_b64 s[46:47], s[4:5]
	s_cbranch_execz .LBB299_203
; %bb.198:                              ;   in Loop: Header=BB299_14 Depth=1
	v_cmp_ne_u16_sdwa s[4:5], v14, s60 src0_sel:BYTE_0 src1_sel:DWORD
	v_bfrev_b32_e32 v59, 1
	s_and_saveexec_b64 s[48:49], s[4:5]
	s_cbranch_execz .LBB299_202
; %bb.199:                              ;   in Loop: Header=BB299_14 Depth=1
	v_bfe_u32 v60, v12, 16, 7
	v_cmp_ne_u32_e64 s[4:5], s61, v60
	v_mov_b32_e32 v59, 0x7fc02000
	s_and_saveexec_b64 s[50:51], s[4:5]
	s_cbranch_execz .LBB299_201
; %bb.200:                              ;   in Loop: Header=BB299_14 Depth=1
	v_and_b32_e32 v59, 7, v14
	v_ffbh_u32_e32 v62, v59
	v_min_u32_e32 v64, 32, v62
	v_subrev_u32_e32 v62, 28, v64
	v_lshlrev_b64 v[62:63], v62, v[14:15]
	v_lshrrev_b32_e32 v61, 3, v60
	v_sub_u32_e32 v63, 29, v64
	v_cmp_gt_u32_e64 s[4:5], 8, v60
	v_cndmask_b32_e64 v60, v61, v63, s[4:5]
	v_and_b32_e32 v62, 7, v62
	v_lshlrev_b32_e32 v14, 8, v14
	v_lshl_add_u32 v60, v60, 10, v24
	v_cndmask_b32_e64 v59, v59, v62, s[4:5]
	v_and_or_b32 v14, v14, s62, v60
	v_lshl_or_b32 v14, v59, 7, v14
	v_cvt_f32_f16_e32 v59, v14
.LBB299_201:                            ;   in Loop: Header=BB299_14 Depth=1
	s_or_b64 exec, exec, s[50:51]
.LBB299_202:                            ;   in Loop: Header=BB299_14 Depth=1
	s_or_b64 exec, exec, s[48:49]
.LBB299_203:                            ;   in Loop: Header=BB299_14 Depth=1
	s_or_b64 exec, exec, s[46:47]
	v_cmp_lt_u32_e64 s[4:5], s63, v12
	s_and_saveexec_b64 s[46:47], s[4:5]
	s_cbranch_execz .LBB299_209
; %bb.204:                              ;   in Loop: Header=BB299_14 Depth=1
	v_lshrrev_b32_e32 v12, 24, v12
	v_cmp_ne_u32_e64 s[4:5], s60, v12
	v_bfrev_b32_e32 v58, 1
	s_and_saveexec_b64 s[48:49], s[4:5]
	s_cbranch_execz .LBB299_208
; %bb.205:                              ;   in Loop: Header=BB299_14 Depth=1
	v_and_b32_e32 v14, 0x7f, v12
	v_cmp_ne_u32_e64 s[4:5], s61, v14
	v_mov_b32_e32 v58, 0x7fc02000
	s_and_saveexec_b64 s[50:51], s[4:5]
	s_cbranch_execz .LBB299_207
; %bb.206:                              ;   in Loop: Header=BB299_14 Depth=1
	v_and_b32_e32 v58, 7, v12
	v_ffbh_u32_e32 v60, v58
	v_min_u32_e32 v63, 32, v60
	v_subrev_u32_e32 v60, 28, v63
	v_lshlrev_b64 v[60:61], v60, v[12:13]
	v_lshrrev_b32_e32 v62, 3, v14
	v_sub_u32_e32 v61, 29, v63
	v_cmp_gt_u32_e64 s[4:5], 8, v14
	v_cndmask_b32_e64 v14, v62, v61, s[4:5]
	v_and_b32_e32 v60, 7, v60
	v_lshlrev_b32_e32 v12, 8, v12
	v_lshl_add_u32 v14, v14, 10, v24
	v_cndmask_b32_e64 v58, v58, v60, s[4:5]
	v_and_or_b32 v12, v12, s62, v14
	v_lshl_or_b32 v12, v58, 7, v12
	v_cvt_f32_f16_e32 v58, v12
.LBB299_207:                            ;   in Loop: Header=BB299_14 Depth=1
	s_or_b64 exec, exec, s[50:51]
.LBB299_208:                            ;   in Loop: Header=BB299_14 Depth=1
	s_or_b64 exec, exec, s[48:49]
.LBB299_209:                            ;   in Loop: Header=BB299_14 Depth=1
	s_or_b64 exec, exec, s[46:47]
	global_load_dword v12, v[10:11], off offset:2048
	v_mov_b32_e32 v60, 0
	v_mov_b32_e32 v61, 0
	s_waitcnt vmcnt(0)
	v_cmp_ne_u16_sdwa s[4:5], v12, v17 src0_sel:BYTE_0 src1_sel:DWORD
	s_and_saveexec_b64 s[46:47], s[4:5]
	s_cbranch_execz .LBB299_215
; %bb.210:                              ;   in Loop: Header=BB299_14 Depth=1
	v_cmp_ne_u16_sdwa s[4:5], v12, s60 src0_sel:BYTE_0 src1_sel:DWORD
	v_bfrev_b32_e32 v61, 1
	s_and_saveexec_b64 s[48:49], s[4:5]
	s_cbranch_execz .LBB299_214
; %bb.211:                              ;   in Loop: Header=BB299_14 Depth=1
	v_and_b32_e32 v14, 0x7f, v12
	v_cmp_ne_u32_e64 s[4:5], s61, v14
	v_mov_b32_e32 v61, 0x7fc02000
	s_and_saveexec_b64 s[50:51], s[4:5]
	s_cbranch_execz .LBB299_213
; %bb.212:                              ;   in Loop: Header=BB299_14 Depth=1
	v_and_b32_e32 v61, 7, v12
	v_ffbh_u32_e32 v62, v61
	v_min_u32_e32 v65, 32, v62
	v_subrev_u32_e32 v62, 28, v65
	v_lshlrev_b64 v[62:63], v62, v[12:13]
	v_lshrrev_b32_e32 v64, 3, v14
	v_sub_u32_e32 v63, 29, v65
	v_cmp_gt_u32_e64 s[4:5], 8, v14
	v_and_b32_e32 v62, 7, v62
	v_cndmask_b32_e64 v14, v64, v63, s[4:5]
	v_cndmask_b32_e64 v61, v61, v62, s[4:5]
	v_lshlrev_b32_e32 v62, 8, v12
	v_lshl_add_u32 v14, v14, 10, v24
	v_and_or_b32 v14, v62, s62, v14
	v_lshl_or_b32 v14, v61, 7, v14
	v_cvt_f32_f16_e32 v61, v14
.LBB299_213:                            ;   in Loop: Header=BB299_14 Depth=1
	s_or_b64 exec, exec, s[50:51]
.LBB299_214:                            ;   in Loop: Header=BB299_14 Depth=1
	s_or_b64 exec, exec, s[48:49]
.LBB299_215:                            ;   in Loop: Header=BB299_14 Depth=1
	s_or_b64 exec, exec, s[46:47]
	v_lshrrev_b16_e32 v14, 8, v12
	v_cmp_ne_u16_e64 s[4:5], 0, v14
	s_and_saveexec_b64 s[46:47], s[4:5]
	s_cbranch_execz .LBB299_221
; %bb.216:                              ;   in Loop: Header=BB299_14 Depth=1
	v_cmp_ne_u16_e64 s[4:5], s60, v14
	v_bfrev_b32_e32 v60, 1
	s_and_saveexec_b64 s[48:49], s[4:5]
	s_cbranch_execz .LBB299_220
; %bb.217:                              ;   in Loop: Header=BB299_14 Depth=1
	v_and_b32_e32 v62, 0x7f, v14
	v_cmp_ne_u32_e64 s[4:5], s61, v62
	v_mov_b32_e32 v60, 0x7fc02000
	s_and_saveexec_b64 s[50:51], s[4:5]
	s_cbranch_execz .LBB299_219
; %bb.218:                              ;   in Loop: Header=BB299_14 Depth=1
	v_and_b32_e32 v60, 7, v14
	v_ffbh_u32_e32 v64, v60
	v_min_u32_e32 v66, 32, v64
	v_subrev_u32_e32 v64, 28, v66
	v_lshlrev_b64 v[64:65], v64, v[14:15]
	v_lshrrev_b32_e32 v63, 3, v62
	v_sub_u32_e32 v65, 29, v66
	v_cmp_gt_u32_e64 s[4:5], 8, v62
	v_cndmask_b32_e64 v62, v63, v65, s[4:5]
	v_and_b32_e32 v64, 7, v64
	v_lshlrev_b32_e32 v14, 8, v14
	v_lshl_add_u32 v62, v62, 10, v24
	v_cndmask_b32_e64 v60, v60, v64, s[4:5]
	v_and_or_b32 v14, v14, s62, v62
	v_lshl_or_b32 v14, v60, 7, v14
	v_cvt_f32_f16_e32 v60, v14
.LBB299_219:                            ;   in Loop: Header=BB299_14 Depth=1
	s_or_b64 exec, exec, s[50:51]
.LBB299_220:                            ;   in Loop: Header=BB299_14 Depth=1
	s_or_b64 exec, exec, s[48:49]
.LBB299_221:                            ;   in Loop: Header=BB299_14 Depth=1
	s_or_b64 exec, exec, s[46:47]
	v_lshrrev_b32_e32 v14, 16, v12
	v_cmp_ne_u16_sdwa s[4:5], v14, v17 src0_sel:BYTE_0 src1_sel:DWORD
	v_mov_b32_e32 v62, 0
	v_mov_b32_e32 v63, 0
	s_and_saveexec_b64 s[46:47], s[4:5]
	s_cbranch_execz .LBB299_227
; %bb.222:                              ;   in Loop: Header=BB299_14 Depth=1
	v_cmp_ne_u16_sdwa s[4:5], v14, s60 src0_sel:BYTE_0 src1_sel:DWORD
	v_bfrev_b32_e32 v63, 1
	s_and_saveexec_b64 s[48:49], s[4:5]
	s_cbranch_execz .LBB299_226
; %bb.223:                              ;   in Loop: Header=BB299_14 Depth=1
	v_bfe_u32 v64, v12, 16, 7
	v_cmp_ne_u32_e64 s[4:5], s61, v64
	v_mov_b32_e32 v63, 0x7fc02000
	s_and_saveexec_b64 s[50:51], s[4:5]
	s_cbranch_execz .LBB299_225
; %bb.224:                              ;   in Loop: Header=BB299_14 Depth=1
	v_and_b32_e32 v63, 7, v14
	v_ffbh_u32_e32 v66, v63
	v_min_u32_e32 v68, 32, v66
	v_subrev_u32_e32 v66, 28, v68
	v_lshlrev_b64 v[66:67], v66, v[14:15]
	v_lshrrev_b32_e32 v65, 3, v64
	v_sub_u32_e32 v67, 29, v68
	v_cmp_gt_u32_e64 s[4:5], 8, v64
	v_cndmask_b32_e64 v64, v65, v67, s[4:5]
	v_and_b32_e32 v66, 7, v66
	v_lshlrev_b32_e32 v14, 8, v14
	v_lshl_add_u32 v64, v64, 10, v24
	v_cndmask_b32_e64 v63, v63, v66, s[4:5]
	v_and_or_b32 v14, v14, s62, v64
	v_lshl_or_b32 v14, v63, 7, v14
	v_cvt_f32_f16_e32 v63, v14
.LBB299_225:                            ;   in Loop: Header=BB299_14 Depth=1
	s_or_b64 exec, exec, s[50:51]
.LBB299_226:                            ;   in Loop: Header=BB299_14 Depth=1
	s_or_b64 exec, exec, s[48:49]
.LBB299_227:                            ;   in Loop: Header=BB299_14 Depth=1
	s_or_b64 exec, exec, s[46:47]
	v_cmp_lt_u32_e64 s[4:5], s63, v12
	s_and_saveexec_b64 s[46:47], s[4:5]
	s_cbranch_execz .LBB299_233
; %bb.228:                              ;   in Loop: Header=BB299_14 Depth=1
	v_lshrrev_b32_e32 v12, 24, v12
	v_cmp_ne_u32_e64 s[4:5], s60, v12
	v_bfrev_b32_e32 v62, 1
	s_and_saveexec_b64 s[48:49], s[4:5]
	s_cbranch_execz .LBB299_232
; %bb.229:                              ;   in Loop: Header=BB299_14 Depth=1
	v_and_b32_e32 v14, 0x7f, v12
	v_cmp_ne_u32_e64 s[4:5], s61, v14
	v_mov_b32_e32 v62, 0x7fc02000
	s_and_saveexec_b64 s[50:51], s[4:5]
	s_cbranch_execz .LBB299_231
; %bb.230:                              ;   in Loop: Header=BB299_14 Depth=1
	v_and_b32_e32 v62, 7, v12
	v_ffbh_u32_e32 v64, v62
	v_min_u32_e32 v67, 32, v64
	v_subrev_u32_e32 v64, 28, v67
	v_lshlrev_b64 v[64:65], v64, v[12:13]
	v_lshrrev_b32_e32 v66, 3, v14
	v_sub_u32_e32 v65, 29, v67
	v_cmp_gt_u32_e64 s[4:5], 8, v14
	v_cndmask_b32_e64 v14, v66, v65, s[4:5]
	v_and_b32_e32 v64, 7, v64
	v_lshlrev_b32_e32 v12, 8, v12
	v_lshl_add_u32 v14, v14, 10, v24
	v_cndmask_b32_e64 v62, v62, v64, s[4:5]
	v_and_or_b32 v12, v12, s62, v14
	v_lshl_or_b32 v12, v62, 7, v12
	v_cvt_f32_f16_e32 v62, v12
.LBB299_231:                            ;   in Loop: Header=BB299_14 Depth=1
	s_or_b64 exec, exec, s[50:51]
.LBB299_232:                            ;   in Loop: Header=BB299_14 Depth=1
	s_or_b64 exec, exec, s[48:49]
.LBB299_233:                            ;   in Loop: Header=BB299_14 Depth=1
	s_or_b64 exec, exec, s[46:47]
	global_load_dword v10, v[10:11], off offset:2056
	v_mov_b32_e32 v64, 0
	v_mov_b32_e32 v65, 0
	s_waitcnt vmcnt(0)
	v_cmp_ne_u16_sdwa s[4:5], v10, v17 src0_sel:BYTE_0 src1_sel:DWORD
	s_and_saveexec_b64 s[46:47], s[4:5]
	s_cbranch_execz .LBB299_239
; %bb.234:                              ;   in Loop: Header=BB299_14 Depth=1
	v_cmp_ne_u16_sdwa s[4:5], v10, s60 src0_sel:BYTE_0 src1_sel:DWORD
	v_bfrev_b32_e32 v65, 1
	s_and_saveexec_b64 s[48:49], s[4:5]
	s_cbranch_execz .LBB299_238
; %bb.235:                              ;   in Loop: Header=BB299_14 Depth=1
	v_and_b32_e32 v11, 0x7f, v10
	v_cmp_ne_u32_e64 s[4:5], s61, v11
	v_mov_b32_e32 v65, 0x7fc02000
	s_and_saveexec_b64 s[50:51], s[4:5]
	s_cbranch_execz .LBB299_237
; %bb.236:                              ;   in Loop: Header=BB299_14 Depth=1
	v_and_b32_e32 v12, 7, v10
	v_ffbh_u32_e32 v65, v12
	v_min_u32_e32 v65, 32, v65
	v_lshrrev_b32_e32 v14, 3, v11
	v_subrev_u32_e32 v66, 28, v65
	v_sub_u32_e32 v65, 29, v65
	v_cmp_gt_u32_e64 s[4:5], 8, v11
	v_lshlrev_b64 v[66:67], v66, v[10:11]
	v_cndmask_b32_e64 v11, v14, v65, s[4:5]
	v_and_b32_e32 v66, 7, v66
	v_lshlrev_b32_e32 v14, 8, v10
	v_lshl_add_u32 v11, v11, 10, v24
	v_cndmask_b32_e64 v12, v12, v66, s[4:5]
	v_and_or_b32 v11, v14, s62, v11
	v_lshl_or_b32 v11, v12, 7, v11
	v_cvt_f32_f16_e32 v65, v11
.LBB299_237:                            ;   in Loop: Header=BB299_14 Depth=1
	s_or_b64 exec, exec, s[50:51]
.LBB299_238:                            ;   in Loop: Header=BB299_14 Depth=1
	s_or_b64 exec, exec, s[48:49]
.LBB299_239:                            ;   in Loop: Header=BB299_14 Depth=1
	s_or_b64 exec, exec, s[46:47]
	v_lshrrev_b16_e32 v12, 8, v10
	v_cmp_ne_u16_e64 s[4:5], 0, v12
	s_and_saveexec_b64 s[46:47], s[4:5]
	s_cbranch_execz .LBB299_245
; %bb.240:                              ;   in Loop: Header=BB299_14 Depth=1
	v_cmp_ne_u16_e64 s[4:5], s60, v12
	v_bfrev_b32_e32 v64, 1
	s_and_saveexec_b64 s[48:49], s[4:5]
	s_cbranch_execz .LBB299_244
; %bb.241:                              ;   in Loop: Header=BB299_14 Depth=1
	v_and_b32_e32 v11, 0x7f, v12
	v_cmp_ne_u32_e64 s[4:5], s61, v11
	v_mov_b32_e32 v64, 0x7fc02000
	s_and_saveexec_b64 s[50:51], s[4:5]
	s_cbranch_execz .LBB299_243
; %bb.242:                              ;   in Loop: Header=BB299_14 Depth=1
	v_and_b32_e32 v14, 7, v12
	v_ffbh_u32_e32 v66, v14
	v_min_u32_e32 v68, 32, v66
	v_subrev_u32_e32 v66, 28, v68
	v_lshlrev_b64 v[66:67], v66, v[12:13]
	v_lshrrev_b32_e32 v64, 3, v11
	v_sub_u32_e32 v67, 29, v68
	v_cmp_gt_u32_e64 s[4:5], 8, v11
	v_cndmask_b32_e64 v11, v64, v67, s[4:5]
	v_and_b32_e32 v66, 7, v66
	v_lshlrev_b32_e32 v12, 8, v12
	v_lshl_add_u32 v11, v11, 10, v24
	v_cndmask_b32_e64 v14, v14, v66, s[4:5]
	v_and_or_b32 v11, v12, s62, v11
	v_lshl_or_b32 v11, v14, 7, v11
	v_cvt_f32_f16_e32 v64, v11
.LBB299_243:                            ;   in Loop: Header=BB299_14 Depth=1
	s_or_b64 exec, exec, s[50:51]
.LBB299_244:                            ;   in Loop: Header=BB299_14 Depth=1
	s_or_b64 exec, exec, s[48:49]
.LBB299_245:                            ;   in Loop: Header=BB299_14 Depth=1
	s_or_b64 exec, exec, s[46:47]
	v_lshrrev_b32_e32 v12, 16, v10
	v_cmp_ne_u16_sdwa s[4:5], v12, v17 src0_sel:BYTE_0 src1_sel:DWORD
	v_mov_b32_e32 v66, 0
	v_mov_b32_e32 v67, 0
	s_and_saveexec_b64 s[46:47], s[4:5]
	s_cbranch_execz .LBB299_251
; %bb.246:                              ;   in Loop: Header=BB299_14 Depth=1
	v_cmp_ne_u16_sdwa s[4:5], v12, s60 src0_sel:BYTE_0 src1_sel:DWORD
	v_bfrev_b32_e32 v67, 1
	s_and_saveexec_b64 s[48:49], s[4:5]
	s_cbranch_execz .LBB299_250
; %bb.247:                              ;   in Loop: Header=BB299_14 Depth=1
	v_bfe_u32 v11, v10, 16, 7
	v_cmp_ne_u32_e64 s[4:5], s61, v11
	v_mov_b32_e32 v67, 0x7fc02000
	s_and_saveexec_b64 s[50:51], s[4:5]
	s_cbranch_execz .LBB299_249
; %bb.248:                              ;   in Loop: Header=BB299_14 Depth=1
	v_and_b32_e32 v14, 7, v12
	v_ffbh_u32_e32 v68, v14
	v_min_u32_e32 v70, 32, v68
	v_subrev_u32_e32 v68, 28, v70
	v_lshlrev_b64 v[68:69], v68, v[12:13]
	v_lshrrev_b32_e32 v67, 3, v11
	v_sub_u32_e32 v69, 29, v70
	v_cmp_gt_u32_e64 s[4:5], 8, v11
	v_cndmask_b32_e64 v11, v67, v69, s[4:5]
	v_and_b32_e32 v68, 7, v68
	v_lshlrev_b32_e32 v12, 8, v12
	v_lshl_add_u32 v11, v11, 10, v24
	v_cndmask_b32_e64 v14, v14, v68, s[4:5]
	v_and_or_b32 v11, v12, s62, v11
	v_lshl_or_b32 v11, v14, 7, v11
	v_cvt_f32_f16_e32 v67, v11
.LBB299_249:                            ;   in Loop: Header=BB299_14 Depth=1
	s_or_b64 exec, exec, s[50:51]
.LBB299_250:                            ;   in Loop: Header=BB299_14 Depth=1
	s_or_b64 exec, exec, s[48:49]
.LBB299_251:                            ;   in Loop: Header=BB299_14 Depth=1
	s_or_b64 exec, exec, s[46:47]
	v_cmp_lt_u32_e64 s[4:5], s63, v10
	s_and_saveexec_b64 s[46:47], s[4:5]
	s_cbranch_execz .LBB299_257
; %bb.252:                              ;   in Loop: Header=BB299_14 Depth=1
	v_lshrrev_b32_e32 v10, 24, v10
	v_cmp_ne_u32_e64 s[4:5], s60, v10
	v_bfrev_b32_e32 v66, 1
	s_and_saveexec_b64 s[48:49], s[4:5]
	s_cbranch_execz .LBB299_256
; %bb.253:                              ;   in Loop: Header=BB299_14 Depth=1
	v_and_b32_e32 v11, 0x7f, v10
	v_cmp_ne_u32_e64 s[4:5], s61, v11
	v_mov_b32_e32 v66, 0x7fc02000
	s_and_saveexec_b64 s[50:51], s[4:5]
	s_cbranch_execz .LBB299_255
; %bb.254:                              ;   in Loop: Header=BB299_14 Depth=1
	v_and_b32_e32 v12, 7, v10
	v_ffbh_u32_e32 v66, v12
	v_min_u32_e32 v66, 32, v66
	v_lshrrev_b32_e32 v14, 3, v11
	v_subrev_u32_e32 v68, 28, v66
	v_sub_u32_e32 v66, 29, v66
	v_cmp_gt_u32_e64 s[4:5], 8, v11
	v_lshlrev_b64 v[68:69], v68, v[10:11]
	v_cndmask_b32_e64 v11, v14, v66, s[4:5]
	v_and_b32_e32 v68, 7, v68
	v_lshlrev_b32_e32 v10, 8, v10
	v_lshl_add_u32 v11, v11, 10, v24
	v_cndmask_b32_e64 v12, v12, v68, s[4:5]
	v_and_or_b32 v10, v10, s62, v11
	v_lshl_or_b32 v10, v12, 7, v10
	v_cvt_f32_f16_e32 v66, v10
.LBB299_255:                            ;   in Loop: Header=BB299_14 Depth=1
	s_or_b64 exec, exec, s[50:51]
.LBB299_256:                            ;   in Loop: Header=BB299_14 Depth=1
	s_or_b64 exec, exec, s[48:49]
.LBB299_257:                            ;   in Loop: Header=BB299_14 Depth=1
	s_or_b64 exec, exec, s[46:47]
	v_fma_mixlo_f16 v12, v27, v60, 0
	v_fma_mixlo_f16 v14, v27, v61, 0
	;; [unrolled: 1-line block ×4, first 2 shown]
	ds_read_b64 v[32:33], v18
	v_fma_mixlo_f16 v28, v27, v28, 0
	v_fma_mixlo_f16 v10, v27, v62, 0
	;; [unrolled: 1-line block ×3, first 2 shown]
	v_and_b32_e32 v28, 0xffff, v28
	s_waitcnt lgkmcnt(0)
	v_lshrrev_b32_e32 v62, 16, v32
	v_and_b32_e32 v32, 0xffff, v32
	v_fma_mixlo_f16 v11, v27, v63, 0
	v_fma_mixlo_f16 v31, v27, v31, 0
	;;#ASMSTART
	v_cvt_f32_f16 v32, v32;
	;;#ASMEND
	;;#ASMSTART
	v_cvt_f32_f16 v62, v62;
	;;#ASMEND
	v_and_b32_e32 v29, 0xffff, v29
	;;#ASMSTART
	v_cvt_f32_f16 v63, v29;
	;;#ASMEND
	;;#ASMSTART
	v_cvt_f32_f16 v68, v28;
	;;#ASMEND
	v_lshrrev_b32_e32 v28, 16, v33
	v_fma_mixlo_f16 v30, v27, v30, 0
	v_and_b32_e32 v29, 0xffff, v33
	;;#ASMSTART
	v_cvt_f32_f16 v33, v29;
	;;#ASMEND
	;;#ASMSTART
	v_cvt_f32_f16 v69, v28;
	;;#ASMEND
	v_and_b32_e32 v28, 0xffff, v31
	;;#ASMSTART
	v_cvt_f32_f16 v31, v28;
	;;#ASMEND
	v_and_b32_e32 v28, 0xffff, v30
	;;#ASMSTART
	v_cvt_f32_f16 v30, v28;
	;;#ASMEND
	ds_read_b64 v[28:29], v18 offset:8
	v_fma_mixlo_f16 v56, v27, v56, 0
	v_fma_mixlo_f16 v57, v27, v57, 0
	;; [unrolled: 1-line block ×30, first 2 shown]
	s_waitcnt lgkmcnt(0)
	v_lshrrev_b32_e32 v66, 16, v28
	v_and_b32_e32 v28, 0xffff, v28
	v_and_b32_e32 v61, 0xffff, v61
	;;#ASMSTART
	v_cvt_f32_f16 v28, v28;
	;;#ASMEND
	;;#ASMSTART
	v_cvt_f32_f16 v66, v66;
	;;#ASMEND
	;; [unrolled: 3-line block ×3, first 2 shown]
	v_and_b32_e32 v60, 0xffff, v60
	v_mul_f32_e32 v61, v28, v61
	;;#ASMSTART
	v_cvt_f32_f16 v60, v60;
	;;#ASMEND
	v_fmac_f32_e32 v61, v32, v63
	v_mul_f32_e32 v32, v66, v60
	v_lshrrev_b32_e32 v28, 16, v29
	v_fmac_f32_e32 v32, v62, v68
	v_and_b32_e32 v29, 0xffff, v29
	;;#ASMSTART
	v_cvt_f32_f16 v60, v29;
	;;#ASMEND
	;;#ASMSTART
	v_cvt_f32_f16 v62, v28;
	;;#ASMEND
	v_and_b32_e32 v28, 0xffff, v35
	;;#ASMSTART
	v_cvt_f32_f16 v35, v28;
	;;#ASMEND
	v_and_b32_e32 v28, 0xffff, v34
	;;#ASMSTART
	v_cvt_f32_f16 v34, v28;
	;;#ASMEND
	ds_read_b64 v[28:29], v18 offset:16
	v_mul_f32_e32 v35, v60, v35
	v_fmac_f32_e32 v35, v33, v31
	v_mul_f32_e32 v31, v62, v34
	v_fmac_f32_e32 v31, v69, v30
	s_waitcnt lgkmcnt(0)
	v_lshrrev_b32_e32 v30, 16, v28
	v_and_b32_e32 v28, 0xffff, v28
	;;#ASMSTART
	v_cvt_f32_f16 v33, v28;
	;;#ASMEND
	v_and_b32_e32 v28, 0xffff, v37
	;;#ASMSTART
	v_cvt_f32_f16 v30, v30;
	;;#ASMEND
	;;#ASMSTART
	v_cvt_f32_f16 v34, v28;
	;;#ASMEND
	v_and_b32_e32 v28, 0xffff, v36
	;;#ASMSTART
	v_cvt_f32_f16 v36, v28;
	;;#ASMEND
	v_lshrrev_b32_e32 v28, 16, v29
	v_and_b32_e32 v29, 0xffff, v29
	;;#ASMSTART
	v_cvt_f32_f16 v37, v29;
	;;#ASMEND
	;;#ASMSTART
	v_cvt_f32_f16 v60, v28;
	;;#ASMEND
	v_and_b32_e32 v28, 0xffff, v39
	;;#ASMSTART
	v_cvt_f32_f16 v39, v28;
	;;#ASMEND
	v_and_b32_e32 v28, 0xffff, v38
	;;#ASMSTART
	v_cvt_f32_f16 v38, v28;
	;;#ASMEND
	ds_read_b64 v[28:29], v18 offset:24
	v_fmac_f32_e32 v32, v30, v36
	v_fmac_f32_e32 v61, v33, v34
	v_fmac_f32_e32 v35, v37, v39
	v_fmac_f32_e32 v31, v60, v38
	s_waitcnt lgkmcnt(0)
	v_lshrrev_b32_e32 v30, 16, v28
	v_and_b32_e32 v28, 0xffff, v28
	;;#ASMSTART
	v_cvt_f32_f16 v33, v28;
	;;#ASMEND
	v_and_b32_e32 v28, 0xffff, v41
	;;#ASMSTART
	v_cvt_f32_f16 v30, v30;
	;;#ASMEND
	;;#ASMSTART
	v_cvt_f32_f16 v34, v28;
	;;#ASMEND
	v_and_b32_e32 v28, 0xffff, v40
	;;#ASMSTART
	v_cvt_f32_f16 v36, v28;
	;;#ASMEND
	v_lshrrev_b32_e32 v28, 16, v29
	v_and_b32_e32 v29, 0xffff, v29
	;;#ASMSTART
	v_cvt_f32_f16 v37, v29;
	;;#ASMEND
	;;#ASMSTART
	v_cvt_f32_f16 v38, v28;
	;;#ASMEND
	v_and_b32_e32 v28, 0xffff, v43
	;;#ASMSTART
	v_cvt_f32_f16 v39, v28;
	;;#ASMEND
	v_and_b32_e32 v28, 0xffff, v42
	;;#ASMSTART
	v_cvt_f32_f16 v40, v28;
	;;#ASMEND
	ds_read_b64 v[28:29], v18 offset:32
	v_fmac_f32_e32 v32, v30, v36
	v_fmac_f32_e32 v61, v33, v34
	v_fmac_f32_e32 v35, v37, v39
	;; [unrolled: 38-line block ×5, first 2 shown]
	v_fmac_f32_e32 v31, v38, v40
	s_waitcnt lgkmcnt(0)
	v_lshrrev_b32_e32 v30, 16, v28
	v_and_b32_e32 v28, 0xffff, v28
	;;#ASMSTART
	v_cvt_f32_f16 v33, v28;
	;;#ASMEND
	v_and_b32_e32 v28, 0xffff, v57
	;;#ASMSTART
	v_cvt_f32_f16 v30, v30;
	;;#ASMEND
	;;#ASMSTART
	v_cvt_f32_f16 v34, v28;
	;;#ASMEND
	v_and_b32_e32 v28, 0xffff, v56
	;;#ASMSTART
	v_cvt_f32_f16 v36, v28;
	;;#ASMEND
	v_lshrrev_b32_e32 v28, 16, v29
	v_and_b32_e32 v29, 0xffff, v29
	;;#ASMSTART
	v_cvt_f32_f16 v37, v29;
	;;#ASMEND
	;;#ASMSTART
	v_cvt_f32_f16 v38, v28;
	;;#ASMEND
	v_and_b32_e32 v28, 0xffff, v59
	;;#ASMSTART
	v_cvt_f32_f16 v39, v28;
	;;#ASMEND
	v_and_b32_e32 v28, 0xffff, v58
	;;#ASMSTART
	v_cvt_f32_f16 v40, v28;
	;;#ASMEND
	ds_read_b64 v[28:29], v18 offset:64
	v_fmac_f32_e32 v61, v33, v34
	v_fmac_f32_e32 v32, v30, v36
	v_and_b32_e32 v14, 0xffff, v14
	v_and_b32_e32 v12, 0xffff, v12
	s_waitcnt lgkmcnt(0)
	v_lshrrev_b32_e32 v30, 16, v28
	v_and_b32_e32 v28, 0xffff, v28
	v_lshrrev_b32_e32 v33, 16, v29
	v_and_b32_e32 v29, 0xffff, v29
	v_and_b32_e32 v11, 0xffff, v11
	;; [unrolled: 1-line block ×3, first 2 shown]
	;;#ASMSTART
	v_cvt_f32_f16 v28, v28;
	;;#ASMEND
	;;#ASMSTART
	v_cvt_f32_f16 v30, v30;
	;;#ASMEND
	;; [unrolled: 3-line block ×8, first 2 shown]
	ds_read_b64 v[10:11], v18 offset:72
	v_fmac_f32_e32 v32, v30, v12
	v_fmac_f32_e32 v61, v28, v14
	v_and_b32_e32 v14, 0xffff, v65
	v_and_b32_e32 v28, 0xffff, v64
	s_waitcnt lgkmcnt(0)
	v_lshrrev_b32_e32 v12, 16, v10
	v_and_b32_e32 v10, 0xffff, v10
	;;#ASMSTART
	v_cvt_f32_f16 v10, v10;
	;;#ASMEND
	;;#ASMSTART
	v_cvt_f32_f16 v12, v12;
	;;#ASMEND
	v_fmac_f32_e32 v35, v37, v39
	;;#ASMSTART
	v_cvt_f32_f16 v14, v14;
	;;#ASMEND
	;;#ASMSTART
	v_cvt_f32_f16 v28, v28;
	;;#ASMEND
	v_fmac_f32_e32 v61, v10, v14
	v_fmac_f32_e32 v32, v12, v28
	v_lshrrev_b32_e32 v10, 16, v11
	v_and_b32_e32 v11, 0xffff, v11
	v_and_b32_e32 v12, 0xffff, v67
	v_fmac_f32_e32 v35, v29, v34
	;;#ASMSTART
	v_cvt_f32_f16 v11, v11;
	;;#ASMEND
	;;#ASMSTART
	v_cvt_f32_f16 v10, v10;
	;;#ASMEND
	;; [unrolled: 3-line block ×3, first 2 shown]
	v_fmac_f32_e32 v31, v38, v40
	v_fmac_f32_e32 v35, v11, v12
	v_and_b32_e32 v12, 64, v25
	v_fmac_f32_e32 v31, v33, v36
	v_and_b32_e32 v14, 0xffff, v27
	v_xor_b32_e32 v11, 1, v25
	v_add_u32_e32 v12, 64, v12
	;;#ASMSTART
	v_cvt_f32_f16 v14, v14;
	;;#ASMEND
	v_fmac_f32_e32 v31, v10, v14
	v_add_f32_e32 v10, v61, v32
	v_cmp_lt_i32_e64 s[4:5], v11, v12
	v_add_f32_e32 v10, v10, v35
	v_cndmask_b32_e64 v11, v25, v11, s[4:5]
	v_add_f32_e32 v10, v31, v10
	v_lshlrev_b32_e32 v11, 2, v11
	ds_bpermute_b32 v11, v11, v10
	s_and_saveexec_b64 s[46:47], vcc
	s_cbranch_execz .LBB299_12
; %bb.258:                              ;   in Loop: Header=BB299_14 Depth=1
	v_add_u32_e32 v12, v23, v21
	v_cvt_f32_i32_e32 v12, v12
	s_waitcnt lgkmcnt(0)
	v_add_f32_e32 v10, v10, v11
	v_add_u32_e32 v14, v16, v21
	v_cmp_gt_i32_e64 s[4:5], s33, v14
	v_mul_f32_e32 v11, s56, v12
	v_cndmask_b32_e64 v11, 0, v11, s[2:3]
	v_fmac_f32_e32 v11, s43, v10
	v_cndmask_b32_e64 v10, 0, v11, s[4:5]
	ds_write_b32 v22, v10
	v_max_f32_e32 v10, v20, v20
	v_max_f32_e32 v10, v10, v11
	v_cndmask_b32_e64 v20, v20, v10, s[4:5]
	s_branch .LBB299_12
.LBB299_259:
	s_or_b64 exec, exec, s[44:45]
.LBB299_260:
	s_or_b64 exec, exec, s[14:15]
	v_mbcnt_hi_u32_b32 v4, -1, v5
	v_and_b32_e32 v2, 64, v4
	v_add_u32_e32 v12, 64, v2
	v_xor_b32_e32 v2, 32, v4
	v_cmp_lt_i32_e32 vcc, v2, v12
	v_cndmask_b32_e32 v2, v4, v2, vcc
	v_lshlrev_b32_e32 v2, 2, v2
	ds_bpermute_b32 v3, v2, v20
	v_xor_b32_e32 v6, 16, v4
	v_max_f32_e32 v5, v20, v20
	v_cmp_lt_i32_e32 vcc, v6, v12
	v_xor_b32_e32 v7, 8, v4
	s_waitcnt lgkmcnt(0)
	v_max_f32_e32 v3, v3, v3
	v_max_f32_e32 v5, v5, v3
	v_cndmask_b32_e32 v3, v4, v6, vcc
	v_lshlrev_b32_e32 v3, 2, v3
	ds_bpermute_b32 v6, v3, v5
	v_cmp_lt_i32_e32 vcc, v7, v12
	v_xor_b32_e32 v10, 4, v4
	v_xor_b32_e32 v14, 2, v4
	v_and_b32_e32 v19, 63, v0
	s_waitcnt lgkmcnt(0)
	v_max_f32_e32 v6, v6, v6
	v_max_f32_e32 v6, v5, v6
	v_cndmask_b32_e32 v5, v4, v7, vcc
	v_lshlrev_b32_e32 v5, 2, v5
	ds_bpermute_b32 v7, v5, v6
	v_cmp_lt_i32_e32 vcc, v10, v12
	s_waitcnt lgkmcnt(0)
	v_max_f32_e32 v7, v7, v7
	v_max_f32_e32 v7, v6, v7
	v_cndmask_b32_e32 v6, v4, v10, vcc
	v_lshlrev_b32_e32 v6, 2, v6
	ds_bpermute_b32 v10, v6, v7
	v_cmp_lt_i32_e32 vcc, v14, v12
	s_waitcnt lgkmcnt(0)
	v_max_f32_e32 v10, v10, v10
	v_max_f32_e32 v11, v7, v10
	v_cndmask_b32_e32 v7, v4, v14, vcc
	v_lshlrev_b32_e32 v7, 2, v7
	ds_bpermute_b32 v14, v7, v11
	v_cmp_eq_u32_e32 vcc, 0, v19
	v_lshlrev_b32_e32 v10, 2, v15
	s_and_saveexec_b64 s[2:3], vcc
	s_cbranch_execz .LBB299_262
; %bb.261:
	s_waitcnt lgkmcnt(0)
	v_max_f32_e32 v14, v14, v14
	v_max_f32_e32 v11, v11, v11
	;; [unrolled: 1-line block ×3, first 2 shown]
	ds_write_b32 v10, v11 offset:160
.LBB299_262:
	s_or_b64 exec, exec, s[2:3]
	v_cmp_gt_u32_e64 s[2:3], 2, v19
	s_waitcnt lgkmcnt(0)
	v_mov_b32_e32 v14, 0xff7fffff
	v_lshlrev_b32_e32 v11, 2, v19
	s_barrier
	s_and_saveexec_b64 s[4:5], s[2:3]
	s_cbranch_execz .LBB299_264
; %bb.263:
	ds_read_b32 v14, v11 offset:160
.LBB299_264:
	s_or_b64 exec, exec, s[4:5]
	v_xor_b32_e32 v16, 1, v4
	v_cmp_lt_i32_e64 s[4:5], v16, v12
	v_cndmask_b32_e64 v12, v4, v16, s[4:5]
	v_lshlrev_b32_e32 v26, 2, v12
	s_waitcnt lgkmcnt(0)
	ds_bpermute_b32 v12, v26, v14
	v_max_f32_e32 v14, v14, v14
	v_lshlrev_b32_e32 v4, 2, v4
	s_sub_i32 s4, s53, s12
	s_lshl_b32 s4, s4, 5
	s_waitcnt lgkmcnt(0)
	v_max_f32_e32 v12, v12, v12
	v_max_f32_e32 v14, v14, v12
	v_and_b32_e32 v12, 0x100, v4
	ds_bpermute_b32 v4, v12, v14
	s_add_i32 s4, s4, s55
	s_min_i32 s43, s4, s33
	s_sub_i32 s12, s43, s55
	v_cmp_gt_i32_e64 s[4:5], s12, v0
	v_mov_b32_e32 v14, 0
	s_and_saveexec_b64 s[14:15], s[4:5]
	s_cbranch_execz .LBB299_268
; %bb.265:
	v_mov_b32_e32 v14, 0xb0
	v_lshl_add_u32 v16, v0, 2, v14
	s_mov_b64 s[16:17], 0
	v_mov_b32_e32 v14, 0
	v_mov_b32_e32 v17, v0
.LBB299_266:                            ; =>This Inner Loop Header: Depth=1
	ds_read_b32 v18, v16
	v_add_u32_e32 v17, 0x80, v17
	v_cmp_le_i32_e64 s[10:11], s12, v17
	s_or_b64 s[16:17], s[10:11], s[16:17]
	s_waitcnt lgkmcnt(0)
	v_sub_f32_e32 v18, v18, v4
	v_mul_f32_e32 v18, 0x3fb8aa3b, v18
	v_exp_f32_e32 v18, v18
	ds_write_b32 v16, v18
	v_add_f32_e32 v14, v14, v18
	v_add_u32_e32 v16, 0x200, v16
	s_andn2_b64 exec, exec, s[16:17]
	s_cbranch_execnz .LBB299_266
; %bb.267:
	s_or_b64 exec, exec, s[16:17]
.LBB299_268:
	s_or_b64 exec, exec, s[14:15]
	ds_bpermute_b32 v2, v2, v14
	s_waitcnt lgkmcnt(0)
	v_add_f32_e32 v2, v14, v2
	ds_bpermute_b32 v3, v3, v2
	s_waitcnt lgkmcnt(0)
	v_add_f32_e32 v2, v2, v3
	;; [unrolled: 3-line block ×6, first 2 shown]
	s_and_saveexec_b64 s[10:11], vcc
	s_cbranch_execz .LBB299_270
; %bb.269:
	ds_write_b32 v10, v2 offset:168
.LBB299_270:
	s_or_b64 exec, exec, s[10:11]
	s_waitcnt lgkmcnt(0)
	s_barrier
	s_and_saveexec_b64 s[10:11], s[2:3]
	s_cbranch_execz .LBB299_272
; %bb.271:
	ds_read_b32 v2, v11 offset:168
.LBB299_272:
	s_or_b64 exec, exec, s[10:11]
	s_waitcnt lgkmcnt(0)
	ds_bpermute_b32 v3, v26, v2
	s_waitcnt lgkmcnt(0)
	v_add_f32_e32 v2, v2, v3
	ds_bpermute_b32 v5, v12, v2
	s_and_saveexec_b64 s[2:3], s[4:5]
	s_cbranch_execz .LBB299_285
; %bb.273:
	s_waitcnt lgkmcnt(0)
	v_add_f32_e32 v2, 0x358637bd, v5
	v_div_scale_f32 v3, s[4:5], v2, v2, 1.0
	v_rcp_f32_e32 v6, v3
	v_div_scale_f32 v10, vcc, 1.0, v2, 1.0
	s_movk_i32 s4, 0x7f
	v_fma_f32 v11, -v3, v6, 1.0
	v_fmac_f32_e32 v6, v11, v6
	v_mul_f32_e32 v11, v10, v6
	v_fma_f32 v12, -v3, v11, v10
	v_fmac_f32_e32 v11, v12, v6
	v_fma_f32 v3, -v3, v11, v10
	v_div_fmas_f32 v3, v3, v6, v11
	v_div_fixup_f32 v2, v3, v2, 1.0
	v_xad_u32 v3, v0, -1, s43
	v_subrev_u32_e32 v6, s55, v3
	v_cmp_lt_u32_e32 vcc, s4, v6
	s_mov_b64 s[10:11], -1
	v_mov_b32_e32 v3, v0
	s_and_saveexec_b64 s[4:5], vcc
	s_cbranch_execz .LBB299_282
; %bb.274:
	v_lshrrev_b32_e32 v6, 7, v6
	v_add_u32_e32 v11, -1, v6
	v_lshrrev_b32_e32 v10, 1, v11
	v_mov_b32_e32 v3, v2
	v_add_u32_e32 v10, 1, v10
	v_cmp_lt_u32_e32 vcc, 13, v11
	v_mov_b32_e32 v14, 0
	s_and_saveexec_b64 s[10:11], vcc
	s_cbranch_execz .LBB299_278
; %bb.275:
	v_mov_b32_e32 v12, 0xb0
	v_and_b32_e32 v11, -8, v10
	v_lshl_add_u32 v12, v0, 2, v12
	s_mov_b32 s16, 0
	s_mov_b64 s[14:15], 0
.LBB299_276:                            ; =>This Inner Loop Header: Depth=1
	ds_read2st64_b32 v[16:17], v12 offset1:2
	ds_read2st64_b32 v[20:21], v12 offset0:4 offset1:6
	ds_read2st64_b32 v[22:23], v12 offset0:8 offset1:10
	;; [unrolled: 1-line block ×3, first 2 shown]
	v_add_u32_e32 v11, -8, v11
	s_waitcnt lgkmcnt(3)
	v_pk_mul_f32 v[16:17], v[2:3], v[16:17]
	s_waitcnt lgkmcnt(2)
	v_pk_mul_f32 v[20:21], v[2:3], v[20:21]
	ds_write2st64_b32 v12, v16, v17 offset1:2
	ds_write2st64_b32 v12, v20, v21 offset0:4 offset1:6
	ds_read2st64_b32 v[20:21], v12 offset0:16 offset1:18
	s_waitcnt lgkmcnt(4)
	v_pk_mul_f32 v[16:17], v[2:3], v[22:23]
	ds_write2st64_b32 v12, v16, v17 offset0:8 offset1:10
	s_waitcnt lgkmcnt(4)
	v_pk_mul_f32 v[16:17], v[2:3], v[24:25]
	ds_write2st64_b32 v12, v16, v17 offset0:12 offset1:14
	ds_read2st64_b32 v[16:17], v12 offset0:20 offset1:22
	s_waitcnt lgkmcnt(3)
	v_pk_mul_f32 v[20:21], v[2:3], v[20:21]
	ds_read2st64_b32 v[22:23], v12 offset0:24 offset1:26
	ds_write2st64_b32 v12, v20, v21 offset0:16 offset1:18
	ds_read2st64_b32 v[20:21], v12 offset0:28 offset1:30
	s_waitcnt lgkmcnt(3)
	v_pk_mul_f32 v[16:17], v[2:3], v[16:17]
	ds_write2st64_b32 v12, v16, v17 offset0:20 offset1:22
	s_waitcnt lgkmcnt(3)
	v_pk_mul_f32 v[16:17], v[2:3], v[22:23]
	ds_write2st64_b32 v12, v16, v17 offset0:24 offset1:26
	s_waitcnt lgkmcnt(2)
	v_pk_mul_f32 v[16:17], v[2:3], v[20:21]
	s_add_i32 s16, s16, 16
	v_cmp_eq_u32_e32 vcc, 0, v11
	ds_write2st64_b32 v12, v16, v17 offset0:28 offset1:30
	v_add_u32_e32 v12, 0x2000, v12
	s_or_b64 s[14:15], vcc, s[14:15]
	v_mov_b32_e32 v14, s16
	s_andn2_b64 exec, exec, s[14:15]
	s_cbranch_execnz .LBB299_276
; %bb.277:
	s_or_b64 exec, exec, s[14:15]
.LBB299_278:
	s_or_b64 exec, exec, s[10:11]
	v_and_b32_e32 v10, 7, v10
	v_cmp_ne_u32_e32 vcc, 0, v10
	s_and_saveexec_b64 s[10:11], vcc
	s_cbranch_execz .LBB299_281
; %bb.279:
	v_lshlrev_b32_e32 v11, 9, v14
	v_lshlrev_b32_e32 v12, 2, v0
	s_movk_i32 s14, 0xb0
	v_add3_u32 v11, v11, v12, s14
	s_mov_b64 s[14:15], 0
.LBB299_280:                            ; =>This Inner Loop Header: Depth=1
	ds_read2st64_b32 v[16:17], v11 offset1:2
	v_add_u32_e32 v10, -1, v10
	v_cmp_eq_u32_e32 vcc, 0, v10
	s_or_b64 s[14:15], vcc, s[14:15]
	s_waitcnt lgkmcnt(0)
	v_pk_mul_f32 v[16:17], v[2:3], v[16:17]
	ds_write2st64_b32 v11, v16, v17 offset1:2
	v_add_u32_e32 v11, 0x400, v11
	s_andn2_b64 exec, exec, s[14:15]
	s_cbranch_execnz .LBB299_280
.LBB299_281:
	s_or_b64 exec, exec, s[10:11]
	v_add_u32_e32 v6, 1, v6
	v_and_b32_e32 v10, 0x3fffffe, v6
	v_cmp_ne_u32_e32 vcc, v6, v10
	v_lshl_add_u32 v3, v10, 7, v0
	s_orn2_b64 s[10:11], vcc, exec
.LBB299_282:
	s_or_b64 exec, exec, s[4:5]
	s_and_b64 exec, exec, s[10:11]
	s_cbranch_execz .LBB299_285
; %bb.283:
	v_mov_b32_e32 v6, 0xb0
	v_lshl_add_u32 v6, v3, 2, v6
	s_mov_b64 s[4:5], 0
.LBB299_284:                            ; =>This Inner Loop Header: Depth=1
	ds_read_b32 v10, v6
	v_add_u32_e32 v3, 0x80, v3
	v_cmp_le_i32_e32 vcc, s12, v3
	s_or_b64 s[4:5], vcc, s[4:5]
	s_waitcnt lgkmcnt(0)
	v_mul_f32_e32 v10, v2, v10
	ds_write_b32 v6, v10
	v_add_u32_e32 v6, 0x200, v6
	s_andn2_b64 exec, exec, s[4:5]
	s_cbranch_execnz .LBB299_284
.LBB299_285:
	s_or_b64 exec, exec, s[2:3]
	s_mul_i32 s2, s23, s34
	v_cmp_eq_u32_e32 vcc, 0, v0
	s_mul_i32 s2, s2, s9
	s_waitcnt lgkmcnt(0)
	s_barrier
	s_and_saveexec_b64 s[4:5], vcc
	s_cbranch_execz .LBB299_287
; %bb.286:
	s_ashr_i32 s3, s2, 31
	s_lshl_b64 s[10:11], s[2:3], 2
	s_add_u32 s3, s26, s10
	s_mul_i32 s14, s23, s6
	s_addc_u32 s9, s27, s11
	s_ashr_i32 s15, s14, 31
	s_lshl_b64 s[14:15], s[14:15], 2
	s_add_u32 s3, s3, s14
	s_addc_u32 s6, s9, s15
	s_ashr_i32 s9, s8, 31
	s_lshl_b64 s[16:17], s[8:9], 2
	s_add_u32 s26, s3, s16
	s_addc_u32 s27, s6, s17
	s_add_u32 s3, s24, s10
	s_addc_u32 s6, s25, s11
	;; [unrolled: 2-line block ×3, first 2 shown]
	s_add_u32 s10, s3, s16
	v_mov_b32_e32 v2, 0
	s_addc_u32 s11, s6, s17
	global_store_dword v2, v4, s[26:27]
	global_store_dword v2, v5, s[10:11]
.LBB299_287:
	s_or_b64 exec, exec, s[4:5]
	s_mov_b32 s12, 0
	v_mov_b32_e32 v6, 0
	v_and_b32_e32 v27, 3, v0
	v_mov_b32_e32 v5, 0
	v_mov_b32_e32 v4, 0
	;; [unrolled: 1-line block ×4, first 2 shown]
	s_and_saveexec_b64 s[4:5], s[0:1]
	s_cbranch_execz .LBB299_543
; %bb.288:
	s_sub_i32 s3, s7, s21
	s_ashr_i32 s0, s54, 31
	s_add_u32 s1, s40, s54
	s_addc_u32 s0, s41, s0
	s_abs_i32 s9, s22
	v_cvt_f32_u32_e32 v2, s9
	s_sub_i32 s10, 0, s9
	v_and_b32_e32 v3, 0x1f8, v13
	s_add_i32 s24, s20, -1
	v_rcp_iflag_f32_e32 v2, v2
	v_add_co_u32_e32 v10, vcc, s1, v3
	v_and_b32_e32 v28, 24, v13
	v_mul_f32_e32 v2, 0x4f7ffffe, v2
	v_cvt_u32_f32_e32 v2, v2
	s_mov_b32 s22, s13
	s_mov_b32 s6, -1
	s_mov_b32 s13, s12
	v_mul_lo_u32 v4, s10, v2
	v_mul_hi_u32 v4, v2, v4
	v_add_u32_e32 v29, v2, v4
	v_mov_b32_e32 v2, s0
	s_lshl_b64 s[0:1], s[38:39], 2
	v_addc_co_u32_e32 v11, vcc, 0, v2, vcc
	v_lshlrev_b64 v[2:3], 2, v[8:9]
	s_add_u32 s0, s36, s0
	s_addc_u32 s1, s37, s1
	v_add_co_u32_e32 v12, vcc, s0, v2
	v_lshlrev_b32_e32 v2, 5, v27
	v_mov_b32_e32 v4, s1
	v_lshl_or_b32 v2, v15, 7, v2
	v_addc_co_u32_e32 v13, vcc, v4, v3, vcc
	v_add_u32_e32 v9, 0xb0, v2
	s_mov_b32 s14, s12
	s_mov_b32 s15, s12
	;; [unrolled: 1-line block ×3, first 2 shown]
	v_mov_b32_e32 v2, s12
	s_mov_b32 s7, 0xffffff
	s_mov_b32 s25, s33
	s_mov_b64 s[10:11], 0
	v_mov_b32_e32 v3, s13
	v_mov_b32_e32 v4, s14
	;; [unrolled: 1-line block ×5, first 2 shown]
	s_movk_i32 s26, 0x80
	s_movk_i32 s27, 0x7f
	s_mov_b32 s34, 0x8000
	s_movk_i32 s36, 0x380
	s_mov_b32 s37, 0x3020706
	s_mov_b32 s38, 0x1000504
	;; [unrolled: 1-line block ×3, first 2 shown]
	v_mov_b32_e32 v30, 0x2000
	s_branch .LBB299_291
.LBB299_289:                            ;   in Loop: Header=BB299_291 Depth=1
	s_or_b64 exec, exec, s[0:1]
	;;#ASMSTART
	v_pk_mul_f16 v17, v42, v17;

	;;#ASMEND
	;;#ASMSTART
	v_pk_mul_f16 v14, v41, v14;

	;;#ASMEND
	;; [unrolled: 4-line block ×4, first 2 shown]
	;;#ASMSTART
	v_pk_add_f16 v14, v17, v14;

	;;#ASMEND
	;;#ASMSTART
	v_pk_add_f16 v14, v14, v16;

	;;#ASMEND
	v_add_f32_e32 v20, v43, v44
	;;#ASMSTART
	v_pk_add_f16 v14, v14, v18;

	;;#ASMEND
	v_add_f32_e32 v2, v2, v20
	v_add_f32_e32 v20, v45, v46
	v_lshrrev_b32_e32 v16, 16, v14
	v_and_b32_e32 v14, 0xffff, v14
	v_add_f32_e32 v3, v3, v20
	v_add_f32_e32 v20, v47, v48
	;;#ASMSTART
	v_cvt_f32_f16 v14, v14;
	;;#ASMEND
	v_add_f32_e32 v4, v4, v20
	v_add_f32_e32 v20, v24, v25
	;;#ASMSTART
	v_cvt_f32_f16 v16, v16;
	;;#ASMEND
	v_add_f32_e32 v14, v14, v16
	v_add_f32_e32 v5, v5, v20
	v_add_f32_e32 v6, v6, v14
.LBB299_290:                            ;   in Loop: Header=BB299_291 Depth=1
	s_or_b64 exec, exec, s[12:13]
	v_add_co_u32_e32 v12, vcc, 8, v12
	v_add_u32_e32 v8, 2, v8
	v_addc_co_u32_e32 v13, vcc, 0, v13, vcc
	v_cmp_le_i32_e32 vcc, s53, v8
	v_add_u32_e32 v1, 64, v1
	s_or_b64 s[10:11], vcc, s[10:11]
	v_add_u32_e32 v9, 0x100, v9
	s_andn2_b64 exec, exec, s[10:11]
	s_cbranch_execz .LBB299_542
.LBB299_291:                            ; =>This Inner Loop Header: Depth=1
	v_sub_u32_e32 v16, 0, v1
	v_max_i32_e32 v16, v1, v16
	v_mul_hi_u32 v17, v16, s35
	v_mul_lo_u32 v18, v17, s29
	v_sub_u32_e32 v16, v16, v18
	v_add_u32_e32 v18, 1, v17
	v_cmp_le_u32_e32 vcc, s29, v16
	v_cndmask_b32_e32 v17, v17, v18, vcc
	v_subrev_u32_e32 v18, s29, v16
	v_cndmask_b32_e32 v16, v16, v18, vcc
	v_ashrrev_i32_e32 v14, 31, v1
	v_add_u32_e32 v18, 1, v17
	v_cmp_le_u32_e32 vcc, s29, v16
	v_xor_b32_e32 v14, s52, v14
	v_cndmask_b32_e32 v16, v17, v18, vcc
	v_xor_b32_e32 v16, v16, v14
	v_sub_u32_e32 v14, v16, v14
	v_add_u32_e32 v16, s42, v14
	v_sub_u32_e32 v18, 0, v16
	v_ashrrev_i32_e32 v17, 31, v16
	v_max_i32_e32 v16, v16, v18
	v_mul_hi_u32 v18, v16, v29
	v_mul_lo_u32 v18, v18, s9
	v_sub_u32_e32 v16, v16, v18
	v_subrev_u32_e32 v18, s9, v16
	v_cmp_le_u32_e32 vcc, s9, v16
	v_cndmask_b32_e32 v16, v16, v18, vcc
	v_subrev_u32_e32 v18, s9, v16
	v_cmp_le_u32_e32 vcc, s9, v16
	v_cndmask_b32_e32 v16, v16, v18, vcc
	v_xor_b32_e32 v16, v16, v17
	v_sub_u32_e32 v16, v16, v17
	v_cmp_eq_u32_e32 vcc, 0, v16
	v_cmp_lt_i32_e64 s[0:1], s3, v14
	s_or_b64 s[0:1], vcc, s[0:1]
	s_and_saveexec_b64 s[12:13], s[0:1]
	s_cbranch_execz .LBB299_290
; %bb.292:                              ;   in Loop: Header=BB299_291 Depth=1
	global_load_dword v14, v[12:13], off
	ds_read2_b64 v[20:23], v9 offset1:1
	ds_read2_b64 v[32:35], v9 offset0:2 offset1:3
	s_waitcnt lgkmcnt(1)
	;;#ASMSTART
	v_cvt_f16_f32 v39, v20;

	;;#ASMEND
	;;#ASMSTART
	v_cvt_f16_f32 v40, v21;

	;;#ASMEND
	;; [unrolled: 4-line block ×4, first 2 shown]
	s_waitcnt lgkmcnt(0)
	;;#ASMSTART
	v_cvt_f16_f32 v44, v32;

	;;#ASMEND
	;;#ASMSTART
	v_cvt_f16_f32 v45, v33;

	;;#ASMEND
	;; [unrolled: 4-line block ×4, first 2 shown]
	v_mov_b32_e32 v22, 0
	v_mov_b32_e32 v20, 0
	s_waitcnt vmcnt(0)
	v_mad_i64_i32 v[16:17], s[0:1], v14, s22, v[10:11]
	global_load_dwordx2 v[24:25], v[16:17], off
	global_load_dword v18, v15, s[18:19]
	s_waitcnt vmcnt(1)
	v_cmp_ne_u16_sdwa s[14:15], v24, v15 src0_sel:BYTE_0 src1_sel:DWORD
	s_and_saveexec_b64 s[0:1], s[14:15]
	s_cbranch_execz .LBB299_298
; %bb.293:                              ;   in Loop: Header=BB299_291 Depth=1
	v_cmp_ne_u16_sdwa s[16:17], v24, s26 src0_sel:BYTE_0 src1_sel:DWORD
	v_bfrev_b32_e32 v20, 1
	s_and_saveexec_b64 s[14:15], s[16:17]
	s_cbranch_execz .LBB299_297
; %bb.294:                              ;   in Loop: Header=BB299_291 Depth=1
	v_and_b32_e32 v14, 0x7f, v24
	v_cmp_ne_u32_e32 vcc, s27, v14
	v_mov_b32_e32 v20, 0x7fc02000
	s_and_saveexec_b64 s[16:17], vcc
	s_cbranch_execz .LBB299_296
; %bb.295:                              ;   in Loop: Header=BB299_291 Depth=1
	v_and_b32_e32 v20, 7, v24
	v_ffbh_u32_e32 v20, v20
	v_min_u32_e32 v20, 32, v20
	v_subrev_u32_e32 v21, 28, v20
	v_cmp_gt_u32_e32 vcc, 8, v14
	v_lshrrev_b32_e32 v23, 3, v14
	v_sub_u32_e32 v31, 29, v20
	v_cndmask_b32_e32 v14, 0, v21, vcc
	v_lshlrev_b64 v[20:21], v14, v[24:25]
	v_cndmask_b32_e32 v14, v23, v31, vcc
	v_lshlrev_b32_e32 v21, 8, v24
	v_lshl_add_u32 v14, v14, 10, v30
	v_lshlrev_b32_e32 v20, 7, v20
	v_and_or_b32 v14, v21, s34, v14
	v_and_or_b32 v14, v20, s36, v14
	v_cvt_f32_f16_e32 v20, v14
.LBB299_296:                            ;   in Loop: Header=BB299_291 Depth=1
	s_or_b64 exec, exec, s[16:17]
.LBB299_297:                            ;   in Loop: Header=BB299_291 Depth=1
	s_or_b64 exec, exec, s[14:15]
.LBB299_298:                            ;   in Loop: Header=BB299_291 Depth=1
	s_or_b64 exec, exec, s[0:1]
	v_lshrrev_b16_e32 v14, 8, v24
	v_cmp_ne_u16_e32 vcc, 0, v14
	s_and_saveexec_b64 s[0:1], vcc
	s_cbranch_execz .LBB299_304
; %bb.299:                              ;   in Loop: Header=BB299_291 Depth=1
	v_cmp_ne_u16_e32 vcc, s26, v14
	v_bfrev_b32_e32 v22, 1
	s_and_saveexec_b64 s[14:15], vcc
	s_cbranch_execz .LBB299_303
; %bb.300:                              ;   in Loop: Header=BB299_291 Depth=1
	v_and_b32_e32 v21, 0x7f, v14
	v_cmp_ne_u32_e32 vcc, s27, v21
	v_mov_b32_e32 v22, 0x7fc02000
	s_and_saveexec_b64 s[16:17], vcc
	s_cbranch_execz .LBB299_302
; %bb.301:                              ;   in Loop: Header=BB299_291 Depth=1
	v_and_b32_e32 v31, 7, v14
	v_ffbh_u32_e32 v22, v31
	v_min_u32_e32 v33, 32, v22
	v_subrev_u32_e32 v22, 28, v33
	v_lshlrev_b64 v[22:23], v22, v[14:15]
	v_lshrrev_b32_e32 v32, 3, v21
	v_sub_u32_e32 v23, 29, v33
	v_cmp_gt_u32_e32 vcc, 8, v21
	v_cndmask_b32_e32 v21, v32, v23, vcc
	v_and_b32_e32 v22, 7, v22
	v_lshlrev_b32_e32 v14, 8, v14
	v_lshl_add_u32 v21, v21, 10, v30
	v_cndmask_b32_e32 v22, v31, v22, vcc
	v_and_or_b32 v14, v14, s34, v21
	v_lshl_or_b32 v14, v22, 7, v14
	v_cvt_f32_f16_e32 v22, v14
.LBB299_302:                            ;   in Loop: Header=BB299_291 Depth=1
	s_or_b64 exec, exec, s[16:17]
.LBB299_303:                            ;   in Loop: Header=BB299_291 Depth=1
	s_or_b64 exec, exec, s[14:15]
.LBB299_304:                            ;   in Loop: Header=BB299_291 Depth=1
	s_or_b64 exec, exec, s[0:1]
	v_lshrrev_b32_e32 v14, 16, v24
	v_cmp_ne_u16_sdwa s[14:15], v14, v15 src0_sel:BYTE_0 src1_sel:DWORD
	v_mov_b32_e32 v23, 0
	v_mov_b32_e32 v21, 0
	s_and_saveexec_b64 s[0:1], s[14:15]
	s_cbranch_execz .LBB299_310
; %bb.305:                              ;   in Loop: Header=BB299_291 Depth=1
	v_cmp_ne_u16_sdwa s[16:17], v14, s26 src0_sel:BYTE_0 src1_sel:DWORD
	v_bfrev_b32_e32 v21, 1
	s_and_saveexec_b64 s[14:15], s[16:17]
	s_cbranch_execz .LBB299_309
; %bb.306:                              ;   in Loop: Header=BB299_291 Depth=1
	v_bfe_u32 v31, v24, 16, 7
	v_cmp_ne_u32_e32 vcc, s27, v31
	v_mov_b32_e32 v21, 0x7fc02000
	s_and_saveexec_b64 s[16:17], vcc
	s_cbranch_execz .LBB299_308
; %bb.307:                              ;   in Loop: Header=BB299_291 Depth=1
	v_and_b32_e32 v21, 7, v14
	v_ffbh_u32_e32 v32, v21
	v_min_u32_e32 v35, 32, v32
	v_subrev_u32_e32 v32, 28, v35
	v_lshlrev_b64 v[32:33], v32, v[14:15]
	v_lshrrev_b32_e32 v34, 3, v31
	v_sub_u32_e32 v33, 29, v35
	v_cmp_gt_u32_e32 vcc, 8, v31
	v_cndmask_b32_e32 v31, v34, v33, vcc
	v_and_b32_e32 v32, 7, v32
	v_lshlrev_b32_e32 v14, 8, v14
	v_lshl_add_u32 v31, v31, 10, v30
	v_cndmask_b32_e32 v21, v21, v32, vcc
	v_and_or_b32 v14, v14, s34, v31
	v_lshl_or_b32 v14, v21, 7, v14
	v_cvt_f32_f16_e32 v21, v14
.LBB299_308:                            ;   in Loop: Header=BB299_291 Depth=1
	s_or_b64 exec, exec, s[16:17]
.LBB299_309:                            ;   in Loop: Header=BB299_291 Depth=1
	s_or_b64 exec, exec, s[14:15]
.LBB299_310:                            ;   in Loop: Header=BB299_291 Depth=1
	s_or_b64 exec, exec, s[0:1]
	v_cmp_lt_u32_e32 vcc, s7, v24
	s_and_saveexec_b64 s[0:1], vcc
	s_cbranch_execz .LBB299_316
; %bb.311:                              ;   in Loop: Header=BB299_291 Depth=1
	v_lshrrev_b32_e32 v14, 24, v24
	v_cmp_ne_u32_e32 vcc, s26, v14
	v_bfrev_b32_e32 v23, 1
	s_and_saveexec_b64 s[14:15], vcc
	s_cbranch_execz .LBB299_315
; %bb.312:                              ;   in Loop: Header=BB299_291 Depth=1
	v_and_b32_e32 v31, 0x7f, v14
	v_cmp_ne_u32_e32 vcc, s27, v31
	v_mov_b32_e32 v23, 0x7fc02000
	s_and_saveexec_b64 s[16:17], vcc
	s_cbranch_execz .LBB299_314
; %bb.313:                              ;   in Loop: Header=BB299_291 Depth=1
	v_and_b32_e32 v23, 7, v14
	v_ffbh_u32_e32 v32, v23
	v_min_u32_e32 v35, 32, v32
	v_subrev_u32_e32 v32, 28, v35
	v_lshlrev_b64 v[32:33], v32, v[14:15]
	v_lshrrev_b32_e32 v34, 3, v31
	v_sub_u32_e32 v33, 29, v35
	v_cmp_gt_u32_e32 vcc, 8, v31
	v_cndmask_b32_e32 v31, v34, v33, vcc
	v_and_b32_e32 v32, 7, v32
	v_lshlrev_b32_e32 v14, 8, v14
	v_lshl_add_u32 v31, v31, 10, v30
	v_cndmask_b32_e32 v23, v23, v32, vcc
	v_and_or_b32 v14, v14, s34, v31
	v_lshl_or_b32 v14, v23, 7, v14
	v_cvt_f32_f16_e32 v23, v14
.LBB299_314:                            ;   in Loop: Header=BB299_291 Depth=1
	s_or_b64 exec, exec, s[16:17]
.LBB299_315:                            ;   in Loop: Header=BB299_291 Depth=1
	s_or_b64 exec, exec, s[14:15]
.LBB299_316:                            ;   in Loop: Header=BB299_291 Depth=1
	s_or_b64 exec, exec, s[0:1]
	v_mov_b32_e32 v14, v25
	v_cmp_ne_u16_sdwa s[14:15], v25, v15 src0_sel:BYTE_0 src1_sel:DWORD
	v_mov_b32_e32 v32, 0
	v_mov_b32_e32 v31, 0
	s_and_saveexec_b64 s[0:1], s[14:15]
	s_cbranch_execz .LBB299_322
; %bb.317:                              ;   in Loop: Header=BB299_291 Depth=1
	v_cmp_ne_u16_sdwa s[16:17], v25, s26 src0_sel:BYTE_0 src1_sel:DWORD
	v_bfrev_b32_e32 v31, 1
	s_and_saveexec_b64 s[14:15], s[16:17]
	s_cbranch_execz .LBB299_321
; %bb.318:                              ;   in Loop: Header=BB299_291 Depth=1
	v_and_b32_e32 v33, 0x7f, v25
	v_cmp_ne_u32_e32 vcc, s27, v33
	v_mov_b32_e32 v31, 0x7fc02000
	s_and_saveexec_b64 s[16:17], vcc
	s_cbranch_execz .LBB299_320
; %bb.319:                              ;   in Loop: Header=BB299_291 Depth=1
	v_and_b32_e32 v31, 7, v25
	v_ffbh_u32_e32 v31, v31
	v_min_u32_e32 v31, 32, v31
	v_subrev_u32_e32 v34, 28, v31
	v_cmp_gt_u32_e32 vcc, 8, v33
	v_lshrrev_b32_e32 v36, 3, v33
	v_sub_u32_e32 v31, 29, v31
	v_cndmask_b32_e32 v33, 0, v34, vcc
	v_lshlrev_b64 v[34:35], v33, v[14:15]
	v_cndmask_b32_e32 v31, v36, v31, vcc
	v_lshlrev_b32_e32 v33, 7, v34
	v_lshlrev_b32_e32 v34, 8, v25
	v_lshl_add_u32 v31, v31, 10, v30
	v_and_or_b32 v31, v34, s34, v31
	v_and_or_b32 v31, v33, s36, v31
	v_cvt_f32_f16_e32 v31, v31
.LBB299_320:                            ;   in Loop: Header=BB299_291 Depth=1
	s_or_b64 exec, exec, s[16:17]
.LBB299_321:                            ;   in Loop: Header=BB299_291 Depth=1
	s_or_b64 exec, exec, s[14:15]
.LBB299_322:                            ;   in Loop: Header=BB299_291 Depth=1
	s_or_b64 exec, exec, s[0:1]
	v_lshrrev_b16_e32 v14, 8, v14
	v_cmp_ne_u16_e32 vcc, 0, v14
	s_and_saveexec_b64 s[0:1], vcc
	s_cbranch_execz .LBB299_328
; %bb.323:                              ;   in Loop: Header=BB299_291 Depth=1
	v_cmp_ne_u16_e32 vcc, s26, v14
	v_bfrev_b32_e32 v32, 1
	s_and_saveexec_b64 s[14:15], vcc
	s_cbranch_execz .LBB299_327
; %bb.324:                              ;   in Loop: Header=BB299_291 Depth=1
	v_and_b32_e32 v33, 0x7f, v14
	v_cmp_ne_u32_e32 vcc, s27, v33
	v_mov_b32_e32 v32, 0x7fc02000
	s_and_saveexec_b64 s[16:17], vcc
	s_cbranch_execz .LBB299_326
; %bb.325:                              ;   in Loop: Header=BB299_291 Depth=1
	v_and_b32_e32 v32, 7, v14
	v_ffbh_u32_e32 v34, v32
	v_min_u32_e32 v37, 32, v34
	v_subrev_u32_e32 v34, 28, v37
	v_lshlrev_b64 v[34:35], v34, v[14:15]
	v_lshrrev_b32_e32 v36, 3, v33
	v_sub_u32_e32 v35, 29, v37
	v_cmp_gt_u32_e32 vcc, 8, v33
	v_cndmask_b32_e32 v33, v36, v35, vcc
	v_and_b32_e32 v34, 7, v34
	v_lshlrev_b32_e32 v14, 8, v14
	v_lshl_add_u32 v33, v33, 10, v30
	v_cndmask_b32_e32 v32, v32, v34, vcc
	v_and_or_b32 v14, v14, s34, v33
	v_lshl_or_b32 v14, v32, 7, v14
	v_cvt_f32_f16_e32 v32, v14
.LBB299_326:                            ;   in Loop: Header=BB299_291 Depth=1
	s_or_b64 exec, exec, s[16:17]
.LBB299_327:                            ;   in Loop: Header=BB299_291 Depth=1
	s_or_b64 exec, exec, s[14:15]
.LBB299_328:                            ;   in Loop: Header=BB299_291 Depth=1
	s_or_b64 exec, exec, s[0:1]
	v_lshrrev_b32_e32 v14, 16, v25
	v_cmp_ne_u16_sdwa s[14:15], v14, v15 src0_sel:BYTE_0 src1_sel:DWORD
	v_mov_b32_e32 v34, 0
	v_mov_b32_e32 v35, 0
	s_and_saveexec_b64 s[0:1], s[14:15]
	s_cbranch_execz .LBB299_334
; %bb.329:                              ;   in Loop: Header=BB299_291 Depth=1
	v_cmp_ne_u16_sdwa s[16:17], v14, s26 src0_sel:BYTE_0 src1_sel:DWORD
	v_bfrev_b32_e32 v35, 1
	s_and_saveexec_b64 s[14:15], s[16:17]
	s_cbranch_execz .LBB299_333
; %bb.330:                              ;   in Loop: Header=BB299_291 Depth=1
	v_bfe_u32 v33, v25, 16, 7
	v_cmp_ne_u32_e32 vcc, s27, v33
	v_mov_b32_e32 v35, 0x7fc02000
	s_and_saveexec_b64 s[16:17], vcc
	s_cbranch_execz .LBB299_332
; %bb.331:                              ;   in Loop: Header=BB299_291 Depth=1
	v_and_b32_e32 v35, 7, v14
	v_ffbh_u32_e32 v36, v35
	v_min_u32_e32 v42, 32, v36
	v_subrev_u32_e32 v36, 28, v42
	v_lshlrev_b64 v[36:37], v36, v[14:15]
	v_lshrrev_b32_e32 v38, 3, v33
	v_sub_u32_e32 v37, 29, v42
	v_cmp_gt_u32_e32 vcc, 8, v33
	v_cndmask_b32_e32 v33, v38, v37, vcc
	v_and_b32_e32 v36, 7, v36
	v_lshlrev_b32_e32 v14, 8, v14
	v_lshl_add_u32 v33, v33, 10, v30
	v_cndmask_b32_e32 v35, v35, v36, vcc
	v_and_or_b32 v14, v14, s34, v33
	v_lshl_or_b32 v14, v35, 7, v14
	v_cvt_f32_f16_e32 v35, v14
.LBB299_332:                            ;   in Loop: Header=BB299_291 Depth=1
	s_or_b64 exec, exec, s[16:17]
.LBB299_333:                            ;   in Loop: Header=BB299_291 Depth=1
	s_or_b64 exec, exec, s[14:15]
.LBB299_334:                            ;   in Loop: Header=BB299_291 Depth=1
	s_or_b64 exec, exec, s[0:1]
	v_cmp_lt_u64_e32 vcc, s[6:7], v[24:25]
	s_and_saveexec_b64 s[0:1], vcc
	s_cbranch_execz .LBB299_340
; %bb.335:                              ;   in Loop: Header=BB299_291 Depth=1
	v_lshrrev_b32_e32 v14, 24, v25
	v_cmp_ne_u32_e32 vcc, s26, v14
	v_bfrev_b32_e32 v34, 1
	s_and_saveexec_b64 s[14:15], vcc
	s_cbranch_execz .LBB299_339
; %bb.336:                              ;   in Loop: Header=BB299_291 Depth=1
	v_and_b32_e32 v24, 0x7f, v14
	v_cmp_ne_u32_e32 vcc, s27, v24
	v_mov_b32_e32 v34, 0x7fc02000
	s_and_saveexec_b64 s[16:17], vcc
	s_cbranch_execz .LBB299_338
; %bb.337:                              ;   in Loop: Header=BB299_291 Depth=1
	v_and_b32_e32 v25, 7, v14
	v_ffbh_u32_e32 v34, v25
	v_min_u32_e32 v34, 32, v34
	v_lshrrev_b32_e32 v33, 3, v24
	v_subrev_u32_e32 v36, 28, v34
	v_sub_u32_e32 v34, 29, v34
	v_cmp_gt_u32_e32 vcc, 8, v24
	v_lshlrev_b64 v[36:37], v36, v[14:15]
	v_cndmask_b32_e32 v24, v33, v34, vcc
	v_and_b32_e32 v36, 7, v36
	v_lshlrev_b32_e32 v14, 8, v14
	v_lshl_add_u32 v24, v24, 10, v30
	v_cndmask_b32_e32 v25, v25, v36, vcc
	v_and_or_b32 v14, v14, s34, v24
	v_lshl_or_b32 v14, v25, 7, v14
	v_cvt_f32_f16_e32 v34, v14
.LBB299_338:                            ;   in Loop: Header=BB299_291 Depth=1
	s_or_b64 exec, exec, s[16:17]
.LBB299_339:                            ;   in Loop: Header=BB299_291 Depth=1
	s_or_b64 exec, exec, s[14:15]
.LBB299_340:                            ;   in Loop: Header=BB299_291 Depth=1
	s_or_b64 exec, exec, s[0:1]
	s_waitcnt vmcnt(0)
	v_pk_mul_f32 v[22:23], v[18:19], v[22:23] op_sel_hi:[0,1]
	v_pk_mul_f32 v[20:21], v[18:19], v[20:21] op_sel_hi:[0,1]
	v_cvt_f16_f32_e32 v14, v23
	v_cvt_f16_f32_e32 v22, v22
	;; [unrolled: 1-line block ×4, first 2 shown]
	v_add_u32_e32 v33, v28, v1
	v_pack_b32_f16 v22, v22, v14
	v_cmp_eq_u32_e32 vcc, s24, v8
	v_pack_b32_f16 v20, v20, v21
	v_fma_mixlo_f16 v21, v18, v32, 0
	v_perm_b32 v14, v20, v22, s37
	v_perm_b32 v20, v20, v22, s38
	v_lshlrev_b32_e32 v21, 16, v21
	v_fma_mixlo_f16 v22, v18, v31, 0
	v_or_b32_sdwa v21, v21, v22 dst_sel:DWORD dst_unused:UNUSED_PAD src0_sel:DWORD src1_sel:WORD_0
	v_fma_mixlo_f16 v22, v18, v35, 0
	v_fma_mixlo_f16 v18, v18, v34, 0
	v_lshlrev_b32_e32 v18, 16, v18
	v_or_b32_sdwa v18, v18, v22 dst_sel:DWORD dst_unused:UNUSED_PAD src0_sel:DWORD src1_sel:WORD_0
	v_add_u32_e32 v38, 1, v33
	v_or_b32_e32 v37, 3, v33
	v_or_b32_e32 v36, 2, v33
	;; [unrolled: 1-line block ×6, first 2 shown]
	s_and_saveexec_b64 s[14:15], vcc
	s_cbranch_execz .LBB299_342
; %bb.341:                              ;   in Loop: Header=BB299_291 Depth=1
	v_lshrrev_b32_e32 v23, 16, v20
	v_cmp_gt_i32_e64 s[0:1], s25, v38
	v_cndmask_b32_e64 v23, 0, v23, s[0:1]
	v_cmp_gt_i32_e64 s[0:1], s33, v33
	v_cndmask_b32_e64 v20, 0, v20, s[0:1]
	v_perm_b32 v20, v23, v20, s39
	v_lshrrev_b32_e32 v23, 16, v14
	v_cmp_gt_i32_e64 s[0:1], s25, v37
	v_cndmask_b32_e64 v23, 0, v23, s[0:1]
	v_cmp_gt_i32_e64 s[0:1], s33, v36
	v_cndmask_b32_e64 v14, 0, v14, s[0:1]
	v_perm_b32 v14, v23, v14, s39
	v_lshrrev_b32_e32 v23, 16, v21
	v_cmp_gt_i32_e64 s[0:1], s25, v35
	v_cndmask_b32_e64 v23, 0, v23, s[0:1]
	v_cmp_gt_i32_e64 s[0:1], s33, v34
	v_cndmask_b32_e64 v21, 0, v21, s[0:1]
	v_lshrrev_b32_e32 v18, 16, v18
	v_cmp_gt_i32_e64 s[0:1], s25, v32
	v_cndmask_b32_e64 v18, 0, v18, s[0:1]
	v_cmp_gt_i32_e64 s[0:1], s33, v31
	v_cndmask_b32_e64 v22, 0, v22, s[0:1]
	v_perm_b32 v21, v23, v21, s39
	v_perm_b32 v18, v18, v22, s39
.LBB299_342:                            ;   in Loop: Header=BB299_291 Depth=1
	s_or_b64 exec, exec, s[14:15]
	v_and_b32_e32 v22, 0xffff, v39
	v_lshl_or_b32 v42, v40, 16, v22
	v_and_b32_e32 v22, 0xffff, v41
	v_lshl_or_b32 v41, v43, 16, v22
	;; [unrolled: 2-line block ×3, first 2 shown]
	v_and_b32_e32 v22, 0xffff, v46
	;;#ASMSTART
	v_pk_mul_f16 v20, v42, v20;

	;;#ASMEND
	;;#ASMSTART
	v_pk_mul_f16 v14, v41, v14;

	;;#ASMEND
	v_lshl_or_b32 v39, v47, 16, v22
	;;#ASMSTART
	v_pk_mul_f16 v21, v40, v21;

	;;#ASMEND
	;;#ASMSTART
	v_pk_mul_f16 v18, v39, v18;

	;;#ASMEND
	;;#ASMSTART
	v_pk_add_f16 v14, v20, v14;

	;;#ASMEND
	;;#ASMSTART
	v_pk_add_f16 v14, v14, v21;
	;; [unrolled: 4-line block ×3, first 2 shown]

	;;#ASMEND
	v_lshrrev_b32_e32 v18, 16, v14
	v_and_b32_e32 v14, 0xffff, v14
	;;#ASMSTART
	v_cvt_f32_f16 v43, v14;
	;;#ASMEND
	;;#ASMSTART
	v_cvt_f32_f16 v44, v18;
	;;#ASMEND
	global_load_dwordx2 v[24:25], v[16:17], off offset:512
	global_load_dword v18, v15, s[18:19]
	v_mov_b32_e32 v22, 0
	v_mov_b32_e32 v20, 0
	s_waitcnt vmcnt(1)
	v_cmp_ne_u16_sdwa s[0:1], v24, v15 src0_sel:BYTE_0 src1_sel:DWORD
	s_and_saveexec_b64 s[14:15], s[0:1]
	s_cbranch_execz .LBB299_348
; %bb.343:                              ;   in Loop: Header=BB299_291 Depth=1
	v_cmp_ne_u16_sdwa s[0:1], v24, s26 src0_sel:BYTE_0 src1_sel:DWORD
	v_bfrev_b32_e32 v20, 1
	s_and_saveexec_b64 s[16:17], s[0:1]
	s_cbranch_execz .LBB299_347
; %bb.344:                              ;   in Loop: Header=BB299_291 Depth=1
	v_and_b32_e32 v14, 0x7f, v24
	v_cmp_ne_u32_e64 s[0:1], s27, v14
	v_mov_b32_e32 v20, 0x7fc02000
	s_and_saveexec_b64 s[20:21], s[0:1]
	s_cbranch_execz .LBB299_346
; %bb.345:                              ;   in Loop: Header=BB299_291 Depth=1
	v_and_b32_e32 v20, 7, v24
	v_ffbh_u32_e32 v20, v20
	v_min_u32_e32 v20, 32, v20
	v_subrev_u32_e32 v21, 28, v20
	v_cmp_gt_u32_e64 s[0:1], 8, v14
	v_lshrrev_b32_e32 v23, 3, v14
	v_sub_u32_e32 v45, 29, v20
	v_cndmask_b32_e64 v14, 0, v21, s[0:1]
	v_lshlrev_b64 v[20:21], v14, v[24:25]
	v_cndmask_b32_e64 v14, v23, v45, s[0:1]
	v_lshlrev_b32_e32 v21, 8, v24
	v_lshl_add_u32 v14, v14, 10, v30
	v_lshlrev_b32_e32 v20, 7, v20
	v_and_or_b32 v14, v21, s34, v14
	v_and_or_b32 v14, v20, s36, v14
	v_cvt_f32_f16_e32 v20, v14
.LBB299_346:                            ;   in Loop: Header=BB299_291 Depth=1
	s_or_b64 exec, exec, s[20:21]
.LBB299_347:                            ;   in Loop: Header=BB299_291 Depth=1
	s_or_b64 exec, exec, s[16:17]
.LBB299_348:                            ;   in Loop: Header=BB299_291 Depth=1
	s_or_b64 exec, exec, s[14:15]
	v_lshrrev_b16_e32 v14, 8, v24
	v_cmp_ne_u16_e64 s[0:1], 0, v14
	s_and_saveexec_b64 s[14:15], s[0:1]
	s_cbranch_execz .LBB299_354
; %bb.349:                              ;   in Loop: Header=BB299_291 Depth=1
	v_cmp_ne_u16_e64 s[0:1], s26, v14
	v_bfrev_b32_e32 v22, 1
	s_and_saveexec_b64 s[16:17], s[0:1]
	s_cbranch_execz .LBB299_353
; %bb.350:                              ;   in Loop: Header=BB299_291 Depth=1
	v_and_b32_e32 v21, 0x7f, v14
	v_cmp_ne_u32_e64 s[0:1], s27, v21
	v_mov_b32_e32 v22, 0x7fc02000
	s_and_saveexec_b64 s[20:21], s[0:1]
	s_cbranch_execz .LBB299_352
; %bb.351:                              ;   in Loop: Header=BB299_291 Depth=1
	v_and_b32_e32 v45, 7, v14
	v_ffbh_u32_e32 v22, v45
	v_min_u32_e32 v47, 32, v22
	v_subrev_u32_e32 v22, 28, v47
	v_lshlrev_b64 v[22:23], v22, v[14:15]
	v_lshrrev_b32_e32 v46, 3, v21
	v_sub_u32_e32 v23, 29, v47
	v_cmp_gt_u32_e64 s[0:1], 8, v21
	v_cndmask_b32_e64 v21, v46, v23, s[0:1]
	v_and_b32_e32 v22, 7, v22
	v_lshlrev_b32_e32 v14, 8, v14
	v_lshl_add_u32 v21, v21, 10, v30
	v_cndmask_b32_e64 v22, v45, v22, s[0:1]
	v_and_or_b32 v14, v14, s34, v21
	v_lshl_or_b32 v14, v22, 7, v14
	v_cvt_f32_f16_e32 v22, v14
.LBB299_352:                            ;   in Loop: Header=BB299_291 Depth=1
	s_or_b64 exec, exec, s[20:21]
.LBB299_353:                            ;   in Loop: Header=BB299_291 Depth=1
	s_or_b64 exec, exec, s[16:17]
.LBB299_354:                            ;   in Loop: Header=BB299_291 Depth=1
	s_or_b64 exec, exec, s[14:15]
	v_lshrrev_b32_e32 v14, 16, v24
	v_cmp_ne_u16_sdwa s[0:1], v14, v15 src0_sel:BYTE_0 src1_sel:DWORD
	v_mov_b32_e32 v23, 0
	v_mov_b32_e32 v21, 0
	s_and_saveexec_b64 s[14:15], s[0:1]
	s_cbranch_execz .LBB299_360
; %bb.355:                              ;   in Loop: Header=BB299_291 Depth=1
	v_cmp_ne_u16_sdwa s[0:1], v14, s26 src0_sel:BYTE_0 src1_sel:DWORD
	v_bfrev_b32_e32 v21, 1
	s_and_saveexec_b64 s[16:17], s[0:1]
	s_cbranch_execz .LBB299_359
; %bb.356:                              ;   in Loop: Header=BB299_291 Depth=1
	v_bfe_u32 v45, v24, 16, 7
	v_cmp_ne_u32_e64 s[0:1], s27, v45
	v_mov_b32_e32 v21, 0x7fc02000
	s_and_saveexec_b64 s[20:21], s[0:1]
	s_cbranch_execz .LBB299_358
; %bb.357:                              ;   in Loop: Header=BB299_291 Depth=1
	v_and_b32_e32 v21, 7, v14
	v_ffbh_u32_e32 v46, v21
	v_min_u32_e32 v49, 32, v46
	v_subrev_u32_e32 v46, 28, v49
	v_lshlrev_b64 v[46:47], v46, v[14:15]
	v_lshrrev_b32_e32 v48, 3, v45
	v_sub_u32_e32 v47, 29, v49
	v_cmp_gt_u32_e64 s[0:1], 8, v45
	v_cndmask_b32_e64 v45, v48, v47, s[0:1]
	v_and_b32_e32 v46, 7, v46
	v_lshlrev_b32_e32 v14, 8, v14
	v_lshl_add_u32 v45, v45, 10, v30
	v_cndmask_b32_e64 v21, v21, v46, s[0:1]
	v_and_or_b32 v14, v14, s34, v45
	v_lshl_or_b32 v14, v21, 7, v14
	v_cvt_f32_f16_e32 v21, v14
.LBB299_358:                            ;   in Loop: Header=BB299_291 Depth=1
	s_or_b64 exec, exec, s[20:21]
.LBB299_359:                            ;   in Loop: Header=BB299_291 Depth=1
	s_or_b64 exec, exec, s[16:17]
.LBB299_360:                            ;   in Loop: Header=BB299_291 Depth=1
	s_or_b64 exec, exec, s[14:15]
	v_cmp_lt_u32_e64 s[0:1], s7, v24
	s_and_saveexec_b64 s[14:15], s[0:1]
	s_cbranch_execz .LBB299_366
; %bb.361:                              ;   in Loop: Header=BB299_291 Depth=1
	v_lshrrev_b32_e32 v14, 24, v24
	v_cmp_ne_u32_e64 s[0:1], s26, v14
	v_bfrev_b32_e32 v23, 1
	s_and_saveexec_b64 s[16:17], s[0:1]
	s_cbranch_execz .LBB299_365
; %bb.362:                              ;   in Loop: Header=BB299_291 Depth=1
	v_and_b32_e32 v45, 0x7f, v14
	v_cmp_ne_u32_e64 s[0:1], s27, v45
	v_mov_b32_e32 v23, 0x7fc02000
	s_and_saveexec_b64 s[20:21], s[0:1]
	s_cbranch_execz .LBB299_364
; %bb.363:                              ;   in Loop: Header=BB299_291 Depth=1
	v_and_b32_e32 v23, 7, v14
	v_ffbh_u32_e32 v46, v23
	v_min_u32_e32 v49, 32, v46
	v_subrev_u32_e32 v46, 28, v49
	v_lshlrev_b64 v[46:47], v46, v[14:15]
	v_lshrrev_b32_e32 v48, 3, v45
	v_sub_u32_e32 v47, 29, v49
	v_cmp_gt_u32_e64 s[0:1], 8, v45
	v_cndmask_b32_e64 v45, v48, v47, s[0:1]
	v_and_b32_e32 v46, 7, v46
	v_lshlrev_b32_e32 v14, 8, v14
	v_lshl_add_u32 v45, v45, 10, v30
	v_cndmask_b32_e64 v23, v23, v46, s[0:1]
	v_and_or_b32 v14, v14, s34, v45
	v_lshl_or_b32 v14, v23, 7, v14
	v_cvt_f32_f16_e32 v23, v14
.LBB299_364:                            ;   in Loop: Header=BB299_291 Depth=1
	s_or_b64 exec, exec, s[20:21]
.LBB299_365:                            ;   in Loop: Header=BB299_291 Depth=1
	s_or_b64 exec, exec, s[16:17]
.LBB299_366:                            ;   in Loop: Header=BB299_291 Depth=1
	s_or_b64 exec, exec, s[14:15]
	v_mov_b32_e32 v14, v25
	v_cmp_ne_u16_sdwa s[0:1], v25, v15 src0_sel:BYTE_0 src1_sel:DWORD
	v_mov_b32_e32 v46, 0
	v_mov_b32_e32 v45, 0
	s_and_saveexec_b64 s[14:15], s[0:1]
	s_cbranch_execz .LBB299_372
; %bb.367:                              ;   in Loop: Header=BB299_291 Depth=1
	v_cmp_ne_u16_sdwa s[0:1], v25, s26 src0_sel:BYTE_0 src1_sel:DWORD
	v_bfrev_b32_e32 v45, 1
	s_and_saveexec_b64 s[16:17], s[0:1]
	s_cbranch_execz .LBB299_371
; %bb.368:                              ;   in Loop: Header=BB299_291 Depth=1
	v_and_b32_e32 v47, 0x7f, v25
	v_cmp_ne_u32_e64 s[0:1], s27, v47
	v_mov_b32_e32 v45, 0x7fc02000
	s_and_saveexec_b64 s[20:21], s[0:1]
	s_cbranch_execz .LBB299_370
; %bb.369:                              ;   in Loop: Header=BB299_291 Depth=1
	v_and_b32_e32 v45, 7, v25
	v_ffbh_u32_e32 v45, v45
	v_min_u32_e32 v45, 32, v45
	v_subrev_u32_e32 v48, 28, v45
	v_cmp_gt_u32_e64 s[0:1], 8, v47
	v_lshrrev_b32_e32 v50, 3, v47
	v_sub_u32_e32 v45, 29, v45
	v_cndmask_b32_e64 v47, 0, v48, s[0:1]
	v_lshlrev_b64 v[48:49], v47, v[14:15]
	v_cndmask_b32_e64 v45, v50, v45, s[0:1]
	v_lshlrev_b32_e32 v47, 7, v48
	v_lshlrev_b32_e32 v48, 8, v25
	v_lshl_add_u32 v45, v45, 10, v30
	v_and_or_b32 v45, v48, s34, v45
	v_and_or_b32 v45, v47, s36, v45
	v_cvt_f32_f16_e32 v45, v45
.LBB299_370:                            ;   in Loop: Header=BB299_291 Depth=1
	s_or_b64 exec, exec, s[20:21]
.LBB299_371:                            ;   in Loop: Header=BB299_291 Depth=1
	s_or_b64 exec, exec, s[16:17]
.LBB299_372:                            ;   in Loop: Header=BB299_291 Depth=1
	s_or_b64 exec, exec, s[14:15]
	v_lshrrev_b16_e32 v14, 8, v14
	v_cmp_ne_u16_e64 s[0:1], 0, v14
	s_and_saveexec_b64 s[14:15], s[0:1]
	s_cbranch_execz .LBB299_378
; %bb.373:                              ;   in Loop: Header=BB299_291 Depth=1
	v_cmp_ne_u16_e64 s[0:1], s26, v14
	v_bfrev_b32_e32 v46, 1
	s_and_saveexec_b64 s[16:17], s[0:1]
	s_cbranch_execz .LBB299_377
; %bb.374:                              ;   in Loop: Header=BB299_291 Depth=1
	v_and_b32_e32 v47, 0x7f, v14
	v_cmp_ne_u32_e64 s[0:1], s27, v47
	v_mov_b32_e32 v46, 0x7fc02000
	s_and_saveexec_b64 s[20:21], s[0:1]
	s_cbranch_execz .LBB299_376
; %bb.375:                              ;   in Loop: Header=BB299_291 Depth=1
	v_and_b32_e32 v46, 7, v14
	v_ffbh_u32_e32 v48, v46
	v_min_u32_e32 v51, 32, v48
	v_subrev_u32_e32 v48, 28, v51
	v_lshlrev_b64 v[48:49], v48, v[14:15]
	v_lshrrev_b32_e32 v50, 3, v47
	v_sub_u32_e32 v49, 29, v51
	v_cmp_gt_u32_e64 s[0:1], 8, v47
	v_cndmask_b32_e64 v47, v50, v49, s[0:1]
	v_and_b32_e32 v48, 7, v48
	v_lshlrev_b32_e32 v14, 8, v14
	v_lshl_add_u32 v47, v47, 10, v30
	v_cndmask_b32_e64 v46, v46, v48, s[0:1]
	v_and_or_b32 v14, v14, s34, v47
	v_lshl_or_b32 v14, v46, 7, v14
	v_cvt_f32_f16_e32 v46, v14
.LBB299_376:                            ;   in Loop: Header=BB299_291 Depth=1
	s_or_b64 exec, exec, s[20:21]
.LBB299_377:                            ;   in Loop: Header=BB299_291 Depth=1
	s_or_b64 exec, exec, s[16:17]
.LBB299_378:                            ;   in Loop: Header=BB299_291 Depth=1
	s_or_b64 exec, exec, s[14:15]
	v_lshrrev_b32_e32 v14, 16, v25
	v_cmp_ne_u16_sdwa s[0:1], v14, v15 src0_sel:BYTE_0 src1_sel:DWORD
	v_mov_b32_e32 v47, 0
	v_mov_b32_e32 v48, 0
	s_and_saveexec_b64 s[14:15], s[0:1]
	s_cbranch_execz .LBB299_384
; %bb.379:                              ;   in Loop: Header=BB299_291 Depth=1
	v_cmp_ne_u16_sdwa s[0:1], v14, s26 src0_sel:BYTE_0 src1_sel:DWORD
	v_bfrev_b32_e32 v48, 1
	s_and_saveexec_b64 s[16:17], s[0:1]
	s_cbranch_execz .LBB299_383
; %bb.380:                              ;   in Loop: Header=BB299_291 Depth=1
	v_bfe_u32 v49, v25, 16, 7
	v_cmp_ne_u32_e64 s[0:1], s27, v49
	v_mov_b32_e32 v48, 0x7fc02000
	s_and_saveexec_b64 s[20:21], s[0:1]
	s_cbranch_execz .LBB299_382
; %bb.381:                              ;   in Loop: Header=BB299_291 Depth=1
	v_and_b32_e32 v48, 7, v14
	v_ffbh_u32_e32 v50, v48
	v_min_u32_e32 v53, 32, v50
	v_subrev_u32_e32 v50, 28, v53
	v_lshlrev_b64 v[50:51], v50, v[14:15]
	v_lshrrev_b32_e32 v52, 3, v49
	v_sub_u32_e32 v51, 29, v53
	v_cmp_gt_u32_e64 s[0:1], 8, v49
	v_cndmask_b32_e64 v49, v52, v51, s[0:1]
	v_and_b32_e32 v50, 7, v50
	v_lshlrev_b32_e32 v14, 8, v14
	v_lshl_add_u32 v49, v49, 10, v30
	v_cndmask_b32_e64 v48, v48, v50, s[0:1]
	v_and_or_b32 v14, v14, s34, v49
	v_lshl_or_b32 v14, v48, 7, v14
	v_cvt_f32_f16_e32 v48, v14
.LBB299_382:                            ;   in Loop: Header=BB299_291 Depth=1
	s_or_b64 exec, exec, s[20:21]
.LBB299_383:                            ;   in Loop: Header=BB299_291 Depth=1
	s_or_b64 exec, exec, s[16:17]
.LBB299_384:                            ;   in Loop: Header=BB299_291 Depth=1
	s_or_b64 exec, exec, s[14:15]
	v_cmp_lt_u64_e64 s[0:1], s[6:7], v[24:25]
	s_and_saveexec_b64 s[14:15], s[0:1]
	s_cbranch_execz .LBB299_390
; %bb.385:                              ;   in Loop: Header=BB299_291 Depth=1
	v_lshrrev_b32_e32 v14, 24, v25
	v_cmp_ne_u32_e64 s[0:1], s26, v14
	v_bfrev_b32_e32 v47, 1
	s_and_saveexec_b64 s[16:17], s[0:1]
	s_cbranch_execz .LBB299_389
; %bb.386:                              ;   in Loop: Header=BB299_291 Depth=1
	v_and_b32_e32 v24, 0x7f, v14
	v_cmp_ne_u32_e64 s[0:1], s27, v24
	v_mov_b32_e32 v47, 0x7fc02000
	s_and_saveexec_b64 s[20:21], s[0:1]
	s_cbranch_execz .LBB299_388
; %bb.387:                              ;   in Loop: Header=BB299_291 Depth=1
	v_and_b32_e32 v25, 7, v14
	v_ffbh_u32_e32 v49, v25
	v_min_u32_e32 v49, 32, v49
	v_lshrrev_b32_e32 v47, 3, v24
	v_subrev_u32_e32 v50, 28, v49
	v_sub_u32_e32 v49, 29, v49
	v_cmp_gt_u32_e64 s[0:1], 8, v24
	v_lshlrev_b64 v[50:51], v50, v[14:15]
	v_cndmask_b32_e64 v24, v47, v49, s[0:1]
	v_and_b32_e32 v50, 7, v50
	v_lshlrev_b32_e32 v14, 8, v14
	v_lshl_add_u32 v24, v24, 10, v30
	v_cndmask_b32_e64 v25, v25, v50, s[0:1]
	v_and_or_b32 v14, v14, s34, v24
	v_lshl_or_b32 v14, v25, 7, v14
	v_cvt_f32_f16_e32 v47, v14
.LBB299_388:                            ;   in Loop: Header=BB299_291 Depth=1
	s_or_b64 exec, exec, s[20:21]
.LBB299_389:                            ;   in Loop: Header=BB299_291 Depth=1
	s_or_b64 exec, exec, s[16:17]
.LBB299_390:                            ;   in Loop: Header=BB299_291 Depth=1
	s_or_b64 exec, exec, s[14:15]
	s_waitcnt vmcnt(0)
	v_pk_mul_f32 v[22:23], v[18:19], v[22:23] op_sel_hi:[0,1]
	v_pk_mul_f32 v[20:21], v[18:19], v[20:21] op_sel_hi:[0,1]
	v_cvt_f16_f32_e32 v14, v23
	v_cvt_f16_f32_e32 v22, v22
	;; [unrolled: 1-line block ×4, first 2 shown]
	v_pack_b32_f16 v22, v22, v14
	v_pack_b32_f16 v20, v20, v21
	v_fma_mixlo_f16 v21, v18, v46, 0
	v_perm_b32 v14, v20, v22, s37
	v_perm_b32 v20, v20, v22, s38
	v_lshlrev_b32_e32 v21, 16, v21
	v_fma_mixlo_f16 v22, v18, v45, 0
	v_or_b32_sdwa v21, v21, v22 dst_sel:DWORD dst_unused:UNUSED_PAD src0_sel:DWORD src1_sel:WORD_0
	v_fma_mixlo_f16 v22, v18, v48, 0
	v_fma_mixlo_f16 v18, v18, v47, 0
	v_lshlrev_b32_e32 v18, 16, v18
	v_or_b32_sdwa v18, v18, v22 dst_sel:DWORD dst_unused:UNUSED_PAD src0_sel:DWORD src1_sel:WORD_0
	s_and_saveexec_b64 s[14:15], vcc
	s_cbranch_execz .LBB299_392
; %bb.391:                              ;   in Loop: Header=BB299_291 Depth=1
	v_lshrrev_b32_e32 v23, 16, v20
	v_cmp_gt_i32_e64 s[0:1], s25, v38
	v_cndmask_b32_e64 v23, 0, v23, s[0:1]
	v_cmp_gt_i32_e64 s[0:1], s33, v33
	v_cndmask_b32_e64 v20, 0, v20, s[0:1]
	v_perm_b32 v20, v23, v20, s39
	v_lshrrev_b32_e32 v23, 16, v14
	v_cmp_gt_i32_e64 s[0:1], s25, v37
	v_cndmask_b32_e64 v23, 0, v23, s[0:1]
	v_cmp_gt_i32_e64 s[0:1], s33, v36
	v_cndmask_b32_e64 v14, 0, v14, s[0:1]
	v_perm_b32 v14, v23, v14, s39
	v_lshrrev_b32_e32 v23, 16, v21
	v_cmp_gt_i32_e64 s[0:1], s25, v35
	v_cndmask_b32_e64 v23, 0, v23, s[0:1]
	v_cmp_gt_i32_e64 s[0:1], s33, v34
	v_cndmask_b32_e64 v21, 0, v21, s[0:1]
	v_lshrrev_b32_e32 v18, 16, v18
	v_cmp_gt_i32_e64 s[0:1], s25, v32
	v_cndmask_b32_e64 v18, 0, v18, s[0:1]
	v_cmp_gt_i32_e64 s[0:1], s33, v31
	v_cndmask_b32_e64 v22, 0, v22, s[0:1]
	v_perm_b32 v21, v23, v21, s39
	v_perm_b32 v18, v18, v22, s39
.LBB299_392:                            ;   in Loop: Header=BB299_291 Depth=1
	s_or_b64 exec, exec, s[14:15]
	;;#ASMSTART
	v_pk_mul_f16 v20, v42, v20;

	;;#ASMEND
	;;#ASMSTART
	v_pk_mul_f16 v14, v41, v14;

	;;#ASMEND
	;;#ASMSTART
	v_pk_mul_f16 v21, v40, v21;

	;;#ASMEND
	;;#ASMSTART
	v_pk_mul_f16 v18, v39, v18;

	;;#ASMEND
	;;#ASMSTART
	v_pk_add_f16 v14, v20, v14;

	;;#ASMEND
	;;#ASMSTART
	v_pk_add_f16 v14, v14, v21;

	;;#ASMEND
	;; [unrolled: 4-line block ×3, first 2 shown]
	v_lshrrev_b32_e32 v18, 16, v14
	v_and_b32_e32 v14, 0xffff, v14
	;;#ASMSTART
	v_cvt_f32_f16 v45, v14;
	;;#ASMEND
	;;#ASMSTART
	v_cvt_f32_f16 v46, v18;
	;;#ASMEND
	global_load_dwordx2 v[24:25], v[16:17], off offset:1024
	global_load_dword v18, v15, s[18:19]
	v_mov_b32_e32 v22, 0
	v_mov_b32_e32 v20, 0
	s_waitcnt vmcnt(1)
	v_cmp_ne_u16_sdwa s[0:1], v24, v15 src0_sel:BYTE_0 src1_sel:DWORD
	s_and_saveexec_b64 s[14:15], s[0:1]
	s_cbranch_execz .LBB299_398
; %bb.393:                              ;   in Loop: Header=BB299_291 Depth=1
	v_cmp_ne_u16_sdwa s[0:1], v24, s26 src0_sel:BYTE_0 src1_sel:DWORD
	v_bfrev_b32_e32 v20, 1
	s_and_saveexec_b64 s[16:17], s[0:1]
	s_cbranch_execz .LBB299_397
; %bb.394:                              ;   in Loop: Header=BB299_291 Depth=1
	v_and_b32_e32 v14, 0x7f, v24
	v_cmp_ne_u32_e64 s[0:1], s27, v14
	v_mov_b32_e32 v20, 0x7fc02000
	s_and_saveexec_b64 s[20:21], s[0:1]
	s_cbranch_execz .LBB299_396
; %bb.395:                              ;   in Loop: Header=BB299_291 Depth=1
	v_and_b32_e32 v20, 7, v24
	v_ffbh_u32_e32 v20, v20
	v_min_u32_e32 v20, 32, v20
	v_subrev_u32_e32 v21, 28, v20
	v_cmp_gt_u32_e64 s[0:1], 8, v14
	v_lshrrev_b32_e32 v23, 3, v14
	v_sub_u32_e32 v47, 29, v20
	v_cndmask_b32_e64 v14, 0, v21, s[0:1]
	v_lshlrev_b64 v[20:21], v14, v[24:25]
	v_cndmask_b32_e64 v14, v23, v47, s[0:1]
	v_lshlrev_b32_e32 v21, 8, v24
	v_lshl_add_u32 v14, v14, 10, v30
	v_lshlrev_b32_e32 v20, 7, v20
	v_and_or_b32 v14, v21, s34, v14
	v_and_or_b32 v14, v20, s36, v14
	v_cvt_f32_f16_e32 v20, v14
.LBB299_396:                            ;   in Loop: Header=BB299_291 Depth=1
	s_or_b64 exec, exec, s[20:21]
.LBB299_397:                            ;   in Loop: Header=BB299_291 Depth=1
	s_or_b64 exec, exec, s[16:17]
.LBB299_398:                            ;   in Loop: Header=BB299_291 Depth=1
	s_or_b64 exec, exec, s[14:15]
	v_lshrrev_b16_e32 v14, 8, v24
	v_cmp_ne_u16_e64 s[0:1], 0, v14
	s_and_saveexec_b64 s[14:15], s[0:1]
	s_cbranch_execz .LBB299_404
; %bb.399:                              ;   in Loop: Header=BB299_291 Depth=1
	v_cmp_ne_u16_e64 s[0:1], s26, v14
	v_bfrev_b32_e32 v22, 1
	s_and_saveexec_b64 s[16:17], s[0:1]
	s_cbranch_execz .LBB299_403
; %bb.400:                              ;   in Loop: Header=BB299_291 Depth=1
	v_and_b32_e32 v21, 0x7f, v14
	v_cmp_ne_u32_e64 s[0:1], s27, v21
	v_mov_b32_e32 v22, 0x7fc02000
	s_and_saveexec_b64 s[20:21], s[0:1]
	s_cbranch_execz .LBB299_402
; %bb.401:                              ;   in Loop: Header=BB299_291 Depth=1
	v_and_b32_e32 v47, 7, v14
	v_ffbh_u32_e32 v22, v47
	v_min_u32_e32 v49, 32, v22
	v_subrev_u32_e32 v22, 28, v49
	v_lshlrev_b64 v[22:23], v22, v[14:15]
	v_lshrrev_b32_e32 v48, 3, v21
	v_sub_u32_e32 v23, 29, v49
	v_cmp_gt_u32_e64 s[0:1], 8, v21
	v_cndmask_b32_e64 v21, v48, v23, s[0:1]
	v_and_b32_e32 v22, 7, v22
	v_lshlrev_b32_e32 v14, 8, v14
	v_lshl_add_u32 v21, v21, 10, v30
	v_cndmask_b32_e64 v22, v47, v22, s[0:1]
	v_and_or_b32 v14, v14, s34, v21
	v_lshl_or_b32 v14, v22, 7, v14
	v_cvt_f32_f16_e32 v22, v14
.LBB299_402:                            ;   in Loop: Header=BB299_291 Depth=1
	s_or_b64 exec, exec, s[20:21]
.LBB299_403:                            ;   in Loop: Header=BB299_291 Depth=1
	s_or_b64 exec, exec, s[16:17]
.LBB299_404:                            ;   in Loop: Header=BB299_291 Depth=1
	s_or_b64 exec, exec, s[14:15]
	v_lshrrev_b32_e32 v14, 16, v24
	v_cmp_ne_u16_sdwa s[0:1], v14, v15 src0_sel:BYTE_0 src1_sel:DWORD
	v_mov_b32_e32 v23, 0
	v_mov_b32_e32 v21, 0
	s_and_saveexec_b64 s[14:15], s[0:1]
	s_cbranch_execz .LBB299_410
; %bb.405:                              ;   in Loop: Header=BB299_291 Depth=1
	v_cmp_ne_u16_sdwa s[0:1], v14, s26 src0_sel:BYTE_0 src1_sel:DWORD
	v_bfrev_b32_e32 v21, 1
	s_and_saveexec_b64 s[16:17], s[0:1]
	s_cbranch_execz .LBB299_409
; %bb.406:                              ;   in Loop: Header=BB299_291 Depth=1
	v_bfe_u32 v47, v24, 16, 7
	v_cmp_ne_u32_e64 s[0:1], s27, v47
	v_mov_b32_e32 v21, 0x7fc02000
	s_and_saveexec_b64 s[20:21], s[0:1]
	s_cbranch_execz .LBB299_408
; %bb.407:                              ;   in Loop: Header=BB299_291 Depth=1
	v_and_b32_e32 v21, 7, v14
	v_ffbh_u32_e32 v48, v21
	v_min_u32_e32 v51, 32, v48
	v_subrev_u32_e32 v48, 28, v51
	v_lshlrev_b64 v[48:49], v48, v[14:15]
	v_lshrrev_b32_e32 v50, 3, v47
	v_sub_u32_e32 v49, 29, v51
	v_cmp_gt_u32_e64 s[0:1], 8, v47
	v_cndmask_b32_e64 v47, v50, v49, s[0:1]
	v_and_b32_e32 v48, 7, v48
	v_lshlrev_b32_e32 v14, 8, v14
	v_lshl_add_u32 v47, v47, 10, v30
	v_cndmask_b32_e64 v21, v21, v48, s[0:1]
	v_and_or_b32 v14, v14, s34, v47
	v_lshl_or_b32 v14, v21, 7, v14
	v_cvt_f32_f16_e32 v21, v14
.LBB299_408:                            ;   in Loop: Header=BB299_291 Depth=1
	s_or_b64 exec, exec, s[20:21]
.LBB299_409:                            ;   in Loop: Header=BB299_291 Depth=1
	s_or_b64 exec, exec, s[16:17]
.LBB299_410:                            ;   in Loop: Header=BB299_291 Depth=1
	s_or_b64 exec, exec, s[14:15]
	v_cmp_lt_u32_e64 s[0:1], s7, v24
	s_and_saveexec_b64 s[14:15], s[0:1]
	s_cbranch_execz .LBB299_416
; %bb.411:                              ;   in Loop: Header=BB299_291 Depth=1
	v_lshrrev_b32_e32 v14, 24, v24
	v_cmp_ne_u32_e64 s[0:1], s26, v14
	v_bfrev_b32_e32 v23, 1
	s_and_saveexec_b64 s[16:17], s[0:1]
	s_cbranch_execz .LBB299_415
; %bb.412:                              ;   in Loop: Header=BB299_291 Depth=1
	v_and_b32_e32 v47, 0x7f, v14
	v_cmp_ne_u32_e64 s[0:1], s27, v47
	v_mov_b32_e32 v23, 0x7fc02000
	s_and_saveexec_b64 s[20:21], s[0:1]
	s_cbranch_execz .LBB299_414
; %bb.413:                              ;   in Loop: Header=BB299_291 Depth=1
	v_and_b32_e32 v23, 7, v14
	v_ffbh_u32_e32 v48, v23
	v_min_u32_e32 v51, 32, v48
	v_subrev_u32_e32 v48, 28, v51
	v_lshlrev_b64 v[48:49], v48, v[14:15]
	v_lshrrev_b32_e32 v50, 3, v47
	v_sub_u32_e32 v49, 29, v51
	v_cmp_gt_u32_e64 s[0:1], 8, v47
	v_cndmask_b32_e64 v47, v50, v49, s[0:1]
	v_and_b32_e32 v48, 7, v48
	v_lshlrev_b32_e32 v14, 8, v14
	v_lshl_add_u32 v47, v47, 10, v30
	v_cndmask_b32_e64 v23, v23, v48, s[0:1]
	v_and_or_b32 v14, v14, s34, v47
	v_lshl_or_b32 v14, v23, 7, v14
	v_cvt_f32_f16_e32 v23, v14
.LBB299_414:                            ;   in Loop: Header=BB299_291 Depth=1
	s_or_b64 exec, exec, s[20:21]
.LBB299_415:                            ;   in Loop: Header=BB299_291 Depth=1
	s_or_b64 exec, exec, s[16:17]
.LBB299_416:                            ;   in Loop: Header=BB299_291 Depth=1
	s_or_b64 exec, exec, s[14:15]
	v_mov_b32_e32 v14, v25
	v_cmp_ne_u16_sdwa s[0:1], v25, v15 src0_sel:BYTE_0 src1_sel:DWORD
	v_mov_b32_e32 v48, 0
	v_mov_b32_e32 v47, 0
	s_and_saveexec_b64 s[14:15], s[0:1]
	s_cbranch_execz .LBB299_422
; %bb.417:                              ;   in Loop: Header=BB299_291 Depth=1
	v_cmp_ne_u16_sdwa s[0:1], v25, s26 src0_sel:BYTE_0 src1_sel:DWORD
	v_bfrev_b32_e32 v47, 1
	s_and_saveexec_b64 s[16:17], s[0:1]
	s_cbranch_execz .LBB299_421
; %bb.418:                              ;   in Loop: Header=BB299_291 Depth=1
	v_and_b32_e32 v49, 0x7f, v25
	v_cmp_ne_u32_e64 s[0:1], s27, v49
	v_mov_b32_e32 v47, 0x7fc02000
	s_and_saveexec_b64 s[20:21], s[0:1]
	s_cbranch_execz .LBB299_420
; %bb.419:                              ;   in Loop: Header=BB299_291 Depth=1
	v_and_b32_e32 v47, 7, v25
	v_ffbh_u32_e32 v47, v47
	v_min_u32_e32 v47, 32, v47
	v_subrev_u32_e32 v50, 28, v47
	v_cmp_gt_u32_e64 s[0:1], 8, v49
	v_lshrrev_b32_e32 v52, 3, v49
	v_sub_u32_e32 v47, 29, v47
	v_cndmask_b32_e64 v49, 0, v50, s[0:1]
	v_lshlrev_b64 v[50:51], v49, v[14:15]
	v_cndmask_b32_e64 v47, v52, v47, s[0:1]
	v_lshlrev_b32_e32 v49, 7, v50
	v_lshlrev_b32_e32 v50, 8, v25
	v_lshl_add_u32 v47, v47, 10, v30
	v_and_or_b32 v47, v50, s34, v47
	v_and_or_b32 v47, v49, s36, v47
	v_cvt_f32_f16_e32 v47, v47
.LBB299_420:                            ;   in Loop: Header=BB299_291 Depth=1
	s_or_b64 exec, exec, s[20:21]
.LBB299_421:                            ;   in Loop: Header=BB299_291 Depth=1
	s_or_b64 exec, exec, s[16:17]
.LBB299_422:                            ;   in Loop: Header=BB299_291 Depth=1
	s_or_b64 exec, exec, s[14:15]
	v_lshrrev_b16_e32 v14, 8, v14
	v_cmp_ne_u16_e64 s[0:1], 0, v14
	s_and_saveexec_b64 s[14:15], s[0:1]
	s_cbranch_execz .LBB299_428
; %bb.423:                              ;   in Loop: Header=BB299_291 Depth=1
	v_cmp_ne_u16_e64 s[0:1], s26, v14
	v_bfrev_b32_e32 v48, 1
	s_and_saveexec_b64 s[16:17], s[0:1]
	s_cbranch_execz .LBB299_427
; %bb.424:                              ;   in Loop: Header=BB299_291 Depth=1
	v_and_b32_e32 v49, 0x7f, v14
	v_cmp_ne_u32_e64 s[0:1], s27, v49
	v_mov_b32_e32 v48, 0x7fc02000
	s_and_saveexec_b64 s[20:21], s[0:1]
	s_cbranch_execz .LBB299_426
; %bb.425:                              ;   in Loop: Header=BB299_291 Depth=1
	v_and_b32_e32 v48, 7, v14
	v_ffbh_u32_e32 v50, v48
	v_min_u32_e32 v53, 32, v50
	v_subrev_u32_e32 v50, 28, v53
	v_lshlrev_b64 v[50:51], v50, v[14:15]
	v_lshrrev_b32_e32 v52, 3, v49
	v_sub_u32_e32 v51, 29, v53
	v_cmp_gt_u32_e64 s[0:1], 8, v49
	v_cndmask_b32_e64 v49, v52, v51, s[0:1]
	v_and_b32_e32 v50, 7, v50
	v_lshlrev_b32_e32 v14, 8, v14
	v_lshl_add_u32 v49, v49, 10, v30
	v_cndmask_b32_e64 v48, v48, v50, s[0:1]
	v_and_or_b32 v14, v14, s34, v49
	v_lshl_or_b32 v14, v48, 7, v14
	v_cvt_f32_f16_e32 v48, v14
.LBB299_426:                            ;   in Loop: Header=BB299_291 Depth=1
	s_or_b64 exec, exec, s[20:21]
.LBB299_427:                            ;   in Loop: Header=BB299_291 Depth=1
	s_or_b64 exec, exec, s[16:17]
.LBB299_428:                            ;   in Loop: Header=BB299_291 Depth=1
	s_or_b64 exec, exec, s[14:15]
	v_lshrrev_b32_e32 v14, 16, v25
	v_cmp_ne_u16_sdwa s[0:1], v14, v15 src0_sel:BYTE_0 src1_sel:DWORD
	v_mov_b32_e32 v49, 0
	v_mov_b32_e32 v50, 0
	s_and_saveexec_b64 s[14:15], s[0:1]
	s_cbranch_execz .LBB299_434
; %bb.429:                              ;   in Loop: Header=BB299_291 Depth=1
	v_cmp_ne_u16_sdwa s[0:1], v14, s26 src0_sel:BYTE_0 src1_sel:DWORD
	v_bfrev_b32_e32 v50, 1
	s_and_saveexec_b64 s[16:17], s[0:1]
	s_cbranch_execz .LBB299_433
; %bb.430:                              ;   in Loop: Header=BB299_291 Depth=1
	v_bfe_u32 v51, v25, 16, 7
	v_cmp_ne_u32_e64 s[0:1], s27, v51
	v_mov_b32_e32 v50, 0x7fc02000
	s_and_saveexec_b64 s[20:21], s[0:1]
	s_cbranch_execz .LBB299_432
; %bb.431:                              ;   in Loop: Header=BB299_291 Depth=1
	v_and_b32_e32 v50, 7, v14
	v_ffbh_u32_e32 v52, v50
	v_min_u32_e32 v55, 32, v52
	v_subrev_u32_e32 v52, 28, v55
	v_lshlrev_b64 v[52:53], v52, v[14:15]
	v_lshrrev_b32_e32 v54, 3, v51
	v_sub_u32_e32 v53, 29, v55
	v_cmp_gt_u32_e64 s[0:1], 8, v51
	v_cndmask_b32_e64 v51, v54, v53, s[0:1]
	v_and_b32_e32 v52, 7, v52
	v_lshlrev_b32_e32 v14, 8, v14
	v_lshl_add_u32 v51, v51, 10, v30
	v_cndmask_b32_e64 v50, v50, v52, s[0:1]
	v_and_or_b32 v14, v14, s34, v51
	v_lshl_or_b32 v14, v50, 7, v14
	v_cvt_f32_f16_e32 v50, v14
.LBB299_432:                            ;   in Loop: Header=BB299_291 Depth=1
	s_or_b64 exec, exec, s[20:21]
.LBB299_433:                            ;   in Loop: Header=BB299_291 Depth=1
	s_or_b64 exec, exec, s[16:17]
.LBB299_434:                            ;   in Loop: Header=BB299_291 Depth=1
	s_or_b64 exec, exec, s[14:15]
	v_cmp_lt_u64_e64 s[0:1], s[6:7], v[24:25]
	s_and_saveexec_b64 s[14:15], s[0:1]
	s_cbranch_execz .LBB299_440
; %bb.435:                              ;   in Loop: Header=BB299_291 Depth=1
	v_lshrrev_b32_e32 v14, 24, v25
	v_cmp_ne_u32_e64 s[0:1], s26, v14
	v_bfrev_b32_e32 v49, 1
	s_and_saveexec_b64 s[16:17], s[0:1]
	s_cbranch_execz .LBB299_439
; %bb.436:                              ;   in Loop: Header=BB299_291 Depth=1
	v_and_b32_e32 v24, 0x7f, v14
	v_cmp_ne_u32_e64 s[0:1], s27, v24
	v_mov_b32_e32 v49, 0x7fc02000
	s_and_saveexec_b64 s[20:21], s[0:1]
	s_cbranch_execz .LBB299_438
; %bb.437:                              ;   in Loop: Header=BB299_291 Depth=1
	v_and_b32_e32 v25, 7, v14
	v_ffbh_u32_e32 v51, v25
	v_min_u32_e32 v51, 32, v51
	v_lshrrev_b32_e32 v49, 3, v24
	v_subrev_u32_e32 v52, 28, v51
	v_sub_u32_e32 v51, 29, v51
	v_cmp_gt_u32_e64 s[0:1], 8, v24
	v_lshlrev_b64 v[52:53], v52, v[14:15]
	v_cndmask_b32_e64 v24, v49, v51, s[0:1]
	v_and_b32_e32 v52, 7, v52
	v_lshlrev_b32_e32 v14, 8, v14
	v_lshl_add_u32 v24, v24, 10, v30
	v_cndmask_b32_e64 v25, v25, v52, s[0:1]
	v_and_or_b32 v14, v14, s34, v24
	v_lshl_or_b32 v14, v25, 7, v14
	v_cvt_f32_f16_e32 v49, v14
.LBB299_438:                            ;   in Loop: Header=BB299_291 Depth=1
	s_or_b64 exec, exec, s[20:21]
.LBB299_439:                            ;   in Loop: Header=BB299_291 Depth=1
	s_or_b64 exec, exec, s[16:17]
.LBB299_440:                            ;   in Loop: Header=BB299_291 Depth=1
	s_or_b64 exec, exec, s[14:15]
	s_waitcnt vmcnt(0)
	v_pk_mul_f32 v[22:23], v[18:19], v[22:23] op_sel_hi:[0,1]
	v_pk_mul_f32 v[20:21], v[18:19], v[20:21] op_sel_hi:[0,1]
	v_cvt_f16_f32_e32 v14, v23
	v_cvt_f16_f32_e32 v22, v22
	;; [unrolled: 1-line block ×4, first 2 shown]
	v_pack_b32_f16 v22, v22, v14
	v_pack_b32_f16 v20, v20, v21
	v_fma_mixlo_f16 v21, v18, v48, 0
	v_perm_b32 v14, v20, v22, s37
	v_perm_b32 v20, v20, v22, s38
	v_lshlrev_b32_e32 v21, 16, v21
	v_fma_mixlo_f16 v22, v18, v47, 0
	v_or_b32_sdwa v21, v21, v22 dst_sel:DWORD dst_unused:UNUSED_PAD src0_sel:DWORD src1_sel:WORD_0
	v_fma_mixlo_f16 v22, v18, v50, 0
	v_fma_mixlo_f16 v18, v18, v49, 0
	v_lshlrev_b32_e32 v18, 16, v18
	v_or_b32_sdwa v18, v18, v22 dst_sel:DWORD dst_unused:UNUSED_PAD src0_sel:DWORD src1_sel:WORD_0
	s_and_saveexec_b64 s[14:15], vcc
	s_cbranch_execz .LBB299_442
; %bb.441:                              ;   in Loop: Header=BB299_291 Depth=1
	v_lshrrev_b32_e32 v23, 16, v20
	v_cmp_gt_i32_e64 s[0:1], s25, v38
	v_cndmask_b32_e64 v23, 0, v23, s[0:1]
	v_cmp_gt_i32_e64 s[0:1], s33, v33
	v_cndmask_b32_e64 v20, 0, v20, s[0:1]
	v_perm_b32 v20, v23, v20, s39
	v_lshrrev_b32_e32 v23, 16, v14
	v_cmp_gt_i32_e64 s[0:1], s25, v37
	v_cndmask_b32_e64 v23, 0, v23, s[0:1]
	v_cmp_gt_i32_e64 s[0:1], s33, v36
	v_cndmask_b32_e64 v14, 0, v14, s[0:1]
	v_perm_b32 v14, v23, v14, s39
	v_lshrrev_b32_e32 v23, 16, v21
	v_cmp_gt_i32_e64 s[0:1], s25, v35
	v_cndmask_b32_e64 v23, 0, v23, s[0:1]
	v_cmp_gt_i32_e64 s[0:1], s33, v34
	v_cndmask_b32_e64 v21, 0, v21, s[0:1]
	v_lshrrev_b32_e32 v18, 16, v18
	v_cmp_gt_i32_e64 s[0:1], s25, v32
	v_cndmask_b32_e64 v18, 0, v18, s[0:1]
	v_cmp_gt_i32_e64 s[0:1], s33, v31
	v_cndmask_b32_e64 v22, 0, v22, s[0:1]
	v_perm_b32 v21, v23, v21, s39
	v_perm_b32 v18, v18, v22, s39
.LBB299_442:                            ;   in Loop: Header=BB299_291 Depth=1
	s_or_b64 exec, exec, s[14:15]
	;;#ASMSTART
	v_pk_mul_f16 v20, v42, v20;

	;;#ASMEND
	;;#ASMSTART
	v_pk_mul_f16 v14, v41, v14;

	;;#ASMEND
	;; [unrolled: 4-line block ×4, first 2 shown]
	;;#ASMSTART
	v_pk_add_f16 v14, v20, v14;

	;;#ASMEND
	;;#ASMSTART
	v_pk_add_f16 v14, v14, v21;

	;;#ASMEND
	;; [unrolled: 4-line block ×3, first 2 shown]
	v_lshrrev_b32_e32 v18, 16, v14
	v_and_b32_e32 v14, 0xffff, v14
	;;#ASMSTART
	v_cvt_f32_f16 v47, v14;
	;;#ASMEND
	;;#ASMSTART
	v_cvt_f32_f16 v48, v18;
	;;#ASMEND
	global_load_dwordx2 v[24:25], v[16:17], off offset:1536
	global_load_dword v18, v15, s[18:19]
	v_mov_b32_e32 v22, 0
	v_mov_b32_e32 v20, 0
	s_waitcnt vmcnt(1)
	v_cmp_ne_u16_sdwa s[0:1], v24, v15 src0_sel:BYTE_0 src1_sel:DWORD
	s_and_saveexec_b64 s[14:15], s[0:1]
	s_cbranch_execz .LBB299_448
; %bb.443:                              ;   in Loop: Header=BB299_291 Depth=1
	v_cmp_ne_u16_sdwa s[0:1], v24, s26 src0_sel:BYTE_0 src1_sel:DWORD
	v_bfrev_b32_e32 v20, 1
	s_and_saveexec_b64 s[16:17], s[0:1]
	s_cbranch_execz .LBB299_447
; %bb.444:                              ;   in Loop: Header=BB299_291 Depth=1
	v_and_b32_e32 v14, 0x7f, v24
	v_cmp_ne_u32_e64 s[0:1], s27, v14
	v_mov_b32_e32 v20, 0x7fc02000
	s_and_saveexec_b64 s[20:21], s[0:1]
	s_cbranch_execz .LBB299_446
; %bb.445:                              ;   in Loop: Header=BB299_291 Depth=1
	v_and_b32_e32 v20, 7, v24
	v_ffbh_u32_e32 v20, v20
	v_min_u32_e32 v20, 32, v20
	v_subrev_u32_e32 v21, 28, v20
	v_cmp_gt_u32_e64 s[0:1], 8, v14
	v_lshrrev_b32_e32 v23, 3, v14
	v_sub_u32_e32 v49, 29, v20
	v_cndmask_b32_e64 v14, 0, v21, s[0:1]
	v_lshlrev_b64 v[20:21], v14, v[24:25]
	v_cndmask_b32_e64 v14, v23, v49, s[0:1]
	v_lshlrev_b32_e32 v21, 8, v24
	v_lshl_add_u32 v14, v14, 10, v30
	v_lshlrev_b32_e32 v20, 7, v20
	v_and_or_b32 v14, v21, s34, v14
	v_and_or_b32 v14, v20, s36, v14
	v_cvt_f32_f16_e32 v20, v14
.LBB299_446:                            ;   in Loop: Header=BB299_291 Depth=1
	s_or_b64 exec, exec, s[20:21]
.LBB299_447:                            ;   in Loop: Header=BB299_291 Depth=1
	s_or_b64 exec, exec, s[16:17]
.LBB299_448:                            ;   in Loop: Header=BB299_291 Depth=1
	s_or_b64 exec, exec, s[14:15]
	v_lshrrev_b16_e32 v14, 8, v24
	v_cmp_ne_u16_e64 s[0:1], 0, v14
	s_and_saveexec_b64 s[14:15], s[0:1]
	s_cbranch_execz .LBB299_454
; %bb.449:                              ;   in Loop: Header=BB299_291 Depth=1
	v_cmp_ne_u16_e64 s[0:1], s26, v14
	v_bfrev_b32_e32 v22, 1
	s_and_saveexec_b64 s[16:17], s[0:1]
	s_cbranch_execz .LBB299_453
; %bb.450:                              ;   in Loop: Header=BB299_291 Depth=1
	v_and_b32_e32 v21, 0x7f, v14
	v_cmp_ne_u32_e64 s[0:1], s27, v21
	v_mov_b32_e32 v22, 0x7fc02000
	s_and_saveexec_b64 s[20:21], s[0:1]
	s_cbranch_execz .LBB299_452
; %bb.451:                              ;   in Loop: Header=BB299_291 Depth=1
	v_and_b32_e32 v49, 7, v14
	v_ffbh_u32_e32 v22, v49
	v_min_u32_e32 v51, 32, v22
	v_subrev_u32_e32 v22, 28, v51
	v_lshlrev_b64 v[22:23], v22, v[14:15]
	v_lshrrev_b32_e32 v50, 3, v21
	v_sub_u32_e32 v23, 29, v51
	v_cmp_gt_u32_e64 s[0:1], 8, v21
	v_cndmask_b32_e64 v21, v50, v23, s[0:1]
	v_and_b32_e32 v22, 7, v22
	v_lshlrev_b32_e32 v14, 8, v14
	v_lshl_add_u32 v21, v21, 10, v30
	v_cndmask_b32_e64 v22, v49, v22, s[0:1]
	v_and_or_b32 v14, v14, s34, v21
	v_lshl_or_b32 v14, v22, 7, v14
	v_cvt_f32_f16_e32 v22, v14
.LBB299_452:                            ;   in Loop: Header=BB299_291 Depth=1
	s_or_b64 exec, exec, s[20:21]
.LBB299_453:                            ;   in Loop: Header=BB299_291 Depth=1
	s_or_b64 exec, exec, s[16:17]
.LBB299_454:                            ;   in Loop: Header=BB299_291 Depth=1
	s_or_b64 exec, exec, s[14:15]
	v_lshrrev_b32_e32 v14, 16, v24
	v_cmp_ne_u16_sdwa s[0:1], v14, v15 src0_sel:BYTE_0 src1_sel:DWORD
	v_mov_b32_e32 v23, 0
	v_mov_b32_e32 v21, 0
	s_and_saveexec_b64 s[14:15], s[0:1]
	s_cbranch_execz .LBB299_460
; %bb.455:                              ;   in Loop: Header=BB299_291 Depth=1
	v_cmp_ne_u16_sdwa s[0:1], v14, s26 src0_sel:BYTE_0 src1_sel:DWORD
	v_bfrev_b32_e32 v21, 1
	s_and_saveexec_b64 s[16:17], s[0:1]
	s_cbranch_execz .LBB299_459
; %bb.456:                              ;   in Loop: Header=BB299_291 Depth=1
	v_bfe_u32 v49, v24, 16, 7
	v_cmp_ne_u32_e64 s[0:1], s27, v49
	v_mov_b32_e32 v21, 0x7fc02000
	s_and_saveexec_b64 s[20:21], s[0:1]
	s_cbranch_execz .LBB299_458
; %bb.457:                              ;   in Loop: Header=BB299_291 Depth=1
	v_and_b32_e32 v21, 7, v14
	v_ffbh_u32_e32 v50, v21
	v_min_u32_e32 v53, 32, v50
	v_subrev_u32_e32 v50, 28, v53
	v_lshlrev_b64 v[50:51], v50, v[14:15]
	v_lshrrev_b32_e32 v52, 3, v49
	v_sub_u32_e32 v51, 29, v53
	v_cmp_gt_u32_e64 s[0:1], 8, v49
	v_cndmask_b32_e64 v49, v52, v51, s[0:1]
	v_and_b32_e32 v50, 7, v50
	v_lshlrev_b32_e32 v14, 8, v14
	v_lshl_add_u32 v49, v49, 10, v30
	v_cndmask_b32_e64 v21, v21, v50, s[0:1]
	v_and_or_b32 v14, v14, s34, v49
	v_lshl_or_b32 v14, v21, 7, v14
	v_cvt_f32_f16_e32 v21, v14
.LBB299_458:                            ;   in Loop: Header=BB299_291 Depth=1
	s_or_b64 exec, exec, s[20:21]
.LBB299_459:                            ;   in Loop: Header=BB299_291 Depth=1
	s_or_b64 exec, exec, s[16:17]
.LBB299_460:                            ;   in Loop: Header=BB299_291 Depth=1
	s_or_b64 exec, exec, s[14:15]
	v_cmp_lt_u32_e64 s[0:1], s7, v24
	s_and_saveexec_b64 s[14:15], s[0:1]
	s_cbranch_execz .LBB299_466
; %bb.461:                              ;   in Loop: Header=BB299_291 Depth=1
	v_lshrrev_b32_e32 v14, 24, v24
	v_cmp_ne_u32_e64 s[0:1], s26, v14
	v_bfrev_b32_e32 v23, 1
	s_and_saveexec_b64 s[16:17], s[0:1]
	s_cbranch_execz .LBB299_465
; %bb.462:                              ;   in Loop: Header=BB299_291 Depth=1
	v_and_b32_e32 v49, 0x7f, v14
	v_cmp_ne_u32_e64 s[0:1], s27, v49
	v_mov_b32_e32 v23, 0x7fc02000
	s_and_saveexec_b64 s[20:21], s[0:1]
	s_cbranch_execz .LBB299_464
; %bb.463:                              ;   in Loop: Header=BB299_291 Depth=1
	v_and_b32_e32 v23, 7, v14
	v_ffbh_u32_e32 v50, v23
	v_min_u32_e32 v53, 32, v50
	v_subrev_u32_e32 v50, 28, v53
	v_lshlrev_b64 v[50:51], v50, v[14:15]
	v_lshrrev_b32_e32 v52, 3, v49
	v_sub_u32_e32 v51, 29, v53
	v_cmp_gt_u32_e64 s[0:1], 8, v49
	v_cndmask_b32_e64 v49, v52, v51, s[0:1]
	v_and_b32_e32 v50, 7, v50
	v_lshlrev_b32_e32 v14, 8, v14
	v_lshl_add_u32 v49, v49, 10, v30
	v_cndmask_b32_e64 v23, v23, v50, s[0:1]
	v_and_or_b32 v14, v14, s34, v49
	v_lshl_or_b32 v14, v23, 7, v14
	v_cvt_f32_f16_e32 v23, v14
.LBB299_464:                            ;   in Loop: Header=BB299_291 Depth=1
	s_or_b64 exec, exec, s[20:21]
.LBB299_465:                            ;   in Loop: Header=BB299_291 Depth=1
	s_or_b64 exec, exec, s[16:17]
.LBB299_466:                            ;   in Loop: Header=BB299_291 Depth=1
	s_or_b64 exec, exec, s[14:15]
	v_mov_b32_e32 v14, v25
	v_cmp_ne_u16_sdwa s[0:1], v25, v15 src0_sel:BYTE_0 src1_sel:DWORD
	v_mov_b32_e32 v50, 0
	v_mov_b32_e32 v49, 0
	s_and_saveexec_b64 s[14:15], s[0:1]
	s_cbranch_execz .LBB299_472
; %bb.467:                              ;   in Loop: Header=BB299_291 Depth=1
	v_cmp_ne_u16_sdwa s[0:1], v25, s26 src0_sel:BYTE_0 src1_sel:DWORD
	v_bfrev_b32_e32 v49, 1
	s_and_saveexec_b64 s[16:17], s[0:1]
	s_cbranch_execz .LBB299_471
; %bb.468:                              ;   in Loop: Header=BB299_291 Depth=1
	v_and_b32_e32 v51, 0x7f, v25
	v_cmp_ne_u32_e64 s[0:1], s27, v51
	v_mov_b32_e32 v49, 0x7fc02000
	s_and_saveexec_b64 s[20:21], s[0:1]
	s_cbranch_execz .LBB299_470
; %bb.469:                              ;   in Loop: Header=BB299_291 Depth=1
	v_and_b32_e32 v49, 7, v25
	v_ffbh_u32_e32 v49, v49
	v_min_u32_e32 v49, 32, v49
	v_subrev_u32_e32 v52, 28, v49
	v_cmp_gt_u32_e64 s[0:1], 8, v51
	v_lshrrev_b32_e32 v54, 3, v51
	v_sub_u32_e32 v49, 29, v49
	v_cndmask_b32_e64 v51, 0, v52, s[0:1]
	v_lshlrev_b64 v[52:53], v51, v[14:15]
	v_cndmask_b32_e64 v49, v54, v49, s[0:1]
	v_lshlrev_b32_e32 v51, 7, v52
	v_lshlrev_b32_e32 v52, 8, v25
	v_lshl_add_u32 v49, v49, 10, v30
	v_and_or_b32 v49, v52, s34, v49
	v_and_or_b32 v49, v51, s36, v49
	v_cvt_f32_f16_e32 v49, v49
.LBB299_470:                            ;   in Loop: Header=BB299_291 Depth=1
	s_or_b64 exec, exec, s[20:21]
.LBB299_471:                            ;   in Loop: Header=BB299_291 Depth=1
	s_or_b64 exec, exec, s[16:17]
.LBB299_472:                            ;   in Loop: Header=BB299_291 Depth=1
	s_or_b64 exec, exec, s[14:15]
	v_lshrrev_b16_e32 v14, 8, v14
	v_cmp_ne_u16_e64 s[0:1], 0, v14
	s_and_saveexec_b64 s[14:15], s[0:1]
	s_cbranch_execz .LBB299_478
; %bb.473:                              ;   in Loop: Header=BB299_291 Depth=1
	v_cmp_ne_u16_e64 s[0:1], s26, v14
	v_bfrev_b32_e32 v50, 1
	s_and_saveexec_b64 s[16:17], s[0:1]
	s_cbranch_execz .LBB299_477
; %bb.474:                              ;   in Loop: Header=BB299_291 Depth=1
	v_and_b32_e32 v51, 0x7f, v14
	v_cmp_ne_u32_e64 s[0:1], s27, v51
	v_mov_b32_e32 v50, 0x7fc02000
	s_and_saveexec_b64 s[20:21], s[0:1]
	s_cbranch_execz .LBB299_476
; %bb.475:                              ;   in Loop: Header=BB299_291 Depth=1
	v_and_b32_e32 v50, 7, v14
	v_ffbh_u32_e32 v52, v50
	v_min_u32_e32 v55, 32, v52
	v_subrev_u32_e32 v52, 28, v55
	v_lshlrev_b64 v[52:53], v52, v[14:15]
	v_lshrrev_b32_e32 v54, 3, v51
	v_sub_u32_e32 v53, 29, v55
	v_cmp_gt_u32_e64 s[0:1], 8, v51
	v_cndmask_b32_e64 v51, v54, v53, s[0:1]
	v_and_b32_e32 v52, 7, v52
	v_lshlrev_b32_e32 v14, 8, v14
	v_lshl_add_u32 v51, v51, 10, v30
	v_cndmask_b32_e64 v50, v50, v52, s[0:1]
	v_and_or_b32 v14, v14, s34, v51
	v_lshl_or_b32 v14, v50, 7, v14
	v_cvt_f32_f16_e32 v50, v14
.LBB299_476:                            ;   in Loop: Header=BB299_291 Depth=1
	s_or_b64 exec, exec, s[20:21]
.LBB299_477:                            ;   in Loop: Header=BB299_291 Depth=1
	s_or_b64 exec, exec, s[16:17]
.LBB299_478:                            ;   in Loop: Header=BB299_291 Depth=1
	s_or_b64 exec, exec, s[14:15]
	v_lshrrev_b32_e32 v14, 16, v25
	v_cmp_ne_u16_sdwa s[0:1], v14, v15 src0_sel:BYTE_0 src1_sel:DWORD
	v_mov_b32_e32 v51, 0
	v_mov_b32_e32 v52, 0
	s_and_saveexec_b64 s[14:15], s[0:1]
	s_cbranch_execz .LBB299_484
; %bb.479:                              ;   in Loop: Header=BB299_291 Depth=1
	v_cmp_ne_u16_sdwa s[0:1], v14, s26 src0_sel:BYTE_0 src1_sel:DWORD
	v_bfrev_b32_e32 v52, 1
	s_and_saveexec_b64 s[16:17], s[0:1]
	s_cbranch_execz .LBB299_483
; %bb.480:                              ;   in Loop: Header=BB299_291 Depth=1
	v_bfe_u32 v53, v25, 16, 7
	v_cmp_ne_u32_e64 s[0:1], s27, v53
	v_mov_b32_e32 v52, 0x7fc02000
	s_and_saveexec_b64 s[20:21], s[0:1]
	s_cbranch_execz .LBB299_482
; %bb.481:                              ;   in Loop: Header=BB299_291 Depth=1
	v_and_b32_e32 v52, 7, v14
	v_ffbh_u32_e32 v54, v52
	v_min_u32_e32 v57, 32, v54
	v_subrev_u32_e32 v54, 28, v57
	v_lshlrev_b64 v[54:55], v54, v[14:15]
	v_lshrrev_b32_e32 v56, 3, v53
	v_sub_u32_e32 v55, 29, v57
	v_cmp_gt_u32_e64 s[0:1], 8, v53
	v_cndmask_b32_e64 v53, v56, v55, s[0:1]
	v_and_b32_e32 v54, 7, v54
	v_lshlrev_b32_e32 v14, 8, v14
	v_lshl_add_u32 v53, v53, 10, v30
	v_cndmask_b32_e64 v52, v52, v54, s[0:1]
	v_and_or_b32 v14, v14, s34, v53
	v_lshl_or_b32 v14, v52, 7, v14
	v_cvt_f32_f16_e32 v52, v14
.LBB299_482:                            ;   in Loop: Header=BB299_291 Depth=1
	s_or_b64 exec, exec, s[20:21]
.LBB299_483:                            ;   in Loop: Header=BB299_291 Depth=1
	s_or_b64 exec, exec, s[16:17]
.LBB299_484:                            ;   in Loop: Header=BB299_291 Depth=1
	s_or_b64 exec, exec, s[14:15]
	v_cmp_lt_u64_e64 s[0:1], s[6:7], v[24:25]
	s_and_saveexec_b64 s[14:15], s[0:1]
	s_cbranch_execz .LBB299_490
; %bb.485:                              ;   in Loop: Header=BB299_291 Depth=1
	v_lshrrev_b32_e32 v14, 24, v25
	v_cmp_ne_u32_e64 s[0:1], s26, v14
	v_bfrev_b32_e32 v51, 1
	s_and_saveexec_b64 s[16:17], s[0:1]
	s_cbranch_execz .LBB299_489
; %bb.486:                              ;   in Loop: Header=BB299_291 Depth=1
	v_and_b32_e32 v24, 0x7f, v14
	v_cmp_ne_u32_e64 s[0:1], s27, v24
	v_mov_b32_e32 v51, 0x7fc02000
	s_and_saveexec_b64 s[20:21], s[0:1]
	s_cbranch_execz .LBB299_488
; %bb.487:                              ;   in Loop: Header=BB299_291 Depth=1
	v_and_b32_e32 v25, 7, v14
	v_ffbh_u32_e32 v53, v25
	v_min_u32_e32 v53, 32, v53
	v_lshrrev_b32_e32 v51, 3, v24
	v_subrev_u32_e32 v54, 28, v53
	v_sub_u32_e32 v53, 29, v53
	v_cmp_gt_u32_e64 s[0:1], 8, v24
	v_lshlrev_b64 v[54:55], v54, v[14:15]
	v_cndmask_b32_e64 v24, v51, v53, s[0:1]
	v_and_b32_e32 v54, 7, v54
	v_lshlrev_b32_e32 v14, 8, v14
	v_lshl_add_u32 v24, v24, 10, v30
	v_cndmask_b32_e64 v25, v25, v54, s[0:1]
	v_and_or_b32 v14, v14, s34, v24
	v_lshl_or_b32 v14, v25, 7, v14
	v_cvt_f32_f16_e32 v51, v14
.LBB299_488:                            ;   in Loop: Header=BB299_291 Depth=1
	s_or_b64 exec, exec, s[20:21]
.LBB299_489:                            ;   in Loop: Header=BB299_291 Depth=1
	s_or_b64 exec, exec, s[16:17]
.LBB299_490:                            ;   in Loop: Header=BB299_291 Depth=1
	s_or_b64 exec, exec, s[14:15]
	s_waitcnt vmcnt(0)
	v_pk_mul_f32 v[22:23], v[18:19], v[22:23] op_sel_hi:[0,1]
	v_pk_mul_f32 v[20:21], v[18:19], v[20:21] op_sel_hi:[0,1]
	v_cvt_f16_f32_e32 v14, v23
	v_cvt_f16_f32_e32 v22, v22
	v_cvt_f16_f32_e32 v21, v21
	v_cvt_f16_f32_e32 v20, v20
	v_pack_b32_f16 v22, v22, v14
	v_pack_b32_f16 v20, v20, v21
	v_fma_mixlo_f16 v21, v18, v50, 0
	v_perm_b32 v14, v20, v22, s37
	v_perm_b32 v20, v20, v22, s38
	v_lshlrev_b32_e32 v21, 16, v21
	v_fma_mixlo_f16 v22, v18, v49, 0
	v_or_b32_sdwa v21, v21, v22 dst_sel:DWORD dst_unused:UNUSED_PAD src0_sel:DWORD src1_sel:WORD_0
	v_fma_mixlo_f16 v22, v18, v52, 0
	v_fma_mixlo_f16 v18, v18, v51, 0
	v_lshlrev_b32_e32 v18, 16, v18
	v_or_b32_sdwa v18, v18, v22 dst_sel:DWORD dst_unused:UNUSED_PAD src0_sel:DWORD src1_sel:WORD_0
	s_and_saveexec_b64 s[14:15], vcc
	s_cbranch_execz .LBB299_492
; %bb.491:                              ;   in Loop: Header=BB299_291 Depth=1
	v_lshrrev_b32_e32 v23, 16, v20
	v_cmp_gt_i32_e64 s[0:1], s25, v38
	v_cndmask_b32_e64 v23, 0, v23, s[0:1]
	v_cmp_gt_i32_e64 s[0:1], s33, v33
	v_cndmask_b32_e64 v20, 0, v20, s[0:1]
	v_perm_b32 v20, v23, v20, s39
	v_lshrrev_b32_e32 v23, 16, v14
	v_cmp_gt_i32_e64 s[0:1], s25, v37
	v_cndmask_b32_e64 v23, 0, v23, s[0:1]
	v_cmp_gt_i32_e64 s[0:1], s33, v36
	v_cndmask_b32_e64 v14, 0, v14, s[0:1]
	v_perm_b32 v14, v23, v14, s39
	v_lshrrev_b32_e32 v23, 16, v21
	v_cmp_gt_i32_e64 s[0:1], s25, v35
	v_cndmask_b32_e64 v23, 0, v23, s[0:1]
	v_cmp_gt_i32_e64 s[0:1], s33, v34
	v_cndmask_b32_e64 v21, 0, v21, s[0:1]
	v_lshrrev_b32_e32 v18, 16, v18
	v_cmp_gt_i32_e64 s[0:1], s25, v32
	v_cndmask_b32_e64 v18, 0, v18, s[0:1]
	v_cmp_gt_i32_e64 s[0:1], s33, v31
	v_cndmask_b32_e64 v22, 0, v22, s[0:1]
	v_perm_b32 v21, v23, v21, s39
	v_perm_b32 v18, v18, v22, s39
.LBB299_492:                            ;   in Loop: Header=BB299_291 Depth=1
	s_or_b64 exec, exec, s[14:15]
	;;#ASMSTART
	v_pk_mul_f16 v20, v42, v20;

	;;#ASMEND
	;;#ASMSTART
	v_pk_mul_f16 v14, v41, v14;

	;;#ASMEND
	;; [unrolled: 4-line block ×4, first 2 shown]
	;;#ASMSTART
	v_pk_add_f16 v14, v20, v14;

	;;#ASMEND
	;;#ASMSTART
	v_pk_add_f16 v14, v14, v21;

	;;#ASMEND
	;; [unrolled: 4-line block ×3, first 2 shown]
	v_lshrrev_b32_e32 v18, 16, v14
	v_and_b32_e32 v14, 0xffff, v14
	;;#ASMSTART
	v_cvt_f32_f16 v24, v14;
	;;#ASMEND
	;;#ASMSTART
	v_cvt_f32_f16 v25, v18;
	;;#ASMEND
	global_load_dwordx2 v[22:23], v[16:17], off offset:2048
	global_load_dword v18, v15, s[18:19]
	v_mov_b32_e32 v20, 0
	v_mov_b32_e32 v16, 0
	s_waitcnt vmcnt(1)
	v_cmp_ne_u16_sdwa s[0:1], v22, v15 src0_sel:BYTE_0 src1_sel:DWORD
	s_and_saveexec_b64 s[14:15], s[0:1]
	s_cbranch_execz .LBB299_498
; %bb.493:                              ;   in Loop: Header=BB299_291 Depth=1
	v_cmp_ne_u16_sdwa s[0:1], v22, s26 src0_sel:BYTE_0 src1_sel:DWORD
	v_bfrev_b32_e32 v16, 1
	s_and_saveexec_b64 s[16:17], s[0:1]
	s_cbranch_execz .LBB299_497
; %bb.494:                              ;   in Loop: Header=BB299_291 Depth=1
	v_and_b32_e32 v14, 0x7f, v22
	v_cmp_ne_u32_e64 s[0:1], s27, v14
	v_mov_b32_e32 v16, 0x7fc02000
	s_and_saveexec_b64 s[20:21], s[0:1]
	s_cbranch_execz .LBB299_496
; %bb.495:                              ;   in Loop: Header=BB299_291 Depth=1
	v_and_b32_e32 v16, 7, v22
	v_ffbh_u32_e32 v16, v16
	v_min_u32_e32 v16, 32, v16
	v_subrev_u32_e32 v17, 28, v16
	v_cmp_gt_u32_e64 s[0:1], 8, v14
	v_lshrrev_b32_e32 v21, 3, v14
	v_sub_u32_e32 v49, 29, v16
	v_cndmask_b32_e64 v14, 0, v17, s[0:1]
	v_lshlrev_b64 v[16:17], v14, v[22:23]
	v_cndmask_b32_e64 v14, v21, v49, s[0:1]
	v_lshlrev_b32_e32 v17, 8, v22
	v_lshl_add_u32 v14, v14, 10, v30
	v_lshlrev_b32_e32 v16, 7, v16
	v_and_or_b32 v14, v17, s34, v14
	v_and_or_b32 v14, v16, s36, v14
	v_cvt_f32_f16_e32 v16, v14
.LBB299_496:                            ;   in Loop: Header=BB299_291 Depth=1
	s_or_b64 exec, exec, s[20:21]
.LBB299_497:                            ;   in Loop: Header=BB299_291 Depth=1
	s_or_b64 exec, exec, s[16:17]
.LBB299_498:                            ;   in Loop: Header=BB299_291 Depth=1
	s_or_b64 exec, exec, s[14:15]
	v_lshrrev_b16_e32 v14, 8, v22
	v_cmp_ne_u16_e64 s[0:1], 0, v14
	s_and_saveexec_b64 s[14:15], s[0:1]
	s_cbranch_execz .LBB299_504
; %bb.499:                              ;   in Loop: Header=BB299_291 Depth=1
	v_cmp_ne_u16_e64 s[0:1], s26, v14
	v_bfrev_b32_e32 v20, 1
	s_and_saveexec_b64 s[16:17], s[0:1]
	s_cbranch_execz .LBB299_503
; %bb.500:                              ;   in Loop: Header=BB299_291 Depth=1
	v_and_b32_e32 v17, 0x7f, v14
	v_cmp_ne_u32_e64 s[0:1], s27, v17
	v_mov_b32_e32 v20, 0x7fc02000
	s_and_saveexec_b64 s[20:21], s[0:1]
	s_cbranch_execz .LBB299_502
; %bb.501:                              ;   in Loop: Header=BB299_291 Depth=1
	v_and_b32_e32 v49, 7, v14
	v_ffbh_u32_e32 v20, v49
	v_min_u32_e32 v51, 32, v20
	v_subrev_u32_e32 v20, 28, v51
	v_lshlrev_b64 v[20:21], v20, v[14:15]
	v_lshrrev_b32_e32 v50, 3, v17
	v_sub_u32_e32 v21, 29, v51
	v_cmp_gt_u32_e64 s[0:1], 8, v17
	v_cndmask_b32_e64 v17, v50, v21, s[0:1]
	v_and_b32_e32 v20, 7, v20
	v_lshlrev_b32_e32 v14, 8, v14
	v_lshl_add_u32 v17, v17, 10, v30
	v_cndmask_b32_e64 v20, v49, v20, s[0:1]
	v_and_or_b32 v14, v14, s34, v17
	v_lshl_or_b32 v14, v20, 7, v14
	v_cvt_f32_f16_e32 v20, v14
.LBB299_502:                            ;   in Loop: Header=BB299_291 Depth=1
	s_or_b64 exec, exec, s[20:21]
.LBB299_503:                            ;   in Loop: Header=BB299_291 Depth=1
	s_or_b64 exec, exec, s[16:17]
.LBB299_504:                            ;   in Loop: Header=BB299_291 Depth=1
	s_or_b64 exec, exec, s[14:15]
	v_lshrrev_b32_e32 v14, 16, v22
	v_cmp_ne_u16_sdwa s[0:1], v14, v15 src0_sel:BYTE_0 src1_sel:DWORD
	v_mov_b32_e32 v21, 0
	v_mov_b32_e32 v17, 0
	s_and_saveexec_b64 s[14:15], s[0:1]
	s_cbranch_execz .LBB299_510
; %bb.505:                              ;   in Loop: Header=BB299_291 Depth=1
	v_cmp_ne_u16_sdwa s[0:1], v14, s26 src0_sel:BYTE_0 src1_sel:DWORD
	v_bfrev_b32_e32 v17, 1
	s_and_saveexec_b64 s[16:17], s[0:1]
	s_cbranch_execz .LBB299_509
; %bb.506:                              ;   in Loop: Header=BB299_291 Depth=1
	v_bfe_u32 v49, v22, 16, 7
	v_cmp_ne_u32_e64 s[0:1], s27, v49
	v_mov_b32_e32 v17, 0x7fc02000
	s_and_saveexec_b64 s[20:21], s[0:1]
	s_cbranch_execz .LBB299_508
; %bb.507:                              ;   in Loop: Header=BB299_291 Depth=1
	v_and_b32_e32 v17, 7, v14
	v_ffbh_u32_e32 v50, v17
	v_min_u32_e32 v53, 32, v50
	v_subrev_u32_e32 v50, 28, v53
	v_lshlrev_b64 v[50:51], v50, v[14:15]
	v_lshrrev_b32_e32 v52, 3, v49
	v_sub_u32_e32 v51, 29, v53
	v_cmp_gt_u32_e64 s[0:1], 8, v49
	v_cndmask_b32_e64 v49, v52, v51, s[0:1]
	v_and_b32_e32 v50, 7, v50
	v_lshlrev_b32_e32 v14, 8, v14
	v_lshl_add_u32 v49, v49, 10, v30
	v_cndmask_b32_e64 v17, v17, v50, s[0:1]
	v_and_or_b32 v14, v14, s34, v49
	v_lshl_or_b32 v14, v17, 7, v14
	v_cvt_f32_f16_e32 v17, v14
.LBB299_508:                            ;   in Loop: Header=BB299_291 Depth=1
	s_or_b64 exec, exec, s[20:21]
.LBB299_509:                            ;   in Loop: Header=BB299_291 Depth=1
	s_or_b64 exec, exec, s[16:17]
.LBB299_510:                            ;   in Loop: Header=BB299_291 Depth=1
	s_or_b64 exec, exec, s[14:15]
	v_cmp_lt_u32_e64 s[0:1], s7, v22
	s_and_saveexec_b64 s[14:15], s[0:1]
	s_cbranch_execz .LBB299_516
; %bb.511:                              ;   in Loop: Header=BB299_291 Depth=1
	v_lshrrev_b32_e32 v14, 24, v22
	v_cmp_ne_u32_e64 s[0:1], s26, v14
	v_bfrev_b32_e32 v21, 1
	s_and_saveexec_b64 s[16:17], s[0:1]
	s_cbranch_execz .LBB299_515
; %bb.512:                              ;   in Loop: Header=BB299_291 Depth=1
	v_and_b32_e32 v49, 0x7f, v14
	v_cmp_ne_u32_e64 s[0:1], s27, v49
	v_mov_b32_e32 v21, 0x7fc02000
	s_and_saveexec_b64 s[20:21], s[0:1]
	s_cbranch_execz .LBB299_514
; %bb.513:                              ;   in Loop: Header=BB299_291 Depth=1
	v_and_b32_e32 v21, 7, v14
	v_ffbh_u32_e32 v50, v21
	v_min_u32_e32 v53, 32, v50
	v_subrev_u32_e32 v50, 28, v53
	v_lshlrev_b64 v[50:51], v50, v[14:15]
	v_lshrrev_b32_e32 v52, 3, v49
	v_sub_u32_e32 v51, 29, v53
	v_cmp_gt_u32_e64 s[0:1], 8, v49
	v_cndmask_b32_e64 v49, v52, v51, s[0:1]
	v_and_b32_e32 v50, 7, v50
	v_lshlrev_b32_e32 v14, 8, v14
	v_lshl_add_u32 v49, v49, 10, v30
	v_cndmask_b32_e64 v21, v21, v50, s[0:1]
	v_and_or_b32 v14, v14, s34, v49
	v_lshl_or_b32 v14, v21, 7, v14
	v_cvt_f32_f16_e32 v21, v14
.LBB299_514:                            ;   in Loop: Header=BB299_291 Depth=1
	s_or_b64 exec, exec, s[20:21]
.LBB299_515:                            ;   in Loop: Header=BB299_291 Depth=1
	s_or_b64 exec, exec, s[16:17]
.LBB299_516:                            ;   in Loop: Header=BB299_291 Depth=1
	s_or_b64 exec, exec, s[14:15]
	v_mov_b32_e32 v14, v23
	v_cmp_ne_u16_sdwa s[0:1], v23, v15 src0_sel:BYTE_0 src1_sel:DWORD
	v_mov_b32_e32 v50, 0
	v_mov_b32_e32 v49, 0
	s_and_saveexec_b64 s[14:15], s[0:1]
	s_cbranch_execz .LBB299_522
; %bb.517:                              ;   in Loop: Header=BB299_291 Depth=1
	v_cmp_ne_u16_sdwa s[0:1], v23, s26 src0_sel:BYTE_0 src1_sel:DWORD
	v_bfrev_b32_e32 v49, 1
	s_and_saveexec_b64 s[16:17], s[0:1]
	s_cbranch_execz .LBB299_521
; %bb.518:                              ;   in Loop: Header=BB299_291 Depth=1
	v_and_b32_e32 v51, 0x7f, v23
	v_cmp_ne_u32_e64 s[0:1], s27, v51
	v_mov_b32_e32 v49, 0x7fc02000
	s_and_saveexec_b64 s[20:21], s[0:1]
	s_cbranch_execz .LBB299_520
; %bb.519:                              ;   in Loop: Header=BB299_291 Depth=1
	v_and_b32_e32 v49, 7, v23
	v_ffbh_u32_e32 v49, v49
	v_min_u32_e32 v49, 32, v49
	v_subrev_u32_e32 v52, 28, v49
	v_cmp_gt_u32_e64 s[0:1], 8, v51
	v_lshrrev_b32_e32 v54, 3, v51
	v_sub_u32_e32 v49, 29, v49
	v_cndmask_b32_e64 v51, 0, v52, s[0:1]
	v_lshlrev_b64 v[52:53], v51, v[14:15]
	v_cndmask_b32_e64 v49, v54, v49, s[0:1]
	v_lshlrev_b32_e32 v51, 7, v52
	v_lshlrev_b32_e32 v52, 8, v23
	v_lshl_add_u32 v49, v49, 10, v30
	v_and_or_b32 v49, v52, s34, v49
	v_and_or_b32 v49, v51, s36, v49
	v_cvt_f32_f16_e32 v49, v49
.LBB299_520:                            ;   in Loop: Header=BB299_291 Depth=1
	s_or_b64 exec, exec, s[20:21]
.LBB299_521:                            ;   in Loop: Header=BB299_291 Depth=1
	s_or_b64 exec, exec, s[16:17]
.LBB299_522:                            ;   in Loop: Header=BB299_291 Depth=1
	s_or_b64 exec, exec, s[14:15]
	v_lshrrev_b16_e32 v14, 8, v14
	v_cmp_ne_u16_e64 s[0:1], 0, v14
	s_and_saveexec_b64 s[14:15], s[0:1]
	s_cbranch_execz .LBB299_528
; %bb.523:                              ;   in Loop: Header=BB299_291 Depth=1
	v_cmp_ne_u16_e64 s[0:1], s26, v14
	v_bfrev_b32_e32 v50, 1
	s_and_saveexec_b64 s[16:17], s[0:1]
	s_cbranch_execz .LBB299_527
; %bb.524:                              ;   in Loop: Header=BB299_291 Depth=1
	v_and_b32_e32 v51, 0x7f, v14
	v_cmp_ne_u32_e64 s[0:1], s27, v51
	v_mov_b32_e32 v50, 0x7fc02000
	s_and_saveexec_b64 s[20:21], s[0:1]
	s_cbranch_execz .LBB299_526
; %bb.525:                              ;   in Loop: Header=BB299_291 Depth=1
	v_and_b32_e32 v50, 7, v14
	v_ffbh_u32_e32 v52, v50
	v_min_u32_e32 v55, 32, v52
	v_subrev_u32_e32 v52, 28, v55
	v_lshlrev_b64 v[52:53], v52, v[14:15]
	v_lshrrev_b32_e32 v54, 3, v51
	v_sub_u32_e32 v53, 29, v55
	v_cmp_gt_u32_e64 s[0:1], 8, v51
	v_cndmask_b32_e64 v51, v54, v53, s[0:1]
	v_and_b32_e32 v52, 7, v52
	v_lshlrev_b32_e32 v14, 8, v14
	v_lshl_add_u32 v51, v51, 10, v30
	v_cndmask_b32_e64 v50, v50, v52, s[0:1]
	v_and_or_b32 v14, v14, s34, v51
	v_lshl_or_b32 v14, v50, 7, v14
	v_cvt_f32_f16_e32 v50, v14
.LBB299_526:                            ;   in Loop: Header=BB299_291 Depth=1
	s_or_b64 exec, exec, s[20:21]
.LBB299_527:                            ;   in Loop: Header=BB299_291 Depth=1
	s_or_b64 exec, exec, s[16:17]
.LBB299_528:                            ;   in Loop: Header=BB299_291 Depth=1
	s_or_b64 exec, exec, s[14:15]
	v_lshrrev_b32_e32 v14, 16, v23
	v_cmp_ne_u16_sdwa s[0:1], v14, v15 src0_sel:BYTE_0 src1_sel:DWORD
	v_mov_b32_e32 v51, 0
	v_mov_b32_e32 v52, 0
	s_and_saveexec_b64 s[14:15], s[0:1]
	s_cbranch_execz .LBB299_534
; %bb.529:                              ;   in Loop: Header=BB299_291 Depth=1
	v_cmp_ne_u16_sdwa s[0:1], v14, s26 src0_sel:BYTE_0 src1_sel:DWORD
	v_bfrev_b32_e32 v52, 1
	s_and_saveexec_b64 s[16:17], s[0:1]
	s_cbranch_execz .LBB299_533
; %bb.530:                              ;   in Loop: Header=BB299_291 Depth=1
	v_bfe_u32 v53, v23, 16, 7
	v_cmp_ne_u32_e64 s[0:1], s27, v53
	v_mov_b32_e32 v52, 0x7fc02000
	s_and_saveexec_b64 s[20:21], s[0:1]
	s_cbranch_execz .LBB299_532
; %bb.531:                              ;   in Loop: Header=BB299_291 Depth=1
	v_and_b32_e32 v52, 7, v14
	v_ffbh_u32_e32 v54, v52
	v_min_u32_e32 v57, 32, v54
	v_subrev_u32_e32 v54, 28, v57
	v_lshlrev_b64 v[54:55], v54, v[14:15]
	v_lshrrev_b32_e32 v56, 3, v53
	v_sub_u32_e32 v55, 29, v57
	v_cmp_gt_u32_e64 s[0:1], 8, v53
	v_cndmask_b32_e64 v53, v56, v55, s[0:1]
	v_and_b32_e32 v54, 7, v54
	v_lshlrev_b32_e32 v14, 8, v14
	v_lshl_add_u32 v53, v53, 10, v30
	v_cndmask_b32_e64 v52, v52, v54, s[0:1]
	v_and_or_b32 v14, v14, s34, v53
	v_lshl_or_b32 v14, v52, 7, v14
	v_cvt_f32_f16_e32 v52, v14
.LBB299_532:                            ;   in Loop: Header=BB299_291 Depth=1
	s_or_b64 exec, exec, s[20:21]
.LBB299_533:                            ;   in Loop: Header=BB299_291 Depth=1
	s_or_b64 exec, exec, s[16:17]
.LBB299_534:                            ;   in Loop: Header=BB299_291 Depth=1
	s_or_b64 exec, exec, s[14:15]
	v_cmp_lt_u64_e64 s[0:1], s[6:7], v[22:23]
	s_and_saveexec_b64 s[14:15], s[0:1]
	s_cbranch_execz .LBB299_540
; %bb.535:                              ;   in Loop: Header=BB299_291 Depth=1
	v_lshrrev_b32_e32 v14, 24, v23
	v_cmp_ne_u32_e64 s[0:1], s26, v14
	v_bfrev_b32_e32 v51, 1
	s_and_saveexec_b64 s[16:17], s[0:1]
	s_cbranch_execz .LBB299_539
; %bb.536:                              ;   in Loop: Header=BB299_291 Depth=1
	v_and_b32_e32 v22, 0x7f, v14
	v_cmp_ne_u32_e64 s[0:1], s27, v22
	v_mov_b32_e32 v51, 0x7fc02000
	s_and_saveexec_b64 s[20:21], s[0:1]
	s_cbranch_execz .LBB299_538
; %bb.537:                              ;   in Loop: Header=BB299_291 Depth=1
	v_and_b32_e32 v23, 7, v14
	v_ffbh_u32_e32 v53, v23
	v_min_u32_e32 v53, 32, v53
	v_lshrrev_b32_e32 v51, 3, v22
	v_subrev_u32_e32 v54, 28, v53
	v_sub_u32_e32 v53, 29, v53
	v_cmp_gt_u32_e64 s[0:1], 8, v22
	v_lshlrev_b64 v[54:55], v54, v[14:15]
	v_cndmask_b32_e64 v22, v51, v53, s[0:1]
	v_and_b32_e32 v54, 7, v54
	v_lshlrev_b32_e32 v14, 8, v14
	v_lshl_add_u32 v22, v22, 10, v30
	v_cndmask_b32_e64 v23, v23, v54, s[0:1]
	v_and_or_b32 v14, v14, s34, v22
	v_lshl_or_b32 v14, v23, 7, v14
	v_cvt_f32_f16_e32 v51, v14
.LBB299_538:                            ;   in Loop: Header=BB299_291 Depth=1
	s_or_b64 exec, exec, s[20:21]
.LBB299_539:                            ;   in Loop: Header=BB299_291 Depth=1
	s_or_b64 exec, exec, s[16:17]
.LBB299_540:                            ;   in Loop: Header=BB299_291 Depth=1
	s_or_b64 exec, exec, s[14:15]
	s_waitcnt vmcnt(0)
	v_pk_mul_f32 v[20:21], v[18:19], v[20:21] op_sel_hi:[0,1]
	v_pk_mul_f32 v[16:17], v[18:19], v[16:17] op_sel_hi:[0,1]
	v_cvt_f16_f32_e32 v14, v21
	v_cvt_f16_f32_e32 v20, v20
	;; [unrolled: 1-line block ×4, first 2 shown]
	v_pack_b32_f16 v20, v20, v14
	v_pack_b32_f16 v16, v16, v17
	v_perm_b32 v14, v16, v20, s37
	v_perm_b32 v17, v16, v20, s38
	v_fma_mixlo_f16 v16, v18, v50, 0
	v_lshlrev_b32_e32 v16, 16, v16
	v_fma_mixlo_f16 v20, v18, v49, 0
	v_or_b32_sdwa v16, v16, v20 dst_sel:DWORD dst_unused:UNUSED_PAD src0_sel:DWORD src1_sel:WORD_0
	v_fma_mixlo_f16 v20, v18, v52, 0
	v_fma_mixlo_f16 v18, v18, v51, 0
	v_lshlrev_b32_e32 v18, 16, v18
	v_or_b32_sdwa v18, v18, v20 dst_sel:DWORD dst_unused:UNUSED_PAD src0_sel:DWORD src1_sel:WORD_0
	s_and_saveexec_b64 s[0:1], vcc
	s_cbranch_execz .LBB299_289
; %bb.541:                              ;   in Loop: Header=BB299_291 Depth=1
	v_lshrrev_b32_e32 v21, 16, v17
	v_cmp_gt_i32_e32 vcc, s25, v38
	v_cndmask_b32_e32 v21, 0, v21, vcc
	v_cmp_gt_i32_e32 vcc, s33, v33
	v_cndmask_b32_e32 v17, 0, v17, vcc
	v_perm_b32 v17, v21, v17, s39
	v_lshrrev_b32_e32 v21, 16, v14
	v_cmp_gt_i32_e32 vcc, s25, v37
	v_cndmask_b32_e32 v21, 0, v21, vcc
	v_cmp_gt_i32_e32 vcc, s33, v36
	v_cndmask_b32_e32 v14, 0, v14, vcc
	v_perm_b32 v14, v21, v14, s39
	v_lshrrev_b32_e32 v21, 16, v16
	v_cmp_gt_i32_e32 vcc, s25, v35
	v_cndmask_b32_e32 v21, 0, v21, vcc
	v_cmp_gt_i32_e32 vcc, s33, v34
	v_cndmask_b32_e32 v16, 0, v16, vcc
	v_lshrrev_b32_e32 v18, 16, v18
	v_cmp_gt_i32_e32 vcc, s25, v32
	v_cndmask_b32_e32 v18, 0, v18, vcc
	v_cmp_gt_i32_e32 vcc, s33, v31
	v_cndmask_b32_e32 v20, 0, v20, vcc
	v_perm_b32 v16, v21, v16, s39
	v_perm_b32 v18, v18, v20, s39
	s_branch .LBB299_289
.LBB299_542:
	s_or_b64 exec, exec, s[10:11]
.LBB299_543:
	s_or_b64 exec, exec, s[4:5]
	ds_bpermute_b32 v8, v7, v2
	ds_bpermute_b32 v9, v7, v3
	;; [unrolled: 1-line block ×5, first 2 shown]
	s_waitcnt lgkmcnt(0)
	v_pk_add_f32 v[2:3], v[2:3], v[8:9]
	ds_bpermute_b32 v8, v26, v2
	v_pk_add_f32 v[4:5], v[4:5], v[10:11]
	v_add_f32_e32 v1, v6, v1
	ds_bpermute_b32 v9, v26, v3
	ds_bpermute_b32 v10, v26, v4
	;; [unrolled: 1-line block ×4, first 2 shown]
	s_barrier
	s_waitcnt lgkmcnt(3)
	v_pk_add_f32 v[6:7], v[2:3], v[8:9]
	s_waitcnt lgkmcnt(0)
	v_pk_add_f32 v[2:3], v[4:5], v[10:11]
	v_add_f32_e32 v4, v1, v12
	v_and_b32_e32 v1, 0x3c3, v0
	v_cmp_eq_u32_e32 vcc, 64, v1
	s_and_saveexec_b64 s[0:1], vcc
	s_cbranch_execz .LBB299_545
; %bb.544:
	v_add_u32_e32 v5, 0xb0, v19
	ds_write2_b32 v5, v6, v7 offset1:16
	ds_write2_b32 v5, v2, v3 offset0:32 offset1:48
	ds_write_b32 v5, v4 offset:256
.LBB299_545:
	s_or_b64 exec, exec, s[0:1]
	v_cmp_gt_u32_e32 vcc, 64, v0
	s_waitcnt lgkmcnt(0)
	s_barrier
	s_and_saveexec_b64 s[0:1], vcc
	s_cbranch_execz .LBB299_553
; %bb.546:
	v_cmp_eq_u32_e32 vcc, 0, v27
	v_lshrrev_b32_e32 v5, 2, v0
	s_and_saveexec_b64 s[4:5], vcc
	s_cbranch_execnz .LBB299_556
; %bb.547:
	s_or_b64 exec, exec, s[4:5]
	s_and_saveexec_b64 s[4:5], vcc
	s_cbranch_execnz .LBB299_557
.LBB299_548:
	s_or_b64 exec, exec, s[4:5]
	s_and_saveexec_b64 s[4:5], vcc
	s_cbranch_execnz .LBB299_558
.LBB299_549:
	s_or_b64 exec, exec, s[4:5]
	s_and_saveexec_b64 s[4:5], vcc
	s_cbranch_execnz .LBB299_559
.LBB299_550:
	s_or_b64 exec, exec, s[4:5]
	s_and_saveexec_b64 s[4:5], vcc
	s_cbranch_execz .LBB299_552
.LBB299_551:
	v_mov_b32_e32 v8, 0xb0
	v_lshl_add_u32 v5, v5, 2, v8
	ds_read_b32 v5, v5 offset:256
	s_waitcnt lgkmcnt(0)
	v_add_f32_e32 v4, v4, v5
.LBB299_552:
	s_or_b64 exec, exec, s[4:5]
.LBB299_553:
	s_or_b64 exec, exec, s[0:1]
	v_cmp_eq_u32_e32 vcc, 0, v1
	s_barrier
	s_and_saveexec_b64 s[0:1], vcc
	s_cbranch_execz .LBB299_555
; %bb.554:
	s_mul_i32 s0, s2, 0x50
	s_ashr_i32 s1, s0, 31
	s_lshl_b64 s[0:1], s[0:1], 1
	s_add_u32 s2, s30, s0
	s_mul_i32 s0, s23, s28
	s_addc_u32 s3, s31, s1
	s_ashr_i32 s1, s0, 31
	s_lshl_b64 s[0:1], s[0:1], 1
	s_add_u32 s2, s2, s0
	s_mul_i32 s0, s8, 0x50
	s_addc_u32 s3, s3, s1
	s_ashr_i32 s1, s0, 31
	s_lshl_b64 s[0:1], s[0:1], 1
	s_add_u32 s0, s2, s0
	s_addc_u32 s1, s3, s1
	v_lshrrev_b32_e32 v0, 1, v0
	;;#ASMSTART
	v_cvt_f16_f32 v1, v6;

	;;#ASMEND
	global_store_short v0, v1, s[0:1]
	;;#ASMSTART
	v_cvt_f16_f32 v1, v7;

	;;#ASMEND
	global_store_short v0, v1, s[0:1] offset:32
	;;#ASMSTART
	v_cvt_f16_f32 v1, v2;

	;;#ASMEND
	global_store_short v0, v1, s[0:1] offset:64
	;; [unrolled: 5-line block ×4, first 2 shown]
.LBB299_555:
	s_endpgm
.LBB299_556:
	v_mov_b32_e32 v8, 0xb0
	v_lshl_add_u32 v8, v5, 2, v8
	ds_read_b32 v8, v8
	s_waitcnt lgkmcnt(0)
	v_add_f32_e32 v6, v6, v8
	s_or_b64 exec, exec, s[4:5]
	s_and_saveexec_b64 s[4:5], vcc
	s_cbranch_execz .LBB299_548
.LBB299_557:
	v_mov_b32_e32 v8, 0xb0
	v_lshl_add_u32 v8, v5, 2, v8
	ds_read_b32 v8, v8 offset:64
	s_waitcnt lgkmcnt(0)
	v_add_f32_e32 v7, v7, v8
	s_or_b64 exec, exec, s[4:5]
	s_and_saveexec_b64 s[4:5], vcc
	s_cbranch_execz .LBB299_549
.LBB299_558:
	v_mov_b32_e32 v8, 0xb0
	v_lshl_add_u32 v8, v5, 2, v8
	ds_read_b32 v8, v8 offset:128
	s_waitcnt lgkmcnt(0)
	v_add_f32_e32 v2, v2, v8
	s_or_b64 exec, exec, s[4:5]
	s_and_saveexec_b64 s[4:5], vcc
	s_cbranch_execz .LBB299_550
.LBB299_559:
	v_mov_b32_e32 v8, 0xb0
	v_lshl_add_u32 v8, v5, 2, v8
	ds_read_b32 v8, v8 offset:192
	s_waitcnt lgkmcnt(0)
	v_add_f32_e32 v3, v3, v8
	s_or_b64 exec, exec, s[4:5]
	s_and_saveexec_b64 s[4:5], vcc
	s_cbranch_execnz .LBB299_551
	s_branch .LBB299_552
	.section	.rodata,"a",@progbits
	.p2align	6, 0x0
	.amdhsa_kernel _ZN4vllm25paged_attention_v2_kernelIthLi80ELi32ELi128ELNS_18Fp8KVCacheDataTypeE1ELb1ELi512EEEvPfS2_PT_PKS3_PKT0_S9_ifPKiSB_iPKfiiiSD_SD_iiiii
		.amdhsa_group_segment_fixed_size 176
		.amdhsa_private_segment_fixed_size 0
		.amdhsa_kernarg_size 400
		.amdhsa_user_sgpr_count 6
		.amdhsa_user_sgpr_private_segment_buffer 1
		.amdhsa_user_sgpr_dispatch_ptr 0
		.amdhsa_user_sgpr_queue_ptr 0
		.amdhsa_user_sgpr_kernarg_segment_ptr 1
		.amdhsa_user_sgpr_dispatch_id 0
		.amdhsa_user_sgpr_flat_scratch_init 0
		.amdhsa_user_sgpr_kernarg_preload_length 0
		.amdhsa_user_sgpr_kernarg_preload_offset 0
		.amdhsa_user_sgpr_private_segment_size 0
		.amdhsa_uses_dynamic_stack 0
		.amdhsa_system_sgpr_private_segment_wavefront_offset 0
		.amdhsa_system_sgpr_workgroup_id_x 1
		.amdhsa_system_sgpr_workgroup_id_y 1
		.amdhsa_system_sgpr_workgroup_id_z 1
		.amdhsa_system_sgpr_workgroup_info 0
		.amdhsa_system_vgpr_workitem_id 0
		.amdhsa_next_free_vgpr 71
		.amdhsa_next_free_sgpr 64
		.amdhsa_accum_offset 72
		.amdhsa_reserve_vcc 1
		.amdhsa_reserve_flat_scratch 0
		.amdhsa_float_round_mode_32 0
		.amdhsa_float_round_mode_16_64 0
		.amdhsa_float_denorm_mode_32 3
		.amdhsa_float_denorm_mode_16_64 3
		.amdhsa_dx10_clamp 1
		.amdhsa_ieee_mode 1
		.amdhsa_fp16_overflow 0
		.amdhsa_tg_split 0
		.amdhsa_exception_fp_ieee_invalid_op 0
		.amdhsa_exception_fp_denorm_src 0
		.amdhsa_exception_fp_ieee_div_zero 0
		.amdhsa_exception_fp_ieee_overflow 0
		.amdhsa_exception_fp_ieee_underflow 0
		.amdhsa_exception_fp_ieee_inexact 0
		.amdhsa_exception_int_div_zero 0
	.end_amdhsa_kernel
	.section	.text._ZN4vllm25paged_attention_v2_kernelIthLi80ELi32ELi128ELNS_18Fp8KVCacheDataTypeE1ELb1ELi512EEEvPfS2_PT_PKS3_PKT0_S9_ifPKiSB_iPKfiiiSD_SD_iiiii,"axG",@progbits,_ZN4vllm25paged_attention_v2_kernelIthLi80ELi32ELi128ELNS_18Fp8KVCacheDataTypeE1ELb1ELi512EEEvPfS2_PT_PKS3_PKT0_S9_ifPKiSB_iPKfiiiSD_SD_iiiii,comdat
.Lfunc_end299:
	.size	_ZN4vllm25paged_attention_v2_kernelIthLi80ELi32ELi128ELNS_18Fp8KVCacheDataTypeE1ELb1ELi512EEEvPfS2_PT_PKS3_PKT0_S9_ifPKiSB_iPKfiiiSD_SD_iiiii, .Lfunc_end299-_ZN4vllm25paged_attention_v2_kernelIthLi80ELi32ELi128ELNS_18Fp8KVCacheDataTypeE1ELb1ELi512EEEvPfS2_PT_PKS3_PKT0_S9_ifPKiSB_iPKfiiiSD_SD_iiiii
                                        ; -- End function
	.section	.AMDGPU.csdata,"",@progbits
; Kernel info:
; codeLenInByte = 22656
; NumSgprs: 68
; NumVgprs: 71
; NumAgprs: 0
; TotalNumVgprs: 71
; ScratchSize: 0
; MemoryBound: 0
; FloatMode: 240
; IeeeMode: 1
; LDSByteSize: 176 bytes/workgroup (compile time only)
; SGPRBlocks: 8
; VGPRBlocks: 8
; NumSGPRsForWavesPerEU: 68
; NumVGPRsForWavesPerEU: 71
; AccumOffset: 72
; Occupancy: 7
; WaveLimiterHint : 1
; COMPUTE_PGM_RSRC2:SCRATCH_EN: 0
; COMPUTE_PGM_RSRC2:USER_SGPR: 6
; COMPUTE_PGM_RSRC2:TRAP_HANDLER: 0
; COMPUTE_PGM_RSRC2:TGID_X_EN: 1
; COMPUTE_PGM_RSRC2:TGID_Y_EN: 1
; COMPUTE_PGM_RSRC2:TGID_Z_EN: 1
; COMPUTE_PGM_RSRC2:TIDIG_COMP_CNT: 0
; COMPUTE_PGM_RSRC3_GFX90A:ACCUM_OFFSET: 17
; COMPUTE_PGM_RSRC3_GFX90A:TG_SPLIT: 0
	.text
	.p2align	2                               ; -- Begin function _ZN4vllm22paged_attention_kernelIthLi96ELi32ELi128ELNS_18Fp8KVCacheDataTypeE1ELb1ELi512EEEvPfS2_PT_PKS3_PKT0_S9_ifPKiSB_iPKfiiiSD_SD_iiiii
	.type	_ZN4vllm22paged_attention_kernelIthLi96ELi32ELi128ELNS_18Fp8KVCacheDataTypeE1ELb1ELi512EEEvPfS2_PT_PKS3_PKT0_S9_ifPKiSB_iPKfiiiSD_SD_iiiii,@function
_ZN4vllm22paged_attention_kernelIthLi96ELi32ELi128ELNS_18Fp8KVCacheDataTypeE1ELb1ELi512EEEvPfS2_PT_PKS3_PKT0_S9_ifPKiSB_iPKfiiiSD_SD_iiiii: ; @_ZN4vllm22paged_attention_kernelIthLi96ELi32ELi128ELNS_18Fp8KVCacheDataTypeE1ELb1ELi512EEEvPfS2_PT_PKS3_PKT0_S9_ifPKiSB_iPKfiiiSD_SD_iiiii
; %bb.0:
	s_waitcnt vmcnt(0) expcnt(0) lgkmcnt(0)
	s_or_saveexec_b64 s[4:5], -1
	buffer_store_dword v63, off, s[0:3], s32 offset:140 ; 4-byte Folded Spill
	s_mov_b64 exec, s[4:5]
	buffer_store_dword v40, off, s[0:3], s32 offset:128 ; 4-byte Folded Spill
	buffer_store_dword v41, off, s[0:3], s32 offset:124 ; 4-byte Folded Spill
	;; [unrolled: 1-line block ×31, first 2 shown]
	v_writelane_b32 v63, s34, 0
	v_writelane_b32 v63, s35, 1
	;; [unrolled: 1-line block ×11, first 2 shown]
	s_mov_b32 s22, s13
	s_ashr_i32 s23, s13, 31
	v_accvgpr_write_b32 a4, v26
	v_accvgpr_write_b32 a35, v25
	s_lshl_b64 s[4:5], s[22:23], 2
	v_accvgpr_write_b32 a5, v27
	v_accvgpr_write_b32 a34, v24
	v_mov_b32_e32 v25, v1
	v_mov_b32_e32 v26, v0
	;; [unrolled: 1-line block ×3, first 2 shown]
	v_add_co_u32_e32 v0, vcc, s4, v16
	v_addc_co_u32_e32 v1, vcc, v17, v1, vcc
	v_mov_b32_e32 v32, v2
	flat_load_dword v2, v[0:1]
	s_nop 0
	buffer_load_dword v0, off, s[0:3], s32 offset:4
	buffer_load_dword v1, off, s[0:3], s32
	s_lshl_b32 s23, s14, 9
	v_accvgpr_write_b32 a6, v22
	v_mov_b32_e32 v35, v20
	v_mov_b32_e32 v34, v19
	v_accvgpr_write_b32 a33, v13
	v_mov_b32_e32 v22, v11
	v_mov_b32_e32 v24, v10
	;; [unrolled: 1-line block ×3, first 2 shown]
	s_waitcnt vmcnt(0) lgkmcnt(0)
	v_accvgpr_write_b32 a8, v2
	v_cmp_lt_i32_e32 vcc, s23, v2
	s_and_saveexec_b64 s[16:17], vcc
	s_cbranch_execz .LBB300_653
; %bb.1:
	v_sub_u32_e32 v2, 0, v12
	v_max_i32_e32 v2, v12, v2
	v_cvt_f32_u32_e32 v3, v2
	s_load_dword s4, s[8:9], 0x10
	s_load_dword s6, s[8:9], 0x0
	v_accvgpr_write_b32 a0, v5
	v_sub_u32_e32 v5, 0, v2
	v_rcp_iflag_f32_e32 v3, v3
	s_waitcnt lgkmcnt(0)
	s_lshr_b32 s4, s4, 16
	s_cmp_lg_u32 s4, 0
	s_cselect_b64 s[4:5], -1, 0
	v_mul_f32_e32 v3, 0x4f7ffffe, v3
	v_cvt_u32_f32_e32 v3, v3
	s_cmp_lg_u64 s[4:5], 0
	s_mov_b32 s20, s15
	s_addc_u32 s15, s6, 0
	v_mul_lo_u32 v5, v5, v3
	v_mul_hi_u32 v5, v3, v5
	s_abs_i32 s4, s15
	v_add_u32_e32 v3, v3, v5
	v_mul_hi_u32 v3, s4, v3
	v_mul_lo_u32 v5, v3, v2
	v_sub_u32_e32 v5, s4, v5
	v_add_u32_e32 v10, 1, v3
	v_cmp_ge_u32_e32 vcc, v5, v2
	v_cndmask_b32_e32 v3, v3, v10, vcc
	v_sub_u32_e32 v10, v5, v2
	v_cndmask_b32_e32 v5, v5, v10, vcc
	v_accvgpr_write_b32 a1, v4
	v_xor_b32_e32 v4, s15, v12
	v_add_u32_e32 v10, 1, v3
	v_cmp_ge_u32_e32 vcc, v5, v2
	v_ashrrev_i32_e32 v4, 31, v4
	v_cndmask_b32_e32 v2, v3, v10, vcc
	v_xor_b32_e32 v2, v2, v4
	v_sub_u32_e32 v2, v2, v4
	v_sub_u32_e32 v3, 0, v2
	v_max_i32_e32 v3, v2, v3
	v_cvt_f32_u32_e32 v4, v3
	v_sub_u32_e32 v5, 0, v3
	s_abs_i32 s6, s12
	v_cmp_ne_u64_e32 vcc, 0, v[34:35]
	v_rcp_iflag_f32_e32 v4, v4
	v_mul_f32_e32 v4, 0x4f7ffffe, v4
	v_cvt_u32_f32_e32 v4, v4
	v_mul_lo_u32 v5, v5, v4
	v_mul_hi_u32 v5, v4, v5
	v_add_u32_e32 v4, v4, v5
	v_mad_u64_u32 v[16:17], s[4:5], s6, v4, 0
	v_mov_b32_e32 v4, 0
	buffer_store_dword v4, off, s[0:3], s32 offset:136 ; 4-byte Folded Spill
	s_and_saveexec_b64 s[4:5], vcc
	s_cbranch_execz .LBB300_3
; %bb.2:
	s_ashr_i32 s13, s12, 31
	s_lshl_b64 s[10:11], s[12:13], 2
	v_mov_b32_e32 v5, s11
	v_add_co_u32_e32 v4, vcc, s10, v34
	v_addc_co_u32_e32 v5, vcc, v35, v5, vcc
	flat_load_dword v4, v[4:5]
	s_waitcnt vmcnt(0) lgkmcnt(0)
	buffer_store_dword v4, off, s[0:3], s32 offset:136 ; 4-byte Folded Spill
.LBB300_3:
	s_or_b64 exec, exec, s[4:5]
	v_and_b32_e32 v19, 0x3ff, v31
	s_ashr_i32 s7, s12, 31
	v_ashrrev_i32_e32 v4, 31, v2
	v_and_b32_e32 v2, 1, v19
	s_movk_i32 s10, 0x60
	s_mul_i32 s18, s12, 0x60
	v_cmp_gt_u32_e32 vcc, 24, v19
	v_lshlrev_b32_e32 v31, 3, v19
	s_and_saveexec_b64 s[4:5], vcc
	s_cbranch_execz .LBB300_5
; %bb.4:
	v_mul_lo_u32 v10, s22, v21
	v_ashrrev_i32_e32 v11, 31, v10
	v_lshlrev_b64 v[10:11], 1, v[10:11]
	v_add_co_u32_e32 v5, vcc, v6, v10
	s_ashr_i32 s19, s18, 31
	v_addc_co_u32_e32 v6, vcc, v7, v11, vcc
	s_lshl_b64 s[24:25], s[18:19], 1
	v_mov_b32_e32 v7, s25
	v_add_co_u32_e32 v5, vcc, s24, v5
	v_addc_co_u32_e32 v7, vcc, v6, v7, vcc
	v_add_co_u32_e32 v6, vcc, v5, v31
	v_addc_co_u32_e32 v7, vcc, 0, v7, vcc
	flat_load_dwordx2 v[6:7], v[6:7]
	v_lshlrev_b32_e32 v5, 2, v19
	v_and_b32_e32 v5, 0xff8, v5
	v_mad_u32_u24 v5, v2, s10, v5
	s_waitcnt vmcnt(0) lgkmcnt(0)
	ds_write_b64 v5, v[6:7]
.LBB300_5:
	s_or_b64 exec, exec, s[4:5]
	v_mul_lo_u32 v5, v17, v3
	v_sub_u32_e32 v5, s6, v5
	v_add_u32_e32 v6, 1, v17
	v_cmp_ge_u32_e32 vcc, v5, v3
	v_sub_u32_e32 v7, v5, v3
	v_cndmask_b32_e32 v6, v17, v6, vcc
	v_cndmask_b32_e32 v5, v5, v7, vcc
	v_add_u32_e32 v7, 1, v6
	v_cmp_ge_u32_e32 vcc, v5, v3
	v_sub_u32_e32 v5, 0, v1
	v_cndmask_b32_e32 v3, v6, v7, vcc
	v_max_i32_e32 v6, v1, v5
	v_cvt_f32_u32_e32 v5, v6
	v_xor_b32_e32 v4, s7, v4
	v_xor_b32_e32 v3, v3, v4
	v_sub_u32_e32 v16, v3, v4
	v_rcp_iflag_f32_e32 v3, v5
	v_accvgpr_read_b32 v4, a8
	v_accvgpr_write_b32 a3, v6
	v_sub_u32_e32 v6, 0, v6
	v_mul_f32_e32 v3, 0x4f7ffffe, v3
	v_cvt_u32_f32_e32 v5, v3
	v_add_u32_e32 v4, -1, v4
	v_sub_u32_e32 v3, 0, v4
	v_max_i32_e32 v3, v4, v3
	v_mul_lo_u32 v6, v6, v5
	v_mul_hi_u32 v6, v5, v6
	v_add_u32_e32 v5, v5, v6
	v_accvgpr_write_b32 a7, v5
	v_mad_u64_u32 v[20:21], s[4:5], v3, v5, 0
	v_cmp_gt_i32_e32 vcc, 0, v0
	s_waitcnt lgkmcnt(0)
	s_barrier
	s_waitcnt lgkmcnt(0)
                                        ; implicit-def: $agpr10
	s_and_saveexec_b64 s[4:5], vcc
	s_xor_b64 s[4:5], exec, s[4:5]
; %bb.6:
	v_mad_u64_u32 v[6:7], s[6:7], v28, v12, v[16:17]
	v_mul_lo_u32 v0, v6, v0
	v_sub_u32_e32 v0, 1, v0
	v_accvgpr_write_b32 a10, v0
                                        ; implicit-def: $vgpr28
                                        ; implicit-def: $vgpr0
; %bb.7:
	s_or_saveexec_b64 s[4:5], s[4:5]
	v_ashrrev_i32_e32 v1, 31, v1
	v_ashrrev_i32_e32 v4, 31, v4
	v_accvgpr_write_b32 a9, v1
	s_xor_b64 exec, exec, s[4:5]
; %bb.8:
	v_mul_lo_u32 v1, s15, v28
	v_add_u32_e32 v1, s12, v1
	v_mad_u64_u32 v[0:1], s[6:7], v1, v0, 1
	v_accvgpr_write_b32 a10, v0
; %bb.9:
	s_or_b64 exec, exec, s[4:5]
	v_accvgpr_read_b32 v5, a9
	v_accvgpr_read_b32 v7, a3
	v_xor_b32_e32 v4, v4, v5
	v_mul_lo_u32 v5, v21, v7
	v_sub_u32_e32 v3, v3, v5
	v_add_u32_e32 v5, 1, v21
	v_cmp_ge_u32_e32 vcc, v3, v7
	v_sub_u32_e32 v6, v3, v7
	v_cndmask_b32_e32 v5, v21, v5, vcc
	v_cndmask_b32_e32 v3, v3, v6, vcc
	v_add_u32_e32 v6, 1, v5
	v_cmp_ge_u32_e32 vcc, v3, v7
	v_cndmask_b32_e32 v3, v5, v6, vcc
	v_xor_b32_e32 v3, v3, v4
	v_sub_u32_e32 v3, v3, v4
	v_accvgpr_read_b32 v4, a8
	v_add_u32_e32 v4, 31, v4
	v_ashrrev_i32_e32 v5, 31, v4
	s_load_dword s38, s[8:9], 0x14
	s_load_dword s13, s[8:9], 0x8
	v_lshrrev_b32_e32 v5, 27, v5
	s_lshl_b32 s19, s14, 4
	v_lshrrev_b32_e32 v28, 6, v19
	v_add_u32_e32 v4, v4, v5
	v_or_b32_e32 v6, s19, v28
	v_mul_lo_u32 v0, s22, v18
	v_ashrrev_i32_e32 v33, 5, v4
	s_add_i32 s4, s19, 16
	v_ashrrev_i32_e32 v7, 31, v6
	v_ashrrev_i32_e32 v1, 31, v0
	v_min_i32_e32 v4, s4, v33
	v_sub_u32_e32 v3, v3, v29
	v_mul_lo_u32 v29, v16, v23
	v_accvgpr_write_b32 a13, v7
	v_accvgpr_write_b32 a11, v4
	v_cmp_lt_i32_e64 s[4:5], v6, v4
	v_mov_b32_e32 v5, 0xff7fffff
	v_accvgpr_write_b32 a14, v3
	v_accvgpr_write_b32 a12, v6
	v_ashrrev_i32_e32 v37, 31, v29
	v_sub_u32_e32 v38, 0, v30
	v_lshlrev_b64 v[34:35], 2, v[0:1]
	v_mbcnt_lo_u32_b32 v4, -1, 0
	v_lshl_add_u32 v0, v28, 5, s23
	s_mov_b64 s[24:25], exec
	s_and_b64 s[6:7], s[24:25], s[4:5]
	v_accvgpr_write_b32 a2, v19
	v_accvgpr_write_b32 a15, v0
	s_mov_b64 exec, s[6:7]
	s_cbranch_execz .LBB300_307
; %bb.10:
	v_bfe_u32 v5, v19, 1, 5
	v_add_co_u32_e64 v0, s[6:7], v8, v29
	v_addc_co_u32_e64 v1, s[6:7], v9, v37, s[6:7]
	v_lshlrev_b32_e32 v3, 4, v5
	v_add_co_u32_e64 v0, s[6:7], v0, v3
	v_addc_co_u32_e64 v1, s[6:7], 0, v1, s[6:7]
	v_accvgpr_write_b32 a39, v1
	v_accvgpr_write_b32 a38, v0
	v_mul_u32_u24_e32 v1, 0x60, v2
	v_accvgpr_write_b32 a42, v1
	buffer_load_dword v1, off, s[0:3], s32 offset:136 ; 4-byte Folded Reload
	v_lshlrev_b32_e32 v0, 2, v2
	v_max_i32_e32 v3, v30, v38
	v_accvgpr_write_b32 a40, v0
	v_cvt_f32_u32_e32 v0, v3
	s_ashr_i32 s21, s20, 31
	v_cmp_eq_u32_e32 vcc, 0, v2
	s_lshl_b64 s[8:9], s[20:21], 2
	v_rcp_iflag_f32_e32 v0, v0
	v_accvgpr_write_b32 a41, v3
	s_getpc_b64 s[10:11]
	s_add_u32 s10, s10, llvm.amdgcn.dynlds.offset.table@rel32@lo+4
	s_addc_u32 s11, s11, llvm.amdgcn.dynlds.offset.table@rel32@hi+12
	s_add_u32 s26, s8, s10
	v_mul_f32_e32 v0, 0x4f7ffffe, v0
	v_cvt_u32_f32_e32 v0, v0
	s_addc_u32 s27, s9, s11
	s_load_dword s21, s[26:27], 0x0
	v_accvgpr_write_b32 a28, v34
	v_accvgpr_write_b32 a27, v33
	;; [unrolled: 1-line block ×16, first 2 shown]
	v_lshl_add_u32 v45, v28, 5, s23
	v_accvgpr_write_b32 a26, v28
	v_accvgpr_write_b32 a37, v5
	s_mov_b64 s[28:29], 0
	s_movk_i32 s39, 0x80
	s_movk_i32 s40, 0x7f
	s_mov_b32 s41, 0x8000
	s_mov_b32 s42, 0xffffff
	v_accvgpr_write_b32 a36, v4
	s_waitcnt vmcnt(0)
	v_cmp_neq_f32_e64 s[6:7], 0, v1
	v_sub_u32_e32 v1, 0, v3
	v_mul_lo_u32 v1, v1, v0
	v_mul_hi_u32 v1, v0, v1
	v_accvgpr_read_b32 v2, a12
	v_add_u32_e32 v0, v0, v1
	v_accvgpr_read_b32 v3, a13
	v_accvgpr_write_b32 a44, v0
	v_lshlrev_b64 v[0:1], 2, v[2:3]
	v_add_co_u32_e64 v0, s[8:9], v34, v0
	v_addc_co_u32_e64 v1, s[8:9], v35, v1, s[8:9]
	v_add_co_u32_e64 v18, s[8:9], v14, v0
	v_lshlrev_b32_e32 v0, 2, v5
	v_lshl_or_b32 v0, v28, 7, v0
	v_accvgpr_write_b32 a43, v0
	v_accvgpr_read_b32 v0, a8
	v_sub_u32_e32 v0, v5, v0
	v_add_u32_e32 v0, 1, v0
	v_accvgpr_write_b32 a45, v0
	v_mbcnt_hi_u32_b32 v0, -1, v4
	v_addc_co_u32_e64 v19, s[8:9], v15, v1, s[8:9]
	v_accvgpr_write_b32 a46, v0
	v_mov_b32_e32 v0, 0xff7fffff
	v_mov_b32_e32 v1, v2
	buffer_store_dword v0, off, s[0:3], s32 offset:132 ; 4-byte Folded Spill
	s_branch .LBB300_13
.LBB300_11:                             ;   in Loop: Header=BB300_13 Depth=1
	s_or_b64 exec, exec, s[30:31]
.LBB300_12:                             ;   in Loop: Header=BB300_13 Depth=1
	s_or_b64 exec, exec, s[10:11]
	s_waitcnt lgkmcnt(0)
	v_accvgpr_read_b32 v1, a47
	v_add_co_u32_e64 v18, s[8:9], 8, v18
	v_add_u32_e32 v1, 2, v1
	v_addc_co_u32_e64 v19, s[8:9], 0, v19, s[8:9]
	v_accvgpr_read_b32 v0, a11
	v_cmp_ge_i32_e64 s[8:9], v1, v0
	v_accvgpr_read_b32 v0, a43
	v_add_u32_e32 v0, 0x100, v0
	v_add_u32_e32 v45, 64, v45
	s_or_b64 s[28:29], s[8:9], s[28:29]
	v_accvgpr_write_b32 a43, v0
	s_andn2_b64 exec, exec, s[28:29]
	s_cbranch_execz .LBB300_306
.LBB300_13:                             ; =>This Inner Loop Header: Depth=1
	v_accvgpr_write_b32 a47, v1
	v_ashrrev_i32_e32 v0, 31, v45
	v_accvgpr_read_b32 v1, a9
	v_xor_b32_e32 v0, v0, v1
	v_sub_u32_e32 v1, 0, v45
	v_max_i32_e32 v1, v45, v1
	v_accvgpr_read_b32 v2, a7
	v_mul_hi_u32 v2, v1, v2
	v_accvgpr_read_b32 v4, a3
	v_mul_lo_u32 v3, v2, v4
	v_sub_u32_e32 v1, v1, v3
	v_add_u32_e32 v3, 1, v2
	v_cmp_ge_u32_e64 s[8:9], v1, v4
	v_cndmask_b32_e64 v2, v2, v3, s[8:9]
	v_sub_u32_e32 v3, v1, v4
	v_cndmask_b32_e64 v1, v1, v3, s[8:9]
	v_add_u32_e32 v3, 1, v2
	v_cmp_ge_u32_e64 s[8:9], v1, v4
	v_cndmask_b32_e64 v1, v2, v3, s[8:9]
	v_xor_b32_e32 v1, v1, v0
	v_sub_u32_e32 v0, v1, v0
	v_accvgpr_read_b32 v2, a10
	v_add_u32_e32 v1, v0, v2
	v_sub_u32_e32 v3, 0, v1
	v_ashrrev_i32_e32 v2, 31, v1
	v_max_i32_e32 v1, v1, v3
	v_accvgpr_read_b32 v4, a44
	v_mul_hi_u32 v3, v1, v4
	v_accvgpr_read_b32 v4, a41
	v_mul_lo_u32 v3, v3, v4
	v_sub_u32_e32 v1, v1, v3
	v_sub_u32_e32 v3, v1, v4
	v_cmp_ge_u32_e64 s[8:9], v1, v4
	v_cndmask_b32_e64 v1, v1, v3, s[8:9]
	v_sub_u32_e32 v3, v1, v4
	v_cmp_ge_u32_e64 s[8:9], v1, v4
	v_cndmask_b32_e64 v1, v1, v3, s[8:9]
	v_xor_b32_e32 v1, v1, v2
	v_sub_u32_e32 v1, v1, v2
	v_cmp_ne_u32_e64 s[8:9], 0, v1
	v_accvgpr_read_b32 v1, a14
	v_cmp_le_i32_e64 s[10:11], v0, v1
	s_and_b64 s[8:9], s[8:9], s[10:11]
	s_and_b64 s[30:31], vcc, s[8:9]
	s_and_saveexec_b64 s[10:11], s[30:31]
	s_cbranch_execz .LBB300_15
; %bb.14:                               ;   in Loop: Header=BB300_13 Depth=1
	v_accvgpr_read_b32 v0, a43
	s_waitcnt lgkmcnt(0)
	v_add_u32_e32 v0, s21, v0
	v_mov_b32_e32 v1, 0xff7fffff
	ds_write_b32 v0, v1
.LBB300_15:                             ;   in Loop: Header=BB300_13 Depth=1
	s_or_b64 exec, exec, s[10:11]
	s_xor_b64 s[8:9], s[8:9], -1
	s_and_saveexec_b64 s[10:11], s[8:9]
	s_cbranch_execz .LBB300_12
; %bb.16:                               ;   in Loop: Header=BB300_13 Depth=1
	flat_load_dword v0, v[18:19]
	v_accvgpr_read_b32 v4, a38
	v_accvgpr_read_b32 v2, a6
	;; [unrolled: 1-line block ×3, first 2 shown]
	v_mov_b32_e32 v23, 0
	v_mov_b32_e32 v28, 0
	s_waitcnt vmcnt(0) lgkmcnt(0)
	v_mad_i64_i32 v[0:1], s[8:9], v0, v2, v[4:5]
	v_accvgpr_read_b32 v2, a40
	v_add_co_u32_e64 v20, s[8:9], v0, v2
	v_addc_co_u32_e64 v21, s[8:9], 0, v1, s[8:9]
	v_accvgpr_read_b32 v0, a34
	flat_load_dword v36, v[20:21]
	v_accvgpr_read_b32 v1, a35
	flat_load_dword v60, v[0:1]
	v_mov_b32_e32 v0, 0
	s_waitcnt vmcnt(0) lgkmcnt(0)
	v_cmp_ne_u16_sdwa s[8:9], v36, v0 src0_sel:BYTE_0 src1_sel:DWORD
	s_and_saveexec_b64 s[30:31], s[8:9]
	s_cbranch_execz .LBB300_22
; %bb.17:                               ;   in Loop: Header=BB300_13 Depth=1
	v_cmp_ne_u16_sdwa s[8:9], v36, s39 src0_sel:BYTE_0 src1_sel:DWORD
	v_bfrev_b32_e32 v28, 1
	s_and_saveexec_b64 s[34:35], s[8:9]
	s_cbranch_execz .LBB300_21
; %bb.18:                               ;   in Loop: Header=BB300_13 Depth=1
	v_and_b32_e32 v0, 0x7f, v36
	v_cmp_ne_u32_e64 s[8:9], s40, v0
	v_mov_b32_e32 v28, 0x7fc02000
	s_and_saveexec_b64 s[36:37], s[8:9]
	s_cbranch_execz .LBB300_20
; %bb.19:                               ;   in Loop: Header=BB300_13 Depth=1
	v_and_b32_e32 v1, 7, v36
	v_ffbh_u32_e32 v2, v1
	v_min_u32_e32 v5, 32, v2
	v_subrev_u32_e32 v2, 28, v5
	v_lshlrev_b64 v[2:3], v2, v[36:37]
	v_lshrrev_b32_e32 v4, 3, v0
	v_sub_u32_e32 v3, 29, v5
	v_cmp_gt_u32_e64 s[8:9], 8, v0
	v_and_b32_e32 v2, 7, v2
	v_cndmask_b32_e64 v0, v4, v3, s[8:9]
	v_mov_b32_e32 v3, 0x2000
	v_cndmask_b32_e64 v1, v1, v2, s[8:9]
	v_lshlrev_b32_e32 v2, 8, v36
	v_lshl_add_u32 v0, v0, 10, v3
	v_and_or_b32 v0, v2, s41, v0
	v_lshl_or_b32 v0, v1, 7, v0
	v_cvt_f32_f16_e32 v28, v0
.LBB300_20:                             ;   in Loop: Header=BB300_13 Depth=1
	s_or_b64 exec, exec, s[36:37]
.LBB300_21:                             ;   in Loop: Header=BB300_13 Depth=1
	s_or_b64 exec, exec, s[34:35]
.LBB300_22:                             ;   in Loop: Header=BB300_13 Depth=1
	s_or_b64 exec, exec, s[30:31]
	v_lshrrev_b16_e32 v38, 8, v36
	v_cmp_ne_u16_e64 s[8:9], 0, v38
	s_and_saveexec_b64 s[30:31], s[8:9]
	s_cbranch_execz .LBB300_28
; %bb.23:                               ;   in Loop: Header=BB300_13 Depth=1
	v_cmp_ne_u16_e64 s[8:9], s39, v38
	v_bfrev_b32_e32 v23, 1
	s_and_saveexec_b64 s[34:35], s[8:9]
	s_cbranch_execz .LBB300_27
; %bb.24:                               ;   in Loop: Header=BB300_13 Depth=1
	v_and_b32_e32 v0, 0x7f, v38
	v_cmp_ne_u32_e64 s[8:9], s40, v0
	v_mov_b32_e32 v23, 0x7fc02000
	s_and_saveexec_b64 s[36:37], s[8:9]
	s_cbranch_execz .LBB300_26
; %bb.25:                               ;   in Loop: Header=BB300_13 Depth=1
	v_and_b32_e32 v1, 7, v38
	v_ffbh_u32_e32 v2, v1
	v_min_u32_e32 v5, 32, v2
	v_subrev_u32_e32 v2, 28, v5
	v_lshlrev_b64 v[2:3], v2, v[38:39]
	v_lshrrev_b32_e32 v4, 3, v0
	v_sub_u32_e32 v3, 29, v5
	v_cmp_gt_u32_e64 s[8:9], 8, v0
	v_and_b32_e32 v2, 7, v2
	v_cndmask_b32_e64 v0, v4, v3, s[8:9]
	v_mov_b32_e32 v3, 0x2000
	v_cndmask_b32_e64 v1, v1, v2, s[8:9]
	v_lshlrev_b32_e32 v2, 8, v38
	v_lshl_add_u32 v0, v0, 10, v3
	v_and_or_b32 v0, v2, s41, v0
	v_lshl_or_b32 v0, v1, 7, v0
	v_cvt_f32_f16_e32 v23, v0
.LBB300_26:                             ;   in Loop: Header=BB300_13 Depth=1
	s_or_b64 exec, exec, s[36:37]
.LBB300_27:                             ;   in Loop: Header=BB300_13 Depth=1
	s_or_b64 exec, exec, s[34:35]
.LBB300_28:                             ;   in Loop: Header=BB300_13 Depth=1
	s_or_b64 exec, exec, s[30:31]
	v_lshrrev_b32_e32 v38, 16, v36
	v_mov_b32_e32 v0, 0
	v_cmp_ne_u16_sdwa s[8:9], v38, v0 src0_sel:BYTE_0 src1_sel:DWORD
	v_mov_b32_e32 v29, 0
	v_mov_b32_e32 v32, 0
	s_and_saveexec_b64 s[30:31], s[8:9]
	s_cbranch_execz .LBB300_34
; %bb.29:                               ;   in Loop: Header=BB300_13 Depth=1
	v_cmp_ne_u16_sdwa s[8:9], v38, s39 src0_sel:BYTE_0 src1_sel:DWORD
	v_bfrev_b32_e32 v32, 1
	s_and_saveexec_b64 s[34:35], s[8:9]
	s_cbranch_execz .LBB300_33
; %bb.30:                               ;   in Loop: Header=BB300_13 Depth=1
	v_bfe_u32 v0, v36, 16, 7
	v_cmp_ne_u32_e64 s[8:9], s40, v0
	v_mov_b32_e32 v32, 0x7fc02000
	s_and_saveexec_b64 s[36:37], s[8:9]
	s_cbranch_execz .LBB300_32
; %bb.31:                               ;   in Loop: Header=BB300_13 Depth=1
	v_and_b32_e32 v1, 7, v38
	v_ffbh_u32_e32 v2, v1
	v_min_u32_e32 v5, 32, v2
	v_subrev_u32_e32 v2, 28, v5
	v_lshlrev_b64 v[2:3], v2, v[38:39]
	v_lshrrev_b32_e32 v4, 3, v0
	v_sub_u32_e32 v3, 29, v5
	v_cmp_gt_u32_e64 s[8:9], 8, v0
	v_and_b32_e32 v2, 7, v2
	v_cndmask_b32_e64 v0, v4, v3, s[8:9]
	v_mov_b32_e32 v3, 0x2000
	v_cndmask_b32_e64 v1, v1, v2, s[8:9]
	v_lshlrev_b32_e32 v2, 8, v38
	v_lshl_add_u32 v0, v0, 10, v3
	v_and_or_b32 v0, v2, s41, v0
	v_lshl_or_b32 v0, v1, 7, v0
	v_cvt_f32_f16_e32 v32, v0
.LBB300_32:                             ;   in Loop: Header=BB300_13 Depth=1
	s_or_b64 exec, exec, s[36:37]
.LBB300_33:                             ;   in Loop: Header=BB300_13 Depth=1
	s_or_b64 exec, exec, s[34:35]
.LBB300_34:                             ;   in Loop: Header=BB300_13 Depth=1
	s_or_b64 exec, exec, s[30:31]
	v_cmp_lt_u32_e64 s[8:9], s42, v36
	s_and_saveexec_b64 s[30:31], s[8:9]
	s_cbranch_execz .LBB300_40
; %bb.35:                               ;   in Loop: Header=BB300_13 Depth=1
	v_lshrrev_b32_e32 v36, 24, v36
	v_cmp_ne_u32_e64 s[8:9], s39, v36
	v_bfrev_b32_e32 v29, 1
	s_and_saveexec_b64 s[34:35], s[8:9]
	s_cbranch_execz .LBB300_39
; %bb.36:                               ;   in Loop: Header=BB300_13 Depth=1
	v_and_b32_e32 v0, 0x7f, v36
	v_cmp_ne_u32_e64 s[8:9], s40, v0
	v_mov_b32_e32 v29, 0x7fc02000
	s_and_saveexec_b64 s[36:37], s[8:9]
	s_cbranch_execz .LBB300_38
; %bb.37:                               ;   in Loop: Header=BB300_13 Depth=1
	v_and_b32_e32 v1, 7, v36
	v_ffbh_u32_e32 v2, v1
	v_min_u32_e32 v5, 32, v2
	v_subrev_u32_e32 v2, 28, v5
	v_lshlrev_b64 v[2:3], v2, v[36:37]
	v_lshrrev_b32_e32 v4, 3, v0
	v_sub_u32_e32 v3, 29, v5
	v_cmp_gt_u32_e64 s[8:9], 8, v0
	v_and_b32_e32 v2, 7, v2
	v_cndmask_b32_e64 v0, v4, v3, s[8:9]
	v_mov_b32_e32 v3, 0x2000
	v_cndmask_b32_e64 v1, v1, v2, s[8:9]
	v_lshlrev_b32_e32 v2, 8, v36
	v_lshl_add_u32 v0, v0, 10, v3
	v_and_or_b32 v0, v2, s41, v0
	v_lshl_or_b32 v0, v1, 7, v0
	v_cvt_f32_f16_e32 v29, v0
.LBB300_38:                             ;   in Loop: Header=BB300_13 Depth=1
	s_or_b64 exec, exec, s[36:37]
.LBB300_39:                             ;   in Loop: Header=BB300_13 Depth=1
	s_or_b64 exec, exec, s[34:35]
.LBB300_40:                             ;   in Loop: Header=BB300_13 Depth=1
	s_or_b64 exec, exec, s[30:31]
	flat_load_dword v36, v[20:21] offset:8
	v_mov_b32_e32 v0, 0
	v_mov_b32_e32 v42, 0
	v_mov_b32_e32 v41, 0
	s_waitcnt vmcnt(0) lgkmcnt(0)
	v_cmp_ne_u16_sdwa s[8:9], v36, v0 src0_sel:BYTE_0 src1_sel:DWORD
	s_and_saveexec_b64 s[30:31], s[8:9]
	s_cbranch_execz .LBB300_46
; %bb.41:                               ;   in Loop: Header=BB300_13 Depth=1
	v_cmp_ne_u16_sdwa s[8:9], v36, s39 src0_sel:BYTE_0 src1_sel:DWORD
	v_bfrev_b32_e32 v41, 1
	s_and_saveexec_b64 s[34:35], s[8:9]
	s_cbranch_execz .LBB300_45
; %bb.42:                               ;   in Loop: Header=BB300_13 Depth=1
	v_and_b32_e32 v0, 0x7f, v36
	v_cmp_ne_u32_e64 s[8:9], s40, v0
	v_mov_b32_e32 v41, 0x7fc02000
	s_and_saveexec_b64 s[36:37], s[8:9]
	s_cbranch_execz .LBB300_44
; %bb.43:                               ;   in Loop: Header=BB300_13 Depth=1
	v_and_b32_e32 v1, 7, v36
	v_ffbh_u32_e32 v2, v1
	v_min_u32_e32 v5, 32, v2
	v_subrev_u32_e32 v2, 28, v5
	v_lshlrev_b64 v[2:3], v2, v[36:37]
	v_lshrrev_b32_e32 v4, 3, v0
	v_sub_u32_e32 v3, 29, v5
	v_cmp_gt_u32_e64 s[8:9], 8, v0
	v_and_b32_e32 v2, 7, v2
	v_cndmask_b32_e64 v0, v4, v3, s[8:9]
	v_mov_b32_e32 v3, 0x2000
	v_cndmask_b32_e64 v1, v1, v2, s[8:9]
	v_lshlrev_b32_e32 v2, 8, v36
	v_lshl_add_u32 v0, v0, 10, v3
	v_and_or_b32 v0, v2, s41, v0
	v_lshl_or_b32 v0, v1, 7, v0
	v_cvt_f32_f16_e32 v41, v0
.LBB300_44:                             ;   in Loop: Header=BB300_13 Depth=1
	s_or_b64 exec, exec, s[36:37]
.LBB300_45:                             ;   in Loop: Header=BB300_13 Depth=1
	s_or_b64 exec, exec, s[34:35]
.LBB300_46:                             ;   in Loop: Header=BB300_13 Depth=1
	s_or_b64 exec, exec, s[30:31]
	v_lshrrev_b16_e32 v38, 8, v36
	v_cmp_ne_u16_e64 s[8:9], 0, v38
	s_and_saveexec_b64 s[30:31], s[8:9]
	s_cbranch_execz .LBB300_52
; %bb.47:                               ;   in Loop: Header=BB300_13 Depth=1
	v_cmp_ne_u16_e64 s[8:9], s39, v38
	v_bfrev_b32_e32 v42, 1
	s_and_saveexec_b64 s[34:35], s[8:9]
	s_cbranch_execz .LBB300_51
; %bb.48:                               ;   in Loop: Header=BB300_13 Depth=1
	v_and_b32_e32 v0, 0x7f, v38
	v_cmp_ne_u32_e64 s[8:9], s40, v0
	v_mov_b32_e32 v42, 0x7fc02000
	s_and_saveexec_b64 s[36:37], s[8:9]
	s_cbranch_execz .LBB300_50
; %bb.49:                               ;   in Loop: Header=BB300_13 Depth=1
	v_and_b32_e32 v2, 7, v38
	v_lshrrev_b32_e32 v3, 3, v0
	v_cmp_gt_u32_e64 s[8:9], 8, v0
	v_ffbh_u32_e32 v0, v2
	v_min_u32_e32 v4, 32, v0
	v_subrev_u32_e32 v0, 28, v4
	v_lshlrev_b64 v[0:1], v0, v[38:39]
	v_sub_u32_e32 v1, 29, v4
	v_and_b32_e32 v0, 7, v0
	v_cndmask_b32_e64 v1, v3, v1, s[8:9]
	v_mov_b32_e32 v3, 0x2000
	v_cndmask_b32_e64 v0, v2, v0, s[8:9]
	v_lshlrev_b32_e32 v2, 8, v38
	v_lshl_add_u32 v1, v1, 10, v3
	v_and_or_b32 v1, v2, s41, v1
	v_lshl_or_b32 v0, v0, 7, v1
	v_cvt_f32_f16_e32 v42, v0
.LBB300_50:                             ;   in Loop: Header=BB300_13 Depth=1
	s_or_b64 exec, exec, s[36:37]
.LBB300_51:                             ;   in Loop: Header=BB300_13 Depth=1
	s_or_b64 exec, exec, s[34:35]
.LBB300_52:                             ;   in Loop: Header=BB300_13 Depth=1
	s_or_b64 exec, exec, s[30:31]
	v_lshrrev_b32_e32 v38, 16, v36
	v_mov_b32_e32 v0, 0
	v_cmp_ne_u16_sdwa s[8:9], v38, v0 src0_sel:BYTE_0 src1_sel:DWORD
	v_mov_b32_e32 v43, 0
	v_mov_b32_e32 v5, 0
	s_and_saveexec_b64 s[30:31], s[8:9]
	s_cbranch_execz .LBB300_58
; %bb.53:                               ;   in Loop: Header=BB300_13 Depth=1
	v_cmp_ne_u16_sdwa s[8:9], v38, s39 src0_sel:BYTE_0 src1_sel:DWORD
	v_bfrev_b32_e32 v5, 1
	s_and_saveexec_b64 s[34:35], s[8:9]
	s_cbranch_execz .LBB300_57
; %bb.54:                               ;   in Loop: Header=BB300_13 Depth=1
	v_bfe_u32 v0, v36, 16, 7
	v_cmp_ne_u32_e64 s[8:9], s40, v0
	v_mov_b32_e32 v5, 0x7fc02000
	s_and_saveexec_b64 s[36:37], s[8:9]
	s_cbranch_execz .LBB300_56
; %bb.55:                               ;   in Loop: Header=BB300_13 Depth=1
	v_and_b32_e32 v1, 7, v38
	v_ffbh_u32_e32 v2, v1
	v_min_u32_e32 v5, 32, v2
	v_subrev_u32_e32 v2, 28, v5
	v_lshlrev_b64 v[2:3], v2, v[38:39]
	v_lshrrev_b32_e32 v4, 3, v0
	v_sub_u32_e32 v3, 29, v5
	v_cmp_gt_u32_e64 s[8:9], 8, v0
	v_and_b32_e32 v2, 7, v2
	v_cndmask_b32_e64 v0, v4, v3, s[8:9]
	v_mov_b32_e32 v3, 0x2000
	v_cndmask_b32_e64 v1, v1, v2, s[8:9]
	v_lshlrev_b32_e32 v2, 8, v38
	v_lshl_add_u32 v0, v0, 10, v3
	v_and_or_b32 v0, v2, s41, v0
	v_lshl_or_b32 v0, v1, 7, v0
	v_cvt_f32_f16_e32 v5, v0
.LBB300_56:                             ;   in Loop: Header=BB300_13 Depth=1
	s_or_b64 exec, exec, s[36:37]
.LBB300_57:                             ;   in Loop: Header=BB300_13 Depth=1
	s_or_b64 exec, exec, s[34:35]
.LBB300_58:                             ;   in Loop: Header=BB300_13 Depth=1
	s_or_b64 exec, exec, s[30:31]
	v_cmp_lt_u32_e64 s[8:9], s42, v36
	s_and_saveexec_b64 s[30:31], s[8:9]
	s_cbranch_execz .LBB300_64
; %bb.59:                               ;   in Loop: Header=BB300_13 Depth=1
	v_lshrrev_b32_e32 v36, 24, v36
	v_cmp_ne_u32_e64 s[8:9], s39, v36
	v_bfrev_b32_e32 v43, 1
	s_and_saveexec_b64 s[34:35], s[8:9]
	s_cbranch_execz .LBB300_63
; %bb.60:                               ;   in Loop: Header=BB300_13 Depth=1
	v_and_b32_e32 v0, 0x7f, v36
	v_cmp_ne_u32_e64 s[8:9], s40, v0
	v_mov_b32_e32 v43, 0x7fc02000
	s_and_saveexec_b64 s[36:37], s[8:9]
	s_cbranch_execz .LBB300_62
; %bb.61:                               ;   in Loop: Header=BB300_13 Depth=1
	v_and_b32_e32 v1, 7, v36
	v_ffbh_u32_e32 v2, v1
	v_min_u32_e32 v6, 32, v2
	v_subrev_u32_e32 v2, 28, v6
	v_lshlrev_b64 v[2:3], v2, v[36:37]
	v_lshrrev_b32_e32 v4, 3, v0
	v_sub_u32_e32 v3, 29, v6
	v_cmp_gt_u32_e64 s[8:9], 8, v0
	v_and_b32_e32 v2, 7, v2
	v_cndmask_b32_e64 v0, v4, v3, s[8:9]
	v_mov_b32_e32 v3, 0x2000
	v_cndmask_b32_e64 v1, v1, v2, s[8:9]
	v_lshlrev_b32_e32 v2, 8, v36
	v_lshl_add_u32 v0, v0, 10, v3
	v_and_or_b32 v0, v2, s41, v0
	v_lshl_or_b32 v0, v1, 7, v0
	v_cvt_f32_f16_e32 v43, v0
.LBB300_62:                             ;   in Loop: Header=BB300_13 Depth=1
	s_or_b64 exec, exec, s[36:37]
.LBB300_63:                             ;   in Loop: Header=BB300_13 Depth=1
	s_or_b64 exec, exec, s[34:35]
.LBB300_64:                             ;   in Loop: Header=BB300_13 Depth=1
	s_or_b64 exec, exec, s[30:31]
	flat_load_dword v36, v[20:21] offset:512
	v_mov_b32_e32 v0, 0
	v_mov_b32_e32 v4, 0
	;; [unrolled: 1-line block ×3, first 2 shown]
	s_waitcnt vmcnt(0) lgkmcnt(0)
	v_cmp_ne_u16_sdwa s[8:9], v36, v0 src0_sel:BYTE_0 src1_sel:DWORD
	s_and_saveexec_b64 s[30:31], s[8:9]
	s_cbranch_execz .LBB300_70
; %bb.65:                               ;   in Loop: Header=BB300_13 Depth=1
	v_cmp_ne_u16_sdwa s[8:9], v36, s39 src0_sel:BYTE_0 src1_sel:DWORD
	v_bfrev_b32_e32 v34, 1
	s_and_saveexec_b64 s[34:35], s[8:9]
	s_cbranch_execz .LBB300_69
; %bb.66:                               ;   in Loop: Header=BB300_13 Depth=1
	v_and_b32_e32 v0, 0x7f, v36
	v_cmp_ne_u32_e64 s[8:9], s40, v0
	v_mov_b32_e32 v34, 0x7fc02000
	s_and_saveexec_b64 s[36:37], s[8:9]
	s_cbranch_execz .LBB300_68
; %bb.67:                               ;   in Loop: Header=BB300_13 Depth=1
	v_and_b32_e32 v1, 7, v36
	v_ffbh_u32_e32 v2, v1
	v_min_u32_e32 v7, 32, v2
	v_subrev_u32_e32 v2, 28, v7
	v_lshlrev_b64 v[2:3], v2, v[36:37]
	v_lshrrev_b32_e32 v6, 3, v0
	v_sub_u32_e32 v3, 29, v7
	v_cmp_gt_u32_e64 s[8:9], 8, v0
	v_and_b32_e32 v2, 7, v2
	v_cndmask_b32_e64 v0, v6, v3, s[8:9]
	v_mov_b32_e32 v3, 0x2000
	v_cndmask_b32_e64 v1, v1, v2, s[8:9]
	v_lshlrev_b32_e32 v2, 8, v36
	v_lshl_add_u32 v0, v0, 10, v3
	v_and_or_b32 v0, v2, s41, v0
	v_lshl_or_b32 v0, v1, 7, v0
	v_cvt_f32_f16_e32 v34, v0
.LBB300_68:                             ;   in Loop: Header=BB300_13 Depth=1
	s_or_b64 exec, exec, s[36:37]
.LBB300_69:                             ;   in Loop: Header=BB300_13 Depth=1
	s_or_b64 exec, exec, s[34:35]
.LBB300_70:                             ;   in Loop: Header=BB300_13 Depth=1
	s_or_b64 exec, exec, s[30:31]
	v_lshrrev_b16_e32 v38, 8, v36
	v_cmp_ne_u16_e64 s[8:9], 0, v38
	s_and_saveexec_b64 s[30:31], s[8:9]
	s_cbranch_execz .LBB300_76
; %bb.71:                               ;   in Loop: Header=BB300_13 Depth=1
	v_cmp_ne_u16_e64 s[8:9], s39, v38
	v_bfrev_b32_e32 v4, 1
	s_and_saveexec_b64 s[34:35], s[8:9]
	s_cbranch_execz .LBB300_75
; %bb.72:                               ;   in Loop: Header=BB300_13 Depth=1
	v_and_b32_e32 v0, 0x7f, v38
	v_cmp_ne_u32_e64 s[8:9], s40, v0
	v_mov_b32_e32 v4, 0x7fc02000
	s_and_saveexec_b64 s[36:37], s[8:9]
	s_cbranch_execz .LBB300_74
; %bb.73:                               ;   in Loop: Header=BB300_13 Depth=1
	v_and_b32_e32 v1, 7, v38
	v_ffbh_u32_e32 v2, v1
	v_min_u32_e32 v6, 32, v2
	v_subrev_u32_e32 v2, 28, v6
	v_lshlrev_b64 v[2:3], v2, v[38:39]
	v_lshrrev_b32_e32 v4, 3, v0
	v_sub_u32_e32 v3, 29, v6
	v_cmp_gt_u32_e64 s[8:9], 8, v0
	v_and_b32_e32 v2, 7, v2
	v_cndmask_b32_e64 v0, v4, v3, s[8:9]
	v_mov_b32_e32 v3, 0x2000
	v_cndmask_b32_e64 v1, v1, v2, s[8:9]
	v_lshlrev_b32_e32 v2, 8, v38
	v_lshl_add_u32 v0, v0, 10, v3
	v_and_or_b32 v0, v2, s41, v0
	v_lshl_or_b32 v0, v1, 7, v0
	v_cvt_f32_f16_e32 v4, v0
.LBB300_74:                             ;   in Loop: Header=BB300_13 Depth=1
	s_or_b64 exec, exec, s[36:37]
.LBB300_75:                             ;   in Loop: Header=BB300_13 Depth=1
	s_or_b64 exec, exec, s[34:35]
.LBB300_76:                             ;   in Loop: Header=BB300_13 Depth=1
	s_or_b64 exec, exec, s[30:31]
	v_lshrrev_b32_e32 v38, 16, v36
	v_mov_b32_e32 v0, 0
	v_cmp_ne_u16_sdwa s[8:9], v38, v0 src0_sel:BYTE_0 src1_sel:DWORD
	v_mov_b32_e32 v35, 0
	v_mov_b32_e32 v53, 0
	s_and_saveexec_b64 s[30:31], s[8:9]
	s_cbranch_execz .LBB300_82
; %bb.77:                               ;   in Loop: Header=BB300_13 Depth=1
	v_cmp_ne_u16_sdwa s[8:9], v38, s39 src0_sel:BYTE_0 src1_sel:DWORD
	v_bfrev_b32_e32 v53, 1
	s_and_saveexec_b64 s[34:35], s[8:9]
	s_cbranch_execz .LBB300_81
; %bb.78:                               ;   in Loop: Header=BB300_13 Depth=1
	v_bfe_u32 v0, v36, 16, 7
	v_cmp_ne_u32_e64 s[8:9], s40, v0
	v_mov_b32_e32 v53, 0x7fc02000
	s_and_saveexec_b64 s[36:37], s[8:9]
	s_cbranch_execz .LBB300_80
; %bb.79:                               ;   in Loop: Header=BB300_13 Depth=1
	v_and_b32_e32 v1, 7, v38
	v_ffbh_u32_e32 v2, v1
	v_min_u32_e32 v7, 32, v2
	v_subrev_u32_e32 v2, 28, v7
	v_lshlrev_b64 v[2:3], v2, v[38:39]
	v_lshrrev_b32_e32 v6, 3, v0
	v_sub_u32_e32 v3, 29, v7
	v_cmp_gt_u32_e64 s[8:9], 8, v0
	v_and_b32_e32 v2, 7, v2
	v_cndmask_b32_e64 v0, v6, v3, s[8:9]
	v_mov_b32_e32 v3, 0x2000
	v_cndmask_b32_e64 v1, v1, v2, s[8:9]
	v_lshlrev_b32_e32 v2, 8, v38
	v_lshl_add_u32 v0, v0, 10, v3
	v_and_or_b32 v0, v2, s41, v0
	v_lshl_or_b32 v0, v1, 7, v0
	v_cvt_f32_f16_e32 v53, v0
.LBB300_80:                             ;   in Loop: Header=BB300_13 Depth=1
	s_or_b64 exec, exec, s[36:37]
.LBB300_81:                             ;   in Loop: Header=BB300_13 Depth=1
	s_or_b64 exec, exec, s[34:35]
.LBB300_82:                             ;   in Loop: Header=BB300_13 Depth=1
	s_or_b64 exec, exec, s[30:31]
	v_cmp_lt_u32_e64 s[8:9], s42, v36
	s_and_saveexec_b64 s[30:31], s[8:9]
	s_cbranch_execz .LBB300_88
; %bb.83:                               ;   in Loop: Header=BB300_13 Depth=1
	v_lshrrev_b32_e32 v36, 24, v36
	v_cmp_ne_u32_e64 s[8:9], s39, v36
	v_bfrev_b32_e32 v35, 1
	s_and_saveexec_b64 s[34:35], s[8:9]
	s_cbranch_execz .LBB300_87
; %bb.84:                               ;   in Loop: Header=BB300_13 Depth=1
	v_and_b32_e32 v0, 0x7f, v36
	v_cmp_ne_u32_e64 s[8:9], s40, v0
	v_mov_b32_e32 v35, 0x7fc02000
	s_and_saveexec_b64 s[36:37], s[8:9]
	s_cbranch_execz .LBB300_86
; %bb.85:                               ;   in Loop: Header=BB300_13 Depth=1
	v_and_b32_e32 v1, 7, v36
	v_ffbh_u32_e32 v2, v1
	v_min_u32_e32 v7, 32, v2
	v_subrev_u32_e32 v2, 28, v7
	v_lshlrev_b64 v[2:3], v2, v[36:37]
	v_lshrrev_b32_e32 v6, 3, v0
	v_sub_u32_e32 v3, 29, v7
	v_cmp_gt_u32_e64 s[8:9], 8, v0
	v_and_b32_e32 v2, 7, v2
	v_cndmask_b32_e64 v0, v6, v3, s[8:9]
	v_mov_b32_e32 v3, 0x2000
	v_cndmask_b32_e64 v1, v1, v2, s[8:9]
	v_lshlrev_b32_e32 v2, 8, v36
	v_lshl_add_u32 v0, v0, 10, v3
	v_and_or_b32 v0, v2, s41, v0
	v_lshl_or_b32 v0, v1, 7, v0
	v_cvt_f32_f16_e32 v35, v0
.LBB300_86:                             ;   in Loop: Header=BB300_13 Depth=1
	s_or_b64 exec, exec, s[36:37]
.LBB300_87:                             ;   in Loop: Header=BB300_13 Depth=1
	s_or_b64 exec, exec, s[34:35]
.LBB300_88:                             ;   in Loop: Header=BB300_13 Depth=1
	s_or_b64 exec, exec, s[30:31]
	flat_load_dword v36, v[20:21] offset:520
	v_mov_b32_e32 v0, 0
	v_mov_b32_e32 v11, 0
	;; [unrolled: 1-line block ×3, first 2 shown]
	s_waitcnt vmcnt(0) lgkmcnt(0)
	v_cmp_ne_u16_sdwa s[8:9], v36, v0 src0_sel:BYTE_0 src1_sel:DWORD
	s_and_saveexec_b64 s[30:31], s[8:9]
	s_cbranch_execz .LBB300_94
; %bb.89:                               ;   in Loop: Header=BB300_13 Depth=1
	v_cmp_ne_u16_sdwa s[8:9], v36, s39 src0_sel:BYTE_0 src1_sel:DWORD
	v_bfrev_b32_e32 v47, 1
	s_and_saveexec_b64 s[34:35], s[8:9]
	s_cbranch_execz .LBB300_93
; %bb.90:                               ;   in Loop: Header=BB300_13 Depth=1
	v_and_b32_e32 v0, 0x7f, v36
	v_cmp_ne_u32_e64 s[8:9], s40, v0
	v_mov_b32_e32 v47, 0x7fc02000
	s_and_saveexec_b64 s[36:37], s[8:9]
	s_cbranch_execz .LBB300_92
; %bb.91:                               ;   in Loop: Header=BB300_13 Depth=1
	v_and_b32_e32 v1, 7, v36
	v_ffbh_u32_e32 v2, v1
	v_min_u32_e32 v7, 32, v2
	v_subrev_u32_e32 v2, 28, v7
	v_lshlrev_b64 v[2:3], v2, v[36:37]
	v_lshrrev_b32_e32 v6, 3, v0
	v_sub_u32_e32 v3, 29, v7
	v_cmp_gt_u32_e64 s[8:9], 8, v0
	v_and_b32_e32 v2, 7, v2
	v_cndmask_b32_e64 v0, v6, v3, s[8:9]
	v_mov_b32_e32 v3, 0x2000
	v_cndmask_b32_e64 v1, v1, v2, s[8:9]
	v_lshlrev_b32_e32 v2, 8, v36
	v_lshl_add_u32 v0, v0, 10, v3
	v_and_or_b32 v0, v2, s41, v0
	v_lshl_or_b32 v0, v1, 7, v0
	v_cvt_f32_f16_e32 v47, v0
.LBB300_92:                             ;   in Loop: Header=BB300_13 Depth=1
	s_or_b64 exec, exec, s[36:37]
.LBB300_93:                             ;   in Loop: Header=BB300_13 Depth=1
	s_or_b64 exec, exec, s[34:35]
.LBB300_94:                             ;   in Loop: Header=BB300_13 Depth=1
	s_or_b64 exec, exec, s[30:31]
	v_lshrrev_b16_e32 v38, 8, v36
	v_cmp_ne_u16_e64 s[8:9], 0, v38
	s_and_saveexec_b64 s[30:31], s[8:9]
	s_cbranch_execz .LBB300_100
; %bb.95:                               ;   in Loop: Header=BB300_13 Depth=1
	v_cmp_ne_u16_e64 s[8:9], s39, v38
	v_bfrev_b32_e32 v11, 1
	s_and_saveexec_b64 s[34:35], s[8:9]
	s_cbranch_execz .LBB300_99
; %bb.96:                               ;   in Loop: Header=BB300_13 Depth=1
	v_and_b32_e32 v0, 0x7f, v38
	v_cmp_ne_u32_e64 s[8:9], s40, v0
	v_mov_b32_e32 v11, 0x7fc02000
	s_and_saveexec_b64 s[36:37], s[8:9]
	s_cbranch_execz .LBB300_98
; %bb.97:                               ;   in Loop: Header=BB300_13 Depth=1
	v_and_b32_e32 v2, 7, v38
	v_lshrrev_b32_e32 v3, 3, v0
	v_cmp_gt_u32_e64 s[8:9], 8, v0
	v_ffbh_u32_e32 v0, v2
	v_min_u32_e32 v6, 32, v0
	v_subrev_u32_e32 v0, 28, v6
	v_lshlrev_b64 v[0:1], v0, v[38:39]
	v_sub_u32_e32 v1, 29, v6
	v_and_b32_e32 v0, 7, v0
	v_cndmask_b32_e64 v1, v3, v1, s[8:9]
	v_mov_b32_e32 v3, 0x2000
	v_cndmask_b32_e64 v0, v2, v0, s[8:9]
	v_lshlrev_b32_e32 v2, 8, v38
	v_lshl_add_u32 v1, v1, 10, v3
	v_and_or_b32 v1, v2, s41, v1
	v_lshl_or_b32 v0, v0, 7, v1
	v_cvt_f32_f16_e32 v11, v0
.LBB300_98:                             ;   in Loop: Header=BB300_13 Depth=1
	s_or_b64 exec, exec, s[36:37]
.LBB300_99:                             ;   in Loop: Header=BB300_13 Depth=1
	s_or_b64 exec, exec, s[34:35]
.LBB300_100:                            ;   in Loop: Header=BB300_13 Depth=1
	s_or_b64 exec, exec, s[30:31]
	v_lshrrev_b32_e32 v38, 16, v36
	v_mov_b32_e32 v0, 0
	v_cmp_ne_u16_sdwa s[8:9], v38, v0 src0_sel:BYTE_0 src1_sel:DWORD
	v_mov_b32_e32 v10, 0
	v_mov_b32_e32 v1, 0
	s_and_saveexec_b64 s[30:31], s[8:9]
	s_cbranch_execz .LBB300_106
; %bb.101:                              ;   in Loop: Header=BB300_13 Depth=1
	v_cmp_ne_u16_sdwa s[8:9], v38, s39 src0_sel:BYTE_0 src1_sel:DWORD
	v_bfrev_b32_e32 v1, 1
	s_and_saveexec_b64 s[34:35], s[8:9]
	s_cbranch_execz .LBB300_105
; %bb.102:                              ;   in Loop: Header=BB300_13 Depth=1
	v_bfe_u32 v0, v36, 16, 7
	v_cmp_ne_u32_e64 s[8:9], s40, v0
	v_mov_b32_e32 v1, 0x7fc02000
	s_and_saveexec_b64 s[36:37], s[8:9]
	s_cbranch_execz .LBB300_104
; %bb.103:                              ;   in Loop: Header=BB300_13 Depth=1
	v_and_b32_e32 v1, 7, v38
	v_ffbh_u32_e32 v2, v1
	v_min_u32_e32 v7, 32, v2
	v_subrev_u32_e32 v2, 28, v7
	v_lshlrev_b64 v[2:3], v2, v[38:39]
	v_lshrrev_b32_e32 v6, 3, v0
	v_sub_u32_e32 v3, 29, v7
	v_cmp_gt_u32_e64 s[8:9], 8, v0
	v_and_b32_e32 v2, 7, v2
	v_cndmask_b32_e64 v0, v6, v3, s[8:9]
	v_mov_b32_e32 v3, 0x2000
	v_cndmask_b32_e64 v1, v1, v2, s[8:9]
	v_lshlrev_b32_e32 v2, 8, v38
	v_lshl_add_u32 v0, v0, 10, v3
	v_and_or_b32 v0, v2, s41, v0
	v_lshl_or_b32 v0, v1, 7, v0
	v_cvt_f32_f16_e32 v1, v0
.LBB300_104:                            ;   in Loop: Header=BB300_13 Depth=1
	s_or_b64 exec, exec, s[36:37]
.LBB300_105:                            ;   in Loop: Header=BB300_13 Depth=1
	s_or_b64 exec, exec, s[34:35]
.LBB300_106:                            ;   in Loop: Header=BB300_13 Depth=1
	s_or_b64 exec, exec, s[30:31]
	v_cmp_lt_u32_e64 s[8:9], s42, v36
	s_and_saveexec_b64 s[30:31], s[8:9]
	s_cbranch_execz .LBB300_112
; %bb.107:                              ;   in Loop: Header=BB300_13 Depth=1
	v_lshrrev_b32_e32 v36, 24, v36
	v_cmp_ne_u32_e64 s[8:9], s39, v36
	v_bfrev_b32_e32 v10, 1
	s_and_saveexec_b64 s[34:35], s[8:9]
	s_cbranch_execz .LBB300_111
; %bb.108:                              ;   in Loop: Header=BB300_13 Depth=1
	v_and_b32_e32 v0, 0x7f, v36
	v_cmp_ne_u32_e64 s[8:9], s40, v0
	v_mov_b32_e32 v10, 0x7fc02000
	s_and_saveexec_b64 s[36:37], s[8:9]
	s_cbranch_execz .LBB300_110
; %bb.109:                              ;   in Loop: Header=BB300_13 Depth=1
	v_and_b32_e32 v6, 7, v36
	v_ffbh_u32_e32 v2, v6
	v_min_u32_e32 v8, 32, v2
	v_subrev_u32_e32 v2, 28, v8
	v_lshlrev_b64 v[2:3], v2, v[36:37]
	v_lshrrev_b32_e32 v7, 3, v0
	v_sub_u32_e32 v3, 29, v8
	v_and_b32_e32 v2, 7, v2
	v_cmp_gt_u32_e64 s[8:9], 8, v0
	v_cndmask_b32_e64 v0, v7, v3, s[8:9]
	v_cndmask_b32_e64 v2, v6, v2, s[8:9]
	v_mov_b32_e32 v6, 0x2000
	v_lshlrev_b32_e32 v3, 8, v36
	v_lshl_add_u32 v0, v0, 10, v6
	v_and_or_b32 v0, v3, s41, v0
	v_lshl_or_b32 v0, v2, 7, v0
	v_cvt_f32_f16_e32 v10, v0
.LBB300_110:                            ;   in Loop: Header=BB300_13 Depth=1
	s_or_b64 exec, exec, s[36:37]
.LBB300_111:                            ;   in Loop: Header=BB300_13 Depth=1
	s_or_b64 exec, exec, s[34:35]
.LBB300_112:                            ;   in Loop: Header=BB300_13 Depth=1
	s_or_b64 exec, exec, s[30:31]
	flat_load_dword v36, v[20:21] offset:1024
	v_mov_b32_e32 v2, 0
	v_mov_b32_e32 v0, 0
	;; [unrolled: 1-line block ×3, first 2 shown]
	s_waitcnt vmcnt(0) lgkmcnt(0)
	v_cmp_ne_u16_sdwa s[8:9], v36, v2 src0_sel:BYTE_0 src1_sel:DWORD
	s_and_saveexec_b64 s[30:31], s[8:9]
	s_cbranch_execz .LBB300_118
; %bb.113:                              ;   in Loop: Header=BB300_13 Depth=1
	v_cmp_ne_u16_sdwa s[8:9], v36, s39 src0_sel:BYTE_0 src1_sel:DWORD
	v_bfrev_b32_e32 v3, 1
	s_and_saveexec_b64 s[34:35], s[8:9]
	s_cbranch_execz .LBB300_117
; %bb.114:                              ;   in Loop: Header=BB300_13 Depth=1
	v_and_b32_e32 v2, 0x7f, v36
	v_cmp_ne_u32_e64 s[8:9], s40, v2
	v_mov_b32_e32 v3, 0x7fc02000
	s_and_saveexec_b64 s[36:37], s[8:9]
	s_cbranch_execz .LBB300_116
; %bb.115:                              ;   in Loop: Header=BB300_13 Depth=1
	v_and_b32_e32 v3, 7, v36
	v_ffbh_u32_e32 v6, v3
	v_min_u32_e32 v9, 32, v6
	v_subrev_u32_e32 v6, 28, v9
	v_lshlrev_b64 v[6:7], v6, v[36:37]
	v_lshrrev_b32_e32 v8, 3, v2
	v_sub_u32_e32 v7, 29, v9
	v_cmp_gt_u32_e64 s[8:9], 8, v2
	v_and_b32_e32 v6, 7, v6
	v_cndmask_b32_e64 v2, v8, v7, s[8:9]
	v_mov_b32_e32 v7, 0x2000
	v_cndmask_b32_e64 v3, v3, v6, s[8:9]
	v_lshlrev_b32_e32 v6, 8, v36
	v_lshl_add_u32 v2, v2, 10, v7
	v_and_or_b32 v2, v6, s41, v2
	v_lshl_or_b32 v2, v3, 7, v2
	v_cvt_f32_f16_e32 v3, v2
.LBB300_116:                            ;   in Loop: Header=BB300_13 Depth=1
	s_or_b64 exec, exec, s[36:37]
.LBB300_117:                            ;   in Loop: Header=BB300_13 Depth=1
	s_or_b64 exec, exec, s[34:35]
.LBB300_118:                            ;   in Loop: Header=BB300_13 Depth=1
	s_or_b64 exec, exec, s[30:31]
	v_lshrrev_b16_e32 v38, 8, v36
	v_cmp_ne_u16_e64 s[8:9], 0, v38
	s_and_saveexec_b64 s[30:31], s[8:9]
	s_cbranch_execz .LBB300_124
; %bb.119:                              ;   in Loop: Header=BB300_13 Depth=1
	v_cmp_ne_u16_e64 s[8:9], s39, v38
	v_bfrev_b32_e32 v0, 1
	s_and_saveexec_b64 s[34:35], s[8:9]
	s_cbranch_execz .LBB300_123
; %bb.120:                              ;   in Loop: Header=BB300_13 Depth=1
	v_and_b32_e32 v2, 0x7f, v38
	v_cmp_ne_u32_e64 s[8:9], s40, v2
	v_mov_b32_e32 v0, 0x7fc02000
	s_and_saveexec_b64 s[36:37], s[8:9]
	s_cbranch_execz .LBB300_122
; %bb.121:                              ;   in Loop: Header=BB300_13 Depth=1
	v_and_b32_e32 v0, 7, v38
	v_ffbh_u32_e32 v6, v0
	v_min_u32_e32 v9, 32, v6
	v_subrev_u32_e32 v6, 28, v9
	v_lshlrev_b64 v[6:7], v6, v[38:39]
	v_lshrrev_b32_e32 v8, 3, v2
	v_sub_u32_e32 v7, 29, v9
	v_cmp_gt_u32_e64 s[8:9], 8, v2
	v_and_b32_e32 v6, 7, v6
	v_cndmask_b32_e64 v2, v8, v7, s[8:9]
	v_mov_b32_e32 v7, 0x2000
	v_cndmask_b32_e64 v0, v0, v6, s[8:9]
	v_lshlrev_b32_e32 v6, 8, v38
	v_lshl_add_u32 v2, v2, 10, v7
	v_and_or_b32 v2, v6, s41, v2
	v_lshl_or_b32 v0, v0, 7, v2
	v_cvt_f32_f16_e32 v0, v0
.LBB300_122:                            ;   in Loop: Header=BB300_13 Depth=1
	s_or_b64 exec, exec, s[36:37]
.LBB300_123:                            ;   in Loop: Header=BB300_13 Depth=1
	s_or_b64 exec, exec, s[34:35]
.LBB300_124:                            ;   in Loop: Header=BB300_13 Depth=1
	s_or_b64 exec, exec, s[30:31]
	v_lshrrev_b32_e32 v38, 16, v36
	v_mov_b32_e32 v2, 0
	v_cmp_ne_u16_sdwa s[8:9], v38, v2 src0_sel:BYTE_0 src1_sel:DWORD
	v_mov_b32_e32 v2, 0
	v_mov_b32_e32 v51, 0
	s_and_saveexec_b64 s[30:31], s[8:9]
	s_cbranch_execz .LBB300_130
; %bb.125:                              ;   in Loop: Header=BB300_13 Depth=1
	v_cmp_ne_u16_sdwa s[8:9], v38, s39 src0_sel:BYTE_0 src1_sel:DWORD
	v_bfrev_b32_e32 v51, 1
	s_and_saveexec_b64 s[34:35], s[8:9]
	s_cbranch_execz .LBB300_129
; %bb.126:                              ;   in Loop: Header=BB300_13 Depth=1
	v_bfe_u32 v6, v36, 16, 7
	v_cmp_ne_u32_e64 s[8:9], s40, v6
	v_mov_b32_e32 v51, 0x7fc02000
	s_and_saveexec_b64 s[36:37], s[8:9]
	s_cbranch_execz .LBB300_128
; %bb.127:                              ;   in Loop: Header=BB300_13 Depth=1
	v_and_b32_e32 v7, 7, v38
	v_ffbh_u32_e32 v8, v7
	v_min_u32_e32 v13, 32, v8
	v_subrev_u32_e32 v8, 28, v13
	v_lshlrev_b64 v[8:9], v8, v[38:39]
	v_lshrrev_b32_e32 v12, 3, v6
	v_sub_u32_e32 v9, 29, v13
	v_cmp_gt_u32_e64 s[8:9], 8, v6
	v_and_b32_e32 v8, 7, v8
	v_cndmask_b32_e64 v6, v12, v9, s[8:9]
	v_mov_b32_e32 v9, 0x2000
	v_cndmask_b32_e64 v7, v7, v8, s[8:9]
	v_lshlrev_b32_e32 v8, 8, v38
	v_lshl_add_u32 v6, v6, 10, v9
	v_and_or_b32 v6, v8, s41, v6
	v_lshl_or_b32 v6, v7, 7, v6
	v_cvt_f32_f16_e32 v51, v6
.LBB300_128:                            ;   in Loop: Header=BB300_13 Depth=1
	s_or_b64 exec, exec, s[36:37]
.LBB300_129:                            ;   in Loop: Header=BB300_13 Depth=1
	s_or_b64 exec, exec, s[34:35]
.LBB300_130:                            ;   in Loop: Header=BB300_13 Depth=1
	s_or_b64 exec, exec, s[30:31]
	v_cmp_lt_u32_e64 s[8:9], s42, v36
	s_and_saveexec_b64 s[30:31], s[8:9]
	s_cbranch_execz .LBB300_136
; %bb.131:                              ;   in Loop: Header=BB300_13 Depth=1
	v_lshrrev_b32_e32 v36, 24, v36
	v_cmp_ne_u32_e64 s[8:9], s39, v36
	v_bfrev_b32_e32 v2, 1
	s_and_saveexec_b64 s[34:35], s[8:9]
	s_cbranch_execz .LBB300_135
; %bb.132:                              ;   in Loop: Header=BB300_13 Depth=1
	v_and_b32_e32 v6, 0x7f, v36
	v_cmp_ne_u32_e64 s[8:9], s40, v6
	v_mov_b32_e32 v2, 0x7fc02000
	s_and_saveexec_b64 s[36:37], s[8:9]
	s_cbranch_execz .LBB300_134
; %bb.133:                              ;   in Loop: Header=BB300_13 Depth=1
	v_and_b32_e32 v2, 7, v36
	v_ffbh_u32_e32 v8, v2
	v_min_u32_e32 v12, 32, v8
	v_subrev_u32_e32 v8, 28, v12
	v_lshlrev_b64 v[8:9], v8, v[36:37]
	v_lshrrev_b32_e32 v7, 3, v6
	v_sub_u32_e32 v9, 29, v12
	v_and_b32_e32 v8, 7, v8
	v_cmp_gt_u32_e64 s[8:9], 8, v6
	v_cndmask_b32_e64 v6, v7, v9, s[8:9]
	v_cndmask_b32_e64 v2, v2, v8, s[8:9]
	v_mov_b32_e32 v8, 0x2000
	v_lshlrev_b32_e32 v7, 8, v36
	v_lshl_add_u32 v6, v6, 10, v8
	v_and_or_b32 v6, v7, s41, v6
	v_lshl_or_b32 v2, v2, 7, v6
	v_cvt_f32_f16_e32 v2, v2
.LBB300_134:                            ;   in Loop: Header=BB300_13 Depth=1
	s_or_b64 exec, exec, s[36:37]
.LBB300_135:                            ;   in Loop: Header=BB300_13 Depth=1
	s_or_b64 exec, exec, s[34:35]
.LBB300_136:                            ;   in Loop: Header=BB300_13 Depth=1
	s_or_b64 exec, exec, s[30:31]
	flat_load_dword v36, v[20:21] offset:1032
	v_mov_b32_e32 v6, 0
	v_mov_b32_e32 v40, 0
	;; [unrolled: 1-line block ×3, first 2 shown]
	s_waitcnt vmcnt(0) lgkmcnt(0)
	v_cmp_ne_u16_sdwa s[8:9], v36, v6 src0_sel:BYTE_0 src1_sel:DWORD
	s_and_saveexec_b64 s[30:31], s[8:9]
	s_cbranch_execz .LBB300_142
; %bb.137:                              ;   in Loop: Header=BB300_13 Depth=1
	v_cmp_ne_u16_sdwa s[8:9], v36, s39 src0_sel:BYTE_0 src1_sel:DWORD
	v_bfrev_b32_e32 v15, 1
	s_and_saveexec_b64 s[34:35], s[8:9]
	s_cbranch_execz .LBB300_141
; %bb.138:                              ;   in Loop: Header=BB300_13 Depth=1
	v_and_b32_e32 v6, 0x7f, v36
	v_cmp_ne_u32_e64 s[8:9], s40, v6
	v_mov_b32_e32 v15, 0x7fc02000
	s_and_saveexec_b64 s[36:37], s[8:9]
	s_cbranch_execz .LBB300_140
; %bb.139:                              ;   in Loop: Header=BB300_13 Depth=1
	v_and_b32_e32 v7, 7, v36
	v_ffbh_u32_e32 v8, v7
	v_min_u32_e32 v13, 32, v8
	v_subrev_u32_e32 v8, 28, v13
	v_lshlrev_b64 v[8:9], v8, v[36:37]
	v_lshrrev_b32_e32 v12, 3, v6
	v_sub_u32_e32 v9, 29, v13
	v_cmp_gt_u32_e64 s[8:9], 8, v6
	v_and_b32_e32 v8, 7, v8
	v_cndmask_b32_e64 v6, v12, v9, s[8:9]
	v_mov_b32_e32 v9, 0x2000
	v_cndmask_b32_e64 v7, v7, v8, s[8:9]
	v_lshlrev_b32_e32 v8, 8, v36
	v_lshl_add_u32 v6, v6, 10, v9
	v_and_or_b32 v6, v8, s41, v6
	v_lshl_or_b32 v6, v7, 7, v6
	v_cvt_f32_f16_e32 v15, v6
.LBB300_140:                            ;   in Loop: Header=BB300_13 Depth=1
	s_or_b64 exec, exec, s[36:37]
.LBB300_141:                            ;   in Loop: Header=BB300_13 Depth=1
	s_or_b64 exec, exec, s[34:35]
.LBB300_142:                            ;   in Loop: Header=BB300_13 Depth=1
	s_or_b64 exec, exec, s[30:31]
	v_lshrrev_b16_e32 v38, 8, v36
	v_cmp_ne_u16_e64 s[8:9], 0, v38
	s_and_saveexec_b64 s[30:31], s[8:9]
	s_cbranch_execz .LBB300_148
; %bb.143:                              ;   in Loop: Header=BB300_13 Depth=1
	v_cmp_ne_u16_e64 s[8:9], s39, v38
	v_bfrev_b32_e32 v40, 1
	s_and_saveexec_b64 s[34:35], s[8:9]
	s_cbranch_execz .LBB300_147
; %bb.144:                              ;   in Loop: Header=BB300_13 Depth=1
	v_and_b32_e32 v6, 0x7f, v38
	v_cmp_ne_u32_e64 s[8:9], s40, v6
	v_mov_b32_e32 v40, 0x7fc02000
	s_and_saveexec_b64 s[36:37], s[8:9]
	s_cbranch_execz .LBB300_146
; %bb.145:                              ;   in Loop: Header=BB300_13 Depth=1
	v_and_b32_e32 v7, 7, v38
	v_ffbh_u32_e32 v8, v7
	v_min_u32_e32 v13, 32, v8
	v_subrev_u32_e32 v8, 28, v13
	v_lshlrev_b64 v[8:9], v8, v[38:39]
	v_lshrrev_b32_e32 v12, 3, v6
	v_sub_u32_e32 v9, 29, v13
	v_cmp_gt_u32_e64 s[8:9], 8, v6
	v_and_b32_e32 v8, 7, v8
	v_cndmask_b32_e64 v6, v12, v9, s[8:9]
	v_mov_b32_e32 v9, 0x2000
	v_cndmask_b32_e64 v7, v7, v8, s[8:9]
	v_lshlrev_b32_e32 v8, 8, v38
	v_lshl_add_u32 v6, v6, 10, v9
	v_and_or_b32 v6, v8, s41, v6
	v_lshl_or_b32 v6, v7, 7, v6
	v_cvt_f32_f16_e32 v40, v6
.LBB300_146:                            ;   in Loop: Header=BB300_13 Depth=1
	s_or_b64 exec, exec, s[36:37]
.LBB300_147:                            ;   in Loop: Header=BB300_13 Depth=1
	s_or_b64 exec, exec, s[34:35]
.LBB300_148:                            ;   in Loop: Header=BB300_13 Depth=1
	s_or_b64 exec, exec, s[30:31]
	v_lshrrev_b32_e32 v38, 16, v36
	v_mov_b32_e32 v6, 0
	v_cmp_ne_u16_sdwa s[8:9], v38, v6 src0_sel:BYTE_0 src1_sel:DWORD
	v_mov_b32_e32 v14, 0
	v_mov_b32_e32 v33, 0
	s_and_saveexec_b64 s[30:31], s[8:9]
	s_cbranch_execz .LBB300_154
; %bb.149:                              ;   in Loop: Header=BB300_13 Depth=1
	v_cmp_ne_u16_sdwa s[8:9], v38, s39 src0_sel:BYTE_0 src1_sel:DWORD
	v_bfrev_b32_e32 v33, 1
	s_and_saveexec_b64 s[34:35], s[8:9]
	s_cbranch_execz .LBB300_153
; %bb.150:                              ;   in Loop: Header=BB300_13 Depth=1
	v_bfe_u32 v6, v36, 16, 7
	v_cmp_ne_u32_e64 s[8:9], s40, v6
	v_mov_b32_e32 v33, 0x7fc02000
	s_and_saveexec_b64 s[36:37], s[8:9]
	s_cbranch_execz .LBB300_152
; %bb.151:                              ;   in Loop: Header=BB300_13 Depth=1
	v_and_b32_e32 v7, 7, v38
	v_ffbh_u32_e32 v8, v7
	v_min_u32_e32 v13, 32, v8
	v_subrev_u32_e32 v8, 28, v13
	v_lshlrev_b64 v[8:9], v8, v[38:39]
	v_lshrrev_b32_e32 v12, 3, v6
	v_sub_u32_e32 v9, 29, v13
	v_cmp_gt_u32_e64 s[8:9], 8, v6
	v_and_b32_e32 v8, 7, v8
	v_cndmask_b32_e64 v6, v12, v9, s[8:9]
	v_mov_b32_e32 v9, 0x2000
	v_cndmask_b32_e64 v7, v7, v8, s[8:9]
	v_lshlrev_b32_e32 v8, 8, v38
	v_lshl_add_u32 v6, v6, 10, v9
	v_and_or_b32 v6, v8, s41, v6
	v_lshl_or_b32 v6, v7, 7, v6
	v_cvt_f32_f16_e32 v33, v6
.LBB300_152:                            ;   in Loop: Header=BB300_13 Depth=1
	s_or_b64 exec, exec, s[36:37]
.LBB300_153:                            ;   in Loop: Header=BB300_13 Depth=1
	s_or_b64 exec, exec, s[34:35]
.LBB300_154:                            ;   in Loop: Header=BB300_13 Depth=1
	s_or_b64 exec, exec, s[30:31]
	v_cmp_lt_u32_e64 s[8:9], s42, v36
	s_and_saveexec_b64 s[30:31], s[8:9]
	s_cbranch_execz .LBB300_160
; %bb.155:                              ;   in Loop: Header=BB300_13 Depth=1
	v_lshrrev_b32_e32 v36, 24, v36
	v_cmp_ne_u32_e64 s[8:9], s39, v36
	v_bfrev_b32_e32 v14, 1
	s_and_saveexec_b64 s[34:35], s[8:9]
	s_cbranch_execz .LBB300_159
; %bb.156:                              ;   in Loop: Header=BB300_13 Depth=1
	v_and_b32_e32 v6, 0x7f, v36
	v_cmp_ne_u32_e64 s[8:9], s40, v6
	v_mov_b32_e32 v14, 0x7fc02000
	s_and_saveexec_b64 s[36:37], s[8:9]
	s_cbranch_execz .LBB300_158
; %bb.157:                              ;   in Loop: Header=BB300_13 Depth=1
	v_and_b32_e32 v7, 7, v36
	v_ffbh_u32_e32 v8, v7
	v_min_u32_e32 v13, 32, v8
	v_subrev_u32_e32 v8, 28, v13
	v_lshlrev_b64 v[8:9], v8, v[36:37]
	v_lshrrev_b32_e32 v12, 3, v6
	v_sub_u32_e32 v9, 29, v13
	v_cmp_gt_u32_e64 s[8:9], 8, v6
	v_and_b32_e32 v8, 7, v8
	v_cndmask_b32_e64 v6, v12, v9, s[8:9]
	v_mov_b32_e32 v9, 0x2000
	v_cndmask_b32_e64 v7, v7, v8, s[8:9]
	v_lshlrev_b32_e32 v8, 8, v36
	v_lshl_add_u32 v6, v6, 10, v9
	v_and_or_b32 v6, v8, s41, v6
	v_lshl_or_b32 v6, v7, 7, v6
	v_cvt_f32_f16_e32 v14, v6
.LBB300_158:                            ;   in Loop: Header=BB300_13 Depth=1
	s_or_b64 exec, exec, s[36:37]
.LBB300_159:                            ;   in Loop: Header=BB300_13 Depth=1
	s_or_b64 exec, exec, s[34:35]
.LBB300_160:                            ;   in Loop: Header=BB300_13 Depth=1
	s_or_b64 exec, exec, s[30:31]
	flat_load_dword v36, v[20:21] offset:1536
	v_mov_b32_e32 v6, 0
	v_mov_b32_e32 v12, 0
	;; [unrolled: 1-line block ×3, first 2 shown]
	s_waitcnt vmcnt(0) lgkmcnt(0)
	v_cmp_ne_u16_sdwa s[8:9], v36, v6 src0_sel:BYTE_0 src1_sel:DWORD
	s_and_saveexec_b64 s[30:31], s[8:9]
	s_cbranch_execz .LBB300_166
; %bb.161:                              ;   in Loop: Header=BB300_13 Depth=1
	v_cmp_ne_u16_sdwa s[8:9], v36, s39 src0_sel:BYTE_0 src1_sel:DWORD
	v_bfrev_b32_e32 v56, 1
	s_and_saveexec_b64 s[34:35], s[8:9]
	s_cbranch_execz .LBB300_165
; %bb.162:                              ;   in Loop: Header=BB300_13 Depth=1
	v_and_b32_e32 v6, 0x7f, v36
	v_cmp_ne_u32_e64 s[8:9], s40, v6
	v_mov_b32_e32 v56, 0x7fc02000
	s_and_saveexec_b64 s[36:37], s[8:9]
	s_cbranch_execz .LBB300_164
; %bb.163:                              ;   in Loop: Header=BB300_13 Depth=1
	v_and_b32_e32 v7, 7, v36
	v_ffbh_u32_e32 v8, v7
	v_min_u32_e32 v16, 32, v8
	v_subrev_u32_e32 v8, 28, v16
	v_lshlrev_b64 v[8:9], v8, v[36:37]
	v_lshrrev_b32_e32 v13, 3, v6
	v_sub_u32_e32 v9, 29, v16
	v_cmp_gt_u32_e64 s[8:9], 8, v6
	v_and_b32_e32 v8, 7, v8
	v_cndmask_b32_e64 v6, v13, v9, s[8:9]
	v_mov_b32_e32 v9, 0x2000
	v_cndmask_b32_e64 v7, v7, v8, s[8:9]
	v_lshlrev_b32_e32 v8, 8, v36
	v_lshl_add_u32 v6, v6, 10, v9
	v_and_or_b32 v6, v8, s41, v6
	v_lshl_or_b32 v6, v7, 7, v6
	v_cvt_f32_f16_e32 v56, v6
.LBB300_164:                            ;   in Loop: Header=BB300_13 Depth=1
	s_or_b64 exec, exec, s[36:37]
.LBB300_165:                            ;   in Loop: Header=BB300_13 Depth=1
	s_or_b64 exec, exec, s[34:35]
.LBB300_166:                            ;   in Loop: Header=BB300_13 Depth=1
	s_or_b64 exec, exec, s[30:31]
	v_lshrrev_b16_e32 v38, 8, v36
	v_cmp_ne_u16_e64 s[8:9], 0, v38
	s_and_saveexec_b64 s[30:31], s[8:9]
	s_cbranch_execz .LBB300_172
; %bb.167:                              ;   in Loop: Header=BB300_13 Depth=1
	v_cmp_ne_u16_e64 s[8:9], s39, v38
	v_bfrev_b32_e32 v12, 1
	s_and_saveexec_b64 s[34:35], s[8:9]
	s_cbranch_execz .LBB300_171
; %bb.168:                              ;   in Loop: Header=BB300_13 Depth=1
	v_and_b32_e32 v6, 0x7f, v38
	v_cmp_ne_u32_e64 s[8:9], s40, v6
	v_mov_b32_e32 v12, 0x7fc02000
	s_and_saveexec_b64 s[36:37], s[8:9]
	s_cbranch_execz .LBB300_170
; %bb.169:                              ;   in Loop: Header=BB300_13 Depth=1
	v_and_b32_e32 v7, 7, v38
	v_ffbh_u32_e32 v8, v7
	v_min_u32_e32 v13, 32, v8
	v_subrev_u32_e32 v8, 28, v13
	v_lshlrev_b64 v[8:9], v8, v[38:39]
	v_lshrrev_b32_e32 v12, 3, v6
	v_sub_u32_e32 v9, 29, v13
	v_cmp_gt_u32_e64 s[8:9], 8, v6
	v_and_b32_e32 v8, 7, v8
	v_cndmask_b32_e64 v6, v12, v9, s[8:9]
	v_mov_b32_e32 v9, 0x2000
	v_cndmask_b32_e64 v7, v7, v8, s[8:9]
	v_lshlrev_b32_e32 v8, 8, v38
	v_lshl_add_u32 v6, v6, 10, v9
	v_and_or_b32 v6, v8, s41, v6
	v_lshl_or_b32 v6, v7, 7, v6
	v_cvt_f32_f16_e32 v12, v6
.LBB300_170:                            ;   in Loop: Header=BB300_13 Depth=1
	s_or_b64 exec, exec, s[36:37]
.LBB300_171:                            ;   in Loop: Header=BB300_13 Depth=1
	s_or_b64 exec, exec, s[34:35]
.LBB300_172:                            ;   in Loop: Header=BB300_13 Depth=1
	s_or_b64 exec, exec, s[30:31]
	v_lshrrev_b32_e32 v38, 16, v36
	v_mov_b32_e32 v6, 0
	v_cmp_ne_u16_sdwa s[8:9], v38, v6 src0_sel:BYTE_0 src1_sel:DWORD
	v_mov_b32_e32 v30, 0
	v_mov_b32_e32 v50, 0
	s_and_saveexec_b64 s[30:31], s[8:9]
	s_cbranch_execz .LBB300_178
; %bb.173:                              ;   in Loop: Header=BB300_13 Depth=1
	v_cmp_ne_u16_sdwa s[8:9], v38, s39 src0_sel:BYTE_0 src1_sel:DWORD
	v_bfrev_b32_e32 v50, 1
	s_and_saveexec_b64 s[34:35], s[8:9]
	s_cbranch_execz .LBB300_177
; %bb.174:                              ;   in Loop: Header=BB300_13 Depth=1
	v_bfe_u32 v6, v36, 16, 7
	v_cmp_ne_u32_e64 s[8:9], s40, v6
	v_mov_b32_e32 v50, 0x7fc02000
	s_and_saveexec_b64 s[36:37], s[8:9]
	s_cbranch_execz .LBB300_176
; %bb.175:                              ;   in Loop: Header=BB300_13 Depth=1
	v_and_b32_e32 v7, 7, v38
	v_ffbh_u32_e32 v8, v7
	v_min_u32_e32 v16, 32, v8
	v_subrev_u32_e32 v8, 28, v16
	v_lshlrev_b64 v[8:9], v8, v[38:39]
	v_lshrrev_b32_e32 v13, 3, v6
	v_sub_u32_e32 v9, 29, v16
	v_cmp_gt_u32_e64 s[8:9], 8, v6
	v_and_b32_e32 v8, 7, v8
	v_cndmask_b32_e64 v6, v13, v9, s[8:9]
	v_mov_b32_e32 v9, 0x2000
	v_cndmask_b32_e64 v7, v7, v8, s[8:9]
	v_lshlrev_b32_e32 v8, 8, v38
	v_lshl_add_u32 v6, v6, 10, v9
	v_and_or_b32 v6, v8, s41, v6
	v_lshl_or_b32 v6, v7, 7, v6
	v_cvt_f32_f16_e32 v50, v6
.LBB300_176:                            ;   in Loop: Header=BB300_13 Depth=1
	s_or_b64 exec, exec, s[36:37]
.LBB300_177:                            ;   in Loop: Header=BB300_13 Depth=1
	s_or_b64 exec, exec, s[34:35]
.LBB300_178:                            ;   in Loop: Header=BB300_13 Depth=1
	s_or_b64 exec, exec, s[30:31]
	v_cmp_lt_u32_e64 s[8:9], s42, v36
	s_and_saveexec_b64 s[30:31], s[8:9]
	s_cbranch_execz .LBB300_184
; %bb.179:                              ;   in Loop: Header=BB300_13 Depth=1
	v_lshrrev_b32_e32 v36, 24, v36
	v_cmp_ne_u32_e64 s[8:9], s39, v36
	v_bfrev_b32_e32 v30, 1
	s_and_saveexec_b64 s[34:35], s[8:9]
	s_cbranch_execz .LBB300_183
; %bb.180:                              ;   in Loop: Header=BB300_13 Depth=1
	v_and_b32_e32 v6, 0x7f, v36
	v_cmp_ne_u32_e64 s[8:9], s40, v6
	v_mov_b32_e32 v30, 0x7fc02000
	s_and_saveexec_b64 s[36:37], s[8:9]
	s_cbranch_execz .LBB300_182
; %bb.181:                              ;   in Loop: Header=BB300_13 Depth=1
	v_and_b32_e32 v7, 7, v36
	v_ffbh_u32_e32 v8, v7
	v_min_u32_e32 v16, 32, v8
	v_subrev_u32_e32 v8, 28, v16
	v_lshlrev_b64 v[8:9], v8, v[36:37]
	v_lshrrev_b32_e32 v13, 3, v6
	v_sub_u32_e32 v9, 29, v16
	v_cmp_gt_u32_e64 s[8:9], 8, v6
	v_and_b32_e32 v8, 7, v8
	v_cndmask_b32_e64 v6, v13, v9, s[8:9]
	v_mov_b32_e32 v9, 0x2000
	v_cndmask_b32_e64 v7, v7, v8, s[8:9]
	v_lshlrev_b32_e32 v8, 8, v36
	v_lshl_add_u32 v6, v6, 10, v9
	v_and_or_b32 v6, v8, s41, v6
	v_lshl_or_b32 v6, v7, 7, v6
	v_cvt_f32_f16_e32 v30, v6
.LBB300_182:                            ;   in Loop: Header=BB300_13 Depth=1
	s_or_b64 exec, exec, s[36:37]
.LBB300_183:                            ;   in Loop: Header=BB300_13 Depth=1
	s_or_b64 exec, exec, s[34:35]
.LBB300_184:                            ;   in Loop: Header=BB300_13 Depth=1
	s_or_b64 exec, exec, s[30:31]
	flat_load_dword v36, v[20:21] offset:1544
	v_mov_b32_e32 v6, 0
	v_mov_b32_e32 v49, 0
	;; [unrolled: 1-line block ×3, first 2 shown]
	s_waitcnt vmcnt(0) lgkmcnt(0)
	v_cmp_ne_u16_sdwa s[8:9], v36, v6 src0_sel:BYTE_0 src1_sel:DWORD
	s_and_saveexec_b64 s[30:31], s[8:9]
	s_cbranch_execz .LBB300_190
; %bb.185:                              ;   in Loop: Header=BB300_13 Depth=1
	v_cmp_ne_u16_sdwa s[8:9], v36, s39 src0_sel:BYTE_0 src1_sel:DWORD
	v_bfrev_b32_e32 v13, 1
	s_and_saveexec_b64 s[34:35], s[8:9]
	s_cbranch_execz .LBB300_189
; %bb.186:                              ;   in Loop: Header=BB300_13 Depth=1
	v_and_b32_e32 v6, 0x7f, v36
	v_cmp_ne_u32_e64 s[8:9], s40, v6
	v_mov_b32_e32 v13, 0x7fc02000
	s_and_saveexec_b64 s[36:37], s[8:9]
	s_cbranch_execz .LBB300_188
; %bb.187:                              ;   in Loop: Header=BB300_13 Depth=1
	v_and_b32_e32 v7, 7, v36
	v_ffbh_u32_e32 v8, v7
	v_min_u32_e32 v16, 32, v8
	v_subrev_u32_e32 v8, 28, v16
	v_lshlrev_b64 v[8:9], v8, v[36:37]
	v_lshrrev_b32_e32 v13, 3, v6
	v_sub_u32_e32 v9, 29, v16
	v_cmp_gt_u32_e64 s[8:9], 8, v6
	v_and_b32_e32 v8, 7, v8
	v_cndmask_b32_e64 v6, v13, v9, s[8:9]
	v_mov_b32_e32 v9, 0x2000
	v_cndmask_b32_e64 v7, v7, v8, s[8:9]
	v_lshlrev_b32_e32 v8, 8, v36
	v_lshl_add_u32 v6, v6, 10, v9
	v_and_or_b32 v6, v8, s41, v6
	v_lshl_or_b32 v6, v7, 7, v6
	v_cvt_f32_f16_e32 v13, v6
.LBB300_188:                            ;   in Loop: Header=BB300_13 Depth=1
	s_or_b64 exec, exec, s[36:37]
.LBB300_189:                            ;   in Loop: Header=BB300_13 Depth=1
	s_or_b64 exec, exec, s[34:35]
.LBB300_190:                            ;   in Loop: Header=BB300_13 Depth=1
	s_or_b64 exec, exec, s[30:31]
	v_lshrrev_b16_e32 v38, 8, v36
	v_cmp_ne_u16_e64 s[8:9], 0, v38
	s_and_saveexec_b64 s[30:31], s[8:9]
	s_cbranch_execz .LBB300_196
; %bb.191:                              ;   in Loop: Header=BB300_13 Depth=1
	v_cmp_ne_u16_e64 s[8:9], s39, v38
	v_bfrev_b32_e32 v49, 1
	s_and_saveexec_b64 s[34:35], s[8:9]
	s_cbranch_execz .LBB300_195
; %bb.192:                              ;   in Loop: Header=BB300_13 Depth=1
	v_and_b32_e32 v6, 0x7f, v38
	v_cmp_ne_u32_e64 s[8:9], s40, v6
	v_mov_b32_e32 v49, 0x7fc02000
	s_and_saveexec_b64 s[36:37], s[8:9]
	s_cbranch_execz .LBB300_194
; %bb.193:                              ;   in Loop: Header=BB300_13 Depth=1
	v_and_b32_e32 v8, 7, v38
	v_lshrrev_b32_e32 v9, 3, v6
	v_cmp_gt_u32_e64 s[8:9], 8, v6
	v_ffbh_u32_e32 v6, v8
	v_min_u32_e32 v16, 32, v6
	v_subrev_u32_e32 v6, 28, v16
	v_lshlrev_b64 v[6:7], v6, v[38:39]
	v_sub_u32_e32 v7, 29, v16
	v_and_b32_e32 v6, 7, v6
	v_cndmask_b32_e64 v7, v9, v7, s[8:9]
	v_mov_b32_e32 v9, 0x2000
	v_cndmask_b32_e64 v6, v8, v6, s[8:9]
	v_lshlrev_b32_e32 v8, 8, v38
	v_lshl_add_u32 v7, v7, 10, v9
	v_and_or_b32 v7, v8, s41, v7
	v_lshl_or_b32 v6, v6, 7, v7
	v_cvt_f32_f16_e32 v49, v6
.LBB300_194:                            ;   in Loop: Header=BB300_13 Depth=1
	s_or_b64 exec, exec, s[36:37]
.LBB300_195:                            ;   in Loop: Header=BB300_13 Depth=1
	s_or_b64 exec, exec, s[34:35]
.LBB300_196:                            ;   in Loop: Header=BB300_13 Depth=1
	s_or_b64 exec, exec, s[30:31]
	v_lshrrev_b32_e32 v38, 16, v36
	v_mov_b32_e32 v6, 0
	v_cmp_ne_u16_sdwa s[8:9], v38, v6 src0_sel:BYTE_0 src1_sel:DWORD
	v_mov_b32_e32 v39, 0
	v_mov_b32_e32 v48, 0
	s_and_saveexec_b64 s[30:31], s[8:9]
	s_cbranch_execz .LBB300_202
; %bb.197:                              ;   in Loop: Header=BB300_13 Depth=1
	v_cmp_ne_u16_sdwa s[8:9], v38, s39 src0_sel:BYTE_0 src1_sel:DWORD
	v_bfrev_b32_e32 v48, 1
	s_and_saveexec_b64 s[34:35], s[8:9]
	s_cbranch_execz .LBB300_201
; %bb.198:                              ;   in Loop: Header=BB300_13 Depth=1
	v_bfe_u32 v6, v36, 16, 7
	v_cmp_ne_u32_e64 s[8:9], s40, v6
	v_mov_b32_e32 v48, 0x7fc02000
	s_and_saveexec_b64 s[36:37], s[8:9]
	s_cbranch_execz .LBB300_200
; %bb.199:                              ;   in Loop: Header=BB300_13 Depth=1
	v_and_b32_e32 v7, 7, v38
	v_ffbh_u32_e32 v8, v7
	v_min_u32_e32 v22, 32, v8
	v_subrev_u32_e32 v8, 28, v22
	v_lshlrev_b64 v[8:9], v8, v[38:39]
	v_lshrrev_b32_e32 v16, 3, v6
	v_sub_u32_e32 v9, 29, v22
	v_cmp_gt_u32_e64 s[8:9], 8, v6
	v_and_b32_e32 v8, 7, v8
	v_cndmask_b32_e64 v6, v16, v9, s[8:9]
	v_mov_b32_e32 v9, 0x2000
	v_cndmask_b32_e64 v7, v7, v8, s[8:9]
	v_lshlrev_b32_e32 v8, 8, v38
	v_lshl_add_u32 v6, v6, 10, v9
	v_and_or_b32 v6, v8, s41, v6
	v_lshl_or_b32 v6, v7, 7, v6
	v_cvt_f32_f16_e32 v48, v6
.LBB300_200:                            ;   in Loop: Header=BB300_13 Depth=1
	s_or_b64 exec, exec, s[36:37]
.LBB300_201:                            ;   in Loop: Header=BB300_13 Depth=1
	s_or_b64 exec, exec, s[34:35]
.LBB300_202:                            ;   in Loop: Header=BB300_13 Depth=1
	s_or_b64 exec, exec, s[30:31]
	v_cmp_lt_u32_e64 s[8:9], s42, v36
	s_and_saveexec_b64 s[30:31], s[8:9]
	s_cbranch_execz .LBB300_208
; %bb.203:                              ;   in Loop: Header=BB300_13 Depth=1
	v_lshrrev_b32_e32 v36, 24, v36
	v_cmp_ne_u32_e64 s[8:9], s39, v36
	v_bfrev_b32_e32 v39, 1
	s_and_saveexec_b64 s[34:35], s[8:9]
	s_cbranch_execz .LBB300_207
; %bb.204:                              ;   in Loop: Header=BB300_13 Depth=1
	v_and_b32_e32 v6, 0x7f, v36
	v_cmp_ne_u32_e64 s[8:9], s40, v6
	v_mov_b32_e32 v39, 0x7fc02000
	s_and_saveexec_b64 s[36:37], s[8:9]
	s_cbranch_execz .LBB300_206
; %bb.205:                              ;   in Loop: Header=BB300_13 Depth=1
	v_and_b32_e32 v7, 7, v36
	v_ffbh_u32_e32 v8, v7
	v_min_u32_e32 v22, 32, v8
	v_subrev_u32_e32 v8, 28, v22
	v_lshlrev_b64 v[8:9], v8, v[36:37]
	v_lshrrev_b32_e32 v16, 3, v6
	v_sub_u32_e32 v9, 29, v22
	v_cmp_gt_u32_e64 s[8:9], 8, v6
	v_and_b32_e32 v8, 7, v8
	v_cndmask_b32_e64 v6, v16, v9, s[8:9]
	v_mov_b32_e32 v9, 0x2000
	v_cndmask_b32_e64 v7, v7, v8, s[8:9]
	v_lshlrev_b32_e32 v8, 8, v36
	v_lshl_add_u32 v6, v6, 10, v9
	v_and_or_b32 v6, v8, s41, v6
	v_lshl_or_b32 v6, v7, 7, v6
	v_cvt_f32_f16_e32 v39, v6
.LBB300_206:                            ;   in Loop: Header=BB300_13 Depth=1
	s_or_b64 exec, exec, s[36:37]
.LBB300_207:                            ;   in Loop: Header=BB300_13 Depth=1
	s_or_b64 exec, exec, s[34:35]
.LBB300_208:                            ;   in Loop: Header=BB300_13 Depth=1
	s_or_b64 exec, exec, s[30:31]
	flat_load_dword v36, v[20:21] offset:2048
	v_mov_b32_e32 v6, 0
	v_mov_b32_e32 v7, 0
	;; [unrolled: 1-line block ×3, first 2 shown]
	s_waitcnt vmcnt(0) lgkmcnt(0)
	v_cmp_ne_u16_sdwa s[8:9], v36, v6 src0_sel:BYTE_0 src1_sel:DWORD
	s_and_saveexec_b64 s[30:31], s[8:9]
	s_cbranch_execz .LBB300_214
; %bb.209:                              ;   in Loop: Header=BB300_13 Depth=1
	v_cmp_ne_u16_sdwa s[8:9], v36, s39 src0_sel:BYTE_0 src1_sel:DWORD
	v_bfrev_b32_e32 v16, 1
	s_and_saveexec_b64 s[34:35], s[8:9]
	s_cbranch_execz .LBB300_213
; %bb.210:                              ;   in Loop: Header=BB300_13 Depth=1
	v_and_b32_e32 v6, 0x7f, v36
	v_cmp_ne_u32_e64 s[8:9], s40, v6
	v_mov_b32_e32 v16, 0x7fc02000
	s_and_saveexec_b64 s[36:37], s[8:9]
	s_cbranch_execz .LBB300_212
; %bb.211:                              ;   in Loop: Header=BB300_13 Depth=1
	v_and_b32_e32 v16, 7, v36
	v_ffbh_u32_e32 v8, v16
	v_min_u32_e32 v24, 32, v8
	v_subrev_u32_e32 v8, 28, v24
	v_lshlrev_b64 v[8:9], v8, v[36:37]
	v_lshrrev_b32_e32 v22, 3, v6
	v_sub_u32_e32 v9, 29, v24
	v_and_b32_e32 v8, 7, v8
	v_cmp_gt_u32_e64 s[8:9], 8, v6
	v_cndmask_b32_e64 v6, v22, v9, s[8:9]
	v_cndmask_b32_e64 v8, v16, v8, s[8:9]
	v_mov_b32_e32 v16, 0x2000
	v_lshlrev_b32_e32 v9, 8, v36
	v_lshl_add_u32 v6, v6, 10, v16
	v_and_or_b32 v6, v9, s41, v6
	v_lshl_or_b32 v6, v8, 7, v6
	v_cvt_f32_f16_e32 v16, v6
.LBB300_212:                            ;   in Loop: Header=BB300_13 Depth=1
	s_or_b64 exec, exec, s[36:37]
.LBB300_213:                            ;   in Loop: Header=BB300_13 Depth=1
	s_or_b64 exec, exec, s[34:35]
.LBB300_214:                            ;   in Loop: Header=BB300_13 Depth=1
	s_or_b64 exec, exec, s[30:31]
	v_lshrrev_b16_e32 v38, 8, v36
	v_cmp_ne_u16_e64 s[8:9], 0, v38
	s_and_saveexec_b64 s[30:31], s[8:9]
	s_cbranch_execz .LBB300_220
; %bb.215:                              ;   in Loop: Header=BB300_13 Depth=1
	v_cmp_ne_u16_e64 s[8:9], s39, v38
	v_bfrev_b32_e32 v7, 1
	s_and_saveexec_b64 s[34:35], s[8:9]
	s_cbranch_execz .LBB300_219
; %bb.216:                              ;   in Loop: Header=BB300_13 Depth=1
	v_and_b32_e32 v6, 0x7f, v38
	v_cmp_ne_u32_e64 s[8:9], s40, v6
	v_mov_b32_e32 v7, 0x7fc02000
	s_and_saveexec_b64 s[36:37], s[8:9]
	s_cbranch_execz .LBB300_218
; %bb.217:                              ;   in Loop: Header=BB300_13 Depth=1
	v_and_b32_e32 v7, 7, v38
	v_ffbh_u32_e32 v8, v7
	v_min_u32_e32 v24, 32, v8
	v_subrev_u32_e32 v8, 28, v24
	v_lshlrev_b64 v[8:9], v8, v[38:39]
	v_lshrrev_b32_e32 v22, 3, v6
	v_sub_u32_e32 v9, 29, v24
	v_cmp_gt_u32_e64 s[8:9], 8, v6
	v_and_b32_e32 v8, 7, v8
	v_cndmask_b32_e64 v6, v22, v9, s[8:9]
	v_mov_b32_e32 v9, 0x2000
	v_cndmask_b32_e64 v7, v7, v8, s[8:9]
	v_lshlrev_b32_e32 v8, 8, v38
	v_lshl_add_u32 v6, v6, 10, v9
	v_and_or_b32 v6, v8, s41, v6
	v_lshl_or_b32 v6, v7, 7, v6
	v_cvt_f32_f16_e32 v7, v6
.LBB300_218:                            ;   in Loop: Header=BB300_13 Depth=1
	s_or_b64 exec, exec, s[36:37]
.LBB300_219:                            ;   in Loop: Header=BB300_13 Depth=1
	s_or_b64 exec, exec, s[34:35]
.LBB300_220:                            ;   in Loop: Header=BB300_13 Depth=1
	s_or_b64 exec, exec, s[30:31]
	v_lshrrev_b32_e32 v38, 16, v36
	v_mov_b32_e32 v6, 0
	v_cmp_ne_u16_sdwa s[8:9], v38, v6 src0_sel:BYTE_0 src1_sel:DWORD
	v_mov_b32_e32 v8, 0
	v_mov_b32_e32 v9, 0
	s_and_saveexec_b64 s[30:31], s[8:9]
	s_cbranch_execz .LBB300_226
; %bb.221:                              ;   in Loop: Header=BB300_13 Depth=1
	v_cmp_ne_u16_sdwa s[8:9], v38, s39 src0_sel:BYTE_0 src1_sel:DWORD
	v_bfrev_b32_e32 v9, 1
	s_and_saveexec_b64 s[34:35], s[8:9]
	s_cbranch_execz .LBB300_225
; %bb.222:                              ;   in Loop: Header=BB300_13 Depth=1
	v_bfe_u32 v6, v36, 16, 7
	v_cmp_ne_u32_e64 s[8:9], s40, v6
	v_mov_b32_e32 v9, 0x7fc02000
	s_and_saveexec_b64 s[36:37], s[8:9]
	s_cbranch_execz .LBB300_224
; %bb.223:                              ;   in Loop: Header=BB300_13 Depth=1
	v_and_b32_e32 v9, 7, v38
	v_ffbh_u32_e32 v24, v9
	v_min_u32_e32 v26, 32, v24
	v_subrev_u32_e32 v24, 28, v26
	v_lshlrev_b64 v[24:25], v24, v[38:39]
	v_lshrrev_b32_e32 v22, 3, v6
	v_sub_u32_e32 v25, 29, v26
	v_cmp_gt_u32_e64 s[8:9], 8, v6
	v_cndmask_b32_e64 v6, v22, v25, s[8:9]
	v_mov_b32_e32 v17, 0x2000
	v_and_b32_e32 v24, 7, v24
	v_lshlrev_b32_e32 v22, 8, v38
	v_lshl_add_u32 v6, v6, 10, v17
	v_cndmask_b32_e64 v9, v9, v24, s[8:9]
	v_and_or_b32 v6, v22, s41, v6
	v_lshl_or_b32 v6, v9, 7, v6
	v_cvt_f32_f16_e32 v9, v6
.LBB300_224:                            ;   in Loop: Header=BB300_13 Depth=1
	s_or_b64 exec, exec, s[36:37]
.LBB300_225:                            ;   in Loop: Header=BB300_13 Depth=1
	s_or_b64 exec, exec, s[34:35]
.LBB300_226:                            ;   in Loop: Header=BB300_13 Depth=1
	s_or_b64 exec, exec, s[30:31]
	v_cmp_lt_u32_e64 s[8:9], s42, v36
	s_and_saveexec_b64 s[30:31], s[8:9]
	s_cbranch_execz .LBB300_232
; %bb.227:                              ;   in Loop: Header=BB300_13 Depth=1
	v_lshrrev_b32_e32 v36, 24, v36
	v_cmp_ne_u32_e64 s[8:9], s39, v36
	v_bfrev_b32_e32 v8, 1
	s_and_saveexec_b64 s[34:35], s[8:9]
	s_cbranch_execz .LBB300_231
; %bb.228:                              ;   in Loop: Header=BB300_13 Depth=1
	v_and_b32_e32 v6, 0x7f, v36
	v_cmp_ne_u32_e64 s[8:9], s40, v6
	v_mov_b32_e32 v8, 0x7fc02000
	s_and_saveexec_b64 s[36:37], s[8:9]
	s_cbranch_execz .LBB300_230
; %bb.229:                              ;   in Loop: Header=BB300_13 Depth=1
	v_and_b32_e32 v8, 7, v36
	v_ffbh_u32_e32 v24, v8
	v_min_u32_e32 v26, 32, v24
	v_subrev_u32_e32 v24, 28, v26
	v_lshlrev_b64 v[24:25], v24, v[36:37]
	v_lshrrev_b32_e32 v22, 3, v6
	v_sub_u32_e32 v25, 29, v26
	v_cmp_gt_u32_e64 s[8:9], 8, v6
	v_cndmask_b32_e64 v6, v22, v25, s[8:9]
	v_mov_b32_e32 v17, 0x2000
	v_and_b32_e32 v24, 7, v24
	v_lshlrev_b32_e32 v22, 8, v36
	v_lshl_add_u32 v6, v6, 10, v17
	v_cndmask_b32_e64 v8, v8, v24, s[8:9]
	v_and_or_b32 v6, v22, s41, v6
	v_lshl_or_b32 v6, v8, 7, v6
	v_cvt_f32_f16_e32 v8, v6
.LBB300_230:                            ;   in Loop: Header=BB300_13 Depth=1
	s_or_b64 exec, exec, s[36:37]
.LBB300_231:                            ;   in Loop: Header=BB300_13 Depth=1
	s_or_b64 exec, exec, s[34:35]
.LBB300_232:                            ;   in Loop: Header=BB300_13 Depth=1
	s_or_b64 exec, exec, s[30:31]
	flat_load_dword v36, v[20:21] offset:2056
	v_mov_b32_e32 v6, 0
	v_mov_b32_e32 v58, 0
	;; [unrolled: 1-line block ×3, first 2 shown]
	s_waitcnt vmcnt(0) lgkmcnt(0)
	v_cmp_ne_u16_sdwa s[8:9], v36, v6 src0_sel:BYTE_0 src1_sel:DWORD
	s_and_saveexec_b64 s[30:31], s[8:9]
	s_cbranch_execz .LBB300_238
; %bb.233:                              ;   in Loop: Header=BB300_13 Depth=1
	v_cmp_ne_u16_sdwa s[8:9], v36, s39 src0_sel:BYTE_0 src1_sel:DWORD
	v_bfrev_b32_e32 v22, 1
	s_and_saveexec_b64 s[34:35], s[8:9]
	s_cbranch_execz .LBB300_237
; %bb.234:                              ;   in Loop: Header=BB300_13 Depth=1
	v_and_b32_e32 v6, 0x7f, v36
	v_cmp_ne_u32_e64 s[8:9], s40, v6
	v_mov_b32_e32 v22, 0x7fc02000
	s_and_saveexec_b64 s[36:37], s[8:9]
	s_cbranch_execz .LBB300_236
; %bb.235:                              ;   in Loop: Header=BB300_13 Depth=1
	v_and_b32_e32 v22, 7, v36
	v_ffbh_u32_e32 v24, v22
	v_min_u32_e32 v27, 32, v24
	v_subrev_u32_e32 v24, 28, v27
	v_lshlrev_b64 v[24:25], v24, v[36:37]
	v_lshrrev_b32_e32 v26, 3, v6
	v_sub_u32_e32 v25, 29, v27
	v_cmp_gt_u32_e64 s[8:9], 8, v6
	v_and_b32_e32 v24, 7, v24
	v_cndmask_b32_e64 v6, v26, v25, s[8:9]
	v_mov_b32_e32 v17, 0x2000
	v_cndmask_b32_e64 v22, v22, v24, s[8:9]
	v_lshlrev_b32_e32 v24, 8, v36
	v_lshl_add_u32 v6, v6, 10, v17
	v_and_or_b32 v6, v24, s41, v6
	v_lshl_or_b32 v6, v22, 7, v6
	v_cvt_f32_f16_e32 v22, v6
.LBB300_236:                            ;   in Loop: Header=BB300_13 Depth=1
	s_or_b64 exec, exec, s[36:37]
.LBB300_237:                            ;   in Loop: Header=BB300_13 Depth=1
	s_or_b64 exec, exec, s[34:35]
.LBB300_238:                            ;   in Loop: Header=BB300_13 Depth=1
	s_or_b64 exec, exec, s[30:31]
	v_lshrrev_b16_e32 v38, 8, v36
	v_cmp_ne_u16_e64 s[8:9], 0, v38
	s_and_saveexec_b64 s[30:31], s[8:9]
	s_cbranch_execz .LBB300_244
; %bb.239:                              ;   in Loop: Header=BB300_13 Depth=1
	v_cmp_ne_u16_e64 s[8:9], s39, v38
	v_bfrev_b32_e32 v58, 1
	s_and_saveexec_b64 s[34:35], s[8:9]
	s_cbranch_execz .LBB300_243
; %bb.240:                              ;   in Loop: Header=BB300_13 Depth=1
	v_and_b32_e32 v6, 0x7f, v38
	v_cmp_ne_u32_e64 s[8:9], s40, v6
	v_mov_b32_e32 v58, 0x7fc02000
	s_and_saveexec_b64 s[36:37], s[8:9]
	s_cbranch_execz .LBB300_242
; %bb.241:                              ;   in Loop: Header=BB300_13 Depth=1
	v_and_b32_e32 v26, 7, v38
	v_ffbh_u32_e32 v24, v26
	v_min_u32_e32 v37, 32, v24
	v_subrev_u32_e32 v24, 28, v37
	v_lshlrev_b64 v[24:25], v24, v[38:39]
	v_lshrrev_b32_e32 v27, 3, v6
	v_sub_u32_e32 v25, 29, v37
	v_cmp_gt_u32_e64 s[8:9], 8, v6
	v_cndmask_b32_e64 v6, v27, v25, s[8:9]
	v_mov_b32_e32 v17, 0x2000
	v_and_b32_e32 v24, 7, v24
	v_lshlrev_b32_e32 v25, 8, v38
	v_lshl_add_u32 v6, v6, 10, v17
	v_cndmask_b32_e64 v24, v26, v24, s[8:9]
	v_and_or_b32 v6, v25, s41, v6
	v_lshl_or_b32 v6, v24, 7, v6
	v_cvt_f32_f16_e32 v58, v6
.LBB300_242:                            ;   in Loop: Header=BB300_13 Depth=1
	s_or_b64 exec, exec, s[36:37]
.LBB300_243:                            ;   in Loop: Header=BB300_13 Depth=1
	s_or_b64 exec, exec, s[34:35]
.LBB300_244:                            ;   in Loop: Header=BB300_13 Depth=1
	s_or_b64 exec, exec, s[30:31]
	v_lshrrev_b32_e32 v38, 16, v36
	v_mov_b32_e32 v6, 0
	v_cmp_ne_u16_sdwa s[8:9], v38, v6 src0_sel:BYTE_0 src1_sel:DWORD
	v_mov_b32_e32 v6, 0
	v_mov_b32_e32 v44, 0
	s_and_saveexec_b64 s[30:31], s[8:9]
	s_cbranch_execz .LBB300_250
; %bb.245:                              ;   in Loop: Header=BB300_13 Depth=1
	v_cmp_ne_u16_sdwa s[8:9], v38, s39 src0_sel:BYTE_0 src1_sel:DWORD
	v_bfrev_b32_e32 v44, 1
	s_and_saveexec_b64 s[34:35], s[8:9]
	s_cbranch_execz .LBB300_249
; %bb.246:                              ;   in Loop: Header=BB300_13 Depth=1
	v_bfe_u32 v24, v36, 16, 7
	v_cmp_ne_u32_e64 s[8:9], s40, v24
	v_mov_b32_e32 v44, 0x7fc02000
	s_and_saveexec_b64 s[36:37], s[8:9]
	s_cbranch_execz .LBB300_248
; %bb.247:                              ;   in Loop: Header=BB300_13 Depth=1
	v_and_b32_e32 v25, 7, v38
	v_ffbh_u32_e32 v26, v25
	v_min_u32_e32 v54, 32, v26
	v_subrev_u32_e32 v26, 28, v54
	v_lshlrev_b64 v[26:27], v26, v[38:39]
	v_lshrrev_b32_e32 v37, 3, v24
	v_sub_u32_e32 v27, 29, v54
	v_cmp_gt_u32_e64 s[8:9], 8, v24
	v_and_b32_e32 v26, 7, v26
	v_cndmask_b32_e64 v24, v37, v27, s[8:9]
	v_mov_b32_e32 v17, 0x2000
	v_cndmask_b32_e64 v25, v25, v26, s[8:9]
	v_lshlrev_b32_e32 v26, 8, v38
	v_lshl_add_u32 v24, v24, 10, v17
	v_and_or_b32 v24, v26, s41, v24
	v_lshl_or_b32 v24, v25, 7, v24
	v_cvt_f32_f16_e32 v44, v24
.LBB300_248:                            ;   in Loop: Header=BB300_13 Depth=1
	s_or_b64 exec, exec, s[36:37]
.LBB300_249:                            ;   in Loop: Header=BB300_13 Depth=1
	s_or_b64 exec, exec, s[34:35]
.LBB300_250:                            ;   in Loop: Header=BB300_13 Depth=1
	s_or_b64 exec, exec, s[30:31]
	v_cmp_lt_u32_e64 s[8:9], s42, v36
	s_and_saveexec_b64 s[30:31], s[8:9]
	s_cbranch_execz .LBB300_256
; %bb.251:                              ;   in Loop: Header=BB300_13 Depth=1
	v_lshrrev_b32_e32 v36, 24, v36
	v_cmp_ne_u32_e64 s[8:9], s39, v36
	v_bfrev_b32_e32 v6, 1
	s_and_saveexec_b64 s[34:35], s[8:9]
	s_cbranch_execz .LBB300_255
; %bb.252:                              ;   in Loop: Header=BB300_13 Depth=1
	v_and_b32_e32 v24, 0x7f, v36
	v_cmp_ne_u32_e64 s[8:9], s40, v24
	v_mov_b32_e32 v6, 0x7fc02000
	s_and_saveexec_b64 s[36:37], s[8:9]
	s_cbranch_execz .LBB300_254
; %bb.253:                              ;   in Loop: Header=BB300_13 Depth=1
	v_and_b32_e32 v6, 7, v36
	v_ffbh_u32_e32 v26, v6
	v_min_u32_e32 v37, 32, v26
	v_subrev_u32_e32 v26, 28, v37
	v_lshlrev_b64 v[26:27], v26, v[36:37]
	v_lshrrev_b32_e32 v25, 3, v24
	v_sub_u32_e32 v27, 29, v37
	v_cmp_gt_u32_e64 s[8:9], 8, v24
	v_cndmask_b32_e64 v24, v25, v27, s[8:9]
	v_mov_b32_e32 v17, 0x2000
	v_and_b32_e32 v26, 7, v26
	v_lshlrev_b32_e32 v25, 8, v36
	v_lshl_add_u32 v24, v24, 10, v17
	v_cndmask_b32_e64 v6, v6, v26, s[8:9]
	v_and_or_b32 v24, v25, s41, v24
	v_lshl_or_b32 v6, v6, 7, v24
	v_cvt_f32_f16_e32 v6, v6
.LBB300_254:                            ;   in Loop: Header=BB300_13 Depth=1
	s_or_b64 exec, exec, s[36:37]
.LBB300_255:                            ;   in Loop: Header=BB300_13 Depth=1
	s_or_b64 exec, exec, s[34:35]
.LBB300_256:                            ;   in Loop: Header=BB300_13 Depth=1
	s_or_b64 exec, exec, s[30:31]
	flat_load_dword v36, v[20:21] offset:2560
	v_mov_b32_e32 v17, 0
	v_mov_b32_e32 v25, 0
	v_mov_b32_e32 v24, 0
	s_waitcnt vmcnt(0) lgkmcnt(0)
	v_cmp_ne_u16_sdwa s[8:9], v36, v17 src0_sel:BYTE_0 src1_sel:DWORD
	s_and_saveexec_b64 s[30:31], s[8:9]
	s_cbranch_execz .LBB300_262
; %bb.257:                              ;   in Loop: Header=BB300_13 Depth=1
	v_cmp_ne_u16_sdwa s[8:9], v36, s39 src0_sel:BYTE_0 src1_sel:DWORD
	v_bfrev_b32_e32 v24, 1
	s_and_saveexec_b64 s[34:35], s[8:9]
	s_cbranch_execz .LBB300_261
; %bb.258:                              ;   in Loop: Header=BB300_13 Depth=1
	v_and_b32_e32 v26, 0x7f, v36
	v_cmp_ne_u32_e64 s[8:9], s40, v26
	v_mov_b32_e32 v24, 0x7fc02000
	s_and_saveexec_b64 s[36:37], s[8:9]
	s_cbranch_execz .LBB300_260
; %bb.259:                              ;   in Loop: Header=BB300_13 Depth=1
	v_and_b32_e32 v24, 7, v36
	v_ffbh_u32_e32 v37, v24
	v_min_u32_e32 v37, 32, v37
	v_subrev_u32_e32 v38, 28, v37
	v_lshrrev_b32_e32 v27, 3, v26
	v_lshlrev_b64 v[54:55], v38, v[36:37]
	v_sub_u32_e32 v37, 29, v37
	v_cmp_gt_u32_e64 s[8:9], 8, v26
	v_cndmask_b32_e64 v26, v27, v37, s[8:9]
	v_mov_b32_e32 v17, 0x2000
	v_and_b32_e32 v38, 7, v54
	v_lshlrev_b32_e32 v27, 8, v36
	v_lshl_add_u32 v26, v26, 10, v17
	v_cndmask_b32_e64 v24, v24, v38, s[8:9]
	v_and_or_b32 v26, v27, s41, v26
	v_lshl_or_b32 v24, v24, 7, v26
	v_cvt_f32_f16_e32 v24, v24
.LBB300_260:                            ;   in Loop: Header=BB300_13 Depth=1
	s_or_b64 exec, exec, s[36:37]
.LBB300_261:                            ;   in Loop: Header=BB300_13 Depth=1
	s_or_b64 exec, exec, s[34:35]
.LBB300_262:                            ;   in Loop: Header=BB300_13 Depth=1
	s_or_b64 exec, exec, s[30:31]
	v_lshrrev_b16_e32 v38, 8, v36
	v_cmp_ne_u16_e64 s[8:9], 0, v38
	s_and_saveexec_b64 s[30:31], s[8:9]
	s_cbranch_execz .LBB300_268
; %bb.263:                              ;   in Loop: Header=BB300_13 Depth=1
	v_cmp_ne_u16_e64 s[8:9], s39, v38
	v_bfrev_b32_e32 v25, 1
	s_and_saveexec_b64 s[34:35], s[8:9]
	s_cbranch_execz .LBB300_267
; %bb.264:                              ;   in Loop: Header=BB300_13 Depth=1
	v_and_b32_e32 v26, 0x7f, v38
	v_cmp_ne_u32_e64 s[8:9], s40, v26
	v_mov_b32_e32 v25, 0x7fc02000
	s_and_saveexec_b64 s[36:37], s[8:9]
	s_cbranch_execz .LBB300_266
; %bb.265:                              ;   in Loop: Header=BB300_13 Depth=1
	v_and_b32_e32 v25, 7, v38
	v_ffbh_u32_e32 v37, v25
	v_min_u32_e32 v37, 32, v37
	v_lshrrev_b32_e32 v27, 3, v26
	v_subrev_u32_e32 v54, 28, v37
	v_sub_u32_e32 v37, 29, v37
	v_cmp_gt_u32_e64 s[8:9], 8, v26
	v_lshlrev_b64 v[54:55], v54, v[38:39]
	v_cndmask_b32_e64 v26, v27, v37, s[8:9]
	v_mov_b32_e32 v17, 0x2000
	v_and_b32_e32 v54, 7, v54
	v_lshlrev_b32_e32 v27, 8, v38
	v_lshl_add_u32 v26, v26, 10, v17
	v_cndmask_b32_e64 v25, v25, v54, s[8:9]
	v_and_or_b32 v26, v27, s41, v26
	v_lshl_or_b32 v25, v25, 7, v26
	v_cvt_f32_f16_e32 v25, v25
.LBB300_266:                            ;   in Loop: Header=BB300_13 Depth=1
	s_or_b64 exec, exec, s[36:37]
.LBB300_267:                            ;   in Loop: Header=BB300_13 Depth=1
	s_or_b64 exec, exec, s[34:35]
.LBB300_268:                            ;   in Loop: Header=BB300_13 Depth=1
	s_or_b64 exec, exec, s[30:31]
	v_lshrrev_b32_e32 v38, 16, v36
	v_mov_b32_e32 v17, 0
	v_cmp_ne_u16_sdwa s[8:9], v38, v17 src0_sel:BYTE_0 src1_sel:DWORD
	v_mov_b32_e32 v57, 0
	v_mov_b32_e32 v27, 0
	s_and_saveexec_b64 s[30:31], s[8:9]
	s_cbranch_execz .LBB300_274
; %bb.269:                              ;   in Loop: Header=BB300_13 Depth=1
	v_cmp_ne_u16_sdwa s[8:9], v38, s39 src0_sel:BYTE_0 src1_sel:DWORD
	v_bfrev_b32_e32 v27, 1
	s_and_saveexec_b64 s[34:35], s[8:9]
	s_cbranch_execz .LBB300_273
; %bb.270:                              ;   in Loop: Header=BB300_13 Depth=1
	v_bfe_u32 v26, v36, 16, 7
	v_cmp_ne_u32_e64 s[8:9], s40, v26
	v_mov_b32_e32 v27, 0x7fc02000
	s_and_saveexec_b64 s[36:37], s[8:9]
	s_cbranch_execz .LBB300_272
; %bb.271:                              ;   in Loop: Header=BB300_13 Depth=1
	v_and_b32_e32 v27, 7, v38
	v_ffbh_u32_e32 v54, v27
	v_min_u32_e32 v61, 32, v54
	v_subrev_u32_e32 v54, 28, v61
	v_lshlrev_b64 v[54:55], v54, v[38:39]
	v_lshrrev_b32_e32 v37, 3, v26
	v_sub_u32_e32 v55, 29, v61
	v_cmp_gt_u32_e64 s[8:9], 8, v26
	v_cndmask_b32_e64 v26, v37, v55, s[8:9]
	v_mov_b32_e32 v17, 0x2000
	v_and_b32_e32 v54, 7, v54
	v_lshlrev_b32_e32 v37, 8, v38
	v_lshl_add_u32 v26, v26, 10, v17
	v_cndmask_b32_e64 v27, v27, v54, s[8:9]
	v_and_or_b32 v26, v37, s41, v26
	v_lshl_or_b32 v26, v27, 7, v26
	v_cvt_f32_f16_e32 v27, v26
.LBB300_272:                            ;   in Loop: Header=BB300_13 Depth=1
	s_or_b64 exec, exec, s[36:37]
.LBB300_273:                            ;   in Loop: Header=BB300_13 Depth=1
	s_or_b64 exec, exec, s[34:35]
.LBB300_274:                            ;   in Loop: Header=BB300_13 Depth=1
	s_or_b64 exec, exec, s[30:31]
	v_cmp_lt_u32_e64 s[8:9], s42, v36
	s_and_saveexec_b64 s[30:31], s[8:9]
	s_cbranch_execz .LBB300_280
; %bb.275:                              ;   in Loop: Header=BB300_13 Depth=1
	v_lshrrev_b32_e32 v36, 24, v36
	v_cmp_ne_u32_e64 s[8:9], s39, v36
	v_bfrev_b32_e32 v57, 1
	s_and_saveexec_b64 s[34:35], s[8:9]
	s_cbranch_execz .LBB300_279
; %bb.276:                              ;   in Loop: Header=BB300_13 Depth=1
	v_and_b32_e32 v26, 0x7f, v36
	v_cmp_ne_u32_e64 s[8:9], s40, v26
	v_mov_b32_e32 v57, 0x7fc02000
	s_and_saveexec_b64 s[36:37], s[8:9]
	s_cbranch_execz .LBB300_278
; %bb.277:                              ;   in Loop: Header=BB300_13 Depth=1
	v_and_b32_e32 v37, 7, v36
	v_ffbh_u32_e32 v54, v37
	v_min_u32_e32 v57, 32, v54
	v_subrev_u32_e32 v54, 28, v57
	v_lshlrev_b64 v[54:55], v54, v[36:37]
	v_lshrrev_b32_e32 v38, 3, v26
	v_sub_u32_e32 v55, 29, v57
	v_cmp_gt_u32_e64 s[8:9], 8, v26
	v_cndmask_b32_e64 v26, v38, v55, s[8:9]
	v_mov_b32_e32 v17, 0x2000
	v_and_b32_e32 v54, 7, v54
	v_lshlrev_b32_e32 v36, 8, v36
	v_lshl_add_u32 v26, v26, 10, v17
	v_cndmask_b32_e64 v37, v37, v54, s[8:9]
	v_and_or_b32 v26, v36, s41, v26
	v_lshl_or_b32 v26, v37, 7, v26
	v_cvt_f32_f16_e32 v57, v26
.LBB300_278:                            ;   in Loop: Header=BB300_13 Depth=1
	s_or_b64 exec, exec, s[36:37]
.LBB300_279:                            ;   in Loop: Header=BB300_13 Depth=1
	s_or_b64 exec, exec, s[34:35]
.LBB300_280:                            ;   in Loop: Header=BB300_13 Depth=1
	s_or_b64 exec, exec, s[30:31]
	flat_load_dword v20, v[20:21] offset:2568
	v_mov_b32_e32 v17, 0
	v_mov_b32_e32 v38, 0
	;; [unrolled: 1-line block ×3, first 2 shown]
	s_waitcnt vmcnt(0) lgkmcnt(0)
	v_cmp_ne_u16_sdwa s[8:9], v20, v17 src0_sel:BYTE_0 src1_sel:DWORD
	s_and_saveexec_b64 s[30:31], s[8:9]
	s_cbranch_execz .LBB300_286
; %bb.281:                              ;   in Loop: Header=BB300_13 Depth=1
	v_cmp_ne_u16_sdwa s[8:9], v20, s39 src0_sel:BYTE_0 src1_sel:DWORD
	v_bfrev_b32_e32 v26, 1
	s_and_saveexec_b64 s[34:35], s[8:9]
	s_cbranch_execz .LBB300_285
; %bb.282:                              ;   in Loop: Header=BB300_13 Depth=1
	v_and_b32_e32 v21, 0x7f, v20
	v_cmp_ne_u32_e64 s[8:9], s40, v21
	v_mov_b32_e32 v26, 0x7fc02000
	s_and_saveexec_b64 s[36:37], s[8:9]
	s_cbranch_execz .LBB300_284
; %bb.283:                              ;   in Loop: Header=BB300_13 Depth=1
	v_and_b32_e32 v26, 7, v20
	v_ffbh_u32_e32 v37, v26
	v_min_u32_e32 v37, 32, v37
	v_lshrrev_b32_e32 v36, 3, v21
	v_subrev_u32_e32 v54, 28, v37
	v_sub_u32_e32 v37, 29, v37
	v_cmp_gt_u32_e64 s[8:9], 8, v21
	v_lshlrev_b64 v[54:55], v54, v[20:21]
	v_cndmask_b32_e64 v21, v36, v37, s[8:9]
	v_mov_b32_e32 v17, 0x2000
	v_and_b32_e32 v54, 7, v54
	v_lshlrev_b32_e32 v36, 8, v20
	v_lshl_add_u32 v21, v21, 10, v17
	v_cndmask_b32_e64 v26, v26, v54, s[8:9]
	v_and_or_b32 v21, v36, s41, v21
	v_lshl_or_b32 v21, v26, 7, v21
	v_cvt_f32_f16_e32 v26, v21
.LBB300_284:                            ;   in Loop: Header=BB300_13 Depth=1
	s_or_b64 exec, exec, s[36:37]
.LBB300_285:                            ;   in Loop: Header=BB300_13 Depth=1
	s_or_b64 exec, exec, s[34:35]
.LBB300_286:                            ;   in Loop: Header=BB300_13 Depth=1
	s_or_b64 exec, exec, s[30:31]
	v_lshrrev_b16_e32 v36, 8, v20
	v_cmp_ne_u16_e64 s[8:9], 0, v36
	s_and_saveexec_b64 s[30:31], s[8:9]
	s_cbranch_execz .LBB300_292
; %bb.287:                              ;   in Loop: Header=BB300_13 Depth=1
	v_cmp_ne_u16_e64 s[8:9], s39, v36
	v_bfrev_b32_e32 v38, 1
	s_and_saveexec_b64 s[34:35], s[8:9]
	s_cbranch_execz .LBB300_291
; %bb.288:                              ;   in Loop: Header=BB300_13 Depth=1
	v_and_b32_e32 v21, 0x7f, v36
	v_cmp_ne_u32_e64 s[8:9], s40, v21
	v_mov_b32_e32 v38, 0x7fc02000
	s_and_saveexec_b64 s[36:37], s[8:9]
	s_cbranch_execz .LBB300_290
; %bb.289:                              ;   in Loop: Header=BB300_13 Depth=1
	v_and_b32_e32 v37, 7, v36
	v_ffbh_u32_e32 v54, v37
	v_min_u32_e32 v61, 32, v54
	v_subrev_u32_e32 v54, 28, v61
	v_lshlrev_b64 v[54:55], v54, v[36:37]
	v_lshrrev_b32_e32 v38, 3, v21
	v_sub_u32_e32 v55, 29, v61
	v_cmp_gt_u32_e64 s[8:9], 8, v21
	v_cndmask_b32_e64 v21, v38, v55, s[8:9]
	v_mov_b32_e32 v17, 0x2000
	v_and_b32_e32 v54, 7, v54
	v_lshlrev_b32_e32 v36, 8, v36
	v_lshl_add_u32 v21, v21, 10, v17
	v_cndmask_b32_e64 v37, v37, v54, s[8:9]
	v_and_or_b32 v21, v36, s41, v21
	v_lshl_or_b32 v21, v37, 7, v21
	v_cvt_f32_f16_e32 v38, v21
.LBB300_290:                            ;   in Loop: Header=BB300_13 Depth=1
	s_or_b64 exec, exec, s[36:37]
.LBB300_291:                            ;   in Loop: Header=BB300_13 Depth=1
	s_or_b64 exec, exec, s[34:35]
.LBB300_292:                            ;   in Loop: Header=BB300_13 Depth=1
	s_or_b64 exec, exec, s[30:31]
	v_lshrrev_b32_e32 v36, 16, v20
	v_mov_b32_e32 v17, 0
	v_cmp_ne_u16_sdwa s[8:9], v36, v17 src0_sel:BYTE_0 src1_sel:DWORD
	v_mov_b32_e32 v62, 0
	v_mov_b32_e32 v54, 0
	s_and_saveexec_b64 s[30:31], s[8:9]
	s_cbranch_execz .LBB300_298
; %bb.293:                              ;   in Loop: Header=BB300_13 Depth=1
	v_cmp_ne_u16_sdwa s[8:9], v36, s39 src0_sel:BYTE_0 src1_sel:DWORD
	v_bfrev_b32_e32 v54, 1
	s_and_saveexec_b64 s[34:35], s[8:9]
	s_cbranch_execz .LBB300_297
; %bb.294:                              ;   in Loop: Header=BB300_13 Depth=1
	v_bfe_u32 v21, v20, 16, 7
	v_cmp_ne_u32_e64 s[8:9], s40, v21
	v_mov_b32_e32 v54, 0x7fc02000
	s_and_saveexec_b64 s[36:37], s[8:9]
	s_cbranch_execz .LBB300_296
; %bb.295:                              ;   in Loop: Header=BB300_13 Depth=1
	v_and_b32_e32 v37, 7, v36
	v_ffbh_u32_e32 v54, v37
	v_min_u32_e32 v31, 32, v54
	v_lshrrev_b32_e32 v61, 3, v21
	v_subrev_u32_e32 v54, 28, v31
	v_sub_u32_e32 v31, 29, v31
	v_cmp_gt_u32_e64 s[8:9], 8, v21
	v_lshlrev_b64 v[54:55], v54, v[36:37]
	v_cndmask_b32_e64 v21, v61, v31, s[8:9]
	v_mov_b32_e32 v17, 0x2000
	v_and_b32_e32 v54, 7, v54
	v_lshlrev_b32_e32 v36, 8, v36
	v_lshl_add_u32 v21, v21, 10, v17
	v_cndmask_b32_e64 v31, v37, v54, s[8:9]
	v_and_or_b32 v21, v36, s41, v21
	v_lshl_or_b32 v21, v31, 7, v21
	v_cvt_f32_f16_e32 v54, v21
.LBB300_296:                            ;   in Loop: Header=BB300_13 Depth=1
	s_or_b64 exec, exec, s[36:37]
.LBB300_297:                            ;   in Loop: Header=BB300_13 Depth=1
	s_or_b64 exec, exec, s[34:35]
.LBB300_298:                            ;   in Loop: Header=BB300_13 Depth=1
	s_or_b64 exec, exec, s[30:31]
	v_cmp_lt_u32_e64 s[8:9], s42, v20
	s_and_saveexec_b64 s[30:31], s[8:9]
	s_cbranch_execz .LBB300_304
; %bb.299:                              ;   in Loop: Header=BB300_13 Depth=1
	v_lshrrev_b32_e32 v20, 24, v20
	v_cmp_ne_u32_e64 s[8:9], s39, v20
	v_bfrev_b32_e32 v62, 1
	s_and_saveexec_b64 s[34:35], s[8:9]
	s_cbranch_execz .LBB300_303
; %bb.300:                              ;   in Loop: Header=BB300_13 Depth=1
	v_and_b32_e32 v21, 0x7f, v20
	v_cmp_ne_u32_e64 s[8:9], s40, v21
	v_mov_b32_e32 v62, 0x7fc02000
	s_and_saveexec_b64 s[36:37], s[8:9]
	s_cbranch_execz .LBB300_302
; %bb.301:                              ;   in Loop: Header=BB300_13 Depth=1
	v_and_b32_e32 v31, 7, v20
	v_ffbh_u32_e32 v36, v31
	v_min_u32_e32 v61, 32, v36
	v_subrev_u32_e32 v36, 28, v61
	v_lshlrev_b64 v[36:37], v36, v[20:21]
	v_lshrrev_b32_e32 v55, 3, v21
	v_sub_u32_e32 v37, 29, v61
	v_cmp_gt_u32_e64 s[8:9], 8, v21
	v_cndmask_b32_e64 v21, v55, v37, s[8:9]
	v_mov_b32_e32 v17, 0x2000
	v_and_b32_e32 v36, 7, v36
	v_lshlrev_b32_e32 v20, 8, v20
	v_lshl_add_u32 v21, v21, 10, v17
	v_cndmask_b32_e64 v31, v31, v36, s[8:9]
	v_and_or_b32 v20, v20, s41, v21
	v_lshl_or_b32 v20, v31, 7, v20
	v_cvt_f32_f16_e32 v62, v20
.LBB300_302:                            ;   in Loop: Header=BB300_13 Depth=1
	s_or_b64 exec, exec, s[36:37]
.LBB300_303:                            ;   in Loop: Header=BB300_13 Depth=1
	s_or_b64 exec, exec, s[34:35]
.LBB300_304:                            ;   in Loop: Header=BB300_13 Depth=1
	s_or_b64 exec, exec, s[30:31]
	v_accvgpr_read_b32 v59, a42
	v_fma_mixlo_f16 v61, v60, v12, 0
	v_fma_mixlo_f16 v12, v60, v30, 0
	;; [unrolled: 1-line block ×6, first 2 shown]
	ds_read_b64 v[0:1], v59
	v_fma_mixlo_f16 v21, v60, v27, 0
	v_fma_mixlo_f16 v27, v60, v58, 0
	;; [unrolled: 1-line block ×14, first 2 shown]
	s_waitcnt lgkmcnt(0)
	v_lshrrev_b32_e32 v42, 16, v0
	v_and_b32_e32 v0, 0xffff, v0
	v_fma_mixlo_f16 v52, v60, v10, 0
	v_fma_mixlo_f16 v17, v60, v4, 0
	;; [unrolled: 1-line block ×4, first 2 shown]
	;;#ASMSTART
	v_cvt_f32_f16 v32, v0;
	;;#ASMEND
	v_and_b32_e32 v0, 0xffff, v5
	v_fma_mixlo_f16 v20, v60, v57, 0
	v_fma_mixlo_f16 v57, v60, v16, 0
	;; [unrolled: 1-line block ×5, first 2 shown]
	;;#ASMSTART
	v_cvt_f32_f16 v42, v42;
	;;#ASMEND
	;;#ASMSTART
	v_cvt_f32_f16 v43, v0;
	;;#ASMEND
	v_and_b32_e32 v0, 0xffff, v4
	;;#ASMSTART
	v_cvt_f32_f16 v28, v0;
	;;#ASMEND
	v_lshrrev_b32_e32 v0, 16, v1
	v_fma_mixlo_f16 v31, v60, v11, 0
	v_fma_mixlo_f16 v11, v60, v29, 0
	v_and_b32_e32 v1, 0xffff, v1
	;;#ASMSTART
	v_cvt_f32_f16 v29, v1;
	;;#ASMEND
	;;#ASMSTART
	v_cvt_f32_f16 v23, v0;
	;;#ASMEND
	v_and_b32_e32 v0, 0xffff, v10
	v_fma_mixlo_f16 v55, v60, v3, 0
	v_fma_mixlo_f16 v3, v60, v41, 0
	;;#ASMSTART
	v_cvt_f32_f16 v41, v0;
	;;#ASMEND
	v_and_b32_e32 v0, 0xffff, v11
	;;#ASMSTART
	v_cvt_f32_f16 v46, v0;
	;;#ASMEND
	ds_read_b64 v[10:11], v59 offset:8
	v_fma_mixlo_f16 v5, v60, v26, 0
	v_and_b32_e32 v3, 0xffff, v3
	v_and_b32_e32 v2, 0xffff, v2
	v_fma_mixlo_f16 v4, v60, v38, 0
	s_waitcnt lgkmcnt(0)
	v_lshrrev_b32_e32 v26, 16, v10
	v_and_b32_e32 v10, 0xffff, v10
	;;#ASMSTART
	v_cvt_f32_f16 v10, v10;
	;;#ASMEND
	;;#ASMSTART
	v_cvt_f32_f16 v26, v26;
	;;#ASMEND
	;; [unrolled: 3-line block ×4, first 2 shown]
	v_mul_f32_e32 v2, v10, v3
	v_mul_f32_e32 v3, v26, v38
	v_lshrrev_b32_e32 v10, 16, v11
	v_and_b32_e32 v11, 0xffff, v11
	v_and_b32_e32 v7, 0xffff, v7
	;; [unrolled: 1-line block ×3, first 2 shown]
	v_fmac_f32_e32 v3, v42, v28
	;;#ASMSTART
	v_cvt_f32_f16 v26, v11;
	;;#ASMEND
	;;#ASMSTART
	v_cvt_f32_f16 v28, v10;
	;;#ASMEND
	;; [unrolled: 3-line block ×4, first 2 shown]
	ds_read_b64 v[10:11], v59 offset:16
	v_mul_f32_e32 v8, v28, v8
	v_fma_mixlo_f16 v34, v60, v34, 0
	v_fmac_f32_e32 v8, v23, v46
	v_mul_f32_e32 v7, v26, v7
	s_waitcnt lgkmcnt(0)
	v_lshrrev_b32_e32 v23, 16, v10
	v_and_b32_e32 v10, 0xffff, v10
	;;#ASMSTART
	v_cvt_f32_f16 v26, v10;
	;;#ASMEND
	v_and_b32_e32 v10, 0xffff, v34
	;;#ASMSTART
	v_cvt_f32_f16 v23, v23;
	;;#ASMEND
	;;#ASMSTART
	v_cvt_f32_f16 v28, v10;
	;;#ASMEND
	v_and_b32_e32 v10, 0xffff, v17
	v_fma_mixlo_f16 v53, v60, v53, 0
	;;#ASMSTART
	v_cvt_f32_f16 v17, v10;
	;;#ASMEND
	v_lshrrev_b32_e32 v10, 16, v11
	v_fma_mixlo_f16 v35, v60, v35, 0
	v_fmac_f32_e32 v2, v32, v43
	v_fmac_f32_e32 v7, v29, v41
	v_and_b32_e32 v11, 0xffff, v11
	;;#ASMSTART
	v_cvt_f32_f16 v29, v11;
	;;#ASMEND
	;;#ASMSTART
	v_cvt_f32_f16 v32, v10;
	;;#ASMEND
	v_and_b32_e32 v10, 0xffff, v53
	;;#ASMSTART
	v_cvt_f32_f16 v34, v10;
	;;#ASMEND
	v_and_b32_e32 v10, 0xffff, v35
	;;#ASMSTART
	v_cvt_f32_f16 v35, v10;
	;;#ASMEND
	ds_read_b64 v[10:11], v59 offset:24
	v_fmac_f32_e32 v3, v23, v17
	v_fmac_f32_e32 v2, v26, v28
	;; [unrolled: 1-line block ×4, first 2 shown]
	s_waitcnt lgkmcnt(0)
	v_lshrrev_b32_e32 v17, 16, v10
	v_and_b32_e32 v10, 0xffff, v10
	;;#ASMSTART
	v_cvt_f32_f16 v23, v10;
	;;#ASMEND
	v_and_b32_e32 v10, 0xffff, v37
	;;#ASMSTART
	v_cvt_f32_f16 v17, v17;
	;;#ASMEND
	;;#ASMSTART
	v_cvt_f32_f16 v26, v10;
	;;#ASMEND
	v_and_b32_e32 v10, 0xffff, v31
	;;#ASMSTART
	v_cvt_f32_f16 v28, v10;
	;;#ASMEND
	v_lshrrev_b32_e32 v10, 16, v11
	v_and_b32_e32 v11, 0xffff, v11
	;;#ASMSTART
	v_cvt_f32_f16 v29, v11;
	;;#ASMEND
	;;#ASMSTART
	v_cvt_f32_f16 v31, v10;
	;;#ASMEND
	v_and_b32_e32 v10, 0xffff, v47
	;;#ASMSTART
	v_cvt_f32_f16 v32, v10;
	;;#ASMEND
	v_and_b32_e32 v10, 0xffff, v52
	;;#ASMSTART
	v_cvt_f32_f16 v34, v10;
	;;#ASMEND
	ds_read_b64 v[10:11], v59 offset:32
	v_fmac_f32_e32 v3, v17, v28
	v_fmac_f32_e32 v2, v23, v26
	v_fma_mixlo_f16 v51, v60, v51, 0
	v_fmac_f32_e32 v7, v29, v32
	s_waitcnt lgkmcnt(0)
	v_lshrrev_b32_e32 v17, 16, v10
	v_and_b32_e32 v10, 0xffff, v10
	;;#ASMSTART
	v_cvt_f32_f16 v23, v10;
	;;#ASMEND
	v_and_b32_e32 v10, 0xffff, v55
	;;#ASMSTART
	v_cvt_f32_f16 v17, v17;
	;;#ASMEND
	;;#ASMSTART
	v_cvt_f32_f16 v26, v10;
	;;#ASMEND
	v_and_b32_e32 v10, 0xffff, v40
	;;#ASMSTART
	v_cvt_f32_f16 v28, v10;
	;;#ASMEND
	v_lshrrev_b32_e32 v10, 16, v11
	v_fmac_f32_e32 v8, v31, v34
	v_and_b32_e32 v11, 0xffff, v11
	;;#ASMSTART
	v_cvt_f32_f16 v29, v11;
	;;#ASMEND
	;;#ASMSTART
	v_cvt_f32_f16 v31, v10;
	;;#ASMEND
	v_and_b32_e32 v10, 0xffff, v51
	;;#ASMSTART
	v_cvt_f32_f16 v32, v10;
	;;#ASMEND
	v_and_b32_e32 v10, 0xffff, v33
	;;#ASMSTART
	v_cvt_f32_f16 v33, v10;
	;;#ASMEND
	ds_read_b64 v[10:11], v59 offset:40
	v_fmac_f32_e32 v3, v17, v28
	v_fmac_f32_e32 v2, v23, v26
	v_fma_mixlo_f16 v14, v60, v14, 0
	v_fmac_f32_e32 v7, v29, v32
	s_waitcnt lgkmcnt(0)
	v_lshrrev_b32_e32 v17, 16, v10
	v_and_b32_e32 v10, 0xffff, v10
	;;#ASMSTART
	v_cvt_f32_f16 v23, v10;
	;;#ASMEND
	v_and_b32_e32 v10, 0xffff, v50
	;;#ASMSTART
	v_cvt_f32_f16 v17, v17;
	;;#ASMEND
	;;#ASMSTART
	v_cvt_f32_f16 v26, v10;
	;;#ASMEND
	v_and_b32_e32 v10, 0xffff, v30
	;;#ASMSTART
	v_cvt_f32_f16 v28, v10;
	;;#ASMEND
	v_lshrrev_b32_e32 v10, 16, v11
	v_and_b32_e32 v11, 0xffff, v11
	;;#ASMSTART
	v_cvt_f32_f16 v29, v11;
	;;#ASMEND
	;;#ASMSTART
	v_cvt_f32_f16 v30, v10;
	;;#ASMEND
	v_and_b32_e32 v10, 0xffff, v15
	;;#ASMSTART
	v_cvt_f32_f16 v15, v10;
	;;#ASMEND
	v_and_b32_e32 v10, 0xffff, v14
	;;#ASMSTART
	v_cvt_f32_f16 v14, v10;
	;;#ASMEND
	ds_read_b64 v[10:11], v59 offset:48
	v_fmac_f32_e32 v8, v31, v33
	v_fma_mixlo_f16 v56, v60, v56, 0
	v_fmac_f32_e32 v8, v30, v14
	v_fmac_f32_e32 v7, v29, v15
	s_waitcnt lgkmcnt(0)
	v_lshrrev_b32_e32 v14, 16, v10
	v_and_b32_e32 v10, 0xffff, v10
	;;#ASMSTART
	v_cvt_f32_f16 v15, v10;
	;;#ASMEND
	v_and_b32_e32 v10, 0xffff, v56
	v_fmac_f32_e32 v3, v17, v28
	;;#ASMSTART
	v_cvt_f32_f16 v14, v14;
	;;#ASMEND
	;;#ASMSTART
	v_cvt_f32_f16 v17, v10;
	;;#ASMEND
	v_and_b32_e32 v10, 0xffff, v61
	v_fmac_f32_e32 v2, v23, v26
	;;#ASMSTART
	v_cvt_f32_f16 v23, v10;
	;;#ASMEND
	v_lshrrev_b32_e32 v10, 16, v11
	v_and_b32_e32 v11, 0xffff, v11
	;;#ASMSTART
	v_cvt_f32_f16 v26, v11;
	;;#ASMEND
	;;#ASMSTART
	v_cvt_f32_f16 v28, v10;
	;;#ASMEND
	v_and_b32_e32 v10, 0xffff, v39
	;;#ASMSTART
	v_cvt_f32_f16 v29, v10;
	;;#ASMEND
	v_and_b32_e32 v10, 0xffff, v12
	;;#ASMSTART
	v_cvt_f32_f16 v12, v10;
	;;#ASMEND
	ds_read_b64 v[10:11], v59 offset:56
	v_fmac_f32_e32 v8, v28, v12
	v_fma_mixlo_f16 v49, v60, v49, 0
	v_fmac_f32_e32 v3, v14, v23
	v_fmac_f32_e32 v2, v15, v17
	s_waitcnt lgkmcnt(0)
	v_lshrrev_b32_e32 v12, 16, v10
	v_and_b32_e32 v10, 0xffff, v10
	;;#ASMSTART
	v_cvt_f32_f16 v14, v10;
	;;#ASMEND
	v_and_b32_e32 v10, 0xffff, v58
	;;#ASMSTART
	v_cvt_f32_f16 v12, v12;
	;;#ASMEND
	;;#ASMSTART
	v_cvt_f32_f16 v15, v10;
	;;#ASMEND
	v_and_b32_e32 v10, 0xffff, v49
	v_fma_mixlo_f16 v48, v60, v48, 0
	;;#ASMSTART
	v_cvt_f32_f16 v17, v10;
	;;#ASMEND
	v_lshrrev_b32_e32 v10, 16, v11
	v_fmac_f32_e32 v7, v26, v29
	v_and_b32_e32 v11, 0xffff, v11
	;;#ASMSTART
	v_cvt_f32_f16 v23, v11;
	;;#ASMEND
	;;#ASMSTART
	v_cvt_f32_f16 v26, v10;
	;;#ASMEND
	v_and_b32_e32 v10, 0xffff, v48
	;;#ASMSTART
	v_cvt_f32_f16 v28, v10;
	;;#ASMEND
	v_and_b32_e32 v10, 0xffff, v13
	;;#ASMSTART
	v_cvt_f32_f16 v13, v10;
	;;#ASMEND
	ds_read_b64 v[10:11], v59 offset:64
	v_fmac_f32_e32 v3, v12, v17
	v_fmac_f32_e32 v8, v26, v13
	;; [unrolled: 1-line block ×4, first 2 shown]
	s_waitcnt lgkmcnt(0)
	v_lshrrev_b32_e32 v12, 16, v10
	v_and_b32_e32 v10, 0xffff, v10
	;;#ASMSTART
	v_cvt_f32_f16 v13, v10;
	;;#ASMEND
	v_and_b32_e32 v10, 0xffff, v57
	;;#ASMSTART
	v_cvt_f32_f16 v12, v12;
	;;#ASMEND
	;;#ASMSTART
	v_cvt_f32_f16 v14, v10;
	;;#ASMEND
	v_and_b32_e32 v10, 0xffff, v44
	;;#ASMSTART
	v_cvt_f32_f16 v15, v10;
	;;#ASMEND
	v_lshrrev_b32_e32 v10, 16, v11
	v_and_b32_e32 v11, 0xffff, v11
	;;#ASMSTART
	v_cvt_f32_f16 v17, v11;
	;;#ASMEND
	;;#ASMSTART
	v_cvt_f32_f16 v23, v10;
	;;#ASMEND
	v_and_b32_e32 v10, 0xffff, v16
	v_and_b32_e32 v9, 0xffff, v9
	;;#ASMSTART
	v_cvt_f32_f16 v16, v10;
	;;#ASMEND
	;;#ASMSTART
	v_cvt_f32_f16 v9, v9;
	;;#ASMEND
	ds_read_b64 v[10:11], v59 offset:72
	v_fmac_f32_e32 v8, v23, v9
	v_fmac_f32_e32 v3, v12, v15
	;; [unrolled: 1-line block ×3, first 2 shown]
	v_fma_mixlo_f16 v6, v60, v6, 0
	s_waitcnt lgkmcnt(0)
	v_lshrrev_b32_e32 v9, 16, v10
	v_and_b32_e32 v10, 0xffff, v10
	;;#ASMSTART
	v_cvt_f32_f16 v12, v10;
	;;#ASMEND
	v_and_b32_e32 v10, 0xffff, v36
	;;#ASMSTART
	v_cvt_f32_f16 v9, v9;
	;;#ASMEND
	;;#ASMSTART
	v_cvt_f32_f16 v13, v10;
	;;#ASMEND
	v_and_b32_e32 v10, 0xffff, v27
	;;#ASMSTART
	v_cvt_f32_f16 v14, v10;
	;;#ASMEND
	v_lshrrev_b32_e32 v10, 16, v11
	v_fmac_f32_e32 v7, v17, v16
	v_and_b32_e32 v11, 0xffff, v11
	;;#ASMSTART
	v_cvt_f32_f16 v15, v11;
	;;#ASMEND
	;;#ASMSTART
	v_cvt_f32_f16 v16, v10;
	;;#ASMEND
	v_and_b32_e32 v10, 0xffff, v22
	v_and_b32_e32 v6, 0xffff, v6
	;;#ASMSTART
	v_cvt_f32_f16 v17, v10;
	;;#ASMEND
	;;#ASMSTART
	v_cvt_f32_f16 v6, v6;
	;;#ASMEND
	ds_read_b64 v[10:11], v59 offset:80
	v_fma_mixlo_f16 v24, v60, v24, 0
	v_fma_mixlo_f16 v25, v60, v25, 0
	v_fmac_f32_e32 v3, v9, v14
	v_fmac_f32_e32 v8, v16, v6
	s_waitcnt lgkmcnt(0)
	v_lshrrev_b32_e32 v6, 16, v10
	v_and_b32_e32 v9, 0xffff, v10
	v_and_b32_e32 v10, 0xffff, v24
	v_fmac_f32_e32 v2, v12, v13
	;;#ASMSTART
	v_cvt_f32_f16 v9, v9;
	;;#ASMEND
	;;#ASMSTART
	v_cvt_f32_f16 v6, v6;
	;;#ASMEND
	;; [unrolled: 3-line block ×3, first 2 shown]
	v_and_b32_e32 v10, 0xffff, v25
	;;#ASMSTART
	v_cvt_f32_f16 v13, v10;
	;;#ASMEND
	v_lshrrev_b32_e32 v10, 16, v11
	v_fmac_f32_e32 v7, v15, v17
	v_and_b32_e32 v11, 0xffff, v11
	;;#ASMSTART
	v_cvt_f32_f16 v14, v11;
	;;#ASMEND
	;;#ASMSTART
	v_cvt_f32_f16 v15, v10;
	;;#ASMEND
	v_and_b32_e32 v10, 0xffff, v21
	;;#ASMSTART
	v_cvt_f32_f16 v16, v10;
	;;#ASMEND
	v_and_b32_e32 v10, 0xffff, v20
	;;#ASMSTART
	v_cvt_f32_f16 v17, v10;
	;;#ASMEND
	ds_read_b64 v[10:11], v59 offset:88
	v_fmac_f32_e32 v2, v9, v12
	v_fmac_f32_e32 v3, v6, v13
	v_and_b32_e32 v5, 0xffff, v5
	v_and_b32_e32 v4, 0xffff, v4
	s_waitcnt lgkmcnt(0)
	v_lshrrev_b32_e32 v6, 16, v10
	v_and_b32_e32 v9, 0xffff, v10
	v_fma_mixlo_f16 v1, v60, v54, 0
	v_fma_mixlo_f16 v0, v60, v62, 0
	;;#ASMSTART
	v_cvt_f32_f16 v9, v9;
	;;#ASMEND
	;;#ASMSTART
	v_cvt_f32_f16 v6, v6;
	;;#ASMEND
	;;#ASMSTART
	v_cvt_f32_f16 v5, v5;
	;;#ASMEND
	;;#ASMSTART
	v_cvt_f32_f16 v4, v4;
	;;#ASMEND
	v_fmac_f32_e32 v2, v9, v5
	v_fmac_f32_e32 v3, v6, v4
	v_lshrrev_b32_e32 v4, 16, v11
	v_and_b32_e32 v5, 0xffff, v11
	v_and_b32_e32 v1, 0xffff, v1
	;; [unrolled: 1-line block ×3, first 2 shown]
	v_fmac_f32_e32 v8, v15, v17
	;;#ASMSTART
	v_cvt_f32_f16 v5, v5;
	;;#ASMEND
	;;#ASMSTART
	v_cvt_f32_f16 v4, v4;
	;;#ASMEND
	;; [unrolled: 3-line block ×4, first 2 shown]
	v_fmac_f32_e32 v8, v4, v0
	v_add_f32_e32 v0, v2, v3
	v_accvgpr_read_b32 v3, a46
	v_fmac_f32_e32 v7, v14, v16
	v_and_b32_e32 v2, 64, v3
	v_fmac_f32_e32 v7, v5, v1
	v_xor_b32_e32 v1, 1, v3
	v_add_u32_e32 v2, 64, v2
	v_cmp_lt_i32_e64 s[8:9], v1, v2
	v_add_f32_e32 v0, v0, v7
	v_cndmask_b32_e64 v1, v3, v1, s[8:9]
	v_add_f32_e32 v0, v8, v0
	v_lshlrev_b32_e32 v1, 2, v1
	ds_bpermute_b32 v1, v1, v0
	s_and_saveexec_b64 s[30:31], vcc
	s_cbranch_execz .LBB300_11
; %bb.305:                              ;   in Loop: Header=BB300_13 Depth=1
	buffer_load_dword v4, off, s[0:3], s32 offset:136 ; 4-byte Folded Reload
	v_accvgpr_read_b32 v2, a45
	v_add_u32_e32 v2, v2, v45
	v_cvt_f32_i32_e32 v2, v2
	s_waitcnt lgkmcnt(0)
	v_add_f32_e32 v0, v0, v1
	v_accvgpr_read_b32 v1, a33
	s_load_dword s8, s[26:27], 0x0
	v_accvgpr_read_b32 v3, a37
	v_add_u32_e32 v3, v3, v45
	s_waitcnt vmcnt(0)
	v_mul_f32_e32 v2, v4, v2
	v_cndmask_b32_e64 v2, 0, v2, s[6:7]
	v_fmac_f32_e32 v2, v0, v1
	buffer_load_dword v1, off, s[0:3], s32 offset:132 ; 4-byte Folded Reload
	v_accvgpr_read_b32 v4, a43
	v_accvgpr_read_b32 v0, a8
	s_waitcnt lgkmcnt(0)
	v_add_u32_e32 v4, s8, v4
	v_cmp_lt_i32_e64 s[8:9], v3, v0
	v_cndmask_b32_e64 v0, 0, v2, s[8:9]
	ds_write_b32 v4, v0
	s_waitcnt vmcnt(0)
	v_max_f32_e32 v0, v1, v1
	v_max_f32_e32 v0, v0, v2
	v_cndmask_b32_e64 v1, v1, v0, s[8:9]
	buffer_store_dword v1, off, s[0:3], s32 offset:132 ; 4-byte Folded Spill
	s_branch .LBB300_11
.LBB300_306:
	s_or_b64 exec, exec, s[28:29]
	buffer_load_dword v5, off, s[0:3], s32 offset:132 ; 4-byte Folded Reload
	v_accvgpr_read_b32 v35, a29
	v_accvgpr_read_b32 v19, a2
	;; [unrolled: 1-line block ×19, first 2 shown]
.LBB300_307:
	s_or_b64 exec, exec, s[24:25]
	v_mbcnt_hi_u32_b32 v0, -1, v4
	v_and_b32_e32 v1, 64, v0
	v_add_u32_e32 v1, 64, v1
	v_xor_b32_e32 v2, 32, v0
	v_cmp_lt_i32_e32 vcc, v2, v1
	v_cndmask_b32_e32 v2, v0, v2, vcc
	v_lshlrev_b32_e32 v2, 2, v2
	s_waitcnt vmcnt(0)
	ds_bpermute_b32 v3, v2, v5
	v_max_f32_e32 v4, v5, v5
	v_xor_b32_e32 v5, 16, v0
	v_cmp_lt_i32_e32 vcc, v5, v1
	v_xor_b32_e32 v6, 8, v0
	s_waitcnt lgkmcnt(0)
	v_max_f32_e32 v3, v3, v3
	v_max_f32_e32 v4, v4, v3
	v_cndmask_b32_e32 v3, v0, v5, vcc
	v_lshlrev_b32_e32 v3, 2, v3
	ds_bpermute_b32 v5, v3, v4
	v_cmp_lt_i32_e32 vcc, v6, v1
	v_xor_b32_e32 v7, 4, v0
	v_xor_b32_e32 v8, 2, v0
	v_and_b32_e32 v23, 63, v19
	s_waitcnt lgkmcnt(0)
	v_max_f32_e32 v5, v5, v5
	v_max_f32_e32 v5, v4, v5
	v_cndmask_b32_e32 v4, v0, v6, vcc
	v_lshlrev_b32_e32 v4, 2, v4
	ds_bpermute_b32 v6, v4, v5
	v_cmp_lt_i32_e32 vcc, v7, v1
	s_lshr_b32 s28, s38, 16
	s_waitcnt lgkmcnt(0)
	v_max_f32_e32 v6, v6, v6
	v_max_f32_e32 v6, v5, v6
	v_cndmask_b32_e32 v5, v0, v7, vcc
	v_lshlrev_b32_e32 v5, 2, v5
	ds_bpermute_b32 v7, v5, v6
	v_cmp_lt_i32_e32 vcc, v8, v1
	s_waitcnt lgkmcnt(0)
	v_max_f32_e32 v7, v7, v7
	v_max_f32_e32 v7, v6, v7
	v_cndmask_b32_e32 v6, v0, v8, vcc
	v_lshlrev_b32_e32 v36, 2, v6
	ds_bpermute_b32 v8, v36, v7
	v_cmp_eq_u32_e32 vcc, 0, v23
	v_lshlrev_b32_e32 v6, 2, v28
	s_and_saveexec_b64 s[6:7], vcc
	s_cbranch_execz .LBB300_309
; %bb.308:
	s_waitcnt lgkmcnt(0)
	v_max_f32_e32 v8, v8, v8
	v_max_f32_e32 v7, v7, v7
	;; [unrolled: 1-line block ×3, first 2 shown]
	ds_write_b32 v6, v7 offset:192
.LBB300_309:
	s_or_b64 exec, exec, s[6:7]
	v_cmp_gt_u32_e64 s[6:7], 2, v23
	s_waitcnt lgkmcnt(0)
	v_mov_b32_e32 v8, 0xff7fffff
	v_lshlrev_b32_e32 v7, 2, v23
	s_barrier
	s_and_saveexec_b64 s[8:9], s[6:7]
	s_cbranch_execz .LBB300_311
; %bb.310:
	ds_read_b32 v8, v7 offset:192
.LBB300_311:
	s_or_b64 exec, exec, s[8:9]
	v_xor_b32_e32 v9, 1, v0
	v_cmp_lt_i32_e64 s[8:9], v9, v1
	v_cndmask_b32_e64 v1, v0, v9, s[8:9]
	v_lshlrev_b32_e32 v50, 2, v1
	s_waitcnt lgkmcnt(0)
	ds_bpermute_b32 v1, v50, v8
	v_max_f32_e32 v8, v8, v8
	v_lshlrev_b32_e32 v0, 2, v0
	v_accvgpr_read_b32 v9, a11
	v_subrev_u32_e32 v9, s19, v9
	s_waitcnt lgkmcnt(0)
	v_max_f32_e32 v1, v1, v1
	v_max_f32_e32 v1, v8, v1
	v_and_b32_e32 v8, 0x100, v0
	ds_bpermute_b32 v0, v8, v1
	v_lshl_add_u32 v9, v9, 5, s23
	v_accvgpr_read_b32 v10, a8
	v_min_i32_e32 v9, v9, v10
	v_subrev_u32_e32 v1, s23, v9
	v_cmp_lt_i32_e64 s[8:9], v19, v1
	v_mov_b32_e32 v10, 0
	s_and_saveexec_b64 s[24:25], s[8:9]
	s_cbranch_execz .LBB300_315
; %bb.312:
	s_ashr_i32 s21, s20, 31
	s_lshl_b64 s[10:11], s[20:21], 2
	s_getpc_b64 s[26:27]
	s_add_u32 s26, s26, llvm.amdgcn.dynlds.offset.table@rel32@lo+4
	s_addc_u32 s27, s27, llvm.amdgcn.dynlds.offset.table@rel32@hi+12
	s_add_u32 s10, s10, s26
	s_addc_u32 s11, s11, s27
	s_load_dword s10, s[10:11], 0x0
	s_mov_b64 s[26:27], 0
	v_mov_b32_e32 v10, 0
	v_mov_b32_e32 v12, v19
	s_waitcnt lgkmcnt(0)
	v_lshl_add_u32 v11, v19, 2, s10
.LBB300_313:                            ; =>This Inner Loop Header: Depth=1
	ds_read_b32 v13, v11
	v_add_u32_e32 v12, 0x80, v12
	v_cmp_ge_i32_e64 s[10:11], v12, v1
	s_or_b64 s[26:27], s[10:11], s[26:27]
	s_waitcnt lgkmcnt(0)
	v_sub_f32_e32 v13, v13, v0
	v_mul_f32_e32 v13, 0x3fb8aa3b, v13
	v_exp_f32_e32 v13, v13
	ds_write_b32 v11, v13
	v_add_f32_e32 v10, v10, v13
	v_add_u32_e32 v11, 0x200, v11
	s_andn2_b64 exec, exec, s[26:27]
	s_cbranch_execnz .LBB300_313
; %bb.314:
	s_or_b64 exec, exec, s[26:27]
.LBB300_315:
	s_or_b64 exec, exec, s[24:25]
	ds_bpermute_b32 v2, v2, v10
	s_waitcnt lgkmcnt(0)
	v_add_f32_e32 v2, v10, v2
	ds_bpermute_b32 v3, v3, v2
	s_waitcnt lgkmcnt(0)
	v_add_f32_e32 v2, v2, v3
	ds_bpermute_b32 v3, v4, v2
	s_waitcnt lgkmcnt(0)
	v_add_f32_e32 v2, v2, v3
	ds_bpermute_b32 v3, v5, v2
	s_waitcnt lgkmcnt(0)
	v_add_f32_e32 v2, v2, v3
	ds_bpermute_b32 v3, v36, v2
	s_waitcnt lgkmcnt(0)
	v_add_f32_e32 v2, v2, v3
	ds_bpermute_b32 v3, v50, v2
	s_waitcnt lgkmcnt(0)
	v_add_f32_e32 v2, v2, v3
	s_and_saveexec_b64 s[10:11], vcc
	s_cbranch_execz .LBB300_317
; %bb.316:
	ds_write_b32 v6, v2 offset:200
.LBB300_317:
	s_or_b64 exec, exec, s[10:11]
	s_waitcnt lgkmcnt(0)
	s_barrier
	s_and_saveexec_b64 s[10:11], s[6:7]
	s_cbranch_execz .LBB300_319
; %bb.318:
	ds_read_b32 v2, v7 offset:200
.LBB300_319:
	s_or_b64 exec, exec, s[10:11]
	s_waitcnt lgkmcnt(0)
	ds_bpermute_b32 v3, v50, v2
	s_waitcnt lgkmcnt(0)
	v_add_f32_e32 v2, v2, v3
	ds_bpermute_b32 v2, v8, v2
	s_and_saveexec_b64 s[6:7], s[8:9]
	s_cbranch_execz .LBB300_332
; %bb.320:
	s_waitcnt lgkmcnt(0)
	v_add_f32_e32 v3, 0x358637bd, v2
	v_div_scale_f32 v4, s[8:9], v3, v3, 1.0
	v_rcp_f32_e32 v5, v4
	v_div_scale_f32 v6, vcc, 1.0, v3, 1.0
	s_movk_i32 s8, 0x7f
	v_fma_f32 v7, -v4, v5, 1.0
	v_fmac_f32_e32 v5, v7, v5
	v_mul_f32_e32 v7, v6, v5
	v_fma_f32 v8, -v4, v7, v6
	v_fmac_f32_e32 v7, v8, v5
	v_fma_f32 v4, -v4, v7, v6
	v_div_fmas_f32 v4, v4, v5, v7
	v_div_fixup_f32 v8, v4, v3, 1.0
	v_xad_u32 v3, v19, -1, v9
	v_subrev_u32_e32 v4, s23, v3
	v_cmp_lt_u32_e32 vcc, s8, v4
	s_mov_b64 s[10:11], -1
	v_mov_b32_e32 v3, v19
	s_and_saveexec_b64 s[8:9], vcc
	s_cbranch_execz .LBB300_329
; %bb.321:
	v_lshrrev_b32_e32 v3, 7, v4
	v_add_u32_e32 v5, -1, v3
	v_lshrrev_b32_e32 v4, 1, v5
	v_mov_b32_e32 v9, v8
	v_add_u32_e32 v4, 1, v4
	v_cmp_lt_u32_e32 vcc, 13, v5
	v_mov_b32_e32 v7, 0
	s_and_saveexec_b64 s[10:11], vcc
	s_cbranch_execz .LBB300_325
; %bb.322:
	s_ashr_i32 s21, s20, 31
	s_lshl_b64 s[24:25], s[20:21], 2
	s_getpc_b64 s[26:27]
	s_add_u32 s26, s26, llvm.amdgcn.dynlds.offset.table@rel32@lo+4
	s_addc_u32 s27, s27, llvm.amdgcn.dynlds.offset.table@rel32@hi+12
	s_add_u32 s24, s24, s26
	s_addc_u32 s25, s25, s27
	s_load_dword s21, s[24:25], 0x0
	v_and_b32_e32 v5, -8, v4
	s_mov_b32 s19, 0
	s_mov_b64 s[24:25], 0
	s_waitcnt lgkmcnt(0)
	v_lshl_add_u32 v6, v19, 2, s21
.LBB300_323:                            ; =>This Inner Loop Header: Depth=1
	ds_read2st64_b32 v[10:11], v6 offset1:2
	ds_read2st64_b32 v[12:13], v6 offset0:4 offset1:6
	ds_read2st64_b32 v[20:21], v6 offset0:8 offset1:10
	;; [unrolled: 1-line block ×3, first 2 shown]
	v_add_u32_e32 v5, -8, v5
	s_waitcnt lgkmcnt(3)
	v_pk_mul_f32 v[10:11], v[8:9], v[10:11]
	s_waitcnt lgkmcnt(2)
	v_pk_mul_f32 v[12:13], v[8:9], v[12:13]
	ds_write2st64_b32 v6, v10, v11 offset1:2
	ds_write2st64_b32 v6, v12, v13 offset0:4 offset1:6
	ds_read2st64_b32 v[12:13], v6 offset0:16 offset1:18
	s_waitcnt lgkmcnt(4)
	v_pk_mul_f32 v[10:11], v[8:9], v[20:21]
	ds_write2st64_b32 v6, v10, v11 offset0:8 offset1:10
	s_waitcnt lgkmcnt(4)
	v_pk_mul_f32 v[10:11], v[8:9], v[16:17]
	ds_write2st64_b32 v6, v10, v11 offset0:12 offset1:14
	ds_read2st64_b32 v[10:11], v6 offset0:20 offset1:22
	s_waitcnt lgkmcnt(3)
	v_pk_mul_f32 v[12:13], v[8:9], v[12:13]
	ds_read2st64_b32 v[16:17], v6 offset0:24 offset1:26
	ds_write2st64_b32 v6, v12, v13 offset0:16 offset1:18
	ds_read2st64_b32 v[12:13], v6 offset0:28 offset1:30
	s_waitcnt lgkmcnt(3)
	v_pk_mul_f32 v[10:11], v[8:9], v[10:11]
	ds_write2st64_b32 v6, v10, v11 offset0:20 offset1:22
	s_waitcnt lgkmcnt(3)
	v_pk_mul_f32 v[10:11], v[8:9], v[16:17]
	ds_write2st64_b32 v6, v10, v11 offset0:24 offset1:26
	s_waitcnt lgkmcnt(2)
	v_pk_mul_f32 v[10:11], v[8:9], v[12:13]
	s_add_i32 s19, s19, 16
	v_cmp_eq_u32_e32 vcc, 0, v5
	ds_write2st64_b32 v6, v10, v11 offset0:28 offset1:30
	v_add_u32_e32 v6, 0x2000, v6
	s_or_b64 s[24:25], vcc, s[24:25]
	v_mov_b32_e32 v7, s19
	s_andn2_b64 exec, exec, s[24:25]
	s_cbranch_execnz .LBB300_323
; %bb.324:
	s_or_b64 exec, exec, s[24:25]
.LBB300_325:
	s_or_b64 exec, exec, s[10:11]
	v_and_b32_e32 v4, 7, v4
	v_cmp_ne_u32_e32 vcc, 0, v4
	s_and_saveexec_b64 s[10:11], vcc
	s_cbranch_execz .LBB300_328
; %bb.326:
	s_ashr_i32 s21, s20, 31
	s_lshl_b64 s[24:25], s[20:21], 2
	s_getpc_b64 s[26:27]
	s_add_u32 s26, s26, llvm.amdgcn.dynlds.offset.table@rel32@lo+4
	s_addc_u32 s27, s27, llvm.amdgcn.dynlds.offset.table@rel32@hi+12
	s_add_u32 s24, s24, s26
	s_addc_u32 s25, s25, s27
	s_load_dword s19, s[24:25], 0x0
	v_lshlrev_b32_e32 v5, 9, v7
	v_lshlrev_b32_e32 v6, 2, v19
	s_mov_b64 s[24:25], 0
	s_waitcnt lgkmcnt(0)
	v_add3_u32 v5, v5, v6, s19
.LBB300_327:                            ; =>This Inner Loop Header: Depth=1
	ds_read2st64_b32 v[6:7], v5 offset1:2
	v_add_u32_e32 v4, -1, v4
	v_cmp_eq_u32_e32 vcc, 0, v4
	s_or_b64 s[24:25], vcc, s[24:25]
	s_waitcnt lgkmcnt(0)
	v_pk_mul_f32 v[6:7], v[8:9], v[6:7]
	ds_write2st64_b32 v5, v6, v7 offset1:2
	v_add_u32_e32 v5, 0x400, v5
	s_andn2_b64 exec, exec, s[24:25]
	s_cbranch_execnz .LBB300_327
.LBB300_328:
	s_or_b64 exec, exec, s[10:11]
	v_add_u32_e32 v4, 1, v3
	v_and_b32_e32 v5, 0x3fffffe, v4
	v_cmp_ne_u32_e32 vcc, v4, v5
	v_lshl_add_u32 v3, v5, 7, v19
	s_orn2_b64 s[10:11], vcc, exec
.LBB300_329:
	s_or_b64 exec, exec, s[8:9]
	s_and_b64 exec, exec, s[10:11]
	s_cbranch_execz .LBB300_332
; %bb.330:
	s_ashr_i32 s21, s20, 31
	s_lshl_b64 s[8:9], s[20:21], 2
	s_getpc_b64 s[10:11]
	s_add_u32 s10, s10, llvm.amdgcn.dynlds.offset.table@rel32@lo+4
	s_addc_u32 s11, s11, llvm.amdgcn.dynlds.offset.table@rel32@hi+12
	s_add_u32 s8, s8, s10
	s_addc_u32 s9, s9, s11
	s_load_dword s8, s[8:9], 0x0
	s_waitcnt lgkmcnt(0)
	v_lshl_add_u32 v4, v3, 2, s8
	s_mov_b64 s[8:9], 0
.LBB300_331:                            ; =>This Inner Loop Header: Depth=1
	ds_read_b32 v5, v4
	v_add_u32_e32 v3, 0x80, v3
	v_cmp_ge_i32_e32 vcc, v3, v1
	s_or_b64 s[8:9], vcc, s[8:9]
	s_waitcnt lgkmcnt(0)
	v_mul_f32_e32 v5, v8, v5
	ds_write_b32 v4, v5
	v_add_u32_e32 v4, 0x200, v4
	s_andn2_b64 exec, exec, s[8:9]
	s_cbranch_execnz .LBB300_331
.LBB300_332:
	s_or_b64 exec, exec, s[6:7]
	v_cmp_ne_u16_e64 s[6:7], s28, 0
	s_cmp_lg_u64 s[6:7], 0
	s_addc_u32 s19, s13, 0
	s_mul_i32 s6, s19, s22
	v_cmp_eq_u32_e32 vcc, 0, v19
	s_mul_i32 s6, s6, s15
	s_waitcnt lgkmcnt(0)
	s_barrier
	s_and_saveexec_b64 s[8:9], vcc
	s_cbranch_execz .LBB300_334
; %bb.333:
	s_mul_i32 s12, s19, s12
	s_ashr_i32 s7, s6, 31
	s_ashr_i32 s13, s12, 31
	s_ashr_i32 s15, s14, 31
	s_lshl_b64 s[10:11], s[6:7], 2
	s_lshl_b64 s[12:13], s[12:13], 2
	;; [unrolled: 1-line block ×3, first 2 shown]
	s_add_u32 s7, s22, s12
	s_addc_u32 s12, s23, s13
	s_add_u32 s7, s7, s10
	s_addc_u32 s10, s12, s11
	v_mov_b32_e32 v1, s10
	v_add_co_u32_e32 v4, vcc, s7, v32
	v_addc_co_u32_e32 v5, vcc, v1, v27, vcc
	flat_store_dword v[4:5], v0
	v_add_co_u32_e32 v0, vcc, s7, v26
	v_addc_co_u32_e32 v1, vcc, v1, v25, vcc
	flat_store_dword v[0:1], v2
.LBB300_334:
	s_or_b64 exec, exec, s[8:9]
	s_ashr_i32 s21, s20, 31
	s_lshl_b64 s[8:9], s[20:21], 2
	s_getpc_b64 s[10:11]
	s_add_u32 s10, s10, llvm.amdgcn.dynlds.offset.table@rel32@lo+4
	s_addc_u32 s11, s11, llvm.amdgcn.dynlds.offset.table@rel32@hi+12
	s_add_u32 s20, s8, s10
	s_addc_u32 s21, s9, s11
	s_mov_b32 s8, 0
	v_mov_b32_e32 v21, 0
	v_and_b32_e32 v12, 3, v19
	v_mov_b32_e32 v20, 0
	v_mov_b32_e32 v19, 0
	v_mov_b32_e32 v18, 0
	v_mov_b32_e32 v17, 0
	v_mov_b32_e32 v16, 0
	s_and_saveexec_b64 s[22:23], s[4:5]
	s_cbranch_execz .LBB300_640
; %bb.335:
	v_max_i32_e32 v55, v30, v38
	v_cvt_f32_u32_e32 v0, v55
	v_add_co_u32_e32 v4, vcc, v24, v29
	v_addc_co_u32_e32 v5, vcc, v22, v37, vcc
	v_rcp_iflag_f32_e32 v0, v0
	v_and_b32_e32 v6, 0x1f8, v31
	v_add_co_u32_e32 v8, vcc, v4, v6
	v_mul_f32_e32 v0, 0x4f7ffffe, v0
	v_cvt_u32_f32_e32 v0, v0
	v_sub_u32_e32 v2, 0, v55
	v_addc_co_u32_e32 v9, vcc, 0, v5, vcc
	v_accvgpr_read_b32 v4, a12
	v_mul_lo_u32 v2, v2, v0
	v_accvgpr_read_b32 v5, a13
	s_load_dword s4, s[20:21], 0x0
	v_mul_hi_u32 v2, v0, v2
	v_lshlrev_b64 v[4:5], 2, v[4:5]
	v_add_u32_e32 v2, v0, v2
	v_add_co_u32_e32 v0, vcc, v34, v4
	v_addc_co_u32_e32 v4, vcc, v35, v5, vcc
	v_add_co_u32_e32 v10, vcc, v14, v0
	v_lshlrev_b32_e32 v0, 5, v12
	s_mov_b32 s12, s8
	s_mov_b32 s13, s8
	s_mov_b32 s24, -1
	v_lshl_or_b32 v0, v28, 7, v0
	s_mov_b32 s9, s8
	s_mov_b32 s10, s8
	s_mov_b32 s11, s8
	v_pk_mov_b32 v[20:21], s[12:13], s[12:13] op_sel:[0,1]
	v_accvgpr_write_b32 a16, v23
	v_and_b32_e32 v41, 24, v31
	s_mov_b32 s25, 0xffffff
	v_add_u32_e32 v37, -1, v33
	v_mov_b32_e32 v1, 0
	v_accvgpr_read_b32 v3, a8
	v_addc_co_u32_e32 v11, vcc, v15, v4, vcc
	v_accvgpr_write_b32 a13, v12
	s_waitcnt lgkmcnt(0)
	v_add_u32_e32 v29, s4, v0
	s_mov_b64 s[26:27], 0
	v_pk_mov_b32 v[18:19], s[10:11], s[10:11] op_sel:[0,1]
	v_pk_mov_b32 v[16:17], s[8:9], s[8:9] op_sel:[0,1]
	s_movk_i32 s7, 0x80
	s_movk_i32 s15, 0x7f
	s_mov_b32 s30, 0x8000
	s_movk_i32 s31, 0x380
	s_mov_b32 s34, 0x3020706
	s_mov_b32 s35, 0x1000504
	;; [unrolled: 1-line block ×3, first 2 shown]
	v_mov_b32_e32 v51, 0x2000
	v_accvgpr_read_b32 v5, a15
	s_branch .LBB300_338
.LBB300_336:                            ;   in Loop: Header=BB300_338 Depth=1
	s_or_b64 exec, exec, s[4:5]
	v_add_f32_e32 v4, v4, v5
	v_add_f32_e32 v17, v17, v4
	v_add_f32_e32 v4, v62, v40
	v_add_f32_e32 v18, v18, v4
	v_add_f32_e32 v4, v33, v49
	v_add_f32_e32 v19, v19, v4
	v_add_f32_e32 v4, v6, v7
	v_add_f32_e32 v20, v20, v4
	;;#ASMSTART
	v_pk_mul_f16 v4, v59, v14;

	;;#ASMEND
	;;#ASMSTART
	v_pk_mul_f16 v0, v58, v0;

	;;#ASMEND
	;; [unrolled: 4-line block ×4, first 2 shown]
	;;#ASMSTART
	v_pk_add_f16 v0, v4, v0;

	;;#ASMEND
	;;#ASMSTART
	v_pk_add_f16 v0, v0, v5;

	;;#ASMEND
	;; [unrolled: 4-line block ×3, first 2 shown]
	v_lshrrev_b32_e32 v4, 16, v0
	v_and_b32_e32 v0, 0xffff, v0
	;;#ASMSTART
	v_cvt_f32_f16 v0, v0;
	;;#ASMEND
	v_add_f32_e32 v15, v60, v61
	;;#ASMSTART
	v_cvt_f32_f16 v4, v4;
	;;#ASMEND
	v_add_f32_e32 v0, v0, v4
	v_add_f32_e32 v16, v16, v15
	;; [unrolled: 1-line block ×3, first 2 shown]
.LBB300_337:                            ;   in Loop: Header=BB300_338 Depth=1
	s_or_b64 exec, exec, s[8:9]
	v_accvgpr_read_b32 v4, a12
	v_add_co_u32_e32 v10, vcc, 8, v10
	v_add_u32_e32 v4, 2, v4
	v_addc_co_u32_e32 v11, vcc, 0, v11, vcc
	v_accvgpr_read_b32 v0, a11
	v_mov_b32_e32 v5, v52
	v_cmp_ge_i32_e32 vcc, v4, v0
	v_add_u32_e32 v5, 64, v5
	v_accvgpr_write_b32 a12, v4
	s_or_b64 s[26:27], vcc, s[26:27]
	v_add_u32_e32 v29, 0x100, v29
	s_andn2_b64 exec, exec, s[26:27]
	s_cbranch_execz .LBB300_639
.LBB300_338:                            ; =>This Inner Loop Header: Depth=1
	v_ashrrev_i32_e32 v0, 31, v5
	v_accvgpr_read_b32 v4, a9
	v_xor_b32_e32 v0, v0, v4
	v_sub_u32_e32 v4, 0, v5
	v_mov_b32_e32 v52, v5
	v_max_i32_e32 v4, v5, v4
	v_accvgpr_read_b32 v5, a7
	v_mul_hi_u32 v5, v4, v5
	v_accvgpr_read_b32 v7, a3
	v_mul_lo_u32 v6, v5, v7
	v_sub_u32_e32 v4, v4, v6
	v_add_u32_e32 v6, 1, v5
	v_cmp_ge_u32_e32 vcc, v4, v7
	v_cndmask_b32_e32 v5, v5, v6, vcc
	v_sub_u32_e32 v6, v4, v7
	v_cndmask_b32_e32 v4, v4, v6, vcc
	v_add_u32_e32 v6, 1, v5
	v_cmp_ge_u32_e32 vcc, v4, v7
	v_cndmask_b32_e32 v4, v5, v6, vcc
	v_xor_b32_e32 v4, v4, v0
	v_sub_u32_e32 v0, v4, v0
	v_accvgpr_read_b32 v4, a10
	v_add_u32_e32 v4, v0, v4
	v_sub_u32_e32 v6, 0, v4
	v_ashrrev_i32_e32 v5, 31, v4
	v_max_i32_e32 v4, v4, v6
	v_mul_hi_u32 v6, v4, v2
	v_mul_lo_u32 v6, v6, v55
	v_sub_u32_e32 v4, v4, v6
	v_sub_u32_e32 v6, v4, v55
	v_cmp_ge_u32_e32 vcc, v4, v55
	v_cndmask_b32_e32 v4, v4, v6, vcc
	v_sub_u32_e32 v6, v4, v55
	v_cmp_ge_u32_e32 vcc, v4, v55
	v_cndmask_b32_e32 v4, v4, v6, vcc
	v_xor_b32_e32 v4, v4, v5
	v_sub_u32_e32 v4, v4, v5
	v_cmp_eq_u32_e32 vcc, 0, v4
	v_accvgpr_read_b32 v4, a14
	v_cmp_gt_i32_e64 s[4:5], v0, v4
	s_or_b64 s[4:5], vcc, s[4:5]
	s_and_saveexec_b64 s[8:9], s[4:5]
	s_cbranch_execz .LBB300_337
; %bb.339:                              ;   in Loop: Header=BB300_338 Depth=1
	flat_load_dword v0, v[10:11]
	ds_read2_b64 v[4:7], v29 offset1:1
	ds_read2_b64 v[24:27], v29 offset0:2 offset1:3
	v_accvgpr_read_b32 v12, a6
	v_mov_b32_e32 v30, 0
	s_waitcnt lgkmcnt(0)
	;;#ASMSTART
	v_cvt_f16_f32 v4, v4;

	;;#ASMEND
	;;#ASMSTART
	v_cvt_f16_f32 v5, v5;

	;;#ASMEND
	;; [unrolled: 4-line block ×6, first 2 shown]
	v_accvgpr_read_b32 v25, a5
	;;#ASMSTART
	v_cvt_f16_f32 v33, v26;

	;;#ASMEND
	;;#ASMSTART
	v_cvt_f16_f32 v39, v27;

	;;#ASMEND
	v_accvgpr_read_b32 v24, a4
	flat_load_dword v14, v[24:25]
	v_mov_b32_e32 v24, 0
	s_waitcnt vmcnt(0)
	v_mad_i64_i32 v[12:13], s[4:5], v0, v12, v[8:9]
	flat_load_dwordx2 v[34:35], v[12:13]
	s_waitcnt vmcnt(0) lgkmcnt(0)
	v_cmp_ne_u16_sdwa s[10:11], v34, v1 src0_sel:BYTE_0 src1_sel:DWORD
	s_and_saveexec_b64 s[4:5], s[10:11]
	s_cbranch_execz .LBB300_345
; %bb.340:                              ;   in Loop: Header=BB300_338 Depth=1
	v_cmp_ne_u16_sdwa s[12:13], v34, s7 src0_sel:BYTE_0 src1_sel:DWORD
	v_bfrev_b32_e32 v24, 1
	s_and_saveexec_b64 s[10:11], s[12:13]
	s_cbranch_execz .LBB300_344
; %bb.341:                              ;   in Loop: Header=BB300_338 Depth=1
	v_and_b32_e32 v0, 0x7f, v34
	v_cmp_ne_u32_e32 vcc, s15, v0
	v_mov_b32_e32 v24, 0x7fc02000
	s_and_saveexec_b64 s[12:13], vcc
	s_cbranch_execz .LBB300_343
; %bb.342:                              ;   in Loop: Header=BB300_338 Depth=1
	v_and_b32_e32 v23, 7, v34
	v_ffbh_u32_e32 v23, v23
	v_min_u32_e32 v23, 32, v23
	v_subrev_u32_e32 v24, 28, v23
	v_cmp_gt_u32_e32 vcc, 8, v0
	v_lshrrev_b32_e32 v26, 3, v0
	v_sub_u32_e32 v23, 29, v23
	v_cndmask_b32_e32 v0, 0, v24, vcc
	v_lshlrev_b64 v[24:25], v0, v[34:35]
	v_cndmask_b32_e32 v0, v26, v23, vcc
	v_lshlrev_b32_e32 v23, 7, v24
	v_lshlrev_b32_e32 v24, 8, v34
	v_lshl_add_u32 v0, v0, 10, v51
	v_and_or_b32 v0, v24, s30, v0
	v_and_or_b32 v0, v23, s31, v0
	v_cvt_f32_f16_e32 v24, v0
.LBB300_343:                            ;   in Loop: Header=BB300_338 Depth=1
	s_or_b64 exec, exec, s[12:13]
.LBB300_344:                            ;   in Loop: Header=BB300_338 Depth=1
	s_or_b64 exec, exec, s[10:11]
.LBB300_345:                            ;   in Loop: Header=BB300_338 Depth=1
	s_or_b64 exec, exec, s[4:5]
	v_lshrrev_b16_e32 v0, 8, v34
	v_cmp_ne_u16_e32 vcc, 0, v0
	s_and_saveexec_b64 s[4:5], vcc
	s_cbranch_execz .LBB300_351
; %bb.346:                              ;   in Loop: Header=BB300_338 Depth=1
	v_cmp_ne_u16_e32 vcc, s7, v0
	v_bfrev_b32_e32 v30, 1
	s_and_saveexec_b64 s[10:11], vcc
	s_cbranch_execz .LBB300_350
; %bb.347:                              ;   in Loop: Header=BB300_338 Depth=1
	v_and_b32_e32 v25, 0x7f, v0
	v_cmp_ne_u32_e32 vcc, s15, v25
	v_mov_b32_e32 v30, 0x7fc02000
	s_and_saveexec_b64 s[12:13], vcc
	s_cbranch_execz .LBB300_349
; %bb.348:                              ;   in Loop: Header=BB300_338 Depth=1
	v_and_b32_e32 v23, 7, v0
	v_ffbh_u32_e32 v26, v23
	v_min_u32_e32 v30, 32, v26
	v_subrev_u32_e32 v26, 28, v30
	v_lshlrev_b64 v[26:27], v26, v[0:1]
	v_lshrrev_b32_e32 v28, 3, v25
	v_sub_u32_e32 v27, 29, v30
	v_cmp_gt_u32_e32 vcc, 8, v25
	v_cndmask_b32_e32 v25, v28, v27, vcc
	v_and_b32_e32 v26, 7, v26
	v_lshlrev_b32_e32 v0, 8, v0
	v_lshl_add_u32 v25, v25, 10, v51
	v_cndmask_b32_e32 v23, v23, v26, vcc
	v_and_or_b32 v0, v0, s30, v25
	v_lshl_or_b32 v0, v23, 7, v0
	v_cvt_f32_f16_e32 v30, v0
.LBB300_349:                            ;   in Loop: Header=BB300_338 Depth=1
	s_or_b64 exec, exec, s[12:13]
.LBB300_350:                            ;   in Loop: Header=BB300_338 Depth=1
	s_or_b64 exec, exec, s[10:11]
.LBB300_351:                            ;   in Loop: Header=BB300_338 Depth=1
	s_or_b64 exec, exec, s[4:5]
	v_lshrrev_b32_e32 v0, 16, v34
	v_cmp_ne_u16_sdwa s[10:11], v0, v1 src0_sel:BYTE_0 src1_sel:DWORD
	v_mov_b32_e32 v31, 0
	v_mov_b32_e32 v25, 0
	s_and_saveexec_b64 s[4:5], s[10:11]
	s_cbranch_execz .LBB300_357
; %bb.352:                              ;   in Loop: Header=BB300_338 Depth=1
	v_cmp_ne_u16_sdwa s[12:13], v0, s7 src0_sel:BYTE_0 src1_sel:DWORD
	v_bfrev_b32_e32 v25, 1
	s_and_saveexec_b64 s[10:11], s[12:13]
	s_cbranch_execz .LBB300_356
; %bb.353:                              ;   in Loop: Header=BB300_338 Depth=1
	v_bfe_u32 v26, v34, 16, 7
	v_cmp_ne_u32_e32 vcc, s15, v26
	v_mov_b32_e32 v25, 0x7fc02000
	s_and_saveexec_b64 s[12:13], vcc
	s_cbranch_execz .LBB300_355
; %bb.354:                              ;   in Loop: Header=BB300_338 Depth=1
	v_and_b32_e32 v23, 7, v0
	v_ffbh_u32_e32 v27, v23
	v_min_u32_e32 v27, 32, v27
	v_lshrrev_b32_e32 v25, 3, v26
	v_subrev_u32_e32 v28, 28, v27
	v_sub_u32_e32 v27, 29, v27
	v_cmp_gt_u32_e32 vcc, 8, v26
	v_lshlrev_b64 v[48:49], v28, v[0:1]
	v_cndmask_b32_e32 v25, v25, v27, vcc
	v_and_b32_e32 v28, 7, v48
	v_lshlrev_b32_e32 v0, 8, v0
	v_lshl_add_u32 v25, v25, 10, v51
	v_cndmask_b32_e32 v23, v23, v28, vcc
	v_and_or_b32 v0, v0, s30, v25
	v_lshl_or_b32 v0, v23, 7, v0
	v_cvt_f32_f16_e32 v25, v0
.LBB300_355:                            ;   in Loop: Header=BB300_338 Depth=1
	s_or_b64 exec, exec, s[12:13]
.LBB300_356:                            ;   in Loop: Header=BB300_338 Depth=1
	s_or_b64 exec, exec, s[10:11]
.LBB300_357:                            ;   in Loop: Header=BB300_338 Depth=1
	s_or_b64 exec, exec, s[4:5]
	v_cmp_lt_u32_e32 vcc, s25, v34
	s_and_saveexec_b64 s[4:5], vcc
	s_cbranch_execz .LBB300_363
; %bb.358:                              ;   in Loop: Header=BB300_338 Depth=1
	v_lshrrev_b32_e32 v0, 24, v34
	v_cmp_ne_u32_e32 vcc, s7, v0
	v_bfrev_b32_e32 v31, 1
	s_and_saveexec_b64 s[10:11], vcc
	s_cbranch_execz .LBB300_362
; %bb.359:                              ;   in Loop: Header=BB300_338 Depth=1
	v_and_b32_e32 v26, 0x7f, v0
	v_cmp_ne_u32_e32 vcc, s15, v26
	v_mov_b32_e32 v31, 0x7fc02000
	s_and_saveexec_b64 s[12:13], vcc
	s_cbranch_execz .LBB300_361
; %bb.360:                              ;   in Loop: Header=BB300_338 Depth=1
	v_and_b32_e32 v23, 7, v0
	v_ffbh_u32_e32 v28, v23
	v_min_u32_e32 v28, 32, v28
	v_lshrrev_b32_e32 v27, 3, v26
	v_subrev_u32_e32 v31, 28, v28
	v_sub_u32_e32 v28, 29, v28
	v_cmp_gt_u32_e32 vcc, 8, v26
	v_lshlrev_b64 v[48:49], v31, v[0:1]
	v_cndmask_b32_e32 v26, v27, v28, vcc
	v_and_b32_e32 v31, 7, v48
	v_lshlrev_b32_e32 v0, 8, v0
	v_lshl_add_u32 v26, v26, 10, v51
	v_cndmask_b32_e32 v23, v23, v31, vcc
	v_and_or_b32 v0, v0, s30, v26
	v_lshl_or_b32 v0, v23, 7, v0
	v_cvt_f32_f16_e32 v31, v0
.LBB300_361:                            ;   in Loop: Header=BB300_338 Depth=1
	s_or_b64 exec, exec, s[12:13]
.LBB300_362:                            ;   in Loop: Header=BB300_338 Depth=1
	s_or_b64 exec, exec, s[10:11]
.LBB300_363:                            ;   in Loop: Header=BB300_338 Depth=1
	s_or_b64 exec, exec, s[4:5]
	v_mov_b32_e32 v0, v35
	v_cmp_ne_u16_sdwa s[10:11], v35, v1 src0_sel:BYTE_0 src1_sel:DWORD
	v_mov_b32_e32 v27, 0
	v_mov_b32_e32 v26, 0
	s_and_saveexec_b64 s[4:5], s[10:11]
	s_cbranch_execz .LBB300_369
; %bb.364:                              ;   in Loop: Header=BB300_338 Depth=1
	v_cmp_ne_u16_sdwa s[12:13], v35, s7 src0_sel:BYTE_0 src1_sel:DWORD
	v_bfrev_b32_e32 v26, 1
	s_and_saveexec_b64 s[10:11], s[12:13]
	s_cbranch_execz .LBB300_368
; %bb.365:                              ;   in Loop: Header=BB300_338 Depth=1
	v_and_b32_e32 v48, 0x7f, v35
	v_cmp_ne_u32_e32 vcc, s15, v48
	v_mov_b32_e32 v26, 0x7fc02000
	s_and_saveexec_b64 s[12:13], vcc
	s_cbranch_execz .LBB300_367
; %bb.366:                              ;   in Loop: Header=BB300_338 Depth=1
	v_and_b32_e32 v23, 7, v35
	v_ffbh_u32_e32 v23, v23
	v_min_u32_e32 v23, 32, v23
	v_lshrrev_b32_e32 v26, 3, v48
	v_subrev_u32_e32 v28, 28, v23
	v_sub_u32_e32 v23, 29, v23
	v_cmp_gt_u32_e32 vcc, 8, v48
	v_cndmask_b32_e32 v28, 0, v28, vcc
	v_cndmask_b32_e32 v23, v26, v23, vcc
	v_lshlrev_b64 v[48:49], v28, v[0:1]
	v_lshlrev_b32_e32 v28, 8, v35
	v_lshl_add_u32 v23, v23, 10, v51
	v_lshlrev_b32_e32 v26, 7, v48
	v_and_or_b32 v23, v28, s30, v23
	v_and_or_b32 v23, v26, s31, v23
	v_cvt_f32_f16_e32 v26, v23
.LBB300_367:                            ;   in Loop: Header=BB300_338 Depth=1
	s_or_b64 exec, exec, s[12:13]
.LBB300_368:                            ;   in Loop: Header=BB300_338 Depth=1
	s_or_b64 exec, exec, s[10:11]
.LBB300_369:                            ;   in Loop: Header=BB300_338 Depth=1
	s_or_b64 exec, exec, s[4:5]
	v_lshrrev_b16_e32 v0, 8, v0
	v_cmp_ne_u16_e32 vcc, 0, v0
	s_and_saveexec_b64 s[4:5], vcc
	s_cbranch_execz .LBB300_375
; %bb.370:                              ;   in Loop: Header=BB300_338 Depth=1
	v_cmp_ne_u16_e32 vcc, s7, v0
	v_bfrev_b32_e32 v27, 1
	s_and_saveexec_b64 s[10:11], vcc
	s_cbranch_execz .LBB300_374
; %bb.371:                              ;   in Loop: Header=BB300_338 Depth=1
	v_and_b32_e32 v48, 0x7f, v0
	v_cmp_ne_u32_e32 vcc, s15, v48
	v_mov_b32_e32 v27, 0x7fc02000
	s_and_saveexec_b64 s[12:13], vcc
	s_cbranch_execz .LBB300_373
; %bb.372:                              ;   in Loop: Header=BB300_338 Depth=1
	v_and_b32_e32 v23, 7, v0
	v_ffbh_u32_e32 v28, v23
	v_min_u32_e32 v28, 32, v28
	v_lshrrev_b32_e32 v27, 3, v48
	v_subrev_u32_e32 v32, 28, v28
	v_sub_u32_e32 v28, 29, v28
	v_cmp_gt_u32_e32 vcc, 8, v48
	v_lshlrev_b64 v[42:43], v32, v[0:1]
	v_cndmask_b32_e32 v27, v27, v28, vcc
	v_and_b32_e32 v32, 7, v42
	v_lshlrev_b32_e32 v0, 8, v0
	v_lshl_add_u32 v27, v27, 10, v51
	v_cndmask_b32_e32 v23, v23, v32, vcc
	v_and_or_b32 v0, v0, s30, v27
	v_lshl_or_b32 v0, v23, 7, v0
	v_cvt_f32_f16_e32 v27, v0
.LBB300_373:                            ;   in Loop: Header=BB300_338 Depth=1
	s_or_b64 exec, exec, s[12:13]
.LBB300_374:                            ;   in Loop: Header=BB300_338 Depth=1
	s_or_b64 exec, exec, s[10:11]
.LBB300_375:                            ;   in Loop: Header=BB300_338 Depth=1
	s_or_b64 exec, exec, s[4:5]
	v_lshrrev_b32_e32 v0, 16, v35
	v_cmp_ne_u16_sdwa s[10:11], v0, v1 src0_sel:BYTE_0 src1_sel:DWORD
	v_mov_b32_e32 v48, 0
	v_mov_b32_e32 v49, 0
	s_and_saveexec_b64 s[4:5], s[10:11]
	s_cbranch_execz .LBB300_381
; %bb.376:                              ;   in Loop: Header=BB300_338 Depth=1
	v_cmp_ne_u16_sdwa s[12:13], v0, s7 src0_sel:BYTE_0 src1_sel:DWORD
	v_bfrev_b32_e32 v49, 1
	s_and_saveexec_b64 s[10:11], s[12:13]
	s_cbranch_execz .LBB300_380
; %bb.377:                              ;   in Loop: Header=BB300_338 Depth=1
	v_bfe_u32 v53, v35, 16, 7
	v_cmp_ne_u32_e32 vcc, s15, v53
	v_mov_b32_e32 v49, 0x7fc02000
	s_and_saveexec_b64 s[12:13], vcc
	s_cbranch_execz .LBB300_379
; %bb.378:                              ;   in Loop: Header=BB300_338 Depth=1
	v_and_b32_e32 v23, 7, v0
	v_ffbh_u32_e32 v32, v23
	v_min_u32_e32 v32, 32, v32
	v_lshrrev_b32_e32 v28, 3, v53
	v_subrev_u32_e32 v38, 28, v32
	v_sub_u32_e32 v32, 29, v32
	v_cmp_gt_u32_e32 vcc, 8, v53
	v_lshlrev_b64 v[42:43], v38, v[0:1]
	v_cndmask_b32_e32 v28, v28, v32, vcc
	v_and_b32_e32 v38, 7, v42
	v_lshlrev_b32_e32 v0, 8, v0
	v_lshl_add_u32 v28, v28, 10, v51
	v_cndmask_b32_e32 v23, v23, v38, vcc
	v_and_or_b32 v0, v0, s30, v28
	v_lshl_or_b32 v0, v23, 7, v0
	v_cvt_f32_f16_e32 v49, v0
.LBB300_379:                            ;   in Loop: Header=BB300_338 Depth=1
	s_or_b64 exec, exec, s[12:13]
.LBB300_380:                            ;   in Loop: Header=BB300_338 Depth=1
	s_or_b64 exec, exec, s[10:11]
.LBB300_381:                            ;   in Loop: Header=BB300_338 Depth=1
	s_or_b64 exec, exec, s[4:5]
	v_cmp_lt_u64_e32 vcc, s[24:25], v[34:35]
	s_and_saveexec_b64 s[4:5], vcc
	s_cbranch_execz .LBB300_387
; %bb.382:                              ;   in Loop: Header=BB300_338 Depth=1
	v_lshrrev_b32_e32 v0, 24, v35
	v_cmp_ne_u32_e32 vcc, s7, v0
	v_bfrev_b32_e32 v48, 1
	s_and_saveexec_b64 s[10:11], vcc
	s_cbranch_execz .LBB300_386
; %bb.383:                              ;   in Loop: Header=BB300_338 Depth=1
	v_and_b32_e32 v34, 0x7f, v0
	v_cmp_ne_u32_e32 vcc, s15, v34
	v_mov_b32_e32 v48, 0x7fc02000
	s_and_saveexec_b64 s[12:13], vcc
	s_cbranch_execz .LBB300_385
; %bb.384:                              ;   in Loop: Header=BB300_338 Depth=1
	v_and_b32_e32 v23, 7, v0
	v_ffbh_u32_e32 v32, v23
	v_min_u32_e32 v32, 32, v32
	v_lshrrev_b32_e32 v28, 3, v34
	v_subrev_u32_e32 v35, 28, v32
	v_sub_u32_e32 v32, 29, v32
	v_cmp_gt_u32_e32 vcc, 8, v34
	v_lshlrev_b64 v[42:43], v35, v[0:1]
	v_cndmask_b32_e32 v28, v28, v32, vcc
	v_and_b32_e32 v35, 7, v42
	v_lshlrev_b32_e32 v0, 8, v0
	v_lshl_add_u32 v28, v28, 10, v51
	v_cndmask_b32_e32 v23, v23, v35, vcc
	v_and_or_b32 v0, v0, s30, v28
	v_lshl_or_b32 v0, v23, 7, v0
	v_cvt_f32_f16_e32 v48, v0
.LBB300_385:                            ;   in Loop: Header=BB300_338 Depth=1
	s_or_b64 exec, exec, s[12:13]
.LBB300_386:                            ;   in Loop: Header=BB300_338 Depth=1
	s_or_b64 exec, exec, s[10:11]
.LBB300_387:                            ;   in Loop: Header=BB300_338 Depth=1
	s_or_b64 exec, exec, s[4:5]
	v_pk_mul_f32 v[30:31], v[14:15], v[30:31] op_sel_hi:[0,1]
	v_pk_mul_f32 v[24:25], v[14:15], v[24:25] op_sel_hi:[0,1]
	v_cvt_f16_f32_e32 v0, v31
	v_cvt_f16_f32_e32 v23, v30
	;; [unrolled: 1-line block ×4, first 2 shown]
	v_mov_b32_e32 v28, v52
	v_pack_b32_f16 v23, v23, v0
	v_add_u32_e32 v42, v41, v28
	v_pack_b32_f16 v24, v24, v25
	v_perm_b32 v0, v24, v23, s34
	v_perm_b32 v24, v24, v23, s35
	v_fma_mixlo_f16 v23, v14, v27, 0
	v_fma_mixlo_f16 v25, v14, v26, 0
	;; [unrolled: 1-line block ×4, first 2 shown]
	v_accvgpr_read_b32 v28, a12
	v_lshlrev_b32_e32 v23, 16, v23
	v_lshlrev_b32_e32 v14, 16, v14
	v_cmp_eq_u32_e32 vcc, v37, v28
	v_or_b32_sdwa v25, v23, v25 dst_sel:DWORD dst_unused:UNUSED_PAD src0_sel:DWORD src1_sel:WORD_0
	v_or_b32_sdwa v14, v14, v26 dst_sel:DWORD dst_unused:UNUSED_PAD src0_sel:DWORD src1_sel:WORD_0
	v_add_u32_e32 v47, 1, v42
	v_or_b32_e32 v46, 3, v42
	v_or_b32_e32 v45, 2, v42
	v_or_b32_e32 v44, 5, v42
	v_or_b32_e32 v43, 4, v42
	v_or_b32_e32 v54, 7, v42
	v_or_b32_e32 v53, 6, v42
	s_and_saveexec_b64 s[10:11], vcc
	s_cbranch_execz .LBB300_389
; %bb.388:                              ;   in Loop: Header=BB300_338 Depth=1
	v_lshrrev_b32_e32 v23, 16, v24
	v_cmp_lt_i32_e64 s[4:5], v47, v3
	v_accvgpr_read_b32 v28, a8
	v_cndmask_b32_e64 v23, 0, v23, s[4:5]
	v_cmp_lt_i32_e64 s[4:5], v42, v28
	v_cndmask_b32_e64 v24, 0, v24, s[4:5]
	v_perm_b32 v24, v23, v24, s36
	v_lshrrev_b32_e32 v23, 16, v0
	v_cmp_lt_i32_e64 s[4:5], v46, v3
	v_cndmask_b32_e64 v23, 0, v23, s[4:5]
	v_cmp_lt_i32_e64 s[4:5], v45, v28
	v_cndmask_b32_e64 v0, 0, v0, s[4:5]
	v_perm_b32 v0, v23, v0, s36
	v_lshrrev_b32_e32 v23, 16, v25
	v_cmp_lt_i32_e64 s[4:5], v44, v3
	v_cndmask_b32_e64 v23, 0, v23, s[4:5]
	v_cmp_lt_i32_e64 s[4:5], v43, v28
	v_cndmask_b32_e64 v25, 0, v25, s[4:5]
	v_lshrrev_b32_e32 v14, 16, v14
	v_cmp_lt_i32_e64 s[4:5], v54, v3
	v_cndmask_b32_e64 v14, 0, v14, s[4:5]
	v_cmp_lt_i32_e64 s[4:5], v53, v28
	v_perm_b32 v25, v23, v25, s36
	v_cndmask_b32_e64 v23, 0, v26, s[4:5]
	v_perm_b32 v14, v14, v23, s36
.LBB300_389:                            ;   in Loop: Header=BB300_338 Depth=1
	s_or_b64 exec, exec, s[10:11]
	v_and_b32_e32 v4, 0xffff, v4
	v_lshl_or_b32 v59, v5, 16, v4
	v_and_b32_e32 v4, 0xffff, v6
	v_lshl_or_b32 v58, v7, 16, v4
	;; [unrolled: 2-line block ×4, first 2 shown]
	;;#ASMSTART
	v_pk_mul_f16 v4, v59, v24;

	;;#ASMEND
	;;#ASMSTART
	v_pk_mul_f16 v0, v58, v0;

	;;#ASMEND
	;; [unrolled: 4-line block ×4, first 2 shown]
	;;#ASMSTART
	v_pk_add_f16 v0, v4, v0;

	;;#ASMEND
	;;#ASMSTART
	v_pk_add_f16 v0, v0, v5;

	;;#ASMEND
	;; [unrolled: 4-line block ×3, first 2 shown]
	v_lshrrev_b32_e32 v4, 16, v0
	v_and_b32_e32 v0, 0xffff, v0
	;;#ASMSTART
	v_cvt_f32_f16 v60, v0;
	;;#ASMEND
	;;#ASMSTART
	v_cvt_f32_f16 v61, v4;
	;;#ASMEND
	v_accvgpr_read_b32 v4, a4
	flat_load_dwordx2 v[34:35], v[12:13] offset:512
	v_accvgpr_read_b32 v5, a5
	flat_load_dword v14, v[4:5]
	v_mov_b32_e32 v30, 0
	v_mov_b32_e32 v24, 0
	s_waitcnt vmcnt(0) lgkmcnt(0)
	v_cmp_ne_u16_sdwa s[4:5], v34, v1 src0_sel:BYTE_0 src1_sel:DWORD
	s_and_saveexec_b64 s[10:11], s[4:5]
	s_cbranch_execz .LBB300_395
; %bb.390:                              ;   in Loop: Header=BB300_338 Depth=1
	v_cmp_ne_u16_sdwa s[4:5], v34, s7 src0_sel:BYTE_0 src1_sel:DWORD
	v_bfrev_b32_e32 v24, 1
	s_and_saveexec_b64 s[12:13], s[4:5]
	s_cbranch_execz .LBB300_394
; %bb.391:                              ;   in Loop: Header=BB300_338 Depth=1
	v_and_b32_e32 v0, 0x7f, v34
	v_cmp_ne_u32_e64 s[4:5], s15, v0
	v_mov_b32_e32 v24, 0x7fc02000
	s_and_saveexec_b64 s[28:29], s[4:5]
	s_cbranch_execz .LBB300_393
; %bb.392:                              ;   in Loop: Header=BB300_338 Depth=1
	v_and_b32_e32 v4, 7, v34
	v_ffbh_u32_e32 v4, v4
	v_min_u32_e32 v4, 32, v4
	v_subrev_u32_e32 v5, 28, v4
	v_cmp_gt_u32_e64 s[4:5], 8, v0
	v_lshrrev_b32_e32 v6, 3, v0
	v_sub_u32_e32 v7, 29, v4
	v_cndmask_b32_e64 v0, 0, v5, s[4:5]
	v_lshlrev_b64 v[4:5], v0, v[34:35]
	v_cndmask_b32_e64 v0, v6, v7, s[4:5]
	v_lshlrev_b32_e32 v5, 8, v34
	v_lshl_add_u32 v0, v0, 10, v51
	v_lshlrev_b32_e32 v4, 7, v4
	v_and_or_b32 v0, v5, s30, v0
	v_and_or_b32 v0, v4, s31, v0
	v_cvt_f32_f16_e32 v24, v0
.LBB300_393:                            ;   in Loop: Header=BB300_338 Depth=1
	s_or_b64 exec, exec, s[28:29]
.LBB300_394:                            ;   in Loop: Header=BB300_338 Depth=1
	s_or_b64 exec, exec, s[12:13]
.LBB300_395:                            ;   in Loop: Header=BB300_338 Depth=1
	s_or_b64 exec, exec, s[10:11]
	v_lshrrev_b16_e32 v0, 8, v34
	v_cmp_ne_u16_e64 s[4:5], 0, v0
	s_and_saveexec_b64 s[10:11], s[4:5]
	s_cbranch_execz .LBB300_401
; %bb.396:                              ;   in Loop: Header=BB300_338 Depth=1
	v_cmp_ne_u16_e64 s[4:5], s7, v0
	v_bfrev_b32_e32 v30, 1
	s_and_saveexec_b64 s[12:13], s[4:5]
	s_cbranch_execz .LBB300_400
; %bb.397:                              ;   in Loop: Header=BB300_338 Depth=1
	v_and_b32_e32 v4, 0x7f, v0
	v_cmp_ne_u32_e64 s[4:5], s15, v4
	v_mov_b32_e32 v30, 0x7fc02000
	s_and_saveexec_b64 s[28:29], s[4:5]
	s_cbranch_execz .LBB300_399
; %bb.398:                              ;   in Loop: Header=BB300_338 Depth=1
	v_and_b32_e32 v5, 7, v0
	v_ffbh_u32_e32 v6, v5
	v_min_u32_e32 v22, 32, v6
	v_subrev_u32_e32 v6, 28, v22
	v_lshlrev_b64 v[6:7], v6, v[0:1]
	v_lshrrev_b32_e32 v15, 3, v4
	v_sub_u32_e32 v7, 29, v22
	v_cmp_gt_u32_e64 s[4:5], 8, v4
	v_cndmask_b32_e64 v4, v15, v7, s[4:5]
	v_and_b32_e32 v6, 7, v6
	v_lshlrev_b32_e32 v0, 8, v0
	v_lshl_add_u32 v4, v4, 10, v51
	v_cndmask_b32_e64 v5, v5, v6, s[4:5]
	v_and_or_b32 v0, v0, s30, v4
	v_lshl_or_b32 v0, v5, 7, v0
	v_cvt_f32_f16_e32 v30, v0
.LBB300_399:                            ;   in Loop: Header=BB300_338 Depth=1
	s_or_b64 exec, exec, s[28:29]
.LBB300_400:                            ;   in Loop: Header=BB300_338 Depth=1
	s_or_b64 exec, exec, s[12:13]
.LBB300_401:                            ;   in Loop: Header=BB300_338 Depth=1
	s_or_b64 exec, exec, s[10:11]
	v_lshrrev_b32_e32 v0, 16, v34
	v_cmp_ne_u16_sdwa s[4:5], v0, v1 src0_sel:BYTE_0 src1_sel:DWORD
	v_mov_b32_e32 v31, 0
	v_mov_b32_e32 v25, 0
	s_and_saveexec_b64 s[10:11], s[4:5]
	s_cbranch_execz .LBB300_407
; %bb.402:                              ;   in Loop: Header=BB300_338 Depth=1
	v_cmp_ne_u16_sdwa s[4:5], v0, s7 src0_sel:BYTE_0 src1_sel:DWORD
	v_bfrev_b32_e32 v25, 1
	s_and_saveexec_b64 s[12:13], s[4:5]
	s_cbranch_execz .LBB300_406
; %bb.403:                              ;   in Loop: Header=BB300_338 Depth=1
	v_bfe_u32 v4, v34, 16, 7
	v_cmp_ne_u32_e64 s[4:5], s15, v4
	v_mov_b32_e32 v25, 0x7fc02000
	s_and_saveexec_b64 s[28:29], s[4:5]
	s_cbranch_execz .LBB300_405
; %bb.404:                              ;   in Loop: Header=BB300_338 Depth=1
	v_and_b32_e32 v5, 7, v0
	v_ffbh_u32_e32 v6, v5
	v_min_u32_e32 v22, 32, v6
	v_subrev_u32_e32 v6, 28, v22
	v_lshlrev_b64 v[6:7], v6, v[0:1]
	v_lshrrev_b32_e32 v15, 3, v4
	v_sub_u32_e32 v7, 29, v22
	v_cmp_gt_u32_e64 s[4:5], 8, v4
	v_cndmask_b32_e64 v4, v15, v7, s[4:5]
	v_and_b32_e32 v6, 7, v6
	v_lshlrev_b32_e32 v0, 8, v0
	v_lshl_add_u32 v4, v4, 10, v51
	v_cndmask_b32_e64 v5, v5, v6, s[4:5]
	v_and_or_b32 v0, v0, s30, v4
	v_lshl_or_b32 v0, v5, 7, v0
	v_cvt_f32_f16_e32 v25, v0
.LBB300_405:                            ;   in Loop: Header=BB300_338 Depth=1
	s_or_b64 exec, exec, s[28:29]
.LBB300_406:                            ;   in Loop: Header=BB300_338 Depth=1
	s_or_b64 exec, exec, s[12:13]
.LBB300_407:                            ;   in Loop: Header=BB300_338 Depth=1
	s_or_b64 exec, exec, s[10:11]
	v_cmp_lt_u32_e64 s[4:5], s25, v34
	s_and_saveexec_b64 s[10:11], s[4:5]
	s_cbranch_execz .LBB300_413
; %bb.408:                              ;   in Loop: Header=BB300_338 Depth=1
	v_lshrrev_b32_e32 v0, 24, v34
	v_cmp_ne_u32_e64 s[4:5], s7, v0
	v_bfrev_b32_e32 v31, 1
	s_and_saveexec_b64 s[12:13], s[4:5]
	s_cbranch_execz .LBB300_412
; %bb.409:                              ;   in Loop: Header=BB300_338 Depth=1
	v_and_b32_e32 v4, 0x7f, v0
	v_cmp_ne_u32_e64 s[4:5], s15, v4
	v_mov_b32_e32 v31, 0x7fc02000
	s_and_saveexec_b64 s[28:29], s[4:5]
	s_cbranch_execz .LBB300_411
; %bb.410:                              ;   in Loop: Header=BB300_338 Depth=1
	v_and_b32_e32 v5, 7, v0
	v_ffbh_u32_e32 v6, v5
	v_min_u32_e32 v22, 32, v6
	v_subrev_u32_e32 v6, 28, v22
	v_lshlrev_b64 v[6:7], v6, v[0:1]
	v_lshrrev_b32_e32 v15, 3, v4
	v_sub_u32_e32 v7, 29, v22
	v_cmp_gt_u32_e64 s[4:5], 8, v4
	v_cndmask_b32_e64 v4, v15, v7, s[4:5]
	v_and_b32_e32 v6, 7, v6
	v_lshlrev_b32_e32 v0, 8, v0
	v_lshl_add_u32 v4, v4, 10, v51
	v_cndmask_b32_e64 v5, v5, v6, s[4:5]
	v_and_or_b32 v0, v0, s30, v4
	v_lshl_or_b32 v0, v5, 7, v0
	v_cvt_f32_f16_e32 v31, v0
.LBB300_411:                            ;   in Loop: Header=BB300_338 Depth=1
	s_or_b64 exec, exec, s[28:29]
.LBB300_412:                            ;   in Loop: Header=BB300_338 Depth=1
	s_or_b64 exec, exec, s[12:13]
.LBB300_413:                            ;   in Loop: Header=BB300_338 Depth=1
	s_or_b64 exec, exec, s[10:11]
	v_mov_b32_e32 v0, v35
	v_cmp_ne_u16_sdwa s[4:5], v35, v1 src0_sel:BYTE_0 src1_sel:DWORD
	v_mov_b32_e32 v5, 0
	v_mov_b32_e32 v4, 0
	s_and_saveexec_b64 s[10:11], s[4:5]
	s_cbranch_execz .LBB300_419
; %bb.414:                              ;   in Loop: Header=BB300_338 Depth=1
	v_cmp_ne_u16_sdwa s[4:5], v35, s7 src0_sel:BYTE_0 src1_sel:DWORD
	v_bfrev_b32_e32 v4, 1
	s_and_saveexec_b64 s[12:13], s[4:5]
	s_cbranch_execz .LBB300_418
; %bb.415:                              ;   in Loop: Header=BB300_338 Depth=1
	v_and_b32_e32 v6, 0x7f, v35
	v_cmp_ne_u32_e64 s[4:5], s15, v6
	v_mov_b32_e32 v4, 0x7fc02000
	s_and_saveexec_b64 s[28:29], s[4:5]
	s_cbranch_execz .LBB300_417
; %bb.416:                              ;   in Loop: Header=BB300_338 Depth=1
	v_and_b32_e32 v4, 7, v35
	v_ffbh_u32_e32 v4, v4
	v_min_u32_e32 v4, 32, v4
	v_subrev_u32_e32 v7, 28, v4
	v_cmp_gt_u32_e64 s[4:5], 8, v6
	v_lshrrev_b32_e32 v15, 3, v6
	v_sub_u32_e32 v4, 29, v4
	v_cndmask_b32_e64 v6, 0, v7, s[4:5]
	v_lshlrev_b64 v[6:7], v6, v[0:1]
	v_cndmask_b32_e64 v4, v15, v4, s[4:5]
	v_lshlrev_b32_e32 v7, 8, v35
	v_lshl_add_u32 v4, v4, 10, v51
	v_lshlrev_b32_e32 v6, 7, v6
	v_and_or_b32 v4, v7, s30, v4
	v_and_or_b32 v4, v6, s31, v4
	v_cvt_f32_f16_e32 v4, v4
.LBB300_417:                            ;   in Loop: Header=BB300_338 Depth=1
	s_or_b64 exec, exec, s[28:29]
.LBB300_418:                            ;   in Loop: Header=BB300_338 Depth=1
	s_or_b64 exec, exec, s[12:13]
.LBB300_419:                            ;   in Loop: Header=BB300_338 Depth=1
	s_or_b64 exec, exec, s[10:11]
	v_lshrrev_b16_e32 v0, 8, v0
	v_cmp_ne_u16_e64 s[4:5], 0, v0
	s_and_saveexec_b64 s[10:11], s[4:5]
	s_cbranch_execz .LBB300_425
; %bb.420:                              ;   in Loop: Header=BB300_338 Depth=1
	v_cmp_ne_u16_e64 s[4:5], s7, v0
	v_bfrev_b32_e32 v5, 1
	s_and_saveexec_b64 s[12:13], s[4:5]
	s_cbranch_execz .LBB300_424
; %bb.421:                              ;   in Loop: Header=BB300_338 Depth=1
	v_and_b32_e32 v6, 0x7f, v0
	v_cmp_ne_u32_e64 s[4:5], s15, v6
	v_mov_b32_e32 v5, 0x7fc02000
	s_and_saveexec_b64 s[28:29], s[4:5]
	s_cbranch_execz .LBB300_423
; %bb.422:                              ;   in Loop: Header=BB300_338 Depth=1
	v_and_b32_e32 v5, 7, v0
	v_ffbh_u32_e32 v15, v5
	v_min_u32_e32 v15, 32, v15
	v_lshrrev_b32_e32 v7, 3, v6
	v_subrev_u32_e32 v22, 28, v15
	v_sub_u32_e32 v15, 29, v15
	v_cmp_gt_u32_e64 s[4:5], 8, v6
	v_lshlrev_b64 v[26:27], v22, v[0:1]
	v_cndmask_b32_e64 v6, v7, v15, s[4:5]
	v_and_b32_e32 v22, 7, v26
	v_lshlrev_b32_e32 v0, 8, v0
	v_lshl_add_u32 v6, v6, 10, v51
	v_cndmask_b32_e64 v5, v5, v22, s[4:5]
	v_and_or_b32 v0, v0, s30, v6
	v_lshl_or_b32 v0, v5, 7, v0
	v_cvt_f32_f16_e32 v5, v0
.LBB300_423:                            ;   in Loop: Header=BB300_338 Depth=1
	s_or_b64 exec, exec, s[28:29]
.LBB300_424:                            ;   in Loop: Header=BB300_338 Depth=1
	s_or_b64 exec, exec, s[12:13]
.LBB300_425:                            ;   in Loop: Header=BB300_338 Depth=1
	s_or_b64 exec, exec, s[10:11]
	v_lshrrev_b32_e32 v0, 16, v35
	v_cmp_ne_u16_sdwa s[4:5], v0, v1 src0_sel:BYTE_0 src1_sel:DWORD
	v_mov_b32_e32 v6, 0
	v_mov_b32_e32 v7, 0
	s_and_saveexec_b64 s[10:11], s[4:5]
	s_cbranch_execz .LBB300_431
; %bb.426:                              ;   in Loop: Header=BB300_338 Depth=1
	v_cmp_ne_u16_sdwa s[4:5], v0, s7 src0_sel:BYTE_0 src1_sel:DWORD
	v_bfrev_b32_e32 v7, 1
	s_and_saveexec_b64 s[12:13], s[4:5]
	s_cbranch_execz .LBB300_430
; %bb.427:                              ;   in Loop: Header=BB300_338 Depth=1
	v_bfe_u32 v15, v35, 16, 7
	v_cmp_ne_u32_e64 s[4:5], s15, v15
	v_mov_b32_e32 v7, 0x7fc02000
	s_and_saveexec_b64 s[28:29], s[4:5]
	s_cbranch_execz .LBB300_429
; %bb.428:                              ;   in Loop: Header=BB300_338 Depth=1
	v_and_b32_e32 v7, 7, v0
	v_ffbh_u32_e32 v23, v7
	v_min_u32_e32 v23, 32, v23
	v_lshrrev_b32_e32 v22, 3, v15
	v_subrev_u32_e32 v26, 28, v23
	v_sub_u32_e32 v23, 29, v23
	v_cmp_gt_u32_e64 s[4:5], 8, v15
	v_lshlrev_b64 v[26:27], v26, v[0:1]
	v_cndmask_b32_e64 v15, v22, v23, s[4:5]
	v_and_b32_e32 v26, 7, v26
	v_lshlrev_b32_e32 v0, 8, v0
	v_lshl_add_u32 v15, v15, 10, v51
	v_cndmask_b32_e64 v7, v7, v26, s[4:5]
	v_and_or_b32 v0, v0, s30, v15
	v_lshl_or_b32 v0, v7, 7, v0
	v_cvt_f32_f16_e32 v7, v0
.LBB300_429:                            ;   in Loop: Header=BB300_338 Depth=1
	s_or_b64 exec, exec, s[28:29]
.LBB300_430:                            ;   in Loop: Header=BB300_338 Depth=1
	s_or_b64 exec, exec, s[12:13]
.LBB300_431:                            ;   in Loop: Header=BB300_338 Depth=1
	s_or_b64 exec, exec, s[10:11]
	v_cmp_lt_u64_e64 s[4:5], s[24:25], v[34:35]
	s_and_saveexec_b64 s[10:11], s[4:5]
	s_cbranch_execz .LBB300_437
; %bb.432:                              ;   in Loop: Header=BB300_338 Depth=1
	v_lshrrev_b32_e32 v0, 24, v35
	v_cmp_ne_u32_e64 s[4:5], s7, v0
	v_bfrev_b32_e32 v6, 1
	s_and_saveexec_b64 s[12:13], s[4:5]
	s_cbranch_execz .LBB300_436
; %bb.433:                              ;   in Loop: Header=BB300_338 Depth=1
	v_and_b32_e32 v15, 0x7f, v0
	v_cmp_ne_u32_e64 s[4:5], s15, v15
	v_mov_b32_e32 v6, 0x7fc02000
	s_and_saveexec_b64 s[28:29], s[4:5]
	s_cbranch_execz .LBB300_435
; %bb.434:                              ;   in Loop: Header=BB300_338 Depth=1
	v_and_b32_e32 v6, 7, v0
	v_ffbh_u32_e32 v23, v6
	v_min_u32_e32 v23, 32, v23
	v_lshrrev_b32_e32 v22, 3, v15
	v_subrev_u32_e32 v26, 28, v23
	v_sub_u32_e32 v23, 29, v23
	v_cmp_gt_u32_e64 s[4:5], 8, v15
	v_lshlrev_b64 v[26:27], v26, v[0:1]
	v_cndmask_b32_e64 v15, v22, v23, s[4:5]
	v_and_b32_e32 v26, 7, v26
	v_lshlrev_b32_e32 v0, 8, v0
	v_lshl_add_u32 v15, v15, 10, v51
	v_cndmask_b32_e64 v6, v6, v26, s[4:5]
	v_and_or_b32 v0, v0, s30, v15
	v_lshl_or_b32 v0, v6, 7, v0
	v_cvt_f32_f16_e32 v6, v0
.LBB300_435:                            ;   in Loop: Header=BB300_338 Depth=1
	s_or_b64 exec, exec, s[28:29]
.LBB300_436:                            ;   in Loop: Header=BB300_338 Depth=1
	s_or_b64 exec, exec, s[12:13]
.LBB300_437:                            ;   in Loop: Header=BB300_338 Depth=1
	s_or_b64 exec, exec, s[10:11]
	v_pk_mul_f32 v[26:27], v[14:15], v[30:31] op_sel_hi:[0,1]
	v_pk_mul_f32 v[24:25], v[14:15], v[24:25] op_sel_hi:[0,1]
	v_cvt_f16_f32_e32 v0, v27
	v_cvt_f16_f32_e32 v15, v26
	;; [unrolled: 1-line block ×4, first 2 shown]
	v_fma_mixlo_f16 v5, v14, v5, 0
	v_lshlrev_b32_e32 v5, 16, v5
	v_fma_mixlo_f16 v4, v14, v4, 0
	v_or_b32_sdwa v4, v5, v4 dst_sel:DWORD dst_unused:UNUSED_PAD src0_sel:DWORD src1_sel:WORD_0
	v_fma_mixlo_f16 v5, v14, v6, 0
	v_pack_b32_f16 v15, v15, v0
	v_pack_b32_f16 v22, v23, v22
	v_fma_mixlo_f16 v7, v14, v7, 0
	v_lshlrev_b32_e32 v5, 16, v5
	v_perm_b32 v0, v22, v15, s34
	v_perm_b32 v15, v22, v15, s35
	v_or_b32_sdwa v5, v5, v7 dst_sel:DWORD dst_unused:UNUSED_PAD src0_sel:DWORD src1_sel:WORD_0
	s_and_saveexec_b64 s[10:11], vcc
	s_cbranch_execz .LBB300_439
; %bb.438:                              ;   in Loop: Header=BB300_338 Depth=1
	v_lshrrev_b32_e32 v6, 16, v15
	v_cmp_lt_i32_e64 s[4:5], v47, v3
	v_accvgpr_read_b32 v22, a8
	v_cndmask_b32_e64 v6, 0, v6, s[4:5]
	v_cmp_lt_i32_e64 s[4:5], v42, v22
	v_cndmask_b32_e64 v14, 0, v15, s[4:5]
	v_perm_b32 v15, v6, v14, s36
	v_lshrrev_b32_e32 v6, 16, v0
	v_cmp_lt_i32_e64 s[4:5], v46, v3
	v_cndmask_b32_e64 v6, 0, v6, s[4:5]
	v_cmp_lt_i32_e64 s[4:5], v45, v22
	v_cndmask_b32_e64 v0, 0, v0, s[4:5]
	v_perm_b32 v0, v6, v0, s36
	v_lshrrev_b32_e32 v6, 16, v4
	v_cmp_lt_i32_e64 s[4:5], v44, v3
	v_cndmask_b32_e64 v6, 0, v6, s[4:5]
	v_cmp_lt_i32_e64 s[4:5], v43, v22
	v_cndmask_b32_e64 v4, 0, v4, s[4:5]
	v_lshrrev_b32_e32 v5, 16, v5
	v_cmp_lt_i32_e64 s[4:5], v54, v3
	v_cndmask_b32_e64 v5, 0, v5, s[4:5]
	v_cmp_lt_i32_e64 s[4:5], v53, v22
	v_perm_b32 v4, v6, v4, s36
	v_cndmask_b32_e64 v6, 0, v7, s[4:5]
	v_perm_b32 v5, v5, v6, s36
.LBB300_439:                            ;   in Loop: Header=BB300_338 Depth=1
	s_or_b64 exec, exec, s[10:11]
	;;#ASMSTART
	v_pk_mul_f16 v6, v59, v15;

	;;#ASMEND
	;;#ASMSTART
	v_pk_mul_f16 v0, v58, v0;

	;;#ASMEND
	;;#ASMSTART
	v_pk_mul_f16 v4, v57, v4;

	;;#ASMEND
	;;#ASMSTART
	v_pk_mul_f16 v5, v56, v5;

	;;#ASMEND
	;;#ASMSTART
	v_pk_add_f16 v0, v6, v0;

	;;#ASMEND
	;;#ASMSTART
	v_pk_add_f16 v0, v0, v4;

	;;#ASMEND
	;; [unrolled: 4-line block ×3, first 2 shown]
	v_lshrrev_b32_e32 v5, 16, v0
	v_accvgpr_read_b32 v7, a5
	v_and_b32_e32 v0, 0xffff, v0
	;;#ASMSTART
	v_cvt_f32_f16 v4, v0;
	;;#ASMEND
	;;#ASMSTART
	v_cvt_f32_f16 v5, v5;
	;;#ASMEND
	flat_load_dwordx2 v[34:35], v[12:13] offset:1024
	v_accvgpr_read_b32 v6, a4
	flat_load_dword v14, v[6:7]
	v_mov_b32_e32 v30, 0
	v_mov_b32_e32 v24, 0
	s_waitcnt vmcnt(0) lgkmcnt(0)
	v_cmp_ne_u16_sdwa s[4:5], v34, v1 src0_sel:BYTE_0 src1_sel:DWORD
	s_and_saveexec_b64 s[10:11], s[4:5]
	s_cbranch_execz .LBB300_445
; %bb.440:                              ;   in Loop: Header=BB300_338 Depth=1
	v_cmp_ne_u16_sdwa s[4:5], v34, s7 src0_sel:BYTE_0 src1_sel:DWORD
	v_bfrev_b32_e32 v24, 1
	s_and_saveexec_b64 s[12:13], s[4:5]
	s_cbranch_execz .LBB300_444
; %bb.441:                              ;   in Loop: Header=BB300_338 Depth=1
	v_and_b32_e32 v0, 0x7f, v34
	v_cmp_ne_u32_e64 s[4:5], s15, v0
	v_mov_b32_e32 v24, 0x7fc02000
	s_and_saveexec_b64 s[28:29], s[4:5]
	s_cbranch_execz .LBB300_443
; %bb.442:                              ;   in Loop: Header=BB300_338 Depth=1
	v_and_b32_e32 v6, 7, v34
	v_ffbh_u32_e32 v6, v6
	v_min_u32_e32 v6, 32, v6
	v_subrev_u32_e32 v7, 28, v6
	v_cmp_gt_u32_e64 s[4:5], 8, v0
	v_lshrrev_b32_e32 v15, 3, v0
	v_sub_u32_e32 v22, 29, v6
	v_cndmask_b32_e64 v0, 0, v7, s[4:5]
	v_lshlrev_b64 v[6:7], v0, v[34:35]
	v_cndmask_b32_e64 v0, v15, v22, s[4:5]
	v_lshlrev_b32_e32 v7, 8, v34
	v_lshl_add_u32 v0, v0, 10, v51
	v_lshlrev_b32_e32 v6, 7, v6
	v_and_or_b32 v0, v7, s30, v0
	v_and_or_b32 v0, v6, s31, v0
	v_cvt_f32_f16_e32 v24, v0
.LBB300_443:                            ;   in Loop: Header=BB300_338 Depth=1
	s_or_b64 exec, exec, s[28:29]
.LBB300_444:                            ;   in Loop: Header=BB300_338 Depth=1
	s_or_b64 exec, exec, s[12:13]
.LBB300_445:                            ;   in Loop: Header=BB300_338 Depth=1
	s_or_b64 exec, exec, s[10:11]
	v_lshrrev_b16_e32 v0, 8, v34
	v_cmp_ne_u16_e64 s[4:5], 0, v0
	s_and_saveexec_b64 s[10:11], s[4:5]
	s_cbranch_execz .LBB300_451
; %bb.446:                              ;   in Loop: Header=BB300_338 Depth=1
	v_cmp_ne_u16_e64 s[4:5], s7, v0
	v_bfrev_b32_e32 v30, 1
	s_and_saveexec_b64 s[12:13], s[4:5]
	s_cbranch_execz .LBB300_450
; %bb.447:                              ;   in Loop: Header=BB300_338 Depth=1
	v_and_b32_e32 v6, 0x7f, v0
	v_cmp_ne_u32_e64 s[4:5], s15, v6
	v_mov_b32_e32 v30, 0x7fc02000
	s_and_saveexec_b64 s[28:29], s[4:5]
	s_cbranch_execz .LBB300_449
; %bb.448:                              ;   in Loop: Header=BB300_338 Depth=1
	v_and_b32_e32 v7, 7, v0
	v_ffbh_u32_e32 v22, v7
	v_min_u32_e32 v22, 32, v22
	v_lshrrev_b32_e32 v15, 3, v6
	v_subrev_u32_e32 v23, 28, v22
	v_sub_u32_e32 v22, 29, v22
	v_cmp_gt_u32_e64 s[4:5], 8, v6
	v_lshlrev_b64 v[26:27], v23, v[0:1]
	v_cndmask_b32_e64 v6, v15, v22, s[4:5]
	v_and_b32_e32 v23, 7, v26
	v_lshlrev_b32_e32 v0, 8, v0
	v_lshl_add_u32 v6, v6, 10, v51
	v_cndmask_b32_e64 v7, v7, v23, s[4:5]
	v_and_or_b32 v0, v0, s30, v6
	v_lshl_or_b32 v0, v7, 7, v0
	v_cvt_f32_f16_e32 v30, v0
.LBB300_449:                            ;   in Loop: Header=BB300_338 Depth=1
	s_or_b64 exec, exec, s[28:29]
.LBB300_450:                            ;   in Loop: Header=BB300_338 Depth=1
	s_or_b64 exec, exec, s[12:13]
.LBB300_451:                            ;   in Loop: Header=BB300_338 Depth=1
	s_or_b64 exec, exec, s[10:11]
	v_lshrrev_b32_e32 v0, 16, v34
	v_cmp_ne_u16_sdwa s[4:5], v0, v1 src0_sel:BYTE_0 src1_sel:DWORD
	v_mov_b32_e32 v31, 0
	v_mov_b32_e32 v25, 0
	s_and_saveexec_b64 s[10:11], s[4:5]
	s_cbranch_execz .LBB300_457
; %bb.452:                              ;   in Loop: Header=BB300_338 Depth=1
	v_cmp_ne_u16_sdwa s[4:5], v0, s7 src0_sel:BYTE_0 src1_sel:DWORD
	v_bfrev_b32_e32 v25, 1
	s_and_saveexec_b64 s[12:13], s[4:5]
	s_cbranch_execz .LBB300_456
; %bb.453:                              ;   in Loop: Header=BB300_338 Depth=1
	v_bfe_u32 v6, v34, 16, 7
	v_cmp_ne_u32_e64 s[4:5], s15, v6
	v_mov_b32_e32 v25, 0x7fc02000
	s_and_saveexec_b64 s[28:29], s[4:5]
	s_cbranch_execz .LBB300_455
; %bb.454:                              ;   in Loop: Header=BB300_338 Depth=1
	v_and_b32_e32 v7, 7, v0
	v_ffbh_u32_e32 v22, v7
	v_min_u32_e32 v22, 32, v22
	v_lshrrev_b32_e32 v15, 3, v6
	v_subrev_u32_e32 v23, 28, v22
	v_sub_u32_e32 v22, 29, v22
	v_cmp_gt_u32_e64 s[4:5], 8, v6
	v_lshlrev_b64 v[26:27], v23, v[0:1]
	v_cndmask_b32_e64 v6, v15, v22, s[4:5]
	v_and_b32_e32 v23, 7, v26
	v_lshlrev_b32_e32 v0, 8, v0
	v_lshl_add_u32 v6, v6, 10, v51
	v_cndmask_b32_e64 v7, v7, v23, s[4:5]
	v_and_or_b32 v0, v0, s30, v6
	v_lshl_or_b32 v0, v7, 7, v0
	v_cvt_f32_f16_e32 v25, v0
.LBB300_455:                            ;   in Loop: Header=BB300_338 Depth=1
	s_or_b64 exec, exec, s[28:29]
.LBB300_456:                            ;   in Loop: Header=BB300_338 Depth=1
	s_or_b64 exec, exec, s[12:13]
.LBB300_457:                            ;   in Loop: Header=BB300_338 Depth=1
	s_or_b64 exec, exec, s[10:11]
	v_cmp_lt_u32_e64 s[4:5], s25, v34
	s_and_saveexec_b64 s[10:11], s[4:5]
	s_cbranch_execz .LBB300_463
; %bb.458:                              ;   in Loop: Header=BB300_338 Depth=1
	v_lshrrev_b32_e32 v0, 24, v34
	v_cmp_ne_u32_e64 s[4:5], s7, v0
	v_bfrev_b32_e32 v31, 1
	s_and_saveexec_b64 s[12:13], s[4:5]
	s_cbranch_execz .LBB300_462
; %bb.459:                              ;   in Loop: Header=BB300_338 Depth=1
	v_and_b32_e32 v6, 0x7f, v0
	v_cmp_ne_u32_e64 s[4:5], s15, v6
	v_mov_b32_e32 v31, 0x7fc02000
	s_and_saveexec_b64 s[28:29], s[4:5]
	s_cbranch_execz .LBB300_461
; %bb.460:                              ;   in Loop: Header=BB300_338 Depth=1
	v_and_b32_e32 v7, 7, v0
	v_ffbh_u32_e32 v22, v7
	v_min_u32_e32 v22, 32, v22
	v_lshrrev_b32_e32 v15, 3, v6
	v_subrev_u32_e32 v23, 28, v22
	v_sub_u32_e32 v22, 29, v22
	v_cmp_gt_u32_e64 s[4:5], 8, v6
	v_lshlrev_b64 v[26:27], v23, v[0:1]
	v_cndmask_b32_e64 v6, v15, v22, s[4:5]
	v_and_b32_e32 v23, 7, v26
	v_lshlrev_b32_e32 v0, 8, v0
	v_lshl_add_u32 v6, v6, 10, v51
	v_cndmask_b32_e64 v7, v7, v23, s[4:5]
	v_and_or_b32 v0, v0, s30, v6
	v_lshl_or_b32 v0, v7, 7, v0
	v_cvt_f32_f16_e32 v31, v0
.LBB300_461:                            ;   in Loop: Header=BB300_338 Depth=1
	s_or_b64 exec, exec, s[28:29]
.LBB300_462:                            ;   in Loop: Header=BB300_338 Depth=1
	s_or_b64 exec, exec, s[12:13]
.LBB300_463:                            ;   in Loop: Header=BB300_338 Depth=1
	s_or_b64 exec, exec, s[10:11]
	v_mov_b32_e32 v0, v35
	v_cmp_ne_u16_sdwa s[4:5], v35, v1 src0_sel:BYTE_0 src1_sel:DWORD
	v_mov_b32_e32 v7, 0
	v_mov_b32_e32 v6, 0
	s_and_saveexec_b64 s[10:11], s[4:5]
	s_cbranch_execz .LBB300_469
; %bb.464:                              ;   in Loop: Header=BB300_338 Depth=1
	v_cmp_ne_u16_sdwa s[4:5], v35, s7 src0_sel:BYTE_0 src1_sel:DWORD
	v_bfrev_b32_e32 v6, 1
	s_and_saveexec_b64 s[12:13], s[4:5]
	s_cbranch_execz .LBB300_468
; %bb.465:                              ;   in Loop: Header=BB300_338 Depth=1
	v_and_b32_e32 v15, 0x7f, v35
	v_cmp_ne_u32_e64 s[4:5], s15, v15
	v_mov_b32_e32 v6, 0x7fc02000
	s_and_saveexec_b64 s[28:29], s[4:5]
	s_cbranch_execz .LBB300_467
; %bb.466:                              ;   in Loop: Header=BB300_338 Depth=1
	v_and_b32_e32 v6, 7, v35
	v_ffbh_u32_e32 v6, v6
	v_min_u32_e32 v6, 32, v6
	v_lshrrev_b32_e32 v22, 3, v15
	v_subrev_u32_e32 v23, 28, v6
	v_sub_u32_e32 v6, 29, v6
	v_cmp_gt_u32_e64 s[4:5], 8, v15
	v_cndmask_b32_e64 v15, 0, v23, s[4:5]
	v_cndmask_b32_e64 v6, v22, v6, s[4:5]
	v_lshlrev_b64 v[26:27], v15, v[0:1]
	v_lshlrev_b32_e32 v22, 8, v35
	v_lshl_add_u32 v6, v6, 10, v51
	v_lshlrev_b32_e32 v15, 7, v26
	v_and_or_b32 v6, v22, s30, v6
	v_and_or_b32 v6, v15, s31, v6
	v_cvt_f32_f16_e32 v6, v6
.LBB300_467:                            ;   in Loop: Header=BB300_338 Depth=1
	s_or_b64 exec, exec, s[28:29]
.LBB300_468:                            ;   in Loop: Header=BB300_338 Depth=1
	s_or_b64 exec, exec, s[12:13]
.LBB300_469:                            ;   in Loop: Header=BB300_338 Depth=1
	s_or_b64 exec, exec, s[10:11]
	v_lshrrev_b16_e32 v0, 8, v0
	v_cmp_ne_u16_e64 s[4:5], 0, v0
	s_and_saveexec_b64 s[10:11], s[4:5]
	s_cbranch_execz .LBB300_475
; %bb.470:                              ;   in Loop: Header=BB300_338 Depth=1
	v_cmp_ne_u16_e64 s[4:5], s7, v0
	v_bfrev_b32_e32 v7, 1
	s_and_saveexec_b64 s[12:13], s[4:5]
	s_cbranch_execz .LBB300_474
; %bb.471:                              ;   in Loop: Header=BB300_338 Depth=1
	v_and_b32_e32 v15, 0x7f, v0
	v_cmp_ne_u32_e64 s[4:5], s15, v15
	v_mov_b32_e32 v7, 0x7fc02000
	s_and_saveexec_b64 s[28:29], s[4:5]
	s_cbranch_execz .LBB300_473
; %bb.472:                              ;   in Loop: Header=BB300_338 Depth=1
	v_and_b32_e32 v7, 7, v0
	v_ffbh_u32_e32 v23, v7
	v_min_u32_e32 v23, 32, v23
	v_lshrrev_b32_e32 v22, 3, v15
	v_subrev_u32_e32 v26, 28, v23
	v_sub_u32_e32 v23, 29, v23
	v_cmp_gt_u32_e64 s[4:5], 8, v15
	v_lshlrev_b64 v[26:27], v26, v[0:1]
	v_cndmask_b32_e64 v15, v22, v23, s[4:5]
	v_and_b32_e32 v26, 7, v26
	v_lshlrev_b32_e32 v0, 8, v0
	v_lshl_add_u32 v15, v15, 10, v51
	v_cndmask_b32_e64 v7, v7, v26, s[4:5]
	v_and_or_b32 v0, v0, s30, v15
	v_lshl_or_b32 v0, v7, 7, v0
	v_cvt_f32_f16_e32 v7, v0
.LBB300_473:                            ;   in Loop: Header=BB300_338 Depth=1
	s_or_b64 exec, exec, s[28:29]
.LBB300_474:                            ;   in Loop: Header=BB300_338 Depth=1
	s_or_b64 exec, exec, s[12:13]
.LBB300_475:                            ;   in Loop: Header=BB300_338 Depth=1
	s_or_b64 exec, exec, s[10:11]
	v_lshrrev_b32_e32 v0, 16, v35
	v_cmp_ne_u16_sdwa s[4:5], v0, v1 src0_sel:BYTE_0 src1_sel:DWORD
	v_mov_b32_e32 v15, 0
	v_mov_b32_e32 v22, 0
	s_and_saveexec_b64 s[10:11], s[4:5]
	s_cbranch_execz .LBB300_481
; %bb.476:                              ;   in Loop: Header=BB300_338 Depth=1
	v_cmp_ne_u16_sdwa s[4:5], v0, s7 src0_sel:BYTE_0 src1_sel:DWORD
	v_bfrev_b32_e32 v22, 1
	s_and_saveexec_b64 s[12:13], s[4:5]
	s_cbranch_execz .LBB300_480
; %bb.477:                              ;   in Loop: Header=BB300_338 Depth=1
	v_bfe_u32 v26, v35, 16, 7
	v_cmp_ne_u32_e64 s[4:5], s15, v26
	v_mov_b32_e32 v22, 0x7fc02000
	s_and_saveexec_b64 s[28:29], s[4:5]
	s_cbranch_execz .LBB300_479
; %bb.478:                              ;   in Loop: Header=BB300_338 Depth=1
	v_and_b32_e32 v22, 7, v0
	v_ffbh_u32_e32 v27, v22
	v_min_u32_e32 v27, 32, v27
	v_lshrrev_b32_e32 v23, 3, v26
	v_subrev_u32_e32 v28, 28, v27
	v_sub_u32_e32 v27, 29, v27
	v_cmp_gt_u32_e64 s[4:5], 8, v26
	v_lshlrev_b64 v[48:49], v28, v[0:1]
	v_cndmask_b32_e64 v23, v23, v27, s[4:5]
	v_and_b32_e32 v28, 7, v48
	v_lshlrev_b32_e32 v0, 8, v0
	v_lshl_add_u32 v23, v23, 10, v51
	v_cndmask_b32_e64 v22, v22, v28, s[4:5]
	v_and_or_b32 v0, v0, s30, v23
	v_lshl_or_b32 v0, v22, 7, v0
	v_cvt_f32_f16_e32 v22, v0
.LBB300_479:                            ;   in Loop: Header=BB300_338 Depth=1
	s_or_b64 exec, exec, s[28:29]
.LBB300_480:                            ;   in Loop: Header=BB300_338 Depth=1
	s_or_b64 exec, exec, s[12:13]
.LBB300_481:                            ;   in Loop: Header=BB300_338 Depth=1
	s_or_b64 exec, exec, s[10:11]
	v_cmp_lt_u64_e64 s[4:5], s[24:25], v[34:35]
	s_and_saveexec_b64 s[10:11], s[4:5]
	s_cbranch_execz .LBB300_487
; %bb.482:                              ;   in Loop: Header=BB300_338 Depth=1
	v_lshrrev_b32_e32 v0, 24, v35
	v_cmp_ne_u32_e64 s[4:5], s7, v0
	v_bfrev_b32_e32 v15, 1
	s_and_saveexec_b64 s[12:13], s[4:5]
	s_cbranch_execz .LBB300_486
; %bb.483:                              ;   in Loop: Header=BB300_338 Depth=1
	v_and_b32_e32 v26, 0x7f, v0
	v_cmp_ne_u32_e64 s[4:5], s15, v26
	v_mov_b32_e32 v15, 0x7fc02000
	s_and_saveexec_b64 s[28:29], s[4:5]
	s_cbranch_execz .LBB300_485
; %bb.484:                              ;   in Loop: Header=BB300_338 Depth=1
	v_and_b32_e32 v15, 7, v0
	v_ffbh_u32_e32 v27, v15
	v_min_u32_e32 v27, 32, v27
	v_lshrrev_b32_e32 v23, 3, v26
	v_subrev_u32_e32 v28, 28, v27
	v_sub_u32_e32 v27, 29, v27
	v_cmp_gt_u32_e64 s[4:5], 8, v26
	v_lshlrev_b64 v[34:35], v28, v[0:1]
	v_cndmask_b32_e64 v23, v23, v27, s[4:5]
	v_and_b32_e32 v28, 7, v34
	v_lshlrev_b32_e32 v0, 8, v0
	v_lshl_add_u32 v23, v23, 10, v51
	v_cndmask_b32_e64 v15, v15, v28, s[4:5]
	v_and_or_b32 v0, v0, s30, v23
	v_lshl_or_b32 v0, v15, 7, v0
	v_cvt_f32_f16_e32 v15, v0
.LBB300_485:                            ;   in Loop: Header=BB300_338 Depth=1
	s_or_b64 exec, exec, s[28:29]
.LBB300_486:                            ;   in Loop: Header=BB300_338 Depth=1
	s_or_b64 exec, exec, s[12:13]
.LBB300_487:                            ;   in Loop: Header=BB300_338 Depth=1
	s_or_b64 exec, exec, s[10:11]
	v_pk_mul_f32 v[26:27], v[14:15], v[30:31] op_sel_hi:[0,1]
	v_pk_mul_f32 v[24:25], v[14:15], v[24:25] op_sel_hi:[0,1]
	v_cvt_f16_f32_e32 v0, v27
	v_cvt_f16_f32_e32 v23, v26
	;; [unrolled: 1-line block ×4, first 2 shown]
	v_fma_mixlo_f16 v7, v14, v7, 0
	v_lshlrev_b32_e32 v7, 16, v7
	v_fma_mixlo_f16 v6, v14, v6, 0
	v_or_b32_sdwa v6, v7, v6 dst_sel:DWORD dst_unused:UNUSED_PAD src0_sel:DWORD src1_sel:WORD_0
	v_fma_mixlo_f16 v7, v14, v15, 0
	v_pack_b32_f16 v23, v23, v0
	v_pack_b32_f16 v24, v24, v25
	v_fma_mixlo_f16 v22, v14, v22, 0
	v_lshlrev_b32_e32 v7, 16, v7
	v_perm_b32 v0, v24, v23, s34
	v_perm_b32 v24, v24, v23, s35
	v_or_b32_sdwa v7, v7, v22 dst_sel:DWORD dst_unused:UNUSED_PAD src0_sel:DWORD src1_sel:WORD_0
	s_and_saveexec_b64 s[10:11], vcc
	s_cbranch_execz .LBB300_489
; %bb.488:                              ;   in Loop: Header=BB300_338 Depth=1
	v_lshrrev_b32_e32 v14, 16, v24
	v_cmp_lt_i32_e64 s[4:5], v47, v3
	v_accvgpr_read_b32 v26, a8
	v_cndmask_b32_e64 v14, 0, v14, s[4:5]
	v_cmp_lt_i32_e64 s[4:5], v42, v26
	v_cndmask_b32_e64 v15, 0, v24, s[4:5]
	v_perm_b32 v24, v14, v15, s36
	v_lshrrev_b32_e32 v14, 16, v0
	v_cmp_lt_i32_e64 s[4:5], v46, v3
	v_cndmask_b32_e64 v14, 0, v14, s[4:5]
	v_cmp_lt_i32_e64 s[4:5], v45, v26
	v_cndmask_b32_e64 v0, 0, v0, s[4:5]
	v_perm_b32 v0, v14, v0, s36
	v_lshrrev_b32_e32 v14, 16, v6
	v_cmp_lt_i32_e64 s[4:5], v44, v3
	v_cndmask_b32_e64 v14, 0, v14, s[4:5]
	v_cmp_lt_i32_e64 s[4:5], v43, v26
	v_cndmask_b32_e64 v6, 0, v6, s[4:5]
	v_lshrrev_b32_e32 v7, 16, v7
	v_cmp_lt_i32_e64 s[4:5], v54, v3
	v_cndmask_b32_e64 v7, 0, v7, s[4:5]
	v_cmp_lt_i32_e64 s[4:5], v53, v26
	v_perm_b32 v6, v14, v6, s36
	v_cndmask_b32_e64 v14, 0, v22, s[4:5]
	v_perm_b32 v7, v7, v14, s36
.LBB300_489:                            ;   in Loop: Header=BB300_338 Depth=1
	s_or_b64 exec, exec, s[10:11]
	;;#ASMSTART
	v_pk_mul_f16 v14, v59, v24;

	;;#ASMEND
	;;#ASMSTART
	v_pk_mul_f16 v0, v58, v0;

	;;#ASMEND
	;; [unrolled: 4-line block ×4, first 2 shown]
	;;#ASMSTART
	v_pk_add_f16 v0, v14, v0;

	;;#ASMEND
	;;#ASMSTART
	v_pk_add_f16 v0, v0, v6;

	;;#ASMEND
	;; [unrolled: 4-line block ×3, first 2 shown]
	v_lshrrev_b32_e32 v6, 16, v0
	v_and_b32_e32 v0, 0xffff, v0
	;;#ASMSTART
	v_cvt_f32_f16 v62, v0;
	;;#ASMEND
	;;#ASMSTART
	v_cvt_f32_f16 v40, v6;
	;;#ASMEND
	v_accvgpr_read_b32 v7, a5
	flat_load_dwordx2 v[34:35], v[12:13] offset:1536
	v_accvgpr_read_b32 v6, a4
	flat_load_dword v14, v[6:7]
	v_mov_b32_e32 v30, 0
	v_mov_b32_e32 v24, 0
	s_waitcnt vmcnt(0) lgkmcnt(0)
	v_cmp_ne_u16_sdwa s[4:5], v34, v1 src0_sel:BYTE_0 src1_sel:DWORD
	s_and_saveexec_b64 s[10:11], s[4:5]
	s_cbranch_execz .LBB300_495
; %bb.490:                              ;   in Loop: Header=BB300_338 Depth=1
	v_cmp_ne_u16_sdwa s[4:5], v34, s7 src0_sel:BYTE_0 src1_sel:DWORD
	v_bfrev_b32_e32 v24, 1
	s_and_saveexec_b64 s[12:13], s[4:5]
	s_cbranch_execz .LBB300_494
; %bb.491:                              ;   in Loop: Header=BB300_338 Depth=1
	v_and_b32_e32 v0, 0x7f, v34
	v_cmp_ne_u32_e64 s[4:5], s15, v0
	v_mov_b32_e32 v24, 0x7fc02000
	s_and_saveexec_b64 s[28:29], s[4:5]
	s_cbranch_execz .LBB300_493
; %bb.492:                              ;   in Loop: Header=BB300_338 Depth=1
	v_and_b32_e32 v6, 7, v34
	v_ffbh_u32_e32 v6, v6
	v_min_u32_e32 v6, 32, v6
	v_subrev_u32_e32 v7, 28, v6
	v_cmp_gt_u32_e64 s[4:5], 8, v0
	v_lshrrev_b32_e32 v15, 3, v0
	v_sub_u32_e32 v22, 29, v6
	v_cndmask_b32_e64 v0, 0, v7, s[4:5]
	v_lshlrev_b64 v[6:7], v0, v[34:35]
	v_cndmask_b32_e64 v0, v15, v22, s[4:5]
	v_lshlrev_b32_e32 v7, 8, v34
	v_lshl_add_u32 v0, v0, 10, v51
	v_lshlrev_b32_e32 v6, 7, v6
	v_and_or_b32 v0, v7, s30, v0
	v_and_or_b32 v0, v6, s31, v0
	v_cvt_f32_f16_e32 v24, v0
.LBB300_493:                            ;   in Loop: Header=BB300_338 Depth=1
	s_or_b64 exec, exec, s[28:29]
.LBB300_494:                            ;   in Loop: Header=BB300_338 Depth=1
	s_or_b64 exec, exec, s[12:13]
.LBB300_495:                            ;   in Loop: Header=BB300_338 Depth=1
	s_or_b64 exec, exec, s[10:11]
	v_lshrrev_b16_e32 v0, 8, v34
	v_cmp_ne_u16_e64 s[4:5], 0, v0
	s_and_saveexec_b64 s[10:11], s[4:5]
	s_cbranch_execz .LBB300_501
; %bb.496:                              ;   in Loop: Header=BB300_338 Depth=1
	v_cmp_ne_u16_e64 s[4:5], s7, v0
	v_bfrev_b32_e32 v30, 1
	s_and_saveexec_b64 s[12:13], s[4:5]
	s_cbranch_execz .LBB300_500
; %bb.497:                              ;   in Loop: Header=BB300_338 Depth=1
	v_and_b32_e32 v6, 0x7f, v0
	v_cmp_ne_u32_e64 s[4:5], s15, v6
	v_mov_b32_e32 v30, 0x7fc02000
	s_and_saveexec_b64 s[28:29], s[4:5]
	s_cbranch_execz .LBB300_499
; %bb.498:                              ;   in Loop: Header=BB300_338 Depth=1
	v_and_b32_e32 v7, 7, v0
	v_ffbh_u32_e32 v22, v7
	v_min_u32_e32 v22, 32, v22
	v_lshrrev_b32_e32 v15, 3, v6
	v_subrev_u32_e32 v23, 28, v22
	v_sub_u32_e32 v22, 29, v22
	v_cmp_gt_u32_e64 s[4:5], 8, v6
	v_lshlrev_b64 v[26:27], v23, v[0:1]
	v_cndmask_b32_e64 v6, v15, v22, s[4:5]
	v_and_b32_e32 v23, 7, v26
	v_lshlrev_b32_e32 v0, 8, v0
	v_lshl_add_u32 v6, v6, 10, v51
	v_cndmask_b32_e64 v7, v7, v23, s[4:5]
	v_and_or_b32 v0, v0, s30, v6
	v_lshl_or_b32 v0, v7, 7, v0
	v_cvt_f32_f16_e32 v30, v0
.LBB300_499:                            ;   in Loop: Header=BB300_338 Depth=1
	s_or_b64 exec, exec, s[28:29]
.LBB300_500:                            ;   in Loop: Header=BB300_338 Depth=1
	s_or_b64 exec, exec, s[12:13]
.LBB300_501:                            ;   in Loop: Header=BB300_338 Depth=1
	s_or_b64 exec, exec, s[10:11]
	v_lshrrev_b32_e32 v0, 16, v34
	v_cmp_ne_u16_sdwa s[4:5], v0, v1 src0_sel:BYTE_0 src1_sel:DWORD
	v_mov_b32_e32 v31, 0
	v_mov_b32_e32 v25, 0
	s_and_saveexec_b64 s[10:11], s[4:5]
	s_cbranch_execz .LBB300_507
; %bb.502:                              ;   in Loop: Header=BB300_338 Depth=1
	v_cmp_ne_u16_sdwa s[4:5], v0, s7 src0_sel:BYTE_0 src1_sel:DWORD
	v_bfrev_b32_e32 v25, 1
	s_and_saveexec_b64 s[12:13], s[4:5]
	s_cbranch_execz .LBB300_506
; %bb.503:                              ;   in Loop: Header=BB300_338 Depth=1
	v_bfe_u32 v6, v34, 16, 7
	v_cmp_ne_u32_e64 s[4:5], s15, v6
	v_mov_b32_e32 v25, 0x7fc02000
	s_and_saveexec_b64 s[28:29], s[4:5]
	s_cbranch_execz .LBB300_505
; %bb.504:                              ;   in Loop: Header=BB300_338 Depth=1
	v_and_b32_e32 v7, 7, v0
	v_ffbh_u32_e32 v22, v7
	v_min_u32_e32 v22, 32, v22
	v_lshrrev_b32_e32 v15, 3, v6
	v_subrev_u32_e32 v23, 28, v22
	v_sub_u32_e32 v22, 29, v22
	v_cmp_gt_u32_e64 s[4:5], 8, v6
	v_lshlrev_b64 v[26:27], v23, v[0:1]
	v_cndmask_b32_e64 v6, v15, v22, s[4:5]
	v_and_b32_e32 v23, 7, v26
	v_lshlrev_b32_e32 v0, 8, v0
	v_lshl_add_u32 v6, v6, 10, v51
	v_cndmask_b32_e64 v7, v7, v23, s[4:5]
	v_and_or_b32 v0, v0, s30, v6
	v_lshl_or_b32 v0, v7, 7, v0
	v_cvt_f32_f16_e32 v25, v0
.LBB300_505:                            ;   in Loop: Header=BB300_338 Depth=1
	s_or_b64 exec, exec, s[28:29]
.LBB300_506:                            ;   in Loop: Header=BB300_338 Depth=1
	s_or_b64 exec, exec, s[12:13]
.LBB300_507:                            ;   in Loop: Header=BB300_338 Depth=1
	s_or_b64 exec, exec, s[10:11]
	v_cmp_lt_u32_e64 s[4:5], s25, v34
	s_and_saveexec_b64 s[10:11], s[4:5]
	s_cbranch_execz .LBB300_513
; %bb.508:                              ;   in Loop: Header=BB300_338 Depth=1
	v_lshrrev_b32_e32 v0, 24, v34
	v_cmp_ne_u32_e64 s[4:5], s7, v0
	v_bfrev_b32_e32 v31, 1
	s_and_saveexec_b64 s[12:13], s[4:5]
	s_cbranch_execz .LBB300_512
; %bb.509:                              ;   in Loop: Header=BB300_338 Depth=1
	v_and_b32_e32 v6, 0x7f, v0
	v_cmp_ne_u32_e64 s[4:5], s15, v6
	v_mov_b32_e32 v31, 0x7fc02000
	s_and_saveexec_b64 s[28:29], s[4:5]
	s_cbranch_execz .LBB300_511
; %bb.510:                              ;   in Loop: Header=BB300_338 Depth=1
	v_and_b32_e32 v7, 7, v0
	v_ffbh_u32_e32 v22, v7
	v_min_u32_e32 v22, 32, v22
	v_lshrrev_b32_e32 v15, 3, v6
	v_subrev_u32_e32 v23, 28, v22
	v_sub_u32_e32 v22, 29, v22
	v_cmp_gt_u32_e64 s[4:5], 8, v6
	v_lshlrev_b64 v[26:27], v23, v[0:1]
	v_cndmask_b32_e64 v6, v15, v22, s[4:5]
	v_and_b32_e32 v23, 7, v26
	v_lshlrev_b32_e32 v0, 8, v0
	v_lshl_add_u32 v6, v6, 10, v51
	v_cndmask_b32_e64 v7, v7, v23, s[4:5]
	v_and_or_b32 v0, v0, s30, v6
	v_lshl_or_b32 v0, v7, 7, v0
	v_cvt_f32_f16_e32 v31, v0
.LBB300_511:                            ;   in Loop: Header=BB300_338 Depth=1
	s_or_b64 exec, exec, s[28:29]
.LBB300_512:                            ;   in Loop: Header=BB300_338 Depth=1
	s_or_b64 exec, exec, s[12:13]
.LBB300_513:                            ;   in Loop: Header=BB300_338 Depth=1
	s_or_b64 exec, exec, s[10:11]
	v_mov_b32_e32 v0, v35
	v_cmp_ne_u16_sdwa s[4:5], v35, v1 src0_sel:BYTE_0 src1_sel:DWORD
	v_mov_b32_e32 v7, 0
	v_mov_b32_e32 v6, 0
	s_and_saveexec_b64 s[10:11], s[4:5]
	s_cbranch_execz .LBB300_519
; %bb.514:                              ;   in Loop: Header=BB300_338 Depth=1
	v_cmp_ne_u16_sdwa s[4:5], v35, s7 src0_sel:BYTE_0 src1_sel:DWORD
	v_bfrev_b32_e32 v6, 1
	s_and_saveexec_b64 s[12:13], s[4:5]
	s_cbranch_execz .LBB300_518
; %bb.515:                              ;   in Loop: Header=BB300_338 Depth=1
	v_and_b32_e32 v15, 0x7f, v35
	v_cmp_ne_u32_e64 s[4:5], s15, v15
	v_mov_b32_e32 v6, 0x7fc02000
	s_and_saveexec_b64 s[28:29], s[4:5]
	s_cbranch_execz .LBB300_517
; %bb.516:                              ;   in Loop: Header=BB300_338 Depth=1
	v_and_b32_e32 v6, 7, v35
	v_ffbh_u32_e32 v6, v6
	v_min_u32_e32 v6, 32, v6
	v_lshrrev_b32_e32 v22, 3, v15
	v_subrev_u32_e32 v23, 28, v6
	v_sub_u32_e32 v6, 29, v6
	v_cmp_gt_u32_e64 s[4:5], 8, v15
	v_cndmask_b32_e64 v15, 0, v23, s[4:5]
	v_cndmask_b32_e64 v6, v22, v6, s[4:5]
	v_lshlrev_b64 v[26:27], v15, v[0:1]
	v_lshlrev_b32_e32 v22, 8, v35
	v_lshl_add_u32 v6, v6, 10, v51
	v_lshlrev_b32_e32 v15, 7, v26
	v_and_or_b32 v6, v22, s30, v6
	v_and_or_b32 v6, v15, s31, v6
	v_cvt_f32_f16_e32 v6, v6
.LBB300_517:                            ;   in Loop: Header=BB300_338 Depth=1
	s_or_b64 exec, exec, s[28:29]
.LBB300_518:                            ;   in Loop: Header=BB300_338 Depth=1
	s_or_b64 exec, exec, s[12:13]
.LBB300_519:                            ;   in Loop: Header=BB300_338 Depth=1
	s_or_b64 exec, exec, s[10:11]
	v_lshrrev_b16_e32 v0, 8, v0
	v_cmp_ne_u16_e64 s[4:5], 0, v0
	s_and_saveexec_b64 s[10:11], s[4:5]
	s_cbranch_execz .LBB300_525
; %bb.520:                              ;   in Loop: Header=BB300_338 Depth=1
	v_cmp_ne_u16_e64 s[4:5], s7, v0
	v_bfrev_b32_e32 v7, 1
	s_and_saveexec_b64 s[12:13], s[4:5]
	s_cbranch_execz .LBB300_524
; %bb.521:                              ;   in Loop: Header=BB300_338 Depth=1
	v_and_b32_e32 v15, 0x7f, v0
	v_cmp_ne_u32_e64 s[4:5], s15, v15
	v_mov_b32_e32 v7, 0x7fc02000
	s_and_saveexec_b64 s[28:29], s[4:5]
	s_cbranch_execz .LBB300_523
; %bb.522:                              ;   in Loop: Header=BB300_338 Depth=1
	v_and_b32_e32 v7, 7, v0
	v_ffbh_u32_e32 v23, v7
	v_min_u32_e32 v23, 32, v23
	v_lshrrev_b32_e32 v22, 3, v15
	v_subrev_u32_e32 v26, 28, v23
	v_sub_u32_e32 v23, 29, v23
	v_cmp_gt_u32_e64 s[4:5], 8, v15
	v_lshlrev_b64 v[26:27], v26, v[0:1]
	v_cndmask_b32_e64 v15, v22, v23, s[4:5]
	v_and_b32_e32 v26, 7, v26
	v_lshlrev_b32_e32 v0, 8, v0
	v_lshl_add_u32 v15, v15, 10, v51
	v_cndmask_b32_e64 v7, v7, v26, s[4:5]
	v_and_or_b32 v0, v0, s30, v15
	v_lshl_or_b32 v0, v7, 7, v0
	v_cvt_f32_f16_e32 v7, v0
.LBB300_523:                            ;   in Loop: Header=BB300_338 Depth=1
	s_or_b64 exec, exec, s[28:29]
.LBB300_524:                            ;   in Loop: Header=BB300_338 Depth=1
	s_or_b64 exec, exec, s[12:13]
.LBB300_525:                            ;   in Loop: Header=BB300_338 Depth=1
	s_or_b64 exec, exec, s[10:11]
	v_lshrrev_b32_e32 v0, 16, v35
	v_cmp_ne_u16_sdwa s[4:5], v0, v1 src0_sel:BYTE_0 src1_sel:DWORD
	v_mov_b32_e32 v15, 0
	v_mov_b32_e32 v22, 0
	s_and_saveexec_b64 s[10:11], s[4:5]
	s_cbranch_execz .LBB300_531
; %bb.526:                              ;   in Loop: Header=BB300_338 Depth=1
	v_cmp_ne_u16_sdwa s[4:5], v0, s7 src0_sel:BYTE_0 src1_sel:DWORD
	v_bfrev_b32_e32 v22, 1
	s_and_saveexec_b64 s[12:13], s[4:5]
	s_cbranch_execz .LBB300_530
; %bb.527:                              ;   in Loop: Header=BB300_338 Depth=1
	v_bfe_u32 v26, v35, 16, 7
	v_cmp_ne_u32_e64 s[4:5], s15, v26
	v_mov_b32_e32 v22, 0x7fc02000
	s_and_saveexec_b64 s[28:29], s[4:5]
	s_cbranch_execz .LBB300_529
; %bb.528:                              ;   in Loop: Header=BB300_338 Depth=1
	v_and_b32_e32 v22, 7, v0
	v_ffbh_u32_e32 v27, v22
	v_min_u32_e32 v27, 32, v27
	v_lshrrev_b32_e32 v23, 3, v26
	v_subrev_u32_e32 v28, 28, v27
	v_sub_u32_e32 v27, 29, v27
	v_cmp_gt_u32_e64 s[4:5], 8, v26
	v_lshlrev_b64 v[48:49], v28, v[0:1]
	v_cndmask_b32_e64 v23, v23, v27, s[4:5]
	v_and_b32_e32 v28, 7, v48
	v_lshlrev_b32_e32 v0, 8, v0
	v_lshl_add_u32 v23, v23, 10, v51
	v_cndmask_b32_e64 v22, v22, v28, s[4:5]
	v_and_or_b32 v0, v0, s30, v23
	v_lshl_or_b32 v0, v22, 7, v0
	v_cvt_f32_f16_e32 v22, v0
.LBB300_529:                            ;   in Loop: Header=BB300_338 Depth=1
	s_or_b64 exec, exec, s[28:29]
.LBB300_530:                            ;   in Loop: Header=BB300_338 Depth=1
	s_or_b64 exec, exec, s[12:13]
.LBB300_531:                            ;   in Loop: Header=BB300_338 Depth=1
	s_or_b64 exec, exec, s[10:11]
	v_cmp_lt_u64_e64 s[4:5], s[24:25], v[34:35]
	s_and_saveexec_b64 s[10:11], s[4:5]
	s_cbranch_execz .LBB300_537
; %bb.532:                              ;   in Loop: Header=BB300_338 Depth=1
	v_lshrrev_b32_e32 v0, 24, v35
	v_cmp_ne_u32_e64 s[4:5], s7, v0
	v_bfrev_b32_e32 v15, 1
	s_and_saveexec_b64 s[12:13], s[4:5]
	s_cbranch_execz .LBB300_536
; %bb.533:                              ;   in Loop: Header=BB300_338 Depth=1
	v_and_b32_e32 v26, 0x7f, v0
	v_cmp_ne_u32_e64 s[4:5], s15, v26
	v_mov_b32_e32 v15, 0x7fc02000
	s_and_saveexec_b64 s[28:29], s[4:5]
	s_cbranch_execz .LBB300_535
; %bb.534:                              ;   in Loop: Header=BB300_338 Depth=1
	v_and_b32_e32 v15, 7, v0
	v_ffbh_u32_e32 v27, v15
	v_min_u32_e32 v27, 32, v27
	v_lshrrev_b32_e32 v23, 3, v26
	v_subrev_u32_e32 v28, 28, v27
	v_sub_u32_e32 v27, 29, v27
	v_cmp_gt_u32_e64 s[4:5], 8, v26
	v_lshlrev_b64 v[34:35], v28, v[0:1]
	v_cndmask_b32_e64 v23, v23, v27, s[4:5]
	v_and_b32_e32 v28, 7, v34
	v_lshlrev_b32_e32 v0, 8, v0
	v_lshl_add_u32 v23, v23, 10, v51
	v_cndmask_b32_e64 v15, v15, v28, s[4:5]
	v_and_or_b32 v0, v0, s30, v23
	v_lshl_or_b32 v0, v15, 7, v0
	v_cvt_f32_f16_e32 v15, v0
.LBB300_535:                            ;   in Loop: Header=BB300_338 Depth=1
	s_or_b64 exec, exec, s[28:29]
.LBB300_536:                            ;   in Loop: Header=BB300_338 Depth=1
	s_or_b64 exec, exec, s[12:13]
.LBB300_537:                            ;   in Loop: Header=BB300_338 Depth=1
	s_or_b64 exec, exec, s[10:11]
	v_pk_mul_f32 v[26:27], v[14:15], v[30:31] op_sel_hi:[0,1]
	v_pk_mul_f32 v[24:25], v[14:15], v[24:25] op_sel_hi:[0,1]
	v_cvt_f16_f32_e32 v0, v27
	v_cvt_f16_f32_e32 v23, v26
	;; [unrolled: 1-line block ×4, first 2 shown]
	v_fma_mixlo_f16 v7, v14, v7, 0
	v_lshlrev_b32_e32 v7, 16, v7
	v_fma_mixlo_f16 v6, v14, v6, 0
	v_or_b32_sdwa v6, v7, v6 dst_sel:DWORD dst_unused:UNUSED_PAD src0_sel:DWORD src1_sel:WORD_0
	v_fma_mixlo_f16 v7, v14, v15, 0
	v_pack_b32_f16 v23, v23, v0
	v_pack_b32_f16 v24, v24, v25
	v_fma_mixlo_f16 v22, v14, v22, 0
	v_lshlrev_b32_e32 v7, 16, v7
	v_perm_b32 v0, v24, v23, s34
	v_perm_b32 v24, v24, v23, s35
	v_or_b32_sdwa v7, v7, v22 dst_sel:DWORD dst_unused:UNUSED_PAD src0_sel:DWORD src1_sel:WORD_0
	s_and_saveexec_b64 s[10:11], vcc
	s_cbranch_execz .LBB300_539
; %bb.538:                              ;   in Loop: Header=BB300_338 Depth=1
	v_lshrrev_b32_e32 v14, 16, v24
	v_cmp_lt_i32_e64 s[4:5], v47, v3
	v_accvgpr_read_b32 v26, a8
	v_cndmask_b32_e64 v14, 0, v14, s[4:5]
	v_cmp_lt_i32_e64 s[4:5], v42, v26
	v_cndmask_b32_e64 v15, 0, v24, s[4:5]
	v_perm_b32 v24, v14, v15, s36
	v_lshrrev_b32_e32 v14, 16, v0
	v_cmp_lt_i32_e64 s[4:5], v46, v3
	v_cndmask_b32_e64 v14, 0, v14, s[4:5]
	v_cmp_lt_i32_e64 s[4:5], v45, v26
	v_cndmask_b32_e64 v0, 0, v0, s[4:5]
	v_perm_b32 v0, v14, v0, s36
	v_lshrrev_b32_e32 v14, 16, v6
	v_cmp_lt_i32_e64 s[4:5], v44, v3
	v_cndmask_b32_e64 v14, 0, v14, s[4:5]
	v_cmp_lt_i32_e64 s[4:5], v43, v26
	v_cndmask_b32_e64 v6, 0, v6, s[4:5]
	v_lshrrev_b32_e32 v7, 16, v7
	v_cmp_lt_i32_e64 s[4:5], v54, v3
	v_cndmask_b32_e64 v7, 0, v7, s[4:5]
	v_cmp_lt_i32_e64 s[4:5], v53, v26
	v_perm_b32 v6, v14, v6, s36
	v_cndmask_b32_e64 v14, 0, v22, s[4:5]
	v_perm_b32 v7, v7, v14, s36
.LBB300_539:                            ;   in Loop: Header=BB300_338 Depth=1
	s_or_b64 exec, exec, s[10:11]
	;;#ASMSTART
	v_pk_mul_f16 v14, v59, v24;

	;;#ASMEND
	;;#ASMSTART
	v_pk_mul_f16 v0, v58, v0;

	;;#ASMEND
	;; [unrolled: 4-line block ×4, first 2 shown]
	;;#ASMSTART
	v_pk_add_f16 v0, v14, v0;

	;;#ASMEND
	;;#ASMSTART
	v_pk_add_f16 v0, v0, v6;

	;;#ASMEND
	;; [unrolled: 4-line block ×3, first 2 shown]
	v_lshrrev_b32_e32 v6, 16, v0
	v_and_b32_e32 v0, 0xffff, v0
	;;#ASMSTART
	v_cvt_f32_f16 v33, v0;
	;;#ASMEND
	;;#ASMSTART
	v_cvt_f32_f16 v49, v6;
	;;#ASMEND
	v_accvgpr_read_b32 v7, a5
	flat_load_dwordx2 v[34:35], v[12:13] offset:2048
	v_accvgpr_read_b32 v6, a4
	flat_load_dword v14, v[6:7]
	v_mov_b32_e32 v30, 0
	v_mov_b32_e32 v24, 0
	s_waitcnt vmcnt(0) lgkmcnt(0)
	v_cmp_ne_u16_sdwa s[4:5], v34, v1 src0_sel:BYTE_0 src1_sel:DWORD
	s_and_saveexec_b64 s[10:11], s[4:5]
	s_cbranch_execz .LBB300_545
; %bb.540:                              ;   in Loop: Header=BB300_338 Depth=1
	v_cmp_ne_u16_sdwa s[4:5], v34, s7 src0_sel:BYTE_0 src1_sel:DWORD
	v_bfrev_b32_e32 v24, 1
	s_and_saveexec_b64 s[12:13], s[4:5]
	s_cbranch_execz .LBB300_544
; %bb.541:                              ;   in Loop: Header=BB300_338 Depth=1
	v_and_b32_e32 v0, 0x7f, v34
	v_cmp_ne_u32_e64 s[4:5], s15, v0
	v_mov_b32_e32 v24, 0x7fc02000
	s_and_saveexec_b64 s[28:29], s[4:5]
	s_cbranch_execz .LBB300_543
; %bb.542:                              ;   in Loop: Header=BB300_338 Depth=1
	v_and_b32_e32 v6, 7, v34
	v_ffbh_u32_e32 v6, v6
	v_min_u32_e32 v6, 32, v6
	v_subrev_u32_e32 v7, 28, v6
	v_cmp_gt_u32_e64 s[4:5], 8, v0
	v_lshrrev_b32_e32 v15, 3, v0
	v_sub_u32_e32 v22, 29, v6
	v_cndmask_b32_e64 v0, 0, v7, s[4:5]
	v_lshlrev_b64 v[6:7], v0, v[34:35]
	v_cndmask_b32_e64 v0, v15, v22, s[4:5]
	v_lshlrev_b32_e32 v7, 8, v34
	v_lshl_add_u32 v0, v0, 10, v51
	v_lshlrev_b32_e32 v6, 7, v6
	v_and_or_b32 v0, v7, s30, v0
	v_and_or_b32 v0, v6, s31, v0
	v_cvt_f32_f16_e32 v24, v0
.LBB300_543:                            ;   in Loop: Header=BB300_338 Depth=1
	s_or_b64 exec, exec, s[28:29]
.LBB300_544:                            ;   in Loop: Header=BB300_338 Depth=1
	s_or_b64 exec, exec, s[12:13]
.LBB300_545:                            ;   in Loop: Header=BB300_338 Depth=1
	s_or_b64 exec, exec, s[10:11]
	v_lshrrev_b16_e32 v0, 8, v34
	v_cmp_ne_u16_e64 s[4:5], 0, v0
	s_and_saveexec_b64 s[10:11], s[4:5]
	s_cbranch_execz .LBB300_551
; %bb.546:                              ;   in Loop: Header=BB300_338 Depth=1
	v_cmp_ne_u16_e64 s[4:5], s7, v0
	v_bfrev_b32_e32 v30, 1
	s_and_saveexec_b64 s[12:13], s[4:5]
	s_cbranch_execz .LBB300_550
; %bb.547:                              ;   in Loop: Header=BB300_338 Depth=1
	v_and_b32_e32 v6, 0x7f, v0
	v_cmp_ne_u32_e64 s[4:5], s15, v6
	v_mov_b32_e32 v30, 0x7fc02000
	s_and_saveexec_b64 s[28:29], s[4:5]
	s_cbranch_execz .LBB300_549
; %bb.548:                              ;   in Loop: Header=BB300_338 Depth=1
	v_and_b32_e32 v7, 7, v0
	v_ffbh_u32_e32 v22, v7
	v_min_u32_e32 v22, 32, v22
	v_lshrrev_b32_e32 v15, 3, v6
	v_subrev_u32_e32 v23, 28, v22
	v_sub_u32_e32 v22, 29, v22
	v_cmp_gt_u32_e64 s[4:5], 8, v6
	v_lshlrev_b64 v[26:27], v23, v[0:1]
	v_cndmask_b32_e64 v6, v15, v22, s[4:5]
	v_and_b32_e32 v23, 7, v26
	v_lshlrev_b32_e32 v0, 8, v0
	v_lshl_add_u32 v6, v6, 10, v51
	v_cndmask_b32_e64 v7, v7, v23, s[4:5]
	v_and_or_b32 v0, v0, s30, v6
	v_lshl_or_b32 v0, v7, 7, v0
	v_cvt_f32_f16_e32 v30, v0
.LBB300_549:                            ;   in Loop: Header=BB300_338 Depth=1
	s_or_b64 exec, exec, s[28:29]
.LBB300_550:                            ;   in Loop: Header=BB300_338 Depth=1
	s_or_b64 exec, exec, s[12:13]
.LBB300_551:                            ;   in Loop: Header=BB300_338 Depth=1
	s_or_b64 exec, exec, s[10:11]
	v_lshrrev_b32_e32 v0, 16, v34
	v_cmp_ne_u16_sdwa s[4:5], v0, v1 src0_sel:BYTE_0 src1_sel:DWORD
	v_mov_b32_e32 v31, 0
	v_mov_b32_e32 v25, 0
	s_and_saveexec_b64 s[10:11], s[4:5]
	s_cbranch_execz .LBB300_557
; %bb.552:                              ;   in Loop: Header=BB300_338 Depth=1
	v_cmp_ne_u16_sdwa s[4:5], v0, s7 src0_sel:BYTE_0 src1_sel:DWORD
	v_bfrev_b32_e32 v25, 1
	s_and_saveexec_b64 s[12:13], s[4:5]
	s_cbranch_execz .LBB300_556
; %bb.553:                              ;   in Loop: Header=BB300_338 Depth=1
	v_bfe_u32 v6, v34, 16, 7
	v_cmp_ne_u32_e64 s[4:5], s15, v6
	v_mov_b32_e32 v25, 0x7fc02000
	s_and_saveexec_b64 s[28:29], s[4:5]
	s_cbranch_execz .LBB300_555
; %bb.554:                              ;   in Loop: Header=BB300_338 Depth=1
	v_and_b32_e32 v7, 7, v0
	v_ffbh_u32_e32 v22, v7
	v_min_u32_e32 v22, 32, v22
	v_lshrrev_b32_e32 v15, 3, v6
	v_subrev_u32_e32 v23, 28, v22
	v_sub_u32_e32 v22, 29, v22
	v_cmp_gt_u32_e64 s[4:5], 8, v6
	v_lshlrev_b64 v[26:27], v23, v[0:1]
	v_cndmask_b32_e64 v6, v15, v22, s[4:5]
	v_and_b32_e32 v23, 7, v26
	v_lshlrev_b32_e32 v0, 8, v0
	v_lshl_add_u32 v6, v6, 10, v51
	v_cndmask_b32_e64 v7, v7, v23, s[4:5]
	v_and_or_b32 v0, v0, s30, v6
	v_lshl_or_b32 v0, v7, 7, v0
	v_cvt_f32_f16_e32 v25, v0
.LBB300_555:                            ;   in Loop: Header=BB300_338 Depth=1
	s_or_b64 exec, exec, s[28:29]
.LBB300_556:                            ;   in Loop: Header=BB300_338 Depth=1
	s_or_b64 exec, exec, s[12:13]
.LBB300_557:                            ;   in Loop: Header=BB300_338 Depth=1
	s_or_b64 exec, exec, s[10:11]
	v_cmp_lt_u32_e64 s[4:5], s25, v34
	s_and_saveexec_b64 s[10:11], s[4:5]
	s_cbranch_execz .LBB300_563
; %bb.558:                              ;   in Loop: Header=BB300_338 Depth=1
	v_lshrrev_b32_e32 v0, 24, v34
	v_cmp_ne_u32_e64 s[4:5], s7, v0
	v_bfrev_b32_e32 v31, 1
	s_and_saveexec_b64 s[12:13], s[4:5]
	s_cbranch_execz .LBB300_562
; %bb.559:                              ;   in Loop: Header=BB300_338 Depth=1
	v_and_b32_e32 v6, 0x7f, v0
	v_cmp_ne_u32_e64 s[4:5], s15, v6
	v_mov_b32_e32 v31, 0x7fc02000
	s_and_saveexec_b64 s[28:29], s[4:5]
	s_cbranch_execz .LBB300_561
; %bb.560:                              ;   in Loop: Header=BB300_338 Depth=1
	v_and_b32_e32 v7, 7, v0
	v_ffbh_u32_e32 v22, v7
	v_min_u32_e32 v22, 32, v22
	v_lshrrev_b32_e32 v15, 3, v6
	v_subrev_u32_e32 v23, 28, v22
	v_sub_u32_e32 v22, 29, v22
	v_cmp_gt_u32_e64 s[4:5], 8, v6
	v_lshlrev_b64 v[26:27], v23, v[0:1]
	v_cndmask_b32_e64 v6, v15, v22, s[4:5]
	v_and_b32_e32 v23, 7, v26
	v_lshlrev_b32_e32 v0, 8, v0
	v_lshl_add_u32 v6, v6, 10, v51
	v_cndmask_b32_e64 v7, v7, v23, s[4:5]
	v_and_or_b32 v0, v0, s30, v6
	v_lshl_or_b32 v0, v7, 7, v0
	v_cvt_f32_f16_e32 v31, v0
.LBB300_561:                            ;   in Loop: Header=BB300_338 Depth=1
	s_or_b64 exec, exec, s[28:29]
.LBB300_562:                            ;   in Loop: Header=BB300_338 Depth=1
	s_or_b64 exec, exec, s[12:13]
.LBB300_563:                            ;   in Loop: Header=BB300_338 Depth=1
	s_or_b64 exec, exec, s[10:11]
	v_mov_b32_e32 v0, v35
	v_cmp_ne_u16_sdwa s[4:5], v35, v1 src0_sel:BYTE_0 src1_sel:DWORD
	v_mov_b32_e32 v7, 0
	v_mov_b32_e32 v6, 0
	s_and_saveexec_b64 s[10:11], s[4:5]
	s_cbranch_execz .LBB300_569
; %bb.564:                              ;   in Loop: Header=BB300_338 Depth=1
	v_cmp_ne_u16_sdwa s[4:5], v35, s7 src0_sel:BYTE_0 src1_sel:DWORD
	v_bfrev_b32_e32 v6, 1
	s_and_saveexec_b64 s[12:13], s[4:5]
	s_cbranch_execz .LBB300_568
; %bb.565:                              ;   in Loop: Header=BB300_338 Depth=1
	v_and_b32_e32 v15, 0x7f, v35
	v_cmp_ne_u32_e64 s[4:5], s15, v15
	v_mov_b32_e32 v6, 0x7fc02000
	s_and_saveexec_b64 s[28:29], s[4:5]
	s_cbranch_execz .LBB300_567
; %bb.566:                              ;   in Loop: Header=BB300_338 Depth=1
	v_and_b32_e32 v6, 7, v35
	v_ffbh_u32_e32 v6, v6
	v_min_u32_e32 v6, 32, v6
	v_lshrrev_b32_e32 v22, 3, v15
	v_subrev_u32_e32 v23, 28, v6
	v_sub_u32_e32 v6, 29, v6
	v_cmp_gt_u32_e64 s[4:5], 8, v15
	v_cndmask_b32_e64 v15, 0, v23, s[4:5]
	v_cndmask_b32_e64 v6, v22, v6, s[4:5]
	v_lshlrev_b64 v[26:27], v15, v[0:1]
	v_lshlrev_b32_e32 v22, 8, v35
	v_lshl_add_u32 v6, v6, 10, v51
	v_lshlrev_b32_e32 v15, 7, v26
	v_and_or_b32 v6, v22, s30, v6
	v_and_or_b32 v6, v15, s31, v6
	v_cvt_f32_f16_e32 v6, v6
.LBB300_567:                            ;   in Loop: Header=BB300_338 Depth=1
	s_or_b64 exec, exec, s[28:29]
.LBB300_568:                            ;   in Loop: Header=BB300_338 Depth=1
	s_or_b64 exec, exec, s[12:13]
.LBB300_569:                            ;   in Loop: Header=BB300_338 Depth=1
	s_or_b64 exec, exec, s[10:11]
	v_lshrrev_b16_e32 v0, 8, v0
	v_cmp_ne_u16_e64 s[4:5], 0, v0
	s_and_saveexec_b64 s[10:11], s[4:5]
	s_cbranch_execz .LBB300_575
; %bb.570:                              ;   in Loop: Header=BB300_338 Depth=1
	v_cmp_ne_u16_e64 s[4:5], s7, v0
	v_bfrev_b32_e32 v7, 1
	s_and_saveexec_b64 s[12:13], s[4:5]
	s_cbranch_execz .LBB300_574
; %bb.571:                              ;   in Loop: Header=BB300_338 Depth=1
	v_and_b32_e32 v15, 0x7f, v0
	v_cmp_ne_u32_e64 s[4:5], s15, v15
	v_mov_b32_e32 v7, 0x7fc02000
	s_and_saveexec_b64 s[28:29], s[4:5]
	s_cbranch_execz .LBB300_573
; %bb.572:                              ;   in Loop: Header=BB300_338 Depth=1
	v_and_b32_e32 v7, 7, v0
	v_ffbh_u32_e32 v23, v7
	v_min_u32_e32 v23, 32, v23
	v_lshrrev_b32_e32 v22, 3, v15
	v_subrev_u32_e32 v26, 28, v23
	v_sub_u32_e32 v23, 29, v23
	v_cmp_gt_u32_e64 s[4:5], 8, v15
	v_lshlrev_b64 v[26:27], v26, v[0:1]
	v_cndmask_b32_e64 v15, v22, v23, s[4:5]
	v_and_b32_e32 v26, 7, v26
	v_lshlrev_b32_e32 v0, 8, v0
	v_lshl_add_u32 v15, v15, 10, v51
	v_cndmask_b32_e64 v7, v7, v26, s[4:5]
	v_and_or_b32 v0, v0, s30, v15
	v_lshl_or_b32 v0, v7, 7, v0
	v_cvt_f32_f16_e32 v7, v0
.LBB300_573:                            ;   in Loop: Header=BB300_338 Depth=1
	s_or_b64 exec, exec, s[28:29]
.LBB300_574:                            ;   in Loop: Header=BB300_338 Depth=1
	s_or_b64 exec, exec, s[12:13]
.LBB300_575:                            ;   in Loop: Header=BB300_338 Depth=1
	s_or_b64 exec, exec, s[10:11]
	v_lshrrev_b32_e32 v0, 16, v35
	v_cmp_ne_u16_sdwa s[4:5], v0, v1 src0_sel:BYTE_0 src1_sel:DWORD
	v_mov_b32_e32 v15, 0
	v_mov_b32_e32 v22, 0
	s_and_saveexec_b64 s[10:11], s[4:5]
	s_cbranch_execz .LBB300_581
; %bb.576:                              ;   in Loop: Header=BB300_338 Depth=1
	v_cmp_ne_u16_sdwa s[4:5], v0, s7 src0_sel:BYTE_0 src1_sel:DWORD
	v_bfrev_b32_e32 v22, 1
	s_and_saveexec_b64 s[12:13], s[4:5]
	s_cbranch_execz .LBB300_580
; %bb.577:                              ;   in Loop: Header=BB300_338 Depth=1
	v_bfe_u32 v26, v35, 16, 7
	v_cmp_ne_u32_e64 s[4:5], s15, v26
	v_mov_b32_e32 v22, 0x7fc02000
	s_and_saveexec_b64 s[28:29], s[4:5]
	s_cbranch_execz .LBB300_579
; %bb.578:                              ;   in Loop: Header=BB300_338 Depth=1
	v_and_b32_e32 v22, 7, v0
	v_ffbh_u32_e32 v27, v22
	v_min_u32_e32 v27, 32, v27
	v_lshrrev_b32_e32 v23, 3, v26
	v_subrev_u32_e32 v28, 28, v27
	v_sub_u32_e32 v27, 29, v27
	v_cmp_gt_u32_e64 s[4:5], 8, v26
	v_lshlrev_b64 v[38:39], v28, v[0:1]
	v_cndmask_b32_e64 v23, v23, v27, s[4:5]
	v_and_b32_e32 v28, 7, v38
	v_lshlrev_b32_e32 v0, 8, v0
	v_lshl_add_u32 v23, v23, 10, v51
	v_cndmask_b32_e64 v22, v22, v28, s[4:5]
	v_and_or_b32 v0, v0, s30, v23
	v_lshl_or_b32 v0, v22, 7, v0
	v_cvt_f32_f16_e32 v22, v0
.LBB300_579:                            ;   in Loop: Header=BB300_338 Depth=1
	s_or_b64 exec, exec, s[28:29]
.LBB300_580:                            ;   in Loop: Header=BB300_338 Depth=1
	s_or_b64 exec, exec, s[12:13]
.LBB300_581:                            ;   in Loop: Header=BB300_338 Depth=1
	s_or_b64 exec, exec, s[10:11]
	v_cmp_lt_u64_e64 s[4:5], s[24:25], v[34:35]
	s_and_saveexec_b64 s[10:11], s[4:5]
	s_cbranch_execz .LBB300_587
; %bb.582:                              ;   in Loop: Header=BB300_338 Depth=1
	v_lshrrev_b32_e32 v0, 24, v35
	v_cmp_ne_u32_e64 s[4:5], s7, v0
	v_bfrev_b32_e32 v15, 1
	s_and_saveexec_b64 s[12:13], s[4:5]
	s_cbranch_execz .LBB300_586
; %bb.583:                              ;   in Loop: Header=BB300_338 Depth=1
	v_and_b32_e32 v26, 0x7f, v0
	v_cmp_ne_u32_e64 s[4:5], s15, v26
	v_mov_b32_e32 v15, 0x7fc02000
	s_and_saveexec_b64 s[28:29], s[4:5]
	s_cbranch_execz .LBB300_585
; %bb.584:                              ;   in Loop: Header=BB300_338 Depth=1
	v_and_b32_e32 v15, 7, v0
	v_ffbh_u32_e32 v27, v15
	v_min_u32_e32 v27, 32, v27
	v_lshrrev_b32_e32 v23, 3, v26
	v_subrev_u32_e32 v28, 28, v27
	v_sub_u32_e32 v27, 29, v27
	v_cmp_gt_u32_e64 s[4:5], 8, v26
	v_lshlrev_b64 v[34:35], v28, v[0:1]
	v_cndmask_b32_e64 v23, v23, v27, s[4:5]
	v_and_b32_e32 v28, 7, v34
	v_lshlrev_b32_e32 v0, 8, v0
	v_lshl_add_u32 v23, v23, 10, v51
	v_cndmask_b32_e64 v15, v15, v28, s[4:5]
	v_and_or_b32 v0, v0, s30, v23
	v_lshl_or_b32 v0, v15, 7, v0
	v_cvt_f32_f16_e32 v15, v0
.LBB300_585:                            ;   in Loop: Header=BB300_338 Depth=1
	s_or_b64 exec, exec, s[28:29]
.LBB300_586:                            ;   in Loop: Header=BB300_338 Depth=1
	s_or_b64 exec, exec, s[12:13]
.LBB300_587:                            ;   in Loop: Header=BB300_338 Depth=1
	s_or_b64 exec, exec, s[10:11]
	v_pk_mul_f32 v[26:27], v[14:15], v[30:31] op_sel_hi:[0,1]
	v_pk_mul_f32 v[24:25], v[14:15], v[24:25] op_sel_hi:[0,1]
	v_cvt_f16_f32_e32 v0, v27
	v_cvt_f16_f32_e32 v23, v26
	;; [unrolled: 1-line block ×4, first 2 shown]
	v_fma_mixlo_f16 v7, v14, v7, 0
	v_lshlrev_b32_e32 v7, 16, v7
	v_fma_mixlo_f16 v6, v14, v6, 0
	v_or_b32_sdwa v6, v7, v6 dst_sel:DWORD dst_unused:UNUSED_PAD src0_sel:DWORD src1_sel:WORD_0
	v_fma_mixlo_f16 v7, v14, v15, 0
	v_pack_b32_f16 v23, v23, v0
	v_pack_b32_f16 v24, v24, v25
	v_fma_mixlo_f16 v22, v14, v22, 0
	v_lshlrev_b32_e32 v7, 16, v7
	v_perm_b32 v0, v24, v23, s34
	v_perm_b32 v24, v24, v23, s35
	v_or_b32_sdwa v7, v7, v22 dst_sel:DWORD dst_unused:UNUSED_PAD src0_sel:DWORD src1_sel:WORD_0
	s_and_saveexec_b64 s[10:11], vcc
	s_cbranch_execz .LBB300_589
; %bb.588:                              ;   in Loop: Header=BB300_338 Depth=1
	v_lshrrev_b32_e32 v14, 16, v24
	v_cmp_lt_i32_e64 s[4:5], v47, v3
	v_accvgpr_read_b32 v26, a8
	v_cndmask_b32_e64 v14, 0, v14, s[4:5]
	v_cmp_lt_i32_e64 s[4:5], v42, v26
	v_cndmask_b32_e64 v15, 0, v24, s[4:5]
	v_perm_b32 v24, v14, v15, s36
	v_lshrrev_b32_e32 v14, 16, v0
	v_cmp_lt_i32_e64 s[4:5], v46, v3
	v_cndmask_b32_e64 v14, 0, v14, s[4:5]
	v_cmp_lt_i32_e64 s[4:5], v45, v26
	v_cndmask_b32_e64 v0, 0, v0, s[4:5]
	v_perm_b32 v0, v14, v0, s36
	v_lshrrev_b32_e32 v14, 16, v6
	v_cmp_lt_i32_e64 s[4:5], v44, v3
	v_cndmask_b32_e64 v14, 0, v14, s[4:5]
	v_cmp_lt_i32_e64 s[4:5], v43, v26
	v_cndmask_b32_e64 v6, 0, v6, s[4:5]
	v_lshrrev_b32_e32 v7, 16, v7
	v_cmp_lt_i32_e64 s[4:5], v54, v3
	v_cndmask_b32_e64 v7, 0, v7, s[4:5]
	v_cmp_lt_i32_e64 s[4:5], v53, v26
	v_perm_b32 v6, v14, v6, s36
	v_cndmask_b32_e64 v14, 0, v22, s[4:5]
	v_perm_b32 v7, v7, v14, s36
.LBB300_589:                            ;   in Loop: Header=BB300_338 Depth=1
	s_or_b64 exec, exec, s[10:11]
	;;#ASMSTART
	v_pk_mul_f16 v14, v59, v24;

	;;#ASMEND
	;;#ASMSTART
	v_pk_mul_f16 v0, v58, v0;

	;;#ASMEND
	;; [unrolled: 4-line block ×4, first 2 shown]
	;;#ASMSTART
	v_pk_add_f16 v0, v14, v0;

	;;#ASMEND
	;;#ASMSTART
	v_pk_add_f16 v0, v0, v6;

	;;#ASMEND
	;; [unrolled: 4-line block ×3, first 2 shown]
	v_lshrrev_b32_e32 v7, 16, v0
	v_and_b32_e32 v0, 0xffff, v0
	;;#ASMSTART
	v_cvt_f32_f16 v6, v0;
	;;#ASMEND
	;;#ASMSTART
	v_cvt_f32_f16 v7, v7;
	;;#ASMEND
	flat_load_dwordx2 v[30:31], v[12:13] offset:2560
	v_accvgpr_read_b32 v13, a5
	v_accvgpr_read_b32 v12, a4
	flat_load_dword v12, v[12:13]
	v_mov_b32_e32 v24, 0
	v_mov_b32_e32 v14, 0
	s_waitcnt vmcnt(0) lgkmcnt(0)
	v_cmp_ne_u16_sdwa s[4:5], v30, v1 src0_sel:BYTE_0 src1_sel:DWORD
	s_and_saveexec_b64 s[10:11], s[4:5]
	s_cbranch_execz .LBB300_595
; %bb.590:                              ;   in Loop: Header=BB300_338 Depth=1
	v_cmp_ne_u16_sdwa s[4:5], v30, s7 src0_sel:BYTE_0 src1_sel:DWORD
	v_bfrev_b32_e32 v14, 1
	s_and_saveexec_b64 s[12:13], s[4:5]
	s_cbranch_execz .LBB300_594
; %bb.591:                              ;   in Loop: Header=BB300_338 Depth=1
	v_and_b32_e32 v0, 0x7f, v30
	v_cmp_ne_u32_e64 s[4:5], s15, v0
	v_mov_b32_e32 v14, 0x7fc02000
	s_and_saveexec_b64 s[28:29], s[4:5]
	s_cbranch_execz .LBB300_593
; %bb.592:                              ;   in Loop: Header=BB300_338 Depth=1
	v_and_b32_e32 v13, 7, v30
	v_ffbh_u32_e32 v13, v13
	v_min_u32_e32 v13, 32, v13
	v_subrev_u32_e32 v14, 28, v13
	v_cmp_gt_u32_e64 s[4:5], 8, v0
	v_lshrrev_b32_e32 v22, 3, v0
	v_sub_u32_e32 v13, 29, v13
	v_cndmask_b32_e64 v0, 0, v14, s[4:5]
	v_lshlrev_b64 v[14:15], v0, v[30:31]
	v_cndmask_b32_e64 v0, v22, v13, s[4:5]
	v_lshlrev_b32_e32 v13, 7, v14
	v_lshlrev_b32_e32 v14, 8, v30
	v_lshl_add_u32 v0, v0, 10, v51
	v_and_or_b32 v0, v14, s30, v0
	v_and_or_b32 v0, v13, s31, v0
	v_cvt_f32_f16_e32 v14, v0
.LBB300_593:                            ;   in Loop: Header=BB300_338 Depth=1
	s_or_b64 exec, exec, s[28:29]
.LBB300_594:                            ;   in Loop: Header=BB300_338 Depth=1
	s_or_b64 exec, exec, s[12:13]
.LBB300_595:                            ;   in Loop: Header=BB300_338 Depth=1
	s_or_b64 exec, exec, s[10:11]
	v_lshrrev_b16_e32 v0, 8, v30
	v_cmp_ne_u16_e64 s[4:5], 0, v0
	s_and_saveexec_b64 s[10:11], s[4:5]
	s_cbranch_execz .LBB300_601
; %bb.596:                              ;   in Loop: Header=BB300_338 Depth=1
	v_cmp_ne_u16_e64 s[4:5], s7, v0
	v_bfrev_b32_e32 v24, 1
	s_and_saveexec_b64 s[12:13], s[4:5]
	s_cbranch_execz .LBB300_600
; %bb.597:                              ;   in Loop: Header=BB300_338 Depth=1
	v_and_b32_e32 v13, 0x7f, v0
	v_cmp_ne_u32_e64 s[4:5], s15, v13
	v_mov_b32_e32 v24, 0x7fc02000
	s_and_saveexec_b64 s[28:29], s[4:5]
	s_cbranch_execz .LBB300_599
; %bb.598:                              ;   in Loop: Header=BB300_338 Depth=1
	v_and_b32_e32 v15, 7, v0
	v_ffbh_u32_e32 v23, v15
	v_min_u32_e32 v23, 32, v23
	v_lshrrev_b32_e32 v22, 3, v13
	v_subrev_u32_e32 v24, 28, v23
	v_sub_u32_e32 v23, 29, v23
	v_cmp_gt_u32_e64 s[4:5], 8, v13
	v_lshlrev_b64 v[24:25], v24, v[0:1]
	v_cndmask_b32_e64 v13, v22, v23, s[4:5]
	v_and_b32_e32 v24, 7, v24
	v_lshlrev_b32_e32 v0, 8, v0
	v_lshl_add_u32 v13, v13, 10, v51
	v_cndmask_b32_e64 v15, v15, v24, s[4:5]
	v_and_or_b32 v0, v0, s30, v13
	v_lshl_or_b32 v0, v15, 7, v0
	v_cvt_f32_f16_e32 v24, v0
.LBB300_599:                            ;   in Loop: Header=BB300_338 Depth=1
	s_or_b64 exec, exec, s[28:29]
.LBB300_600:                            ;   in Loop: Header=BB300_338 Depth=1
	s_or_b64 exec, exec, s[12:13]
.LBB300_601:                            ;   in Loop: Header=BB300_338 Depth=1
	s_or_b64 exec, exec, s[10:11]
	v_lshrrev_b32_e32 v0, 16, v30
	v_cmp_ne_u16_sdwa s[4:5], v0, v1 src0_sel:BYTE_0 src1_sel:DWORD
	v_mov_b32_e32 v25, 0
	v_mov_b32_e32 v15, 0
	s_and_saveexec_b64 s[10:11], s[4:5]
	s_cbranch_execz .LBB300_607
; %bb.602:                              ;   in Loop: Header=BB300_338 Depth=1
	v_cmp_ne_u16_sdwa s[4:5], v0, s7 src0_sel:BYTE_0 src1_sel:DWORD
	v_bfrev_b32_e32 v15, 1
	s_and_saveexec_b64 s[12:13], s[4:5]
	s_cbranch_execz .LBB300_606
; %bb.603:                              ;   in Loop: Header=BB300_338 Depth=1
	v_bfe_u32 v13, v30, 16, 7
	v_cmp_ne_u32_e64 s[4:5], s15, v13
	v_mov_b32_e32 v15, 0x7fc02000
	s_and_saveexec_b64 s[28:29], s[4:5]
	s_cbranch_execz .LBB300_605
; %bb.604:                              ;   in Loop: Header=BB300_338 Depth=1
	v_and_b32_e32 v15, 7, v0
	v_ffbh_u32_e32 v23, v15
	v_min_u32_e32 v23, 32, v23
	v_lshrrev_b32_e32 v22, 3, v13
	v_subrev_u32_e32 v26, 28, v23
	v_sub_u32_e32 v23, 29, v23
	v_cmp_gt_u32_e64 s[4:5], 8, v13
	v_lshlrev_b64 v[26:27], v26, v[0:1]
	v_cndmask_b32_e64 v13, v22, v23, s[4:5]
	v_and_b32_e32 v26, 7, v26
	v_lshlrev_b32_e32 v0, 8, v0
	v_lshl_add_u32 v13, v13, 10, v51
	v_cndmask_b32_e64 v15, v15, v26, s[4:5]
	v_and_or_b32 v0, v0, s30, v13
	v_lshl_or_b32 v0, v15, 7, v0
	v_cvt_f32_f16_e32 v15, v0
.LBB300_605:                            ;   in Loop: Header=BB300_338 Depth=1
	s_or_b64 exec, exec, s[28:29]
.LBB300_606:                            ;   in Loop: Header=BB300_338 Depth=1
	s_or_b64 exec, exec, s[12:13]
.LBB300_607:                            ;   in Loop: Header=BB300_338 Depth=1
	s_or_b64 exec, exec, s[10:11]
	v_cmp_lt_u32_e64 s[4:5], s25, v30
	s_and_saveexec_b64 s[10:11], s[4:5]
	s_cbranch_execz .LBB300_613
; %bb.608:                              ;   in Loop: Header=BB300_338 Depth=1
	v_lshrrev_b32_e32 v0, 24, v30
	v_cmp_ne_u32_e64 s[4:5], s7, v0
	v_bfrev_b32_e32 v25, 1
	s_and_saveexec_b64 s[12:13], s[4:5]
	s_cbranch_execz .LBB300_612
; %bb.609:                              ;   in Loop: Header=BB300_338 Depth=1
	v_and_b32_e32 v13, 0x7f, v0
	v_cmp_ne_u32_e64 s[4:5], s15, v13
	v_mov_b32_e32 v25, 0x7fc02000
	s_and_saveexec_b64 s[28:29], s[4:5]
	s_cbranch_execz .LBB300_611
; %bb.610:                              ;   in Loop: Header=BB300_338 Depth=1
	v_and_b32_e32 v22, 7, v0
	v_ffbh_u32_e32 v25, v22
	v_min_u32_e32 v25, 32, v25
	v_lshrrev_b32_e32 v23, 3, v13
	v_subrev_u32_e32 v26, 28, v25
	v_sub_u32_e32 v25, 29, v25
	v_cmp_gt_u32_e64 s[4:5], 8, v13
	v_lshlrev_b64 v[26:27], v26, v[0:1]
	v_cndmask_b32_e64 v13, v23, v25, s[4:5]
	v_and_b32_e32 v26, 7, v26
	v_lshlrev_b32_e32 v0, 8, v0
	v_lshl_add_u32 v13, v13, 10, v51
	v_cndmask_b32_e64 v22, v22, v26, s[4:5]
	v_and_or_b32 v0, v0, s30, v13
	v_lshl_or_b32 v0, v22, 7, v0
	v_cvt_f32_f16_e32 v25, v0
.LBB300_611:                            ;   in Loop: Header=BB300_338 Depth=1
	s_or_b64 exec, exec, s[28:29]
.LBB300_612:                            ;   in Loop: Header=BB300_338 Depth=1
	s_or_b64 exec, exec, s[12:13]
.LBB300_613:                            ;   in Loop: Header=BB300_338 Depth=1
	s_or_b64 exec, exec, s[10:11]
	v_mov_b32_e32 v0, v31
	v_cmp_ne_u16_sdwa s[4:5], v31, v1 src0_sel:BYTE_0 src1_sel:DWORD
	v_mov_b32_e32 v22, 0
	v_mov_b32_e32 v13, 0
	s_and_saveexec_b64 s[10:11], s[4:5]
	s_cbranch_execz .LBB300_619
; %bb.614:                              ;   in Loop: Header=BB300_338 Depth=1
	v_cmp_ne_u16_sdwa s[4:5], v31, s7 src0_sel:BYTE_0 src1_sel:DWORD
	v_bfrev_b32_e32 v13, 1
	s_and_saveexec_b64 s[12:13], s[4:5]
	s_cbranch_execz .LBB300_618
; %bb.615:                              ;   in Loop: Header=BB300_338 Depth=1
	v_and_b32_e32 v26, 0x7f, v31
	v_cmp_ne_u32_e64 s[4:5], s15, v26
	v_mov_b32_e32 v13, 0x7fc02000
	s_and_saveexec_b64 s[28:29], s[4:5]
	s_cbranch_execz .LBB300_617
; %bb.616:                              ;   in Loop: Header=BB300_338 Depth=1
	v_and_b32_e32 v13, 7, v31
	v_ffbh_u32_e32 v13, v13
	v_min_u32_e32 v13, 32, v13
	v_subrev_u32_e32 v27, 28, v13
	v_cmp_gt_u32_e64 s[4:5], 8, v26
	v_lshrrev_b32_e32 v23, 3, v26
	v_sub_u32_e32 v13, 29, v13
	v_cndmask_b32_e64 v26, 0, v27, s[4:5]
	v_lshlrev_b64 v[26:27], v26, v[0:1]
	v_cndmask_b32_e64 v13, v23, v13, s[4:5]
	v_lshlrev_b32_e32 v23, 7, v26
	v_lshlrev_b32_e32 v26, 8, v31
	v_lshl_add_u32 v13, v13, 10, v51
	v_and_or_b32 v13, v26, s30, v13
	v_and_or_b32 v13, v23, s31, v13
	v_cvt_f32_f16_e32 v13, v13
.LBB300_617:                            ;   in Loop: Header=BB300_338 Depth=1
	s_or_b64 exec, exec, s[28:29]
.LBB300_618:                            ;   in Loop: Header=BB300_338 Depth=1
	s_or_b64 exec, exec, s[12:13]
.LBB300_619:                            ;   in Loop: Header=BB300_338 Depth=1
	s_or_b64 exec, exec, s[10:11]
	v_lshrrev_b16_e32 v0, 8, v0
	v_cmp_ne_u16_e64 s[4:5], 0, v0
	s_and_saveexec_b64 s[10:11], s[4:5]
	s_cbranch_execz .LBB300_625
; %bb.620:                              ;   in Loop: Header=BB300_338 Depth=1
	v_cmp_ne_u16_e64 s[4:5], s7, v0
	v_bfrev_b32_e32 v22, 1
	s_and_saveexec_b64 s[12:13], s[4:5]
	s_cbranch_execz .LBB300_624
; %bb.621:                              ;   in Loop: Header=BB300_338 Depth=1
	v_and_b32_e32 v26, 0x7f, v0
	v_cmp_ne_u32_e64 s[4:5], s15, v26
	v_mov_b32_e32 v22, 0x7fc02000
	s_and_saveexec_b64 s[28:29], s[4:5]
	s_cbranch_execz .LBB300_623
; %bb.622:                              ;   in Loop: Header=BB300_338 Depth=1
	v_and_b32_e32 v22, 7, v0
	v_ffbh_u32_e32 v27, v22
	v_min_u32_e32 v27, 32, v27
	v_lshrrev_b32_e32 v23, 3, v26
	v_subrev_u32_e32 v28, 28, v27
	v_sub_u32_e32 v27, 29, v27
	v_cmp_gt_u32_e64 s[4:5], 8, v26
	v_lshlrev_b64 v[34:35], v28, v[0:1]
	v_cndmask_b32_e64 v23, v23, v27, s[4:5]
	v_and_b32_e32 v28, 7, v34
	v_lshlrev_b32_e32 v0, 8, v0
	v_lshl_add_u32 v23, v23, 10, v51
	v_cndmask_b32_e64 v22, v22, v28, s[4:5]
	v_and_or_b32 v0, v0, s30, v23
	v_lshl_or_b32 v0, v22, 7, v0
	v_cvt_f32_f16_e32 v22, v0
.LBB300_623:                            ;   in Loop: Header=BB300_338 Depth=1
	s_or_b64 exec, exec, s[28:29]
.LBB300_624:                            ;   in Loop: Header=BB300_338 Depth=1
	s_or_b64 exec, exec, s[12:13]
.LBB300_625:                            ;   in Loop: Header=BB300_338 Depth=1
	s_or_b64 exec, exec, s[10:11]
	v_lshrrev_b32_e32 v0, 16, v31
	v_cmp_ne_u16_sdwa s[4:5], v0, v1 src0_sel:BYTE_0 src1_sel:DWORD
	v_mov_b32_e32 v26, 0
	v_mov_b32_e32 v27, 0
	s_and_saveexec_b64 s[10:11], s[4:5]
	s_cbranch_execz .LBB300_631
; %bb.626:                              ;   in Loop: Header=BB300_338 Depth=1
	v_cmp_ne_u16_sdwa s[4:5], v0, s7 src0_sel:BYTE_0 src1_sel:DWORD
	v_bfrev_b32_e32 v27, 1
	s_and_saveexec_b64 s[12:13], s[4:5]
	s_cbranch_execz .LBB300_630
; %bb.627:                              ;   in Loop: Header=BB300_338 Depth=1
	v_bfe_u32 v34, v31, 16, 7
	v_cmp_ne_u32_e64 s[4:5], s15, v34
	v_mov_b32_e32 v27, 0x7fc02000
	s_and_saveexec_b64 s[28:29], s[4:5]
	s_cbranch_execz .LBB300_629
; %bb.628:                              ;   in Loop: Header=BB300_338 Depth=1
	v_and_b32_e32 v23, 7, v0
	v_ffbh_u32_e32 v28, v23
	v_min_u32_e32 v28, 32, v28
	v_lshrrev_b32_e32 v27, 3, v34
	v_subrev_u32_e32 v32, 28, v28
	v_sub_u32_e32 v28, 29, v28
	v_cmp_gt_u32_e64 s[4:5], 8, v34
	v_lshlrev_b64 v[38:39], v32, v[0:1]
	v_cndmask_b32_e64 v27, v27, v28, s[4:5]
	v_and_b32_e32 v32, 7, v38
	v_lshlrev_b32_e32 v0, 8, v0
	v_lshl_add_u32 v27, v27, 10, v51
	v_cndmask_b32_e64 v23, v23, v32, s[4:5]
	v_and_or_b32 v0, v0, s30, v27
	v_lshl_or_b32 v0, v23, 7, v0
	v_cvt_f32_f16_e32 v27, v0
.LBB300_629:                            ;   in Loop: Header=BB300_338 Depth=1
	s_or_b64 exec, exec, s[28:29]
.LBB300_630:                            ;   in Loop: Header=BB300_338 Depth=1
	s_or_b64 exec, exec, s[12:13]
.LBB300_631:                            ;   in Loop: Header=BB300_338 Depth=1
	s_or_b64 exec, exec, s[10:11]
	v_cmp_lt_u64_e64 s[4:5], s[24:25], v[30:31]
	s_and_saveexec_b64 s[10:11], s[4:5]
	s_cbranch_execz .LBB300_637
; %bb.632:                              ;   in Loop: Header=BB300_338 Depth=1
	v_lshrrev_b32_e32 v0, 24, v31
	v_cmp_ne_u32_e64 s[4:5], s7, v0
	v_bfrev_b32_e32 v26, 1
	s_and_saveexec_b64 s[12:13], s[4:5]
	s_cbranch_execz .LBB300_636
; %bb.633:                              ;   in Loop: Header=BB300_338 Depth=1
	v_and_b32_e32 v30, 0x7f, v0
	v_cmp_ne_u32_e64 s[4:5], s15, v30
	v_mov_b32_e32 v26, 0x7fc02000
	s_and_saveexec_b64 s[28:29], s[4:5]
	s_cbranch_execz .LBB300_635
; %bb.634:                              ;   in Loop: Header=BB300_338 Depth=1
	v_and_b32_e32 v23, 7, v0
	v_ffbh_u32_e32 v28, v23
	v_min_u32_e32 v28, 32, v28
	v_lshrrev_b32_e32 v26, 3, v30
	v_subrev_u32_e32 v31, 28, v28
	v_sub_u32_e32 v28, 29, v28
	v_cmp_gt_u32_e64 s[4:5], 8, v30
	v_lshlrev_b64 v[34:35], v31, v[0:1]
	v_cndmask_b32_e64 v26, v26, v28, s[4:5]
	v_and_b32_e32 v31, 7, v34
	v_lshlrev_b32_e32 v0, 8, v0
	v_lshl_add_u32 v26, v26, 10, v51
	v_cndmask_b32_e64 v23, v23, v31, s[4:5]
	v_and_or_b32 v0, v0, s30, v26
	v_lshl_or_b32 v0, v23, 7, v0
	v_cvt_f32_f16_e32 v26, v0
.LBB300_635:                            ;   in Loop: Header=BB300_338 Depth=1
	s_or_b64 exec, exec, s[28:29]
.LBB300_636:                            ;   in Loop: Header=BB300_338 Depth=1
	s_or_b64 exec, exec, s[12:13]
.LBB300_637:                            ;   in Loop: Header=BB300_338 Depth=1
	s_or_b64 exec, exec, s[10:11]
	v_pk_mul_f32 v[14:15], v[12:13], v[14:15] op_sel_hi:[0,1]
	v_cvt_f16_f32_e32 v15, v15
	v_cvt_f16_f32_e32 v14, v14
	v_pk_mul_f32 v[24:25], v[12:13], v[24:25] op_sel_hi:[0,1]
	v_cvt_f16_f32_e32 v0, v25
	v_cvt_f16_f32_e32 v23, v24
	v_pack_b32_f16 v14, v14, v15
	v_fma_mixlo_f16 v15, v12, v22, 0
	v_lshlrev_b32_e32 v15, 16, v15
	v_fma_mixlo_f16 v13, v12, v13, 0
	v_or_b32_sdwa v13, v15, v13 dst_sel:DWORD dst_unused:UNUSED_PAD src0_sel:DWORD src1_sel:WORD_0
	v_fma_mixlo_f16 v15, v12, v27, 0
	v_fma_mixlo_f16 v12, v12, v26, 0
	v_pack_b32_f16 v23, v23, v0
	v_lshlrev_b32_e32 v12, 16, v12
	v_perm_b32 v0, v14, v23, s34
	v_perm_b32 v14, v14, v23, s35
	v_or_b32_sdwa v12, v12, v15 dst_sel:DWORD dst_unused:UNUSED_PAD src0_sel:DWORD src1_sel:WORD_0
	s_and_saveexec_b64 s[4:5], vcc
	s_cbranch_execz .LBB300_336
; %bb.638:                              ;   in Loop: Header=BB300_338 Depth=1
	v_lshrrev_b32_e32 v22, 16, v14
	v_cmp_lt_i32_e32 vcc, v47, v3
	v_accvgpr_read_b32 v24, a8
	v_cndmask_b32_e32 v22, 0, v22, vcc
	v_cmp_lt_i32_e32 vcc, v42, v24
	v_cndmask_b32_e32 v14, 0, v14, vcc
	v_perm_b32 v14, v22, v14, s36
	v_lshrrev_b32_e32 v22, 16, v0
	v_cmp_lt_i32_e32 vcc, v46, v3
	v_cndmask_b32_e32 v22, 0, v22, vcc
	v_cmp_lt_i32_e32 vcc, v45, v24
	v_cndmask_b32_e32 v0, 0, v0, vcc
	v_perm_b32 v0, v22, v0, s36
	v_lshrrev_b32_e32 v22, 16, v13
	v_cmp_lt_i32_e32 vcc, v44, v3
	v_cndmask_b32_e32 v22, 0, v22, vcc
	v_cmp_lt_i32_e32 vcc, v43, v24
	v_cndmask_b32_e32 v13, 0, v13, vcc
	v_lshrrev_b32_e32 v12, 16, v12
	v_cmp_lt_i32_e32 vcc, v54, v3
	v_cndmask_b32_e32 v12, 0, v12, vcc
	v_cmp_lt_i32_e32 vcc, v53, v24
	v_cndmask_b32_e32 v15, 0, v15, vcc
	v_perm_b32 v13, v22, v13, s36
	v_perm_b32 v12, v12, v15, s36
	s_branch .LBB300_336
.LBB300_639:
	s_or_b64 exec, exec, s[26:27]
	v_accvgpr_read_b32 v23, a16
	v_accvgpr_read_b32 v12, a13
.LBB300_640:
	s_or_b64 exec, exec, s[22:23]
	ds_bpermute_b32 v0, v36, v16
	ds_bpermute_b32 v1, v36, v17
	;; [unrolled: 1-line block ×6, first 2 shown]
	s_waitcnt lgkmcnt(0)
	v_pk_add_f32 v[0:1], v[16:17], v[0:1]
	ds_bpermute_b32 v6, v50, v0
	v_pk_add_f32 v[4:5], v[20:21], v[4:5]
	ds_bpermute_b32 v7, v50, v1
	ds_bpermute_b32 v10, v50, v4
	;; [unrolled: 1-line block ×3, first 2 shown]
	v_pk_add_f32 v[2:3], v[18:19], v[2:3]
	ds_bpermute_b32 v8, v50, v2
	ds_bpermute_b32 v9, v50, v3
	s_waitcnt lgkmcnt(0)
	v_pk_add_f32 v[6:7], v[0:1], v[6:7]
	v_pk_add_f32 v[0:1], v[4:5], v[10:11]
	v_accvgpr_read_b32 v11, a2
	v_and_b32_e32 v4, 0x3c3, v11
	v_pk_add_f32 v[2:3], v[2:3], v[8:9]
	v_cmp_eq_u32_e32 vcc, 64, v4
	s_barrier
	s_and_saveexec_b64 s[4:5], vcc
	s_cbranch_execz .LBB300_642
; %bb.641:
	s_load_dword s7, s[20:21], 0x0
	s_waitcnt lgkmcnt(0)
	v_add_u32_e32 v5, s7, v23
	ds_write2_b32 v5, v6, v7 offset1:16
	ds_write2_b32 v5, v2, v3 offset0:32 offset1:48
	ds_write2_b32 v5, v0, v1 offset0:64 offset1:80
.LBB300_642:
	s_or_b64 exec, exec, s[4:5]
	s_waitcnt lgkmcnt(0)
	s_barrier
	v_cmp_gt_u32_e32 vcc, 64, v11
	s_mov_b64 s[4:5], exec
	s_and_b64 s[8:9], s[4:5], vcc
	v_accvgpr_read_b32 v9, a0
	v_accvgpr_read_b32 v10, a1
	s_mov_b64 exec, s[8:9]
	s_cbranch_execz .LBB300_651
; %bb.643:
	v_cmp_eq_u32_e32 vcc, 0, v12
	v_lshrrev_b32_e32 v5, 2, v11
	s_and_saveexec_b64 s[8:9], vcc
	s_cbranch_execnz .LBB300_654
; %bb.644:
	s_or_b64 exec, exec, s[8:9]
	s_and_saveexec_b64 s[8:9], vcc
	s_cbranch_execnz .LBB300_655
.LBB300_645:
	s_or_b64 exec, exec, s[8:9]
	s_and_saveexec_b64 s[8:9], vcc
	s_cbranch_execnz .LBB300_656
.LBB300_646:
	s_or_b64 exec, exec, s[8:9]
	s_and_saveexec_b64 s[8:9], vcc
	s_cbranch_execnz .LBB300_657
.LBB300_647:
	s_or_b64 exec, exec, s[8:9]
	s_and_saveexec_b64 s[8:9], vcc
	s_cbranch_execnz .LBB300_658
.LBB300_648:
	s_or_b64 exec, exec, s[8:9]
	s_and_saveexec_b64 s[8:9], vcc
	s_cbranch_execz .LBB300_650
.LBB300_649:
	s_load_dword s7, s[20:21], 0x0
	s_waitcnt lgkmcnt(0)
	v_lshl_add_u32 v5, v5, 2, s7
	ds_read_b32 v5, v5 offset:320
	s_waitcnt lgkmcnt(0)
	v_add_f32_e32 v1, v1, v5
.LBB300_650:
	s_or_b64 exec, exec, s[8:9]
.LBB300_651:
	s_or_b64 exec, exec, s[4:5]
	v_cmp_eq_u32_e32 vcc, 0, v4
	s_barrier
	s_and_b64 exec, exec, vcc
	s_cbranch_execz .LBB300_653
; %bb.652:
	s_mul_i32 s4, s6, 0x60
	s_mul_i32 s6, s18, s19
	;; [unrolled: 1-line block ×3, first 2 shown]
	s_ashr_i32 s5, s4, 31
	s_ashr_i32 s7, s6, 31
	;; [unrolled: 1-line block ×3, first 2 shown]
	s_lshl_b64 s[4:5], s[4:5], 1
	s_lshl_b64 s[6:7], s[6:7], 1
	;; [unrolled: 1-line block ×3, first 2 shown]
	s_add_u32 s6, s8, s6
	s_addc_u32 s7, s9, s7
	s_add_u32 s4, s6, s4
	s_addc_u32 s5, s7, s5
	v_mov_b32_e32 v4, s5
	v_add_co_u32_e32 v5, vcc, s4, v10
	v_addc_co_u32_e32 v8, vcc, v4, v9, vcc
	v_lshrrev_b32_e32 v4, 1, v11
	v_add_co_u32_e32 v4, vcc, v5, v4
	v_addc_co_u32_e32 v5, vcc, 0, v8, vcc
	;;#ASMSTART
	v_cvt_f16_f32 v6, v6;

	;;#ASMEND
	flat_store_short v[4:5], v6
	;;#ASMSTART
	v_cvt_f16_f32 v6, v7;

	;;#ASMEND
	flat_store_short v[4:5], v6 offset:32
	;;#ASMSTART
	v_cvt_f16_f32 v2, v2;

	;;#ASMEND
	flat_store_short v[4:5], v2 offset:64
	;; [unrolled: 5-line block ×5, first 2 shown]
.LBB300_653:
	s_or_b64 exec, exec, s[16:17]
	buffer_load_dword a47, off, s[0:3], s32 offset:8 ; 4-byte Folded Reload
	buffer_load_dword a46, off, s[0:3], s32 offset:12 ; 4-byte Folded Reload
	;; [unrolled: 1-line block ×31, first 2 shown]
	v_readlane_b32 s30, v63, 9
	v_readlane_b32 s31, v63, 10
	;; [unrolled: 1-line block ×11, first 2 shown]
	s_or_saveexec_b64 s[4:5], -1
	buffer_load_dword v63, off, s[0:3], s32 offset:140 ; 4-byte Folded Reload
	s_mov_b64 exec, s[4:5]
	s_waitcnt vmcnt(0) lgkmcnt(0)
	s_setpc_b64 s[30:31]
.LBB300_654:
	s_load_dword s7, s[20:21], 0x0
	s_waitcnt lgkmcnt(0)
	v_lshl_add_u32 v8, v5, 2, s7
	ds_read_b32 v8, v8
	s_waitcnt lgkmcnt(0)
	v_add_f32_e32 v6, v6, v8
	s_or_b64 exec, exec, s[8:9]
	s_and_saveexec_b64 s[8:9], vcc
	s_cbranch_execz .LBB300_645
.LBB300_655:
	s_load_dword s7, s[20:21], 0x0
	s_waitcnt lgkmcnt(0)
	v_lshl_add_u32 v8, v5, 2, s7
	ds_read_b32 v8, v8 offset:64
	s_waitcnt lgkmcnt(0)
	v_add_f32_e32 v7, v7, v8
	s_or_b64 exec, exec, s[8:9]
	s_and_saveexec_b64 s[8:9], vcc
	s_cbranch_execz .LBB300_646
.LBB300_656:
	s_load_dword s7, s[20:21], 0x0
	s_waitcnt lgkmcnt(0)
	v_lshl_add_u32 v8, v5, 2, s7
	ds_read_b32 v8, v8 offset:128
	s_waitcnt lgkmcnt(0)
	v_add_f32_e32 v2, v2, v8
	s_or_b64 exec, exec, s[8:9]
	s_and_saveexec_b64 s[8:9], vcc
	s_cbranch_execz .LBB300_647
.LBB300_657:
	s_load_dword s7, s[20:21], 0x0
	s_waitcnt lgkmcnt(0)
	v_lshl_add_u32 v8, v5, 2, s7
	ds_read_b32 v8, v8 offset:192
	s_waitcnt lgkmcnt(0)
	v_add_f32_e32 v3, v3, v8
	s_or_b64 exec, exec, s[8:9]
	s_and_saveexec_b64 s[8:9], vcc
	s_cbranch_execz .LBB300_648
.LBB300_658:
	s_load_dword s7, s[20:21], 0x0
	s_waitcnt lgkmcnt(0)
	v_lshl_add_u32 v8, v5, 2, s7
	ds_read_b32 v8, v8 offset:256
	s_waitcnt lgkmcnt(0)
	v_add_f32_e32 v0, v0, v8
	s_or_b64 exec, exec, s[8:9]
	s_and_saveexec_b64 s[8:9], vcc
	s_cbranch_execnz .LBB300_649
	s_branch .LBB300_650
.Lfunc_end300:
	.size	_ZN4vllm22paged_attention_kernelIthLi96ELi32ELi128ELNS_18Fp8KVCacheDataTypeE1ELb1ELi512EEEvPfS2_PT_PKS3_PKT0_S9_ifPKiSB_iPKfiiiSD_SD_iiiii, .Lfunc_end300-_ZN4vllm22paged_attention_kernelIthLi96ELi32ELi128ELNS_18Fp8KVCacheDataTypeE1ELb1ELi512EEEvPfS2_PT_PKS3_PKT0_S9_ifPKiSB_iPKfiiiSD_SD_iiiii
                                        ; -- End function
	.section	.AMDGPU.csdata,"",@progbits
; Function info:
; codeLenInByte = 29204
; NumSgprs: 47
; NumVgprs: 64
; NumAgprs: 48
; TotalNumVgprs: 112
; ScratchSize: 148
; MemoryBound: 0
	.section	.text._ZN4vllm25paged_attention_v2_kernelIthLi96ELi32ELi128ELNS_18Fp8KVCacheDataTypeE1ELb1ELi512EEEvPfS2_PT_PKS3_PKT0_S9_ifPKiSB_iPKfiiiSD_SD_iiiii,"axG",@progbits,_ZN4vllm25paged_attention_v2_kernelIthLi96ELi32ELi128ELNS_18Fp8KVCacheDataTypeE1ELb1ELi512EEEvPfS2_PT_PKS3_PKT0_S9_ifPKiSB_iPKfiiiSD_SD_iiiii,comdat
	.protected	_ZN4vllm25paged_attention_v2_kernelIthLi96ELi32ELi128ELNS_18Fp8KVCacheDataTypeE1ELb1ELi512EEEvPfS2_PT_PKS3_PKT0_S9_ifPKiSB_iPKfiiiSD_SD_iiiii ; -- Begin function _ZN4vllm25paged_attention_v2_kernelIthLi96ELi32ELi128ELNS_18Fp8KVCacheDataTypeE1ELb1ELi512EEEvPfS2_PT_PKS3_PKT0_S9_ifPKiSB_iPKfiiiSD_SD_iiiii
	.globl	_ZN4vllm25paged_attention_v2_kernelIthLi96ELi32ELi128ELNS_18Fp8KVCacheDataTypeE1ELb1ELi512EEEvPfS2_PT_PKS3_PKT0_S9_ifPKiSB_iPKfiiiSD_SD_iiiii
	.p2align	8
	.type	_ZN4vllm25paged_attention_v2_kernelIthLi96ELi32ELi128ELNS_18Fp8KVCacheDataTypeE1ELb1ELi512EEEvPfS2_PT_PKS3_PKT0_S9_ifPKiSB_iPKfiiiSD_SD_iiiii,@function
_ZN4vllm25paged_attention_v2_kernelIthLi96ELi32ELi128ELNS_18Fp8KVCacheDataTypeE1ELb1ELi512EEEvPfS2_PT_PKS3_PKT0_S9_ifPKiSB_iPKfiiiSD_SD_iiiii: ; @_ZN4vllm25paged_attention_v2_kernelIthLi96ELi32ELi128ELNS_18Fp8KVCacheDataTypeE1ELb1ELi512EEEvPfS2_PT_PKS3_PKT0_S9_ifPKiSB_iPKfiiiSD_SD_iiiii
; %bb.0:
	s_add_u32 flat_scratch_lo, s6, s11
	s_addc_u32 flat_scratch_hi, s7, 0
	s_add_u32 s0, s0, s11
	s_mov_b32 s12, s8
	s_load_dwordx8 s[24:31], s[4:5], 0x0
	s_load_dwordx8 s[16:23], s[4:5], 0x20
	s_load_dwordx2 s[6:7], s[4:5], 0x40
	s_load_dwordx4 s[44:47], s[4:5], 0x78
	s_load_dwordx2 s[34:35], s[4:5], 0x50
	s_load_dword s11, s[4:5], 0x48
	s_load_dword s8, s[4:5], 0x88
	s_load_dwordx8 s[36:43], s[4:5], 0x58
	s_mov_b32 s32, 0
	s_addc_u32 s1, s1, 0
	s_waitcnt lgkmcnt(0)
	v_mov_b32_e32 v1, s47
	buffer_store_dword v1, off, s[0:3], s32
	v_mov_b32_e32 v1, s8
	s_add_u32 s8, s4, 0x90
	s_mov_b32 s13, s9
	buffer_store_dword v1, off, s[0:3], s32 offset:4
	s_addc_u32 s9, s5, 0
	s_mov_b32 s14, s10
	s_mov_b32 s15, 55
	v_mov_b32_e32 v31, v0
	v_mov_b32_e32 v0, s24
	;; [unrolled: 1-line block ×32, first 2 shown]
	s_getpc_b64 s[4:5]
	s_add_u32 s4, s4, _ZN4vllm22paged_attention_kernelIthLi96ELi32ELi128ELNS_18Fp8KVCacheDataTypeE1ELb1ELi512EEEvPfS2_PT_PKS3_PKT0_S9_ifPKiSB_iPKfiiiSD_SD_iiiii@rel32@lo+4
	s_addc_u32 s5, s5, _ZN4vllm22paged_attention_kernelIthLi96ELi32ELi128ELNS_18Fp8KVCacheDataTypeE1ELb1ELi512EEEvPfS2_PT_PKS3_PKT0_S9_ifPKiSB_iPKfiiiSD_SD_iiiii@rel32@hi+12
	s_swappc_b64 s[30:31], s[4:5]
	s_endpgm
	.section	.rodata,"a",@progbits
	.p2align	6, 0x0
	.amdhsa_kernel _ZN4vllm25paged_attention_v2_kernelIthLi96ELi32ELi128ELNS_18Fp8KVCacheDataTypeE1ELb1ELi512EEEvPfS2_PT_PKS3_PKT0_S9_ifPKiSB_iPKfiiiSD_SD_iiiii
		.amdhsa_group_segment_fixed_size 208
		.amdhsa_private_segment_fixed_size 148
		.amdhsa_kernarg_size 400
		.amdhsa_user_sgpr_count 8
		.amdhsa_user_sgpr_private_segment_buffer 1
		.amdhsa_user_sgpr_dispatch_ptr 0
		.amdhsa_user_sgpr_queue_ptr 0
		.amdhsa_user_sgpr_kernarg_segment_ptr 1
		.amdhsa_user_sgpr_dispatch_id 0
		.amdhsa_user_sgpr_flat_scratch_init 1
		.amdhsa_user_sgpr_kernarg_preload_length 0
		.amdhsa_user_sgpr_kernarg_preload_offset 0
		.amdhsa_user_sgpr_private_segment_size 0
		.amdhsa_uses_dynamic_stack 0
		.amdhsa_system_sgpr_private_segment_wavefront_offset 1
		.amdhsa_system_sgpr_workgroup_id_x 1
		.amdhsa_system_sgpr_workgroup_id_y 1
		.amdhsa_system_sgpr_workgroup_id_z 1
		.amdhsa_system_sgpr_workgroup_info 0
		.amdhsa_system_vgpr_workitem_id 0
		.amdhsa_next_free_vgpr 112
		.amdhsa_next_free_sgpr 48
		.amdhsa_accum_offset 64
		.amdhsa_reserve_vcc 1
		.amdhsa_reserve_flat_scratch 1
		.amdhsa_float_round_mode_32 0
		.amdhsa_float_round_mode_16_64 0
		.amdhsa_float_denorm_mode_32 3
		.amdhsa_float_denorm_mode_16_64 3
		.amdhsa_dx10_clamp 1
		.amdhsa_ieee_mode 1
		.amdhsa_fp16_overflow 0
		.amdhsa_tg_split 0
		.amdhsa_exception_fp_ieee_invalid_op 0
		.amdhsa_exception_fp_denorm_src 0
		.amdhsa_exception_fp_ieee_div_zero 0
		.amdhsa_exception_fp_ieee_overflow 0
		.amdhsa_exception_fp_ieee_underflow 0
		.amdhsa_exception_fp_ieee_inexact 0
		.amdhsa_exception_int_div_zero 0
	.end_amdhsa_kernel
	.section	.text._ZN4vllm25paged_attention_v2_kernelIthLi96ELi32ELi128ELNS_18Fp8KVCacheDataTypeE1ELb1ELi512EEEvPfS2_PT_PKS3_PKT0_S9_ifPKiSB_iPKfiiiSD_SD_iiiii,"axG",@progbits,_ZN4vllm25paged_attention_v2_kernelIthLi96ELi32ELi128ELNS_18Fp8KVCacheDataTypeE1ELb1ELi512EEEvPfS2_PT_PKS3_PKT0_S9_ifPKiSB_iPKfiiiSD_SD_iiiii,comdat
.Lfunc_end301:
	.size	_ZN4vllm25paged_attention_v2_kernelIthLi96ELi32ELi128ELNS_18Fp8KVCacheDataTypeE1ELb1ELi512EEEvPfS2_PT_PKS3_PKT0_S9_ifPKiSB_iPKfiiiSD_SD_iiiii, .Lfunc_end301-_ZN4vllm25paged_attention_v2_kernelIthLi96ELi32ELi128ELNS_18Fp8KVCacheDataTypeE1ELb1ELi512EEEvPfS2_PT_PKS3_PKT0_S9_ifPKiSB_iPKfiiiSD_SD_iiiii
                                        ; -- End function
	.section	.AMDGPU.csdata,"",@progbits
; Kernel info:
; codeLenInByte = 296
; NumSgprs: 54
; NumVgprs: 64
; NumAgprs: 48
; TotalNumVgprs: 112
; ScratchSize: 148
; MemoryBound: 0
; FloatMode: 240
; IeeeMode: 1
; LDSByteSize: 208 bytes/workgroup (compile time only)
; SGPRBlocks: 6
; VGPRBlocks: 13
; NumSGPRsForWavesPerEU: 54
; NumVGPRsForWavesPerEU: 112
; AccumOffset: 64
; Occupancy: 4
; WaveLimiterHint : 1
; COMPUTE_PGM_RSRC2:SCRATCH_EN: 1
; COMPUTE_PGM_RSRC2:USER_SGPR: 8
; COMPUTE_PGM_RSRC2:TRAP_HANDLER: 0
; COMPUTE_PGM_RSRC2:TGID_X_EN: 1
; COMPUTE_PGM_RSRC2:TGID_Y_EN: 1
; COMPUTE_PGM_RSRC2:TGID_Z_EN: 1
; COMPUTE_PGM_RSRC2:TIDIG_COMP_CNT: 0
; COMPUTE_PGM_RSRC3_GFX90A:ACCUM_OFFSET: 15
; COMPUTE_PGM_RSRC3_GFX90A:TG_SPLIT: 0
	.text
	.p2align	2                               ; -- Begin function _ZN4vllm22paged_attention_kernelIthLi112ELi32ELi128ELNS_18Fp8KVCacheDataTypeE1ELb1ELi512EEEvPfS2_PT_PKS3_PKT0_S9_ifPKiSB_iPKfiiiSD_SD_iiiii
	.type	_ZN4vllm22paged_attention_kernelIthLi112ELi32ELi128ELNS_18Fp8KVCacheDataTypeE1ELb1ELi512EEEvPfS2_PT_PKS3_PKT0_S9_ifPKiSB_iPKfiiiSD_SD_iiiii,@function
_ZN4vllm22paged_attention_kernelIthLi112ELi32ELi128ELNS_18Fp8KVCacheDataTypeE1ELb1ELi512EEEvPfS2_PT_PKS3_PKT0_S9_ifPKiSB_iPKfiiiSD_SD_iiiii: ; @_ZN4vllm22paged_attention_kernelIthLi112ELi32ELi128ELNS_18Fp8KVCacheDataTypeE1ELb1ELi512EEEvPfS2_PT_PKS3_PKT0_S9_ifPKiSB_iPKfiiiSD_SD_iiiii
; %bb.0:
	s_waitcnt vmcnt(0) expcnt(0) lgkmcnt(0)
	s_or_saveexec_b64 s[4:5], -1
	buffer_store_dword v63, off, s[0:3], s32 offset:192 ; 4-byte Folded Spill
	s_mov_b64 exec, s[4:5]
	buffer_store_dword v40, off, s[0:3], s32 offset:172 ; 4-byte Folded Spill
	buffer_store_dword v41, off, s[0:3], s32 offset:168 ; 4-byte Folded Spill
	;; [unrolled: 1-line block ×42, first 2 shown]
	v_writelane_b32 v63, s34, 0
	v_writelane_b32 v63, s35, 1
	;; [unrolled: 1-line block ×11, first 2 shown]
	s_mov_b32 s18, s13
	s_ashr_i32 s19, s13, 31
	s_lshl_b64 s[4:5], s[18:19], 2
	v_accvgpr_write_b32 a20, v1
	v_accvgpr_write_b32 a21, v0
	v_mov_b32_e32 v1, s5
	v_add_co_u32_e32 v0, vcc, s4, v16
	v_addc_co_u32_e32 v1, vcc, v17, v1, vcc
	v_accvgpr_write_b32 a23, v2
	flat_load_dword v2, v[0:1]
	s_nop 0
	buffer_load_dword v0, off, s[0:3], s32 offset:4
	buffer_load_dword v1, off, s[0:3], s32
	v_accvgpr_write_b32 a4, v26
	v_accvgpr_write_b32 a33, v25
	s_lshl_b32 s19, s14, 9
	v_accvgpr_write_b32 a34, v30
	v_accvgpr_write_b32 a5, v27
	;; [unrolled: 1-line block ×4, first 2 shown]
	v_mov_b32_e32 v33, v20
	v_mov_b32_e32 v32, v19
	v_accvgpr_write_b32 a16, v15
	v_accvgpr_write_b32 a17, v14
	v_accvgpr_write_b32 a35, v13
	v_accvgpr_write_b32 a18, v11
	v_accvgpr_write_b32 a22, v3
	s_waitcnt vmcnt(0) lgkmcnt(0)
	v_accvgpr_write_b32 a8, v2
	v_cmp_lt_i32_e32 vcc, s19, v2
	s_and_saveexec_b64 s[24:25], vcc
	s_cbranch_execz .LBB302_752
; %bb.1:
	v_sub_u32_e32 v2, 0, v12
	v_max_i32_e32 v2, v12, v2
	v_cvt_f32_u32_e32 v3, v2
	s_load_dword s4, s[8:9], 0x10
	s_load_dword s6, s[8:9], 0x0
	v_accvgpr_write_b32 a0, v5
	v_sub_u32_e32 v5, 0, v2
	v_rcp_iflag_f32_e32 v3, v3
	s_waitcnt lgkmcnt(0)
	s_lshr_b32 s4, s4, 16
	s_cmp_lg_u32 s4, 0
	s_cselect_b64 s[4:5], -1, 0
	v_mul_f32_e32 v3, 0x4f7ffffe, v3
	v_cvt_u32_f32_e32 v3, v3
	s_cmp_lg_u64 s[4:5], 0
	s_mov_b32 s16, s15
	s_addc_u32 s15, s6, 0
	v_mul_lo_u32 v5, v5, v3
	v_mul_hi_u32 v5, v3, v5
	s_abs_i32 s4, s15
	v_add_u32_e32 v3, v3, v5
	v_mul_hi_u32 v3, s4, v3
	v_mul_lo_u32 v5, v3, v2
	v_sub_u32_e32 v5, s4, v5
	v_accvgpr_write_b32 a19, v10
	v_add_u32_e32 v10, 1, v3
	v_cmp_ge_u32_e32 vcc, v5, v2
	v_cndmask_b32_e32 v3, v3, v10, vcc
	v_sub_u32_e32 v10, v5, v2
	v_cndmask_b32_e32 v5, v5, v10, vcc
	v_accvgpr_write_b32 a1, v4
	v_xor_b32_e32 v4, s15, v12
	v_add_u32_e32 v10, 1, v3
	v_cmp_ge_u32_e32 vcc, v5, v2
	v_ashrrev_i32_e32 v4, 31, v4
	v_cndmask_b32_e32 v2, v3, v10, vcc
	v_xor_b32_e32 v2, v2, v4
	v_sub_u32_e32 v2, v2, v4
	v_sub_u32_e32 v3, 0, v2
	v_max_i32_e32 v3, v2, v3
	v_cvt_f32_u32_e32 v4, v3
	v_sub_u32_e32 v5, 0, v3
	s_abs_i32 s6, s12
	v_cmp_ne_u64_e32 vcc, 0, v[32:33]
	v_rcp_iflag_f32_e32 v4, v4
	v_mul_f32_e32 v4, 0x4f7ffffe, v4
	v_cvt_u32_f32_e32 v4, v4
	v_mul_lo_u32 v5, v5, v4
	v_mul_hi_u32 v5, v4, v5
	v_add_u32_e32 v4, v4, v5
	v_mad_u64_u32 v[34:35], s[4:5], s6, v4, 0
	v_mov_b32_e32 v4, 0
	buffer_store_dword v4, off, s[0:3], s32 offset:188 ; 4-byte Folded Spill
	s_and_saveexec_b64 s[4:5], vcc
	s_cbranch_execz .LBB302_3
; %bb.2:
	s_ashr_i32 s13, s12, 31
	s_lshl_b64 s[10:11], s[12:13], 2
	v_mov_b32_e32 v5, s11
	v_add_co_u32_e32 v4, vcc, s10, v32
	v_addc_co_u32_e32 v5, vcc, v33, v5, vcc
	flat_load_dword v4, v[4:5]
	s_waitcnt vmcnt(0) lgkmcnt(0)
	buffer_store_dword v4, off, s[0:3], s32 offset:188 ; 4-byte Folded Spill
.LBB302_3:
	s_or_b64 exec, exec, s[4:5]
	v_and_b32_e32 v5, 0x3ff, v31
	v_ashrrev_i32_e32 v4, 31, v2
	v_and_b32_e32 v2, 1, v5
	v_cmp_gt_u32_e32 vcc, 28, v5
	v_accvgpr_write_b32 a2, v5
	v_lshlrev_b32_e32 v5, 3, v5
	s_ashr_i32 s7, s12, 31
	s_movk_i32 s10, 0x70
	s_mul_i32 s26, s12, 0x70
	v_accvgpr_write_b32 a24, v5
	s_and_saveexec_b64 s[4:5], vcc
	s_cbranch_execz .LBB302_5
; %bb.4:
	v_mul_lo_u32 v10, s18, v21
	v_ashrrev_i32_e32 v11, 31, v10
	v_lshlrev_b64 v[10:11], 1, v[10:11]
	v_add_co_u32_e32 v5, vcc, v6, v10
	s_ashr_i32 s27, s26, 31
	v_addc_co_u32_e32 v6, vcc, v7, v11, vcc
	s_lshl_b64 s[20:21], s[26:27], 1
	v_mov_b32_e32 v7, s21
	v_add_co_u32_e32 v5, vcc, s20, v5
	v_addc_co_u32_e32 v7, vcc, v6, v7, vcc
	v_accvgpr_read_b32 v6, a24
	v_add_co_u32_e32 v6, vcc, v5, v6
	v_addc_co_u32_e32 v7, vcc, 0, v7, vcc
	flat_load_dwordx2 v[6:7], v[6:7]
	v_accvgpr_read_b32 v5, a2
	v_lshlrev_b32_e32 v5, 2, v5
	v_and_b32_e32 v5, 0xff8, v5
	v_mad_u32_u24 v5, v2, s10, v5
	s_waitcnt vmcnt(0) lgkmcnt(0)
	ds_write_b64 v5, v[6:7]
.LBB302_5:
	s_or_b64 exec, exec, s[4:5]
	v_mul_lo_u32 v5, v35, v3
	v_sub_u32_e32 v5, s6, v5
	v_add_u32_e32 v6, 1, v35
	v_cmp_ge_u32_e32 vcc, v5, v3
	v_sub_u32_e32 v7, v5, v3
	v_cndmask_b32_e32 v6, v35, v6, vcc
	v_cndmask_b32_e32 v5, v5, v7, vcc
	v_add_u32_e32 v7, 1, v6
	v_cmp_ge_u32_e32 vcc, v5, v3
	v_sub_u32_e32 v5, 0, v1
	v_cndmask_b32_e32 v3, v6, v7, vcc
	v_max_i32_e32 v6, v1, v5
	v_cvt_f32_u32_e32 v5, v6
	v_xor_b32_e32 v4, s7, v4
	v_xor_b32_e32 v3, v3, v4
	v_sub_u32_e32 v20, v3, v4
	v_rcp_iflag_f32_e32 v3, v5
	v_accvgpr_read_b32 v4, a8
	v_accvgpr_write_b32 a3, v6
	v_sub_u32_e32 v6, 0, v6
	v_mul_f32_e32 v3, 0x4f7ffffe, v3
	v_cvt_u32_f32_e32 v5, v3
	v_add_u32_e32 v4, -1, v4
	v_sub_u32_e32 v3, 0, v4
	v_max_i32_e32 v3, v4, v3
	v_mul_lo_u32 v6, v6, v5
	v_mul_hi_u32 v6, v5, v6
	v_add_u32_e32 v5, v5, v6
	v_accvgpr_write_b32 a7, v5
	v_mad_u64_u32 v[32:33], s[4:5], v3, v5, 0
	v_cmp_gt_i32_e32 vcc, 0, v0
	s_waitcnt lgkmcnt(0)
	s_barrier
	s_waitcnt lgkmcnt(0)
                                        ; implicit-def: $agpr10
	s_and_saveexec_b64 s[4:5], vcc
	s_xor_b64 s[4:5], exec, s[4:5]
; %bb.6:
	v_mad_u64_u32 v[6:7], s[6:7], v28, v12, v[20:21]
	v_mul_lo_u32 v0, v6, v0
	v_sub_u32_e32 v0, 1, v0
	v_accvgpr_write_b32 a10, v0
                                        ; implicit-def: $vgpr28
                                        ; implicit-def: $vgpr0
; %bb.7:
	s_or_saveexec_b64 s[4:5], s[4:5]
	v_ashrrev_i32_e32 v1, 31, v1
	v_ashrrev_i32_e32 v4, 31, v4
	v_accvgpr_write_b32 a9, v1
	s_xor_b64 exec, exec, s[4:5]
; %bb.8:
	v_mul_lo_u32 v1, s15, v28
	v_add_u32_e32 v1, s12, v1
	v_mad_u64_u32 v[0:1], s[6:7], v1, v0, 1
	v_accvgpr_write_b32 a10, v0
; %bb.9:
	s_or_b64 exec, exec, s[4:5]
	v_accvgpr_read_b32 v5, a9
	v_accvgpr_read_b32 v7, a3
	v_xor_b32_e32 v4, v4, v5
	v_mul_lo_u32 v5, v33, v7
	v_sub_u32_e32 v3, v3, v5
	v_add_u32_e32 v5, 1, v33
	v_cmp_ge_u32_e32 vcc, v3, v7
	v_sub_u32_e32 v6, v3, v7
	v_cndmask_b32_e32 v5, v33, v5, vcc
	v_cndmask_b32_e32 v3, v3, v6, vcc
	v_add_u32_e32 v6, 1, v5
	v_cmp_ge_u32_e32 vcc, v3, v7
	v_cndmask_b32_e32 v3, v5, v6, vcc
	v_xor_b32_e32 v3, v3, v4
	v_sub_u32_e32 v3, v3, v4
	v_accvgpr_read_b32 v4, a8
	v_add_u32_e32 v4, 31, v4
	v_ashrrev_i32_e32 v5, 31, v4
	v_lshrrev_b32_e32 v5, 27, v5
	v_add_u32_e32 v4, v4, v5
	s_lshl_b32 s27, s14, 4
	v_ashrrev_i32_e32 v4, 5, v4
	s_add_i32 s4, s27, 16
	v_accvgpr_write_b32 a28, v4
	v_min_i32_e32 v5, s4, v4
	v_accvgpr_read_b32 v4, a2
	v_sub_u32_e32 v3, v3, v29
	s_load_dword s38, s[8:9], 0x14
	s_load_dword s13, s[8:9], 0x8
	v_mul_lo_u32 v0, s18, v18
	v_lshrrev_b32_e32 v6, 6, v4
	v_accvgpr_write_b32 a14, v3
	v_mul_lo_u32 v3, v20, v23
	v_ashrrev_i32_e32 v1, 31, v0
	v_or_b32_e32 v4, s27, v6
	v_accvgpr_write_b32 a29, v3
	v_ashrrev_i32_e32 v3, 31, v3
	v_accvgpr_write_b32 a11, v5
	v_cmp_lt_i32_e64 s[4:5], v4, v5
	v_ashrrev_i32_e32 v5, 31, v4
	v_accvgpr_write_b32 a30, v3
	v_accvgpr_read_b32 v3, a34
	v_lshlrev_b64 v[0:1], 2, v[0:1]
	v_accvgpr_write_b32 a13, v5
	v_sub_u32_e32 v3, 0, v3
	v_accvgpr_write_b32 a27, v1
	v_mov_b32_e32 v7, 0xff7fffff
	v_accvgpr_write_b32 a12, v4
	v_accvgpr_write_b32 a31, v3
	;; [unrolled: 1-line block ×4, first 2 shown]
	v_lshl_add_u32 v0, v6, 5, s19
	v_mbcnt_lo_u32_b32 v6, -1, 0
	s_mov_b64 s[20:21], exec
	s_and_b64 s[6:7], s[20:21], s[4:5]
	v_accvgpr_write_b32 a15, v0
	s_mov_b64 exec, s[6:7]
	s_cbranch_execz .LBB302_355
; %bb.10:
	v_accvgpr_read_b32 v0, a2
	v_bfe_u32 v7, v0, 1, 5
	v_accvgpr_read_b32 v0, a29
	v_add_co_u32_e64 v0, s[6:7], v8, v0
	v_accvgpr_read_b32 v1, a30
	v_addc_co_u32_e64 v1, s[6:7], v9, v1, s[6:7]
	v_lshlrev_b32_e32 v3, 4, v7
	v_add_co_u32_e64 v0, s[6:7], v0, v3
	v_addc_co_u32_e64 v1, s[6:7], 0, v1, s[6:7]
	v_accvgpr_write_b32 a39, v1
	v_accvgpr_write_b32 a38, v0
	v_lshlrev_b32_e32 v0, 2, v2
	v_accvgpr_write_b32 a40, v0
	v_accvgpr_read_b32 v0, a34
	v_accvgpr_read_b32 v1, a31
	v_max_i32_e32 v3, v0, v1
	v_mul_u32_u24_e32 v1, 0x70, v2
	v_accvgpr_write_b32 a42, v1
	buffer_load_dword v1, off, s[0:3], s32 offset:188 ; 4-byte Folded Reload
	v_cvt_f32_u32_e32 v0, v3
	s_ashr_i32 s17, s16, 31
	v_cmp_eq_u32_e32 vcc, 0, v2
	s_lshl_b64 s[8:9], s[16:17], 2
	v_rcp_iflag_f32_e32 v0, v0
	v_accvgpr_write_b32 a41, v3
	s_getpc_b64 s[10:11]
	s_add_u32 s10, s10, llvm.amdgcn.dynlds.offset.table@rel32@lo+4
	s_addc_u32 s11, s11, llvm.amdgcn.dynlds.offset.table@rel32@hi+12
	s_add_u32 s22, s8, s10
	v_mul_f32_e32 v0, 0x4f7ffffe, v0
	v_cvt_u32_f32_e32 v0, v0
	v_accvgpr_read_b32 v4, a26
	s_addc_u32 s23, s9, s11
	v_accvgpr_read_b32 v5, a27
	s_load_dword s17, s[22:23], 0x0
	v_accvgpr_write_b32 a37, v7
	s_mov_b64 s[28:29], 0
	s_movk_i32 s39, 0x80
	s_movk_i32 s40, 0x7f
	s_mov_b32 s41, 0x8000
	s_mov_b32 s42, 0xffffff
	v_accvgpr_write_b32 a36, v6
	s_waitcnt vmcnt(0)
	v_cmp_neq_f32_e64 s[6:7], 0, v1
	v_sub_u32_e32 v1, 0, v3
	v_mul_lo_u32 v1, v1, v0
	v_mul_hi_u32 v1, v0, v1
	v_accvgpr_read_b32 v2, a12
	v_add_u32_e32 v0, v0, v1
	v_accvgpr_read_b32 v3, a13
	v_accvgpr_write_b32 a44, v0
	v_lshlrev_b64 v[0:1], 2, v[2:3]
	v_add_co_u32_e64 v0, s[8:9], v4, v0
	v_addc_co_u32_e64 v1, s[8:9], v5, v1, s[8:9]
	v_accvgpr_read_b32 v3, a17
	v_add_co_u32_e64 v32, s[8:9], v3, v0
	v_accvgpr_read_b32 v0, a16
	v_addc_co_u32_e64 v33, s[8:9], v0, v1, s[8:9]
	v_accvgpr_read_b32 v1, a25
	v_lshlrev_b32_e32 v0, 2, v7
	v_lshl_or_b32 v0, v1, 7, v0
	v_accvgpr_write_b32 a45, v0
	v_accvgpr_read_b32 v0, a8
	v_sub_u32_e32 v0, v7, v0
	v_add_u32_e32 v0, 1, v0
	v_lshl_add_u32 v3, v1, 5, s19
	v_accvgpr_write_b32 a46, v0
	v_mbcnt_hi_u32_b32 v0, -1, v6
	v_mov_b32_e32 v1, v3
	v_accvgpr_write_b32 a47, v0
	v_mov_b32_e32 v0, 0xff7fffff
	buffer_store_dword v0, off, s[0:3], s32 offset:184 ; 4-byte Folded Spill
	s_branch .LBB302_13
.LBB302_11:                             ;   in Loop: Header=BB302_13 Depth=1
	s_or_b64 exec, exec, s[30:31]
.LBB302_12:                             ;   in Loop: Header=BB302_13 Depth=1
	s_or_b64 exec, exec, s[10:11]
	v_accvgpr_read_b32 v2, a48
	v_add_co_u32_e64 v32, s[8:9], 8, v32
	v_add_u32_e32 v2, 2, v2
	v_addc_co_u32_e64 v33, s[8:9], 0, v33, s[8:9]
	v_accvgpr_read_b32 v0, a11
	v_cmp_ge_i32_e64 s[8:9], v2, v0
	v_accvgpr_read_b32 v0, a45
	s_waitcnt lgkmcnt(0)
	v_accvgpr_read_b32 v1, a43
	v_add_u32_e32 v0, 0x100, v0
	v_add_u32_e32 v1, 64, v1
	s_or_b64 s[28:29], s[8:9], s[28:29]
	v_accvgpr_write_b32 a45, v0
	s_andn2_b64 exec, exec, s[28:29]
	s_cbranch_execz .LBB302_354
.LBB302_13:                             ; =>This Inner Loop Header: Depth=1
	v_accvgpr_write_b32 a48, v2
	v_ashrrev_i32_e32 v0, 31, v1
	v_mov_b32_e32 v2, v1
	v_accvgpr_read_b32 v1, a9
	v_xor_b32_e32 v0, v0, v1
	v_sub_u32_e32 v1, 0, v2
	v_accvgpr_write_b32 a43, v2
	v_max_i32_e32 v1, v2, v1
	v_accvgpr_read_b32 v2, a7
	v_mul_hi_u32 v2, v1, v2
	v_accvgpr_read_b32 v4, a3
	v_mul_lo_u32 v3, v2, v4
	v_sub_u32_e32 v1, v1, v3
	v_add_u32_e32 v3, 1, v2
	v_cmp_ge_u32_e64 s[8:9], v1, v4
	v_cndmask_b32_e64 v2, v2, v3, s[8:9]
	v_sub_u32_e32 v3, v1, v4
	v_cndmask_b32_e64 v1, v1, v3, s[8:9]
	v_add_u32_e32 v3, 1, v2
	v_cmp_ge_u32_e64 s[8:9], v1, v4
	v_cndmask_b32_e64 v1, v2, v3, s[8:9]
	v_xor_b32_e32 v1, v1, v0
	v_sub_u32_e32 v0, v1, v0
	v_accvgpr_read_b32 v2, a10
	v_add_u32_e32 v1, v0, v2
	v_sub_u32_e32 v3, 0, v1
	v_ashrrev_i32_e32 v2, 31, v1
	v_max_i32_e32 v1, v1, v3
	v_accvgpr_read_b32 v4, a44
	v_mul_hi_u32 v3, v1, v4
	v_accvgpr_read_b32 v4, a41
	v_mul_lo_u32 v3, v3, v4
	v_sub_u32_e32 v1, v1, v3
	v_sub_u32_e32 v3, v1, v4
	v_cmp_ge_u32_e64 s[8:9], v1, v4
	v_cndmask_b32_e64 v1, v1, v3, s[8:9]
	v_sub_u32_e32 v3, v1, v4
	v_cmp_ge_u32_e64 s[8:9], v1, v4
	v_cndmask_b32_e64 v1, v1, v3, s[8:9]
	v_xor_b32_e32 v1, v1, v2
	v_sub_u32_e32 v1, v1, v2
	v_cmp_ne_u32_e64 s[8:9], 0, v1
	v_accvgpr_read_b32 v1, a14
	v_cmp_le_i32_e64 s[10:11], v0, v1
	s_and_b64 s[8:9], s[8:9], s[10:11]
	s_and_b64 s[30:31], vcc, s[8:9]
	s_and_saveexec_b64 s[10:11], s[30:31]
	s_cbranch_execz .LBB302_15
; %bb.14:                               ;   in Loop: Header=BB302_13 Depth=1
	v_accvgpr_read_b32 v0, a45
	s_waitcnt lgkmcnt(0)
	v_add_u32_e32 v0, s17, v0
	v_mov_b32_e32 v1, 0xff7fffff
	ds_write_b32 v0, v1
.LBB302_15:                             ;   in Loop: Header=BB302_13 Depth=1
	s_or_b64 exec, exec, s[10:11]
	s_xor_b64 s[8:9], s[8:9], -1
	s_and_saveexec_b64 s[10:11], s[8:9]
	s_cbranch_execz .LBB302_12
; %bb.16:                               ;   in Loop: Header=BB302_13 Depth=1
	flat_load_dword v0, v[32:33]
	v_accvgpr_read_b32 v4, a38
	v_accvgpr_read_b32 v2, a6
	v_accvgpr_read_b32 v5, a39
	v_mov_b32_e32 v23, 0
	s_waitcnt vmcnt(0) lgkmcnt(0)
	v_mad_i64_i32 v[0:1], s[8:9], v0, v2, v[4:5]
	v_accvgpr_read_b32 v2, a40
	v_add_co_u32_e64 v34, s[8:9], v0, v2
	v_addc_co_u32_e64 v35, s[8:9], 0, v1, s[8:9]
	v_accvgpr_read_b32 v0, a32
	flat_load_dword v36, v[34:35]
	v_accvgpr_read_b32 v1, a33
	flat_load_dword v60, v[0:1]
	v_mov_b32_e32 v0, 0
	s_waitcnt vmcnt(0) lgkmcnt(0)
	v_cmp_ne_u16_sdwa s[8:9], v36, v0 src0_sel:BYTE_0 src1_sel:DWORD
	v_mov_b32_e32 v0, 0
	buffer_store_dword v0, off, s[0:3], s32 offset:176 ; 4-byte Folded Spill
	s_and_saveexec_b64 s[30:31], s[8:9]
	s_cbranch_execz .LBB302_22
; %bb.17:                               ;   in Loop: Header=BB302_13 Depth=1
	v_cmp_ne_u16_sdwa s[8:9], v36, s39 src0_sel:BYTE_0 src1_sel:DWORD
	v_bfrev_b32_e32 v0, 1
	buffer_store_dword v0, off, s[0:3], s32 offset:176 ; 4-byte Folded Spill
	s_and_saveexec_b64 s[34:35], s[8:9]
	s_cbranch_execz .LBB302_21
; %bb.18:                               ;   in Loop: Header=BB302_13 Depth=1
	v_and_b32_e32 v0, 0x7f, v36
	v_cmp_ne_u32_e64 s[8:9], s40, v0
	v_mov_b32_e32 v1, 0x7fc02000
	buffer_store_dword v1, off, s[0:3], s32 offset:176 ; 4-byte Folded Spill
	s_and_saveexec_b64 s[36:37], s[8:9]
	s_cbranch_execz .LBB302_20
; %bb.19:                               ;   in Loop: Header=BB302_13 Depth=1
	v_and_b32_e32 v1, 7, v36
	v_ffbh_u32_e32 v2, v1
	v_min_u32_e32 v5, 32, v2
	v_subrev_u32_e32 v2, 28, v5
	v_lshlrev_b64 v[2:3], v2, v[36:37]
	v_lshrrev_b32_e32 v4, 3, v0
	v_sub_u32_e32 v3, 29, v5
	v_cmp_gt_u32_e64 s[8:9], 8, v0
	v_and_b32_e32 v2, 7, v2
	v_cndmask_b32_e64 v0, v4, v3, s[8:9]
	v_mov_b32_e32 v3, 0x2000
	v_cndmask_b32_e64 v1, v1, v2, s[8:9]
	v_lshlrev_b32_e32 v2, 8, v36
	v_lshl_add_u32 v0, v0, 10, v3
	v_and_or_b32 v0, v2, s41, v0
	v_lshl_or_b32 v0, v1, 7, v0
	v_cvt_f32_f16_e32 v0, v0
	buffer_store_dword v0, off, s[0:3], s32 offset:176 ; 4-byte Folded Spill
.LBB302_20:                             ;   in Loop: Header=BB302_13 Depth=1
	s_or_b64 exec, exec, s[36:37]
.LBB302_21:                             ;   in Loop: Header=BB302_13 Depth=1
	s_or_b64 exec, exec, s[34:35]
.LBB302_22:                             ;   in Loop: Header=BB302_13 Depth=1
	s_or_b64 exec, exec, s[30:31]
	v_lshrrev_b16_e32 v38, 8, v36
	v_cmp_ne_u16_e64 s[8:9], 0, v38
	s_and_saveexec_b64 s[30:31], s[8:9]
	s_cbranch_execz .LBB302_28
; %bb.23:                               ;   in Loop: Header=BB302_13 Depth=1
	v_cmp_ne_u16_e64 s[8:9], s39, v38
	v_bfrev_b32_e32 v23, 1
	s_and_saveexec_b64 s[34:35], s[8:9]
	s_cbranch_execz .LBB302_27
; %bb.24:                               ;   in Loop: Header=BB302_13 Depth=1
	v_and_b32_e32 v0, 0x7f, v38
	v_cmp_ne_u32_e64 s[8:9], s40, v0
	v_mov_b32_e32 v23, 0x7fc02000
	s_and_saveexec_b64 s[36:37], s[8:9]
	s_cbranch_execz .LBB302_26
; %bb.25:                               ;   in Loop: Header=BB302_13 Depth=1
	v_and_b32_e32 v1, 7, v38
	v_ffbh_u32_e32 v2, v1
	v_min_u32_e32 v5, 32, v2
	v_subrev_u32_e32 v2, 28, v5
	v_lshlrev_b64 v[2:3], v2, v[38:39]
	v_lshrrev_b32_e32 v4, 3, v0
	v_sub_u32_e32 v3, 29, v5
	v_cmp_gt_u32_e64 s[8:9], 8, v0
	v_and_b32_e32 v2, 7, v2
	v_cndmask_b32_e64 v0, v4, v3, s[8:9]
	v_mov_b32_e32 v3, 0x2000
	v_cndmask_b32_e64 v1, v1, v2, s[8:9]
	v_lshlrev_b32_e32 v2, 8, v38
	v_lshl_add_u32 v0, v0, 10, v3
	v_and_or_b32 v0, v2, s41, v0
	v_lshl_or_b32 v0, v1, 7, v0
	v_cvt_f32_f16_e32 v23, v0
.LBB302_26:                             ;   in Loop: Header=BB302_13 Depth=1
	s_or_b64 exec, exec, s[36:37]
.LBB302_27:                             ;   in Loop: Header=BB302_13 Depth=1
	s_or_b64 exec, exec, s[34:35]
.LBB302_28:                             ;   in Loop: Header=BB302_13 Depth=1
	s_or_b64 exec, exec, s[30:31]
	v_lshrrev_b32_e32 v38, 16, v36
	v_mov_b32_e32 v0, 0
	v_cmp_ne_u16_sdwa s[8:9], v38, v0 src0_sel:BYTE_0 src1_sel:DWORD
	v_mov_b32_e32 v0, 0
	v_mov_b32_e32 v30, 0
	buffer_store_dword v0, off, s[0:3], s32 offset:180 ; 4-byte Folded Spill
	s_and_saveexec_b64 s[30:31], s[8:9]
	s_cbranch_execz .LBB302_34
; %bb.29:                               ;   in Loop: Header=BB302_13 Depth=1
	v_cmp_ne_u16_sdwa s[8:9], v38, s39 src0_sel:BYTE_0 src1_sel:DWORD
	v_bfrev_b32_e32 v30, 1
	s_and_saveexec_b64 s[34:35], s[8:9]
	s_cbranch_execz .LBB302_33
; %bb.30:                               ;   in Loop: Header=BB302_13 Depth=1
	v_bfe_u32 v0, v36, 16, 7
	v_cmp_ne_u32_e64 s[8:9], s40, v0
	v_mov_b32_e32 v30, 0x7fc02000
	s_and_saveexec_b64 s[36:37], s[8:9]
	s_cbranch_execz .LBB302_32
; %bb.31:                               ;   in Loop: Header=BB302_13 Depth=1
	v_and_b32_e32 v1, 7, v38
	v_ffbh_u32_e32 v2, v1
	v_min_u32_e32 v5, 32, v2
	v_subrev_u32_e32 v2, 28, v5
	v_lshlrev_b64 v[2:3], v2, v[38:39]
	v_lshrrev_b32_e32 v4, 3, v0
	v_sub_u32_e32 v3, 29, v5
	v_cmp_gt_u32_e64 s[8:9], 8, v0
	v_and_b32_e32 v2, 7, v2
	v_cndmask_b32_e64 v0, v4, v3, s[8:9]
	v_mov_b32_e32 v3, 0x2000
	v_cndmask_b32_e64 v1, v1, v2, s[8:9]
	v_lshlrev_b32_e32 v2, 8, v38
	v_lshl_add_u32 v0, v0, 10, v3
	v_and_or_b32 v0, v2, s41, v0
	v_lshl_or_b32 v0, v1, 7, v0
	v_cvt_f32_f16_e32 v30, v0
.LBB302_32:                             ;   in Loop: Header=BB302_13 Depth=1
	s_or_b64 exec, exec, s[36:37]
.LBB302_33:                             ;   in Loop: Header=BB302_13 Depth=1
	s_or_b64 exec, exec, s[34:35]
.LBB302_34:                             ;   in Loop: Header=BB302_13 Depth=1
	s_or_b64 exec, exec, s[30:31]
	v_cmp_lt_u32_e64 s[8:9], s42, v36
	s_and_saveexec_b64 s[30:31], s[8:9]
	s_cbranch_execz .LBB302_40
; %bb.35:                               ;   in Loop: Header=BB302_13 Depth=1
	v_lshrrev_b32_e32 v36, 24, v36
	v_cmp_ne_u32_e64 s[8:9], s39, v36
	v_bfrev_b32_e32 v0, 1
	buffer_store_dword v0, off, s[0:3], s32 offset:180 ; 4-byte Folded Spill
	s_and_saveexec_b64 s[34:35], s[8:9]
	s_cbranch_execz .LBB302_39
; %bb.36:                               ;   in Loop: Header=BB302_13 Depth=1
	v_and_b32_e32 v0, 0x7f, v36
	v_cmp_ne_u32_e64 s[8:9], s40, v0
	v_mov_b32_e32 v1, 0x7fc02000
	buffer_store_dword v1, off, s[0:3], s32 offset:180 ; 4-byte Folded Spill
	s_and_saveexec_b64 s[36:37], s[8:9]
	s_cbranch_execz .LBB302_38
; %bb.37:                               ;   in Loop: Header=BB302_13 Depth=1
	v_and_b32_e32 v1, 7, v36
	v_ffbh_u32_e32 v2, v1
	v_min_u32_e32 v5, 32, v2
	v_subrev_u32_e32 v2, 28, v5
	v_lshlrev_b64 v[2:3], v2, v[36:37]
	v_lshrrev_b32_e32 v4, 3, v0
	v_sub_u32_e32 v3, 29, v5
	v_cmp_gt_u32_e64 s[8:9], 8, v0
	v_and_b32_e32 v2, 7, v2
	v_cndmask_b32_e64 v0, v4, v3, s[8:9]
	v_mov_b32_e32 v3, 0x2000
	v_cndmask_b32_e64 v1, v1, v2, s[8:9]
	v_lshlrev_b32_e32 v2, 8, v36
	v_lshl_add_u32 v0, v0, 10, v3
	v_and_or_b32 v0, v2, s41, v0
	v_lshl_or_b32 v0, v1, 7, v0
	v_cvt_f32_f16_e32 v0, v0
	buffer_store_dword v0, off, s[0:3], s32 offset:180 ; 4-byte Folded Spill
.LBB302_38:                             ;   in Loop: Header=BB302_13 Depth=1
	s_or_b64 exec, exec, s[36:37]
.LBB302_39:                             ;   in Loop: Header=BB302_13 Depth=1
	s_or_b64 exec, exec, s[34:35]
.LBB302_40:                             ;   in Loop: Header=BB302_13 Depth=1
	s_or_b64 exec, exec, s[30:31]
	flat_load_dword v36, v[34:35] offset:8
	v_mov_b32_e32 v0, 0
	v_mov_b32_e32 v43, 0
	;; [unrolled: 1-line block ×3, first 2 shown]
	s_waitcnt vmcnt(0) lgkmcnt(0)
	v_cmp_ne_u16_sdwa s[8:9], v36, v0 src0_sel:BYTE_0 src1_sel:DWORD
	s_and_saveexec_b64 s[30:31], s[8:9]
	s_cbranch_execz .LBB302_46
; %bb.41:                               ;   in Loop: Header=BB302_13 Depth=1
	v_cmp_ne_u16_sdwa s[8:9], v36, s39 src0_sel:BYTE_0 src1_sel:DWORD
	v_bfrev_b32_e32 v54, 1
	s_and_saveexec_b64 s[34:35], s[8:9]
	s_cbranch_execz .LBB302_45
; %bb.42:                               ;   in Loop: Header=BB302_13 Depth=1
	v_and_b32_e32 v0, 0x7f, v36
	v_cmp_ne_u32_e64 s[8:9], s40, v0
	v_mov_b32_e32 v54, 0x7fc02000
	s_and_saveexec_b64 s[36:37], s[8:9]
	s_cbranch_execz .LBB302_44
; %bb.43:                               ;   in Loop: Header=BB302_13 Depth=1
	v_and_b32_e32 v1, 7, v36
	v_ffbh_u32_e32 v2, v1
	v_min_u32_e32 v5, 32, v2
	v_subrev_u32_e32 v2, 28, v5
	v_lshlrev_b64 v[2:3], v2, v[36:37]
	v_lshrrev_b32_e32 v4, 3, v0
	v_sub_u32_e32 v3, 29, v5
	v_cmp_gt_u32_e64 s[8:9], 8, v0
	v_and_b32_e32 v2, 7, v2
	v_cndmask_b32_e64 v0, v4, v3, s[8:9]
	v_mov_b32_e32 v3, 0x2000
	v_cndmask_b32_e64 v1, v1, v2, s[8:9]
	v_lshlrev_b32_e32 v2, 8, v36
	v_lshl_add_u32 v0, v0, 10, v3
	v_and_or_b32 v0, v2, s41, v0
	v_lshl_or_b32 v0, v1, 7, v0
	v_cvt_f32_f16_e32 v54, v0
.LBB302_44:                             ;   in Loop: Header=BB302_13 Depth=1
	s_or_b64 exec, exec, s[36:37]
.LBB302_45:                             ;   in Loop: Header=BB302_13 Depth=1
	s_or_b64 exec, exec, s[34:35]
.LBB302_46:                             ;   in Loop: Header=BB302_13 Depth=1
	s_or_b64 exec, exec, s[30:31]
	v_lshrrev_b16_e32 v38, 8, v36
	v_cmp_ne_u16_e64 s[8:9], 0, v38
	s_and_saveexec_b64 s[30:31], s[8:9]
	s_cbranch_execz .LBB302_52
; %bb.47:                               ;   in Loop: Header=BB302_13 Depth=1
	v_cmp_ne_u16_e64 s[8:9], s39, v38
	v_bfrev_b32_e32 v43, 1
	s_and_saveexec_b64 s[34:35], s[8:9]
	s_cbranch_execz .LBB302_51
; %bb.48:                               ;   in Loop: Header=BB302_13 Depth=1
	v_and_b32_e32 v0, 0x7f, v38
	v_cmp_ne_u32_e64 s[8:9], s40, v0
	v_mov_b32_e32 v43, 0x7fc02000
	s_and_saveexec_b64 s[36:37], s[8:9]
	s_cbranch_execz .LBB302_50
; %bb.49:                               ;   in Loop: Header=BB302_13 Depth=1
	v_and_b32_e32 v2, 7, v38
	v_lshrrev_b32_e32 v3, 3, v0
	v_cmp_gt_u32_e64 s[8:9], 8, v0
	v_ffbh_u32_e32 v0, v2
	v_min_u32_e32 v4, 32, v0
	v_subrev_u32_e32 v0, 28, v4
	v_lshlrev_b64 v[0:1], v0, v[38:39]
	v_sub_u32_e32 v1, 29, v4
	v_and_b32_e32 v0, 7, v0
	v_cndmask_b32_e64 v1, v3, v1, s[8:9]
	v_mov_b32_e32 v3, 0x2000
	v_cndmask_b32_e64 v0, v2, v0, s[8:9]
	v_lshlrev_b32_e32 v2, 8, v38
	v_lshl_add_u32 v1, v1, 10, v3
	v_and_or_b32 v1, v2, s41, v1
	v_lshl_or_b32 v0, v0, 7, v1
	v_cvt_f32_f16_e32 v43, v0
.LBB302_50:                             ;   in Loop: Header=BB302_13 Depth=1
	s_or_b64 exec, exec, s[36:37]
.LBB302_51:                             ;   in Loop: Header=BB302_13 Depth=1
	s_or_b64 exec, exec, s[34:35]
.LBB302_52:                             ;   in Loop: Header=BB302_13 Depth=1
	s_or_b64 exec, exec, s[30:31]
	v_lshrrev_b32_e32 v38, 16, v36
	v_mov_b32_e32 v0, 0
	v_cmp_ne_u16_sdwa s[8:9], v38, v0 src0_sel:BYTE_0 src1_sel:DWORD
	v_mov_b32_e32 v13, 0
	v_mov_b32_e32 v45, 0
	s_and_saveexec_b64 s[30:31], s[8:9]
	s_cbranch_execz .LBB302_58
; %bb.53:                               ;   in Loop: Header=BB302_13 Depth=1
	v_cmp_ne_u16_sdwa s[8:9], v38, s39 src0_sel:BYTE_0 src1_sel:DWORD
	v_bfrev_b32_e32 v45, 1
	s_and_saveexec_b64 s[34:35], s[8:9]
	s_cbranch_execz .LBB302_57
; %bb.54:                               ;   in Loop: Header=BB302_13 Depth=1
	v_bfe_u32 v0, v36, 16, 7
	v_cmp_ne_u32_e64 s[8:9], s40, v0
	v_mov_b32_e32 v45, 0x7fc02000
	s_and_saveexec_b64 s[36:37], s[8:9]
	s_cbranch_execz .LBB302_56
; %bb.55:                               ;   in Loop: Header=BB302_13 Depth=1
	v_and_b32_e32 v1, 7, v38
	v_ffbh_u32_e32 v2, v1
	v_min_u32_e32 v5, 32, v2
	v_subrev_u32_e32 v2, 28, v5
	v_lshlrev_b64 v[2:3], v2, v[38:39]
	v_lshrrev_b32_e32 v4, 3, v0
	v_sub_u32_e32 v3, 29, v5
	v_cmp_gt_u32_e64 s[8:9], 8, v0
	v_and_b32_e32 v2, 7, v2
	v_cndmask_b32_e64 v0, v4, v3, s[8:9]
	v_mov_b32_e32 v3, 0x2000
	v_cndmask_b32_e64 v1, v1, v2, s[8:9]
	v_lshlrev_b32_e32 v2, 8, v38
	v_lshl_add_u32 v0, v0, 10, v3
	v_and_or_b32 v0, v2, s41, v0
	v_lshl_or_b32 v0, v1, 7, v0
	v_cvt_f32_f16_e32 v45, v0
.LBB302_56:                             ;   in Loop: Header=BB302_13 Depth=1
	s_or_b64 exec, exec, s[36:37]
.LBB302_57:                             ;   in Loop: Header=BB302_13 Depth=1
	s_or_b64 exec, exec, s[34:35]
.LBB302_58:                             ;   in Loop: Header=BB302_13 Depth=1
	s_or_b64 exec, exec, s[30:31]
	v_cmp_lt_u32_e64 s[8:9], s42, v36
	s_and_saveexec_b64 s[30:31], s[8:9]
	s_cbranch_execz .LBB302_64
; %bb.59:                               ;   in Loop: Header=BB302_13 Depth=1
	v_lshrrev_b32_e32 v36, 24, v36
	v_cmp_ne_u32_e64 s[8:9], s39, v36
	v_bfrev_b32_e32 v13, 1
	s_and_saveexec_b64 s[34:35], s[8:9]
	s_cbranch_execz .LBB302_63
; %bb.60:                               ;   in Loop: Header=BB302_13 Depth=1
	v_and_b32_e32 v0, 0x7f, v36
	v_cmp_ne_u32_e64 s[8:9], s40, v0
	v_mov_b32_e32 v13, 0x7fc02000
	s_and_saveexec_b64 s[36:37], s[8:9]
	s_cbranch_execz .LBB302_62
; %bb.61:                               ;   in Loop: Header=BB302_13 Depth=1
	v_and_b32_e32 v1, 7, v36
	v_ffbh_u32_e32 v2, v1
	v_min_u32_e32 v6, 32, v2
	v_subrev_u32_e32 v2, 28, v6
	v_lshlrev_b64 v[2:3], v2, v[36:37]
	v_lshrrev_b32_e32 v4, 3, v0
	v_sub_u32_e32 v3, 29, v6
	v_cmp_gt_u32_e64 s[8:9], 8, v0
	v_and_b32_e32 v2, 7, v2
	v_cndmask_b32_e64 v0, v4, v3, s[8:9]
	v_mov_b32_e32 v3, 0x2000
	v_cndmask_b32_e64 v1, v1, v2, s[8:9]
	v_lshlrev_b32_e32 v2, 8, v36
	v_lshl_add_u32 v0, v0, 10, v3
	v_and_or_b32 v0, v2, s41, v0
	v_lshl_or_b32 v0, v1, 7, v0
	v_cvt_f32_f16_e32 v13, v0
.LBB302_62:                             ;   in Loop: Header=BB302_13 Depth=1
	s_or_b64 exec, exec, s[36:37]
.LBB302_63:                             ;   in Loop: Header=BB302_13 Depth=1
	s_or_b64 exec, exec, s[34:35]
.LBB302_64:                             ;   in Loop: Header=BB302_13 Depth=1
	s_or_b64 exec, exec, s[30:31]
	flat_load_dword v36, v[34:35] offset:512
	v_mov_b32_e32 v0, 0
	v_mov_b32_e32 v59, 0
	;; [unrolled: 1-line block ×3, first 2 shown]
	s_waitcnt vmcnt(0) lgkmcnt(0)
	v_cmp_ne_u16_sdwa s[8:9], v36, v0 src0_sel:BYTE_0 src1_sel:DWORD
	s_and_saveexec_b64 s[30:31], s[8:9]
	s_cbranch_execz .LBB302_70
; %bb.65:                               ;   in Loop: Header=BB302_13 Depth=1
	v_cmp_ne_u16_sdwa s[8:9], v36, s39 src0_sel:BYTE_0 src1_sel:DWORD
	v_bfrev_b32_e32 v5, 1
	s_and_saveexec_b64 s[34:35], s[8:9]
	s_cbranch_execz .LBB302_69
; %bb.66:                               ;   in Loop: Header=BB302_13 Depth=1
	v_and_b32_e32 v0, 0x7f, v36
	v_cmp_ne_u32_e64 s[8:9], s40, v0
	v_mov_b32_e32 v5, 0x7fc02000
	s_and_saveexec_b64 s[36:37], s[8:9]
	s_cbranch_execz .LBB302_68
; %bb.67:                               ;   in Loop: Header=BB302_13 Depth=1
	v_and_b32_e32 v1, 7, v36
	v_ffbh_u32_e32 v2, v1
	v_min_u32_e32 v6, 32, v2
	v_subrev_u32_e32 v2, 28, v6
	v_lshlrev_b64 v[2:3], v2, v[36:37]
	v_lshrrev_b32_e32 v4, 3, v0
	v_sub_u32_e32 v3, 29, v6
	v_cmp_gt_u32_e64 s[8:9], 8, v0
	v_and_b32_e32 v2, 7, v2
	v_cndmask_b32_e64 v0, v4, v3, s[8:9]
	v_mov_b32_e32 v3, 0x2000
	v_cndmask_b32_e64 v1, v1, v2, s[8:9]
	v_lshlrev_b32_e32 v2, 8, v36
	v_lshl_add_u32 v0, v0, 10, v3
	v_and_or_b32 v0, v2, s41, v0
	v_lshl_or_b32 v0, v1, 7, v0
	v_cvt_f32_f16_e32 v5, v0
.LBB302_68:                             ;   in Loop: Header=BB302_13 Depth=1
	s_or_b64 exec, exec, s[36:37]
.LBB302_69:                             ;   in Loop: Header=BB302_13 Depth=1
	s_or_b64 exec, exec, s[34:35]
.LBB302_70:                             ;   in Loop: Header=BB302_13 Depth=1
	s_or_b64 exec, exec, s[30:31]
	v_lshrrev_b16_e32 v38, 8, v36
	v_cmp_ne_u16_e64 s[8:9], 0, v38
	s_and_saveexec_b64 s[30:31], s[8:9]
	s_cbranch_execz .LBB302_76
; %bb.71:                               ;   in Loop: Header=BB302_13 Depth=1
	v_cmp_ne_u16_e64 s[8:9], s39, v38
	v_bfrev_b32_e32 v59, 1
	s_and_saveexec_b64 s[34:35], s[8:9]
	s_cbranch_execz .LBB302_75
; %bb.72:                               ;   in Loop: Header=BB302_13 Depth=1
	v_and_b32_e32 v0, 0x7f, v38
	v_cmp_ne_u32_e64 s[8:9], s40, v0
	v_mov_b32_e32 v59, 0x7fc02000
	s_and_saveexec_b64 s[36:37], s[8:9]
	s_cbranch_execz .LBB302_74
; %bb.73:                               ;   in Loop: Header=BB302_13 Depth=1
	v_and_b32_e32 v1, 7, v38
	v_ffbh_u32_e32 v2, v1
	v_min_u32_e32 v6, 32, v2
	v_subrev_u32_e32 v2, 28, v6
	v_lshlrev_b64 v[2:3], v2, v[38:39]
	v_lshrrev_b32_e32 v4, 3, v0
	v_sub_u32_e32 v3, 29, v6
	v_cmp_gt_u32_e64 s[8:9], 8, v0
	v_and_b32_e32 v2, 7, v2
	v_cndmask_b32_e64 v0, v4, v3, s[8:9]
	v_mov_b32_e32 v3, 0x2000
	v_cndmask_b32_e64 v1, v1, v2, s[8:9]
	v_lshlrev_b32_e32 v2, 8, v38
	v_lshl_add_u32 v0, v0, 10, v3
	v_and_or_b32 v0, v2, s41, v0
	v_lshl_or_b32 v0, v1, 7, v0
	v_cvt_f32_f16_e32 v59, v0
.LBB302_74:                             ;   in Loop: Header=BB302_13 Depth=1
	s_or_b64 exec, exec, s[36:37]
.LBB302_75:                             ;   in Loop: Header=BB302_13 Depth=1
	s_or_b64 exec, exec, s[34:35]
.LBB302_76:                             ;   in Loop: Header=BB302_13 Depth=1
	s_or_b64 exec, exec, s[30:31]
	v_lshrrev_b32_e32 v38, 16, v36
	v_mov_b32_e32 v0, 0
	v_cmp_ne_u16_sdwa s[8:9], v38, v0 src0_sel:BYTE_0 src1_sel:DWORD
	v_mov_b32_e32 v42, 0
	v_mov_b32_e32 v46, 0
	s_and_saveexec_b64 s[30:31], s[8:9]
	s_cbranch_execz .LBB302_82
; %bb.77:                               ;   in Loop: Header=BB302_13 Depth=1
	v_cmp_ne_u16_sdwa s[8:9], v38, s39 src0_sel:BYTE_0 src1_sel:DWORD
	v_bfrev_b32_e32 v46, 1
	s_and_saveexec_b64 s[34:35], s[8:9]
	s_cbranch_execz .LBB302_81
; %bb.78:                               ;   in Loop: Header=BB302_13 Depth=1
	v_bfe_u32 v0, v36, 16, 7
	v_cmp_ne_u32_e64 s[8:9], s40, v0
	v_mov_b32_e32 v46, 0x7fc02000
	s_and_saveexec_b64 s[36:37], s[8:9]
	s_cbranch_execz .LBB302_80
; %bb.79:                               ;   in Loop: Header=BB302_13 Depth=1
	v_and_b32_e32 v1, 7, v38
	v_ffbh_u32_e32 v2, v1
	v_min_u32_e32 v6, 32, v2
	v_subrev_u32_e32 v2, 28, v6
	v_lshlrev_b64 v[2:3], v2, v[38:39]
	v_lshrrev_b32_e32 v4, 3, v0
	v_sub_u32_e32 v3, 29, v6
	v_cmp_gt_u32_e64 s[8:9], 8, v0
	v_and_b32_e32 v2, 7, v2
	v_cndmask_b32_e64 v0, v4, v3, s[8:9]
	v_mov_b32_e32 v3, 0x2000
	v_cndmask_b32_e64 v1, v1, v2, s[8:9]
	v_lshlrev_b32_e32 v2, 8, v38
	v_lshl_add_u32 v0, v0, 10, v3
	v_and_or_b32 v0, v2, s41, v0
	v_lshl_or_b32 v0, v1, 7, v0
	v_cvt_f32_f16_e32 v46, v0
.LBB302_80:                             ;   in Loop: Header=BB302_13 Depth=1
	s_or_b64 exec, exec, s[36:37]
.LBB302_81:                             ;   in Loop: Header=BB302_13 Depth=1
	s_or_b64 exec, exec, s[34:35]
.LBB302_82:                             ;   in Loop: Header=BB302_13 Depth=1
	s_or_b64 exec, exec, s[30:31]
	v_cmp_lt_u32_e64 s[8:9], s42, v36
	s_and_saveexec_b64 s[30:31], s[8:9]
	s_cbranch_execz .LBB302_88
; %bb.83:                               ;   in Loop: Header=BB302_13 Depth=1
	v_lshrrev_b32_e32 v36, 24, v36
	v_cmp_ne_u32_e64 s[8:9], s39, v36
	v_bfrev_b32_e32 v42, 1
	s_and_saveexec_b64 s[34:35], s[8:9]
	s_cbranch_execz .LBB302_87
; %bb.84:                               ;   in Loop: Header=BB302_13 Depth=1
	v_and_b32_e32 v0, 0x7f, v36
	v_cmp_ne_u32_e64 s[8:9], s40, v0
	v_mov_b32_e32 v42, 0x7fc02000
	s_and_saveexec_b64 s[36:37], s[8:9]
	s_cbranch_execz .LBB302_86
; %bb.85:                               ;   in Loop: Header=BB302_13 Depth=1
	v_and_b32_e32 v1, 7, v36
	v_ffbh_u32_e32 v2, v1
	v_min_u32_e32 v6, 32, v2
	v_subrev_u32_e32 v2, 28, v6
	v_lshlrev_b64 v[2:3], v2, v[36:37]
	v_lshrrev_b32_e32 v4, 3, v0
	v_sub_u32_e32 v3, 29, v6
	v_cmp_gt_u32_e64 s[8:9], 8, v0
	v_and_b32_e32 v2, 7, v2
	v_cndmask_b32_e64 v0, v4, v3, s[8:9]
	v_mov_b32_e32 v3, 0x2000
	v_cndmask_b32_e64 v1, v1, v2, s[8:9]
	v_lshlrev_b32_e32 v2, 8, v36
	v_lshl_add_u32 v0, v0, 10, v3
	v_and_or_b32 v0, v2, s41, v0
	v_lshl_or_b32 v0, v1, 7, v0
	v_cvt_f32_f16_e32 v42, v0
.LBB302_86:                             ;   in Loop: Header=BB302_13 Depth=1
	s_or_b64 exec, exec, s[36:37]
.LBB302_87:                             ;   in Loop: Header=BB302_13 Depth=1
	s_or_b64 exec, exec, s[34:35]
.LBB302_88:                             ;   in Loop: Header=BB302_13 Depth=1
	s_or_b64 exec, exec, s[30:31]
	flat_load_dword v36, v[34:35] offset:520
	v_mov_b32_e32 v0, 0
	v_mov_b32_e32 v19, 0
	;; [unrolled: 1-line block ×3, first 2 shown]
	s_waitcnt vmcnt(0) lgkmcnt(0)
	v_cmp_ne_u16_sdwa s[8:9], v36, v0 src0_sel:BYTE_0 src1_sel:DWORD
	s_and_saveexec_b64 s[30:31], s[8:9]
	s_cbranch_execz .LBB302_94
; %bb.89:                               ;   in Loop: Header=BB302_13 Depth=1
	v_cmp_ne_u16_sdwa s[8:9], v36, s39 src0_sel:BYTE_0 src1_sel:DWORD
	v_bfrev_b32_e32 v47, 1
	s_and_saveexec_b64 s[34:35], s[8:9]
	s_cbranch_execz .LBB302_93
; %bb.90:                               ;   in Loop: Header=BB302_13 Depth=1
	v_and_b32_e32 v0, 0x7f, v36
	v_cmp_ne_u32_e64 s[8:9], s40, v0
	v_mov_b32_e32 v47, 0x7fc02000
	s_and_saveexec_b64 s[36:37], s[8:9]
	s_cbranch_execz .LBB302_92
; %bb.91:                               ;   in Loop: Header=BB302_13 Depth=1
	v_and_b32_e32 v1, 7, v36
	v_ffbh_u32_e32 v2, v1
	v_min_u32_e32 v6, 32, v2
	v_subrev_u32_e32 v2, 28, v6
	v_lshlrev_b64 v[2:3], v2, v[36:37]
	v_lshrrev_b32_e32 v4, 3, v0
	v_sub_u32_e32 v3, 29, v6
	v_cmp_gt_u32_e64 s[8:9], 8, v0
	v_and_b32_e32 v2, 7, v2
	v_cndmask_b32_e64 v0, v4, v3, s[8:9]
	v_mov_b32_e32 v3, 0x2000
	v_cndmask_b32_e64 v1, v1, v2, s[8:9]
	v_lshlrev_b32_e32 v2, 8, v36
	v_lshl_add_u32 v0, v0, 10, v3
	v_and_or_b32 v0, v2, s41, v0
	v_lshl_or_b32 v0, v1, 7, v0
	v_cvt_f32_f16_e32 v47, v0
.LBB302_92:                             ;   in Loop: Header=BB302_13 Depth=1
	s_or_b64 exec, exec, s[36:37]
.LBB302_93:                             ;   in Loop: Header=BB302_13 Depth=1
	s_or_b64 exec, exec, s[34:35]
.LBB302_94:                             ;   in Loop: Header=BB302_13 Depth=1
	s_or_b64 exec, exec, s[30:31]
	v_lshrrev_b16_e32 v38, 8, v36
	v_cmp_ne_u16_e64 s[8:9], 0, v38
	s_and_saveexec_b64 s[30:31], s[8:9]
	s_cbranch_execz .LBB302_100
; %bb.95:                               ;   in Loop: Header=BB302_13 Depth=1
	v_cmp_ne_u16_e64 s[8:9], s39, v38
	v_bfrev_b32_e32 v19, 1
	s_and_saveexec_b64 s[34:35], s[8:9]
	s_cbranch_execz .LBB302_99
; %bb.96:                               ;   in Loop: Header=BB302_13 Depth=1
	v_and_b32_e32 v0, 0x7f, v38
	v_cmp_ne_u32_e64 s[8:9], s40, v0
	v_mov_b32_e32 v19, 0x7fc02000
	s_and_saveexec_b64 s[36:37], s[8:9]
	s_cbranch_execz .LBB302_98
; %bb.97:                               ;   in Loop: Header=BB302_13 Depth=1
	v_and_b32_e32 v2, 7, v38
	v_lshrrev_b32_e32 v3, 3, v0
	v_cmp_gt_u32_e64 s[8:9], 8, v0
	v_ffbh_u32_e32 v0, v2
	v_min_u32_e32 v4, 32, v0
	v_subrev_u32_e32 v0, 28, v4
	v_lshlrev_b64 v[0:1], v0, v[38:39]
	v_sub_u32_e32 v1, 29, v4
	v_and_b32_e32 v0, 7, v0
	v_cndmask_b32_e64 v1, v3, v1, s[8:9]
	v_mov_b32_e32 v3, 0x2000
	v_cndmask_b32_e64 v0, v2, v0, s[8:9]
	v_lshlrev_b32_e32 v2, 8, v38
	v_lshl_add_u32 v1, v1, 10, v3
	v_and_or_b32 v1, v2, s41, v1
	v_lshl_or_b32 v0, v0, 7, v1
	v_cvt_f32_f16_e32 v19, v0
.LBB302_98:                             ;   in Loop: Header=BB302_13 Depth=1
	s_or_b64 exec, exec, s[36:37]
.LBB302_99:                             ;   in Loop: Header=BB302_13 Depth=1
	s_or_b64 exec, exec, s[34:35]
.LBB302_100:                            ;   in Loop: Header=BB302_13 Depth=1
	s_or_b64 exec, exec, s[30:31]
	v_lshrrev_b32_e32 v38, 16, v36
	v_mov_b32_e32 v0, 0
	v_cmp_ne_u16_sdwa s[8:9], v38, v0 src0_sel:BYTE_0 src1_sel:DWORD
	v_mov_b32_e32 v1, 0
	v_mov_b32_e32 v2, 0
	s_and_saveexec_b64 s[30:31], s[8:9]
	s_cbranch_execz .LBB302_106
; %bb.101:                              ;   in Loop: Header=BB302_13 Depth=1
	v_cmp_ne_u16_sdwa s[8:9], v38, s39 src0_sel:BYTE_0 src1_sel:DWORD
	v_bfrev_b32_e32 v2, 1
	s_and_saveexec_b64 s[34:35], s[8:9]
	s_cbranch_execz .LBB302_105
; %bb.102:                              ;   in Loop: Header=BB302_13 Depth=1
	v_bfe_u32 v0, v36, 16, 7
	v_cmp_ne_u32_e64 s[8:9], s40, v0
	v_mov_b32_e32 v2, 0x7fc02000
	s_and_saveexec_b64 s[36:37], s[8:9]
	s_cbranch_execz .LBB302_104
; %bb.103:                              ;   in Loop: Header=BB302_13 Depth=1
	v_and_b32_e32 v1, 7, v38
	v_ffbh_u32_e32 v2, v1
	v_min_u32_e32 v6, 32, v2
	v_subrev_u32_e32 v2, 28, v6
	v_lshlrev_b64 v[2:3], v2, v[38:39]
	v_lshrrev_b32_e32 v4, 3, v0
	v_sub_u32_e32 v3, 29, v6
	v_cmp_gt_u32_e64 s[8:9], 8, v0
	v_and_b32_e32 v2, 7, v2
	v_cndmask_b32_e64 v0, v4, v3, s[8:9]
	v_mov_b32_e32 v3, 0x2000
	v_cndmask_b32_e64 v1, v1, v2, s[8:9]
	v_lshlrev_b32_e32 v2, 8, v38
	v_lshl_add_u32 v0, v0, 10, v3
	v_and_or_b32 v0, v2, s41, v0
	v_lshl_or_b32 v0, v1, 7, v0
	v_cvt_f32_f16_e32 v2, v0
	v_mov_b32_e32 v1, 0
.LBB302_104:                            ;   in Loop: Header=BB302_13 Depth=1
	s_or_b64 exec, exec, s[36:37]
.LBB302_105:                            ;   in Loop: Header=BB302_13 Depth=1
	s_or_b64 exec, exec, s[34:35]
.LBB302_106:                            ;   in Loop: Header=BB302_13 Depth=1
	s_or_b64 exec, exec, s[30:31]
	v_cmp_lt_u32_e64 s[8:9], s42, v36
	s_mov_b64 s[30:31], exec
	s_and_b64 s[8:9], s[30:31], s[8:9]
	v_accvgpr_write_b32 a55, v2
	s_mov_b64 exec, s[8:9]
	s_cbranch_execz .LBB302_112
; %bb.107:                              ;   in Loop: Header=BB302_13 Depth=1
	v_lshrrev_b32_e32 v36, 24, v36
	v_cmp_ne_u32_e64 s[8:9], s39, v36
	v_bfrev_b32_e32 v1, 1
	s_and_saveexec_b64 s[34:35], s[8:9]
	s_cbranch_execz .LBB302_111
; %bb.108:                              ;   in Loop: Header=BB302_13 Depth=1
	v_and_b32_e32 v0, 0x7f, v36
	v_cmp_ne_u32_e64 s[8:9], s40, v0
	v_mov_b32_e32 v1, 0x7fc02000
	s_and_saveexec_b64 s[36:37], s[8:9]
	s_cbranch_execz .LBB302_110
; %bb.109:                              ;   in Loop: Header=BB302_13 Depth=1
	v_and_b32_e32 v4, 7, v36
	v_ffbh_u32_e32 v2, v4
	v_min_u32_e32 v7, 32, v2
	v_subrev_u32_e32 v2, 28, v7
	v_lshlrev_b64 v[2:3], v2, v[36:37]
	v_lshrrev_b32_e32 v6, 3, v0
	v_sub_u32_e32 v3, 29, v7
	v_cmp_gt_u32_e64 s[8:9], 8, v0
	v_cndmask_b32_e64 v0, v6, v3, s[8:9]
	v_mov_b32_e32 v1, 0x2000
	v_and_b32_e32 v2, 7, v2
	v_lshlrev_b32_e32 v3, 8, v36
	v_lshl_add_u32 v0, v0, 10, v1
	v_cndmask_b32_e64 v2, v4, v2, s[8:9]
	v_and_or_b32 v0, v3, s41, v0
	v_lshl_or_b32 v0, v2, 7, v0
	v_cvt_f32_f16_e32 v1, v0
.LBB302_110:                            ;   in Loop: Header=BB302_13 Depth=1
	s_or_b64 exec, exec, s[36:37]
.LBB302_111:                            ;   in Loop: Header=BB302_13 Depth=1
	s_or_b64 exec, exec, s[34:35]
.LBB302_112:                            ;   in Loop: Header=BB302_13 Depth=1
	s_or_b64 exec, exec, s[30:31]
	flat_load_dword v36, v[34:35] offset:1024
	v_mov_b32_e32 v0, 0
	v_mov_b32_e32 v3, 0
	;; [unrolled: 1-line block ×3, first 2 shown]
	s_waitcnt vmcnt(0) lgkmcnt(0)
	v_cmp_ne_u16_sdwa s[8:9], v36, v0 src0_sel:BYTE_0 src1_sel:DWORD
	s_and_saveexec_b64 s[30:31], s[8:9]
	s_cbranch_execz .LBB302_118
; %bb.113:                              ;   in Loop: Header=BB302_13 Depth=1
	v_cmp_ne_u16_sdwa s[8:9], v36, s39 src0_sel:BYTE_0 src1_sel:DWORD
	v_bfrev_b32_e32 v53, 1
	s_and_saveexec_b64 s[34:35], s[8:9]
	s_cbranch_execz .LBB302_117
; %bb.114:                              ;   in Loop: Header=BB302_13 Depth=1
	v_and_b32_e32 v2, 0x7f, v36
	v_cmp_ne_u32_e64 s[8:9], s40, v2
	v_mov_b32_e32 v53, 0x7fc02000
	s_and_saveexec_b64 s[36:37], s[8:9]
	s_cbranch_execz .LBB302_116
; %bb.115:                              ;   in Loop: Header=BB302_13 Depth=1
	v_and_b32_e32 v3, 7, v36
	v_ffbh_u32_e32 v6, v3
	v_min_u32_e32 v8, 32, v6
	v_subrev_u32_e32 v6, 28, v8
	v_lshlrev_b64 v[6:7], v6, v[36:37]
	v_lshrrev_b32_e32 v4, 3, v2
	v_sub_u32_e32 v7, 29, v8
	v_cmp_gt_u32_e64 s[8:9], 8, v2
	v_cndmask_b32_e64 v2, v4, v7, s[8:9]
	v_mov_b32_e32 v0, 0x2000
	v_and_b32_e32 v6, 7, v6
	v_lshlrev_b32_e32 v4, 8, v36
	v_lshl_add_u32 v2, v2, 10, v0
	v_cndmask_b32_e64 v3, v3, v6, s[8:9]
	v_and_or_b32 v2, v4, s41, v2
	v_lshl_or_b32 v2, v3, 7, v2
	v_cvt_f32_f16_e32 v53, v2
	v_mov_b32_e32 v3, 0
.LBB302_116:                            ;   in Loop: Header=BB302_13 Depth=1
	s_or_b64 exec, exec, s[36:37]
.LBB302_117:                            ;   in Loop: Header=BB302_13 Depth=1
	s_or_b64 exec, exec, s[34:35]
.LBB302_118:                            ;   in Loop: Header=BB302_13 Depth=1
	s_or_b64 exec, exec, s[30:31]
	v_lshrrev_b16_e32 v38, 8, v36
	v_cmp_ne_u16_e64 s[8:9], 0, v38
	s_mov_b64 s[30:31], exec
	s_and_b64 s[8:9], s[30:31], s[8:9]
	v_accvgpr_write_b32 a54, v1
	s_mov_b64 exec, s[8:9]
	s_cbranch_execz .LBB302_124
; %bb.119:                              ;   in Loop: Header=BB302_13 Depth=1
	v_cmp_ne_u16_e64 s[8:9], s39, v38
	v_bfrev_b32_e32 v3, 1
	s_and_saveexec_b64 s[34:35], s[8:9]
	s_cbranch_execz .LBB302_123
; %bb.120:                              ;   in Loop: Header=BB302_13 Depth=1
	v_and_b32_e32 v2, 0x7f, v38
	v_cmp_ne_u32_e64 s[8:9], s40, v2
	v_mov_b32_e32 v3, 0x7fc02000
	s_and_saveexec_b64 s[36:37], s[8:9]
	s_cbranch_execz .LBB302_122
; %bb.121:                              ;   in Loop: Header=BB302_13 Depth=1
	v_and_b32_e32 v0, 7, v38
	v_ffbh_u32_e32 v6, v0
	v_min_u32_e32 v8, 32, v6
	v_subrev_u32_e32 v6, 28, v8
	v_lshlrev_b64 v[6:7], v6, v[38:39]
	v_lshrrev_b32_e32 v4, 3, v2
	v_sub_u32_e32 v7, 29, v8
	v_cmp_gt_u32_e64 s[8:9], 8, v2
	v_cndmask_b32_e64 v2, v4, v7, s[8:9]
	v_mov_b32_e32 v1, 0x2000
	v_and_b32_e32 v6, 7, v6
	v_lshlrev_b32_e32 v4, 8, v38
	v_lshl_add_u32 v2, v2, 10, v1
	v_cndmask_b32_e64 v0, v0, v6, s[8:9]
	v_and_or_b32 v2, v4, s41, v2
	v_lshl_or_b32 v0, v0, 7, v2
	v_cvt_f32_f16_e32 v3, v0
.LBB302_122:                            ;   in Loop: Header=BB302_13 Depth=1
	s_or_b64 exec, exec, s[36:37]
.LBB302_123:                            ;   in Loop: Header=BB302_13 Depth=1
	s_or_b64 exec, exec, s[34:35]
.LBB302_124:                            ;   in Loop: Header=BB302_13 Depth=1
	s_or_b64 exec, exec, s[30:31]
	v_lshrrev_b32_e32 v38, 16, v36
	v_mov_b32_e32 v0, 0
	v_cmp_ne_u16_sdwa s[8:9], v38, v0 src0_sel:BYTE_0 src1_sel:DWORD
	v_mov_b32_e32 v18, 0
	v_mov_b32_e32 v1, 0
	s_and_saveexec_b64 s[30:31], s[8:9]
	s_cbranch_execz .LBB302_130
; %bb.125:                              ;   in Loop: Header=BB302_13 Depth=1
	v_cmp_ne_u16_sdwa s[8:9], v38, s39 src0_sel:BYTE_0 src1_sel:DWORD
	v_bfrev_b32_e32 v1, 1
	s_and_saveexec_b64 s[34:35], s[8:9]
	s_cbranch_execz .LBB302_129
; %bb.126:                              ;   in Loop: Header=BB302_13 Depth=1
	v_bfe_u32 v4, v36, 16, 7
	v_cmp_ne_u32_e64 s[8:9], s40, v4
	v_mov_b32_e32 v1, 0x7fc02000
	s_and_saveexec_b64 s[36:37], s[8:9]
	s_cbranch_execz .LBB302_128
; %bb.127:                              ;   in Loop: Header=BB302_13 Depth=1
	v_and_b32_e32 v8, 7, v38
	v_ffbh_u32_e32 v6, v8
	v_min_u32_e32 v10, 32, v6
	v_subrev_u32_e32 v6, 28, v10
	v_lshlrev_b64 v[6:7], v6, v[38:39]
	v_lshrrev_b32_e32 v9, 3, v4
	v_sub_u32_e32 v7, 29, v10
	v_cmp_gt_u32_e64 s[8:9], 8, v4
	v_cndmask_b32_e64 v4, v9, v7, s[8:9]
	v_mov_b32_e32 v0, 0x2000
	v_and_b32_e32 v6, 7, v6
	v_lshlrev_b32_e32 v7, 8, v38
	v_lshl_add_u32 v4, v4, 10, v0
	v_cndmask_b32_e64 v6, v8, v6, s[8:9]
	v_and_or_b32 v4, v7, s41, v4
	v_lshl_or_b32 v4, v6, 7, v4
	v_cvt_f32_f16_e32 v1, v4
.LBB302_128:                            ;   in Loop: Header=BB302_13 Depth=1
	s_or_b64 exec, exec, s[36:37]
.LBB302_129:                            ;   in Loop: Header=BB302_13 Depth=1
	s_or_b64 exec, exec, s[34:35]
.LBB302_130:                            ;   in Loop: Header=BB302_13 Depth=1
	s_or_b64 exec, exec, s[30:31]
	v_cmp_lt_u32_e64 s[8:9], s42, v36
	s_and_saveexec_b64 s[30:31], s[8:9]
	s_cbranch_execz .LBB302_136
; %bb.131:                              ;   in Loop: Header=BB302_13 Depth=1
	v_lshrrev_b32_e32 v36, 24, v36
	v_cmp_ne_u32_e64 s[8:9], s39, v36
	v_bfrev_b32_e32 v18, 1
	s_and_saveexec_b64 s[34:35], s[8:9]
	s_cbranch_execz .LBB302_135
; %bb.132:                              ;   in Loop: Header=BB302_13 Depth=1
	v_and_b32_e32 v4, 0x7f, v36
	v_cmp_ne_u32_e64 s[8:9], s40, v4
	v_mov_b32_e32 v18, 0x7fc02000
	s_and_saveexec_b64 s[36:37], s[8:9]
	s_cbranch_execz .LBB302_134
; %bb.133:                              ;   in Loop: Header=BB302_13 Depth=1
	v_and_b32_e32 v2, 7, v36
	v_ffbh_u32_e32 v6, v2
	v_min_u32_e32 v9, 32, v6
	v_subrev_u32_e32 v6, 28, v9
	v_lshlrev_b64 v[6:7], v6, v[36:37]
	v_lshrrev_b32_e32 v8, 3, v4
	v_sub_u32_e32 v7, 29, v9
	v_cmp_gt_u32_e64 s[8:9], 8, v4
	v_and_b32_e32 v6, 7, v6
	v_cndmask_b32_e64 v4, v8, v7, s[8:9]
	v_mov_b32_e32 v0, 0x2000
	v_cndmask_b32_e64 v2, v2, v6, s[8:9]
	v_lshlrev_b32_e32 v6, 8, v36
	v_lshl_add_u32 v4, v4, 10, v0
	v_and_or_b32 v4, v6, s41, v4
	v_lshl_or_b32 v2, v2, 7, v4
	v_cvt_f32_f16_e32 v18, v2
.LBB302_134:                            ;   in Loop: Header=BB302_13 Depth=1
	s_or_b64 exec, exec, s[36:37]
.LBB302_135:                            ;   in Loop: Header=BB302_13 Depth=1
	s_or_b64 exec, exec, s[34:35]
.LBB302_136:                            ;   in Loop: Header=BB302_13 Depth=1
	s_or_b64 exec, exec, s[30:31]
	flat_load_dword v36, v[34:35] offset:1032
	v_mov_b32_e32 v0, 0
	v_mov_b32_e32 v52, 0
	;; [unrolled: 1-line block ×3, first 2 shown]
	s_waitcnt vmcnt(0) lgkmcnt(0)
	v_cmp_ne_u16_sdwa s[8:9], v36, v0 src0_sel:BYTE_0 src1_sel:DWORD
	s_and_saveexec_b64 s[30:31], s[8:9]
	s_cbranch_execz .LBB302_142
; %bb.137:                              ;   in Loop: Header=BB302_13 Depth=1
	v_cmp_ne_u16_sdwa s[8:9], v36, s39 src0_sel:BYTE_0 src1_sel:DWORD
	v_bfrev_b32_e32 v15, 1
	s_and_saveexec_b64 s[34:35], s[8:9]
	s_cbranch_execz .LBB302_141
; %bb.138:                              ;   in Loop: Header=BB302_13 Depth=1
	v_and_b32_e32 v4, 0x7f, v36
	v_cmp_ne_u32_e64 s[8:9], s40, v4
	v_mov_b32_e32 v15, 0x7fc02000
	s_and_saveexec_b64 s[36:37], s[8:9]
	s_cbranch_execz .LBB302_140
; %bb.139:                              ;   in Loop: Header=BB302_13 Depth=1
	v_and_b32_e32 v8, 7, v36
	v_ffbh_u32_e32 v6, v8
	v_min_u32_e32 v10, 32, v6
	v_subrev_u32_e32 v6, 28, v10
	v_lshlrev_b64 v[6:7], v6, v[36:37]
	v_lshrrev_b32_e32 v9, 3, v4
	v_sub_u32_e32 v7, 29, v10
	v_cmp_gt_u32_e64 s[8:9], 8, v4
	v_cndmask_b32_e64 v4, v9, v7, s[8:9]
	v_mov_b32_e32 v0, 0x2000
	v_and_b32_e32 v6, 7, v6
	v_lshlrev_b32_e32 v7, 8, v36
	v_lshl_add_u32 v4, v4, 10, v0
	v_cndmask_b32_e64 v6, v8, v6, s[8:9]
	v_and_or_b32 v4, v7, s41, v4
	v_lshl_or_b32 v4, v6, 7, v4
	v_cvt_f32_f16_e32 v15, v4
.LBB302_140:                            ;   in Loop: Header=BB302_13 Depth=1
	s_or_b64 exec, exec, s[36:37]
.LBB302_141:                            ;   in Loop: Header=BB302_13 Depth=1
	s_or_b64 exec, exec, s[34:35]
.LBB302_142:                            ;   in Loop: Header=BB302_13 Depth=1
	s_or_b64 exec, exec, s[30:31]
	v_lshrrev_b16_e32 v38, 8, v36
	v_cmp_ne_u16_e64 s[8:9], 0, v38
	s_and_saveexec_b64 s[30:31], s[8:9]
	s_cbranch_execz .LBB302_148
; %bb.143:                              ;   in Loop: Header=BB302_13 Depth=1
	v_cmp_ne_u16_e64 s[8:9], s39, v38
	v_bfrev_b32_e32 v52, 1
	s_and_saveexec_b64 s[34:35], s[8:9]
	s_cbranch_execz .LBB302_147
; %bb.144:                              ;   in Loop: Header=BB302_13 Depth=1
	v_and_b32_e32 v4, 0x7f, v38
	v_cmp_ne_u32_e64 s[8:9], s40, v4
	v_mov_b32_e32 v52, 0x7fc02000
	s_and_saveexec_b64 s[36:37], s[8:9]
	s_cbranch_execz .LBB302_146
; %bb.145:                              ;   in Loop: Header=BB302_13 Depth=1
	v_and_b32_e32 v8, 7, v38
	v_ffbh_u32_e32 v6, v8
	v_min_u32_e32 v10, 32, v6
	v_subrev_u32_e32 v6, 28, v10
	v_lshlrev_b64 v[6:7], v6, v[38:39]
	v_lshrrev_b32_e32 v9, 3, v4
	v_sub_u32_e32 v7, 29, v10
	v_cmp_gt_u32_e64 s[8:9], 8, v4
	v_cndmask_b32_e64 v4, v9, v7, s[8:9]
	v_mov_b32_e32 v0, 0x2000
	v_and_b32_e32 v6, 7, v6
	v_lshlrev_b32_e32 v7, 8, v38
	v_lshl_add_u32 v4, v4, 10, v0
	v_cndmask_b32_e64 v6, v8, v6, s[8:9]
	v_and_or_b32 v4, v7, s41, v4
	v_lshl_or_b32 v4, v6, 7, v4
	v_cvt_f32_f16_e32 v52, v4
.LBB302_146:                            ;   in Loop: Header=BB302_13 Depth=1
	s_or_b64 exec, exec, s[36:37]
.LBB302_147:                            ;   in Loop: Header=BB302_13 Depth=1
	s_or_b64 exec, exec, s[34:35]
.LBB302_148:                            ;   in Loop: Header=BB302_13 Depth=1
	s_or_b64 exec, exec, s[30:31]
	v_lshrrev_b32_e32 v38, 16, v36
	v_mov_b32_e32 v0, 0
	v_cmp_ne_u16_sdwa s[8:9], v38, v0 src0_sel:BYTE_0 src1_sel:DWORD
	v_mov_b32_e32 v14, 0
	v_mov_b32_e32 v17, 0
	s_and_saveexec_b64 s[30:31], s[8:9]
	s_cbranch_execz .LBB302_154
; %bb.149:                              ;   in Loop: Header=BB302_13 Depth=1
	v_cmp_ne_u16_sdwa s[8:9], v38, s39 src0_sel:BYTE_0 src1_sel:DWORD
	v_bfrev_b32_e32 v17, 1
	s_and_saveexec_b64 s[34:35], s[8:9]
	s_cbranch_execz .LBB302_153
; %bb.150:                              ;   in Loop: Header=BB302_13 Depth=1
	v_bfe_u32 v4, v36, 16, 7
	v_cmp_ne_u32_e64 s[8:9], s40, v4
	v_mov_b32_e32 v17, 0x7fc02000
	s_and_saveexec_b64 s[36:37], s[8:9]
	s_cbranch_execz .LBB302_152
; %bb.151:                              ;   in Loop: Header=BB302_13 Depth=1
	v_and_b32_e32 v8, 7, v38
	v_ffbh_u32_e32 v6, v8
	v_min_u32_e32 v10, 32, v6
	v_subrev_u32_e32 v6, 28, v10
	v_lshlrev_b64 v[6:7], v6, v[38:39]
	v_lshrrev_b32_e32 v9, 3, v4
	v_sub_u32_e32 v7, 29, v10
	v_cmp_gt_u32_e64 s[8:9], 8, v4
	v_cndmask_b32_e64 v4, v9, v7, s[8:9]
	v_mov_b32_e32 v0, 0x2000
	v_and_b32_e32 v6, 7, v6
	v_lshlrev_b32_e32 v7, 8, v38
	v_lshl_add_u32 v4, v4, 10, v0
	v_cndmask_b32_e64 v6, v8, v6, s[8:9]
	v_and_or_b32 v4, v7, s41, v4
	v_lshl_or_b32 v4, v6, 7, v4
	v_cvt_f32_f16_e32 v17, v4
.LBB302_152:                            ;   in Loop: Header=BB302_13 Depth=1
	s_or_b64 exec, exec, s[36:37]
.LBB302_153:                            ;   in Loop: Header=BB302_13 Depth=1
	s_or_b64 exec, exec, s[34:35]
.LBB302_154:                            ;   in Loop: Header=BB302_13 Depth=1
	s_or_b64 exec, exec, s[30:31]
	v_cmp_lt_u32_e64 s[8:9], s42, v36
	s_and_saveexec_b64 s[30:31], s[8:9]
	s_cbranch_execz .LBB302_160
; %bb.155:                              ;   in Loop: Header=BB302_13 Depth=1
	v_lshrrev_b32_e32 v36, 24, v36
	v_cmp_ne_u32_e64 s[8:9], s39, v36
	v_bfrev_b32_e32 v14, 1
	s_and_saveexec_b64 s[34:35], s[8:9]
	s_cbranch_execz .LBB302_159
; %bb.156:                              ;   in Loop: Header=BB302_13 Depth=1
	v_and_b32_e32 v4, 0x7f, v36
	v_cmp_ne_u32_e64 s[8:9], s40, v4
	v_mov_b32_e32 v14, 0x7fc02000
	s_and_saveexec_b64 s[36:37], s[8:9]
	s_cbranch_execz .LBB302_158
; %bb.157:                              ;   in Loop: Header=BB302_13 Depth=1
	v_and_b32_e32 v8, 7, v36
	v_ffbh_u32_e32 v6, v8
	v_min_u32_e32 v10, 32, v6
	v_subrev_u32_e32 v6, 28, v10
	v_lshlrev_b64 v[6:7], v6, v[36:37]
	v_lshrrev_b32_e32 v9, 3, v4
	v_sub_u32_e32 v7, 29, v10
	v_cmp_gt_u32_e64 s[8:9], 8, v4
	v_cndmask_b32_e64 v4, v9, v7, s[8:9]
	v_mov_b32_e32 v0, 0x2000
	v_and_b32_e32 v6, 7, v6
	v_lshlrev_b32_e32 v7, 8, v36
	v_lshl_add_u32 v4, v4, 10, v0
	v_cndmask_b32_e64 v6, v8, v6, s[8:9]
	v_and_or_b32 v4, v7, s41, v4
	v_lshl_or_b32 v4, v6, 7, v4
	v_cvt_f32_f16_e32 v14, v4
.LBB302_158:                            ;   in Loop: Header=BB302_13 Depth=1
	s_or_b64 exec, exec, s[36:37]
.LBB302_159:                            ;   in Loop: Header=BB302_13 Depth=1
	s_or_b64 exec, exec, s[34:35]
.LBB302_160:                            ;   in Loop: Header=BB302_13 Depth=1
	s_or_b64 exec, exec, s[30:31]
	flat_load_dword v36, v[34:35] offset:1536
	v_mov_b32_e32 v0, 0
	v_mov_b32_e32 v12, 0
	;; [unrolled: 1-line block ×3, first 2 shown]
	s_waitcnt vmcnt(0) lgkmcnt(0)
	v_cmp_ne_u16_sdwa s[8:9], v36, v0 src0_sel:BYTE_0 src1_sel:DWORD
	s_and_saveexec_b64 s[30:31], s[8:9]
	s_cbranch_execz .LBB302_166
; %bb.161:                              ;   in Loop: Header=BB302_13 Depth=1
	v_cmp_ne_u16_sdwa s[8:9], v36, s39 src0_sel:BYTE_0 src1_sel:DWORD
	v_bfrev_b32_e32 v56, 1
	s_and_saveexec_b64 s[34:35], s[8:9]
	s_cbranch_execz .LBB302_165
; %bb.162:                              ;   in Loop: Header=BB302_13 Depth=1
	v_and_b32_e32 v4, 0x7f, v36
	v_cmp_ne_u32_e64 s[8:9], s40, v4
	v_mov_b32_e32 v56, 0x7fc02000
	s_and_saveexec_b64 s[36:37], s[8:9]
	s_cbranch_execz .LBB302_164
; %bb.163:                              ;   in Loop: Header=BB302_13 Depth=1
	v_and_b32_e32 v8, 7, v36
	v_ffbh_u32_e32 v6, v8
	v_min_u32_e32 v10, 32, v6
	v_subrev_u32_e32 v6, 28, v10
	v_lshlrev_b64 v[6:7], v6, v[36:37]
	v_lshrrev_b32_e32 v9, 3, v4
	v_sub_u32_e32 v7, 29, v10
	v_cmp_gt_u32_e64 s[8:9], 8, v4
	v_cndmask_b32_e64 v4, v9, v7, s[8:9]
	v_mov_b32_e32 v0, 0x2000
	v_and_b32_e32 v6, 7, v6
	v_lshlrev_b32_e32 v7, 8, v36
	v_lshl_add_u32 v4, v4, 10, v0
	v_cndmask_b32_e64 v6, v8, v6, s[8:9]
	v_and_or_b32 v4, v7, s41, v4
	v_lshl_or_b32 v4, v6, 7, v4
	v_cvt_f32_f16_e32 v56, v4
.LBB302_164:                            ;   in Loop: Header=BB302_13 Depth=1
	s_or_b64 exec, exec, s[36:37]
.LBB302_165:                            ;   in Loop: Header=BB302_13 Depth=1
	s_or_b64 exec, exec, s[34:35]
.LBB302_166:                            ;   in Loop: Header=BB302_13 Depth=1
	s_or_b64 exec, exec, s[30:31]
	v_lshrrev_b16_e32 v38, 8, v36
	v_cmp_ne_u16_e64 s[8:9], 0, v38
	s_and_saveexec_b64 s[30:31], s[8:9]
	s_cbranch_execz .LBB302_172
; %bb.167:                              ;   in Loop: Header=BB302_13 Depth=1
	v_cmp_ne_u16_e64 s[8:9], s39, v38
	v_bfrev_b32_e32 v12, 1
	s_and_saveexec_b64 s[34:35], s[8:9]
	s_cbranch_execz .LBB302_171
; %bb.168:                              ;   in Loop: Header=BB302_13 Depth=1
	v_and_b32_e32 v4, 0x7f, v38
	v_cmp_ne_u32_e64 s[8:9], s40, v4
	v_mov_b32_e32 v12, 0x7fc02000
	s_and_saveexec_b64 s[36:37], s[8:9]
	s_cbranch_execz .LBB302_170
; %bb.169:                              ;   in Loop: Header=BB302_13 Depth=1
	v_and_b32_e32 v8, 7, v38
	v_ffbh_u32_e32 v6, v8
	v_min_u32_e32 v10, 32, v6
	v_subrev_u32_e32 v6, 28, v10
	v_lshlrev_b64 v[6:7], v6, v[38:39]
	v_lshrrev_b32_e32 v9, 3, v4
	v_sub_u32_e32 v7, 29, v10
	v_cmp_gt_u32_e64 s[8:9], 8, v4
	v_cndmask_b32_e64 v4, v9, v7, s[8:9]
	v_mov_b32_e32 v0, 0x2000
	v_and_b32_e32 v6, 7, v6
	v_lshlrev_b32_e32 v7, 8, v38
	v_lshl_add_u32 v4, v4, 10, v0
	v_cndmask_b32_e64 v6, v8, v6, s[8:9]
	v_and_or_b32 v4, v7, s41, v4
	v_lshl_or_b32 v4, v6, 7, v4
	v_cvt_f32_f16_e32 v12, v4
.LBB302_170:                            ;   in Loop: Header=BB302_13 Depth=1
	s_or_b64 exec, exec, s[36:37]
.LBB302_171:                            ;   in Loop: Header=BB302_13 Depth=1
	s_or_b64 exec, exec, s[34:35]
.LBB302_172:                            ;   in Loop: Header=BB302_13 Depth=1
	s_or_b64 exec, exec, s[30:31]
	v_lshrrev_b32_e32 v38, 16, v36
	v_mov_b32_e32 v0, 0
	v_cmp_ne_u16_sdwa s[8:9], v38, v0 src0_sel:BYTE_0 src1_sel:DWORD
	v_mov_b32_e32 v16, 0
	v_mov_b32_e32 v37, 0
	s_and_saveexec_b64 s[30:31], s[8:9]
	s_cbranch_execz .LBB302_178
; %bb.173:                              ;   in Loop: Header=BB302_13 Depth=1
	v_cmp_ne_u16_sdwa s[8:9], v38, s39 src0_sel:BYTE_0 src1_sel:DWORD
	v_bfrev_b32_e32 v37, 1
	s_and_saveexec_b64 s[34:35], s[8:9]
	s_cbranch_execz .LBB302_177
; %bb.174:                              ;   in Loop: Header=BB302_13 Depth=1
	v_bfe_u32 v4, v36, 16, 7
	v_cmp_ne_u32_e64 s[8:9], s40, v4
	v_mov_b32_e32 v37, 0x7fc02000
	s_and_saveexec_b64 s[36:37], s[8:9]
	s_cbranch_execz .LBB302_176
; %bb.175:                              ;   in Loop: Header=BB302_13 Depth=1
	v_and_b32_e32 v8, 7, v38
	v_ffbh_u32_e32 v6, v8
	v_min_u32_e32 v10, 32, v6
	v_subrev_u32_e32 v6, 28, v10
	v_lshlrev_b64 v[6:7], v6, v[38:39]
	v_lshrrev_b32_e32 v9, 3, v4
	v_sub_u32_e32 v7, 29, v10
	v_cmp_gt_u32_e64 s[8:9], 8, v4
	v_cndmask_b32_e64 v4, v9, v7, s[8:9]
	v_mov_b32_e32 v0, 0x2000
	v_and_b32_e32 v6, 7, v6
	v_lshlrev_b32_e32 v7, 8, v38
	v_lshl_add_u32 v4, v4, 10, v0
	v_cndmask_b32_e64 v6, v8, v6, s[8:9]
	v_and_or_b32 v4, v7, s41, v4
	v_lshl_or_b32 v4, v6, 7, v4
	v_cvt_f32_f16_e32 v37, v4
.LBB302_176:                            ;   in Loop: Header=BB302_13 Depth=1
	s_or_b64 exec, exec, s[36:37]
.LBB302_177:                            ;   in Loop: Header=BB302_13 Depth=1
	s_or_b64 exec, exec, s[34:35]
.LBB302_178:                            ;   in Loop: Header=BB302_13 Depth=1
	s_or_b64 exec, exec, s[30:31]
	v_cmp_lt_u32_e64 s[8:9], s42, v36
	s_and_saveexec_b64 s[30:31], s[8:9]
	s_cbranch_execz .LBB302_184
; %bb.179:                              ;   in Loop: Header=BB302_13 Depth=1
	v_lshrrev_b32_e32 v36, 24, v36
	v_cmp_ne_u32_e64 s[8:9], s39, v36
	v_bfrev_b32_e32 v16, 1
	s_and_saveexec_b64 s[34:35], s[8:9]
	s_cbranch_execz .LBB302_183
; %bb.180:                              ;   in Loop: Header=BB302_13 Depth=1
	v_and_b32_e32 v4, 0x7f, v36
	v_cmp_ne_u32_e64 s[8:9], s40, v4
	v_mov_b32_e32 v16, 0x7fc02000
	s_and_saveexec_b64 s[36:37], s[8:9]
	s_cbranch_execz .LBB302_182
; %bb.181:                              ;   in Loop: Header=BB302_13 Depth=1
	v_and_b32_e32 v8, 7, v36
	v_ffbh_u32_e32 v6, v8
	v_min_u32_e32 v10, 32, v6
	v_subrev_u32_e32 v6, 28, v10
	v_lshlrev_b64 v[6:7], v6, v[36:37]
	v_lshrrev_b32_e32 v9, 3, v4
	v_sub_u32_e32 v7, 29, v10
	v_cmp_gt_u32_e64 s[8:9], 8, v4
	v_cndmask_b32_e64 v4, v9, v7, s[8:9]
	v_mov_b32_e32 v0, 0x2000
	v_and_b32_e32 v6, 7, v6
	v_lshlrev_b32_e32 v7, 8, v36
	v_lshl_add_u32 v4, v4, 10, v0
	v_cndmask_b32_e64 v6, v8, v6, s[8:9]
	v_and_or_b32 v4, v7, s41, v4
	v_lshl_or_b32 v4, v6, 7, v4
	v_cvt_f32_f16_e32 v16, v4
.LBB302_182:                            ;   in Loop: Header=BB302_13 Depth=1
	s_or_b64 exec, exec, s[36:37]
.LBB302_183:                            ;   in Loop: Header=BB302_13 Depth=1
	s_or_b64 exec, exec, s[34:35]
.LBB302_184:                            ;   in Loop: Header=BB302_13 Depth=1
	s_or_b64 exec, exec, s[30:31]
	flat_load_dword v36, v[34:35] offset:1544
	v_mov_b32_e32 v0, 0
	v_mov_b32_e32 v49, 0
	;; [unrolled: 1-line block ×3, first 2 shown]
	s_waitcnt vmcnt(0) lgkmcnt(0)
	v_cmp_ne_u16_sdwa s[8:9], v36, v0 src0_sel:BYTE_0 src1_sel:DWORD
	s_and_saveexec_b64 s[30:31], s[8:9]
	s_cbranch_execz .LBB302_190
; %bb.185:                              ;   in Loop: Header=BB302_13 Depth=1
	v_cmp_ne_u16_sdwa s[8:9], v36, s39 src0_sel:BYTE_0 src1_sel:DWORD
	v_bfrev_b32_e32 v2, 1
	s_and_saveexec_b64 s[34:35], s[8:9]
	s_cbranch_execz .LBB302_189
; %bb.186:                              ;   in Loop: Header=BB302_13 Depth=1
	v_and_b32_e32 v4, 0x7f, v36
	v_cmp_ne_u32_e64 s[8:9], s40, v4
	v_mov_b32_e32 v2, 0x7fc02000
	s_and_saveexec_b64 s[36:37], s[8:9]
	s_cbranch_execz .LBB302_188
; %bb.187:                              ;   in Loop: Header=BB302_13 Depth=1
	v_and_b32_e32 v8, 7, v36
	v_ffbh_u32_e32 v6, v8
	v_min_u32_e32 v10, 32, v6
	v_subrev_u32_e32 v6, 28, v10
	v_lshlrev_b64 v[6:7], v6, v[36:37]
	v_lshrrev_b32_e32 v9, 3, v4
	v_sub_u32_e32 v7, 29, v10
	v_cmp_gt_u32_e64 s[8:9], 8, v4
	v_cndmask_b32_e64 v4, v9, v7, s[8:9]
	v_mov_b32_e32 v0, 0x2000
	v_and_b32_e32 v6, 7, v6
	v_lshlrev_b32_e32 v7, 8, v36
	v_lshl_add_u32 v4, v4, 10, v0
	v_cndmask_b32_e64 v6, v8, v6, s[8:9]
	v_and_or_b32 v4, v7, s41, v4
	v_lshl_or_b32 v4, v6, 7, v4
	v_cvt_f32_f16_e32 v2, v4
.LBB302_188:                            ;   in Loop: Header=BB302_13 Depth=1
	s_or_b64 exec, exec, s[36:37]
.LBB302_189:                            ;   in Loop: Header=BB302_13 Depth=1
	s_or_b64 exec, exec, s[34:35]
.LBB302_190:                            ;   in Loop: Header=BB302_13 Depth=1
	s_or_b64 exec, exec, s[30:31]
	v_lshrrev_b16_e32 v38, 8, v36
	v_cmp_ne_u16_e64 s[8:9], 0, v38
	s_and_saveexec_b64 s[30:31], s[8:9]
	s_cbranch_execz .LBB302_196
; %bb.191:                              ;   in Loop: Header=BB302_13 Depth=1
	v_cmp_ne_u16_e64 s[8:9], s39, v38
	v_bfrev_b32_e32 v49, 1
	s_and_saveexec_b64 s[34:35], s[8:9]
	s_cbranch_execz .LBB302_195
; %bb.192:                              ;   in Loop: Header=BB302_13 Depth=1
	v_and_b32_e32 v4, 0x7f, v38
	v_cmp_ne_u32_e64 s[8:9], s40, v4
	v_mov_b32_e32 v49, 0x7fc02000
	s_and_saveexec_b64 s[36:37], s[8:9]
	s_cbranch_execz .LBB302_194
; %bb.193:                              ;   in Loop: Header=BB302_13 Depth=1
	v_and_b32_e32 v8, 7, v38
	v_lshrrev_b32_e32 v9, 3, v4
	v_cmp_gt_u32_e64 s[8:9], 8, v4
	v_ffbh_u32_e32 v4, v8
	v_min_u32_e32 v4, 32, v4
	v_subrev_u32_e32 v6, 28, v4
	v_sub_u32_e32 v4, 29, v4
	v_lshlrev_b64 v[6:7], v6, v[38:39]
	v_cndmask_b32_e64 v4, v9, v4, s[8:9]
	v_mov_b32_e32 v0, 0x2000
	v_and_b32_e32 v6, 7, v6
	v_lshlrev_b32_e32 v7, 8, v38
	v_lshl_add_u32 v4, v4, 10, v0
	v_cndmask_b32_e64 v6, v8, v6, s[8:9]
	v_and_or_b32 v4, v7, s41, v4
	v_lshl_or_b32 v4, v6, 7, v4
	v_cvt_f32_f16_e32 v49, v4
.LBB302_194:                            ;   in Loop: Header=BB302_13 Depth=1
	s_or_b64 exec, exec, s[36:37]
.LBB302_195:                            ;   in Loop: Header=BB302_13 Depth=1
	s_or_b64 exec, exec, s[34:35]
.LBB302_196:                            ;   in Loop: Header=BB302_13 Depth=1
	s_or_b64 exec, exec, s[30:31]
	v_lshrrev_b32_e32 v38, 16, v36
	v_mov_b32_e32 v0, 0
	v_cmp_ne_u16_sdwa s[8:9], v38, v0 src0_sel:BYTE_0 src1_sel:DWORD
	v_mov_b32_e32 v39, 0
	v_mov_b32_e32 v48, 0
	s_and_saveexec_b64 s[30:31], s[8:9]
	s_cbranch_execz .LBB302_202
; %bb.197:                              ;   in Loop: Header=BB302_13 Depth=1
	v_cmp_ne_u16_sdwa s[8:9], v38, s39 src0_sel:BYTE_0 src1_sel:DWORD
	v_bfrev_b32_e32 v48, 1
	s_and_saveexec_b64 s[34:35], s[8:9]
	s_cbranch_execz .LBB302_201
; %bb.198:                              ;   in Loop: Header=BB302_13 Depth=1
	v_bfe_u32 v4, v36, 16, 7
	v_cmp_ne_u32_e64 s[8:9], s40, v4
	v_mov_b32_e32 v48, 0x7fc02000
	s_and_saveexec_b64 s[36:37], s[8:9]
	s_cbranch_execz .LBB302_200
; %bb.199:                              ;   in Loop: Header=BB302_13 Depth=1
	v_and_b32_e32 v8, 7, v38
	v_ffbh_u32_e32 v6, v8
	v_min_u32_e32 v10, 32, v6
	v_subrev_u32_e32 v6, 28, v10
	v_lshlrev_b64 v[6:7], v6, v[38:39]
	v_lshrrev_b32_e32 v9, 3, v4
	v_sub_u32_e32 v7, 29, v10
	v_cmp_gt_u32_e64 s[8:9], 8, v4
	v_cndmask_b32_e64 v4, v9, v7, s[8:9]
	v_mov_b32_e32 v0, 0x2000
	v_and_b32_e32 v6, 7, v6
	v_lshlrev_b32_e32 v7, 8, v38
	v_lshl_add_u32 v4, v4, 10, v0
	v_cndmask_b32_e64 v6, v8, v6, s[8:9]
	v_and_or_b32 v4, v7, s41, v4
	v_lshl_or_b32 v4, v6, 7, v4
	v_cvt_f32_f16_e32 v48, v4
.LBB302_200:                            ;   in Loop: Header=BB302_13 Depth=1
	s_or_b64 exec, exec, s[36:37]
.LBB302_201:                            ;   in Loop: Header=BB302_13 Depth=1
	s_or_b64 exec, exec, s[34:35]
.LBB302_202:                            ;   in Loop: Header=BB302_13 Depth=1
	s_or_b64 exec, exec, s[30:31]
	v_cmp_lt_u32_e64 s[8:9], s42, v36
	s_and_saveexec_b64 s[30:31], s[8:9]
	s_cbranch_execz .LBB302_208
; %bb.203:                              ;   in Loop: Header=BB302_13 Depth=1
	v_lshrrev_b32_e32 v36, 24, v36
	v_cmp_ne_u32_e64 s[8:9], s39, v36
	v_bfrev_b32_e32 v39, 1
	s_and_saveexec_b64 s[34:35], s[8:9]
	s_cbranch_execz .LBB302_207
; %bb.204:                              ;   in Loop: Header=BB302_13 Depth=1
	v_and_b32_e32 v4, 0x7f, v36
	v_cmp_ne_u32_e64 s[8:9], s40, v4
	v_mov_b32_e32 v39, 0x7fc02000
	s_and_saveexec_b64 s[36:37], s[8:9]
	s_cbranch_execz .LBB302_206
; %bb.205:                              ;   in Loop: Header=BB302_13 Depth=1
	v_and_b32_e32 v8, 7, v36
	v_ffbh_u32_e32 v6, v8
	v_min_u32_e32 v10, 32, v6
	v_subrev_u32_e32 v6, 28, v10
	v_lshlrev_b64 v[6:7], v6, v[36:37]
	v_lshrrev_b32_e32 v9, 3, v4
	v_sub_u32_e32 v7, 29, v10
	v_cmp_gt_u32_e64 s[8:9], 8, v4
	v_cndmask_b32_e64 v4, v9, v7, s[8:9]
	v_mov_b32_e32 v0, 0x2000
	v_and_b32_e32 v6, 7, v6
	v_lshlrev_b32_e32 v7, 8, v36
	v_lshl_add_u32 v4, v4, 10, v0
	v_cndmask_b32_e64 v6, v8, v6, s[8:9]
	v_and_or_b32 v4, v7, s41, v4
	v_lshl_or_b32 v4, v6, 7, v4
	v_cvt_f32_f16_e32 v39, v4
.LBB302_206:                            ;   in Loop: Header=BB302_13 Depth=1
	s_or_b64 exec, exec, s[36:37]
.LBB302_207:                            ;   in Loop: Header=BB302_13 Depth=1
	s_or_b64 exec, exec, s[34:35]
.LBB302_208:                            ;   in Loop: Header=BB302_13 Depth=1
	s_or_b64 exec, exec, s[30:31]
	flat_load_dword v36, v[34:35] offset:2048
	v_mov_b32_e32 v0, 0
	v_mov_b32_e32 v7, 0
	;; [unrolled: 1-line block ×3, first 2 shown]
	s_waitcnt vmcnt(0) lgkmcnt(0)
	v_cmp_ne_u16_sdwa s[8:9], v36, v0 src0_sel:BYTE_0 src1_sel:DWORD
	s_and_saveexec_b64 s[30:31], s[8:9]
	s_cbranch_execz .LBB302_214
; %bb.209:                              ;   in Loop: Header=BB302_13 Depth=1
	v_cmp_ne_u16_sdwa s[8:9], v36, s39 src0_sel:BYTE_0 src1_sel:DWORD
	v_bfrev_b32_e32 v28, 1
	s_and_saveexec_b64 s[34:35], s[8:9]
	s_cbranch_execz .LBB302_213
; %bb.210:                              ;   in Loop: Header=BB302_13 Depth=1
	v_and_b32_e32 v4, 0x7f, v36
	v_cmp_ne_u32_e64 s[8:9], s40, v4
	v_mov_b32_e32 v28, 0x7fc02000
	s_and_saveexec_b64 s[36:37], s[8:9]
	s_cbranch_execz .LBB302_212
; %bb.211:                              ;   in Loop: Header=BB302_13 Depth=1
	v_and_b32_e32 v6, 7, v36
	v_ffbh_u32_e32 v8, v6
	v_min_u32_e32 v11, 32, v8
	v_subrev_u32_e32 v8, 28, v11
	v_lshlrev_b64 v[8:9], v8, v[36:37]
	v_lshrrev_b32_e32 v10, 3, v4
	v_sub_u32_e32 v9, 29, v11
	v_cmp_gt_u32_e64 s[8:9], 8, v4
	v_and_b32_e32 v8, 7, v8
	v_cndmask_b32_e64 v4, v10, v9, s[8:9]
	v_mov_b32_e32 v0, 0x2000
	v_cndmask_b32_e64 v6, v6, v8, s[8:9]
	v_lshlrev_b32_e32 v8, 8, v36
	v_lshl_add_u32 v4, v4, 10, v0
	v_and_or_b32 v4, v8, s41, v4
	v_lshl_or_b32 v4, v6, 7, v4
	v_cvt_f32_f16_e32 v28, v4
.LBB302_212:                            ;   in Loop: Header=BB302_13 Depth=1
	s_or_b64 exec, exec, s[36:37]
.LBB302_213:                            ;   in Loop: Header=BB302_13 Depth=1
	s_or_b64 exec, exec, s[34:35]
.LBB302_214:                            ;   in Loop: Header=BB302_13 Depth=1
	s_or_b64 exec, exec, s[30:31]
	v_lshrrev_b16_e32 v38, 8, v36
	v_cmp_ne_u16_e64 s[8:9], 0, v38
	s_and_saveexec_b64 s[30:31], s[8:9]
	s_cbranch_execz .LBB302_220
; %bb.215:                              ;   in Loop: Header=BB302_13 Depth=1
	v_cmp_ne_u16_e64 s[8:9], s39, v38
	v_bfrev_b32_e32 v7, 1
	s_and_saveexec_b64 s[34:35], s[8:9]
	s_cbranch_execz .LBB302_219
; %bb.216:                              ;   in Loop: Header=BB302_13 Depth=1
	v_and_b32_e32 v4, 0x7f, v38
	v_cmp_ne_u32_e64 s[8:9], s40, v4
	v_mov_b32_e32 v7, 0x7fc02000
	s_and_saveexec_b64 s[36:37], s[8:9]
	s_cbranch_execz .LBB302_218
; %bb.217:                              ;   in Loop: Header=BB302_13 Depth=1
	v_and_b32_e32 v8, 7, v38
	v_ffbh_u32_e32 v6, v8
	v_min_u32_e32 v10, 32, v6
	v_subrev_u32_e32 v6, 28, v10
	v_lshlrev_b64 v[6:7], v6, v[38:39]
	v_lshrrev_b32_e32 v9, 3, v4
	v_sub_u32_e32 v7, 29, v10
	v_cmp_gt_u32_e64 s[8:9], 8, v4
	v_cndmask_b32_e64 v4, v9, v7, s[8:9]
	v_mov_b32_e32 v0, 0x2000
	v_and_b32_e32 v6, 7, v6
	v_lshlrev_b32_e32 v7, 8, v38
	v_lshl_add_u32 v4, v4, 10, v0
	v_cndmask_b32_e64 v6, v8, v6, s[8:9]
	v_and_or_b32 v4, v7, s41, v4
	v_lshl_or_b32 v4, v6, 7, v4
	v_cvt_f32_f16_e32 v7, v4
.LBB302_218:                            ;   in Loop: Header=BB302_13 Depth=1
	s_or_b64 exec, exec, s[36:37]
.LBB302_219:                            ;   in Loop: Header=BB302_13 Depth=1
	s_or_b64 exec, exec, s[34:35]
.LBB302_220:                            ;   in Loop: Header=BB302_13 Depth=1
	s_or_b64 exec, exec, s[30:31]
	v_lshrrev_b32_e32 v38, 16, v36
	v_mov_b32_e32 v0, 0
	v_cmp_ne_u16_sdwa s[8:9], v38, v0 src0_sel:BYTE_0 src1_sel:DWORD
	v_mov_b32_e32 v8, 0
	v_mov_b32_e32 v9, 0
	s_and_saveexec_b64 s[30:31], s[8:9]
	s_cbranch_execz .LBB302_226
; %bb.221:                              ;   in Loop: Header=BB302_13 Depth=1
	v_cmp_ne_u16_sdwa s[8:9], v38, s39 src0_sel:BYTE_0 src1_sel:DWORD
	v_bfrev_b32_e32 v9, 1
	s_and_saveexec_b64 s[34:35], s[8:9]
	s_cbranch_execz .LBB302_225
; %bb.222:                              ;   in Loop: Header=BB302_13 Depth=1
	v_bfe_u32 v4, v36, 16, 7
	v_cmp_ne_u32_e64 s[8:9], s40, v4
	v_mov_b32_e32 v9, 0x7fc02000
	s_and_saveexec_b64 s[36:37], s[8:9]
	s_cbranch_execz .LBB302_224
; %bb.223:                              ;   in Loop: Header=BB302_13 Depth=1
	v_and_b32_e32 v6, 7, v38
	v_ffbh_u32_e32 v10, v6
	v_min_u32_e32 v10, 32, v10
	v_lshrrev_b32_e32 v9, 3, v4
	v_subrev_u32_e32 v11, 28, v10
	v_sub_u32_e32 v10, 29, v10
	v_cmp_gt_u32_e64 s[8:9], 8, v4
	v_lshlrev_b64 v[20:21], v11, v[38:39]
	v_cndmask_b32_e64 v4, v9, v10, s[8:9]
	v_mov_b32_e32 v0, 0x2000
	v_and_b32_e32 v11, 7, v20
	v_lshlrev_b32_e32 v9, 8, v38
	v_lshl_add_u32 v4, v4, 10, v0
	v_cndmask_b32_e64 v6, v6, v11, s[8:9]
	v_and_or_b32 v4, v9, s41, v4
	v_lshl_or_b32 v4, v6, 7, v4
	v_cvt_f32_f16_e32 v9, v4
.LBB302_224:                            ;   in Loop: Header=BB302_13 Depth=1
	s_or_b64 exec, exec, s[36:37]
.LBB302_225:                            ;   in Loop: Header=BB302_13 Depth=1
	s_or_b64 exec, exec, s[34:35]
.LBB302_226:                            ;   in Loop: Header=BB302_13 Depth=1
	s_or_b64 exec, exec, s[30:31]
	v_cmp_lt_u32_e64 s[8:9], s42, v36
	s_and_saveexec_b64 s[30:31], s[8:9]
	s_cbranch_execz .LBB302_232
; %bb.227:                              ;   in Loop: Header=BB302_13 Depth=1
	v_lshrrev_b32_e32 v36, 24, v36
	v_cmp_ne_u32_e64 s[8:9], s39, v36
	v_bfrev_b32_e32 v8, 1
	s_and_saveexec_b64 s[34:35], s[8:9]
	s_cbranch_execz .LBB302_231
; %bb.228:                              ;   in Loop: Header=BB302_13 Depth=1
	v_and_b32_e32 v4, 0x7f, v36
	v_cmp_ne_u32_e64 s[8:9], s40, v4
	v_mov_b32_e32 v8, 0x7fc02000
	s_and_saveexec_b64 s[36:37], s[8:9]
	s_cbranch_execz .LBB302_230
; %bb.229:                              ;   in Loop: Header=BB302_13 Depth=1
	v_and_b32_e32 v6, 7, v36
	v_ffbh_u32_e32 v10, v6
	v_min_u32_e32 v10, 32, v10
	v_lshrrev_b32_e32 v8, 3, v4
	v_subrev_u32_e32 v11, 28, v10
	v_sub_u32_e32 v10, 29, v10
	v_cmp_gt_u32_e64 s[8:9], 8, v4
	v_lshlrev_b64 v[20:21], v11, v[36:37]
	v_cndmask_b32_e64 v4, v8, v10, s[8:9]
	v_mov_b32_e32 v0, 0x2000
	v_and_b32_e32 v11, 7, v20
	v_lshlrev_b32_e32 v8, 8, v36
	v_lshl_add_u32 v4, v4, 10, v0
	v_cndmask_b32_e64 v6, v6, v11, s[8:9]
	v_and_or_b32 v4, v8, s41, v4
	v_lshl_or_b32 v4, v6, 7, v4
	v_cvt_f32_f16_e32 v8, v4
.LBB302_230:                            ;   in Loop: Header=BB302_13 Depth=1
	s_or_b64 exec, exec, s[36:37]
.LBB302_231:                            ;   in Loop: Header=BB302_13 Depth=1
	s_or_b64 exec, exec, s[34:35]
.LBB302_232:                            ;   in Loop: Header=BB302_13 Depth=1
	s_or_b64 exec, exec, s[30:31]
	flat_load_dword v36, v[34:35] offset:2056
	v_mov_b32_e32 v0, 0
	v_mov_b32_e32 v58, 0
	;; [unrolled: 1-line block ×3, first 2 shown]
	s_waitcnt vmcnt(0) lgkmcnt(0)
	v_cmp_ne_u16_sdwa s[8:9], v36, v0 src0_sel:BYTE_0 src1_sel:DWORD
	s_and_saveexec_b64 s[30:31], s[8:9]
	s_cbranch_execz .LBB302_238
; %bb.233:                              ;   in Loop: Header=BB302_13 Depth=1
	v_cmp_ne_u16_sdwa s[8:9], v36, s39 src0_sel:BYTE_0 src1_sel:DWORD
	v_bfrev_b32_e32 v22, 1
	s_and_saveexec_b64 s[34:35], s[8:9]
	s_cbranch_execz .LBB302_237
; %bb.234:                              ;   in Loop: Header=BB302_13 Depth=1
	v_and_b32_e32 v4, 0x7f, v36
	v_cmp_ne_u32_e64 s[8:9], s40, v4
	v_mov_b32_e32 v22, 0x7fc02000
	s_and_saveexec_b64 s[36:37], s[8:9]
	s_cbranch_execz .LBB302_236
; %bb.235:                              ;   in Loop: Header=BB302_13 Depth=1
	v_and_b32_e32 v6, 7, v36
	v_ffbh_u32_e32 v11, v6
	v_min_u32_e32 v11, 32, v11
	v_lshrrev_b32_e32 v10, 3, v4
	v_subrev_u32_e32 v20, 28, v11
	v_sub_u32_e32 v11, 29, v11
	v_cmp_gt_u32_e64 s[8:9], 8, v4
	v_lshlrev_b64 v[20:21], v20, v[36:37]
	v_cndmask_b32_e64 v4, v10, v11, s[8:9]
	v_mov_b32_e32 v0, 0x2000
	v_and_b32_e32 v20, 7, v20
	v_lshlrev_b32_e32 v10, 8, v36
	v_lshl_add_u32 v4, v4, 10, v0
	v_cndmask_b32_e64 v6, v6, v20, s[8:9]
	v_and_or_b32 v4, v10, s41, v4
	v_lshl_or_b32 v4, v6, 7, v4
	v_cvt_f32_f16_e32 v22, v4
.LBB302_236:                            ;   in Loop: Header=BB302_13 Depth=1
	s_or_b64 exec, exec, s[36:37]
.LBB302_237:                            ;   in Loop: Header=BB302_13 Depth=1
	s_or_b64 exec, exec, s[34:35]
.LBB302_238:                            ;   in Loop: Header=BB302_13 Depth=1
	s_or_b64 exec, exec, s[30:31]
	v_lshrrev_b16_e32 v38, 8, v36
	v_cmp_ne_u16_e64 s[8:9], 0, v38
	s_and_saveexec_b64 s[30:31], s[8:9]
	s_cbranch_execz .LBB302_244
; %bb.239:                              ;   in Loop: Header=BB302_13 Depth=1
	v_cmp_ne_u16_e64 s[8:9], s39, v38
	v_bfrev_b32_e32 v58, 1
	s_and_saveexec_b64 s[34:35], s[8:9]
	s_cbranch_execz .LBB302_243
; %bb.240:                              ;   in Loop: Header=BB302_13 Depth=1
	v_and_b32_e32 v4, 0x7f, v38
	v_cmp_ne_u32_e64 s[8:9], s40, v4
	v_mov_b32_e32 v58, 0x7fc02000
	s_and_saveexec_b64 s[36:37], s[8:9]
	s_cbranch_execz .LBB302_242
; %bb.241:                              ;   in Loop: Header=BB302_13 Depth=1
	v_and_b32_e32 v6, 7, v38
	v_ffbh_u32_e32 v11, v6
	v_min_u32_e32 v11, 32, v11
	v_lshrrev_b32_e32 v10, 3, v4
	v_subrev_u32_e32 v20, 28, v11
	v_sub_u32_e32 v11, 29, v11
	v_cmp_gt_u32_e64 s[8:9], 8, v4
	v_lshlrev_b64 v[20:21], v20, v[38:39]
	v_cndmask_b32_e64 v4, v10, v11, s[8:9]
	v_mov_b32_e32 v0, 0x2000
	v_and_b32_e32 v20, 7, v20
	v_lshlrev_b32_e32 v10, 8, v38
	v_lshl_add_u32 v4, v4, 10, v0
	v_cndmask_b32_e64 v6, v6, v20, s[8:9]
	v_and_or_b32 v4, v10, s41, v4
	v_lshl_or_b32 v4, v6, 7, v4
	v_cvt_f32_f16_e32 v58, v4
.LBB302_242:                            ;   in Loop: Header=BB302_13 Depth=1
	s_or_b64 exec, exec, s[36:37]
.LBB302_243:                            ;   in Loop: Header=BB302_13 Depth=1
	s_or_b64 exec, exec, s[34:35]
.LBB302_244:                            ;   in Loop: Header=BB302_13 Depth=1
	s_or_b64 exec, exec, s[30:31]
	v_lshrrev_b32_e32 v38, 16, v36
	v_mov_b32_e32 v0, 0
	v_cmp_ne_u16_sdwa s[8:9], v38, v0 src0_sel:BYTE_0 src1_sel:DWORD
	v_mov_b32_e32 v6, 0
	v_mov_b32_e32 v44, 0
	s_and_saveexec_b64 s[30:31], s[8:9]
	s_cbranch_execz .LBB302_250
; %bb.245:                              ;   in Loop: Header=BB302_13 Depth=1
	v_cmp_ne_u16_sdwa s[8:9], v38, s39 src0_sel:BYTE_0 src1_sel:DWORD
	v_bfrev_b32_e32 v44, 1
	s_and_saveexec_b64 s[34:35], s[8:9]
	s_cbranch_execz .LBB302_249
; %bb.246:                              ;   in Loop: Header=BB302_13 Depth=1
	v_bfe_u32 v4, v36, 16, 7
	v_cmp_ne_u32_e64 s[8:9], s40, v4
	v_mov_b32_e32 v44, 0x7fc02000
	s_and_saveexec_b64 s[36:37], s[8:9]
	s_cbranch_execz .LBB302_248
; %bb.247:                              ;   in Loop: Header=BB302_13 Depth=1
	v_and_b32_e32 v10, 7, v38
	v_ffbh_u32_e32 v20, v10
	v_min_u32_e32 v24, 32, v20
	v_subrev_u32_e32 v20, 28, v24
	v_lshlrev_b64 v[20:21], v20, v[38:39]
	v_lshrrev_b32_e32 v11, 3, v4
	v_sub_u32_e32 v21, 29, v24
	v_cmp_gt_u32_e64 s[8:9], 8, v4
	v_cndmask_b32_e64 v4, v11, v21, s[8:9]
	v_mov_b32_e32 v0, 0x2000
	v_and_b32_e32 v20, 7, v20
	v_lshlrev_b32_e32 v11, 8, v38
	v_lshl_add_u32 v4, v4, 10, v0
	v_cndmask_b32_e64 v10, v10, v20, s[8:9]
	v_and_or_b32 v4, v11, s41, v4
	v_lshl_or_b32 v4, v10, 7, v4
	v_cvt_f32_f16_e32 v44, v4
.LBB302_248:                            ;   in Loop: Header=BB302_13 Depth=1
	s_or_b64 exec, exec, s[36:37]
.LBB302_249:                            ;   in Loop: Header=BB302_13 Depth=1
	s_or_b64 exec, exec, s[34:35]
.LBB302_250:                            ;   in Loop: Header=BB302_13 Depth=1
	s_or_b64 exec, exec, s[30:31]
	v_cmp_lt_u32_e64 s[8:9], s42, v36
	s_and_saveexec_b64 s[30:31], s[8:9]
	s_cbranch_execz .LBB302_256
; %bb.251:                              ;   in Loop: Header=BB302_13 Depth=1
	v_lshrrev_b32_e32 v36, 24, v36
	v_cmp_ne_u32_e64 s[8:9], s39, v36
	v_bfrev_b32_e32 v6, 1
	s_and_saveexec_b64 s[34:35], s[8:9]
	s_cbranch_execz .LBB302_255
; %bb.252:                              ;   in Loop: Header=BB302_13 Depth=1
	v_and_b32_e32 v4, 0x7f, v36
	v_cmp_ne_u32_e64 s[8:9], s40, v4
	v_mov_b32_e32 v6, 0x7fc02000
	s_and_saveexec_b64 s[36:37], s[8:9]
	s_cbranch_execz .LBB302_254
; %bb.253:                              ;   in Loop: Header=BB302_13 Depth=1
	v_and_b32_e32 v6, 7, v36
	v_ffbh_u32_e32 v11, v6
	v_min_u32_e32 v11, 32, v11
	v_lshrrev_b32_e32 v10, 3, v4
	v_subrev_u32_e32 v20, 28, v11
	v_sub_u32_e32 v11, 29, v11
	v_cmp_gt_u32_e64 s[8:9], 8, v4
	v_lshlrev_b64 v[20:21], v20, v[36:37]
	v_cndmask_b32_e64 v4, v10, v11, s[8:9]
	v_mov_b32_e32 v0, 0x2000
	v_and_b32_e32 v20, 7, v20
	v_lshlrev_b32_e32 v10, 8, v36
	v_lshl_add_u32 v4, v4, 10, v0
	v_cndmask_b32_e64 v6, v6, v20, s[8:9]
	v_and_or_b32 v4, v10, s41, v4
	v_lshl_or_b32 v4, v6, 7, v4
	v_cvt_f32_f16_e32 v6, v4
.LBB302_254:                            ;   in Loop: Header=BB302_13 Depth=1
	s_or_b64 exec, exec, s[36:37]
.LBB302_255:                            ;   in Loop: Header=BB302_13 Depth=1
	s_or_b64 exec, exec, s[34:35]
.LBB302_256:                            ;   in Loop: Header=BB302_13 Depth=1
	s_or_b64 exec, exec, s[30:31]
	flat_load_dword v36, v[34:35] offset:2560
	v_mov_b32_e32 v0, 0
	v_mov_b32_e32 v25, 0
	;; [unrolled: 1-line block ×3, first 2 shown]
	s_waitcnt vmcnt(0) lgkmcnt(0)
	v_cmp_ne_u16_sdwa s[8:9], v36, v0 src0_sel:BYTE_0 src1_sel:DWORD
	s_and_saveexec_b64 s[30:31], s[8:9]
	s_cbranch_execz .LBB302_262
; %bb.257:                              ;   in Loop: Header=BB302_13 Depth=1
	v_cmp_ne_u16_sdwa s[8:9], v36, s39 src0_sel:BYTE_0 src1_sel:DWORD
	v_bfrev_b32_e32 v24, 1
	s_and_saveexec_b64 s[34:35], s[8:9]
	s_cbranch_execz .LBB302_261
; %bb.258:                              ;   in Loop: Header=BB302_13 Depth=1
	v_and_b32_e32 v4, 0x7f, v36
	v_cmp_ne_u32_e64 s[8:9], s40, v4
	v_mov_b32_e32 v24, 0x7fc02000
	s_and_saveexec_b64 s[36:37], s[8:9]
	s_cbranch_execz .LBB302_260
; %bb.259:                              ;   in Loop: Header=BB302_13 Depth=1
	v_and_b32_e32 v10, 7, v36
	v_ffbh_u32_e32 v20, v10
	v_min_u32_e32 v24, 32, v20
	v_subrev_u32_e32 v20, 28, v24
	v_lshlrev_b64 v[20:21], v20, v[36:37]
	v_lshrrev_b32_e32 v11, 3, v4
	v_sub_u32_e32 v21, 29, v24
	v_cmp_gt_u32_e64 s[8:9], 8, v4
	v_cndmask_b32_e64 v4, v11, v21, s[8:9]
	v_mov_b32_e32 v0, 0x2000
	v_and_b32_e32 v20, 7, v20
	v_lshlrev_b32_e32 v11, 8, v36
	v_lshl_add_u32 v4, v4, 10, v0
	v_cndmask_b32_e64 v10, v10, v20, s[8:9]
	v_and_or_b32 v4, v11, s41, v4
	v_lshl_or_b32 v4, v10, 7, v4
	v_cvt_f32_f16_e32 v24, v4
.LBB302_260:                            ;   in Loop: Header=BB302_13 Depth=1
	s_or_b64 exec, exec, s[36:37]
.LBB302_261:                            ;   in Loop: Header=BB302_13 Depth=1
	s_or_b64 exec, exec, s[34:35]
.LBB302_262:                            ;   in Loop: Header=BB302_13 Depth=1
	s_or_b64 exec, exec, s[30:31]
	v_lshrrev_b16_e32 v38, 8, v36
	v_cmp_ne_u16_e64 s[8:9], 0, v38
	s_and_saveexec_b64 s[30:31], s[8:9]
	s_cbranch_execz .LBB302_268
; %bb.263:                              ;   in Loop: Header=BB302_13 Depth=1
	v_cmp_ne_u16_e64 s[8:9], s39, v38
	v_bfrev_b32_e32 v25, 1
	s_and_saveexec_b64 s[34:35], s[8:9]
	s_cbranch_execz .LBB302_267
; %bb.264:                              ;   in Loop: Header=BB302_13 Depth=1
	v_and_b32_e32 v4, 0x7f, v38
	v_cmp_ne_u32_e64 s[8:9], s40, v4
	v_mov_b32_e32 v25, 0x7fc02000
	s_and_saveexec_b64 s[36:37], s[8:9]
	s_cbranch_execz .LBB302_266
; %bb.265:                              ;   in Loop: Header=BB302_13 Depth=1
	v_and_b32_e32 v10, 7, v38
	v_ffbh_u32_e32 v20, v10
	v_min_u32_e32 v25, 32, v20
	v_subrev_u32_e32 v20, 28, v25
	v_lshlrev_b64 v[20:21], v20, v[38:39]
	v_lshrrev_b32_e32 v11, 3, v4
	v_sub_u32_e32 v21, 29, v25
	v_cmp_gt_u32_e64 s[8:9], 8, v4
	v_cndmask_b32_e64 v4, v11, v21, s[8:9]
	v_mov_b32_e32 v0, 0x2000
	v_and_b32_e32 v20, 7, v20
	v_lshlrev_b32_e32 v11, 8, v38
	v_lshl_add_u32 v4, v4, 10, v0
	v_cndmask_b32_e64 v10, v10, v20, s[8:9]
	v_and_or_b32 v4, v11, s41, v4
	v_lshl_or_b32 v4, v10, 7, v4
	v_cvt_f32_f16_e32 v25, v4
.LBB302_266:                            ;   in Loop: Header=BB302_13 Depth=1
	s_or_b64 exec, exec, s[36:37]
.LBB302_267:                            ;   in Loop: Header=BB302_13 Depth=1
	s_or_b64 exec, exec, s[34:35]
.LBB302_268:                            ;   in Loop: Header=BB302_13 Depth=1
	s_or_b64 exec, exec, s[30:31]
	v_lshrrev_b32_e32 v38, 16, v36
	v_mov_b32_e32 v0, 0
	v_cmp_ne_u16_sdwa s[8:9], v38, v0 src0_sel:BYTE_0 src1_sel:DWORD
	v_mov_b32_e32 v61, 0
	v_mov_b32_e32 v62, 0
	s_and_saveexec_b64 s[30:31], s[8:9]
	s_cbranch_execz .LBB302_274
; %bb.269:                              ;   in Loop: Header=BB302_13 Depth=1
	v_cmp_ne_u16_sdwa s[8:9], v38, s39 src0_sel:BYTE_0 src1_sel:DWORD
	v_bfrev_b32_e32 v62, 1
	s_and_saveexec_b64 s[34:35], s[8:9]
	s_cbranch_execz .LBB302_273
; %bb.270:                              ;   in Loop: Header=BB302_13 Depth=1
	v_bfe_u32 v4, v36, 16, 7
	v_cmp_ne_u32_e64 s[8:9], s40, v4
	v_mov_b32_e32 v62, 0x7fc02000
	s_and_saveexec_b64 s[36:37], s[8:9]
	s_cbranch_execz .LBB302_272
; %bb.271:                              ;   in Loop: Header=BB302_13 Depth=1
	v_and_b32_e32 v10, 7, v38
	v_ffbh_u32_e32 v20, v10
	v_min_u32_e32 v26, 32, v20
	v_subrev_u32_e32 v20, 28, v26
	v_lshlrev_b64 v[20:21], v20, v[38:39]
	v_lshrrev_b32_e32 v11, 3, v4
	v_sub_u32_e32 v21, 29, v26
	v_cmp_gt_u32_e64 s[8:9], 8, v4
	v_cndmask_b32_e64 v4, v11, v21, s[8:9]
	v_mov_b32_e32 v0, 0x2000
	v_and_b32_e32 v20, 7, v20
	v_lshlrev_b32_e32 v11, 8, v38
	v_lshl_add_u32 v4, v4, 10, v0
	v_cndmask_b32_e64 v10, v10, v20, s[8:9]
	v_and_or_b32 v4, v11, s41, v4
	v_lshl_or_b32 v4, v10, 7, v4
	v_cvt_f32_f16_e32 v62, v4
.LBB302_272:                            ;   in Loop: Header=BB302_13 Depth=1
	s_or_b64 exec, exec, s[36:37]
.LBB302_273:                            ;   in Loop: Header=BB302_13 Depth=1
	s_or_b64 exec, exec, s[34:35]
.LBB302_274:                            ;   in Loop: Header=BB302_13 Depth=1
	s_or_b64 exec, exec, s[30:31]
	v_cmp_lt_u32_e64 s[8:9], s42, v36
	s_and_saveexec_b64 s[30:31], s[8:9]
	s_cbranch_execz .LBB302_280
; %bb.275:                              ;   in Loop: Header=BB302_13 Depth=1
	v_lshrrev_b32_e32 v36, 24, v36
	v_cmp_ne_u32_e64 s[8:9], s39, v36
	v_bfrev_b32_e32 v61, 1
	s_and_saveexec_b64 s[34:35], s[8:9]
	s_cbranch_execz .LBB302_279
; %bb.276:                              ;   in Loop: Header=BB302_13 Depth=1
	v_and_b32_e32 v4, 0x7f, v36
	v_cmp_ne_u32_e64 s[8:9], s40, v4
	v_mov_b32_e32 v61, 0x7fc02000
	s_and_saveexec_b64 s[36:37], s[8:9]
	s_cbranch_execz .LBB302_278
; %bb.277:                              ;   in Loop: Header=BB302_13 Depth=1
	v_and_b32_e32 v10, 7, v36
	v_ffbh_u32_e32 v20, v10
	v_min_u32_e32 v26, 32, v20
	v_subrev_u32_e32 v20, 28, v26
	v_lshlrev_b64 v[20:21], v20, v[36:37]
	v_lshrrev_b32_e32 v11, 3, v4
	v_sub_u32_e32 v21, 29, v26
	v_cmp_gt_u32_e64 s[8:9], 8, v4
	v_cndmask_b32_e64 v4, v11, v21, s[8:9]
	v_mov_b32_e32 v0, 0x2000
	v_and_b32_e32 v20, 7, v20
	v_lshlrev_b32_e32 v11, 8, v36
	v_lshl_add_u32 v4, v4, 10, v0
	v_cndmask_b32_e64 v10, v10, v20, s[8:9]
	v_and_or_b32 v4, v11, s41, v4
	v_lshl_or_b32 v4, v10, 7, v4
	v_cvt_f32_f16_e32 v61, v4
.LBB302_278:                            ;   in Loop: Header=BB302_13 Depth=1
	s_or_b64 exec, exec, s[36:37]
.LBB302_279:                            ;   in Loop: Header=BB302_13 Depth=1
	s_or_b64 exec, exec, s[34:35]
.LBB302_280:                            ;   in Loop: Header=BB302_13 Depth=1
	s_or_b64 exec, exec, s[30:31]
	flat_load_dword v36, v[34:35] offset:2568
	v_mov_b32_e32 v0, 0
	v_mov_b32_e32 v40, 0
	;; [unrolled: 1-line block ×3, first 2 shown]
	s_waitcnt vmcnt(0) lgkmcnt(0)
	v_cmp_ne_u16_sdwa s[8:9], v36, v0 src0_sel:BYTE_0 src1_sel:DWORD
	s_and_saveexec_b64 s[30:31], s[8:9]
	s_cbranch_execz .LBB302_286
; %bb.281:                              ;   in Loop: Header=BB302_13 Depth=1
	v_cmp_ne_u16_sdwa s[8:9], v36, s39 src0_sel:BYTE_0 src1_sel:DWORD
	v_bfrev_b32_e32 v27, 1
	s_and_saveexec_b64 s[34:35], s[8:9]
	s_cbranch_execz .LBB302_285
; %bb.282:                              ;   in Loop: Header=BB302_13 Depth=1
	v_and_b32_e32 v4, 0x7f, v36
	v_cmp_ne_u32_e64 s[8:9], s40, v4
	v_mov_b32_e32 v27, 0x7fc02000
	s_and_saveexec_b64 s[36:37], s[8:9]
	s_cbranch_execz .LBB302_284
; %bb.283:                              ;   in Loop: Header=BB302_13 Depth=1
	v_and_b32_e32 v10, 7, v36
	v_ffbh_u32_e32 v20, v10
	v_min_u32_e32 v26, 32, v20
	v_subrev_u32_e32 v20, 28, v26
	v_lshlrev_b64 v[20:21], v20, v[36:37]
	v_lshrrev_b32_e32 v11, 3, v4
	v_sub_u32_e32 v21, 29, v26
	v_cmp_gt_u32_e64 s[8:9], 8, v4
	v_cndmask_b32_e64 v4, v11, v21, s[8:9]
	v_mov_b32_e32 v0, 0x2000
	v_and_b32_e32 v20, 7, v20
	v_lshlrev_b32_e32 v11, 8, v36
	v_lshl_add_u32 v4, v4, 10, v0
	v_cndmask_b32_e64 v10, v10, v20, s[8:9]
	v_and_or_b32 v4, v11, s41, v4
	v_lshl_or_b32 v4, v10, 7, v4
	v_cvt_f32_f16_e32 v27, v4
.LBB302_284:                            ;   in Loop: Header=BB302_13 Depth=1
	s_or_b64 exec, exec, s[36:37]
.LBB302_285:                            ;   in Loop: Header=BB302_13 Depth=1
	s_or_b64 exec, exec, s[34:35]
.LBB302_286:                            ;   in Loop: Header=BB302_13 Depth=1
	s_or_b64 exec, exec, s[30:31]
	v_lshrrev_b16_e32 v38, 8, v36
	v_cmp_ne_u16_e64 s[8:9], 0, v38
	s_and_saveexec_b64 s[30:31], s[8:9]
	s_cbranch_execz .LBB302_292
; %bb.287:                              ;   in Loop: Header=BB302_13 Depth=1
	v_cmp_ne_u16_e64 s[8:9], s39, v38
	v_bfrev_b32_e32 v40, 1
	s_and_saveexec_b64 s[34:35], s[8:9]
	s_cbranch_execz .LBB302_291
; %bb.288:                              ;   in Loop: Header=BB302_13 Depth=1
	v_and_b32_e32 v4, 0x7f, v38
	v_cmp_ne_u32_e64 s[8:9], s40, v4
	v_mov_b32_e32 v40, 0x7fc02000
	s_and_saveexec_b64 s[36:37], s[8:9]
	s_cbranch_execz .LBB302_290
; %bb.289:                              ;   in Loop: Header=BB302_13 Depth=1
	v_and_b32_e32 v10, 7, v38
	v_ffbh_u32_e32 v20, v10
	v_min_u32_e32 v26, 32, v20
	v_subrev_u32_e32 v20, 28, v26
	v_lshlrev_b64 v[20:21], v20, v[38:39]
	v_lshrrev_b32_e32 v11, 3, v4
	v_sub_u32_e32 v21, 29, v26
	v_cmp_gt_u32_e64 s[8:9], 8, v4
	v_cndmask_b32_e64 v4, v11, v21, s[8:9]
	v_mov_b32_e32 v0, 0x2000
	v_and_b32_e32 v20, 7, v20
	v_lshlrev_b32_e32 v11, 8, v38
	v_lshl_add_u32 v4, v4, 10, v0
	v_cndmask_b32_e64 v10, v10, v20, s[8:9]
	v_and_or_b32 v4, v11, s41, v4
	v_lshl_or_b32 v4, v10, 7, v4
	v_cvt_f32_f16_e32 v40, v4
.LBB302_290:                            ;   in Loop: Header=BB302_13 Depth=1
	s_or_b64 exec, exec, s[36:37]
.LBB302_291:                            ;   in Loop: Header=BB302_13 Depth=1
	s_or_b64 exec, exec, s[34:35]
.LBB302_292:                            ;   in Loop: Header=BB302_13 Depth=1
	s_or_b64 exec, exec, s[30:31]
	v_lshrrev_b32_e32 v38, 16, v36
	v_mov_b32_e32 v0, 0
	v_cmp_ne_u16_sdwa s[8:9], v38, v0 src0_sel:BYTE_0 src1_sel:DWORD
	v_mov_b32_e32 v26, 0
	v_mov_b32_e32 v41, 0
	s_and_saveexec_b64 s[30:31], s[8:9]
	s_cbranch_execz .LBB302_298
; %bb.293:                              ;   in Loop: Header=BB302_13 Depth=1
	v_cmp_ne_u16_sdwa s[8:9], v38, s39 src0_sel:BYTE_0 src1_sel:DWORD
	v_bfrev_b32_e32 v41, 1
	s_and_saveexec_b64 s[34:35], s[8:9]
	s_cbranch_execz .LBB302_297
; %bb.294:                              ;   in Loop: Header=BB302_13 Depth=1
	v_bfe_u32 v4, v36, 16, 7
	v_cmp_ne_u32_e64 s[8:9], s40, v4
	v_mov_b32_e32 v41, 0x7fc02000
	s_and_saveexec_b64 s[36:37], s[8:9]
	s_cbranch_execz .LBB302_296
; %bb.295:                              ;   in Loop: Header=BB302_13 Depth=1
	v_and_b32_e32 v10, 7, v38
	v_ffbh_u32_e32 v20, v10
	v_min_u32_e32 v29, 32, v20
	v_subrev_u32_e32 v20, 28, v29
	v_lshlrev_b64 v[20:21], v20, v[38:39]
	v_lshrrev_b32_e32 v11, 3, v4
	v_sub_u32_e32 v21, 29, v29
	v_cmp_gt_u32_e64 s[8:9], 8, v4
	v_cndmask_b32_e64 v4, v11, v21, s[8:9]
	v_mov_b32_e32 v0, 0x2000
	v_and_b32_e32 v20, 7, v20
	v_lshlrev_b32_e32 v11, 8, v38
	v_lshl_add_u32 v4, v4, 10, v0
	v_cndmask_b32_e64 v10, v10, v20, s[8:9]
	v_and_or_b32 v4, v11, s41, v4
	v_lshl_or_b32 v4, v10, 7, v4
	v_cvt_f32_f16_e32 v41, v4
.LBB302_296:                            ;   in Loop: Header=BB302_13 Depth=1
	s_or_b64 exec, exec, s[36:37]
.LBB302_297:                            ;   in Loop: Header=BB302_13 Depth=1
	s_or_b64 exec, exec, s[34:35]
.LBB302_298:                            ;   in Loop: Header=BB302_13 Depth=1
	s_or_b64 exec, exec, s[30:31]
	v_cmp_lt_u32_e64 s[8:9], s42, v36
	s_and_saveexec_b64 s[30:31], s[8:9]
	s_cbranch_execz .LBB302_304
; %bb.299:                              ;   in Loop: Header=BB302_13 Depth=1
	v_lshrrev_b32_e32 v36, 24, v36
	v_cmp_ne_u32_e64 s[8:9], s39, v36
	v_bfrev_b32_e32 v26, 1
	s_and_saveexec_b64 s[34:35], s[8:9]
	s_cbranch_execz .LBB302_303
; %bb.300:                              ;   in Loop: Header=BB302_13 Depth=1
	v_and_b32_e32 v4, 0x7f, v36
	v_cmp_ne_u32_e64 s[8:9], s40, v4
	v_mov_b32_e32 v26, 0x7fc02000
	s_and_saveexec_b64 s[36:37], s[8:9]
	s_cbranch_execz .LBB302_302
; %bb.301:                              ;   in Loop: Header=BB302_13 Depth=1
	v_and_b32_e32 v10, 7, v36
	v_ffbh_u32_e32 v20, v10
	v_min_u32_e32 v26, 32, v20
	v_subrev_u32_e32 v20, 28, v26
	v_lshlrev_b64 v[20:21], v20, v[36:37]
	v_lshrrev_b32_e32 v11, 3, v4
	v_sub_u32_e32 v21, 29, v26
	v_cmp_gt_u32_e64 s[8:9], 8, v4
	v_cndmask_b32_e64 v4, v11, v21, s[8:9]
	v_mov_b32_e32 v0, 0x2000
	v_and_b32_e32 v20, 7, v20
	v_lshlrev_b32_e32 v11, 8, v36
	v_lshl_add_u32 v4, v4, 10, v0
	v_cndmask_b32_e64 v10, v10, v20, s[8:9]
	v_and_or_b32 v4, v11, s41, v4
	v_lshl_or_b32 v4, v10, 7, v4
	v_cvt_f32_f16_e32 v26, v4
.LBB302_302:                            ;   in Loop: Header=BB302_13 Depth=1
	s_or_b64 exec, exec, s[36:37]
.LBB302_303:                            ;   in Loop: Header=BB302_13 Depth=1
	s_or_b64 exec, exec, s[34:35]
.LBB302_304:                            ;   in Loop: Header=BB302_13 Depth=1
	s_or_b64 exec, exec, s[30:31]
	flat_load_dword v36, v[34:35] offset:3072
	v_mov_b32_e32 v0, 0
	v_mov_b32_e32 v57, 0
	;; [unrolled: 1-line block ×3, first 2 shown]
	s_waitcnt vmcnt(0) lgkmcnt(0)
	v_cmp_ne_u16_sdwa s[8:9], v36, v0 src0_sel:BYTE_0 src1_sel:DWORD
	s_and_saveexec_b64 s[30:31], s[8:9]
	s_cbranch_execz .LBB302_310
; %bb.305:                              ;   in Loop: Header=BB302_13 Depth=1
	v_cmp_ne_u16_sdwa s[8:9], v36, s39 src0_sel:BYTE_0 src1_sel:DWORD
	v_bfrev_b32_e32 v50, 1
	s_and_saveexec_b64 s[34:35], s[8:9]
	s_cbranch_execz .LBB302_309
; %bb.306:                              ;   in Loop: Header=BB302_13 Depth=1
	v_and_b32_e32 v4, 0x7f, v36
	v_cmp_ne_u32_e64 s[8:9], s40, v4
	v_mov_b32_e32 v50, 0x7fc02000
	s_and_saveexec_b64 s[36:37], s[8:9]
	s_cbranch_execz .LBB302_308
; %bb.307:                              ;   in Loop: Header=BB302_13 Depth=1
	v_and_b32_e32 v10, 7, v36
	v_ffbh_u32_e32 v20, v10
	v_min_u32_e32 v29, 32, v20
	v_subrev_u32_e32 v20, 28, v29
	v_lshlrev_b64 v[20:21], v20, v[36:37]
	v_lshrrev_b32_e32 v11, 3, v4
	v_sub_u32_e32 v21, 29, v29
	v_cmp_gt_u32_e64 s[8:9], 8, v4
	v_cndmask_b32_e64 v4, v11, v21, s[8:9]
	v_mov_b32_e32 v0, 0x2000
	v_and_b32_e32 v20, 7, v20
	v_lshlrev_b32_e32 v11, 8, v36
	v_lshl_add_u32 v4, v4, 10, v0
	v_cndmask_b32_e64 v10, v10, v20, s[8:9]
	v_and_or_b32 v4, v11, s41, v4
	v_lshl_or_b32 v4, v10, 7, v4
	v_cvt_f32_f16_e32 v50, v4
.LBB302_308:                            ;   in Loop: Header=BB302_13 Depth=1
	s_or_b64 exec, exec, s[36:37]
.LBB302_309:                            ;   in Loop: Header=BB302_13 Depth=1
	s_or_b64 exec, exec, s[34:35]
.LBB302_310:                            ;   in Loop: Header=BB302_13 Depth=1
	s_or_b64 exec, exec, s[30:31]
	v_lshrrev_b16_e32 v38, 8, v36
	v_cmp_ne_u16_e64 s[8:9], 0, v38
	s_and_saveexec_b64 s[30:31], s[8:9]
	s_cbranch_execz .LBB302_316
; %bb.311:                              ;   in Loop: Header=BB302_13 Depth=1
	v_cmp_ne_u16_e64 s[8:9], s39, v38
	v_bfrev_b32_e32 v57, 1
	s_and_saveexec_b64 s[34:35], s[8:9]
	s_cbranch_execz .LBB302_315
; %bb.312:                              ;   in Loop: Header=BB302_13 Depth=1
	v_and_b32_e32 v4, 0x7f, v38
	v_cmp_ne_u32_e64 s[8:9], s40, v4
	v_mov_b32_e32 v57, 0x7fc02000
	s_and_saveexec_b64 s[36:37], s[8:9]
	s_cbranch_execz .LBB302_314
; %bb.313:                              ;   in Loop: Header=BB302_13 Depth=1
	v_and_b32_e32 v10, 7, v38
	v_ffbh_u32_e32 v20, v10
	v_min_u32_e32 v29, 32, v20
	v_subrev_u32_e32 v20, 28, v29
	v_lshlrev_b64 v[20:21], v20, v[38:39]
	v_lshrrev_b32_e32 v11, 3, v4
	v_sub_u32_e32 v21, 29, v29
	v_cmp_gt_u32_e64 s[8:9], 8, v4
	v_cndmask_b32_e64 v4, v11, v21, s[8:9]
	v_mov_b32_e32 v0, 0x2000
	v_and_b32_e32 v20, 7, v20
	v_lshlrev_b32_e32 v11, 8, v38
	v_lshl_add_u32 v4, v4, 10, v0
	v_cndmask_b32_e64 v10, v10, v20, s[8:9]
	v_and_or_b32 v4, v11, s41, v4
	v_lshl_or_b32 v4, v10, 7, v4
	v_cvt_f32_f16_e32 v57, v4
.LBB302_314:                            ;   in Loop: Header=BB302_13 Depth=1
	s_or_b64 exec, exec, s[36:37]
.LBB302_315:                            ;   in Loop: Header=BB302_13 Depth=1
	s_or_b64 exec, exec, s[34:35]
.LBB302_316:                            ;   in Loop: Header=BB302_13 Depth=1
	s_or_b64 exec, exec, s[30:31]
	v_lshrrev_b32_e32 v38, 16, v36
	v_mov_b32_e32 v0, 0
	v_cmp_ne_u16_sdwa s[8:9], v38, v0 src0_sel:BYTE_0 src1_sel:DWORD
	v_mov_b32_e32 v55, 0
	v_mov_b32_e32 v51, 0
	s_and_saveexec_b64 s[30:31], s[8:9]
	s_cbranch_execz .LBB302_322
; %bb.317:                              ;   in Loop: Header=BB302_13 Depth=1
	v_cmp_ne_u16_sdwa s[8:9], v38, s39 src0_sel:BYTE_0 src1_sel:DWORD
	v_bfrev_b32_e32 v51, 1
	s_and_saveexec_b64 s[34:35], s[8:9]
	s_cbranch_execz .LBB302_321
; %bb.318:                              ;   in Loop: Header=BB302_13 Depth=1
	v_bfe_u32 v4, v36, 16, 7
	v_cmp_ne_u32_e64 s[8:9], s40, v4
	v_mov_b32_e32 v51, 0x7fc02000
	s_and_saveexec_b64 s[36:37], s[8:9]
	s_cbranch_execz .LBB302_320
; %bb.319:                              ;   in Loop: Header=BB302_13 Depth=1
	v_and_b32_e32 v10, 7, v38
	v_ffbh_u32_e32 v20, v10
	v_min_u32_e32 v29, 32, v20
	v_subrev_u32_e32 v20, 28, v29
	v_lshlrev_b64 v[20:21], v20, v[38:39]
	v_lshrrev_b32_e32 v11, 3, v4
	v_sub_u32_e32 v21, 29, v29
	v_cmp_gt_u32_e64 s[8:9], 8, v4
	v_cndmask_b32_e64 v4, v11, v21, s[8:9]
	v_mov_b32_e32 v0, 0x2000
	v_and_b32_e32 v20, 7, v20
	v_lshlrev_b32_e32 v11, 8, v38
	v_lshl_add_u32 v4, v4, 10, v0
	v_cndmask_b32_e64 v10, v10, v20, s[8:9]
	v_and_or_b32 v4, v11, s41, v4
	v_lshl_or_b32 v4, v10, 7, v4
	v_cvt_f32_f16_e32 v51, v4
.LBB302_320:                            ;   in Loop: Header=BB302_13 Depth=1
	s_or_b64 exec, exec, s[36:37]
.LBB302_321:                            ;   in Loop: Header=BB302_13 Depth=1
	s_or_b64 exec, exec, s[34:35]
.LBB302_322:                            ;   in Loop: Header=BB302_13 Depth=1
	s_or_b64 exec, exec, s[30:31]
	v_cmp_lt_u32_e64 s[8:9], s42, v36
	s_and_saveexec_b64 s[30:31], s[8:9]
	s_cbranch_execz .LBB302_328
; %bb.323:                              ;   in Loop: Header=BB302_13 Depth=1
	v_lshrrev_b32_e32 v36, 24, v36
	v_cmp_ne_u32_e64 s[8:9], s39, v36
	v_bfrev_b32_e32 v55, 1
	s_and_saveexec_b64 s[34:35], s[8:9]
	s_cbranch_execz .LBB302_327
; %bb.324:                              ;   in Loop: Header=BB302_13 Depth=1
	v_and_b32_e32 v4, 0x7f, v36
	v_cmp_ne_u32_e64 s[8:9], s40, v4
	v_mov_b32_e32 v55, 0x7fc02000
	s_and_saveexec_b64 s[36:37], s[8:9]
	s_cbranch_execz .LBB302_326
; %bb.325:                              ;   in Loop: Header=BB302_13 Depth=1
	v_and_b32_e32 v10, 7, v36
	v_ffbh_u32_e32 v20, v10
	v_min_u32_e32 v29, 32, v20
	v_subrev_u32_e32 v20, 28, v29
	v_lshlrev_b64 v[20:21], v20, v[36:37]
	v_lshrrev_b32_e32 v11, 3, v4
	v_sub_u32_e32 v21, 29, v29
	v_cmp_gt_u32_e64 s[8:9], 8, v4
	v_cndmask_b32_e64 v4, v11, v21, s[8:9]
	v_mov_b32_e32 v0, 0x2000
	v_and_b32_e32 v20, 7, v20
	v_lshlrev_b32_e32 v11, 8, v36
	v_lshl_add_u32 v4, v4, 10, v0
	v_cndmask_b32_e64 v10, v10, v20, s[8:9]
	v_and_or_b32 v4, v11, s41, v4
	v_lshl_or_b32 v4, v10, 7, v4
	v_cvt_f32_f16_e32 v55, v4
.LBB302_326:                            ;   in Loop: Header=BB302_13 Depth=1
	s_or_b64 exec, exec, s[36:37]
.LBB302_327:                            ;   in Loop: Header=BB302_13 Depth=1
	s_or_b64 exec, exec, s[34:35]
.LBB302_328:                            ;   in Loop: Header=BB302_13 Depth=1
	s_or_b64 exec, exec, s[30:31]
	flat_load_dword v34, v[34:35] offset:3080
	v_mov_b32_e32 v0, 0
	v_mov_b32_e32 v38, 0
	;; [unrolled: 1-line block ×3, first 2 shown]
	s_waitcnt vmcnt(0) lgkmcnt(0)
	v_cmp_ne_u16_sdwa s[8:9], v34, v0 src0_sel:BYTE_0 src1_sel:DWORD
	s_and_saveexec_b64 s[30:31], s[8:9]
	s_cbranch_execz .LBB302_334
; %bb.329:                              ;   in Loop: Header=BB302_13 Depth=1
	v_cmp_ne_u16_sdwa s[8:9], v34, s39 src0_sel:BYTE_0 src1_sel:DWORD
	v_bfrev_b32_e32 v31, 1
	s_and_saveexec_b64 s[34:35], s[8:9]
	s_cbranch_execz .LBB302_333
; %bb.330:                              ;   in Loop: Header=BB302_13 Depth=1
	v_and_b32_e32 v4, 0x7f, v34
	v_cmp_ne_u32_e64 s[8:9], s40, v4
	v_mov_b32_e32 v31, 0x7fc02000
	s_and_saveexec_b64 s[36:37], s[8:9]
	s_cbranch_execz .LBB302_332
; %bb.331:                              ;   in Loop: Header=BB302_13 Depth=1
	v_and_b32_e32 v10, 7, v34
	v_ffbh_u32_e32 v20, v10
	v_min_u32_e32 v29, 32, v20
	v_subrev_u32_e32 v20, 28, v29
	v_lshlrev_b64 v[20:21], v20, v[34:35]
	v_lshrrev_b32_e32 v11, 3, v4
	v_sub_u32_e32 v21, 29, v29
	v_cmp_gt_u32_e64 s[8:9], 8, v4
	v_cndmask_b32_e64 v4, v11, v21, s[8:9]
	v_mov_b32_e32 v0, 0x2000
	v_and_b32_e32 v20, 7, v20
	v_lshlrev_b32_e32 v11, 8, v34
	v_lshl_add_u32 v4, v4, 10, v0
	v_cndmask_b32_e64 v10, v10, v20, s[8:9]
	v_and_or_b32 v4, v11, s41, v4
	v_lshl_or_b32 v4, v10, 7, v4
	v_cvt_f32_f16_e32 v31, v4
.LBB302_332:                            ;   in Loop: Header=BB302_13 Depth=1
	s_or_b64 exec, exec, s[36:37]
.LBB302_333:                            ;   in Loop: Header=BB302_13 Depth=1
	s_or_b64 exec, exec, s[34:35]
.LBB302_334:                            ;   in Loop: Header=BB302_13 Depth=1
	s_or_b64 exec, exec, s[30:31]
	v_lshrrev_b16_e32 v36, 8, v34
	v_cmp_ne_u16_e64 s[8:9], 0, v36
	s_and_saveexec_b64 s[30:31], s[8:9]
	s_cbranch_execz .LBB302_340
; %bb.335:                              ;   in Loop: Header=BB302_13 Depth=1
	v_cmp_ne_u16_e64 s[8:9], s39, v36
	v_bfrev_b32_e32 v38, 1
	s_and_saveexec_b64 s[34:35], s[8:9]
	s_cbranch_execz .LBB302_339
; %bb.336:                              ;   in Loop: Header=BB302_13 Depth=1
	v_and_b32_e32 v4, 0x7f, v36
	v_cmp_ne_u32_e64 s[8:9], s40, v4
	v_mov_b32_e32 v38, 0x7fc02000
	s_and_saveexec_b64 s[36:37], s[8:9]
	s_cbranch_execz .LBB302_338
; %bb.337:                              ;   in Loop: Header=BB302_13 Depth=1
	v_and_b32_e32 v10, 7, v36
	v_ffbh_u32_e32 v20, v10
	v_min_u32_e32 v29, 32, v20
	v_subrev_u32_e32 v20, 28, v29
	v_lshlrev_b64 v[20:21], v20, v[36:37]
	v_lshrrev_b32_e32 v11, 3, v4
	v_sub_u32_e32 v21, 29, v29
	v_cmp_gt_u32_e64 s[8:9], 8, v4
	v_cndmask_b32_e64 v4, v11, v21, s[8:9]
	v_mov_b32_e32 v0, 0x2000
	v_and_b32_e32 v20, 7, v20
	v_lshlrev_b32_e32 v11, 8, v36
	v_lshl_add_u32 v4, v4, 10, v0
	v_cndmask_b32_e64 v10, v10, v20, s[8:9]
	v_and_or_b32 v4, v11, s41, v4
	v_lshl_or_b32 v4, v10, 7, v4
	v_cvt_f32_f16_e32 v38, v4
.LBB302_338:                            ;   in Loop: Header=BB302_13 Depth=1
	s_or_b64 exec, exec, s[36:37]
.LBB302_339:                            ;   in Loop: Header=BB302_13 Depth=1
	s_or_b64 exec, exec, s[34:35]
.LBB302_340:                            ;   in Loop: Header=BB302_13 Depth=1
	s_or_b64 exec, exec, s[30:31]
	v_lshrrev_b32_e32 v36, 16, v34
	v_mov_b32_e32 v0, 0
	v_cmp_ne_u16_sdwa s[8:9], v36, v0 src0_sel:BYTE_0 src1_sel:DWORD
	v_mov_b32_e32 v20, 0
	v_mov_b32_e32 v21, 0
	s_and_saveexec_b64 s[30:31], s[8:9]
	s_cbranch_execz .LBB302_346
; %bb.341:                              ;   in Loop: Header=BB302_13 Depth=1
	v_cmp_ne_u16_sdwa s[8:9], v36, s39 src0_sel:BYTE_0 src1_sel:DWORD
	v_bfrev_b32_e32 v21, 1
	s_and_saveexec_b64 s[34:35], s[8:9]
	s_cbranch_execz .LBB302_345
; %bb.342:                              ;   in Loop: Header=BB302_13 Depth=1
	v_bfe_u32 v4, v34, 16, 7
	v_cmp_ne_u32_e64 s[8:9], s40, v4
	v_mov_b32_e32 v21, 0x7fc02000
	s_and_saveexec_b64 s[36:37], s[8:9]
	s_cbranch_execz .LBB302_344
; %bb.343:                              ;   in Loop: Header=BB302_13 Depth=1
	v_and_b32_e32 v21, 7, v36
	v_ffbh_u32_e32 v10, v21
	v_min_u32_e32 v35, 32, v10
	v_subrev_u32_e32 v10, 28, v35
	v_lshlrev_b64 v[10:11], v10, v[36:37]
	v_lshrrev_b32_e32 v29, 3, v4
	v_sub_u32_e32 v11, 29, v35
	v_cmp_gt_u32_e64 s[8:9], 8, v4
	v_cndmask_b32_e64 v4, v29, v11, s[8:9]
	v_mov_b32_e32 v0, 0x2000
	v_and_b32_e32 v10, 7, v10
	v_lshlrev_b32_e32 v11, 8, v36
	v_lshl_add_u32 v4, v4, 10, v0
	v_cndmask_b32_e64 v10, v21, v10, s[8:9]
	v_and_or_b32 v4, v11, s41, v4
	v_lshl_or_b32 v4, v10, 7, v4
	v_cvt_f32_f16_e32 v21, v4
.LBB302_344:                            ;   in Loop: Header=BB302_13 Depth=1
	s_or_b64 exec, exec, s[36:37]
.LBB302_345:                            ;   in Loop: Header=BB302_13 Depth=1
	s_or_b64 exec, exec, s[34:35]
.LBB302_346:                            ;   in Loop: Header=BB302_13 Depth=1
	s_or_b64 exec, exec, s[30:31]
	v_accvgpr_write_b32 a57, v1
	v_accvgpr_write_b32 a56, v3
	;; [unrolled: 1-line block ×7, first 2 shown]
	v_cmp_lt_u32_e64 s[8:9], s42, v34
	s_and_saveexec_b64 s[30:31], s[8:9]
	s_cbranch_execz .LBB302_352
; %bb.347:                              ;   in Loop: Header=BB302_13 Depth=1
	v_lshrrev_b32_e32 v34, 24, v34
	v_cmp_ne_u32_e64 s[8:9], s39, v34
	v_bfrev_b32_e32 v20, 1
	s_and_saveexec_b64 s[34:35], s[8:9]
	s_cbranch_execz .LBB302_351
; %bb.348:                              ;   in Loop: Header=BB302_13 Depth=1
	v_and_b32_e32 v4, 0x7f, v34
	v_cmp_ne_u32_e64 s[8:9], s40, v4
	v_mov_b32_e32 v20, 0x7fc02000
	s_and_saveexec_b64 s[36:37], s[8:9]
	s_cbranch_execz .LBB302_350
; %bb.349:                              ;   in Loop: Header=BB302_13 Depth=1
	v_and_b32_e32 v20, 7, v34
	v_ffbh_u32_e32 v10, v20
	v_min_u32_e32 v35, 32, v10
	v_subrev_u32_e32 v10, 28, v35
	v_lshlrev_b64 v[10:11], v10, v[34:35]
	v_lshrrev_b32_e32 v29, 3, v4
	v_sub_u32_e32 v11, 29, v35
	v_cmp_gt_u32_e64 s[8:9], 8, v4
	v_cndmask_b32_e64 v4, v29, v11, s[8:9]
	v_mov_b32_e32 v0, 0x2000
	v_and_b32_e32 v10, 7, v10
	v_lshlrev_b32_e32 v11, 8, v34
	v_lshl_add_u32 v4, v4, 10, v0
	v_cndmask_b32_e64 v10, v20, v10, s[8:9]
	v_and_or_b32 v4, v11, s41, v4
	v_lshl_or_b32 v4, v10, 7, v4
	v_cvt_f32_f16_e32 v20, v4
.LBB302_350:                            ;   in Loop: Header=BB302_13 Depth=1
	s_or_b64 exec, exec, s[36:37]
.LBB302_351:                            ;   in Loop: Header=BB302_13 Depth=1
	s_or_b64 exec, exec, s[34:35]
.LBB302_352:                            ;   in Loop: Header=BB302_13 Depth=1
	s_or_b64 exec, exec, s[30:31]
	buffer_load_dword v0, off, s[0:3], s32 offset:176 ; 4-byte Folded Reload
	v_accvgpr_read_b32 v13, a42
	ds_read_b64 v[10:11], v13
	v_fma_mixlo_f16 v35, v60, v23, 0
	v_fma_mixlo_f16 v5, v60, v30, 0
	v_and_b32_e32 v5, 0xffff, v5
	v_fma_mixlo_f16 v34, v60, v54, 0
	s_waitcnt lgkmcnt(0)
	v_lshrrev_b32_e32 v4, 16, v10
	v_and_b32_e32 v10, 0xffff, v10
	v_lshrrev_b32_e32 v29, 16, v11
	v_and_b32_e32 v11, 0xffff, v11
	v_fma_mixlo_f16 v30, v60, v50, 0
	v_fma_mixlo_f16 v50, v60, v51, 0
	;; [unrolled: 1-line block ×13, first 2 shown]
	v_and_b32_e32 v8, 0xffff, v8
	v_fma_mixlo_f16 v28, v60, v28, 0
	v_fma_mixlo_f16 v9, v60, v9, 0
	v_and_b32_e32 v7, 0xffff, v7
	v_fma_mixlo_f16 v58, v60, v58, 0
	v_fma_mixlo_f16 v44, v60, v44, 0
	;; [unrolled: 1-line block ×5, first 2 shown]
	s_waitcnt vmcnt(0)
	v_fma_mixlo_f16 v36, v60, v0, 0
	buffer_load_dword v0, off, s[0:3], s32 offset:180 ; 4-byte Folded Reload
	;;#ASMSTART
	v_cvt_f32_f16 v1, v10;
	;;#ASMEND
	v_and_b32_e32 v10, 0xffff, v36
	;;#ASMSTART
	v_cvt_f32_f16 v4, v4;
	;;#ASMEND
	;;#ASMSTART
	v_cvt_f32_f16 v36, v10;
	;;#ASMEND
	v_and_b32_e32 v10, 0xffff, v35
	s_waitcnt vmcnt(0)
	v_fma_mixlo_f16 v47, v60, v0, 0
	;;#ASMSTART
	v_cvt_f32_f16 v0, v10;
	;;#ASMEND
	;;#ASMSTART
	v_cvt_f32_f16 v3, v11;
	;;#ASMEND
	;; [unrolled: 3-line block ×4, first 2 shown]
	v_and_b32_e32 v5, 0xffff, v47
	;;#ASMSTART
	v_cvt_f32_f16 v47, v5;
	;;#ASMEND
	ds_read_b64 v[10:11], v13 offset:8
	v_and_b32_e32 v29, 0xffff, v34
	s_waitcnt lgkmcnt(0)
	v_and_b32_e32 v5, 0xffff, v10
	v_lshrrev_b32_e32 v10, 16, v10
	;;#ASMSTART
	v_cvt_f32_f16 v5, v5;
	;;#ASMEND
	;;#ASMSTART
	v_cvt_f32_f16 v10, v10;
	;;#ASMEND
	;; [unrolled: 3-line block ×3, first 2 shown]
	v_mul_f32_e32 v34, v5, v29
	v_fmac_f32_e32 v34, v1, v36
	v_fma_mixlo_f16 v1, v60, v43, 0
	v_and_b32_e32 v1, 0xffff, v1
	;;#ASMSTART
	v_cvt_f32_f16 v1, v1;
	;;#ASMEND
	v_mul_f32_e32 v35, v10, v1
	v_fmac_f32_e32 v35, v4, v0
	v_and_b32_e32 v1, 0xffff, v11
	v_fma_mixlo_f16 v4, v60, v45, 0
	v_lshrrev_b32_e32 v0, 16, v11
	;;#ASMSTART
	v_cvt_f32_f16 v1, v1;
	;;#ASMEND
	v_and_b32_e32 v4, 0xffff, v4
	;;#ASMSTART
	v_cvt_f32_f16 v0, v0;
	;;#ASMEND
	;;#ASMSTART
	v_cvt_f32_f16 v4, v4;
	;;#ASMEND
	v_mul_f32_e32 v5, v1, v4
	v_fma_mixlo_f16 v1, v60, v55, 0
	v_fma_mixlo_f16 v55, v60, v27, 0
	;; [unrolled: 1-line block ×7, first 2 shown]
	v_accvgpr_read_b32 v6, a49
	v_fma_mixlo_f16 v10, v60, v6, 0
	v_accvgpr_write_b32 a58, v1
	v_accvgpr_read_b32 v1, a56
	v_and_b32_e32 v10, 0xffff, v10
	v_fma_mixlo_f16 v29, v60, v2, 0
	v_fma_mixlo_f16 v2, v60, v52, 0
	;; [unrolled: 1-line block ×5, first 2 shown]
	v_accvgpr_read_b32 v1, a57
	v_fma_mixlo_f16 v6, v60, v31, 0
	;;#ASMSTART
	v_cvt_f32_f16 v31, v10;
	;;#ASMEND
	ds_read_b64 v[10:11], v13 offset:16
	v_fma_mixlo_f16 v16, v60, v1, 0
	v_accvgpr_read_b32 v1, a53
	v_fma_mixlo_f16 v43, v60, v18, 0
	v_fma_mixlo_f16 v18, v60, v19, 0
	v_fma_mixlo_f16 v19, v60, v1, 0
	v_accvgpr_read_b32 v1, a55
	v_fma_mixlo_f16 v23, v60, v1, 0
	v_accvgpr_read_b32 v1, a54
	v_fma_mixlo_f16 v46, v60, v1, 0
	;; [unrolled: 2-line block ×3, first 2 shown]
	v_fma_mixlo_f16 v48, v60, v56, 0
	v_fma_mixlo_f16 v56, v60, v53, 0
	;; [unrolled: 1-line block ×4, first 2 shown]
	v_fmac_f32_e32 v5, v3, v42
	v_fma_mixlo_f16 v3, v60, v21, 0
	s_waitcnt lgkmcnt(0)
	v_lshrrev_b32_e32 v21, 16, v10
	v_and_b32_e32 v10, 0xffff, v10
	v_accvgpr_read_b32 v1, a52
	v_mul_f32_e32 v0, v0, v31
	;;#ASMSTART
	v_cvt_f32_f16 v31, v10;
	;;#ASMEND
	v_and_b32_e32 v10, 0xffff, v59
	v_fma_mixlo_f16 v45, v60, v1, 0
	v_accvgpr_read_b32 v1, a51
	v_fma_mixlo_f16 v36, v60, v38, 0
	;;#ASMSTART
	v_cvt_f32_f16 v21, v21;
	;;#ASMEND
	;;#ASMSTART
	v_cvt_f32_f16 v38, v10;
	;;#ASMEND
	v_and_b32_e32 v10, 0xffff, v53
	v_fma_mixlo_f16 v1, v60, v1, 0
	;;#ASMSTART
	v_cvt_f32_f16 v53, v10;
	;;#ASMEND
	v_lshrrev_b32_e32 v10, 16, v11
	v_fmac_f32_e32 v0, v54, v47
	v_and_b32_e32 v11, 0xffff, v11
	;;#ASMSTART
	v_cvt_f32_f16 v54, v11;
	;;#ASMEND
	;;#ASMSTART
	v_cvt_f32_f16 v42, v10;
	;;#ASMEND
	v_and_b32_e32 v10, 0xffff, v45
	v_and_b32_e32 v1, 0xffff, v1
	;;#ASMSTART
	v_cvt_f32_f16 v45, v10;
	;;#ASMEND
	;;#ASMSTART
	v_cvt_f32_f16 v1, v1;
	;;#ASMEND
	ds_read_b64 v[10:11], v13 offset:24
	v_fmac_f32_e32 v0, v42, v1
	v_fmac_f32_e32 v35, v21, v53
	v_fmac_f32_e32 v34, v31, v38
	v_fmac_f32_e32 v5, v54, v45
	s_waitcnt lgkmcnt(0)
	v_lshrrev_b32_e32 v1, 16, v10
	v_and_b32_e32 v10, 0xffff, v10
	;;#ASMSTART
	v_cvt_f32_f16 v21, v10;
	;;#ASMEND
	v_and_b32_e32 v10, 0xffff, v19
	;;#ASMSTART
	v_cvt_f32_f16 v1, v1;
	;;#ASMEND
	;;#ASMSTART
	v_cvt_f32_f16 v19, v10;
	;;#ASMEND
	v_and_b32_e32 v10, 0xffff, v18
	;;#ASMSTART
	v_cvt_f32_f16 v18, v10;
	;;#ASMEND
	v_lshrrev_b32_e32 v10, 16, v11
	v_and_b32_e32 v11, 0xffff, v11
	;;#ASMSTART
	v_cvt_f32_f16 v31, v11;
	;;#ASMEND
	;;#ASMSTART
	v_cvt_f32_f16 v38, v10;
	;;#ASMEND
	v_and_b32_e32 v10, 0xffff, v23
	;;#ASMSTART
	v_cvt_f32_f16 v23, v10;
	;;#ASMEND
	v_and_b32_e32 v10, 0xffff, v46
	;;#ASMSTART
	v_cvt_f32_f16 v53, v10;
	;;#ASMEND
	ds_read_b64 v[10:11], v13 offset:32
	v_fmac_f32_e32 v35, v1, v18
	v_fmac_f32_e32 v34, v21, v19
	v_fmac_f32_e32 v5, v31, v23
	v_fmac_f32_e32 v0, v38, v53
	s_waitcnt lgkmcnt(0)
	v_lshrrev_b32_e32 v1, 16, v10
	v_and_b32_e32 v10, 0xffff, v10
	;;#ASMSTART
	v_cvt_f32_f16 v18, v10;
	;;#ASMEND
	v_and_b32_e32 v10, 0xffff, v56
	;;#ASMSTART
	v_cvt_f32_f16 v1, v1;
	;;#ASMEND
	;;#ASMSTART
	v_cvt_f32_f16 v19, v10;
	;;#ASMEND
	v_and_b32_e32 v10, 0xffff, v17
	;;#ASMSTART
	v_cvt_f32_f16 v17, v10;
	;;#ASMEND
	v_lshrrev_b32_e32 v10, 16, v11
	v_and_b32_e32 v11, 0xffff, v11
	;;#ASMSTART
	v_cvt_f32_f16 v21, v11;
	;;#ASMEND
	;;#ASMSTART
	v_cvt_f32_f16 v23, v10;
	;;#ASMEND
	v_and_b32_e32 v10, 0xffff, v16
	;;#ASMSTART
	v_cvt_f32_f16 v16, v10;
	;;#ASMEND
	v_and_b32_e32 v10, 0xffff, v43
	;; [unrolled: 38-line block ×4, first 2 shown]
	;;#ASMSTART
	v_cvt_f32_f16 v12, v10;
	;;#ASMEND
	ds_read_b64 v[10:11], v13 offset:56
	v_fmac_f32_e32 v35, v1, v16
	v_fmac_f32_e32 v0, v18, v12
	;; [unrolled: 1-line block ×4, first 2 shown]
	s_waitcnt lgkmcnt(0)
	v_lshrrev_b32_e32 v1, 16, v10
	v_and_b32_e32 v10, 0xffff, v10
	;;#ASMSTART
	v_cvt_f32_f16 v12, v10;
	;;#ASMEND
	v_and_b32_e32 v10, 0xffff, v29
	;;#ASMSTART
	v_cvt_f32_f16 v1, v1;
	;;#ASMEND
	;;#ASMSTART
	v_cvt_f32_f16 v14, v10;
	;;#ASMEND
	v_and_b32_e32 v10, 0xffff, v49
	;;#ASMSTART
	v_cvt_f32_f16 v15, v10;
	;;#ASMEND
	v_lshrrev_b32_e32 v10, 16, v11
	v_and_b32_e32 v11, 0xffff, v11
	;;#ASMSTART
	v_cvt_f32_f16 v16, v11;
	;;#ASMEND
	;;#ASMSTART
	v_cvt_f32_f16 v17, v10;
	;;#ASMEND
	v_and_b32_e32 v10, 0xffff, v4
	;;#ASMSTART
	v_cvt_f32_f16 v2, v10;
	;;#ASMEND
	;;#ASMSTART
	v_cvt_f32_f16 v8, v8;
	;;#ASMEND
	ds_read_b64 v[10:11], v13 offset:64
	v_fmac_f32_e32 v0, v17, v8
	v_fmac_f32_e32 v35, v1, v15
	;; [unrolled: 1-line block ×4, first 2 shown]
	s_waitcnt lgkmcnt(0)
	v_and_b32_e32 v8, 0xffff, v10
	v_lshrrev_b32_e32 v1, 16, v10
	;;#ASMSTART
	v_cvt_f32_f16 v10, v8;
	;;#ASMEND
	v_and_b32_e32 v8, 0xffff, v28
	;;#ASMSTART
	v_cvt_f32_f16 v1, v1;
	;;#ASMEND
	;;#ASMSTART
	v_cvt_f32_f16 v12, v8;
	;;#ASMEND
	v_and_b32_e32 v8, 0xffff, v62
	;;#ASMSTART
	v_cvt_f32_f16 v2, v8;
	;;#ASMEND
	v_lshrrev_b32_e32 v8, 16, v11
	v_and_b32_e32 v11, 0xffff, v11
	;;#ASMSTART
	v_cvt_f32_f16 v11, v11;
	;;#ASMEND
	;;#ASMSTART
	v_cvt_f32_f16 v14, v8;
	;;#ASMEND
	v_and_b32_e32 v8, 0xffff, v9
	;;#ASMSTART
	v_cvt_f32_f16 v15, v8;
	;;#ASMEND
	;;#ASMSTART
	v_cvt_f32_f16 v7, v7;
	;;#ASMEND
	ds_read_b64 v[8:9], v13 offset:72
	v_fmac_f32_e32 v35, v1, v2
	v_fmac_f32_e32 v0, v14, v7
	v_fmac_f32_e32 v34, v10, v12
	v_fmac_f32_e32 v5, v11, v15
	s_waitcnt lgkmcnt(0)
	v_lshrrev_b32_e32 v1, 16, v8
	v_and_b32_e32 v7, 0xffff, v8
	v_and_b32_e32 v8, 0xffff, v61
	;;#ASMSTART
	v_cvt_f32_f16 v7, v7;
	;;#ASMEND
	;;#ASMSTART
	v_cvt_f32_f16 v1, v1;
	;;#ASMEND
	;;#ASMSTART
	v_cvt_f32_f16 v10, v8;
	;;#ASMEND
	v_and_b32_e32 v8, 0xffff, v58
	;;#ASMSTART
	v_cvt_f32_f16 v11, v8;
	;;#ASMEND
	v_lshrrev_b32_e32 v8, 16, v9
	v_and_b32_e32 v9, 0xffff, v9
	;;#ASMSTART
	v_cvt_f32_f16 v12, v9;
	;;#ASMEND
	;;#ASMSTART
	v_cvt_f32_f16 v2, v8;
	;;#ASMEND
	v_and_b32_e32 v8, 0xffff, v44
	;;#ASMSTART
	v_cvt_f32_f16 v14, v8;
	;;#ASMEND
	v_and_b32_e32 v8, 0xffff, v22
	;;#ASMSTART
	v_cvt_f32_f16 v15, v8;
	;;#ASMEND
	ds_read_b64 v[8:9], v13 offset:80
	v_fmac_f32_e32 v34, v7, v10
	v_fmac_f32_e32 v35, v1, v11
	v_fmac_f32_e32 v5, v12, v14
	v_fmac_f32_e32 v0, v2, v15
	s_waitcnt lgkmcnt(0)
	v_lshrrev_b32_e32 v1, 16, v8
	v_and_b32_e32 v7, 0xffff, v8
	v_and_b32_e32 v8, 0xffff, v41
	;;#ASMSTART
	v_cvt_f32_f16 v7, v7;
	;;#ASMEND
	;;#ASMSTART
	v_cvt_f32_f16 v1, v1;
	;;#ASMEND
	;;#ASMSTART
	v_cvt_f32_f16 v10, v8;
	;;#ASMEND
	v_and_b32_e32 v8, 0xffff, v40
	;;#ASMSTART
	v_cvt_f32_f16 v11, v8;
	;;#ASMEND
	v_lshrrev_b32_e32 v8, 16, v9
	v_and_b32_e32 v9, 0xffff, v9
	;;#ASMSTART
	v_cvt_f32_f16 v12, v9;
	;;#ASMEND
	;;#ASMSTART
	v_cvt_f32_f16 v2, v8;
	;;#ASMEND
	v_and_b32_e32 v8, 0xffff, v25
	;;#ASMSTART
	v_cvt_f32_f16 v14, v8;
	;;#ASMEND
	v_and_b32_e32 v8, 0xffff, v24
	;; [unrolled: 38-line block ×3, first 2 shown]
	;;#ASMSTART
	v_cvt_f32_f16 v15, v8;
	;;#ASMEND
	ds_read_b64 v[8:9], v13 offset:96
	v_fmac_f32_e32 v34, v7, v10
	v_fmac_f32_e32 v35, v1, v11
	v_and_b32_e32 v4, 0xffff, v30
	v_fmac_f32_e32 v5, v12, v14
	s_waitcnt lgkmcnt(0)
	v_lshrrev_b32_e32 v1, 16, v8
	v_and_b32_e32 v7, 0xffff, v8
	v_and_b32_e32 v8, 0xffff, v57
	;;#ASMSTART
	v_cvt_f32_f16 v7, v7;
	;;#ASMEND
	;;#ASMSTART
	v_cvt_f32_f16 v1, v1;
	;;#ASMEND
	;; [unrolled: 3-line block ×4, first 2 shown]
	v_lshrrev_b32_e32 v8, 16, v9
	v_and_b32_e32 v9, 0xffff, v9
	;;#ASMSTART
	v_cvt_f32_f16 v11, v9;
	;;#ASMEND
	;;#ASMSTART
	v_cvt_f32_f16 v12, v8;
	;;#ASMEND
	v_and_b32_e32 v8, 0xffff, v50
	v_fmac_f32_e32 v0, v2, v15
	;;#ASMSTART
	v_cvt_f32_f16 v2, v8;
	;;#ASMEND
	v_accvgpr_read_b32 v8, a58
	v_and_b32_e32 v8, 0xffff, v8
	;;#ASMSTART
	v_cvt_f32_f16 v14, v8;
	;;#ASMEND
	ds_read_b64 v[8:9], v13 offset:104
	v_fmac_f32_e32 v34, v7, v4
	v_fmac_f32_e32 v35, v1, v10
	;; [unrolled: 1-line block ×3, first 2 shown]
	v_and_b32_e32 v6, 0xffff, v6
	s_waitcnt lgkmcnt(0)
	v_lshrrev_b32_e32 v1, 16, v8
	v_and_b32_e32 v4, 0xffff, v8
	v_and_b32_e32 v2, 0xffff, v36
	;;#ASMSTART
	v_cvt_f32_f16 v4, v4;
	;;#ASMEND
	;;#ASMSTART
	v_cvt_f32_f16 v1, v1;
	;;#ASMEND
	;; [unrolled: 3-line block ×4, first 2 shown]
	v_fmac_f32_e32 v35, v1, v2
	v_lshrrev_b32_e32 v1, 16, v9
	v_and_b32_e32 v2, 0xffff, v9
	v_and_b32_e32 v3, 0xffff, v3
	v_fmac_f32_e32 v0, v12, v14
	v_fmac_f32_e32 v34, v4, v6
	;;#ASMSTART
	v_cvt_f32_f16 v2, v2;
	;;#ASMEND
	;;#ASMSTART
	v_cvt_f32_f16 v1, v1;
	;;#ASMEND
	;; [unrolled: 3-line block ×3, first 2 shown]
	v_and_b32_e32 v4, 0xffff, v20
	;;#ASMSTART
	v_cvt_f32_f16 v4, v4;
	;;#ASMEND
	v_fmac_f32_e32 v5, v2, v3
	v_fmac_f32_e32 v0, v1, v4
	v_add_f32_e32 v1, v34, v35
	v_accvgpr_read_b32 v3, a47
	v_add_f32_e32 v1, v1, v5
	v_and_b32_e32 v2, 64, v3
	v_add_f32_e32 v0, v0, v1
	v_xor_b32_e32 v1, 1, v3
	v_add_u32_e32 v2, 64, v2
	v_cmp_lt_i32_e64 s[8:9], v1, v2
	v_cndmask_b32_e64 v1, v3, v1, s[8:9]
	v_lshlrev_b32_e32 v1, 2, v1
	ds_bpermute_b32 v1, v1, v0
	s_and_saveexec_b64 s[30:31], vcc
	s_cbranch_execz .LBB302_11
; %bb.353:                              ;   in Loop: Header=BB302_13 Depth=1
	v_accvgpr_read_b32 v4, a43
	v_accvgpr_read_b32 v2, a46
	;; [unrolled: 1-line block ×3, first 2 shown]
	v_add_u32_e32 v2, v2, v4
	v_add_u32_e32 v3, v3, v4
	buffer_load_dword v4, off, s[0:3], s32 offset:188 ; 4-byte Folded Reload
	v_cvt_f32_i32_e32 v2, v2
	s_waitcnt lgkmcnt(0)
	v_add_f32_e32 v0, v0, v1
	v_accvgpr_read_b32 v1, a35
	s_load_dword s8, s[22:23], 0x0
	s_waitcnt vmcnt(0)
	v_mul_f32_e32 v2, v4, v2
	v_cndmask_b32_e64 v2, 0, v2, s[6:7]
	v_fmac_f32_e32 v2, v0, v1
	buffer_load_dword v1, off, s[0:3], s32 offset:184 ; 4-byte Folded Reload
	v_accvgpr_read_b32 v4, a45
	v_accvgpr_read_b32 v0, a8
	s_waitcnt lgkmcnt(0)
	v_add_u32_e32 v4, s8, v4
	v_cmp_lt_i32_e64 s[8:9], v3, v0
	v_cndmask_b32_e64 v0, 0, v2, s[8:9]
	ds_write_b32 v4, v0
	s_waitcnt vmcnt(0)
	v_max_f32_e32 v0, v1, v1
	v_max_f32_e32 v0, v0, v2
	v_cndmask_b32_e64 v1, v1, v0, s[8:9]
	buffer_store_dword v1, off, s[0:3], s32 offset:184 ; 4-byte Folded Spill
	s_branch .LBB302_11
.LBB302_354:
	s_or_b64 exec, exec, s[28:29]
	buffer_load_dword v7, off, s[0:3], s32 offset:184 ; 4-byte Folded Reload
	v_accvgpr_read_b32 v6, a36
.LBB302_355:
	s_or_b64 exec, exec, s[20:21]
	v_mbcnt_hi_u32_b32 v0, -1, v6
	v_and_b32_e32 v1, 64, v0
	v_add_u32_e32 v1, 64, v1
	v_xor_b32_e32 v2, 32, v0
	v_cmp_lt_i32_e32 vcc, v2, v1
	v_cndmask_b32_e32 v2, v0, v2, vcc
	v_lshlrev_b32_e32 v2, 2, v2
	s_waitcnt vmcnt(0)
	ds_bpermute_b32 v3, v2, v7
	v_xor_b32_e32 v5, 16, v0
	v_max_f32_e32 v4, v7, v7
	v_cmp_lt_i32_e32 vcc, v5, v1
	v_xor_b32_e32 v6, 8, v0
	s_waitcnt lgkmcnt(0)
	v_max_f32_e32 v3, v3, v3
	v_max_f32_e32 v4, v4, v3
	v_cndmask_b32_e32 v3, v0, v5, vcc
	v_lshlrev_b32_e32 v3, 2, v3
	ds_bpermute_b32 v5, v3, v4
	v_cmp_lt_i32_e32 vcc, v6, v1
	v_xor_b32_e32 v7, 4, v0
	v_xor_b32_e32 v8, 2, v0
	s_lshr_b32 s28, s38, 16
	s_waitcnt lgkmcnt(0)
	v_max_f32_e32 v5, v5, v5
	v_max_f32_e32 v5, v4, v5
	v_cndmask_b32_e32 v4, v0, v6, vcc
	v_lshlrev_b32_e32 v4, 2, v4
	ds_bpermute_b32 v6, v4, v5
	v_cmp_lt_i32_e32 vcc, v7, v1
	s_waitcnt lgkmcnt(0)
	v_max_f32_e32 v6, v6, v6
	v_max_f32_e32 v6, v5, v6
	v_cndmask_b32_e32 v5, v0, v7, vcc
	v_lshlrev_b32_e32 v5, 2, v5
	ds_bpermute_b32 v7, v5, v6
	v_cmp_lt_i32_e32 vcc, v8, v1
	s_waitcnt lgkmcnt(0)
	v_max_f32_e32 v7, v7, v7
	v_max_f32_e32 v7, v6, v7
	v_cndmask_b32_e32 v6, v0, v8, vcc
	v_lshlrev_b32_e32 v43, 2, v6
	ds_bpermute_b32 v8, v43, v7
	v_accvgpr_read_b32 v6, a2
	v_and_b32_e32 v16, 63, v6
	v_accvgpr_read_b32 v6, a25
	v_cmp_eq_u32_e32 vcc, 0, v16
	v_lshlrev_b32_e32 v6, 2, v6
	s_and_saveexec_b64 s[6:7], vcc
	s_cbranch_execz .LBB302_357
; %bb.356:
	s_waitcnt lgkmcnt(0)
	v_max_f32_e32 v8, v8, v8
	v_max_f32_e32 v7, v7, v7
	v_max_f32_e32 v7, v7, v8
	ds_write_b32 v6, v7 offset:224
.LBB302_357:
	s_or_b64 exec, exec, s[6:7]
	v_cmp_gt_u32_e64 s[6:7], 2, v16
	s_waitcnt lgkmcnt(0)
	v_mov_b32_e32 v8, 0xff7fffff
	v_lshlrev_b32_e32 v7, 2, v16
	s_barrier
	s_and_saveexec_b64 s[8:9], s[6:7]
	s_cbranch_execz .LBB302_359
; %bb.358:
	ds_read_b32 v8, v7 offset:224
.LBB302_359:
	s_or_b64 exec, exec, s[8:9]
	v_xor_b32_e32 v9, 1, v0
	v_cmp_lt_i32_e64 s[8:9], v9, v1
	v_cndmask_b32_e64 v1, v0, v9, s[8:9]
	v_lshlrev_b32_e32 v55, 2, v1
	s_waitcnt lgkmcnt(0)
	ds_bpermute_b32 v1, v55, v8
	v_max_f32_e32 v8, v8, v8
	v_lshlrev_b32_e32 v0, 2, v0
	v_accvgpr_read_b32 v9, a11
	v_subrev_u32_e32 v9, s27, v9
	s_waitcnt lgkmcnt(0)
	v_max_f32_e32 v1, v1, v1
	v_max_f32_e32 v1, v8, v1
	v_and_b32_e32 v8, 0x100, v0
	ds_bpermute_b32 v0, v8, v1
	v_lshl_add_u32 v9, v9, 5, s19
	v_accvgpr_read_b32 v10, a8
	v_min_i32_e32 v9, v9, v10
	v_subrev_u32_e32 v1, s19, v9
	v_accvgpr_read_b32 v10, a2
	v_cmp_lt_i32_e64 s[8:9], v10, v1
	v_mov_b32_e32 v10, 0
	s_and_saveexec_b64 s[20:21], s[8:9]
	s_cbranch_execz .LBB302_363
; %bb.360:
	s_ashr_i32 s17, s16, 31
	s_lshl_b64 s[10:11], s[16:17], 2
	s_getpc_b64 s[22:23]
	s_add_u32 s22, s22, llvm.amdgcn.dynlds.offset.table@rel32@lo+4
	s_addc_u32 s23, s23, llvm.amdgcn.dynlds.offset.table@rel32@hi+12
	s_add_u32 s10, s10, s22
	s_addc_u32 s11, s11, s23
	s_load_dword s10, s[10:11], 0x0
	v_accvgpr_read_b32 v12, a2
	s_mov_b64 s[22:23], 0
	v_mov_b32_e32 v10, 0
	s_waitcnt lgkmcnt(0)
	v_lshl_add_u32 v11, v12, 2, s10
.LBB302_361:                            ; =>This Inner Loop Header: Depth=1
	ds_read_b32 v13, v11
	v_add_u32_e32 v12, 0x80, v12
	v_cmp_ge_i32_e64 s[10:11], v12, v1
	s_or_b64 s[22:23], s[10:11], s[22:23]
	s_waitcnt lgkmcnt(0)
	v_sub_f32_e32 v13, v13, v0
	v_mul_f32_e32 v13, 0x3fb8aa3b, v13
	v_exp_f32_e32 v13, v13
	ds_write_b32 v11, v13
	v_add_f32_e32 v10, v10, v13
	v_add_u32_e32 v11, 0x200, v11
	s_andn2_b64 exec, exec, s[22:23]
	s_cbranch_execnz .LBB302_361
; %bb.362:
	s_or_b64 exec, exec, s[22:23]
.LBB302_363:
	s_or_b64 exec, exec, s[20:21]
	ds_bpermute_b32 v2, v2, v10
	s_waitcnt lgkmcnt(0)
	v_add_f32_e32 v2, v10, v2
	ds_bpermute_b32 v3, v3, v2
	s_waitcnt lgkmcnt(0)
	v_add_f32_e32 v2, v2, v3
	;; [unrolled: 3-line block ×6, first 2 shown]
	s_and_saveexec_b64 s[10:11], vcc
	s_cbranch_execz .LBB302_365
; %bb.364:
	ds_write_b32 v6, v2 offset:232
.LBB302_365:
	s_or_b64 exec, exec, s[10:11]
	s_waitcnt lgkmcnt(0)
	s_barrier
	s_mov_b64 s[10:11], exec
	s_and_b64 s[6:7], s[10:11], s[6:7]
	v_accvgpr_read_b32 v10, a19
	s_mov_b64 exec, s[6:7]
	s_cbranch_execz .LBB302_367
; %bb.366:
	ds_read_b32 v2, v7 offset:232
.LBB302_367:
	s_or_b64 exec, exec, s[10:11]
	s_waitcnt lgkmcnt(0)
	ds_bpermute_b32 v3, v55, v2
	s_waitcnt lgkmcnt(0)
	v_add_f32_e32 v2, v2, v3
	ds_bpermute_b32 v2, v8, v2
	s_and_saveexec_b64 s[6:7], s[8:9]
	s_cbranch_execz .LBB302_380
; %bb.368:
	s_waitcnt lgkmcnt(0)
	v_add_f32_e32 v3, 0x358637bd, v2
	v_div_scale_f32 v4, s[8:9], v3, v3, 1.0
	v_rcp_f32_e32 v5, v4
	v_div_scale_f32 v6, vcc, 1.0, v3, 1.0
	s_movk_i32 s8, 0x7f
	v_fma_f32 v7, -v4, v5, 1.0
	v_fmac_f32_e32 v5, v7, v5
	v_mul_f32_e32 v7, v6, v5
	v_fma_f32 v8, -v4, v7, v6
	v_fmac_f32_e32 v7, v8, v5
	v_fma_f32 v4, -v4, v7, v6
	v_div_fmas_f32 v4, v4, v5, v7
	v_accvgpr_read_b32 v5, a2
	v_div_fixup_f32 v8, v4, v3, 1.0
	v_xad_u32 v3, v5, -1, v9
	v_subrev_u32_e32 v4, s19, v3
	v_cmp_lt_u32_e32 vcc, s8, v4
	s_mov_b64 s[10:11], -1
	v_accvgpr_read_b32 v3, a2
	s_and_saveexec_b64 s[8:9], vcc
	s_cbranch_execz .LBB302_377
; %bb.369:
	v_lshrrev_b32_e32 v3, 7, v4
	v_add_u32_e32 v5, -1, v3
	v_lshrrev_b32_e32 v4, 1, v5
	v_mov_b32_e32 v9, v8
	v_add_u32_e32 v4, 1, v4
	v_cmp_lt_u32_e32 vcc, 13, v5
	v_mov_b32_e32 v7, 0
	s_and_saveexec_b64 s[10:11], vcc
	s_cbranch_execz .LBB302_373
; %bb.370:
	s_ashr_i32 s17, s16, 31
	s_lshl_b64 s[20:21], s[16:17], 2
	s_getpc_b64 s[22:23]
	s_add_u32 s22, s22, llvm.amdgcn.dynlds.offset.table@rel32@lo+4
	s_addc_u32 s23, s23, llvm.amdgcn.dynlds.offset.table@rel32@hi+12
	s_add_u32 s20, s20, s22
	s_addc_u32 s21, s21, s23
	s_load_dword s19, s[20:21], 0x0
	v_accvgpr_read_b32 v6, a2
	v_and_b32_e32 v5, -8, v4
	s_mov_b32 s17, 0
	s_mov_b64 s[20:21], 0
	s_waitcnt lgkmcnt(0)
	v_lshl_add_u32 v6, v6, 2, s19
.LBB302_371:                            ; =>This Inner Loop Header: Depth=1
	ds_read2st64_b32 v[10:11], v6 offset1:2
	ds_read2st64_b32 v[12:13], v6 offset0:4 offset1:6
	ds_read2st64_b32 v[14:15], v6 offset0:8 offset1:10
	;; [unrolled: 1-line block ×3, first 2 shown]
	v_add_u32_e32 v5, -8, v5
	s_waitcnt lgkmcnt(3)
	v_pk_mul_f32 v[10:11], v[8:9], v[10:11]
	s_waitcnt lgkmcnt(2)
	v_pk_mul_f32 v[12:13], v[8:9], v[12:13]
	ds_write2st64_b32 v6, v10, v11 offset1:2
	ds_write2st64_b32 v6, v12, v13 offset0:4 offset1:6
	ds_read2st64_b32 v[12:13], v6 offset0:16 offset1:18
	s_waitcnt lgkmcnt(4)
	v_pk_mul_f32 v[10:11], v[8:9], v[14:15]
	ds_write2st64_b32 v6, v10, v11 offset0:8 offset1:10
	s_waitcnt lgkmcnt(4)
	v_pk_mul_f32 v[10:11], v[8:9], v[20:21]
	ds_write2st64_b32 v6, v10, v11 offset0:12 offset1:14
	ds_read2st64_b32 v[10:11], v6 offset0:20 offset1:22
	s_waitcnt lgkmcnt(3)
	v_pk_mul_f32 v[12:13], v[8:9], v[12:13]
	ds_read2st64_b32 v[14:15], v6 offset0:24 offset1:26
	ds_write2st64_b32 v6, v12, v13 offset0:16 offset1:18
	ds_read2st64_b32 v[12:13], v6 offset0:28 offset1:30
	s_waitcnt lgkmcnt(3)
	v_pk_mul_f32 v[10:11], v[8:9], v[10:11]
	ds_write2st64_b32 v6, v10, v11 offset0:20 offset1:22
	s_waitcnt lgkmcnt(3)
	v_pk_mul_f32 v[10:11], v[8:9], v[14:15]
	ds_write2st64_b32 v6, v10, v11 offset0:24 offset1:26
	s_waitcnt lgkmcnt(2)
	v_pk_mul_f32 v[10:11], v[8:9], v[12:13]
	s_add_i32 s17, s17, 16
	v_cmp_eq_u32_e32 vcc, 0, v5
	ds_write2st64_b32 v6, v10, v11 offset0:28 offset1:30
	v_add_u32_e32 v6, 0x2000, v6
	s_or_b64 s[20:21], vcc, s[20:21]
	v_mov_b32_e32 v7, s17
	s_andn2_b64 exec, exec, s[20:21]
	s_cbranch_execnz .LBB302_371
; %bb.372:
	s_or_b64 exec, exec, s[20:21]
	v_accvgpr_read_b32 v10, a19
.LBB302_373:
	s_or_b64 exec, exec, s[10:11]
	v_and_b32_e32 v4, 7, v4
	v_cmp_ne_u32_e32 vcc, 0, v4
	s_and_saveexec_b64 s[10:11], vcc
	s_cbranch_execz .LBB302_376
; %bb.374:
	s_ashr_i32 s17, s16, 31
	s_lshl_b64 s[20:21], s[16:17], 2
	s_getpc_b64 s[22:23]
	s_add_u32 s22, s22, llvm.amdgcn.dynlds.offset.table@rel32@lo+4
	s_addc_u32 s23, s23, llvm.amdgcn.dynlds.offset.table@rel32@hi+12
	s_add_u32 s20, s20, s22
	s_addc_u32 s21, s21, s23
	s_load_dword s17, s[20:21], 0x0
	v_accvgpr_read_b32 v6, a2
	v_lshlrev_b32_e32 v5, 9, v7
	v_lshlrev_b32_e32 v6, 2, v6
	s_mov_b64 s[20:21], 0
	s_waitcnt lgkmcnt(0)
	v_add3_u32 v5, v5, v6, s17
.LBB302_375:                            ; =>This Inner Loop Header: Depth=1
	ds_read2st64_b32 v[6:7], v5 offset1:2
	v_add_u32_e32 v4, -1, v4
	v_cmp_eq_u32_e32 vcc, 0, v4
	s_or_b64 s[20:21], vcc, s[20:21]
	s_waitcnt lgkmcnt(0)
	v_pk_mul_f32 v[6:7], v[8:9], v[6:7]
	ds_write2st64_b32 v5, v6, v7 offset1:2
	v_add_u32_e32 v5, 0x400, v5
	s_andn2_b64 exec, exec, s[20:21]
	s_cbranch_execnz .LBB302_375
.LBB302_376:
	s_or_b64 exec, exec, s[10:11]
	v_add_u32_e32 v4, 1, v3
	v_and_b32_e32 v5, 0x3fffffe, v4
	v_accvgpr_read_b32 v3, a2
	v_cmp_ne_u32_e32 vcc, v4, v5
	v_lshl_add_u32 v3, v5, 7, v3
	s_orn2_b64 s[10:11], vcc, exec
.LBB302_377:
	s_or_b64 exec, exec, s[8:9]
	s_and_b64 exec, exec, s[10:11]
	s_cbranch_execz .LBB302_380
; %bb.378:
	s_ashr_i32 s17, s16, 31
	s_lshl_b64 s[8:9], s[16:17], 2
	s_getpc_b64 s[10:11]
	s_add_u32 s10, s10, llvm.amdgcn.dynlds.offset.table@rel32@lo+4
	s_addc_u32 s11, s11, llvm.amdgcn.dynlds.offset.table@rel32@hi+12
	s_add_u32 s8, s8, s10
	s_addc_u32 s9, s9, s11
	s_load_dword s8, s[8:9], 0x0
	s_waitcnt lgkmcnt(0)
	v_lshl_add_u32 v4, v3, 2, s8
	s_mov_b64 s[8:9], 0
.LBB302_379:                            ; =>This Inner Loop Header: Depth=1
	ds_read_b32 v5, v4
	v_add_u32_e32 v3, 0x80, v3
	v_cmp_ge_i32_e32 vcc, v3, v1
	s_or_b64 s[8:9], vcc, s[8:9]
	s_waitcnt lgkmcnt(0)
	v_mul_f32_e32 v5, v8, v5
	ds_write_b32 v4, v5
	v_add_u32_e32 v4, 0x200, v4
	s_andn2_b64 exec, exec, s[8:9]
	s_cbranch_execnz .LBB302_379
.LBB302_380:
	s_or_b64 exec, exec, s[6:7]
	v_cmp_ne_u16_e64 s[6:7], s28, 0
	s_cmp_lg_u64 s[6:7], 0
	s_addc_u32 s27, s13, 0
	v_accvgpr_read_b32 v1, a2
	s_mul_i32 s6, s27, s18
	v_cmp_eq_u32_e32 vcc, 0, v1
	s_mul_i32 s6, s6, s15
	s_waitcnt lgkmcnt(0)
	s_barrier
	s_and_saveexec_b64 s[8:9], vcc
	s_cbranch_execz .LBB302_382
; %bb.381:
	s_mul_i32 s12, s27, s12
	s_ashr_i32 s7, s6, 31
	s_ashr_i32 s13, s12, 31
	;; [unrolled: 1-line block ×3, first 2 shown]
	s_lshl_b64 s[10:11], s[6:7], 2
	s_lshl_b64 s[12:13], s[12:13], 2
	;; [unrolled: 1-line block ×3, first 2 shown]
	s_add_u32 s7, s18, s12
	s_addc_u32 s12, s19, s13
	s_add_u32 s7, s7, s10
	s_addc_u32 s10, s12, s11
	v_accvgpr_read_b32 v3, a23
	v_mov_b32_e32 v1, s10
	v_add_co_u32_e32 v4, vcc, s7, v3
	v_accvgpr_read_b32 v3, a22
	v_addc_co_u32_e32 v5, vcc, v1, v3, vcc
	flat_store_dword v[4:5], v0
	v_accvgpr_read_b32 v0, a21
	v_add_co_u32_e32 v0, vcc, s7, v0
	v_accvgpr_read_b32 v3, a20
	v_addc_co_u32_e32 v1, vcc, v1, v3, vcc
	flat_store_dword v[0:1], v2
.LBB302_382:
	s_or_b64 exec, exec, s[8:9]
	s_ashr_i32 s17, s16, 31
	s_lshl_b64 s[8:9], s[16:17], 2
	s_getpc_b64 s[10:11]
	s_add_u32 s10, s10, llvm.amdgcn.dynlds.offset.table@rel32@lo+4
	s_addc_u32 s11, s11, llvm.amdgcn.dynlds.offset.table@rel32@hi+12
	s_add_u32 s8, s8, s10
	v_accvgpr_read_b32 v0, a2
	s_addc_u32 s9, s9, s11
	s_mov_b32 s16, 0
	v_mov_b32_e32 v38, 0
	v_and_b32_e32 v17, 3, v0
	v_mov_b32_e32 v37, 0
	v_mov_b32_e32 v36, 0
	;; [unrolled: 1-line block ×6, first 2 shown]
	s_and_saveexec_b64 s[10:11], s[4:5]
	s_cbranch_execz .LBB302_738
; %bb.383:
	v_accvgpr_read_b32 v2, a24
	v_and_b32_e32 v0, 24, v2
	v_accvgpr_write_b32 a20, v0
	v_accvgpr_read_b32 v30, a34
	v_accvgpr_read_b32 v0, a31
	v_max_i32_e32 v30, v30, v0
	v_cvt_f32_u32_e32 v0, v30
	v_accvgpr_read_b32 v1, a29
	v_add_co_u32_e32 v4, vcc, v10, v1
	v_rcp_iflag_f32_e32 v0, v0
	v_accvgpr_read_b32 v1, a18
	v_accvgpr_read_b32 v3, a30
	v_addc_co_u32_e32 v5, vcc, v1, v3, vcc
	v_mul_f32_e32 v0, 0x4f7ffffe, v0
	v_cvt_u32_f32_e32 v0, v0
	v_and_b32_e32 v6, 0x1f8, v2
	v_add_co_u32_e32 v8, vcc, v4, v6
	v_sub_u32_e32 v2, 0, v30
	v_addc_co_u32_e32 v9, vcc, 0, v5, vcc
	v_accvgpr_read_b32 v4, a12
	v_mul_lo_u32 v2, v2, v0
	v_accvgpr_read_b32 v5, a13
	v_mul_hi_u32 v2, v0, v2
	v_lshlrev_b64 v[4:5], 2, v[4:5]
	v_accvgpr_read_b32 v6, a26
	s_load_dword s4, s[8:9], 0x0
	v_add_u32_e32 v2, v0, v2
	v_accvgpr_read_b32 v7, a27
	v_add_co_u32_e32 v0, vcc, v6, v4
	v_addc_co_u32_e32 v4, vcc, v7, v5, vcc
	v_accvgpr_read_b32 v5, a17
	v_add_co_u32_e32 v10, vcc, v5, v0
	v_accvgpr_read_b32 v0, a16
	v_accvgpr_read_b32 v1, a28
	v_addc_co_u32_e32 v11, vcc, v0, v4, vcc
	v_lshlrev_b32_e32 v0, 5, v17
	v_accvgpr_read_b32 v4, a25
	s_mov_b32 s22, s16
	s_mov_b32 s12, -1
	v_add_u32_e32 v1, -1, v1
	v_lshl_or_b32 v0, v4, 7, v0
	s_mov_b32 s17, s16
	s_mov_b32 s18, s16
	;; [unrolled: 1-line block ×5, first 2 shown]
	v_mov_b32_e32 v38, s22
	v_accvgpr_write_b32 a19, v16
	s_mov_b32 s13, 0xffffff
	v_accvgpr_write_b32 a18, v1
	v_mov_b32_e32 v1, 0
	v_accvgpr_read_b32 v3, a8
	v_accvgpr_write_b32 a16, v17
	s_waitcnt lgkmcnt(0)
	v_add_u32_e32 v19, s4, v0
	s_mov_b64 s[28:29], 0
	v_mov_b32_e32 v37, s21
	v_mov_b32_e32 v36, s20
	;; [unrolled: 1-line block ×6, first 2 shown]
	s_movk_i32 s7, 0x80
	s_movk_i32 s15, 0x7f
	s_mov_b32 s30, 0x8000
	s_movk_i32 s31, 0x380
	s_mov_b32 s34, 0x3020706
	s_mov_b32 s35, 0x1000504
	;; [unrolled: 1-line block ×3, first 2 shown]
	v_mov_b32_e32 v50, 0x2000
	v_accvgpr_read_b32 v5, a15
	s_branch .LBB302_386
.LBB302_384:                            ;   in Loop: Header=BB302_386 Depth=1
	s_or_b64 exec, exec, s[4:5]
	v_add_f32_e32 v4, v4, v5
	v_add_f32_e32 v33, v33, v4
	;; [unrolled: 1-line block ×10, first 2 shown]
	;;#ASMSTART
	v_pk_mul_f16 v4, v60, v14;

	;;#ASMEND
	;;#ASMSTART
	v_pk_mul_f16 v0, v59, v0;

	;;#ASMEND
	;; [unrolled: 4-line block ×4, first 2 shown]
	;;#ASMSTART
	v_pk_add_f16 v0, v4, v0;

	;;#ASMEND
	;;#ASMSTART
	v_pk_add_f16 v0, v0, v5;

	;;#ASMEND
	;; [unrolled: 4-line block ×3, first 2 shown]
	v_lshrrev_b32_e32 v4, 16, v0
	v_and_b32_e32 v0, 0xffff, v0
	;;#ASMSTART
	v_cvt_f32_f16 v0, v0;
	;;#ASMEND
	v_add_f32_e32 v15, v61, v62
	;;#ASMSTART
	v_cvt_f32_f16 v4, v4;
	;;#ASMEND
	v_add_f32_e32 v0, v0, v4
	v_add_f32_e32 v32, v32, v15
	;; [unrolled: 1-line block ×3, first 2 shown]
.LBB302_385:                            ;   in Loop: Header=BB302_386 Depth=1
	s_or_b64 exec, exec, s[16:17]
	v_accvgpr_read_b32 v4, a12
	v_add_co_u32_e32 v10, vcc, 8, v10
	v_add_u32_e32 v4, 2, v4
	v_addc_co_u32_e32 v11, vcc, 0, v11, vcc
	v_accvgpr_read_b32 v0, a11
	v_accvgpr_read_b32 v5, a13
	v_cmp_ge_i32_e32 vcc, v4, v0
	v_add_u32_e32 v5, 64, v5
	v_accvgpr_write_b32 a12, v4
	s_or_b64 s[28:29], vcc, s[28:29]
	v_add_u32_e32 v19, 0x100, v19
	s_andn2_b64 exec, exec, s[28:29]
	s_cbranch_execz .LBB302_737
.LBB302_386:                            ; =>This Inner Loop Header: Depth=1
	v_ashrrev_i32_e32 v0, 31, v5
	v_accvgpr_read_b32 v4, a9
	v_xor_b32_e32 v0, v0, v4
	v_sub_u32_e32 v4, 0, v5
	v_accvgpr_write_b32 a13, v5
	v_max_i32_e32 v4, v5, v4
	v_accvgpr_read_b32 v5, a7
	v_mul_hi_u32 v5, v4, v5
	v_accvgpr_read_b32 v7, a3
	v_mul_lo_u32 v6, v5, v7
	v_sub_u32_e32 v4, v4, v6
	v_add_u32_e32 v6, 1, v5
	v_cmp_ge_u32_e32 vcc, v4, v7
	v_cndmask_b32_e32 v5, v5, v6, vcc
	v_sub_u32_e32 v6, v4, v7
	v_cndmask_b32_e32 v4, v4, v6, vcc
	v_add_u32_e32 v6, 1, v5
	v_cmp_ge_u32_e32 vcc, v4, v7
	v_cndmask_b32_e32 v4, v5, v6, vcc
	v_xor_b32_e32 v4, v4, v0
	v_sub_u32_e32 v0, v4, v0
	v_accvgpr_read_b32 v4, a10
	v_add_u32_e32 v4, v0, v4
	v_sub_u32_e32 v6, 0, v4
	v_ashrrev_i32_e32 v5, 31, v4
	v_max_i32_e32 v4, v4, v6
	v_mul_hi_u32 v6, v4, v2
	v_mul_lo_u32 v6, v6, v30
	v_sub_u32_e32 v4, v4, v6
	v_sub_u32_e32 v6, v4, v30
	v_cmp_ge_u32_e32 vcc, v4, v30
	v_cndmask_b32_e32 v4, v4, v6, vcc
	v_sub_u32_e32 v6, v4, v30
	v_cmp_ge_u32_e32 vcc, v4, v30
	v_cndmask_b32_e32 v4, v4, v6, vcc
	v_xor_b32_e32 v4, v4, v5
	v_sub_u32_e32 v4, v4, v5
	v_cmp_eq_u32_e32 vcc, 0, v4
	v_accvgpr_read_b32 v4, a14
	v_cmp_gt_i32_e64 s[4:5], v0, v4
	s_or_b64 s[4:5], vcc, s[4:5]
	s_and_saveexec_b64 s[16:17], s[4:5]
	s_cbranch_execz .LBB302_385
; %bb.387:                              ;   in Loop: Header=BB302_386 Depth=1
	flat_load_dword v0, v[10:11]
	ds_read2_b64 v[4:7], v19 offset1:1
	ds_read2_b64 v[24:27], v19 offset0:2 offset1:3
	v_accvgpr_read_b32 v12, a6
	v_accvgpr_read_b32 v21, a5
	s_waitcnt lgkmcnt(0)
	;;#ASMSTART
	v_cvt_f16_f32 v4, v4;

	;;#ASMEND
	;;#ASMSTART
	v_cvt_f16_f32 v5, v5;

	;;#ASMEND
	;; [unrolled: 4-line block ×8, first 2 shown]
	v_accvgpr_read_b32 v20, a4
	flat_load_dword v14, v[20:21]
	v_mov_b32_e32 v24, 0
	v_mov_b32_e32 v20, 0
	s_waitcnt vmcnt(0)
	v_mad_i64_i32 v[12:13], s[4:5], v0, v12, v[8:9]
	flat_load_dwordx2 v[28:29], v[12:13]
	s_waitcnt vmcnt(0) lgkmcnt(0)
	v_cmp_ne_u16_sdwa s[18:19], v28, v1 src0_sel:BYTE_0 src1_sel:DWORD
	s_and_saveexec_b64 s[4:5], s[18:19]
	s_cbranch_execz .LBB302_393
; %bb.388:                              ;   in Loop: Header=BB302_386 Depth=1
	v_cmp_ne_u16_sdwa s[20:21], v28, s7 src0_sel:BYTE_0 src1_sel:DWORD
	v_bfrev_b32_e32 v20, 1
	s_and_saveexec_b64 s[18:19], s[20:21]
	s_cbranch_execz .LBB302_392
; %bb.389:                              ;   in Loop: Header=BB302_386 Depth=1
	v_and_b32_e32 v0, 0x7f, v28
	v_cmp_ne_u32_e32 vcc, s15, v0
	v_mov_b32_e32 v20, 0x7fc02000
	s_and_saveexec_b64 s[20:21], vcc
	s_cbranch_execz .LBB302_391
; %bb.390:                              ;   in Loop: Header=BB302_386 Depth=1
	v_and_b32_e32 v16, 7, v28
	v_ffbh_u32_e32 v16, v16
	v_min_u32_e32 v16, 32, v16
	v_subrev_u32_e32 v20, 28, v16
	v_cmp_gt_u32_e32 vcc, 8, v0
	v_lshrrev_b32_e32 v18, 3, v0
	v_sub_u32_e32 v16, 29, v16
	v_cndmask_b32_e32 v0, 0, v20, vcc
	v_lshlrev_b64 v[20:21], v0, v[28:29]
	v_cndmask_b32_e32 v0, v18, v16, vcc
	v_lshlrev_b32_e32 v18, 8, v28
	v_lshl_add_u32 v0, v0, 10, v50
	v_lshlrev_b32_e32 v16, 7, v20
	v_and_or_b32 v0, v18, s30, v0
	v_and_or_b32 v0, v16, s31, v0
	v_cvt_f32_f16_e32 v20, v0
.LBB302_391:                            ;   in Loop: Header=BB302_386 Depth=1
	s_or_b64 exec, exec, s[20:21]
.LBB302_392:                            ;   in Loop: Header=BB302_386 Depth=1
	s_or_b64 exec, exec, s[18:19]
.LBB302_393:                            ;   in Loop: Header=BB302_386 Depth=1
	s_or_b64 exec, exec, s[4:5]
	v_lshrrev_b16_e32 v0, 8, v28
	v_cmp_ne_u16_e32 vcc, 0, v0
	s_and_saveexec_b64 s[4:5], vcc
	s_cbranch_execz .LBB302_399
; %bb.394:                              ;   in Loop: Header=BB302_386 Depth=1
	v_cmp_ne_u16_e32 vcc, s7, v0
	v_bfrev_b32_e32 v24, 1
	s_and_saveexec_b64 s[18:19], vcc
	s_cbranch_execz .LBB302_398
; %bb.395:                              ;   in Loop: Header=BB302_386 Depth=1
	v_and_b32_e32 v21, 0x7f, v0
	v_cmp_ne_u32_e32 vcc, s15, v21
	v_mov_b32_e32 v24, 0x7fc02000
	s_and_saveexec_b64 s[20:21], vcc
	s_cbranch_execz .LBB302_397
; %bb.396:                              ;   in Loop: Header=BB302_386 Depth=1
	v_and_b32_e32 v16, 7, v0
	v_ffbh_u32_e32 v23, v16
	v_min_u32_e32 v23, 32, v23
	v_lshrrev_b32_e32 v18, 3, v21
	v_subrev_u32_e32 v24, 28, v23
	v_sub_u32_e32 v23, 29, v23
	v_cmp_gt_u32_e32 vcc, 8, v21
	v_lshlrev_b64 v[24:25], v24, v[0:1]
	v_cndmask_b32_e32 v18, v18, v23, vcc
	v_and_b32_e32 v24, 7, v24
	v_lshlrev_b32_e32 v0, 8, v0
	v_lshl_add_u32 v18, v18, 10, v50
	v_cndmask_b32_e32 v16, v16, v24, vcc
	v_and_or_b32 v0, v0, s30, v18
	v_lshl_or_b32 v0, v16, 7, v0
	v_cvt_f32_f16_e32 v24, v0
.LBB302_397:                            ;   in Loop: Header=BB302_386 Depth=1
	s_or_b64 exec, exec, s[20:21]
.LBB302_398:                            ;   in Loop: Header=BB302_386 Depth=1
	s_or_b64 exec, exec, s[18:19]
.LBB302_399:                            ;   in Loop: Header=BB302_386 Depth=1
	s_or_b64 exec, exec, s[4:5]
	v_lshrrev_b32_e32 v0, 16, v28
	v_cmp_ne_u16_sdwa s[18:19], v0, v1 src0_sel:BYTE_0 src1_sel:DWORD
	v_mov_b32_e32 v25, 0
	v_mov_b32_e32 v21, 0
	s_and_saveexec_b64 s[4:5], s[18:19]
	s_cbranch_execz .LBB302_405
; %bb.400:                              ;   in Loop: Header=BB302_386 Depth=1
	v_cmp_ne_u16_sdwa s[20:21], v0, s7 src0_sel:BYTE_0 src1_sel:DWORD
	v_bfrev_b32_e32 v21, 1
	s_and_saveexec_b64 s[18:19], s[20:21]
	s_cbranch_execz .LBB302_404
; %bb.401:                              ;   in Loop: Header=BB302_386 Depth=1
	v_bfe_u32 v27, v28, 16, 7
	v_cmp_ne_u32_e32 vcc, s15, v27
	v_mov_b32_e32 v21, 0x7fc02000
	s_and_saveexec_b64 s[20:21], vcc
	s_cbranch_execz .LBB302_403
; %bb.402:                              ;   in Loop: Header=BB302_386 Depth=1
	v_and_b32_e32 v16, 7, v0
	v_ffbh_u32_e32 v21, v16
	v_min_u32_e32 v21, 32, v21
	v_lshrrev_b32_e32 v18, 3, v27
	v_subrev_u32_e32 v23, 28, v21
	v_sub_u32_e32 v21, 29, v21
	v_cmp_gt_u32_e32 vcc, 8, v27
	v_lshlrev_b64 v[48:49], v23, v[0:1]
	v_cndmask_b32_e32 v18, v18, v21, vcc
	v_and_b32_e32 v23, 7, v48
	v_lshlrev_b32_e32 v0, 8, v0
	v_lshl_add_u32 v18, v18, 10, v50
	v_cndmask_b32_e32 v16, v16, v23, vcc
	v_and_or_b32 v0, v0, s30, v18
	v_lshl_or_b32 v0, v16, 7, v0
	v_cvt_f32_f16_e32 v21, v0
.LBB302_403:                            ;   in Loop: Header=BB302_386 Depth=1
	s_or_b64 exec, exec, s[20:21]
.LBB302_404:                            ;   in Loop: Header=BB302_386 Depth=1
	s_or_b64 exec, exec, s[18:19]
.LBB302_405:                            ;   in Loop: Header=BB302_386 Depth=1
	s_or_b64 exec, exec, s[4:5]
	v_cmp_lt_u32_e32 vcc, s13, v28
	s_and_saveexec_b64 s[4:5], vcc
	s_cbranch_execz .LBB302_411
; %bb.406:                              ;   in Loop: Header=BB302_386 Depth=1
	v_lshrrev_b32_e32 v0, 24, v28
	v_cmp_ne_u32_e32 vcc, s7, v0
	v_bfrev_b32_e32 v25, 1
	s_and_saveexec_b64 s[18:19], vcc
	s_cbranch_execz .LBB302_410
; %bb.407:                              ;   in Loop: Header=BB302_386 Depth=1
	v_and_b32_e32 v27, 0x7f, v0
	v_cmp_ne_u32_e32 vcc, s15, v27
	v_mov_b32_e32 v25, 0x7fc02000
	s_and_saveexec_b64 s[20:21], vcc
	s_cbranch_execz .LBB302_409
; %bb.408:                              ;   in Loop: Header=BB302_386 Depth=1
	v_and_b32_e32 v16, 7, v0
	v_ffbh_u32_e32 v23, v16
	v_min_u32_e32 v23, 32, v23
	v_lshrrev_b32_e32 v18, 3, v27
	v_subrev_u32_e32 v25, 28, v23
	v_sub_u32_e32 v23, 29, v23
	v_cmp_gt_u32_e32 vcc, 8, v27
	v_lshlrev_b64 v[48:49], v25, v[0:1]
	v_cndmask_b32_e32 v18, v18, v23, vcc
	v_and_b32_e32 v25, 7, v48
	v_lshlrev_b32_e32 v0, 8, v0
	v_lshl_add_u32 v18, v18, 10, v50
	v_cndmask_b32_e32 v16, v16, v25, vcc
	v_and_or_b32 v0, v0, s30, v18
	v_lshl_or_b32 v0, v16, 7, v0
	v_cvt_f32_f16_e32 v25, v0
.LBB302_409:                            ;   in Loop: Header=BB302_386 Depth=1
	s_or_b64 exec, exec, s[20:21]
.LBB302_410:                            ;   in Loop: Header=BB302_386 Depth=1
	s_or_b64 exec, exec, s[18:19]
.LBB302_411:                            ;   in Loop: Header=BB302_386 Depth=1
	s_or_b64 exec, exec, s[4:5]
	v_mov_b32_e32 v0, v29
	v_cmp_ne_u16_sdwa s[18:19], v29, v1 src0_sel:BYTE_0 src1_sel:DWORD
	v_mov_b32_e32 v31, 0
	v_mov_b32_e32 v27, 0
	s_and_saveexec_b64 s[4:5], s[18:19]
	s_cbranch_execz .LBB302_417
; %bb.412:                              ;   in Loop: Header=BB302_386 Depth=1
	v_cmp_ne_u16_sdwa s[20:21], v29, s7 src0_sel:BYTE_0 src1_sel:DWORD
	v_bfrev_b32_e32 v27, 1
	s_and_saveexec_b64 s[18:19], s[20:21]
	s_cbranch_execz .LBB302_416
; %bb.413:                              ;   in Loop: Header=BB302_386 Depth=1
	v_and_b32_e32 v39, 0x7f, v29
	v_cmp_ne_u32_e32 vcc, s15, v39
	v_mov_b32_e32 v27, 0x7fc02000
	s_and_saveexec_b64 s[20:21], vcc
	s_cbranch_execz .LBB302_415
; %bb.414:                              ;   in Loop: Header=BB302_386 Depth=1
	v_and_b32_e32 v16, 7, v29
	v_ffbh_u32_e32 v16, v16
	v_min_u32_e32 v16, 32, v16
	v_lshrrev_b32_e32 v18, 3, v39
	v_subrev_u32_e32 v23, 28, v16
	v_sub_u32_e32 v16, 29, v16
	v_cmp_gt_u32_e32 vcc, 8, v39
	v_cndmask_b32_e32 v23, 0, v23, vcc
	v_cndmask_b32_e32 v16, v18, v16, vcc
	v_lshlrev_b64 v[48:49], v23, v[0:1]
	v_lshlrev_b32_e32 v23, 8, v29
	v_lshl_add_u32 v16, v16, 10, v50
	v_lshlrev_b32_e32 v18, 7, v48
	v_and_or_b32 v16, v23, s30, v16
	v_and_or_b32 v16, v18, s31, v16
	v_cvt_f32_f16_e32 v27, v16
.LBB302_415:                            ;   in Loop: Header=BB302_386 Depth=1
	s_or_b64 exec, exec, s[20:21]
.LBB302_416:                            ;   in Loop: Header=BB302_386 Depth=1
	s_or_b64 exec, exec, s[18:19]
.LBB302_417:                            ;   in Loop: Header=BB302_386 Depth=1
	s_or_b64 exec, exec, s[4:5]
	v_lshrrev_b16_e32 v0, 8, v0
	v_cmp_ne_u16_e32 vcc, 0, v0
	s_and_saveexec_b64 s[4:5], vcc
	s_cbranch_execz .LBB302_423
; %bb.418:                              ;   in Loop: Header=BB302_386 Depth=1
	v_cmp_ne_u16_e32 vcc, s7, v0
	v_bfrev_b32_e32 v31, 1
	s_and_saveexec_b64 s[18:19], vcc
	s_cbranch_execz .LBB302_422
; %bb.419:                              ;   in Loop: Header=BB302_386 Depth=1
	v_and_b32_e32 v39, 0x7f, v0
	v_cmp_ne_u32_e32 vcc, s15, v39
	v_mov_b32_e32 v31, 0x7fc02000
	s_and_saveexec_b64 s[20:21], vcc
	s_cbranch_execz .LBB302_421
; %bb.420:                              ;   in Loop: Header=BB302_386 Depth=1
	v_and_b32_e32 v16, 7, v0
	v_ffbh_u32_e32 v23, v16
	v_min_u32_e32 v23, 32, v23
	v_lshrrev_b32_e32 v18, 3, v39
	v_subrev_u32_e32 v31, 28, v23
	v_sub_u32_e32 v23, 29, v23
	v_cmp_gt_u32_e32 vcc, 8, v39
	v_lshlrev_b64 v[48:49], v31, v[0:1]
	v_cndmask_b32_e32 v18, v18, v23, vcc
	v_and_b32_e32 v31, 7, v48
	v_lshlrev_b32_e32 v0, 8, v0
	v_lshl_add_u32 v18, v18, 10, v50
	v_cndmask_b32_e32 v16, v16, v31, vcc
	v_and_or_b32 v0, v0, s30, v18
	v_lshl_or_b32 v0, v16, 7, v0
	v_cvt_f32_f16_e32 v31, v0
.LBB302_421:                            ;   in Loop: Header=BB302_386 Depth=1
	s_or_b64 exec, exec, s[20:21]
.LBB302_422:                            ;   in Loop: Header=BB302_386 Depth=1
	s_or_b64 exec, exec, s[18:19]
.LBB302_423:                            ;   in Loop: Header=BB302_386 Depth=1
	s_or_b64 exec, exec, s[4:5]
	v_lshrrev_b32_e32 v0, 16, v29
	v_cmp_ne_u16_sdwa s[18:19], v0, v1 src0_sel:BYTE_0 src1_sel:DWORD
	v_mov_b32_e32 v39, 0
	v_mov_b32_e32 v48, 0
	s_and_saveexec_b64 s[4:5], s[18:19]
	s_cbranch_execz .LBB302_429
; %bb.424:                              ;   in Loop: Header=BB302_386 Depth=1
	v_cmp_ne_u16_sdwa s[20:21], v0, s7 src0_sel:BYTE_0 src1_sel:DWORD
	v_bfrev_b32_e32 v48, 1
	s_and_saveexec_b64 s[18:19], s[20:21]
	s_cbranch_execz .LBB302_428
; %bb.425:                              ;   in Loop: Header=BB302_386 Depth=1
	v_bfe_u32 v49, v29, 16, 7
	v_cmp_ne_u32_e32 vcc, s15, v49
	v_mov_b32_e32 v48, 0x7fc02000
	s_and_saveexec_b64 s[20:21], vcc
	s_cbranch_execz .LBB302_427
; %bb.426:                              ;   in Loop: Header=BB302_386 Depth=1
	v_and_b32_e32 v16, 7, v0
	v_ffbh_u32_e32 v23, v16
	v_min_u32_e32 v23, 32, v23
	v_lshrrev_b32_e32 v18, 3, v49
	v_subrev_u32_e32 v48, 28, v23
	v_sub_u32_e32 v23, 29, v23
	v_cmp_gt_u32_e32 vcc, 8, v49
	v_lshlrev_b64 v[40:41], v48, v[0:1]
	v_cndmask_b32_e32 v18, v18, v23, vcc
	v_and_b32_e32 v48, 7, v40
	v_lshlrev_b32_e32 v0, 8, v0
	v_lshl_add_u32 v18, v18, 10, v50
	v_cndmask_b32_e32 v16, v16, v48, vcc
	v_and_or_b32 v0, v0, s30, v18
	v_lshl_or_b32 v0, v16, 7, v0
	v_cvt_f32_f16_e32 v48, v0
.LBB302_427:                            ;   in Loop: Header=BB302_386 Depth=1
	s_or_b64 exec, exec, s[20:21]
.LBB302_428:                            ;   in Loop: Header=BB302_386 Depth=1
	s_or_b64 exec, exec, s[18:19]
.LBB302_429:                            ;   in Loop: Header=BB302_386 Depth=1
	s_or_b64 exec, exec, s[4:5]
	v_cmp_lt_u64_e32 vcc, s[12:13], v[28:29]
	s_and_saveexec_b64 s[4:5], vcc
	s_cbranch_execz .LBB302_435
; %bb.430:                              ;   in Loop: Header=BB302_386 Depth=1
	v_lshrrev_b32_e32 v0, 24, v29
	v_cmp_ne_u32_e32 vcc, s7, v0
	v_bfrev_b32_e32 v39, 1
	s_and_saveexec_b64 s[18:19], vcc
	s_cbranch_execz .LBB302_434
; %bb.431:                              ;   in Loop: Header=BB302_386 Depth=1
	v_and_b32_e32 v28, 0x7f, v0
	v_cmp_ne_u32_e32 vcc, s15, v28
	v_mov_b32_e32 v39, 0x7fc02000
	s_and_saveexec_b64 s[20:21], vcc
	s_cbranch_execz .LBB302_433
; %bb.432:                              ;   in Loop: Header=BB302_386 Depth=1
	v_and_b32_e32 v16, 7, v0
	v_ffbh_u32_e32 v23, v16
	v_min_u32_e32 v23, 32, v23
	v_lshrrev_b32_e32 v18, 3, v28
	v_subrev_u32_e32 v29, 28, v23
	v_sub_u32_e32 v23, 29, v23
	v_cmp_gt_u32_e32 vcc, 8, v28
	v_lshlrev_b64 v[40:41], v29, v[0:1]
	v_cndmask_b32_e32 v18, v18, v23, vcc
	v_and_b32_e32 v29, 7, v40
	v_lshlrev_b32_e32 v0, 8, v0
	v_lshl_add_u32 v18, v18, 10, v50
	v_cndmask_b32_e32 v16, v16, v29, vcc
	v_and_or_b32 v0, v0, s30, v18
	v_lshl_or_b32 v0, v16, 7, v0
	v_cvt_f32_f16_e32 v39, v0
.LBB302_433:                            ;   in Loop: Header=BB302_386 Depth=1
	s_or_b64 exec, exec, s[20:21]
.LBB302_434:                            ;   in Loop: Header=BB302_386 Depth=1
	s_or_b64 exec, exec, s[18:19]
.LBB302_435:                            ;   in Loop: Header=BB302_386 Depth=1
	s_or_b64 exec, exec, s[4:5]
	v_pk_mul_f32 v[24:25], v[14:15], v[24:25] op_sel_hi:[0,1]
	v_pk_mul_f32 v[20:21], v[14:15], v[20:21] op_sel_hi:[0,1]
	v_cvt_f16_f32_e32 v0, v25
	v_cvt_f16_f32_e32 v16, v24
	;; [unrolled: 1-line block ×4, first 2 shown]
	v_accvgpr_read_b32 v21, a13
	v_accvgpr_read_b32 v23, a20
	v_add_u32_e32 v41, v23, v21
	v_accvgpr_read_b32 v24, a12
	v_accvgpr_read_b32 v21, a18
	v_pack_b32_f16 v16, v16, v0
	v_pack_b32_f16 v18, v20, v18
	v_cmp_eq_u32_e32 vcc, v21, v24
	v_perm_b32 v0, v18, v16, s34
	v_perm_b32 v20, v18, v16, s35
	v_fma_mixlo_f16 v16, v14, v31, 0
	v_fma_mixlo_f16 v18, v14, v27, 0
	;; [unrolled: 1-line block ×4, first 2 shown]
	v_lshlrev_b32_e32 v16, 16, v16
	v_lshlrev_b32_e32 v14, 16, v14
	v_or_b32_sdwa v21, v16, v18 dst_sel:DWORD dst_unused:UNUSED_PAD src0_sel:DWORD src1_sel:WORD_0
	v_or_b32_sdwa v14, v14, v24 dst_sel:DWORD dst_unused:UNUSED_PAD src0_sel:DWORD src1_sel:WORD_0
	v_add_u32_e32 v56, 1, v41
	v_or_b32_e32 v47, 3, v41
	v_or_b32_e32 v46, 2, v41
	;; [unrolled: 1-line block ×6, first 2 shown]
	s_and_saveexec_b64 s[18:19], vcc
	s_cbranch_execz .LBB302_437
; %bb.436:                              ;   in Loop: Header=BB302_386 Depth=1
	v_lshrrev_b32_e32 v16, 16, v20
	v_cmp_lt_i32_e64 s[4:5], v56, v3
	v_accvgpr_read_b32 v28, a8
	v_cndmask_b32_e64 v16, 0, v16, s[4:5]
	v_cmp_lt_i32_e64 s[4:5], v41, v28
	v_cndmask_b32_e64 v18, 0, v20, s[4:5]
	v_perm_b32 v20, v16, v18, s36
	v_lshrrev_b32_e32 v16, 16, v0
	v_cmp_lt_i32_e64 s[4:5], v47, v3
	v_cndmask_b32_e64 v16, 0, v16, s[4:5]
	v_cmp_lt_i32_e64 s[4:5], v46, v28
	v_cndmask_b32_e64 v0, 0, v0, s[4:5]
	v_perm_b32 v0, v16, v0, s36
	v_lshrrev_b32_e32 v16, 16, v21
	v_cmp_lt_i32_e64 s[4:5], v45, v3
	v_cndmask_b32_e64 v16, 0, v16, s[4:5]
	v_cmp_lt_i32_e64 s[4:5], v44, v28
	v_cndmask_b32_e64 v18, 0, v21, s[4:5]
	v_lshrrev_b32_e32 v14, 16, v14
	v_cmp_lt_i32_e64 s[4:5], v40, v3
	v_cndmask_b32_e64 v14, 0, v14, s[4:5]
	v_cmp_lt_i32_e64 s[4:5], v54, v28
	v_perm_b32 v21, v16, v18, s36
	v_cndmask_b32_e64 v16, 0, v24, s[4:5]
	v_perm_b32 v14, v14, v16, s36
.LBB302_437:                            ;   in Loop: Header=BB302_386 Depth=1
	s_or_b64 exec, exec, s[18:19]
	v_and_b32_e32 v4, 0xffff, v4
	v_lshl_or_b32 v60, v5, 16, v4
	v_and_b32_e32 v4, 0xffff, v6
	v_lshl_or_b32 v59, v7, 16, v4
	;; [unrolled: 2-line block ×4, first 2 shown]
	;;#ASMSTART
	v_pk_mul_f16 v4, v60, v20;

	;;#ASMEND
	;;#ASMSTART
	v_pk_mul_f16 v0, v59, v0;

	;;#ASMEND
	;; [unrolled: 4-line block ×4, first 2 shown]
	;;#ASMSTART
	v_pk_add_f16 v0, v4, v0;

	;;#ASMEND
	;;#ASMSTART
	v_pk_add_f16 v0, v0, v5;

	;;#ASMEND
	;; [unrolled: 4-line block ×3, first 2 shown]
	v_lshrrev_b32_e32 v4, 16, v0
	v_and_b32_e32 v0, 0xffff, v0
	;;#ASMSTART
	v_cvt_f32_f16 v61, v0;
	;;#ASMEND
	;;#ASMSTART
	v_cvt_f32_f16 v62, v4;
	;;#ASMEND
	v_accvgpr_read_b32 v4, a4
	flat_load_dwordx2 v[28:29], v[12:13] offset:512
	v_accvgpr_read_b32 v5, a5
	flat_load_dword v14, v[4:5]
	v_mov_b32_e32 v24, 0
	v_mov_b32_e32 v20, 0
	s_waitcnt vmcnt(0) lgkmcnt(0)
	v_cmp_ne_u16_sdwa s[4:5], v28, v1 src0_sel:BYTE_0 src1_sel:DWORD
	s_and_saveexec_b64 s[18:19], s[4:5]
	s_cbranch_execz .LBB302_443
; %bb.438:                              ;   in Loop: Header=BB302_386 Depth=1
	v_cmp_ne_u16_sdwa s[4:5], v28, s7 src0_sel:BYTE_0 src1_sel:DWORD
	v_bfrev_b32_e32 v20, 1
	s_and_saveexec_b64 s[20:21], s[4:5]
	s_cbranch_execz .LBB302_442
; %bb.439:                              ;   in Loop: Header=BB302_386 Depth=1
	v_and_b32_e32 v0, 0x7f, v28
	v_cmp_ne_u32_e64 s[4:5], s15, v0
	v_mov_b32_e32 v20, 0x7fc02000
	s_and_saveexec_b64 s[22:23], s[4:5]
	s_cbranch_execz .LBB302_441
; %bb.440:                              ;   in Loop: Header=BB302_386 Depth=1
	v_and_b32_e32 v4, 7, v28
	v_ffbh_u32_e32 v4, v4
	v_min_u32_e32 v4, 32, v4
	v_subrev_u32_e32 v5, 28, v4
	v_cmp_gt_u32_e64 s[4:5], 8, v0
	v_lshrrev_b32_e32 v6, 3, v0
	v_sub_u32_e32 v7, 29, v4
	v_cndmask_b32_e64 v0, 0, v5, s[4:5]
	v_lshlrev_b64 v[4:5], v0, v[28:29]
	v_cndmask_b32_e64 v0, v6, v7, s[4:5]
	v_lshlrev_b32_e32 v5, 8, v28
	v_lshl_add_u32 v0, v0, 10, v50
	v_lshlrev_b32_e32 v4, 7, v4
	v_and_or_b32 v0, v5, s30, v0
	v_and_or_b32 v0, v4, s31, v0
	v_cvt_f32_f16_e32 v20, v0
.LBB302_441:                            ;   in Loop: Header=BB302_386 Depth=1
	s_or_b64 exec, exec, s[22:23]
.LBB302_442:                            ;   in Loop: Header=BB302_386 Depth=1
	s_or_b64 exec, exec, s[20:21]
.LBB302_443:                            ;   in Loop: Header=BB302_386 Depth=1
	s_or_b64 exec, exec, s[18:19]
	v_lshrrev_b16_e32 v0, 8, v28
	v_cmp_ne_u16_e64 s[4:5], 0, v0
	s_and_saveexec_b64 s[18:19], s[4:5]
	s_cbranch_execz .LBB302_449
; %bb.444:                              ;   in Loop: Header=BB302_386 Depth=1
	v_cmp_ne_u16_e64 s[4:5], s7, v0
	v_bfrev_b32_e32 v24, 1
	s_and_saveexec_b64 s[20:21], s[4:5]
	s_cbranch_execz .LBB302_448
; %bb.445:                              ;   in Loop: Header=BB302_386 Depth=1
	v_and_b32_e32 v4, 0x7f, v0
	v_cmp_ne_u32_e64 s[4:5], s15, v4
	v_mov_b32_e32 v24, 0x7fc02000
	s_and_saveexec_b64 s[22:23], s[4:5]
	s_cbranch_execz .LBB302_447
; %bb.446:                              ;   in Loop: Header=BB302_386 Depth=1
	v_and_b32_e32 v5, 7, v0
	v_ffbh_u32_e32 v6, v5
	v_min_u32_e32 v16, 32, v6
	v_subrev_u32_e32 v6, 28, v16
	v_lshlrev_b64 v[6:7], v6, v[0:1]
	v_lshrrev_b32_e32 v15, 3, v4
	v_sub_u32_e32 v7, 29, v16
	v_cmp_gt_u32_e64 s[4:5], 8, v4
	v_cndmask_b32_e64 v4, v15, v7, s[4:5]
	v_and_b32_e32 v6, 7, v6
	v_lshlrev_b32_e32 v0, 8, v0
	v_lshl_add_u32 v4, v4, 10, v50
	v_cndmask_b32_e64 v5, v5, v6, s[4:5]
	v_and_or_b32 v0, v0, s30, v4
	v_lshl_or_b32 v0, v5, 7, v0
	v_cvt_f32_f16_e32 v24, v0
.LBB302_447:                            ;   in Loop: Header=BB302_386 Depth=1
	s_or_b64 exec, exec, s[22:23]
.LBB302_448:                            ;   in Loop: Header=BB302_386 Depth=1
	s_or_b64 exec, exec, s[20:21]
.LBB302_449:                            ;   in Loop: Header=BB302_386 Depth=1
	s_or_b64 exec, exec, s[18:19]
	v_lshrrev_b32_e32 v0, 16, v28
	v_cmp_ne_u16_sdwa s[4:5], v0, v1 src0_sel:BYTE_0 src1_sel:DWORD
	v_mov_b32_e32 v25, 0
	v_mov_b32_e32 v21, 0
	s_and_saveexec_b64 s[18:19], s[4:5]
	s_cbranch_execz .LBB302_455
; %bb.450:                              ;   in Loop: Header=BB302_386 Depth=1
	v_cmp_ne_u16_sdwa s[4:5], v0, s7 src0_sel:BYTE_0 src1_sel:DWORD
	v_bfrev_b32_e32 v21, 1
	s_and_saveexec_b64 s[20:21], s[4:5]
	s_cbranch_execz .LBB302_454
; %bb.451:                              ;   in Loop: Header=BB302_386 Depth=1
	v_bfe_u32 v4, v28, 16, 7
	v_cmp_ne_u32_e64 s[4:5], s15, v4
	v_mov_b32_e32 v21, 0x7fc02000
	s_and_saveexec_b64 s[22:23], s[4:5]
	s_cbranch_execz .LBB302_453
; %bb.452:                              ;   in Loop: Header=BB302_386 Depth=1
	v_and_b32_e32 v5, 7, v0
	v_ffbh_u32_e32 v6, v5
	v_min_u32_e32 v16, 32, v6
	v_subrev_u32_e32 v6, 28, v16
	v_lshlrev_b64 v[6:7], v6, v[0:1]
	v_lshrrev_b32_e32 v15, 3, v4
	v_sub_u32_e32 v7, 29, v16
	v_cmp_gt_u32_e64 s[4:5], 8, v4
	v_cndmask_b32_e64 v4, v15, v7, s[4:5]
	v_and_b32_e32 v6, 7, v6
	v_lshlrev_b32_e32 v0, 8, v0
	v_lshl_add_u32 v4, v4, 10, v50
	v_cndmask_b32_e64 v5, v5, v6, s[4:5]
	v_and_or_b32 v0, v0, s30, v4
	v_lshl_or_b32 v0, v5, 7, v0
	v_cvt_f32_f16_e32 v21, v0
.LBB302_453:                            ;   in Loop: Header=BB302_386 Depth=1
	s_or_b64 exec, exec, s[22:23]
.LBB302_454:                            ;   in Loop: Header=BB302_386 Depth=1
	s_or_b64 exec, exec, s[20:21]
.LBB302_455:                            ;   in Loop: Header=BB302_386 Depth=1
	s_or_b64 exec, exec, s[18:19]
	v_cmp_lt_u32_e64 s[4:5], s13, v28
	s_and_saveexec_b64 s[18:19], s[4:5]
	s_cbranch_execz .LBB302_461
; %bb.456:                              ;   in Loop: Header=BB302_386 Depth=1
	v_lshrrev_b32_e32 v0, 24, v28
	v_cmp_ne_u32_e64 s[4:5], s7, v0
	v_bfrev_b32_e32 v25, 1
	s_and_saveexec_b64 s[20:21], s[4:5]
	s_cbranch_execz .LBB302_460
; %bb.457:                              ;   in Loop: Header=BB302_386 Depth=1
	v_and_b32_e32 v4, 0x7f, v0
	v_cmp_ne_u32_e64 s[4:5], s15, v4
	v_mov_b32_e32 v25, 0x7fc02000
	s_and_saveexec_b64 s[22:23], s[4:5]
	s_cbranch_execz .LBB302_459
; %bb.458:                              ;   in Loop: Header=BB302_386 Depth=1
	v_and_b32_e32 v5, 7, v0
	v_ffbh_u32_e32 v6, v5
	v_min_u32_e32 v16, 32, v6
	v_subrev_u32_e32 v6, 28, v16
	v_lshlrev_b64 v[6:7], v6, v[0:1]
	v_lshrrev_b32_e32 v15, 3, v4
	v_sub_u32_e32 v7, 29, v16
	v_cmp_gt_u32_e64 s[4:5], 8, v4
	v_cndmask_b32_e64 v4, v15, v7, s[4:5]
	v_and_b32_e32 v6, 7, v6
	v_lshlrev_b32_e32 v0, 8, v0
	v_lshl_add_u32 v4, v4, 10, v50
	v_cndmask_b32_e64 v5, v5, v6, s[4:5]
	v_and_or_b32 v0, v0, s30, v4
	v_lshl_or_b32 v0, v5, 7, v0
	v_cvt_f32_f16_e32 v25, v0
.LBB302_459:                            ;   in Loop: Header=BB302_386 Depth=1
	s_or_b64 exec, exec, s[22:23]
.LBB302_460:                            ;   in Loop: Header=BB302_386 Depth=1
	s_or_b64 exec, exec, s[20:21]
.LBB302_461:                            ;   in Loop: Header=BB302_386 Depth=1
	s_or_b64 exec, exec, s[18:19]
	v_mov_b32_e32 v0, v29
	v_cmp_ne_u16_sdwa s[4:5], v29, v1 src0_sel:BYTE_0 src1_sel:DWORD
	v_mov_b32_e32 v5, 0
	v_mov_b32_e32 v4, 0
	s_and_saveexec_b64 s[18:19], s[4:5]
	s_cbranch_execz .LBB302_467
; %bb.462:                              ;   in Loop: Header=BB302_386 Depth=1
	v_cmp_ne_u16_sdwa s[4:5], v29, s7 src0_sel:BYTE_0 src1_sel:DWORD
	v_bfrev_b32_e32 v4, 1
	s_and_saveexec_b64 s[20:21], s[4:5]
	s_cbranch_execz .LBB302_466
; %bb.463:                              ;   in Loop: Header=BB302_386 Depth=1
	v_and_b32_e32 v6, 0x7f, v29
	v_cmp_ne_u32_e64 s[4:5], s15, v6
	v_mov_b32_e32 v4, 0x7fc02000
	s_and_saveexec_b64 s[22:23], s[4:5]
	s_cbranch_execz .LBB302_465
; %bb.464:                              ;   in Loop: Header=BB302_386 Depth=1
	v_and_b32_e32 v4, 7, v29
	v_ffbh_u32_e32 v4, v4
	v_min_u32_e32 v4, 32, v4
	v_subrev_u32_e32 v7, 28, v4
	v_cmp_gt_u32_e64 s[4:5], 8, v6
	v_lshrrev_b32_e32 v15, 3, v6
	v_sub_u32_e32 v4, 29, v4
	v_cndmask_b32_e64 v6, 0, v7, s[4:5]
	v_lshlrev_b64 v[6:7], v6, v[0:1]
	v_cndmask_b32_e64 v4, v15, v4, s[4:5]
	v_lshlrev_b32_e32 v7, 8, v29
	v_lshl_add_u32 v4, v4, 10, v50
	v_lshlrev_b32_e32 v6, 7, v6
	v_and_or_b32 v4, v7, s30, v4
	v_and_or_b32 v4, v6, s31, v4
	v_cvt_f32_f16_e32 v4, v4
.LBB302_465:                            ;   in Loop: Header=BB302_386 Depth=1
	s_or_b64 exec, exec, s[22:23]
.LBB302_466:                            ;   in Loop: Header=BB302_386 Depth=1
	s_or_b64 exec, exec, s[20:21]
.LBB302_467:                            ;   in Loop: Header=BB302_386 Depth=1
	s_or_b64 exec, exec, s[18:19]
	v_lshrrev_b16_e32 v0, 8, v0
	v_cmp_ne_u16_e64 s[4:5], 0, v0
	s_and_saveexec_b64 s[18:19], s[4:5]
	s_cbranch_execz .LBB302_473
; %bb.468:                              ;   in Loop: Header=BB302_386 Depth=1
	v_cmp_ne_u16_e64 s[4:5], s7, v0
	v_bfrev_b32_e32 v5, 1
	s_and_saveexec_b64 s[20:21], s[4:5]
	s_cbranch_execz .LBB302_472
; %bb.469:                              ;   in Loop: Header=BB302_386 Depth=1
	v_and_b32_e32 v6, 0x7f, v0
	v_cmp_ne_u32_e64 s[4:5], s15, v6
	v_mov_b32_e32 v5, 0x7fc02000
	s_and_saveexec_b64 s[22:23], s[4:5]
	s_cbranch_execz .LBB302_471
; %bb.470:                              ;   in Loop: Header=BB302_386 Depth=1
	v_and_b32_e32 v5, 7, v0
	v_ffbh_u32_e32 v15, v5
	v_min_u32_e32 v15, 32, v15
	v_lshrrev_b32_e32 v7, 3, v6
	v_subrev_u32_e32 v16, 28, v15
	v_sub_u32_e32 v15, 29, v15
	v_cmp_gt_u32_e64 s[4:5], 8, v6
	v_lshlrev_b64 v[26:27], v16, v[0:1]
	v_cndmask_b32_e64 v6, v7, v15, s[4:5]
	v_and_b32_e32 v16, 7, v26
	v_lshlrev_b32_e32 v0, 8, v0
	v_lshl_add_u32 v6, v6, 10, v50
	v_cndmask_b32_e64 v5, v5, v16, s[4:5]
	v_and_or_b32 v0, v0, s30, v6
	v_lshl_or_b32 v0, v5, 7, v0
	v_cvt_f32_f16_e32 v5, v0
.LBB302_471:                            ;   in Loop: Header=BB302_386 Depth=1
	s_or_b64 exec, exec, s[22:23]
.LBB302_472:                            ;   in Loop: Header=BB302_386 Depth=1
	s_or_b64 exec, exec, s[20:21]
.LBB302_473:                            ;   in Loop: Header=BB302_386 Depth=1
	s_or_b64 exec, exec, s[18:19]
	v_lshrrev_b32_e32 v0, 16, v29
	v_cmp_ne_u16_sdwa s[4:5], v0, v1 src0_sel:BYTE_0 src1_sel:DWORD
	v_mov_b32_e32 v6, 0
	v_mov_b32_e32 v7, 0
	s_and_saveexec_b64 s[18:19], s[4:5]
	s_cbranch_execz .LBB302_479
; %bb.474:                              ;   in Loop: Header=BB302_386 Depth=1
	v_cmp_ne_u16_sdwa s[4:5], v0, s7 src0_sel:BYTE_0 src1_sel:DWORD
	v_bfrev_b32_e32 v7, 1
	s_and_saveexec_b64 s[20:21], s[4:5]
	s_cbranch_execz .LBB302_478
; %bb.475:                              ;   in Loop: Header=BB302_386 Depth=1
	v_bfe_u32 v15, v29, 16, 7
	v_cmp_ne_u32_e64 s[4:5], s15, v15
	v_mov_b32_e32 v7, 0x7fc02000
	s_and_saveexec_b64 s[22:23], s[4:5]
	s_cbranch_execz .LBB302_477
; %bb.476:                              ;   in Loop: Header=BB302_386 Depth=1
	v_and_b32_e32 v7, 7, v0
	v_ffbh_u32_e32 v17, v7
	v_min_u32_e32 v17, 32, v17
	v_lshrrev_b32_e32 v16, 3, v15
	v_subrev_u32_e32 v18, 28, v17
	v_sub_u32_e32 v17, 29, v17
	v_cmp_gt_u32_e64 s[4:5], 8, v15
	v_lshlrev_b64 v[26:27], v18, v[0:1]
	v_cndmask_b32_e64 v15, v16, v17, s[4:5]
	v_and_b32_e32 v18, 7, v26
	v_lshlrev_b32_e32 v0, 8, v0
	v_lshl_add_u32 v15, v15, 10, v50
	v_cndmask_b32_e64 v7, v7, v18, s[4:5]
	v_and_or_b32 v0, v0, s30, v15
	v_lshl_or_b32 v0, v7, 7, v0
	v_cvt_f32_f16_e32 v7, v0
.LBB302_477:                            ;   in Loop: Header=BB302_386 Depth=1
	s_or_b64 exec, exec, s[22:23]
.LBB302_478:                            ;   in Loop: Header=BB302_386 Depth=1
	s_or_b64 exec, exec, s[20:21]
.LBB302_479:                            ;   in Loop: Header=BB302_386 Depth=1
	s_or_b64 exec, exec, s[18:19]
	v_cmp_lt_u64_e64 s[4:5], s[12:13], v[28:29]
	s_and_saveexec_b64 s[18:19], s[4:5]
	s_cbranch_execz .LBB302_485
; %bb.480:                              ;   in Loop: Header=BB302_386 Depth=1
	v_lshrrev_b32_e32 v0, 24, v29
	v_cmp_ne_u32_e64 s[4:5], s7, v0
	v_bfrev_b32_e32 v6, 1
	s_and_saveexec_b64 s[20:21], s[4:5]
	s_cbranch_execz .LBB302_484
; %bb.481:                              ;   in Loop: Header=BB302_386 Depth=1
	v_and_b32_e32 v15, 0x7f, v0
	v_cmp_ne_u32_e64 s[4:5], s15, v15
	v_mov_b32_e32 v6, 0x7fc02000
	s_and_saveexec_b64 s[22:23], s[4:5]
	s_cbranch_execz .LBB302_483
; %bb.482:                              ;   in Loop: Header=BB302_386 Depth=1
	v_and_b32_e32 v6, 7, v0
	v_ffbh_u32_e32 v17, v6
	v_min_u32_e32 v17, 32, v17
	v_lshrrev_b32_e32 v16, 3, v15
	v_subrev_u32_e32 v18, 28, v17
	v_sub_u32_e32 v17, 29, v17
	v_cmp_gt_u32_e64 s[4:5], 8, v15
	v_lshlrev_b64 v[26:27], v18, v[0:1]
	v_cndmask_b32_e64 v15, v16, v17, s[4:5]
	v_and_b32_e32 v18, 7, v26
	v_lshlrev_b32_e32 v0, 8, v0
	v_lshl_add_u32 v15, v15, 10, v50
	v_cndmask_b32_e64 v6, v6, v18, s[4:5]
	v_and_or_b32 v0, v0, s30, v15
	v_lshl_or_b32 v0, v6, 7, v0
	v_cvt_f32_f16_e32 v6, v0
.LBB302_483:                            ;   in Loop: Header=BB302_386 Depth=1
	s_or_b64 exec, exec, s[22:23]
.LBB302_484:                            ;   in Loop: Header=BB302_386 Depth=1
	s_or_b64 exec, exec, s[20:21]
.LBB302_485:                            ;   in Loop: Header=BB302_386 Depth=1
	s_or_b64 exec, exec, s[18:19]
	v_pk_mul_f32 v[24:25], v[14:15], v[24:25] op_sel_hi:[0,1]
	v_pk_mul_f32 v[20:21], v[14:15], v[20:21] op_sel_hi:[0,1]
	v_cvt_f16_f32_e32 v0, v25
	v_cvt_f16_f32_e32 v15, v24
	;; [unrolled: 1-line block ×4, first 2 shown]
	v_fma_mixlo_f16 v5, v14, v5, 0
	v_lshlrev_b32_e32 v5, 16, v5
	v_fma_mixlo_f16 v4, v14, v4, 0
	v_or_b32_sdwa v4, v5, v4 dst_sel:DWORD dst_unused:UNUSED_PAD src0_sel:DWORD src1_sel:WORD_0
	v_fma_mixlo_f16 v5, v14, v6, 0
	v_pack_b32_f16 v15, v15, v0
	v_pack_b32_f16 v16, v17, v16
	v_fma_mixlo_f16 v7, v14, v7, 0
	v_lshlrev_b32_e32 v5, 16, v5
	v_perm_b32 v0, v16, v15, s34
	v_perm_b32 v15, v16, v15, s35
	v_or_b32_sdwa v5, v5, v7 dst_sel:DWORD dst_unused:UNUSED_PAD src0_sel:DWORD src1_sel:WORD_0
	s_and_saveexec_b64 s[18:19], vcc
	s_cbranch_execz .LBB302_487
; %bb.486:                              ;   in Loop: Header=BB302_386 Depth=1
	v_lshrrev_b32_e32 v6, 16, v15
	v_cmp_lt_i32_e64 s[4:5], v56, v3
	v_accvgpr_read_b32 v16, a8
	v_cndmask_b32_e64 v6, 0, v6, s[4:5]
	v_cmp_lt_i32_e64 s[4:5], v41, v16
	v_cndmask_b32_e64 v14, 0, v15, s[4:5]
	v_perm_b32 v15, v6, v14, s36
	v_lshrrev_b32_e32 v6, 16, v0
	v_cmp_lt_i32_e64 s[4:5], v47, v3
	v_cndmask_b32_e64 v6, 0, v6, s[4:5]
	v_cmp_lt_i32_e64 s[4:5], v46, v16
	v_cndmask_b32_e64 v0, 0, v0, s[4:5]
	v_perm_b32 v0, v6, v0, s36
	v_lshrrev_b32_e32 v6, 16, v4
	v_cmp_lt_i32_e64 s[4:5], v45, v3
	v_cndmask_b32_e64 v6, 0, v6, s[4:5]
	v_cmp_lt_i32_e64 s[4:5], v44, v16
	v_cndmask_b32_e64 v4, 0, v4, s[4:5]
	v_lshrrev_b32_e32 v5, 16, v5
	v_cmp_lt_i32_e64 s[4:5], v40, v3
	v_cndmask_b32_e64 v5, 0, v5, s[4:5]
	v_cmp_lt_i32_e64 s[4:5], v54, v16
	v_perm_b32 v4, v6, v4, s36
	v_cndmask_b32_e64 v6, 0, v7, s[4:5]
	v_perm_b32 v5, v5, v6, s36
.LBB302_487:                            ;   in Loop: Header=BB302_386 Depth=1
	s_or_b64 exec, exec, s[18:19]
	;;#ASMSTART
	v_pk_mul_f16 v6, v60, v15;

	;;#ASMEND
	;;#ASMSTART
	v_pk_mul_f16 v0, v59, v0;

	;;#ASMEND
	;; [unrolled: 4-line block ×4, first 2 shown]
	;;#ASMSTART
	v_pk_add_f16 v0, v6, v0;

	;;#ASMEND
	;;#ASMSTART
	v_pk_add_f16 v0, v0, v4;

	;;#ASMEND
	;; [unrolled: 4-line block ×3, first 2 shown]
	v_lshrrev_b32_e32 v5, 16, v0
	v_accvgpr_read_b32 v7, a5
	v_and_b32_e32 v0, 0xffff, v0
	;;#ASMSTART
	v_cvt_f32_f16 v4, v0;
	;;#ASMEND
	;;#ASMSTART
	v_cvt_f32_f16 v5, v5;
	;;#ASMEND
	flat_load_dwordx2 v[28:29], v[12:13] offset:1024
	v_accvgpr_read_b32 v6, a4
	flat_load_dword v14, v[6:7]
	v_mov_b32_e32 v24, 0
	v_mov_b32_e32 v20, 0
	s_waitcnt vmcnt(0) lgkmcnt(0)
	v_cmp_ne_u16_sdwa s[4:5], v28, v1 src0_sel:BYTE_0 src1_sel:DWORD
	s_and_saveexec_b64 s[18:19], s[4:5]
	s_cbranch_execz .LBB302_493
; %bb.488:                              ;   in Loop: Header=BB302_386 Depth=1
	v_cmp_ne_u16_sdwa s[4:5], v28, s7 src0_sel:BYTE_0 src1_sel:DWORD
	v_bfrev_b32_e32 v20, 1
	s_and_saveexec_b64 s[20:21], s[4:5]
	s_cbranch_execz .LBB302_492
; %bb.489:                              ;   in Loop: Header=BB302_386 Depth=1
	v_and_b32_e32 v0, 0x7f, v28
	v_cmp_ne_u32_e64 s[4:5], s15, v0
	v_mov_b32_e32 v20, 0x7fc02000
	s_and_saveexec_b64 s[22:23], s[4:5]
	s_cbranch_execz .LBB302_491
; %bb.490:                              ;   in Loop: Header=BB302_386 Depth=1
	v_and_b32_e32 v6, 7, v28
	v_ffbh_u32_e32 v6, v6
	v_min_u32_e32 v6, 32, v6
	v_subrev_u32_e32 v7, 28, v6
	v_cmp_gt_u32_e64 s[4:5], 8, v0
	v_lshrrev_b32_e32 v15, 3, v0
	v_sub_u32_e32 v16, 29, v6
	v_cndmask_b32_e64 v0, 0, v7, s[4:5]
	v_lshlrev_b64 v[6:7], v0, v[28:29]
	v_cndmask_b32_e64 v0, v15, v16, s[4:5]
	v_lshlrev_b32_e32 v7, 8, v28
	v_lshl_add_u32 v0, v0, 10, v50
	v_lshlrev_b32_e32 v6, 7, v6
	v_and_or_b32 v0, v7, s30, v0
	v_and_or_b32 v0, v6, s31, v0
	v_cvt_f32_f16_e32 v20, v0
.LBB302_491:                            ;   in Loop: Header=BB302_386 Depth=1
	s_or_b64 exec, exec, s[22:23]
.LBB302_492:                            ;   in Loop: Header=BB302_386 Depth=1
	s_or_b64 exec, exec, s[20:21]
.LBB302_493:                            ;   in Loop: Header=BB302_386 Depth=1
	s_or_b64 exec, exec, s[18:19]
	v_lshrrev_b16_e32 v0, 8, v28
	v_cmp_ne_u16_e64 s[4:5], 0, v0
	s_and_saveexec_b64 s[18:19], s[4:5]
	s_cbranch_execz .LBB302_499
; %bb.494:                              ;   in Loop: Header=BB302_386 Depth=1
	v_cmp_ne_u16_e64 s[4:5], s7, v0
	v_bfrev_b32_e32 v24, 1
	s_and_saveexec_b64 s[20:21], s[4:5]
	s_cbranch_execz .LBB302_498
; %bb.495:                              ;   in Loop: Header=BB302_386 Depth=1
	v_and_b32_e32 v6, 0x7f, v0
	v_cmp_ne_u32_e64 s[4:5], s15, v6
	v_mov_b32_e32 v24, 0x7fc02000
	s_and_saveexec_b64 s[22:23], s[4:5]
	s_cbranch_execz .LBB302_497
; %bb.496:                              ;   in Loop: Header=BB302_386 Depth=1
	v_and_b32_e32 v7, 7, v0
	v_ffbh_u32_e32 v16, v7
	v_min_u32_e32 v16, 32, v16
	v_lshrrev_b32_e32 v15, 3, v6
	v_subrev_u32_e32 v17, 28, v16
	v_sub_u32_e32 v16, 29, v16
	v_cmp_gt_u32_e64 s[4:5], 8, v6
	v_lshlrev_b64 v[24:25], v17, v[0:1]
	v_cndmask_b32_e64 v6, v15, v16, s[4:5]
	v_and_b32_e32 v17, 7, v24
	v_lshlrev_b32_e32 v0, 8, v0
	v_lshl_add_u32 v6, v6, 10, v50
	v_cndmask_b32_e64 v7, v7, v17, s[4:5]
	v_and_or_b32 v0, v0, s30, v6
	v_lshl_or_b32 v0, v7, 7, v0
	v_cvt_f32_f16_e32 v24, v0
.LBB302_497:                            ;   in Loop: Header=BB302_386 Depth=1
	s_or_b64 exec, exec, s[22:23]
.LBB302_498:                            ;   in Loop: Header=BB302_386 Depth=1
	s_or_b64 exec, exec, s[20:21]
.LBB302_499:                            ;   in Loop: Header=BB302_386 Depth=1
	s_or_b64 exec, exec, s[18:19]
	v_lshrrev_b32_e32 v0, 16, v28
	v_cmp_ne_u16_sdwa s[4:5], v0, v1 src0_sel:BYTE_0 src1_sel:DWORD
	v_mov_b32_e32 v25, 0
	v_mov_b32_e32 v21, 0
	s_and_saveexec_b64 s[18:19], s[4:5]
	s_cbranch_execz .LBB302_505
; %bb.500:                              ;   in Loop: Header=BB302_386 Depth=1
	v_cmp_ne_u16_sdwa s[4:5], v0, s7 src0_sel:BYTE_0 src1_sel:DWORD
	v_bfrev_b32_e32 v21, 1
	s_and_saveexec_b64 s[20:21], s[4:5]
	s_cbranch_execz .LBB302_504
; %bb.501:                              ;   in Loop: Header=BB302_386 Depth=1
	v_bfe_u32 v6, v28, 16, 7
	v_cmp_ne_u32_e64 s[4:5], s15, v6
	v_mov_b32_e32 v21, 0x7fc02000
	s_and_saveexec_b64 s[22:23], s[4:5]
	s_cbranch_execz .LBB302_503
; %bb.502:                              ;   in Loop: Header=BB302_386 Depth=1
	v_and_b32_e32 v7, 7, v0
	v_ffbh_u32_e32 v16, v7
	v_min_u32_e32 v16, 32, v16
	v_lshrrev_b32_e32 v15, 3, v6
	v_subrev_u32_e32 v17, 28, v16
	v_sub_u32_e32 v16, 29, v16
	v_cmp_gt_u32_e64 s[4:5], 8, v6
	v_lshlrev_b64 v[26:27], v17, v[0:1]
	v_cndmask_b32_e64 v6, v15, v16, s[4:5]
	v_and_b32_e32 v17, 7, v26
	v_lshlrev_b32_e32 v0, 8, v0
	v_lshl_add_u32 v6, v6, 10, v50
	v_cndmask_b32_e64 v7, v7, v17, s[4:5]
	v_and_or_b32 v0, v0, s30, v6
	v_lshl_or_b32 v0, v7, 7, v0
	v_cvt_f32_f16_e32 v21, v0
.LBB302_503:                            ;   in Loop: Header=BB302_386 Depth=1
	s_or_b64 exec, exec, s[22:23]
.LBB302_504:                            ;   in Loop: Header=BB302_386 Depth=1
	s_or_b64 exec, exec, s[20:21]
.LBB302_505:                            ;   in Loop: Header=BB302_386 Depth=1
	s_or_b64 exec, exec, s[18:19]
	v_cmp_lt_u32_e64 s[4:5], s13, v28
	s_and_saveexec_b64 s[18:19], s[4:5]
	s_cbranch_execz .LBB302_511
; %bb.506:                              ;   in Loop: Header=BB302_386 Depth=1
	v_lshrrev_b32_e32 v0, 24, v28
	v_cmp_ne_u32_e64 s[4:5], s7, v0
	v_bfrev_b32_e32 v25, 1
	s_and_saveexec_b64 s[20:21], s[4:5]
	s_cbranch_execz .LBB302_510
; %bb.507:                              ;   in Loop: Header=BB302_386 Depth=1
	v_and_b32_e32 v6, 0x7f, v0
	v_cmp_ne_u32_e64 s[4:5], s15, v6
	v_mov_b32_e32 v25, 0x7fc02000
	s_and_saveexec_b64 s[22:23], s[4:5]
	s_cbranch_execz .LBB302_509
; %bb.508:                              ;   in Loop: Header=BB302_386 Depth=1
	v_and_b32_e32 v7, 7, v0
	v_ffbh_u32_e32 v16, v7
	v_min_u32_e32 v16, 32, v16
	v_lshrrev_b32_e32 v15, 3, v6
	v_subrev_u32_e32 v17, 28, v16
	v_sub_u32_e32 v16, 29, v16
	v_cmp_gt_u32_e64 s[4:5], 8, v6
	v_lshlrev_b64 v[26:27], v17, v[0:1]
	v_cndmask_b32_e64 v6, v15, v16, s[4:5]
	v_and_b32_e32 v17, 7, v26
	v_lshlrev_b32_e32 v0, 8, v0
	v_lshl_add_u32 v6, v6, 10, v50
	v_cndmask_b32_e64 v7, v7, v17, s[4:5]
	v_and_or_b32 v0, v0, s30, v6
	v_lshl_or_b32 v0, v7, 7, v0
	v_cvt_f32_f16_e32 v25, v0
.LBB302_509:                            ;   in Loop: Header=BB302_386 Depth=1
	s_or_b64 exec, exec, s[22:23]
.LBB302_510:                            ;   in Loop: Header=BB302_386 Depth=1
	s_or_b64 exec, exec, s[20:21]
.LBB302_511:                            ;   in Loop: Header=BB302_386 Depth=1
	s_or_b64 exec, exec, s[18:19]
	v_mov_b32_e32 v0, v29
	v_cmp_ne_u16_sdwa s[4:5], v29, v1 src0_sel:BYTE_0 src1_sel:DWORD
	v_mov_b32_e32 v7, 0
	v_mov_b32_e32 v6, 0
	s_and_saveexec_b64 s[18:19], s[4:5]
	s_cbranch_execz .LBB302_517
; %bb.512:                              ;   in Loop: Header=BB302_386 Depth=1
	v_cmp_ne_u16_sdwa s[4:5], v29, s7 src0_sel:BYTE_0 src1_sel:DWORD
	v_bfrev_b32_e32 v6, 1
	s_and_saveexec_b64 s[20:21], s[4:5]
	s_cbranch_execz .LBB302_516
; %bb.513:                              ;   in Loop: Header=BB302_386 Depth=1
	v_and_b32_e32 v15, 0x7f, v29
	v_cmp_ne_u32_e64 s[4:5], s15, v15
	v_mov_b32_e32 v6, 0x7fc02000
	s_and_saveexec_b64 s[22:23], s[4:5]
	s_cbranch_execz .LBB302_515
; %bb.514:                              ;   in Loop: Header=BB302_386 Depth=1
	v_and_b32_e32 v6, 7, v29
	v_ffbh_u32_e32 v6, v6
	v_min_u32_e32 v6, 32, v6
	v_lshrrev_b32_e32 v16, 3, v15
	v_subrev_u32_e32 v17, 28, v6
	v_sub_u32_e32 v6, 29, v6
	v_cmp_gt_u32_e64 s[4:5], 8, v15
	v_cndmask_b32_e64 v15, 0, v17, s[4:5]
	v_cndmask_b32_e64 v6, v16, v6, s[4:5]
	v_lshlrev_b64 v[26:27], v15, v[0:1]
	v_lshlrev_b32_e32 v16, 8, v29
	v_lshl_add_u32 v6, v6, 10, v50
	v_lshlrev_b32_e32 v15, 7, v26
	v_and_or_b32 v6, v16, s30, v6
	v_and_or_b32 v6, v15, s31, v6
	v_cvt_f32_f16_e32 v6, v6
.LBB302_515:                            ;   in Loop: Header=BB302_386 Depth=1
	s_or_b64 exec, exec, s[22:23]
.LBB302_516:                            ;   in Loop: Header=BB302_386 Depth=1
	s_or_b64 exec, exec, s[20:21]
.LBB302_517:                            ;   in Loop: Header=BB302_386 Depth=1
	s_or_b64 exec, exec, s[18:19]
	v_lshrrev_b16_e32 v0, 8, v0
	v_cmp_ne_u16_e64 s[4:5], 0, v0
	s_and_saveexec_b64 s[18:19], s[4:5]
	s_cbranch_execz .LBB302_523
; %bb.518:                              ;   in Loop: Header=BB302_386 Depth=1
	v_cmp_ne_u16_e64 s[4:5], s7, v0
	v_bfrev_b32_e32 v7, 1
	s_and_saveexec_b64 s[20:21], s[4:5]
	s_cbranch_execz .LBB302_522
; %bb.519:                              ;   in Loop: Header=BB302_386 Depth=1
	v_and_b32_e32 v15, 0x7f, v0
	v_cmp_ne_u32_e64 s[4:5], s15, v15
	v_mov_b32_e32 v7, 0x7fc02000
	s_and_saveexec_b64 s[22:23], s[4:5]
	s_cbranch_execz .LBB302_521
; %bb.520:                              ;   in Loop: Header=BB302_386 Depth=1
	v_and_b32_e32 v7, 7, v0
	v_ffbh_u32_e32 v17, v7
	v_min_u32_e32 v17, 32, v17
	v_lshrrev_b32_e32 v16, 3, v15
	v_subrev_u32_e32 v18, 28, v17
	v_sub_u32_e32 v17, 29, v17
	v_cmp_gt_u32_e64 s[4:5], 8, v15
	v_lshlrev_b64 v[26:27], v18, v[0:1]
	v_cndmask_b32_e64 v15, v16, v17, s[4:5]
	v_and_b32_e32 v18, 7, v26
	v_lshlrev_b32_e32 v0, 8, v0
	v_lshl_add_u32 v15, v15, 10, v50
	v_cndmask_b32_e64 v7, v7, v18, s[4:5]
	v_and_or_b32 v0, v0, s30, v15
	v_lshl_or_b32 v0, v7, 7, v0
	v_cvt_f32_f16_e32 v7, v0
.LBB302_521:                            ;   in Loop: Header=BB302_386 Depth=1
	s_or_b64 exec, exec, s[22:23]
.LBB302_522:                            ;   in Loop: Header=BB302_386 Depth=1
	s_or_b64 exec, exec, s[20:21]
.LBB302_523:                            ;   in Loop: Header=BB302_386 Depth=1
	s_or_b64 exec, exec, s[18:19]
	v_lshrrev_b32_e32 v0, 16, v29
	v_cmp_ne_u16_sdwa s[4:5], v0, v1 src0_sel:BYTE_0 src1_sel:DWORD
	v_mov_b32_e32 v15, 0
	v_mov_b32_e32 v17, 0
	s_and_saveexec_b64 s[18:19], s[4:5]
	s_cbranch_execz .LBB302_529
; %bb.524:                              ;   in Loop: Header=BB302_386 Depth=1
	v_cmp_ne_u16_sdwa s[4:5], v0, s7 src0_sel:BYTE_0 src1_sel:DWORD
	v_bfrev_b32_e32 v17, 1
	s_and_saveexec_b64 s[20:21], s[4:5]
	s_cbranch_execz .LBB302_528
; %bb.525:                              ;   in Loop: Header=BB302_386 Depth=1
	v_bfe_u32 v22, v29, 16, 7
	v_cmp_ne_u32_e64 s[4:5], s15, v22
	v_mov_b32_e32 v17, 0x7fc02000
	s_and_saveexec_b64 s[22:23], s[4:5]
	s_cbranch_execz .LBB302_527
; %bb.526:                              ;   in Loop: Header=BB302_386 Depth=1
	v_and_b32_e32 v16, 7, v0
	v_ffbh_u32_e32 v18, v16
	v_min_u32_e32 v18, 32, v18
	v_lshrrev_b32_e32 v17, 3, v22
	v_subrev_u32_e32 v23, 28, v18
	v_sub_u32_e32 v18, 29, v18
	v_cmp_gt_u32_e64 s[4:5], 8, v22
	v_lshlrev_b64 v[26:27], v23, v[0:1]
	v_cndmask_b32_e64 v17, v17, v18, s[4:5]
	v_and_b32_e32 v23, 7, v26
	v_lshlrev_b32_e32 v0, 8, v0
	v_lshl_add_u32 v17, v17, 10, v50
	v_cndmask_b32_e64 v16, v16, v23, s[4:5]
	v_and_or_b32 v0, v0, s30, v17
	v_lshl_or_b32 v0, v16, 7, v0
	v_cvt_f32_f16_e32 v17, v0
.LBB302_527:                            ;   in Loop: Header=BB302_386 Depth=1
	s_or_b64 exec, exec, s[22:23]
.LBB302_528:                            ;   in Loop: Header=BB302_386 Depth=1
	s_or_b64 exec, exec, s[20:21]
.LBB302_529:                            ;   in Loop: Header=BB302_386 Depth=1
	s_or_b64 exec, exec, s[18:19]
	v_cmp_lt_u64_e64 s[4:5], s[12:13], v[28:29]
	s_and_saveexec_b64 s[18:19], s[4:5]
	s_cbranch_execz .LBB302_535
; %bb.530:                              ;   in Loop: Header=BB302_386 Depth=1
	v_lshrrev_b32_e32 v0, 24, v29
	v_cmp_ne_u32_e64 s[4:5], s7, v0
	v_bfrev_b32_e32 v15, 1
	s_and_saveexec_b64 s[20:21], s[4:5]
	s_cbranch_execz .LBB302_534
; %bb.531:                              ;   in Loop: Header=BB302_386 Depth=1
	v_and_b32_e32 v22, 0x7f, v0
	v_cmp_ne_u32_e64 s[4:5], s15, v22
	v_mov_b32_e32 v15, 0x7fc02000
	s_and_saveexec_b64 s[22:23], s[4:5]
	s_cbranch_execz .LBB302_533
; %bb.532:                              ;   in Loop: Header=BB302_386 Depth=1
	v_and_b32_e32 v15, 7, v0
	v_ffbh_u32_e32 v18, v15
	v_min_u32_e32 v18, 32, v18
	v_lshrrev_b32_e32 v16, 3, v22
	v_subrev_u32_e32 v23, 28, v18
	v_sub_u32_e32 v18, 29, v18
	v_cmp_gt_u32_e64 s[4:5], 8, v22
	v_lshlrev_b64 v[26:27], v23, v[0:1]
	v_cndmask_b32_e64 v16, v16, v18, s[4:5]
	v_and_b32_e32 v23, 7, v26
	v_lshlrev_b32_e32 v0, 8, v0
	v_lshl_add_u32 v16, v16, 10, v50
	v_cndmask_b32_e64 v15, v15, v23, s[4:5]
	v_and_or_b32 v0, v0, s30, v16
	v_lshl_or_b32 v0, v15, 7, v0
	v_cvt_f32_f16_e32 v15, v0
.LBB302_533:                            ;   in Loop: Header=BB302_386 Depth=1
	s_or_b64 exec, exec, s[22:23]
.LBB302_534:                            ;   in Loop: Header=BB302_386 Depth=1
	s_or_b64 exec, exec, s[20:21]
.LBB302_535:                            ;   in Loop: Header=BB302_386 Depth=1
	s_or_b64 exec, exec, s[18:19]
	v_pk_mul_f32 v[24:25], v[14:15], v[24:25] op_sel_hi:[0,1]
	v_pk_mul_f32 v[20:21], v[14:15], v[20:21] op_sel_hi:[0,1]
	v_cvt_f16_f32_e32 v0, v25
	v_cvt_f16_f32_e32 v16, v24
	;; [unrolled: 1-line block ×4, first 2 shown]
	v_fma_mixlo_f16 v7, v14, v7, 0
	v_lshlrev_b32_e32 v7, 16, v7
	v_fma_mixlo_f16 v6, v14, v6, 0
	v_or_b32_sdwa v6, v7, v6 dst_sel:DWORD dst_unused:UNUSED_PAD src0_sel:DWORD src1_sel:WORD_0
	v_fma_mixlo_f16 v7, v14, v15, 0
	v_pack_b32_f16 v16, v16, v0
	v_pack_b32_f16 v18, v20, v18
	v_fma_mixlo_f16 v17, v14, v17, 0
	v_lshlrev_b32_e32 v7, 16, v7
	v_perm_b32 v0, v18, v16, s34
	v_perm_b32 v20, v18, v16, s35
	v_or_b32_sdwa v7, v7, v17 dst_sel:DWORD dst_unused:UNUSED_PAD src0_sel:DWORD src1_sel:WORD_0
	s_and_saveexec_b64 s[18:19], vcc
	s_cbranch_execz .LBB302_537
; %bb.536:                              ;   in Loop: Header=BB302_386 Depth=1
	v_lshrrev_b32_e32 v14, 16, v20
	v_cmp_lt_i32_e64 s[4:5], v56, v3
	v_accvgpr_read_b32 v16, a8
	v_cndmask_b32_e64 v14, 0, v14, s[4:5]
	v_cmp_lt_i32_e64 s[4:5], v41, v16
	v_cndmask_b32_e64 v15, 0, v20, s[4:5]
	v_perm_b32 v20, v14, v15, s36
	v_lshrrev_b32_e32 v14, 16, v0
	v_cmp_lt_i32_e64 s[4:5], v47, v3
	v_cndmask_b32_e64 v14, 0, v14, s[4:5]
	v_cmp_lt_i32_e64 s[4:5], v46, v16
	v_cndmask_b32_e64 v0, 0, v0, s[4:5]
	v_perm_b32 v0, v14, v0, s36
	v_lshrrev_b32_e32 v14, 16, v6
	v_cmp_lt_i32_e64 s[4:5], v45, v3
	v_cndmask_b32_e64 v14, 0, v14, s[4:5]
	v_cmp_lt_i32_e64 s[4:5], v44, v16
	v_cndmask_b32_e64 v6, 0, v6, s[4:5]
	v_lshrrev_b32_e32 v7, 16, v7
	v_cmp_lt_i32_e64 s[4:5], v40, v3
	v_cndmask_b32_e64 v7, 0, v7, s[4:5]
	v_cmp_lt_i32_e64 s[4:5], v54, v16
	v_perm_b32 v6, v14, v6, s36
	v_cndmask_b32_e64 v14, 0, v17, s[4:5]
	v_perm_b32 v7, v7, v14, s36
.LBB302_537:                            ;   in Loop: Header=BB302_386 Depth=1
	s_or_b64 exec, exec, s[18:19]
	;;#ASMSTART
	v_pk_mul_f16 v14, v60, v20;

	;;#ASMEND
	;;#ASMSTART
	v_pk_mul_f16 v0, v59, v0;

	;;#ASMEND
	;; [unrolled: 4-line block ×4, first 2 shown]
	;;#ASMSTART
	v_pk_add_f16 v0, v14, v0;

	;;#ASMEND
	;;#ASMSTART
	v_pk_add_f16 v0, v0, v6;

	;;#ASMEND
	;; [unrolled: 4-line block ×3, first 2 shown]
	v_lshrrev_b32_e32 v6, 16, v0
	v_and_b32_e32 v0, 0xffff, v0
	;;#ASMSTART
	v_cvt_f32_f16 v42, v0;
	;;#ASMEND
	;;#ASMSTART
	v_cvt_f32_f16 v51, v6;
	;;#ASMEND
	v_accvgpr_read_b32 v7, a5
	flat_load_dwordx2 v[28:29], v[12:13] offset:1536
	v_accvgpr_read_b32 v6, a4
	flat_load_dword v14, v[6:7]
	v_mov_b32_e32 v24, 0
	v_mov_b32_e32 v20, 0
	s_waitcnt vmcnt(0) lgkmcnt(0)
	v_cmp_ne_u16_sdwa s[4:5], v28, v1 src0_sel:BYTE_0 src1_sel:DWORD
	s_and_saveexec_b64 s[18:19], s[4:5]
	s_cbranch_execz .LBB302_543
; %bb.538:                              ;   in Loop: Header=BB302_386 Depth=1
	v_cmp_ne_u16_sdwa s[4:5], v28, s7 src0_sel:BYTE_0 src1_sel:DWORD
	v_bfrev_b32_e32 v20, 1
	s_and_saveexec_b64 s[20:21], s[4:5]
	s_cbranch_execz .LBB302_542
; %bb.539:                              ;   in Loop: Header=BB302_386 Depth=1
	v_and_b32_e32 v0, 0x7f, v28
	v_cmp_ne_u32_e64 s[4:5], s15, v0
	v_mov_b32_e32 v20, 0x7fc02000
	s_and_saveexec_b64 s[22:23], s[4:5]
	s_cbranch_execz .LBB302_541
; %bb.540:                              ;   in Loop: Header=BB302_386 Depth=1
	v_and_b32_e32 v6, 7, v28
	v_ffbh_u32_e32 v6, v6
	v_min_u32_e32 v6, 32, v6
	v_subrev_u32_e32 v7, 28, v6
	v_cmp_gt_u32_e64 s[4:5], 8, v0
	v_lshrrev_b32_e32 v15, 3, v0
	v_sub_u32_e32 v16, 29, v6
	v_cndmask_b32_e64 v0, 0, v7, s[4:5]
	v_lshlrev_b64 v[6:7], v0, v[28:29]
	v_cndmask_b32_e64 v0, v15, v16, s[4:5]
	v_lshlrev_b32_e32 v7, 8, v28
	v_lshl_add_u32 v0, v0, 10, v50
	v_lshlrev_b32_e32 v6, 7, v6
	v_and_or_b32 v0, v7, s30, v0
	v_and_or_b32 v0, v6, s31, v0
	v_cvt_f32_f16_e32 v20, v0
.LBB302_541:                            ;   in Loop: Header=BB302_386 Depth=1
	s_or_b64 exec, exec, s[22:23]
.LBB302_542:                            ;   in Loop: Header=BB302_386 Depth=1
	s_or_b64 exec, exec, s[20:21]
.LBB302_543:                            ;   in Loop: Header=BB302_386 Depth=1
	s_or_b64 exec, exec, s[18:19]
	v_lshrrev_b16_e32 v0, 8, v28
	v_cmp_ne_u16_e64 s[4:5], 0, v0
	s_and_saveexec_b64 s[18:19], s[4:5]
	s_cbranch_execz .LBB302_549
; %bb.544:                              ;   in Loop: Header=BB302_386 Depth=1
	v_cmp_ne_u16_e64 s[4:5], s7, v0
	v_bfrev_b32_e32 v24, 1
	s_and_saveexec_b64 s[20:21], s[4:5]
	s_cbranch_execz .LBB302_548
; %bb.545:                              ;   in Loop: Header=BB302_386 Depth=1
	v_and_b32_e32 v6, 0x7f, v0
	v_cmp_ne_u32_e64 s[4:5], s15, v6
	v_mov_b32_e32 v24, 0x7fc02000
	s_and_saveexec_b64 s[22:23], s[4:5]
	s_cbranch_execz .LBB302_547
; %bb.546:                              ;   in Loop: Header=BB302_386 Depth=1
	v_and_b32_e32 v7, 7, v0
	v_ffbh_u32_e32 v16, v7
	v_min_u32_e32 v16, 32, v16
	v_lshrrev_b32_e32 v15, 3, v6
	v_subrev_u32_e32 v17, 28, v16
	v_sub_u32_e32 v16, 29, v16
	v_cmp_gt_u32_e64 s[4:5], 8, v6
	v_lshlrev_b64 v[24:25], v17, v[0:1]
	v_cndmask_b32_e64 v6, v15, v16, s[4:5]
	v_and_b32_e32 v17, 7, v24
	v_lshlrev_b32_e32 v0, 8, v0
	v_lshl_add_u32 v6, v6, 10, v50
	v_cndmask_b32_e64 v7, v7, v17, s[4:5]
	v_and_or_b32 v0, v0, s30, v6
	v_lshl_or_b32 v0, v7, 7, v0
	v_cvt_f32_f16_e32 v24, v0
.LBB302_547:                            ;   in Loop: Header=BB302_386 Depth=1
	s_or_b64 exec, exec, s[22:23]
.LBB302_548:                            ;   in Loop: Header=BB302_386 Depth=1
	s_or_b64 exec, exec, s[20:21]
.LBB302_549:                            ;   in Loop: Header=BB302_386 Depth=1
	s_or_b64 exec, exec, s[18:19]
	v_lshrrev_b32_e32 v0, 16, v28
	v_cmp_ne_u16_sdwa s[4:5], v0, v1 src0_sel:BYTE_0 src1_sel:DWORD
	v_mov_b32_e32 v25, 0
	v_mov_b32_e32 v21, 0
	s_and_saveexec_b64 s[18:19], s[4:5]
	s_cbranch_execz .LBB302_555
; %bb.550:                              ;   in Loop: Header=BB302_386 Depth=1
	v_cmp_ne_u16_sdwa s[4:5], v0, s7 src0_sel:BYTE_0 src1_sel:DWORD
	v_bfrev_b32_e32 v21, 1
	s_and_saveexec_b64 s[20:21], s[4:5]
	s_cbranch_execz .LBB302_554
; %bb.551:                              ;   in Loop: Header=BB302_386 Depth=1
	v_bfe_u32 v6, v28, 16, 7
	v_cmp_ne_u32_e64 s[4:5], s15, v6
	v_mov_b32_e32 v21, 0x7fc02000
	s_and_saveexec_b64 s[22:23], s[4:5]
	s_cbranch_execz .LBB302_553
; %bb.552:                              ;   in Loop: Header=BB302_386 Depth=1
	v_and_b32_e32 v7, 7, v0
	v_ffbh_u32_e32 v16, v7
	v_min_u32_e32 v16, 32, v16
	v_lshrrev_b32_e32 v15, 3, v6
	v_subrev_u32_e32 v17, 28, v16
	v_sub_u32_e32 v16, 29, v16
	v_cmp_gt_u32_e64 s[4:5], 8, v6
	v_lshlrev_b64 v[26:27], v17, v[0:1]
	v_cndmask_b32_e64 v6, v15, v16, s[4:5]
	v_and_b32_e32 v17, 7, v26
	v_lshlrev_b32_e32 v0, 8, v0
	v_lshl_add_u32 v6, v6, 10, v50
	v_cndmask_b32_e64 v7, v7, v17, s[4:5]
	v_and_or_b32 v0, v0, s30, v6
	v_lshl_or_b32 v0, v7, 7, v0
	v_cvt_f32_f16_e32 v21, v0
.LBB302_553:                            ;   in Loop: Header=BB302_386 Depth=1
	s_or_b64 exec, exec, s[22:23]
.LBB302_554:                            ;   in Loop: Header=BB302_386 Depth=1
	s_or_b64 exec, exec, s[20:21]
.LBB302_555:                            ;   in Loop: Header=BB302_386 Depth=1
	s_or_b64 exec, exec, s[18:19]
	v_cmp_lt_u32_e64 s[4:5], s13, v28
	s_and_saveexec_b64 s[18:19], s[4:5]
	s_cbranch_execz .LBB302_561
; %bb.556:                              ;   in Loop: Header=BB302_386 Depth=1
	v_lshrrev_b32_e32 v0, 24, v28
	v_cmp_ne_u32_e64 s[4:5], s7, v0
	v_bfrev_b32_e32 v25, 1
	s_and_saveexec_b64 s[20:21], s[4:5]
	s_cbranch_execz .LBB302_560
; %bb.557:                              ;   in Loop: Header=BB302_386 Depth=1
	v_and_b32_e32 v6, 0x7f, v0
	v_cmp_ne_u32_e64 s[4:5], s15, v6
	v_mov_b32_e32 v25, 0x7fc02000
	s_and_saveexec_b64 s[22:23], s[4:5]
	s_cbranch_execz .LBB302_559
; %bb.558:                              ;   in Loop: Header=BB302_386 Depth=1
	v_and_b32_e32 v7, 7, v0
	v_ffbh_u32_e32 v16, v7
	v_min_u32_e32 v16, 32, v16
	v_lshrrev_b32_e32 v15, 3, v6
	v_subrev_u32_e32 v17, 28, v16
	v_sub_u32_e32 v16, 29, v16
	v_cmp_gt_u32_e64 s[4:5], 8, v6
	v_lshlrev_b64 v[26:27], v17, v[0:1]
	v_cndmask_b32_e64 v6, v15, v16, s[4:5]
	v_and_b32_e32 v17, 7, v26
	v_lshlrev_b32_e32 v0, 8, v0
	v_lshl_add_u32 v6, v6, 10, v50
	v_cndmask_b32_e64 v7, v7, v17, s[4:5]
	v_and_or_b32 v0, v0, s30, v6
	v_lshl_or_b32 v0, v7, 7, v0
	v_cvt_f32_f16_e32 v25, v0
.LBB302_559:                            ;   in Loop: Header=BB302_386 Depth=1
	s_or_b64 exec, exec, s[22:23]
.LBB302_560:                            ;   in Loop: Header=BB302_386 Depth=1
	s_or_b64 exec, exec, s[20:21]
.LBB302_561:                            ;   in Loop: Header=BB302_386 Depth=1
	s_or_b64 exec, exec, s[18:19]
	v_mov_b32_e32 v0, v29
	v_cmp_ne_u16_sdwa s[4:5], v29, v1 src0_sel:BYTE_0 src1_sel:DWORD
	v_mov_b32_e32 v7, 0
	v_mov_b32_e32 v6, 0
	s_and_saveexec_b64 s[18:19], s[4:5]
	s_cbranch_execz .LBB302_567
; %bb.562:                              ;   in Loop: Header=BB302_386 Depth=1
	v_cmp_ne_u16_sdwa s[4:5], v29, s7 src0_sel:BYTE_0 src1_sel:DWORD
	v_bfrev_b32_e32 v6, 1
	s_and_saveexec_b64 s[20:21], s[4:5]
	s_cbranch_execz .LBB302_566
; %bb.563:                              ;   in Loop: Header=BB302_386 Depth=1
	v_and_b32_e32 v15, 0x7f, v29
	v_cmp_ne_u32_e64 s[4:5], s15, v15
	v_mov_b32_e32 v6, 0x7fc02000
	s_and_saveexec_b64 s[22:23], s[4:5]
	s_cbranch_execz .LBB302_565
; %bb.564:                              ;   in Loop: Header=BB302_386 Depth=1
	v_and_b32_e32 v6, 7, v29
	v_ffbh_u32_e32 v6, v6
	v_min_u32_e32 v6, 32, v6
	v_lshrrev_b32_e32 v16, 3, v15
	v_subrev_u32_e32 v17, 28, v6
	v_sub_u32_e32 v6, 29, v6
	v_cmp_gt_u32_e64 s[4:5], 8, v15
	v_cndmask_b32_e64 v15, 0, v17, s[4:5]
	v_cndmask_b32_e64 v6, v16, v6, s[4:5]
	v_lshlrev_b64 v[26:27], v15, v[0:1]
	v_lshlrev_b32_e32 v16, 8, v29
	v_lshl_add_u32 v6, v6, 10, v50
	v_lshlrev_b32_e32 v15, 7, v26
	v_and_or_b32 v6, v16, s30, v6
	v_and_or_b32 v6, v15, s31, v6
	v_cvt_f32_f16_e32 v6, v6
.LBB302_565:                            ;   in Loop: Header=BB302_386 Depth=1
	s_or_b64 exec, exec, s[22:23]
.LBB302_566:                            ;   in Loop: Header=BB302_386 Depth=1
	s_or_b64 exec, exec, s[20:21]
.LBB302_567:                            ;   in Loop: Header=BB302_386 Depth=1
	s_or_b64 exec, exec, s[18:19]
	v_lshrrev_b16_e32 v0, 8, v0
	v_cmp_ne_u16_e64 s[4:5], 0, v0
	s_and_saveexec_b64 s[18:19], s[4:5]
	s_cbranch_execz .LBB302_573
; %bb.568:                              ;   in Loop: Header=BB302_386 Depth=1
	v_cmp_ne_u16_e64 s[4:5], s7, v0
	v_bfrev_b32_e32 v7, 1
	s_and_saveexec_b64 s[20:21], s[4:5]
	s_cbranch_execz .LBB302_572
; %bb.569:                              ;   in Loop: Header=BB302_386 Depth=1
	v_and_b32_e32 v15, 0x7f, v0
	v_cmp_ne_u32_e64 s[4:5], s15, v15
	v_mov_b32_e32 v7, 0x7fc02000
	s_and_saveexec_b64 s[22:23], s[4:5]
	s_cbranch_execz .LBB302_571
; %bb.570:                              ;   in Loop: Header=BB302_386 Depth=1
	v_and_b32_e32 v7, 7, v0
	v_ffbh_u32_e32 v17, v7
	v_min_u32_e32 v17, 32, v17
	v_lshrrev_b32_e32 v16, 3, v15
	v_subrev_u32_e32 v18, 28, v17
	v_sub_u32_e32 v17, 29, v17
	v_cmp_gt_u32_e64 s[4:5], 8, v15
	v_lshlrev_b64 v[26:27], v18, v[0:1]
	v_cndmask_b32_e64 v15, v16, v17, s[4:5]
	v_and_b32_e32 v18, 7, v26
	v_lshlrev_b32_e32 v0, 8, v0
	v_lshl_add_u32 v15, v15, 10, v50
	v_cndmask_b32_e64 v7, v7, v18, s[4:5]
	v_and_or_b32 v0, v0, s30, v15
	v_lshl_or_b32 v0, v7, 7, v0
	v_cvt_f32_f16_e32 v7, v0
.LBB302_571:                            ;   in Loop: Header=BB302_386 Depth=1
	s_or_b64 exec, exec, s[22:23]
.LBB302_572:                            ;   in Loop: Header=BB302_386 Depth=1
	s_or_b64 exec, exec, s[20:21]
.LBB302_573:                            ;   in Loop: Header=BB302_386 Depth=1
	s_or_b64 exec, exec, s[18:19]
	v_lshrrev_b32_e32 v0, 16, v29
	v_cmp_ne_u16_sdwa s[4:5], v0, v1 src0_sel:BYTE_0 src1_sel:DWORD
	v_mov_b32_e32 v15, 0
	v_mov_b32_e32 v17, 0
	s_and_saveexec_b64 s[18:19], s[4:5]
	s_cbranch_execz .LBB302_579
; %bb.574:                              ;   in Loop: Header=BB302_386 Depth=1
	v_cmp_ne_u16_sdwa s[4:5], v0, s7 src0_sel:BYTE_0 src1_sel:DWORD
	v_bfrev_b32_e32 v17, 1
	s_and_saveexec_b64 s[20:21], s[4:5]
	s_cbranch_execz .LBB302_578
; %bb.575:                              ;   in Loop: Header=BB302_386 Depth=1
	v_bfe_u32 v22, v29, 16, 7
	v_cmp_ne_u32_e64 s[4:5], s15, v22
	v_mov_b32_e32 v17, 0x7fc02000
	s_and_saveexec_b64 s[22:23], s[4:5]
	s_cbranch_execz .LBB302_577
; %bb.576:                              ;   in Loop: Header=BB302_386 Depth=1
	v_and_b32_e32 v16, 7, v0
	v_ffbh_u32_e32 v18, v16
	v_min_u32_e32 v18, 32, v18
	v_lshrrev_b32_e32 v17, 3, v22
	v_subrev_u32_e32 v23, 28, v18
	v_sub_u32_e32 v18, 29, v18
	v_cmp_gt_u32_e64 s[4:5], 8, v22
	v_lshlrev_b64 v[26:27], v23, v[0:1]
	v_cndmask_b32_e64 v17, v17, v18, s[4:5]
	v_and_b32_e32 v23, 7, v26
	v_lshlrev_b32_e32 v0, 8, v0
	v_lshl_add_u32 v17, v17, 10, v50
	v_cndmask_b32_e64 v16, v16, v23, s[4:5]
	v_and_or_b32 v0, v0, s30, v17
	v_lshl_or_b32 v0, v16, 7, v0
	v_cvt_f32_f16_e32 v17, v0
.LBB302_577:                            ;   in Loop: Header=BB302_386 Depth=1
	s_or_b64 exec, exec, s[22:23]
.LBB302_578:                            ;   in Loop: Header=BB302_386 Depth=1
	s_or_b64 exec, exec, s[20:21]
.LBB302_579:                            ;   in Loop: Header=BB302_386 Depth=1
	s_or_b64 exec, exec, s[18:19]
	v_cmp_lt_u64_e64 s[4:5], s[12:13], v[28:29]
	s_and_saveexec_b64 s[18:19], s[4:5]
	s_cbranch_execz .LBB302_585
; %bb.580:                              ;   in Loop: Header=BB302_386 Depth=1
	v_lshrrev_b32_e32 v0, 24, v29
	v_cmp_ne_u32_e64 s[4:5], s7, v0
	v_bfrev_b32_e32 v15, 1
	s_and_saveexec_b64 s[20:21], s[4:5]
	s_cbranch_execz .LBB302_584
; %bb.581:                              ;   in Loop: Header=BB302_386 Depth=1
	v_and_b32_e32 v22, 0x7f, v0
	v_cmp_ne_u32_e64 s[4:5], s15, v22
	v_mov_b32_e32 v15, 0x7fc02000
	s_and_saveexec_b64 s[22:23], s[4:5]
	s_cbranch_execz .LBB302_583
; %bb.582:                              ;   in Loop: Header=BB302_386 Depth=1
	v_and_b32_e32 v15, 7, v0
	v_ffbh_u32_e32 v18, v15
	v_min_u32_e32 v18, 32, v18
	v_lshrrev_b32_e32 v16, 3, v22
	v_subrev_u32_e32 v23, 28, v18
	v_sub_u32_e32 v18, 29, v18
	v_cmp_gt_u32_e64 s[4:5], 8, v22
	v_lshlrev_b64 v[26:27], v23, v[0:1]
	v_cndmask_b32_e64 v16, v16, v18, s[4:5]
	v_and_b32_e32 v23, 7, v26
	v_lshlrev_b32_e32 v0, 8, v0
	v_lshl_add_u32 v16, v16, 10, v50
	v_cndmask_b32_e64 v15, v15, v23, s[4:5]
	v_and_or_b32 v0, v0, s30, v16
	v_lshl_or_b32 v0, v15, 7, v0
	v_cvt_f32_f16_e32 v15, v0
.LBB302_583:                            ;   in Loop: Header=BB302_386 Depth=1
	s_or_b64 exec, exec, s[22:23]
.LBB302_584:                            ;   in Loop: Header=BB302_386 Depth=1
	s_or_b64 exec, exec, s[20:21]
.LBB302_585:                            ;   in Loop: Header=BB302_386 Depth=1
	s_or_b64 exec, exec, s[18:19]
	v_pk_mul_f32 v[24:25], v[14:15], v[24:25] op_sel_hi:[0,1]
	v_pk_mul_f32 v[20:21], v[14:15], v[20:21] op_sel_hi:[0,1]
	v_cvt_f16_f32_e32 v0, v25
	v_cvt_f16_f32_e32 v16, v24
	;; [unrolled: 1-line block ×4, first 2 shown]
	v_fma_mixlo_f16 v7, v14, v7, 0
	v_lshlrev_b32_e32 v7, 16, v7
	v_fma_mixlo_f16 v6, v14, v6, 0
	v_or_b32_sdwa v6, v7, v6 dst_sel:DWORD dst_unused:UNUSED_PAD src0_sel:DWORD src1_sel:WORD_0
	v_fma_mixlo_f16 v7, v14, v15, 0
	v_pack_b32_f16 v16, v16, v0
	v_pack_b32_f16 v18, v20, v18
	v_fma_mixlo_f16 v17, v14, v17, 0
	v_lshlrev_b32_e32 v7, 16, v7
	v_perm_b32 v0, v18, v16, s34
	v_perm_b32 v20, v18, v16, s35
	v_or_b32_sdwa v7, v7, v17 dst_sel:DWORD dst_unused:UNUSED_PAD src0_sel:DWORD src1_sel:WORD_0
	s_and_saveexec_b64 s[18:19], vcc
	s_cbranch_execz .LBB302_587
; %bb.586:                              ;   in Loop: Header=BB302_386 Depth=1
	v_lshrrev_b32_e32 v14, 16, v20
	v_cmp_lt_i32_e64 s[4:5], v56, v3
	v_accvgpr_read_b32 v16, a8
	v_cndmask_b32_e64 v14, 0, v14, s[4:5]
	v_cmp_lt_i32_e64 s[4:5], v41, v16
	v_cndmask_b32_e64 v15, 0, v20, s[4:5]
	v_perm_b32 v20, v14, v15, s36
	v_lshrrev_b32_e32 v14, 16, v0
	v_cmp_lt_i32_e64 s[4:5], v47, v3
	v_cndmask_b32_e64 v14, 0, v14, s[4:5]
	v_cmp_lt_i32_e64 s[4:5], v46, v16
	v_cndmask_b32_e64 v0, 0, v0, s[4:5]
	v_perm_b32 v0, v14, v0, s36
	v_lshrrev_b32_e32 v14, 16, v6
	v_cmp_lt_i32_e64 s[4:5], v45, v3
	v_cndmask_b32_e64 v14, 0, v14, s[4:5]
	v_cmp_lt_i32_e64 s[4:5], v44, v16
	v_cndmask_b32_e64 v6, 0, v6, s[4:5]
	v_lshrrev_b32_e32 v7, 16, v7
	v_cmp_lt_i32_e64 s[4:5], v40, v3
	v_cndmask_b32_e64 v7, 0, v7, s[4:5]
	v_cmp_lt_i32_e64 s[4:5], v54, v16
	v_perm_b32 v6, v14, v6, s36
	v_cndmask_b32_e64 v14, 0, v17, s[4:5]
	v_perm_b32 v7, v7, v14, s36
.LBB302_587:                            ;   in Loop: Header=BB302_386 Depth=1
	s_or_b64 exec, exec, s[18:19]
	;;#ASMSTART
	v_pk_mul_f16 v14, v60, v20;

	;;#ASMEND
	;;#ASMSTART
	v_pk_mul_f16 v0, v59, v0;

	;;#ASMEND
	;;#ASMSTART
	v_pk_mul_f16 v6, v58, v6;

	;;#ASMEND
	;;#ASMSTART
	v_pk_mul_f16 v7, v57, v7;

	;;#ASMEND
	;;#ASMSTART
	v_pk_add_f16 v0, v14, v0;

	;;#ASMEND
	;;#ASMSTART
	v_pk_add_f16 v0, v0, v6;

	;;#ASMEND
	;; [unrolled: 4-line block ×3, first 2 shown]
	v_lshrrev_b32_e32 v6, 16, v0
	v_and_b32_e32 v0, 0xffff, v0
	;;#ASMSTART
	v_cvt_f32_f16 v17, v0;
	;;#ASMEND
	;;#ASMSTART
	v_cvt_f32_f16 v49, v6;
	;;#ASMEND
	v_accvgpr_read_b32 v7, a5
	flat_load_dwordx2 v[28:29], v[12:13] offset:2048
	v_accvgpr_read_b32 v6, a4
	flat_load_dword v14, v[6:7]
	v_mov_b32_e32 v24, 0
	v_mov_b32_e32 v20, 0
	s_waitcnt vmcnt(0) lgkmcnt(0)
	v_cmp_ne_u16_sdwa s[4:5], v28, v1 src0_sel:BYTE_0 src1_sel:DWORD
	s_and_saveexec_b64 s[18:19], s[4:5]
	s_cbranch_execz .LBB302_593
; %bb.588:                              ;   in Loop: Header=BB302_386 Depth=1
	v_cmp_ne_u16_sdwa s[4:5], v28, s7 src0_sel:BYTE_0 src1_sel:DWORD
	v_bfrev_b32_e32 v20, 1
	s_and_saveexec_b64 s[20:21], s[4:5]
	s_cbranch_execz .LBB302_592
; %bb.589:                              ;   in Loop: Header=BB302_386 Depth=1
	v_and_b32_e32 v0, 0x7f, v28
	v_cmp_ne_u32_e64 s[4:5], s15, v0
	v_mov_b32_e32 v20, 0x7fc02000
	s_and_saveexec_b64 s[22:23], s[4:5]
	s_cbranch_execz .LBB302_591
; %bb.590:                              ;   in Loop: Header=BB302_386 Depth=1
	v_and_b32_e32 v6, 7, v28
	v_ffbh_u32_e32 v6, v6
	v_min_u32_e32 v6, 32, v6
	v_subrev_u32_e32 v7, 28, v6
	v_cmp_gt_u32_e64 s[4:5], 8, v0
	v_lshrrev_b32_e32 v15, 3, v0
	v_sub_u32_e32 v16, 29, v6
	v_cndmask_b32_e64 v0, 0, v7, s[4:5]
	v_lshlrev_b64 v[6:7], v0, v[28:29]
	v_cndmask_b32_e64 v0, v15, v16, s[4:5]
	v_lshlrev_b32_e32 v7, 8, v28
	v_lshl_add_u32 v0, v0, 10, v50
	v_lshlrev_b32_e32 v6, 7, v6
	v_and_or_b32 v0, v7, s30, v0
	v_and_or_b32 v0, v6, s31, v0
	v_cvt_f32_f16_e32 v20, v0
.LBB302_591:                            ;   in Loop: Header=BB302_386 Depth=1
	s_or_b64 exec, exec, s[22:23]
.LBB302_592:                            ;   in Loop: Header=BB302_386 Depth=1
	s_or_b64 exec, exec, s[20:21]
.LBB302_593:                            ;   in Loop: Header=BB302_386 Depth=1
	s_or_b64 exec, exec, s[18:19]
	v_lshrrev_b16_e32 v0, 8, v28
	v_cmp_ne_u16_e64 s[4:5], 0, v0
	s_and_saveexec_b64 s[18:19], s[4:5]
	s_cbranch_execz .LBB302_599
; %bb.594:                              ;   in Loop: Header=BB302_386 Depth=1
	v_cmp_ne_u16_e64 s[4:5], s7, v0
	v_bfrev_b32_e32 v24, 1
	s_and_saveexec_b64 s[20:21], s[4:5]
	s_cbranch_execz .LBB302_598
; %bb.595:                              ;   in Loop: Header=BB302_386 Depth=1
	v_and_b32_e32 v6, 0x7f, v0
	v_cmp_ne_u32_e64 s[4:5], s15, v6
	v_mov_b32_e32 v24, 0x7fc02000
	s_and_saveexec_b64 s[22:23], s[4:5]
	s_cbranch_execz .LBB302_597
; %bb.596:                              ;   in Loop: Header=BB302_386 Depth=1
	v_and_b32_e32 v7, 7, v0
	v_ffbh_u32_e32 v16, v7
	v_min_u32_e32 v16, 32, v16
	v_lshrrev_b32_e32 v15, 3, v6
	v_subrev_u32_e32 v18, 28, v16
	v_sub_u32_e32 v16, 29, v16
	v_cmp_gt_u32_e64 s[4:5], 8, v6
	v_lshlrev_b64 v[24:25], v18, v[0:1]
	v_cndmask_b32_e64 v6, v15, v16, s[4:5]
	v_and_b32_e32 v18, 7, v24
	v_lshlrev_b32_e32 v0, 8, v0
	v_lshl_add_u32 v6, v6, 10, v50
	v_cndmask_b32_e64 v7, v7, v18, s[4:5]
	v_and_or_b32 v0, v0, s30, v6
	v_lshl_or_b32 v0, v7, 7, v0
	v_cvt_f32_f16_e32 v24, v0
.LBB302_597:                            ;   in Loop: Header=BB302_386 Depth=1
	s_or_b64 exec, exec, s[22:23]
.LBB302_598:                            ;   in Loop: Header=BB302_386 Depth=1
	s_or_b64 exec, exec, s[20:21]
.LBB302_599:                            ;   in Loop: Header=BB302_386 Depth=1
	s_or_b64 exec, exec, s[18:19]
	v_lshrrev_b32_e32 v0, 16, v28
	v_cmp_ne_u16_sdwa s[4:5], v0, v1 src0_sel:BYTE_0 src1_sel:DWORD
	v_mov_b32_e32 v25, 0
	v_mov_b32_e32 v21, 0
	s_and_saveexec_b64 s[18:19], s[4:5]
	s_cbranch_execz .LBB302_605
; %bb.600:                              ;   in Loop: Header=BB302_386 Depth=1
	v_cmp_ne_u16_sdwa s[4:5], v0, s7 src0_sel:BYTE_0 src1_sel:DWORD
	v_bfrev_b32_e32 v21, 1
	s_and_saveexec_b64 s[20:21], s[4:5]
	s_cbranch_execz .LBB302_604
; %bb.601:                              ;   in Loop: Header=BB302_386 Depth=1
	v_bfe_u32 v6, v28, 16, 7
	v_cmp_ne_u32_e64 s[4:5], s15, v6
	v_mov_b32_e32 v21, 0x7fc02000
	s_and_saveexec_b64 s[22:23], s[4:5]
	s_cbranch_execz .LBB302_603
; %bb.602:                              ;   in Loop: Header=BB302_386 Depth=1
	v_and_b32_e32 v7, 7, v0
	v_ffbh_u32_e32 v16, v7
	v_min_u32_e32 v16, 32, v16
	v_lshrrev_b32_e32 v15, 3, v6
	v_subrev_u32_e32 v18, 28, v16
	v_sub_u32_e32 v16, 29, v16
	v_cmp_gt_u32_e64 s[4:5], 8, v6
	v_lshlrev_b64 v[26:27], v18, v[0:1]
	v_cndmask_b32_e64 v6, v15, v16, s[4:5]
	v_and_b32_e32 v18, 7, v26
	v_lshlrev_b32_e32 v0, 8, v0
	v_lshl_add_u32 v6, v6, 10, v50
	v_cndmask_b32_e64 v7, v7, v18, s[4:5]
	v_and_or_b32 v0, v0, s30, v6
	v_lshl_or_b32 v0, v7, 7, v0
	v_cvt_f32_f16_e32 v21, v0
.LBB302_603:                            ;   in Loop: Header=BB302_386 Depth=1
	s_or_b64 exec, exec, s[22:23]
.LBB302_604:                            ;   in Loop: Header=BB302_386 Depth=1
	s_or_b64 exec, exec, s[20:21]
.LBB302_605:                            ;   in Loop: Header=BB302_386 Depth=1
	s_or_b64 exec, exec, s[18:19]
	v_cmp_lt_u32_e64 s[4:5], s13, v28
	s_and_saveexec_b64 s[18:19], s[4:5]
	s_cbranch_execz .LBB302_611
; %bb.606:                              ;   in Loop: Header=BB302_386 Depth=1
	v_lshrrev_b32_e32 v0, 24, v28
	v_cmp_ne_u32_e64 s[4:5], s7, v0
	v_bfrev_b32_e32 v25, 1
	s_and_saveexec_b64 s[20:21], s[4:5]
	s_cbranch_execz .LBB302_610
; %bb.607:                              ;   in Loop: Header=BB302_386 Depth=1
	v_and_b32_e32 v6, 0x7f, v0
	v_cmp_ne_u32_e64 s[4:5], s15, v6
	v_mov_b32_e32 v25, 0x7fc02000
	s_and_saveexec_b64 s[22:23], s[4:5]
	s_cbranch_execz .LBB302_609
; %bb.608:                              ;   in Loop: Header=BB302_386 Depth=1
	v_and_b32_e32 v7, 7, v0
	v_ffbh_u32_e32 v16, v7
	v_min_u32_e32 v16, 32, v16
	v_lshrrev_b32_e32 v15, 3, v6
	v_subrev_u32_e32 v18, 28, v16
	v_sub_u32_e32 v16, 29, v16
	v_cmp_gt_u32_e64 s[4:5], 8, v6
	v_lshlrev_b64 v[26:27], v18, v[0:1]
	v_cndmask_b32_e64 v6, v15, v16, s[4:5]
	v_and_b32_e32 v18, 7, v26
	v_lshlrev_b32_e32 v0, 8, v0
	v_lshl_add_u32 v6, v6, 10, v50
	v_cndmask_b32_e64 v7, v7, v18, s[4:5]
	v_and_or_b32 v0, v0, s30, v6
	v_lshl_or_b32 v0, v7, 7, v0
	v_cvt_f32_f16_e32 v25, v0
.LBB302_609:                            ;   in Loop: Header=BB302_386 Depth=1
	s_or_b64 exec, exec, s[22:23]
.LBB302_610:                            ;   in Loop: Header=BB302_386 Depth=1
	s_or_b64 exec, exec, s[20:21]
.LBB302_611:                            ;   in Loop: Header=BB302_386 Depth=1
	s_or_b64 exec, exec, s[18:19]
	v_mov_b32_e32 v0, v29
	v_cmp_ne_u16_sdwa s[4:5], v29, v1 src0_sel:BYTE_0 src1_sel:DWORD
	v_mov_b32_e32 v7, 0
	v_mov_b32_e32 v6, 0
	s_and_saveexec_b64 s[18:19], s[4:5]
	s_cbranch_execz .LBB302_617
; %bb.612:                              ;   in Loop: Header=BB302_386 Depth=1
	v_cmp_ne_u16_sdwa s[4:5], v29, s7 src0_sel:BYTE_0 src1_sel:DWORD
	v_bfrev_b32_e32 v6, 1
	s_and_saveexec_b64 s[20:21], s[4:5]
	s_cbranch_execz .LBB302_616
; %bb.613:                              ;   in Loop: Header=BB302_386 Depth=1
	v_and_b32_e32 v15, 0x7f, v29
	v_cmp_ne_u32_e64 s[4:5], s15, v15
	v_mov_b32_e32 v6, 0x7fc02000
	s_and_saveexec_b64 s[22:23], s[4:5]
	s_cbranch_execz .LBB302_615
; %bb.614:                              ;   in Loop: Header=BB302_386 Depth=1
	v_and_b32_e32 v6, 7, v29
	v_ffbh_u32_e32 v6, v6
	v_min_u32_e32 v6, 32, v6
	v_lshrrev_b32_e32 v16, 3, v15
	v_subrev_u32_e32 v18, 28, v6
	v_sub_u32_e32 v6, 29, v6
	v_cmp_gt_u32_e64 s[4:5], 8, v15
	v_cndmask_b32_e64 v15, 0, v18, s[4:5]
	v_cndmask_b32_e64 v6, v16, v6, s[4:5]
	v_lshlrev_b64 v[26:27], v15, v[0:1]
	v_lshlrev_b32_e32 v16, 8, v29
	v_lshl_add_u32 v6, v6, 10, v50
	v_lshlrev_b32_e32 v15, 7, v26
	v_and_or_b32 v6, v16, s30, v6
	v_and_or_b32 v6, v15, s31, v6
	v_cvt_f32_f16_e32 v6, v6
.LBB302_615:                            ;   in Loop: Header=BB302_386 Depth=1
	s_or_b64 exec, exec, s[22:23]
.LBB302_616:                            ;   in Loop: Header=BB302_386 Depth=1
	s_or_b64 exec, exec, s[20:21]
.LBB302_617:                            ;   in Loop: Header=BB302_386 Depth=1
	s_or_b64 exec, exec, s[18:19]
	v_lshrrev_b16_e32 v0, 8, v0
	v_cmp_ne_u16_e64 s[4:5], 0, v0
	s_and_saveexec_b64 s[18:19], s[4:5]
	s_cbranch_execz .LBB302_623
; %bb.618:                              ;   in Loop: Header=BB302_386 Depth=1
	v_cmp_ne_u16_e64 s[4:5], s7, v0
	v_bfrev_b32_e32 v7, 1
	s_and_saveexec_b64 s[20:21], s[4:5]
	s_cbranch_execz .LBB302_622
; %bb.619:                              ;   in Loop: Header=BB302_386 Depth=1
	v_and_b32_e32 v15, 0x7f, v0
	v_cmp_ne_u32_e64 s[4:5], s15, v15
	v_mov_b32_e32 v7, 0x7fc02000
	s_and_saveexec_b64 s[22:23], s[4:5]
	s_cbranch_execz .LBB302_621
; %bb.620:                              ;   in Loop: Header=BB302_386 Depth=1
	v_and_b32_e32 v7, 7, v0
	v_ffbh_u32_e32 v18, v7
	v_min_u32_e32 v18, 32, v18
	v_lshrrev_b32_e32 v16, 3, v15
	v_subrev_u32_e32 v22, 28, v18
	v_sub_u32_e32 v18, 29, v18
	v_cmp_gt_u32_e64 s[4:5], 8, v15
	v_lshlrev_b64 v[26:27], v22, v[0:1]
	v_cndmask_b32_e64 v15, v16, v18, s[4:5]
	v_and_b32_e32 v22, 7, v26
	v_lshlrev_b32_e32 v0, 8, v0
	v_lshl_add_u32 v15, v15, 10, v50
	v_cndmask_b32_e64 v7, v7, v22, s[4:5]
	v_and_or_b32 v0, v0, s30, v15
	v_lshl_or_b32 v0, v7, 7, v0
	v_cvt_f32_f16_e32 v7, v0
.LBB302_621:                            ;   in Loop: Header=BB302_386 Depth=1
	s_or_b64 exec, exec, s[22:23]
.LBB302_622:                            ;   in Loop: Header=BB302_386 Depth=1
	s_or_b64 exec, exec, s[20:21]
.LBB302_623:                            ;   in Loop: Header=BB302_386 Depth=1
	s_or_b64 exec, exec, s[18:19]
	v_lshrrev_b32_e32 v0, 16, v29
	v_cmp_ne_u16_sdwa s[4:5], v0, v1 src0_sel:BYTE_0 src1_sel:DWORD
	v_mov_b32_e32 v15, 0
	v_mov_b32_e32 v22, 0
	s_and_saveexec_b64 s[18:19], s[4:5]
	s_cbranch_execz .LBB302_629
; %bb.624:                              ;   in Loop: Header=BB302_386 Depth=1
	v_cmp_ne_u16_sdwa s[4:5], v0, s7 src0_sel:BYTE_0 src1_sel:DWORD
	v_bfrev_b32_e32 v22, 1
	s_and_saveexec_b64 s[20:21], s[4:5]
	s_cbranch_execz .LBB302_628
; %bb.625:                              ;   in Loop: Header=BB302_386 Depth=1
	v_bfe_u32 v26, v29, 16, 7
	v_cmp_ne_u32_e64 s[4:5], s15, v26
	v_mov_b32_e32 v22, 0x7fc02000
	s_and_saveexec_b64 s[22:23], s[4:5]
	s_cbranch_execz .LBB302_627
; %bb.626:                              ;   in Loop: Header=BB302_386 Depth=1
	v_and_b32_e32 v16, 7, v0
	v_ffbh_u32_e32 v22, v16
	v_min_u32_e32 v22, 32, v22
	v_lshrrev_b32_e32 v18, 3, v26
	v_subrev_u32_e32 v23, 28, v22
	v_sub_u32_e32 v22, 29, v22
	v_cmp_gt_u32_e64 s[4:5], 8, v26
	v_lshlrev_b64 v[52:53], v23, v[0:1]
	v_cndmask_b32_e64 v18, v18, v22, s[4:5]
	v_and_b32_e32 v23, 7, v52
	v_lshlrev_b32_e32 v0, 8, v0
	v_lshl_add_u32 v18, v18, 10, v50
	v_cndmask_b32_e64 v16, v16, v23, s[4:5]
	v_and_or_b32 v0, v0, s30, v18
	v_lshl_or_b32 v0, v16, 7, v0
	v_cvt_f32_f16_e32 v22, v0
.LBB302_627:                            ;   in Loop: Header=BB302_386 Depth=1
	s_or_b64 exec, exec, s[22:23]
.LBB302_628:                            ;   in Loop: Header=BB302_386 Depth=1
	s_or_b64 exec, exec, s[20:21]
.LBB302_629:                            ;   in Loop: Header=BB302_386 Depth=1
	s_or_b64 exec, exec, s[18:19]
	v_cmp_lt_u64_e64 s[4:5], s[12:13], v[28:29]
	s_and_saveexec_b64 s[18:19], s[4:5]
	s_cbranch_execz .LBB302_635
; %bb.630:                              ;   in Loop: Header=BB302_386 Depth=1
	v_lshrrev_b32_e32 v0, 24, v29
	v_cmp_ne_u32_e64 s[4:5], s7, v0
	v_bfrev_b32_e32 v15, 1
	s_and_saveexec_b64 s[20:21], s[4:5]
	s_cbranch_execz .LBB302_634
; %bb.631:                              ;   in Loop: Header=BB302_386 Depth=1
	v_and_b32_e32 v26, 0x7f, v0
	v_cmp_ne_u32_e64 s[4:5], s15, v26
	v_mov_b32_e32 v15, 0x7fc02000
	s_and_saveexec_b64 s[22:23], s[4:5]
	s_cbranch_execz .LBB302_633
; %bb.632:                              ;   in Loop: Header=BB302_386 Depth=1
	v_and_b32_e32 v15, 7, v0
	v_ffbh_u32_e32 v18, v15
	v_min_u32_e32 v18, 32, v18
	v_lshrrev_b32_e32 v16, 3, v26
	v_subrev_u32_e32 v23, 28, v18
	v_sub_u32_e32 v18, 29, v18
	v_cmp_gt_u32_e64 s[4:5], 8, v26
	v_lshlrev_b64 v[28:29], v23, v[0:1]
	v_cndmask_b32_e64 v16, v16, v18, s[4:5]
	v_and_b32_e32 v23, 7, v28
	v_lshlrev_b32_e32 v0, 8, v0
	v_lshl_add_u32 v16, v16, 10, v50
	v_cndmask_b32_e64 v15, v15, v23, s[4:5]
	v_and_or_b32 v0, v0, s30, v16
	v_lshl_or_b32 v0, v15, 7, v0
	v_cvt_f32_f16_e32 v15, v0
.LBB302_633:                            ;   in Loop: Header=BB302_386 Depth=1
	s_or_b64 exec, exec, s[22:23]
.LBB302_634:                            ;   in Loop: Header=BB302_386 Depth=1
	s_or_b64 exec, exec, s[20:21]
.LBB302_635:                            ;   in Loop: Header=BB302_386 Depth=1
	s_or_b64 exec, exec, s[18:19]
	v_pk_mul_f32 v[24:25], v[14:15], v[24:25] op_sel_hi:[0,1]
	v_pk_mul_f32 v[20:21], v[14:15], v[20:21] op_sel_hi:[0,1]
	v_cvt_f16_f32_e32 v0, v25
	v_cvt_f16_f32_e32 v16, v24
	;; [unrolled: 1-line block ×4, first 2 shown]
	v_fma_mixlo_f16 v7, v14, v7, 0
	v_lshlrev_b32_e32 v7, 16, v7
	v_fma_mixlo_f16 v6, v14, v6, 0
	v_or_b32_sdwa v6, v7, v6 dst_sel:DWORD dst_unused:UNUSED_PAD src0_sel:DWORD src1_sel:WORD_0
	v_fma_mixlo_f16 v7, v14, v15, 0
	v_pack_b32_f16 v16, v16, v0
	v_pack_b32_f16 v18, v20, v18
	v_fma_mixlo_f16 v21, v14, v22, 0
	v_lshlrev_b32_e32 v7, 16, v7
	v_perm_b32 v0, v18, v16, s34
	v_perm_b32 v20, v18, v16, s35
	v_or_b32_sdwa v7, v7, v21 dst_sel:DWORD dst_unused:UNUSED_PAD src0_sel:DWORD src1_sel:WORD_0
	s_and_saveexec_b64 s[18:19], vcc
	s_cbranch_execz .LBB302_637
; %bb.636:                              ;   in Loop: Header=BB302_386 Depth=1
	v_lshrrev_b32_e32 v14, 16, v20
	v_cmp_lt_i32_e64 s[4:5], v56, v3
	v_accvgpr_read_b32 v16, a8
	v_cndmask_b32_e64 v14, 0, v14, s[4:5]
	v_cmp_lt_i32_e64 s[4:5], v41, v16
	v_cndmask_b32_e64 v15, 0, v20, s[4:5]
	v_perm_b32 v20, v14, v15, s36
	v_lshrrev_b32_e32 v14, 16, v0
	v_cmp_lt_i32_e64 s[4:5], v47, v3
	v_cndmask_b32_e64 v14, 0, v14, s[4:5]
	v_cmp_lt_i32_e64 s[4:5], v46, v16
	v_cndmask_b32_e64 v0, 0, v0, s[4:5]
	v_perm_b32 v0, v14, v0, s36
	v_lshrrev_b32_e32 v14, 16, v6
	v_cmp_lt_i32_e64 s[4:5], v45, v3
	v_cndmask_b32_e64 v14, 0, v14, s[4:5]
	v_cmp_lt_i32_e64 s[4:5], v44, v16
	v_cndmask_b32_e64 v6, 0, v6, s[4:5]
	v_lshrrev_b32_e32 v7, 16, v7
	v_cmp_lt_i32_e64 s[4:5], v40, v3
	v_cndmask_b32_e64 v7, 0, v7, s[4:5]
	v_cmp_lt_i32_e64 s[4:5], v54, v16
	v_perm_b32 v6, v14, v6, s36
	v_cndmask_b32_e64 v14, 0, v21, s[4:5]
	v_perm_b32 v7, v7, v14, s36
.LBB302_637:                            ;   in Loop: Header=BB302_386 Depth=1
	s_or_b64 exec, exec, s[18:19]
	;;#ASMSTART
	v_pk_mul_f16 v14, v60, v20;

	;;#ASMEND
	;;#ASMSTART
	v_pk_mul_f16 v0, v59, v0;

	;;#ASMEND
	;; [unrolled: 4-line block ×4, first 2 shown]
	;;#ASMSTART
	v_pk_add_f16 v0, v14, v0;

	;;#ASMEND
	;;#ASMSTART
	v_pk_add_f16 v0, v0, v6;

	;;#ASMEND
	;; [unrolled: 4-line block ×3, first 2 shown]
	v_lshrrev_b32_e32 v7, 16, v0
	v_accvgpr_read_b32 v15, a5
	v_and_b32_e32 v0, 0xffff, v0
	;;#ASMSTART
	v_cvt_f32_f16 v6, v0;
	;;#ASMEND
	;;#ASMSTART
	v_cvt_f32_f16 v7, v7;
	;;#ASMEND
	flat_load_dwordx2 v[28:29], v[12:13] offset:2560
	v_accvgpr_read_b32 v14, a4
	flat_load_dword v14, v[14:15]
	v_mov_b32_e32 v24, 0
	v_mov_b32_e32 v20, 0
	s_waitcnt vmcnt(0) lgkmcnt(0)
	v_cmp_ne_u16_sdwa s[4:5], v28, v1 src0_sel:BYTE_0 src1_sel:DWORD
	s_and_saveexec_b64 s[18:19], s[4:5]
	s_cbranch_execz .LBB302_643
; %bb.638:                              ;   in Loop: Header=BB302_386 Depth=1
	v_cmp_ne_u16_sdwa s[4:5], v28, s7 src0_sel:BYTE_0 src1_sel:DWORD
	v_bfrev_b32_e32 v20, 1
	s_and_saveexec_b64 s[20:21], s[4:5]
	s_cbranch_execz .LBB302_642
; %bb.639:                              ;   in Loop: Header=BB302_386 Depth=1
	v_and_b32_e32 v0, 0x7f, v28
	v_cmp_ne_u32_e64 s[4:5], s15, v0
	v_mov_b32_e32 v20, 0x7fc02000
	s_and_saveexec_b64 s[22:23], s[4:5]
	s_cbranch_execz .LBB302_641
; %bb.640:                              ;   in Loop: Header=BB302_386 Depth=1
	v_and_b32_e32 v15, 7, v28
	v_ffbh_u32_e32 v15, v15
	v_min_u32_e32 v15, 32, v15
	v_subrev_u32_e32 v18, 28, v15
	v_cmp_gt_u32_e64 s[4:5], 8, v0
	v_lshrrev_b32_e32 v16, 3, v0
	v_sub_u32_e32 v15, 29, v15
	v_cndmask_b32_e64 v0, 0, v18, s[4:5]
	v_lshlrev_b64 v[20:21], v0, v[28:29]
	v_cndmask_b32_e64 v0, v16, v15, s[4:5]
	v_lshlrev_b32_e32 v16, 8, v28
	v_lshl_add_u32 v0, v0, 10, v50
	v_lshlrev_b32_e32 v15, 7, v20
	v_and_or_b32 v0, v16, s30, v0
	v_and_or_b32 v0, v15, s31, v0
	v_cvt_f32_f16_e32 v20, v0
.LBB302_641:                            ;   in Loop: Header=BB302_386 Depth=1
	s_or_b64 exec, exec, s[22:23]
.LBB302_642:                            ;   in Loop: Header=BB302_386 Depth=1
	s_or_b64 exec, exec, s[20:21]
.LBB302_643:                            ;   in Loop: Header=BB302_386 Depth=1
	s_or_b64 exec, exec, s[18:19]
	v_lshrrev_b16_e32 v0, 8, v28
	v_cmp_ne_u16_e64 s[4:5], 0, v0
	s_and_saveexec_b64 s[18:19], s[4:5]
	s_cbranch_execz .LBB302_649
; %bb.644:                              ;   in Loop: Header=BB302_386 Depth=1
	v_cmp_ne_u16_e64 s[4:5], s7, v0
	v_bfrev_b32_e32 v24, 1
	s_and_saveexec_b64 s[20:21], s[4:5]
	s_cbranch_execz .LBB302_648
; %bb.645:                              ;   in Loop: Header=BB302_386 Depth=1
	v_and_b32_e32 v15, 0x7f, v0
	v_cmp_ne_u32_e64 s[4:5], s15, v15
	v_mov_b32_e32 v24, 0x7fc02000
	s_and_saveexec_b64 s[22:23], s[4:5]
	s_cbranch_execz .LBB302_647
; %bb.646:                              ;   in Loop: Header=BB302_386 Depth=1
	v_and_b32_e32 v16, 7, v0
	v_ffbh_u32_e32 v21, v16
	v_min_u32_e32 v21, 32, v21
	v_lshrrev_b32_e32 v18, 3, v15
	v_subrev_u32_e32 v22, 28, v21
	v_sub_u32_e32 v21, 29, v21
	v_cmp_gt_u32_e64 s[4:5], 8, v15
	v_lshlrev_b64 v[24:25], v22, v[0:1]
	v_cndmask_b32_e64 v15, v18, v21, s[4:5]
	v_and_b32_e32 v22, 7, v24
	v_lshlrev_b32_e32 v0, 8, v0
	v_lshl_add_u32 v15, v15, 10, v50
	v_cndmask_b32_e64 v16, v16, v22, s[4:5]
	v_and_or_b32 v0, v0, s30, v15
	v_lshl_or_b32 v0, v16, 7, v0
	v_cvt_f32_f16_e32 v24, v0
.LBB302_647:                            ;   in Loop: Header=BB302_386 Depth=1
	s_or_b64 exec, exec, s[22:23]
.LBB302_648:                            ;   in Loop: Header=BB302_386 Depth=1
	s_or_b64 exec, exec, s[20:21]
.LBB302_649:                            ;   in Loop: Header=BB302_386 Depth=1
	s_or_b64 exec, exec, s[18:19]
	v_lshrrev_b32_e32 v0, 16, v28
	v_cmp_ne_u16_sdwa s[4:5], v0, v1 src0_sel:BYTE_0 src1_sel:DWORD
	v_mov_b32_e32 v25, 0
	v_mov_b32_e32 v21, 0
	s_and_saveexec_b64 s[18:19], s[4:5]
	s_cbranch_execz .LBB302_655
; %bb.650:                              ;   in Loop: Header=BB302_386 Depth=1
	v_cmp_ne_u16_sdwa s[4:5], v0, s7 src0_sel:BYTE_0 src1_sel:DWORD
	v_bfrev_b32_e32 v21, 1
	s_and_saveexec_b64 s[20:21], s[4:5]
	s_cbranch_execz .LBB302_654
; %bb.651:                              ;   in Loop: Header=BB302_386 Depth=1
	v_bfe_u32 v15, v28, 16, 7
	v_cmp_ne_u32_e64 s[4:5], s15, v15
	v_mov_b32_e32 v21, 0x7fc02000
	s_and_saveexec_b64 s[22:23], s[4:5]
	s_cbranch_execz .LBB302_653
; %bb.652:                              ;   in Loop: Header=BB302_386 Depth=1
	v_and_b32_e32 v16, 7, v0
	v_ffbh_u32_e32 v21, v16
	v_min_u32_e32 v21, 32, v21
	v_lshrrev_b32_e32 v18, 3, v15
	v_subrev_u32_e32 v22, 28, v21
	v_sub_u32_e32 v21, 29, v21
	v_cmp_gt_u32_e64 s[4:5], 8, v15
	v_lshlrev_b64 v[26:27], v22, v[0:1]
	v_cndmask_b32_e64 v15, v18, v21, s[4:5]
	v_and_b32_e32 v22, 7, v26
	v_lshlrev_b32_e32 v0, 8, v0
	v_lshl_add_u32 v15, v15, 10, v50
	v_cndmask_b32_e64 v16, v16, v22, s[4:5]
	v_and_or_b32 v0, v0, s30, v15
	v_lshl_or_b32 v0, v16, 7, v0
	v_cvt_f32_f16_e32 v21, v0
.LBB302_653:                            ;   in Loop: Header=BB302_386 Depth=1
	s_or_b64 exec, exec, s[22:23]
.LBB302_654:                            ;   in Loop: Header=BB302_386 Depth=1
	s_or_b64 exec, exec, s[20:21]
.LBB302_655:                            ;   in Loop: Header=BB302_386 Depth=1
	s_or_b64 exec, exec, s[18:19]
	v_cmp_lt_u32_e64 s[4:5], s13, v28
	s_and_saveexec_b64 s[18:19], s[4:5]
	s_cbranch_execz .LBB302_661
; %bb.656:                              ;   in Loop: Header=BB302_386 Depth=1
	v_lshrrev_b32_e32 v0, 24, v28
	v_cmp_ne_u32_e64 s[4:5], s7, v0
	v_bfrev_b32_e32 v25, 1
	s_and_saveexec_b64 s[20:21], s[4:5]
	s_cbranch_execz .LBB302_660
; %bb.657:                              ;   in Loop: Header=BB302_386 Depth=1
	v_and_b32_e32 v15, 0x7f, v0
	v_cmp_ne_u32_e64 s[4:5], s15, v15
	v_mov_b32_e32 v25, 0x7fc02000
	s_and_saveexec_b64 s[22:23], s[4:5]
	s_cbranch_execz .LBB302_659
; %bb.658:                              ;   in Loop: Header=BB302_386 Depth=1
	v_and_b32_e32 v16, 7, v0
	v_ffbh_u32_e32 v22, v16
	v_min_u32_e32 v22, 32, v22
	v_lshrrev_b32_e32 v18, 3, v15
	v_subrev_u32_e32 v23, 28, v22
	v_sub_u32_e32 v22, 29, v22
	v_cmp_gt_u32_e64 s[4:5], 8, v15
	v_lshlrev_b64 v[26:27], v23, v[0:1]
	v_cndmask_b32_e64 v15, v18, v22, s[4:5]
	v_and_b32_e32 v23, 7, v26
	v_lshlrev_b32_e32 v0, 8, v0
	v_lshl_add_u32 v15, v15, 10, v50
	v_cndmask_b32_e64 v16, v16, v23, s[4:5]
	v_and_or_b32 v0, v0, s30, v15
	v_lshl_or_b32 v0, v16, 7, v0
	v_cvt_f32_f16_e32 v25, v0
.LBB302_659:                            ;   in Loop: Header=BB302_386 Depth=1
	s_or_b64 exec, exec, s[22:23]
.LBB302_660:                            ;   in Loop: Header=BB302_386 Depth=1
	s_or_b64 exec, exec, s[20:21]
.LBB302_661:                            ;   in Loop: Header=BB302_386 Depth=1
	s_or_b64 exec, exec, s[18:19]
	v_mov_b32_e32 v0, v29
	v_cmp_ne_u16_sdwa s[4:5], v29, v1 src0_sel:BYTE_0 src1_sel:DWORD
	v_mov_b32_e32 v22, 0
	v_mov_b32_e32 v15, 0
	s_and_saveexec_b64 s[18:19], s[4:5]
	s_cbranch_execz .LBB302_667
; %bb.662:                              ;   in Loop: Header=BB302_386 Depth=1
	v_cmp_ne_u16_sdwa s[4:5], v29, s7 src0_sel:BYTE_0 src1_sel:DWORD
	v_bfrev_b32_e32 v15, 1
	s_and_saveexec_b64 s[20:21], s[4:5]
	s_cbranch_execz .LBB302_666
; %bb.663:                              ;   in Loop: Header=BB302_386 Depth=1
	v_and_b32_e32 v26, 0x7f, v29
	v_cmp_ne_u32_e64 s[4:5], s15, v26
	v_mov_b32_e32 v15, 0x7fc02000
	s_and_saveexec_b64 s[22:23], s[4:5]
	s_cbranch_execz .LBB302_665
; %bb.664:                              ;   in Loop: Header=BB302_386 Depth=1
	v_and_b32_e32 v15, 7, v29
	v_ffbh_u32_e32 v15, v15
	v_min_u32_e32 v15, 32, v15
	v_lshrrev_b32_e32 v16, 3, v26
	v_subrev_u32_e32 v18, 28, v15
	v_sub_u32_e32 v15, 29, v15
	v_cmp_gt_u32_e64 s[4:5], 8, v26
	v_cndmask_b32_e64 v18, 0, v18, s[4:5]
	v_cndmask_b32_e64 v15, v16, v15, s[4:5]
	v_lshlrev_b64 v[26:27], v18, v[0:1]
	v_lshlrev_b32_e32 v18, 8, v29
	v_lshl_add_u32 v15, v15, 10, v50
	v_lshlrev_b32_e32 v16, 7, v26
	v_and_or_b32 v15, v18, s30, v15
	v_and_or_b32 v15, v16, s31, v15
	v_cvt_f32_f16_e32 v15, v15
.LBB302_665:                            ;   in Loop: Header=BB302_386 Depth=1
	s_or_b64 exec, exec, s[22:23]
.LBB302_666:                            ;   in Loop: Header=BB302_386 Depth=1
	s_or_b64 exec, exec, s[20:21]
.LBB302_667:                            ;   in Loop: Header=BB302_386 Depth=1
	s_or_b64 exec, exec, s[18:19]
	v_lshrrev_b16_e32 v0, 8, v0
	v_cmp_ne_u16_e64 s[4:5], 0, v0
	s_and_saveexec_b64 s[18:19], s[4:5]
	s_cbranch_execz .LBB302_673
; %bb.668:                              ;   in Loop: Header=BB302_386 Depth=1
	v_cmp_ne_u16_e64 s[4:5], s7, v0
	v_bfrev_b32_e32 v22, 1
	s_and_saveexec_b64 s[20:21], s[4:5]
	s_cbranch_execz .LBB302_672
; %bb.669:                              ;   in Loop: Header=BB302_386 Depth=1
	v_and_b32_e32 v26, 0x7f, v0
	v_cmp_ne_u32_e64 s[4:5], s15, v26
	v_mov_b32_e32 v22, 0x7fc02000
	s_and_saveexec_b64 s[22:23], s[4:5]
	s_cbranch_execz .LBB302_671
; %bb.670:                              ;   in Loop: Header=BB302_386 Depth=1
	v_and_b32_e32 v16, 7, v0
	v_ffbh_u32_e32 v22, v16
	v_min_u32_e32 v22, 32, v22
	v_lshrrev_b32_e32 v18, 3, v26
	v_subrev_u32_e32 v23, 28, v22
	v_sub_u32_e32 v22, 29, v22
	v_cmp_gt_u32_e64 s[4:5], 8, v26
	v_lshlrev_b64 v[52:53], v23, v[0:1]
	v_cndmask_b32_e64 v18, v18, v22, s[4:5]
	v_and_b32_e32 v23, 7, v52
	v_lshlrev_b32_e32 v0, 8, v0
	v_lshl_add_u32 v18, v18, 10, v50
	v_cndmask_b32_e64 v16, v16, v23, s[4:5]
	v_and_or_b32 v0, v0, s30, v18
	v_lshl_or_b32 v0, v16, 7, v0
	v_cvt_f32_f16_e32 v22, v0
.LBB302_671:                            ;   in Loop: Header=BB302_386 Depth=1
	s_or_b64 exec, exec, s[22:23]
.LBB302_672:                            ;   in Loop: Header=BB302_386 Depth=1
	s_or_b64 exec, exec, s[20:21]
.LBB302_673:                            ;   in Loop: Header=BB302_386 Depth=1
	s_or_b64 exec, exec, s[18:19]
	v_lshrrev_b32_e32 v0, 16, v29
	v_cmp_ne_u16_sdwa s[4:5], v0, v1 src0_sel:BYTE_0 src1_sel:DWORD
	v_mov_b32_e32 v26, 0
	v_mov_b32_e32 v27, 0
	s_and_saveexec_b64 s[18:19], s[4:5]
	s_cbranch_execz .LBB302_679
; %bb.674:                              ;   in Loop: Header=BB302_386 Depth=1
	v_cmp_ne_u16_sdwa s[4:5], v0, s7 src0_sel:BYTE_0 src1_sel:DWORD
	v_bfrev_b32_e32 v27, 1
	s_and_saveexec_b64 s[20:21], s[4:5]
	s_cbranch_execz .LBB302_678
; %bb.675:                              ;   in Loop: Header=BB302_386 Depth=1
	v_bfe_u32 v31, v29, 16, 7
	v_cmp_ne_u32_e64 s[4:5], s15, v31
	v_mov_b32_e32 v27, 0x7fc02000
	s_and_saveexec_b64 s[22:23], s[4:5]
	s_cbranch_execz .LBB302_677
; %bb.676:                              ;   in Loop: Header=BB302_386 Depth=1
	v_and_b32_e32 v16, 7, v0
	v_ffbh_u32_e32 v23, v16
	v_min_u32_e32 v23, 32, v23
	v_lshrrev_b32_e32 v18, 3, v31
	v_subrev_u32_e32 v27, 28, v23
	v_sub_u32_e32 v23, 29, v23
	v_cmp_gt_u32_e64 s[4:5], 8, v31
	v_lshlrev_b64 v[52:53], v27, v[0:1]
	v_cndmask_b32_e64 v18, v18, v23, s[4:5]
	v_and_b32_e32 v27, 7, v52
	v_lshlrev_b32_e32 v0, 8, v0
	v_lshl_add_u32 v18, v18, 10, v50
	v_cndmask_b32_e64 v16, v16, v27, s[4:5]
	v_and_or_b32 v0, v0, s30, v18
	v_lshl_or_b32 v0, v16, 7, v0
	v_cvt_f32_f16_e32 v27, v0
.LBB302_677:                            ;   in Loop: Header=BB302_386 Depth=1
	s_or_b64 exec, exec, s[22:23]
.LBB302_678:                            ;   in Loop: Header=BB302_386 Depth=1
	s_or_b64 exec, exec, s[20:21]
.LBB302_679:                            ;   in Loop: Header=BB302_386 Depth=1
	s_or_b64 exec, exec, s[18:19]
	v_cmp_lt_u64_e64 s[4:5], s[12:13], v[28:29]
	s_and_saveexec_b64 s[18:19], s[4:5]
	s_cbranch_execz .LBB302_685
; %bb.680:                              ;   in Loop: Header=BB302_386 Depth=1
	v_lshrrev_b32_e32 v0, 24, v29
	v_cmp_ne_u32_e64 s[4:5], s7, v0
	v_bfrev_b32_e32 v26, 1
	s_and_saveexec_b64 s[20:21], s[4:5]
	s_cbranch_execz .LBB302_684
; %bb.681:                              ;   in Loop: Header=BB302_386 Depth=1
	v_and_b32_e32 v28, 0x7f, v0
	v_cmp_ne_u32_e64 s[4:5], s15, v28
	v_mov_b32_e32 v26, 0x7fc02000
	s_and_saveexec_b64 s[22:23], s[4:5]
	s_cbranch_execz .LBB302_683
; %bb.682:                              ;   in Loop: Header=BB302_386 Depth=1
	v_and_b32_e32 v16, 7, v0
	v_ffbh_u32_e32 v23, v16
	v_min_u32_e32 v23, 32, v23
	v_lshrrev_b32_e32 v18, 3, v28
	v_subrev_u32_e32 v26, 28, v23
	v_sub_u32_e32 v23, 29, v23
	v_cmp_gt_u32_e64 s[4:5], 8, v28
	v_lshlrev_b64 v[52:53], v26, v[0:1]
	v_cndmask_b32_e64 v18, v18, v23, s[4:5]
	v_and_b32_e32 v26, 7, v52
	v_lshlrev_b32_e32 v0, 8, v0
	v_lshl_add_u32 v18, v18, 10, v50
	v_cndmask_b32_e64 v16, v16, v26, s[4:5]
	v_and_or_b32 v0, v0, s30, v18
	v_lshl_or_b32 v0, v16, 7, v0
	v_cvt_f32_f16_e32 v26, v0
.LBB302_683:                            ;   in Loop: Header=BB302_386 Depth=1
	s_or_b64 exec, exec, s[22:23]
.LBB302_684:                            ;   in Loop: Header=BB302_386 Depth=1
	s_or_b64 exec, exec, s[20:21]
.LBB302_685:                            ;   in Loop: Header=BB302_386 Depth=1
	s_or_b64 exec, exec, s[18:19]
	v_pk_mul_f32 v[24:25], v[14:15], v[24:25] op_sel_hi:[0,1]
	v_pk_mul_f32 v[20:21], v[14:15], v[20:21] op_sel_hi:[0,1]
	v_cvt_f16_f32_e32 v0, v25
	v_cvt_f16_f32_e32 v16, v24
	;; [unrolled: 1-line block ×4, first 2 shown]
	v_fma_mixlo_f16 v15, v14, v15, 0
	v_pack_b32_f16 v16, v16, v0
	v_fma_mixlo_f16 v21, v14, v27, 0
	v_pack_b32_f16 v18, v20, v18
	v_perm_b32 v0, v18, v16, s34
	v_perm_b32 v20, v18, v16, s35
	v_fma_mixlo_f16 v16, v14, v22, 0
	v_fma_mixlo_f16 v14, v14, v26, 0
	v_lshlrev_b32_e32 v16, 16, v16
	v_lshlrev_b32_e32 v14, 16, v14
	v_or_b32_sdwa v15, v16, v15 dst_sel:DWORD dst_unused:UNUSED_PAD src0_sel:DWORD src1_sel:WORD_0
	v_or_b32_sdwa v14, v14, v21 dst_sel:DWORD dst_unused:UNUSED_PAD src0_sel:DWORD src1_sel:WORD_0
	s_and_saveexec_b64 s[18:19], vcc
	s_cbranch_execz .LBB302_687
; %bb.686:                              ;   in Loop: Header=BB302_386 Depth=1
	v_lshrrev_b32_e32 v16, 16, v20
	v_cmp_lt_i32_e64 s[4:5], v56, v3
	v_accvgpr_read_b32 v22, a8
	v_cndmask_b32_e64 v16, 0, v16, s[4:5]
	v_cmp_lt_i32_e64 s[4:5], v41, v22
	v_cndmask_b32_e64 v18, 0, v20, s[4:5]
	v_perm_b32 v20, v16, v18, s36
	v_lshrrev_b32_e32 v16, 16, v0
	v_cmp_lt_i32_e64 s[4:5], v47, v3
	v_cndmask_b32_e64 v16, 0, v16, s[4:5]
	v_cmp_lt_i32_e64 s[4:5], v46, v22
	v_cndmask_b32_e64 v0, 0, v0, s[4:5]
	v_perm_b32 v0, v16, v0, s36
	v_lshrrev_b32_e32 v16, 16, v15
	v_cmp_lt_i32_e64 s[4:5], v45, v3
	v_cndmask_b32_e64 v16, 0, v16, s[4:5]
	v_cmp_lt_i32_e64 s[4:5], v44, v22
	v_cndmask_b32_e64 v15, 0, v15, s[4:5]
	v_lshrrev_b32_e32 v14, 16, v14
	v_cmp_lt_i32_e64 s[4:5], v40, v3
	v_cndmask_b32_e64 v14, 0, v14, s[4:5]
	v_cmp_lt_i32_e64 s[4:5], v54, v22
	v_perm_b32 v15, v16, v15, s36
	v_cndmask_b32_e64 v16, 0, v21, s[4:5]
	v_perm_b32 v14, v14, v16, s36
.LBB302_687:                            ;   in Loop: Header=BB302_386 Depth=1
	s_or_b64 exec, exec, s[18:19]
	;;#ASMSTART
	v_pk_mul_f16 v16, v60, v20;

	;;#ASMEND
	;;#ASMSTART
	v_pk_mul_f16 v0, v59, v0;

	;;#ASMEND
	;; [unrolled: 4-line block ×4, first 2 shown]
	;;#ASMSTART
	v_pk_add_f16 v0, v16, v0;

	;;#ASMEND
	;;#ASMSTART
	v_pk_add_f16 v0, v0, v15;

	;;#ASMEND
	;; [unrolled: 4-line block ×3, first 2 shown]
	v_lshrrev_b32_e32 v14, 16, v0
	v_and_b32_e32 v0, 0xffff, v0
	;;#ASMSTART
	v_cvt_f32_f16 v22, v0;
	;;#ASMEND
	;;#ASMSTART
	v_cvt_f32_f16 v26, v14;
	;;#ASMEND
	flat_load_dwordx2 v[24:25], v[12:13] offset:3072
	v_accvgpr_read_b32 v13, a5
	v_accvgpr_read_b32 v12, a4
	flat_load_dword v12, v[12:13]
	v_mov_b32_e32 v20, 0
	v_mov_b32_e32 v14, 0
	s_waitcnt vmcnt(0) lgkmcnt(0)
	v_cmp_ne_u16_sdwa s[4:5], v24, v1 src0_sel:BYTE_0 src1_sel:DWORD
	s_and_saveexec_b64 s[18:19], s[4:5]
	s_cbranch_execz .LBB302_693
; %bb.688:                              ;   in Loop: Header=BB302_386 Depth=1
	v_cmp_ne_u16_sdwa s[4:5], v24, s7 src0_sel:BYTE_0 src1_sel:DWORD
	v_bfrev_b32_e32 v14, 1
	s_and_saveexec_b64 s[20:21], s[4:5]
	s_cbranch_execz .LBB302_692
; %bb.689:                              ;   in Loop: Header=BB302_386 Depth=1
	v_and_b32_e32 v0, 0x7f, v24
	v_cmp_ne_u32_e64 s[4:5], s15, v0
	v_mov_b32_e32 v14, 0x7fc02000
	s_and_saveexec_b64 s[22:23], s[4:5]
	s_cbranch_execz .LBB302_691
; %bb.690:                              ;   in Loop: Header=BB302_386 Depth=1
	v_and_b32_e32 v13, 7, v24
	v_ffbh_u32_e32 v13, v13
	v_min_u32_e32 v13, 32, v13
	v_subrev_u32_e32 v14, 28, v13
	v_cmp_gt_u32_e64 s[4:5], 8, v0
	v_lshrrev_b32_e32 v16, 3, v0
	v_sub_u32_e32 v13, 29, v13
	v_cndmask_b32_e64 v0, 0, v14, s[4:5]
	v_lshlrev_b64 v[14:15], v0, v[24:25]
	v_cndmask_b32_e64 v0, v16, v13, s[4:5]
	v_lshlrev_b32_e32 v13, 7, v14
	v_lshlrev_b32_e32 v14, 8, v24
	v_lshl_add_u32 v0, v0, 10, v50
	v_and_or_b32 v0, v14, s30, v0
	v_and_or_b32 v0, v13, s31, v0
	v_cvt_f32_f16_e32 v14, v0
.LBB302_691:                            ;   in Loop: Header=BB302_386 Depth=1
	s_or_b64 exec, exec, s[22:23]
.LBB302_692:                            ;   in Loop: Header=BB302_386 Depth=1
	s_or_b64 exec, exec, s[20:21]
.LBB302_693:                            ;   in Loop: Header=BB302_386 Depth=1
	s_or_b64 exec, exec, s[18:19]
	v_lshrrev_b16_e32 v0, 8, v24
	v_cmp_ne_u16_e64 s[4:5], 0, v0
	s_and_saveexec_b64 s[18:19], s[4:5]
	s_cbranch_execz .LBB302_699
; %bb.694:                              ;   in Loop: Header=BB302_386 Depth=1
	v_cmp_ne_u16_e64 s[4:5], s7, v0
	v_bfrev_b32_e32 v20, 1
	s_and_saveexec_b64 s[20:21], s[4:5]
	s_cbranch_execz .LBB302_698
; %bb.695:                              ;   in Loop: Header=BB302_386 Depth=1
	v_and_b32_e32 v13, 0x7f, v0
	v_cmp_ne_u32_e64 s[4:5], s15, v13
	v_mov_b32_e32 v20, 0x7fc02000
	s_and_saveexec_b64 s[22:23], s[4:5]
	s_cbranch_execz .LBB302_697
; %bb.696:                              ;   in Loop: Header=BB302_386 Depth=1
	v_and_b32_e32 v15, 7, v0
	v_ffbh_u32_e32 v18, v15
	v_min_u32_e32 v18, 32, v18
	v_lshrrev_b32_e32 v16, 3, v13
	v_subrev_u32_e32 v20, 28, v18
	v_sub_u32_e32 v18, 29, v18
	v_cmp_gt_u32_e64 s[4:5], 8, v13
	v_lshlrev_b64 v[20:21], v20, v[0:1]
	v_cndmask_b32_e64 v13, v16, v18, s[4:5]
	v_and_b32_e32 v20, 7, v20
	v_lshlrev_b32_e32 v0, 8, v0
	v_lshl_add_u32 v13, v13, 10, v50
	v_cndmask_b32_e64 v15, v15, v20, s[4:5]
	v_and_or_b32 v0, v0, s30, v13
	v_lshl_or_b32 v0, v15, 7, v0
	v_cvt_f32_f16_e32 v20, v0
.LBB302_697:                            ;   in Loop: Header=BB302_386 Depth=1
	s_or_b64 exec, exec, s[22:23]
.LBB302_698:                            ;   in Loop: Header=BB302_386 Depth=1
	s_or_b64 exec, exec, s[20:21]
.LBB302_699:                            ;   in Loop: Header=BB302_386 Depth=1
	s_or_b64 exec, exec, s[18:19]
	v_lshrrev_b32_e32 v0, 16, v24
	v_cmp_ne_u16_sdwa s[4:5], v0, v1 src0_sel:BYTE_0 src1_sel:DWORD
	v_mov_b32_e32 v21, 0
	v_mov_b32_e32 v15, 0
	s_and_saveexec_b64 s[18:19], s[4:5]
	s_cbranch_execz .LBB302_705
; %bb.700:                              ;   in Loop: Header=BB302_386 Depth=1
	v_cmp_ne_u16_sdwa s[4:5], v0, s7 src0_sel:BYTE_0 src1_sel:DWORD
	v_bfrev_b32_e32 v15, 1
	s_and_saveexec_b64 s[20:21], s[4:5]
	s_cbranch_execz .LBB302_704
; %bb.701:                              ;   in Loop: Header=BB302_386 Depth=1
	v_bfe_u32 v13, v24, 16, 7
	v_cmp_ne_u32_e64 s[4:5], s15, v13
	v_mov_b32_e32 v15, 0x7fc02000
	s_and_saveexec_b64 s[22:23], s[4:5]
	s_cbranch_execz .LBB302_703
; %bb.702:                              ;   in Loop: Header=BB302_386 Depth=1
	v_and_b32_e32 v15, 7, v0
	v_ffbh_u32_e32 v18, v15
	v_min_u32_e32 v18, 32, v18
	v_lshrrev_b32_e32 v16, 3, v13
	v_subrev_u32_e32 v23, 28, v18
	v_sub_u32_e32 v18, 29, v18
	v_cmp_gt_u32_e64 s[4:5], 8, v13
	v_lshlrev_b64 v[28:29], v23, v[0:1]
	v_cndmask_b32_e64 v13, v16, v18, s[4:5]
	v_and_b32_e32 v23, 7, v28
	v_lshlrev_b32_e32 v0, 8, v0
	v_lshl_add_u32 v13, v13, 10, v50
	v_cndmask_b32_e64 v15, v15, v23, s[4:5]
	v_and_or_b32 v0, v0, s30, v13
	v_lshl_or_b32 v0, v15, 7, v0
	v_cvt_f32_f16_e32 v15, v0
.LBB302_703:                            ;   in Loop: Header=BB302_386 Depth=1
	s_or_b64 exec, exec, s[22:23]
.LBB302_704:                            ;   in Loop: Header=BB302_386 Depth=1
	s_or_b64 exec, exec, s[20:21]
.LBB302_705:                            ;   in Loop: Header=BB302_386 Depth=1
	s_or_b64 exec, exec, s[18:19]
	v_cmp_lt_u32_e64 s[4:5], s13, v24
	s_and_saveexec_b64 s[18:19], s[4:5]
	s_cbranch_execz .LBB302_711
; %bb.706:                              ;   in Loop: Header=BB302_386 Depth=1
	v_lshrrev_b32_e32 v0, 24, v24
	v_cmp_ne_u32_e64 s[4:5], s7, v0
	v_bfrev_b32_e32 v21, 1
	s_and_saveexec_b64 s[20:21], s[4:5]
	s_cbranch_execz .LBB302_710
; %bb.707:                              ;   in Loop: Header=BB302_386 Depth=1
	v_and_b32_e32 v13, 0x7f, v0
	v_cmp_ne_u32_e64 s[4:5], s15, v13
	v_mov_b32_e32 v21, 0x7fc02000
	s_and_saveexec_b64 s[22:23], s[4:5]
	s_cbranch_execz .LBB302_709
; %bb.708:                              ;   in Loop: Header=BB302_386 Depth=1
	v_and_b32_e32 v16, 7, v0
	v_ffbh_u32_e32 v21, v16
	v_min_u32_e32 v21, 32, v21
	v_lshrrev_b32_e32 v18, 3, v13
	v_subrev_u32_e32 v23, 28, v21
	v_sub_u32_e32 v21, 29, v21
	v_cmp_gt_u32_e64 s[4:5], 8, v13
	v_lshlrev_b64 v[28:29], v23, v[0:1]
	v_cndmask_b32_e64 v13, v18, v21, s[4:5]
	v_and_b32_e32 v23, 7, v28
	v_lshlrev_b32_e32 v0, 8, v0
	v_lshl_add_u32 v13, v13, 10, v50
	v_cndmask_b32_e64 v16, v16, v23, s[4:5]
	v_and_or_b32 v0, v0, s30, v13
	v_lshl_or_b32 v0, v16, 7, v0
	v_cvt_f32_f16_e32 v21, v0
.LBB302_709:                            ;   in Loop: Header=BB302_386 Depth=1
	s_or_b64 exec, exec, s[22:23]
.LBB302_710:                            ;   in Loop: Header=BB302_386 Depth=1
	s_or_b64 exec, exec, s[20:21]
.LBB302_711:                            ;   in Loop: Header=BB302_386 Depth=1
	s_or_b64 exec, exec, s[18:19]
	v_mov_b32_e32 v0, v25
	v_cmp_ne_u16_sdwa s[4:5], v25, v1 src0_sel:BYTE_0 src1_sel:DWORD
	v_mov_b32_e32 v27, 0
	v_mov_b32_e32 v13, 0
	s_and_saveexec_b64 s[18:19], s[4:5]
	s_cbranch_execz .LBB302_717
; %bb.712:                              ;   in Loop: Header=BB302_386 Depth=1
	v_cmp_ne_u16_sdwa s[4:5], v25, s7 src0_sel:BYTE_0 src1_sel:DWORD
	v_bfrev_b32_e32 v13, 1
	s_and_saveexec_b64 s[20:21], s[4:5]
	s_cbranch_execz .LBB302_716
; %bb.713:                              ;   in Loop: Header=BB302_386 Depth=1
	v_and_b32_e32 v28, 0x7f, v25
	v_cmp_ne_u32_e64 s[4:5], s15, v28
	v_mov_b32_e32 v13, 0x7fc02000
	s_and_saveexec_b64 s[22:23], s[4:5]
	s_cbranch_execz .LBB302_715
; %bb.714:                              ;   in Loop: Header=BB302_386 Depth=1
	v_and_b32_e32 v13, 7, v25
	v_ffbh_u32_e32 v13, v13
	v_min_u32_e32 v13, 32, v13
	v_lshrrev_b32_e32 v16, 3, v28
	v_subrev_u32_e32 v18, 28, v13
	v_sub_u32_e32 v13, 29, v13
	v_cmp_gt_u32_e64 s[4:5], 8, v28
	v_cndmask_b32_e64 v18, 0, v18, s[4:5]
	v_cndmask_b32_e64 v13, v16, v13, s[4:5]
	v_lshlrev_b64 v[28:29], v18, v[0:1]
	v_lshlrev_b32_e32 v18, 8, v25
	v_lshl_add_u32 v13, v13, 10, v50
	v_lshlrev_b32_e32 v16, 7, v28
	v_and_or_b32 v13, v18, s30, v13
	v_and_or_b32 v13, v16, s31, v13
	v_cvt_f32_f16_e32 v13, v13
.LBB302_715:                            ;   in Loop: Header=BB302_386 Depth=1
	s_or_b64 exec, exec, s[22:23]
.LBB302_716:                            ;   in Loop: Header=BB302_386 Depth=1
	s_or_b64 exec, exec, s[20:21]
.LBB302_717:                            ;   in Loop: Header=BB302_386 Depth=1
	s_or_b64 exec, exec, s[18:19]
	v_lshrrev_b16_e32 v0, 8, v0
	v_cmp_ne_u16_e64 s[4:5], 0, v0
	s_and_saveexec_b64 s[18:19], s[4:5]
	s_cbranch_execz .LBB302_723
; %bb.718:                              ;   in Loop: Header=BB302_386 Depth=1
	v_cmp_ne_u16_e64 s[4:5], s7, v0
	v_bfrev_b32_e32 v27, 1
	s_and_saveexec_b64 s[20:21], s[4:5]
	s_cbranch_execz .LBB302_722
; %bb.719:                              ;   in Loop: Header=BB302_386 Depth=1
	v_and_b32_e32 v28, 0x7f, v0
	v_cmp_ne_u32_e64 s[4:5], s15, v28
	v_mov_b32_e32 v27, 0x7fc02000
	s_and_saveexec_b64 s[22:23], s[4:5]
	s_cbranch_execz .LBB302_721
; %bb.720:                              ;   in Loop: Header=BB302_386 Depth=1
	v_and_b32_e32 v16, 7, v0
	v_ffbh_u32_e32 v23, v16
	v_min_u32_e32 v23, 32, v23
	v_lshrrev_b32_e32 v18, 3, v28
	v_subrev_u32_e32 v27, 28, v23
	v_sub_u32_e32 v23, 29, v23
	v_cmp_gt_u32_e64 s[4:5], 8, v28
	v_lshlrev_b64 v[52:53], v27, v[0:1]
	v_cndmask_b32_e64 v18, v18, v23, s[4:5]
	v_and_b32_e32 v27, 7, v52
	v_lshlrev_b32_e32 v0, 8, v0
	v_lshl_add_u32 v18, v18, 10, v50
	v_cndmask_b32_e64 v16, v16, v27, s[4:5]
	v_and_or_b32 v0, v0, s30, v18
	v_lshl_or_b32 v0, v16, 7, v0
	v_cvt_f32_f16_e32 v27, v0
.LBB302_721:                            ;   in Loop: Header=BB302_386 Depth=1
	s_or_b64 exec, exec, s[22:23]
.LBB302_722:                            ;   in Loop: Header=BB302_386 Depth=1
	s_or_b64 exec, exec, s[20:21]
.LBB302_723:                            ;   in Loop: Header=BB302_386 Depth=1
	s_or_b64 exec, exec, s[18:19]
	v_lshrrev_b32_e32 v0, 16, v25
	v_cmp_ne_u16_sdwa s[4:5], v0, v1 src0_sel:BYTE_0 src1_sel:DWORD
	v_mov_b32_e32 v28, 0
	v_mov_b32_e32 v29, 0
	s_and_saveexec_b64 s[18:19], s[4:5]
	s_cbranch_execz .LBB302_729
; %bb.724:                              ;   in Loop: Header=BB302_386 Depth=1
	v_cmp_ne_u16_sdwa s[4:5], v0, s7 src0_sel:BYTE_0 src1_sel:DWORD
	v_bfrev_b32_e32 v29, 1
	s_and_saveexec_b64 s[20:21], s[4:5]
	s_cbranch_execz .LBB302_728
; %bb.725:                              ;   in Loop: Header=BB302_386 Depth=1
	v_bfe_u32 v31, v25, 16, 7
	v_cmp_ne_u32_e64 s[4:5], s15, v31
	v_mov_b32_e32 v29, 0x7fc02000
	s_and_saveexec_b64 s[22:23], s[4:5]
	s_cbranch_execz .LBB302_727
; %bb.726:                              ;   in Loop: Header=BB302_386 Depth=1
	v_and_b32_e32 v16, 7, v0
	v_ffbh_u32_e32 v23, v16
	v_min_u32_e32 v23, 32, v23
	v_lshrrev_b32_e32 v18, 3, v31
	v_subrev_u32_e32 v29, 28, v23
	v_sub_u32_e32 v23, 29, v23
	v_cmp_gt_u32_e64 s[4:5], 8, v31
	v_lshlrev_b64 v[52:53], v29, v[0:1]
	v_cndmask_b32_e64 v18, v18, v23, s[4:5]
	v_and_b32_e32 v29, 7, v52
	v_lshlrev_b32_e32 v0, 8, v0
	v_lshl_add_u32 v18, v18, 10, v50
	v_cndmask_b32_e64 v16, v16, v29, s[4:5]
	v_and_or_b32 v0, v0, s30, v18
	v_lshl_or_b32 v0, v16, 7, v0
	v_cvt_f32_f16_e32 v29, v0
.LBB302_727:                            ;   in Loop: Header=BB302_386 Depth=1
	s_or_b64 exec, exec, s[22:23]
.LBB302_728:                            ;   in Loop: Header=BB302_386 Depth=1
	s_or_b64 exec, exec, s[20:21]
.LBB302_729:                            ;   in Loop: Header=BB302_386 Depth=1
	s_or_b64 exec, exec, s[18:19]
	v_cmp_lt_u64_e64 s[4:5], s[12:13], v[24:25]
	s_and_saveexec_b64 s[18:19], s[4:5]
	s_cbranch_execz .LBB302_735
; %bb.730:                              ;   in Loop: Header=BB302_386 Depth=1
	v_lshrrev_b32_e32 v0, 24, v25
	v_cmp_ne_u32_e64 s[4:5], s7, v0
	v_bfrev_b32_e32 v28, 1
	s_and_saveexec_b64 s[20:21], s[4:5]
	s_cbranch_execz .LBB302_734
; %bb.731:                              ;   in Loop: Header=BB302_386 Depth=1
	v_and_b32_e32 v24, 0x7f, v0
	v_cmp_ne_u32_e64 s[4:5], s15, v24
	v_mov_b32_e32 v28, 0x7fc02000
	s_and_saveexec_b64 s[22:23], s[4:5]
	s_cbranch_execz .LBB302_733
; %bb.732:                              ;   in Loop: Header=BB302_386 Depth=1
	v_and_b32_e32 v16, 7, v0
	v_ffbh_u32_e32 v23, v16
	v_min_u32_e32 v23, 32, v23
	v_lshrrev_b32_e32 v18, 3, v24
	v_subrev_u32_e32 v25, 28, v23
	v_sub_u32_e32 v23, 29, v23
	v_cmp_gt_u32_e64 s[4:5], 8, v24
	v_lshlrev_b64 v[52:53], v25, v[0:1]
	v_cndmask_b32_e64 v18, v18, v23, s[4:5]
	v_and_b32_e32 v25, 7, v52
	v_lshlrev_b32_e32 v0, 8, v0
	v_lshl_add_u32 v18, v18, 10, v50
	v_cndmask_b32_e64 v16, v16, v25, s[4:5]
	v_and_or_b32 v0, v0, s30, v18
	v_lshl_or_b32 v0, v16, 7, v0
	v_cvt_f32_f16_e32 v28, v0
.LBB302_733:                            ;   in Loop: Header=BB302_386 Depth=1
	s_or_b64 exec, exec, s[22:23]
.LBB302_734:                            ;   in Loop: Header=BB302_386 Depth=1
	s_or_b64 exec, exec, s[20:21]
.LBB302_735:                            ;   in Loop: Header=BB302_386 Depth=1
	s_or_b64 exec, exec, s[18:19]
	v_pk_mul_f32 v[14:15], v[12:13], v[14:15] op_sel_hi:[0,1]
	v_cvt_f16_f32_e32 v15, v15
	v_cvt_f16_f32_e32 v14, v14
	v_pk_mul_f32 v[20:21], v[12:13], v[20:21] op_sel_hi:[0,1]
	v_cvt_f16_f32_e32 v0, v21
	v_cvt_f16_f32_e32 v16, v20
	v_pack_b32_f16 v14, v14, v15
	v_fma_mixlo_f16 v15, v12, v27, 0
	v_lshlrev_b32_e32 v15, 16, v15
	v_fma_mixlo_f16 v13, v12, v13, 0
	v_or_b32_sdwa v13, v15, v13 dst_sel:DWORD dst_unused:UNUSED_PAD src0_sel:DWORD src1_sel:WORD_0
	v_fma_mixlo_f16 v15, v12, v29, 0
	v_fma_mixlo_f16 v12, v12, v28, 0
	v_pack_b32_f16 v16, v16, v0
	v_lshlrev_b32_e32 v12, 16, v12
	v_perm_b32 v0, v14, v16, s34
	v_perm_b32 v14, v14, v16, s35
	v_or_b32_sdwa v12, v12, v15 dst_sel:DWORD dst_unused:UNUSED_PAD src0_sel:DWORD src1_sel:WORD_0
	s_and_saveexec_b64 s[4:5], vcc
	s_cbranch_execz .LBB302_384
; %bb.736:                              ;   in Loop: Header=BB302_386 Depth=1
	v_lshrrev_b32_e32 v16, 16, v14
	v_cmp_lt_i32_e32 vcc, v56, v3
	v_accvgpr_read_b32 v18, a8
	v_cndmask_b32_e32 v16, 0, v16, vcc
	v_cmp_lt_i32_e32 vcc, v41, v18
	v_cndmask_b32_e32 v14, 0, v14, vcc
	v_perm_b32 v14, v16, v14, s36
	v_lshrrev_b32_e32 v16, 16, v0
	v_cmp_lt_i32_e32 vcc, v47, v3
	v_cndmask_b32_e32 v16, 0, v16, vcc
	v_cmp_lt_i32_e32 vcc, v46, v18
	v_cndmask_b32_e32 v0, 0, v0, vcc
	v_perm_b32 v0, v16, v0, s36
	v_lshrrev_b32_e32 v16, 16, v13
	v_cmp_lt_i32_e32 vcc, v45, v3
	v_cndmask_b32_e32 v16, 0, v16, vcc
	v_cmp_lt_i32_e32 vcc, v44, v18
	v_cndmask_b32_e32 v13, 0, v13, vcc
	v_lshrrev_b32_e32 v12, 16, v12
	v_cmp_lt_i32_e32 vcc, v40, v3
	v_cndmask_b32_e32 v12, 0, v12, vcc
	v_cmp_lt_i32_e32 vcc, v54, v18
	v_cndmask_b32_e32 v15, 0, v15, vcc
	v_perm_b32 v13, v16, v13, s36
	v_perm_b32 v12, v12, v15, s36
	s_branch .LBB302_384
.LBB302_737:
	s_or_b64 exec, exec, s[28:29]
	v_accvgpr_read_b32 v16, a19
	v_accvgpr_read_b32 v17, a16
.LBB302_738:
	s_or_b64 exec, exec, s[10:11]
	ds_bpermute_b32 v0, v43, v32
	ds_bpermute_b32 v1, v43, v33
	;; [unrolled: 1-line block ×7, first 2 shown]
	s_waitcnt lgkmcnt(0)
	v_pk_add_f32 v[0:1], v[32:33], v[0:1]
	ds_bpermute_b32 v4, v55, v0
	ds_bpermute_b32 v5, v55, v1
	v_pk_add_f32 v[2:3], v[34:35], v[2:3]
	v_pk_add_f32 v[6:7], v[36:37], v[6:7]
	v_add_f32_e32 v14, v38, v8
	ds_bpermute_b32 v10, v55, v2
	ds_bpermute_b32 v11, v55, v3
	;; [unrolled: 1-line block ×5, first 2 shown]
	s_waitcnt lgkmcnt(0)
	v_pk_add_f32 v[8:9], v[0:1], v[4:5]
	v_accvgpr_read_b32 v4, a2
	v_and_b32_e32 v4, 0x3c3, v4
	v_pk_add_f32 v[2:3], v[2:3], v[10:11]
	v_pk_add_f32 v[0:1], v[6:7], v[12:13]
	v_add_f32_e32 v6, v14, v15
	v_cmp_eq_u32_e32 vcc, 64, v4
	s_barrier
	s_and_saveexec_b64 s[4:5], vcc
	s_cbranch_execz .LBB302_740
; %bb.739:
	s_load_dword s7, s[8:9], 0x0
	s_waitcnt lgkmcnt(0)
	v_add_u32_e32 v5, s7, v16
	ds_write2_b32 v5, v8, v9 offset1:16
	ds_write2_b32 v5, v2, v3 offset0:32 offset1:48
	ds_write2_b32 v5, v0, v1 offset0:64 offset1:80
	ds_write_b32 v5, v6 offset:384
.LBB302_740:
	s_or_b64 exec, exec, s[4:5]
	v_accvgpr_read_b32 v5, a2
	s_waitcnt lgkmcnt(0)
	s_barrier
	v_cmp_gt_u32_e32 vcc, 64, v5
	s_mov_b64 s[4:5], exec
	s_and_b64 s[10:11], s[4:5], vcc
	v_accvgpr_read_b32 v10, a0
	v_accvgpr_read_b32 v11, a1
	s_mov_b64 exec, s[10:11]
	s_cbranch_execz .LBB302_750
; %bb.741:
	v_accvgpr_read_b32 v5, a2
	v_cmp_eq_u32_e32 vcc, 0, v17
	v_lshrrev_b32_e32 v5, 2, v5
	s_and_saveexec_b64 s[10:11], vcc
	s_cbranch_execnz .LBB302_753
; %bb.742:
	s_or_b64 exec, exec, s[10:11]
	s_and_saveexec_b64 s[10:11], vcc
	s_cbranch_execnz .LBB302_754
.LBB302_743:
	s_or_b64 exec, exec, s[10:11]
	s_and_saveexec_b64 s[10:11], vcc
	s_cbranch_execnz .LBB302_755
.LBB302_744:
	s_or_b64 exec, exec, s[10:11]
	s_and_saveexec_b64 s[10:11], vcc
	s_cbranch_execnz .LBB302_756
.LBB302_745:
	s_or_b64 exec, exec, s[10:11]
	s_and_saveexec_b64 s[10:11], vcc
	s_cbranch_execnz .LBB302_757
.LBB302_746:
	s_or_b64 exec, exec, s[10:11]
	s_and_saveexec_b64 s[10:11], vcc
	s_cbranch_execnz .LBB302_758
.LBB302_747:
	s_or_b64 exec, exec, s[10:11]
	s_and_saveexec_b64 s[10:11], vcc
	s_cbranch_execz .LBB302_749
.LBB302_748:
	s_load_dword s7, s[8:9], 0x0
	s_waitcnt lgkmcnt(0)
	v_lshl_add_u32 v5, v5, 2, s7
	ds_read_b32 v5, v5 offset:384
	s_waitcnt lgkmcnt(0)
	v_add_f32_e32 v6, v6, v5
.LBB302_749:
	s_or_b64 exec, exec, s[10:11]
.LBB302_750:
	s_or_b64 exec, exec, s[4:5]
	v_cmp_eq_u32_e32 vcc, 0, v4
	s_barrier
	s_and_b64 exec, exec, vcc
	s_cbranch_execz .LBB302_752
; %bb.751:
	s_mul_i32 s4, s6, 0x70
	s_mul_i32 s6, s26, s27
	;; [unrolled: 1-line block ×3, first 2 shown]
	s_ashr_i32 s5, s4, 31
	s_ashr_i32 s7, s6, 31
	;; [unrolled: 1-line block ×3, first 2 shown]
	s_lshl_b64 s[4:5], s[4:5], 1
	s_lshl_b64 s[6:7], s[6:7], 1
	;; [unrolled: 1-line block ×3, first 2 shown]
	s_add_u32 s6, s8, s6
	s_addc_u32 s7, s9, s7
	s_add_u32 s4, s6, s4
	s_addc_u32 s5, s7, s5
	v_mov_b32_e32 v4, s5
	v_add_co_u32_e32 v5, vcc, s4, v11
	v_addc_co_u32_e32 v7, vcc, v4, v10, vcc
	v_accvgpr_read_b32 v4, a2
	v_lshrrev_b32_e32 v4, 1, v4
	v_add_co_u32_e32 v4, vcc, v5, v4
	v_addc_co_u32_e32 v5, vcc, 0, v7, vcc
	;;#ASMSTART
	v_cvt_f16_f32 v7, v8;

	;;#ASMEND
	flat_store_short v[4:5], v7
	;;#ASMSTART
	v_cvt_f16_f32 v7, v9;

	;;#ASMEND
	flat_store_short v[4:5], v7 offset:32
	;;#ASMSTART
	v_cvt_f16_f32 v2, v2;

	;;#ASMEND
	flat_store_short v[4:5], v2 offset:64
	;; [unrolled: 5-line block ×6, first 2 shown]
.LBB302_752:
	s_or_b64 exec, exec, s[24:25]
	buffer_load_dword a58, off, s[0:3], s32 offset:8 ; 4-byte Folded Reload
	buffer_load_dword a57, off, s[0:3], s32 offset:12 ; 4-byte Folded Reload
	;; [unrolled: 1-line block ×42, first 2 shown]
	v_readlane_b32 s30, v63, 9
	v_readlane_b32 s31, v63, 10
	;; [unrolled: 1-line block ×11, first 2 shown]
	s_or_saveexec_b64 s[4:5], -1
	buffer_load_dword v63, off, s[0:3], s32 offset:192 ; 4-byte Folded Reload
	s_mov_b64 exec, s[4:5]
	s_waitcnt vmcnt(0) lgkmcnt(0)
	s_setpc_b64 s[30:31]
.LBB302_753:
	s_load_dword s7, s[8:9], 0x0
	s_waitcnt lgkmcnt(0)
	v_lshl_add_u32 v7, v5, 2, s7
	ds_read_b32 v7, v7
	s_waitcnt lgkmcnt(0)
	v_add_f32_e32 v8, v8, v7
	s_or_b64 exec, exec, s[10:11]
	s_and_saveexec_b64 s[10:11], vcc
	s_cbranch_execz .LBB302_743
.LBB302_754:
	s_load_dword s7, s[8:9], 0x0
	s_waitcnt lgkmcnt(0)
	v_lshl_add_u32 v7, v5, 2, s7
	ds_read_b32 v7, v7 offset:64
	s_waitcnt lgkmcnt(0)
	v_add_f32_e32 v9, v9, v7
	s_or_b64 exec, exec, s[10:11]
	s_and_saveexec_b64 s[10:11], vcc
	s_cbranch_execz .LBB302_744
.LBB302_755:
	s_load_dword s7, s[8:9], 0x0
	s_waitcnt lgkmcnt(0)
	v_lshl_add_u32 v7, v5, 2, s7
	ds_read_b32 v7, v7 offset:128
	s_waitcnt lgkmcnt(0)
	v_add_f32_e32 v2, v2, v7
	s_or_b64 exec, exec, s[10:11]
	s_and_saveexec_b64 s[10:11], vcc
	s_cbranch_execz .LBB302_745
.LBB302_756:
	s_load_dword s7, s[8:9], 0x0
	s_waitcnt lgkmcnt(0)
	v_lshl_add_u32 v7, v5, 2, s7
	ds_read_b32 v7, v7 offset:192
	s_waitcnt lgkmcnt(0)
	v_add_f32_e32 v3, v3, v7
	s_or_b64 exec, exec, s[10:11]
	s_and_saveexec_b64 s[10:11], vcc
	s_cbranch_execz .LBB302_746
.LBB302_757:
	s_load_dword s7, s[8:9], 0x0
	s_waitcnt lgkmcnt(0)
	v_lshl_add_u32 v7, v5, 2, s7
	ds_read_b32 v7, v7 offset:256
	s_waitcnt lgkmcnt(0)
	v_add_f32_e32 v0, v0, v7
	s_or_b64 exec, exec, s[10:11]
	s_and_saveexec_b64 s[10:11], vcc
	s_cbranch_execz .LBB302_747
.LBB302_758:
	s_load_dword s7, s[8:9], 0x0
	s_waitcnt lgkmcnt(0)
	v_lshl_add_u32 v7, v5, 2, s7
	ds_read_b32 v7, v7 offset:320
	s_waitcnt lgkmcnt(0)
	v_add_f32_e32 v1, v1, v7
	s_or_b64 exec, exec, s[10:11]
	s_and_saveexec_b64 s[10:11], vcc
	s_cbranch_execnz .LBB302_748
	s_branch .LBB302_749
.Lfunc_end302:
	.size	_ZN4vllm22paged_attention_kernelIthLi112ELi32ELi128ELNS_18Fp8KVCacheDataTypeE1ELb1ELi512EEEvPfS2_PT_PKS3_PKT0_S9_ifPKiSB_iPKfiiiSD_SD_iiiii, .Lfunc_end302-_ZN4vllm22paged_attention_kernelIthLi112ELi32ELi128ELNS_18Fp8KVCacheDataTypeE1ELb1ELi512EEEvPfS2_PT_PKS3_PKT0_S9_ifPKiSB_iPKfiiiSD_SD_iiiii
                                        ; -- End function
	.section	.AMDGPU.csdata,"",@progbits
; Function info:
; codeLenInByte = 33820
; NumSgprs: 47
; NumVgprs: 64
; NumAgprs: 59
; TotalNumVgprs: 123
; ScratchSize: 200
; MemoryBound: 0
	.section	.text._ZN4vllm25paged_attention_v2_kernelIthLi112ELi32ELi128ELNS_18Fp8KVCacheDataTypeE1ELb1ELi512EEEvPfS2_PT_PKS3_PKT0_S9_ifPKiSB_iPKfiiiSD_SD_iiiii,"axG",@progbits,_ZN4vllm25paged_attention_v2_kernelIthLi112ELi32ELi128ELNS_18Fp8KVCacheDataTypeE1ELb1ELi512EEEvPfS2_PT_PKS3_PKT0_S9_ifPKiSB_iPKfiiiSD_SD_iiiii,comdat
	.protected	_ZN4vllm25paged_attention_v2_kernelIthLi112ELi32ELi128ELNS_18Fp8KVCacheDataTypeE1ELb1ELi512EEEvPfS2_PT_PKS3_PKT0_S9_ifPKiSB_iPKfiiiSD_SD_iiiii ; -- Begin function _ZN4vllm25paged_attention_v2_kernelIthLi112ELi32ELi128ELNS_18Fp8KVCacheDataTypeE1ELb1ELi512EEEvPfS2_PT_PKS3_PKT0_S9_ifPKiSB_iPKfiiiSD_SD_iiiii
	.globl	_ZN4vllm25paged_attention_v2_kernelIthLi112ELi32ELi128ELNS_18Fp8KVCacheDataTypeE1ELb1ELi512EEEvPfS2_PT_PKS3_PKT0_S9_ifPKiSB_iPKfiiiSD_SD_iiiii
	.p2align	8
	.type	_ZN4vllm25paged_attention_v2_kernelIthLi112ELi32ELi128ELNS_18Fp8KVCacheDataTypeE1ELb1ELi512EEEvPfS2_PT_PKS3_PKT0_S9_ifPKiSB_iPKfiiiSD_SD_iiiii,@function
_ZN4vllm25paged_attention_v2_kernelIthLi112ELi32ELi128ELNS_18Fp8KVCacheDataTypeE1ELb1ELi512EEEvPfS2_PT_PKS3_PKT0_S9_ifPKiSB_iPKfiiiSD_SD_iiiii: ; @_ZN4vllm25paged_attention_v2_kernelIthLi112ELi32ELi128ELNS_18Fp8KVCacheDataTypeE1ELb1ELi512EEEvPfS2_PT_PKS3_PKT0_S9_ifPKiSB_iPKfiiiSD_SD_iiiii
; %bb.0:
	s_add_u32 flat_scratch_lo, s6, s11
	s_addc_u32 flat_scratch_hi, s7, 0
	s_add_u32 s0, s0, s11
	s_mov_b32 s12, s8
	s_load_dwordx8 s[24:31], s[4:5], 0x0
	s_load_dwordx8 s[16:23], s[4:5], 0x20
	s_load_dwordx2 s[6:7], s[4:5], 0x40
	s_load_dwordx4 s[44:47], s[4:5], 0x78
	s_load_dwordx2 s[34:35], s[4:5], 0x50
	s_load_dword s11, s[4:5], 0x48
	s_load_dword s8, s[4:5], 0x88
	s_load_dwordx8 s[36:43], s[4:5], 0x58
	s_mov_b32 s32, 0
	s_addc_u32 s1, s1, 0
	s_waitcnt lgkmcnt(0)
	v_mov_b32_e32 v1, s47
	buffer_store_dword v1, off, s[0:3], s32
	v_mov_b32_e32 v1, s8
	s_add_u32 s8, s4, 0x90
	s_mov_b32 s13, s9
	buffer_store_dword v1, off, s[0:3], s32 offset:4
	s_addc_u32 s9, s5, 0
	s_mov_b32 s14, s10
	s_mov_b32 s15, 41
	v_mov_b32_e32 v31, v0
	v_mov_b32_e32 v0, s24
	;; [unrolled: 1-line block ×32, first 2 shown]
	s_getpc_b64 s[4:5]
	s_add_u32 s4, s4, _ZN4vllm22paged_attention_kernelIthLi112ELi32ELi128ELNS_18Fp8KVCacheDataTypeE1ELb1ELi512EEEvPfS2_PT_PKS3_PKT0_S9_ifPKiSB_iPKfiiiSD_SD_iiiii@rel32@lo+4
	s_addc_u32 s5, s5, _ZN4vllm22paged_attention_kernelIthLi112ELi32ELi128ELNS_18Fp8KVCacheDataTypeE1ELb1ELi512EEEvPfS2_PT_PKS3_PKT0_S9_ifPKiSB_iPKfiiiSD_SD_iiiii@rel32@hi+12
	s_swappc_b64 s[30:31], s[4:5]
	s_endpgm
	.section	.rodata,"a",@progbits
	.p2align	6, 0x0
	.amdhsa_kernel _ZN4vllm25paged_attention_v2_kernelIthLi112ELi32ELi128ELNS_18Fp8KVCacheDataTypeE1ELb1ELi512EEEvPfS2_PT_PKS3_PKT0_S9_ifPKiSB_iPKfiiiSD_SD_iiiii
		.amdhsa_group_segment_fixed_size 240
		.amdhsa_private_segment_fixed_size 200
		.amdhsa_kernarg_size 400
		.amdhsa_user_sgpr_count 8
		.amdhsa_user_sgpr_private_segment_buffer 1
		.amdhsa_user_sgpr_dispatch_ptr 0
		.amdhsa_user_sgpr_queue_ptr 0
		.amdhsa_user_sgpr_kernarg_segment_ptr 1
		.amdhsa_user_sgpr_dispatch_id 0
		.amdhsa_user_sgpr_flat_scratch_init 1
		.amdhsa_user_sgpr_kernarg_preload_length 0
		.amdhsa_user_sgpr_kernarg_preload_offset 0
		.amdhsa_user_sgpr_private_segment_size 0
		.amdhsa_uses_dynamic_stack 0
		.amdhsa_system_sgpr_private_segment_wavefront_offset 1
		.amdhsa_system_sgpr_workgroup_id_x 1
		.amdhsa_system_sgpr_workgroup_id_y 1
		.amdhsa_system_sgpr_workgroup_id_z 1
		.amdhsa_system_sgpr_workgroup_info 0
		.amdhsa_system_vgpr_workitem_id 0
		.amdhsa_next_free_vgpr 123
		.amdhsa_next_free_sgpr 48
		.amdhsa_accum_offset 64
		.amdhsa_reserve_vcc 1
		.amdhsa_reserve_flat_scratch 1
		.amdhsa_float_round_mode_32 0
		.amdhsa_float_round_mode_16_64 0
		.amdhsa_float_denorm_mode_32 3
		.amdhsa_float_denorm_mode_16_64 3
		.amdhsa_dx10_clamp 1
		.amdhsa_ieee_mode 1
		.amdhsa_fp16_overflow 0
		.amdhsa_tg_split 0
		.amdhsa_exception_fp_ieee_invalid_op 0
		.amdhsa_exception_fp_denorm_src 0
		.amdhsa_exception_fp_ieee_div_zero 0
		.amdhsa_exception_fp_ieee_overflow 0
		.amdhsa_exception_fp_ieee_underflow 0
		.amdhsa_exception_fp_ieee_inexact 0
		.amdhsa_exception_int_div_zero 0
	.end_amdhsa_kernel
	.section	.text._ZN4vllm25paged_attention_v2_kernelIthLi112ELi32ELi128ELNS_18Fp8KVCacheDataTypeE1ELb1ELi512EEEvPfS2_PT_PKS3_PKT0_S9_ifPKiSB_iPKfiiiSD_SD_iiiii,"axG",@progbits,_ZN4vllm25paged_attention_v2_kernelIthLi112ELi32ELi128ELNS_18Fp8KVCacheDataTypeE1ELb1ELi512EEEvPfS2_PT_PKS3_PKT0_S9_ifPKiSB_iPKfiiiSD_SD_iiiii,comdat
.Lfunc_end303:
	.size	_ZN4vllm25paged_attention_v2_kernelIthLi112ELi32ELi128ELNS_18Fp8KVCacheDataTypeE1ELb1ELi512EEEvPfS2_PT_PKS3_PKT0_S9_ifPKiSB_iPKfiiiSD_SD_iiiii, .Lfunc_end303-_ZN4vllm25paged_attention_v2_kernelIthLi112ELi32ELi128ELNS_18Fp8KVCacheDataTypeE1ELb1ELi512EEEvPfS2_PT_PKS3_PKT0_S9_ifPKiSB_iPKfiiiSD_SD_iiiii
                                        ; -- End function
	.section	.AMDGPU.csdata,"",@progbits
; Kernel info:
; codeLenInByte = 296
; NumSgprs: 54
; NumVgprs: 64
; NumAgprs: 59
; TotalNumVgprs: 123
; ScratchSize: 200
; MemoryBound: 0
; FloatMode: 240
; IeeeMode: 1
; LDSByteSize: 240 bytes/workgroup (compile time only)
; SGPRBlocks: 6
; VGPRBlocks: 15
; NumSGPRsForWavesPerEU: 54
; NumVGPRsForWavesPerEU: 123
; AccumOffset: 64
; Occupancy: 4
; WaveLimiterHint : 1
; COMPUTE_PGM_RSRC2:SCRATCH_EN: 1
; COMPUTE_PGM_RSRC2:USER_SGPR: 8
; COMPUTE_PGM_RSRC2:TRAP_HANDLER: 0
; COMPUTE_PGM_RSRC2:TGID_X_EN: 1
; COMPUTE_PGM_RSRC2:TGID_Y_EN: 1
; COMPUTE_PGM_RSRC2:TGID_Z_EN: 1
; COMPUTE_PGM_RSRC2:TIDIG_COMP_CNT: 0
; COMPUTE_PGM_RSRC3_GFX90A:ACCUM_OFFSET: 15
; COMPUTE_PGM_RSRC3_GFX90A:TG_SPLIT: 0
	.text
	.p2align	2                               ; -- Begin function _ZN4vllm22paged_attention_kernelIthLi120ELi32ELi128ELNS_18Fp8KVCacheDataTypeE1ELb1ELi512EEEvPfS2_PT_PKS3_PKT0_S9_ifPKiSB_iPKfiiiSD_SD_iiiii
	.type	_ZN4vllm22paged_attention_kernelIthLi120ELi32ELi128ELNS_18Fp8KVCacheDataTypeE1ELb1ELi512EEEvPfS2_PT_PKS3_PKT0_S9_ifPKiSB_iPKfiiiSD_SD_iiiii,@function
_ZN4vllm22paged_attention_kernelIthLi120ELi32ELi128ELNS_18Fp8KVCacheDataTypeE1ELb1ELi512EEEvPfS2_PT_PKS3_PKT0_S9_ifPKiSB_iPKfiiiSD_SD_iiiii: ; @_ZN4vllm22paged_attention_kernelIthLi120ELi32ELi128ELNS_18Fp8KVCacheDataTypeE1ELb1ELi512EEEvPfS2_PT_PKS3_PKT0_S9_ifPKiSB_iPKfiiiSD_SD_iiiii
; %bb.0:
	s_waitcnt vmcnt(0) expcnt(0) lgkmcnt(0)
	s_or_saveexec_b64 s[4:5], -1
	buffer_store_dword v63, off, s[0:3], s32 offset:192 ; 4-byte Folded Spill
	s_mov_b64 exec, s[4:5]
	buffer_store_dword v40, off, s[0:3], s32 offset:148 ; 4-byte Folded Spill
	buffer_store_dword v41, off, s[0:3], s32 offset:144 ; 4-byte Folded Spill
	;; [unrolled: 1-line block ×36, first 2 shown]
	v_writelane_b32 v63, s34, 0
	v_writelane_b32 v63, s35, 1
	;; [unrolled: 1-line block ×11, first 2 shown]
	s_mov_b32 s18, s13
	s_ashr_i32 s19, s13, 31
	s_lshl_b64 s[4:5], s[18:19], 2
	v_accvgpr_write_b32 a23, v2
	v_accvgpr_write_b32 a21, v0
	v_mov_b32_e32 v0, s5
	v_add_co_u32_e32 v2, vcc, s4, v16
	v_accvgpr_write_b32 a22, v3
	v_addc_co_u32_e32 v3, vcc, v17, v0, vcc
	flat_load_dword v2, v[2:3]
	v_accvgpr_write_b32 a34, v13
	buffer_load_dword v0, off, s[0:3], s32 offset:4
	buffer_load_dword v13, off, s[0:3], s32
	v_accvgpr_write_b32 a4, v26
	v_accvgpr_write_b32 a33, v25
	s_lshl_b32 s19, s14, 9
	v_accvgpr_write_b32 a35, v30
	v_accvgpr_write_b32 a5, v27
	;; [unrolled: 1-line block ×4, first 2 shown]
	v_mov_b32_e32 v33, v20
	v_mov_b32_e32 v32, v19
	v_accvgpr_write_b32 a16, v15
	v_accvgpr_write_b32 a17, v14
	;; [unrolled: 1-line block ×4, first 2 shown]
	s_waitcnt vmcnt(0) lgkmcnt(0)
	v_accvgpr_write_b32 a8, v2
	v_cmp_lt_i32_e32 vcc, s19, v2
	s_and_saveexec_b64 s[24:25], vcc
	s_cbranch_execz .LBB304_836
; %bb.1:
	v_sub_u32_e32 v2, 0, v12
	v_max_i32_e32 v2, v12, v2
	v_cvt_f32_u32_e32 v3, v2
	s_load_dword s4, s[8:9], 0x10
	s_load_dword s6, s[8:9], 0x0
	v_accvgpr_write_b32 a0, v5
	v_sub_u32_e32 v5, 0, v2
	v_rcp_iflag_f32_e32 v3, v3
	s_waitcnt lgkmcnt(0)
	s_lshr_b32 s4, s4, 16
	s_cmp_lg_u32 s4, 0
	s_cselect_b64 s[4:5], -1, 0
	v_mul_f32_e32 v3, 0x4f7ffffe, v3
	v_cvt_u32_f32_e32 v3, v3
	s_cmp_lg_u64 s[4:5], 0
	s_mov_b32 s16, s15
	s_addc_u32 s15, s6, 0
	v_mul_lo_u32 v5, v5, v3
	v_mul_hi_u32 v5, v3, v5
	s_abs_i32 s4, s15
	v_add_u32_e32 v3, v3, v5
	v_mul_hi_u32 v3, s4, v3
	v_mul_lo_u32 v5, v3, v2
	v_sub_u32_e32 v5, s4, v5
	v_add_u32_e32 v10, 1, v3
	v_cmp_ge_u32_e32 vcc, v5, v2
	v_cndmask_b32_e32 v3, v3, v10, vcc
	v_sub_u32_e32 v10, v5, v2
	v_cndmask_b32_e32 v5, v5, v10, vcc
	v_accvgpr_write_b32 a1, v4
	v_xor_b32_e32 v4, s15, v12
	v_add_u32_e32 v10, 1, v3
	v_cmp_ge_u32_e32 vcc, v5, v2
	v_ashrrev_i32_e32 v4, 31, v4
	v_cndmask_b32_e32 v2, v3, v10, vcc
	v_xor_b32_e32 v2, v2, v4
	v_sub_u32_e32 v2, v2, v4
	v_sub_u32_e32 v3, 0, v2
	v_max_i32_e32 v3, v2, v3
	v_cvt_f32_u32_e32 v4, v3
	v_sub_u32_e32 v5, 0, v3
	s_abs_i32 s6, s12
	v_accvgpr_write_b32 a20, v1
	v_rcp_iflag_f32_e32 v4, v4
	v_cmp_ne_u64_e32 vcc, 0, v[32:33]
	v_mov_b32_e32 v1, 0
	buffer_store_dword v1, off, s[0:3], s32 offset:188 ; 4-byte Folded Spill
	v_mul_f32_e32 v4, 0x4f7ffffe, v4
	v_cvt_u32_f32_e32 v4, v4
	v_mul_lo_u32 v5, v5, v4
	v_mul_hi_u32 v5, v4, v5
	v_add_u32_e32 v4, v4, v5
	v_mad_u64_u32 v[34:35], s[4:5], s6, v4, 0
	s_and_saveexec_b64 s[4:5], vcc
	s_cbranch_execz .LBB304_3
; %bb.2:
	s_ashr_i32 s13, s12, 31
	s_lshl_b64 s[10:11], s[12:13], 2
	v_mov_b32_e32 v5, s11
	v_add_co_u32_e32 v4, vcc, s10, v32
	v_addc_co_u32_e32 v5, vcc, v33, v5, vcc
	flat_load_dword v1, v[4:5]
	s_waitcnt vmcnt(0) lgkmcnt(0)
	buffer_store_dword v1, off, s[0:3], s32 offset:188 ; 4-byte Folded Spill
.LBB304_3:
	s_or_b64 exec, exec, s[4:5]
	v_and_b32_e32 v5, 0x3ff, v31
	v_lshlrev_b32_e32 v1, 3, v5
	s_ashr_i32 s7, s12, 31
	v_ashrrev_i32_e32 v4, 31, v2
	v_and_b32_e32 v2, 1, v5
	s_movk_i32 s10, 0x78
	s_mul_i32 s26, s12, 0x78
	v_cmp_gt_u32_e32 vcc, 30, v5
	v_accvgpr_write_b32 a2, v5
	v_accvgpr_write_b32 a24, v1
	s_and_saveexec_b64 s[4:5], vcc
	s_cbranch_execz .LBB304_5
; %bb.4:
	v_mul_lo_u32 v10, s18, v21
	v_ashrrev_i32_e32 v11, 31, v10
	v_lshlrev_b64 v[10:11], 1, v[10:11]
	v_add_co_u32_e32 v5, vcc, v6, v10
	s_ashr_i32 s27, s26, 31
	v_addc_co_u32_e32 v6, vcc, v7, v11, vcc
	s_lshl_b64 s[20:21], s[26:27], 1
	v_mov_b32_e32 v7, s21
	v_add_co_u32_e32 v5, vcc, s20, v5
	v_addc_co_u32_e32 v7, vcc, v6, v7, vcc
	v_accvgpr_read_b32 v1, a24
	v_add_co_u32_e32 v6, vcc, v5, v1
	v_addc_co_u32_e32 v7, vcc, 0, v7, vcc
	flat_load_dwordx2 v[6:7], v[6:7]
	v_accvgpr_read_b32 v5, a2
	v_lshlrev_b32_e32 v5, 2, v5
	v_and_b32_e32 v5, 0xff8, v5
	v_mad_u32_u24 v5, v2, s10, v5
	s_waitcnt vmcnt(0) lgkmcnt(0)
	ds_write_b64 v5, v[6:7]
.LBB304_5:
	s_or_b64 exec, exec, s[4:5]
	v_mul_lo_u32 v5, v35, v3
	v_sub_u32_e32 v5, s6, v5
	v_add_u32_e32 v6, 1, v35
	v_cmp_ge_u32_e32 vcc, v5, v3
	v_sub_u32_e32 v7, v5, v3
	v_cndmask_b32_e32 v6, v35, v6, vcc
	v_cndmask_b32_e32 v5, v5, v7, vcc
	v_add_u32_e32 v7, 1, v6
	v_cmp_ge_u32_e32 vcc, v5, v3
	v_sub_u32_e32 v5, 0, v13
	v_cndmask_b32_e32 v3, v6, v7, vcc
	v_max_i32_e32 v6, v13, v5
	v_cvt_f32_u32_e32 v5, v6
	v_xor_b32_e32 v4, s7, v4
	v_xor_b32_e32 v3, v3, v4
	v_sub_u32_e32 v20, v3, v4
	v_rcp_iflag_f32_e32 v3, v5
	v_accvgpr_read_b32 v4, a8
	v_accvgpr_write_b32 a3, v6
	v_sub_u32_e32 v6, 0, v6
	v_mul_f32_e32 v3, 0x4f7ffffe, v3
	v_cvt_u32_f32_e32 v5, v3
	v_add_u32_e32 v4, -1, v4
	v_sub_u32_e32 v3, 0, v4
	v_max_i32_e32 v3, v4, v3
	v_mul_lo_u32 v6, v6, v5
	v_mul_hi_u32 v6, v5, v6
	v_add_u32_e32 v5, v5, v6
	v_accvgpr_write_b32 a7, v5
	v_mad_u64_u32 v[32:33], s[4:5], v3, v5, 0
	v_cmp_gt_i32_e32 vcc, 0, v0
	s_waitcnt lgkmcnt(0)
	s_barrier
	s_waitcnt lgkmcnt(0)
                                        ; implicit-def: $agpr10
	s_and_saveexec_b64 s[4:5], vcc
	s_xor_b64 s[4:5], exec, s[4:5]
; %bb.6:
	v_mad_u64_u32 v[6:7], s[6:7], v28, v12, v[20:21]
	v_mul_lo_u32 v0, v6, v0
	v_sub_u32_e32 v0, 1, v0
	v_accvgpr_write_b32 a10, v0
                                        ; implicit-def: $vgpr28
                                        ; implicit-def: $vgpr0
; %bb.7:
	s_or_saveexec_b64 s[4:5], s[4:5]
	v_ashrrev_i32_e32 v1, 31, v13
	v_ashrrev_i32_e32 v4, 31, v4
	v_accvgpr_write_b32 a9, v1
	s_xor_b64 exec, exec, s[4:5]
; %bb.8:
	v_mul_lo_u32 v1, s15, v28
	v_add_u32_e32 v1, s12, v1
	v_mad_u64_u32 v[0:1], s[6:7], v1, v0, 1
	v_accvgpr_write_b32 a10, v0
; %bb.9:
	s_or_b64 exec, exec, s[4:5]
	v_accvgpr_read_b32 v5, a9
	v_accvgpr_read_b32 v7, a3
	v_xor_b32_e32 v4, v4, v5
	v_mul_lo_u32 v5, v33, v7
	v_sub_u32_e32 v3, v3, v5
	v_add_u32_e32 v5, 1, v33
	v_cmp_ge_u32_e32 vcc, v3, v7
	v_sub_u32_e32 v6, v3, v7
	v_cndmask_b32_e32 v5, v33, v5, vcc
	v_cndmask_b32_e32 v3, v3, v6, vcc
	v_add_u32_e32 v6, 1, v5
	v_cmp_ge_u32_e32 vcc, v3, v7
	v_cndmask_b32_e32 v3, v5, v6, vcc
	v_xor_b32_e32 v3, v3, v4
	v_sub_u32_e32 v3, v3, v4
	v_accvgpr_read_b32 v4, a8
	v_add_u32_e32 v4, 31, v4
	v_ashrrev_i32_e32 v5, 31, v4
	v_lshrrev_b32_e32 v5, 27, v5
	v_add_u32_e32 v4, v4, v5
	s_lshl_b32 s27, s14, 4
	v_ashrrev_i32_e32 v4, 5, v4
	s_add_i32 s4, s27, 16
	v_accvgpr_write_b32 a28, v4
	v_min_i32_e32 v5, s4, v4
	v_accvgpr_read_b32 v4, a2
	v_sub_u32_e32 v3, v3, v29
	s_load_dword s38, s[8:9], 0x14
	s_load_dword s13, s[8:9], 0x8
	v_mul_lo_u32 v0, s18, v18
	v_lshrrev_b32_e32 v6, 6, v4
	v_accvgpr_write_b32 a14, v3
	v_mul_lo_u32 v3, v20, v23
	v_ashrrev_i32_e32 v1, 31, v0
	v_or_b32_e32 v4, s27, v6
	v_accvgpr_write_b32 a30, v3
	v_ashrrev_i32_e32 v3, 31, v3
	v_accvgpr_write_b32 a11, v5
	v_cmp_lt_i32_e64 s[4:5], v4, v5
	v_ashrrev_i32_e32 v5, 31, v4
	v_accvgpr_write_b32 a31, v3
	v_accvgpr_read_b32 v3, a35
	v_lshlrev_b64 v[0:1], 2, v[0:1]
	v_accvgpr_write_b32 a13, v5
	v_sub_u32_e32 v3, 0, v3
	v_accvgpr_write_b32 a27, v1
	v_mov_b32_e32 v7, 0xff7fffff
	v_accvgpr_write_b32 a12, v4
	v_accvgpr_write_b32 a29, v3
	v_accvgpr_write_b32 a26, v0
	v_accvgpr_write_b32 a25, v6
	v_lshl_add_u32 v0, v6, 5, s19
	v_mbcnt_lo_u32_b32 v6, -1, 0
	s_mov_b64 s[20:21], exec
	s_and_b64 s[6:7], s[20:21], s[4:5]
	v_accvgpr_write_b32 a15, v0
	s_mov_b64 exec, s[6:7]
	s_cbranch_execz .LBB304_379
; %bb.10:
	v_accvgpr_read_b32 v0, a2
	v_bfe_u32 v7, v0, 1, 5
	v_accvgpr_read_b32 v0, a30
	v_add_co_u32_e64 v0, s[6:7], v8, v0
	v_accvgpr_read_b32 v1, a31
	v_addc_co_u32_e64 v1, s[6:7], v9, v1, s[6:7]
	v_lshlrev_b32_e32 v3, 4, v7
	v_add_co_u32_e64 v0, s[6:7], v0, v3
	v_addc_co_u32_e64 v1, s[6:7], 0, v1, s[6:7]
	v_accvgpr_write_b32 a39, v1
	v_accvgpr_write_b32 a38, v0
	v_lshlrev_b32_e32 v0, 2, v2
	v_accvgpr_write_b32 a40, v0
	v_accvgpr_read_b32 v0, a35
	v_accvgpr_read_b32 v1, a29
	v_max_i32_e32 v3, v0, v1
	v_mul_u32_u24_e32 v1, 0x78, v2
	v_accvgpr_write_b32 a42, v1
	buffer_load_dword v1, off, s[0:3], s32 offset:188 ; 4-byte Folded Reload
	v_cvt_f32_u32_e32 v0, v3
	s_ashr_i32 s17, s16, 31
	v_cmp_eq_u32_e32 vcc, 0, v2
	s_lshl_b64 s[8:9], s[16:17], 2
	v_rcp_iflag_f32_e32 v0, v0
	v_accvgpr_write_b32 a41, v3
	s_getpc_b64 s[10:11]
	s_add_u32 s10, s10, llvm.amdgcn.dynlds.offset.table@rel32@lo+4
	s_addc_u32 s11, s11, llvm.amdgcn.dynlds.offset.table@rel32@hi+12
	s_add_u32 s22, s8, s10
	v_mul_f32_e32 v0, 0x4f7ffffe, v0
	v_cvt_u32_f32_e32 v0, v0
	v_accvgpr_read_b32 v4, a26
	s_addc_u32 s23, s9, s11
	v_accvgpr_read_b32 v5, a27
	s_load_dword s17, s[22:23], 0x0
	v_accvgpr_write_b32 a37, v7
	s_mov_b64 s[28:29], 0
	s_movk_i32 s39, 0x80
	s_movk_i32 s40, 0x7f
	s_mov_b32 s41, 0x8000
	s_mov_b32 s42, 0xffffff
	v_accvgpr_write_b32 a36, v6
	s_waitcnt vmcnt(0)
	v_cmp_neq_f32_e64 s[6:7], 0, v1
	v_sub_u32_e32 v1, 0, v3
	v_mul_lo_u32 v1, v1, v0
	v_mul_hi_u32 v1, v0, v1
	v_accvgpr_read_b32 v2, a12
	v_add_u32_e32 v0, v0, v1
	v_accvgpr_read_b32 v3, a13
	v_accvgpr_write_b32 a44, v0
	v_lshlrev_b64 v[0:1], 2, v[2:3]
	v_add_co_u32_e64 v0, s[8:9], v4, v0
	v_addc_co_u32_e64 v1, s[8:9], v5, v1, s[8:9]
	v_accvgpr_read_b32 v3, a17
	v_add_co_u32_e64 v32, s[8:9], v3, v0
	v_accvgpr_read_b32 v0, a16
	v_addc_co_u32_e64 v33, s[8:9], v0, v1, s[8:9]
	v_accvgpr_read_b32 v1, a25
	v_lshlrev_b32_e32 v0, 2, v7
	v_lshl_or_b32 v0, v1, 7, v0
	v_accvgpr_write_b32 a45, v0
	v_accvgpr_read_b32 v0, a8
	v_sub_u32_e32 v0, v7, v0
	v_add_u32_e32 v0, 1, v0
	v_lshl_add_u32 v3, v1, 5, s19
	v_accvgpr_write_b32 a46, v0
	v_mbcnt_hi_u32_b32 v0, -1, v6
	v_mov_b32_e32 v1, v3
	v_accvgpr_write_b32 a47, v0
	v_mov_b32_e32 v0, 0xff7fffff
	buffer_store_dword v0, off, s[0:3], s32 offset:184 ; 4-byte Folded Spill
	s_branch .LBB304_13
.LBB304_11:                             ;   in Loop: Header=BB304_13 Depth=1
	s_or_b64 exec, exec, s[30:31]
.LBB304_12:                             ;   in Loop: Header=BB304_13 Depth=1
	s_or_b64 exec, exec, s[10:11]
	v_accvgpr_read_b32 v2, a48
	v_add_co_u32_e64 v32, s[8:9], 8, v32
	v_add_u32_e32 v2, 2, v2
	v_addc_co_u32_e64 v33, s[8:9], 0, v33, s[8:9]
	v_accvgpr_read_b32 v0, a11
	v_cmp_ge_i32_e64 s[8:9], v2, v0
	v_accvgpr_read_b32 v0, a45
	s_waitcnt lgkmcnt(0)
	v_accvgpr_read_b32 v1, a43
	v_add_u32_e32 v0, 0x100, v0
	v_add_u32_e32 v1, 64, v1
	s_or_b64 s[28:29], s[8:9], s[28:29]
	v_accvgpr_write_b32 a45, v0
	s_andn2_b64 exec, exec, s[28:29]
	s_cbranch_execz .LBB304_378
.LBB304_13:                             ; =>This Inner Loop Header: Depth=1
	v_accvgpr_write_b32 a48, v2
	v_ashrrev_i32_e32 v0, 31, v1
	v_mov_b32_e32 v2, v1
	v_accvgpr_read_b32 v1, a9
	v_xor_b32_e32 v0, v0, v1
	v_sub_u32_e32 v1, 0, v2
	v_accvgpr_write_b32 a43, v2
	v_max_i32_e32 v1, v2, v1
	v_accvgpr_read_b32 v2, a7
	v_mul_hi_u32 v2, v1, v2
	v_accvgpr_read_b32 v4, a3
	v_mul_lo_u32 v3, v2, v4
	v_sub_u32_e32 v1, v1, v3
	v_add_u32_e32 v3, 1, v2
	v_cmp_ge_u32_e64 s[8:9], v1, v4
	v_cndmask_b32_e64 v2, v2, v3, s[8:9]
	v_sub_u32_e32 v3, v1, v4
	v_cndmask_b32_e64 v1, v1, v3, s[8:9]
	v_add_u32_e32 v3, 1, v2
	v_cmp_ge_u32_e64 s[8:9], v1, v4
	v_cndmask_b32_e64 v1, v2, v3, s[8:9]
	v_xor_b32_e32 v1, v1, v0
	v_sub_u32_e32 v0, v1, v0
	v_accvgpr_read_b32 v2, a10
	v_add_u32_e32 v1, v0, v2
	v_sub_u32_e32 v3, 0, v1
	v_ashrrev_i32_e32 v2, 31, v1
	v_max_i32_e32 v1, v1, v3
	v_accvgpr_read_b32 v4, a44
	v_mul_hi_u32 v3, v1, v4
	v_accvgpr_read_b32 v4, a41
	v_mul_lo_u32 v3, v3, v4
	v_sub_u32_e32 v1, v1, v3
	v_sub_u32_e32 v3, v1, v4
	v_cmp_ge_u32_e64 s[8:9], v1, v4
	v_cndmask_b32_e64 v1, v1, v3, s[8:9]
	v_sub_u32_e32 v3, v1, v4
	v_cmp_ge_u32_e64 s[8:9], v1, v4
	v_cndmask_b32_e64 v1, v1, v3, s[8:9]
	v_xor_b32_e32 v1, v1, v2
	v_sub_u32_e32 v1, v1, v2
	v_cmp_ne_u32_e64 s[8:9], 0, v1
	v_accvgpr_read_b32 v1, a14
	v_cmp_le_i32_e64 s[10:11], v0, v1
	s_and_b64 s[8:9], s[8:9], s[10:11]
	s_and_b64 s[30:31], vcc, s[8:9]
	s_and_saveexec_b64 s[10:11], s[30:31]
	s_cbranch_execz .LBB304_15
; %bb.14:                               ;   in Loop: Header=BB304_13 Depth=1
	v_accvgpr_read_b32 v0, a45
	s_waitcnt lgkmcnt(0)
	v_add_u32_e32 v0, s17, v0
	v_mov_b32_e32 v1, 0xff7fffff
	ds_write_b32 v0, v1
.LBB304_15:                             ;   in Loop: Header=BB304_13 Depth=1
	s_or_b64 exec, exec, s[10:11]
	s_xor_b64 s[8:9], s[8:9], -1
	s_and_saveexec_b64 s[10:11], s[8:9]
	s_cbranch_execz .LBB304_12
; %bb.16:                               ;   in Loop: Header=BB304_13 Depth=1
	flat_load_dword v0, v[32:33]
	v_accvgpr_read_b32 v4, a38
	v_accvgpr_read_b32 v2, a6
	;; [unrolled: 1-line block ×3, first 2 shown]
	v_mov_b32_e32 v15, 0
	s_waitcnt vmcnt(0) lgkmcnt(0)
	v_mad_i64_i32 v[0:1], s[8:9], v0, v2, v[4:5]
	v_accvgpr_read_b32 v2, a40
	v_add_co_u32_e64 v34, s[8:9], v0, v2
	v_addc_co_u32_e64 v35, s[8:9], 0, v1, s[8:9]
	v_accvgpr_read_b32 v0, a32
	flat_load_dword v36, v[34:35]
	v_accvgpr_read_b32 v1, a33
	flat_load_dword v60, v[0:1]
	v_mov_b32_e32 v1, 0
	v_mov_b32_e32 v0, 0
	buffer_store_dword v0, off, s[0:3], s32 offset:152 ; 4-byte Folded Spill
	s_waitcnt vmcnt(0) lgkmcnt(0)
	v_cmp_ne_u16_sdwa s[8:9], v36, v1 src0_sel:BYTE_0 src1_sel:DWORD
	s_and_saveexec_b64 s[30:31], s[8:9]
	s_cbranch_execz .LBB304_22
; %bb.17:                               ;   in Loop: Header=BB304_13 Depth=1
	v_cmp_ne_u16_sdwa s[8:9], v36, s39 src0_sel:BYTE_0 src1_sel:DWORD
	v_bfrev_b32_e32 v15, 1
	s_and_saveexec_b64 s[34:35], s[8:9]
	s_cbranch_execz .LBB304_21
; %bb.18:                               ;   in Loop: Header=BB304_13 Depth=1
	v_and_b32_e32 v0, 0x7f, v36
	v_cmp_ne_u32_e64 s[8:9], s40, v0
	v_mov_b32_e32 v15, 0x7fc02000
	s_and_saveexec_b64 s[36:37], s[8:9]
	s_cbranch_execz .LBB304_20
; %bb.19:                               ;   in Loop: Header=BB304_13 Depth=1
	v_and_b32_e32 v1, 7, v36
	v_ffbh_u32_e32 v2, v1
	v_min_u32_e32 v5, 32, v2
	v_subrev_u32_e32 v2, 28, v5
	v_lshlrev_b64 v[2:3], v2, v[36:37]
	v_lshrrev_b32_e32 v4, 3, v0
	v_sub_u32_e32 v3, 29, v5
	v_cmp_gt_u32_e64 s[8:9], 8, v0
	v_and_b32_e32 v2, 7, v2
	v_cndmask_b32_e64 v0, v4, v3, s[8:9]
	v_mov_b32_e32 v3, 0x2000
	v_cndmask_b32_e64 v1, v1, v2, s[8:9]
	v_lshlrev_b32_e32 v2, 8, v36
	v_lshl_add_u32 v0, v0, 10, v3
	v_and_or_b32 v0, v2, s41, v0
	v_lshl_or_b32 v0, v1, 7, v0
	v_cvt_f32_f16_e32 v15, v0
	v_mov_b32_e32 v1, 0
.LBB304_20:                             ;   in Loop: Header=BB304_13 Depth=1
	s_or_b64 exec, exec, s[36:37]
.LBB304_21:                             ;   in Loop: Header=BB304_13 Depth=1
	s_or_b64 exec, exec, s[34:35]
.LBB304_22:                             ;   in Loop: Header=BB304_13 Depth=1
	s_or_b64 exec, exec, s[30:31]
	v_lshrrev_b16_e32 v38, 8, v36
	v_cmp_ne_u16_e64 s[8:9], 0, v38
	s_and_saveexec_b64 s[30:31], s[8:9]
	s_cbranch_execz .LBB304_28
; %bb.23:                               ;   in Loop: Header=BB304_13 Depth=1
	v_cmp_ne_u16_e64 s[8:9], s39, v38
	v_bfrev_b32_e32 v0, 1
	buffer_store_dword v0, off, s[0:3], s32 offset:152 ; 4-byte Folded Spill
	s_and_saveexec_b64 s[34:35], s[8:9]
	s_cbranch_execz .LBB304_27
; %bb.24:                               ;   in Loop: Header=BB304_13 Depth=1
	v_and_b32_e32 v0, 0x7f, v38
	v_cmp_ne_u32_e64 s[8:9], s40, v0
	v_mov_b32_e32 v2, 0x7fc02000
	buffer_store_dword v2, off, s[0:3], s32 offset:152 ; 4-byte Folded Spill
	s_and_saveexec_b64 s[36:37], s[8:9]
	s_cbranch_execz .LBB304_26
; %bb.25:                               ;   in Loop: Header=BB304_13 Depth=1
	v_and_b32_e32 v1, 7, v38
	v_ffbh_u32_e32 v2, v1
	v_min_u32_e32 v5, 32, v2
	v_subrev_u32_e32 v2, 28, v5
	v_lshlrev_b64 v[2:3], v2, v[38:39]
	v_lshrrev_b32_e32 v4, 3, v0
	v_sub_u32_e32 v3, 29, v5
	v_cmp_gt_u32_e64 s[8:9], 8, v0
	v_and_b32_e32 v2, 7, v2
	v_cndmask_b32_e64 v0, v4, v3, s[8:9]
	v_mov_b32_e32 v3, 0x2000
	v_cndmask_b32_e64 v1, v1, v2, s[8:9]
	v_lshlrev_b32_e32 v2, 8, v38
	v_lshl_add_u32 v0, v0, 10, v3
	v_and_or_b32 v0, v2, s41, v0
	v_lshl_or_b32 v0, v1, 7, v0
	v_cvt_f32_f16_e32 v0, v0
	v_mov_b32_e32 v1, 0
	buffer_store_dword v0, off, s[0:3], s32 offset:152 ; 4-byte Folded Spill
.LBB304_26:                             ;   in Loop: Header=BB304_13 Depth=1
	s_or_b64 exec, exec, s[36:37]
.LBB304_27:                             ;   in Loop: Header=BB304_13 Depth=1
	s_or_b64 exec, exec, s[34:35]
.LBB304_28:                             ;   in Loop: Header=BB304_13 Depth=1
	s_or_b64 exec, exec, s[30:31]
	v_lshrrev_b32_e32 v38, 16, v36
	v_cmp_ne_u16_sdwa s[8:9], v38, v1 src0_sel:BYTE_0 src1_sel:DWORD
	v_mov_b32_e32 v0, 0
	v_mov_b32_e32 v19, 0
	buffer_store_dword v0, off, s[0:3], s32 offset:156 ; 4-byte Folded Spill
	s_and_saveexec_b64 s[30:31], s[8:9]
	s_cbranch_execz .LBB304_34
; %bb.29:                               ;   in Loop: Header=BB304_13 Depth=1
	v_cmp_ne_u16_sdwa s[8:9], v38, s39 src0_sel:BYTE_0 src1_sel:DWORD
	v_bfrev_b32_e32 v19, 1
	s_and_saveexec_b64 s[34:35], s[8:9]
	s_cbranch_execz .LBB304_33
; %bb.30:                               ;   in Loop: Header=BB304_13 Depth=1
	v_bfe_u32 v0, v36, 16, 7
	v_cmp_ne_u32_e64 s[8:9], s40, v0
	v_mov_b32_e32 v19, 0x7fc02000
	s_and_saveexec_b64 s[36:37], s[8:9]
	s_cbranch_execz .LBB304_32
; %bb.31:                               ;   in Loop: Header=BB304_13 Depth=1
	v_and_b32_e32 v1, 7, v38
	v_ffbh_u32_e32 v2, v1
	v_min_u32_e32 v5, 32, v2
	v_subrev_u32_e32 v2, 28, v5
	v_lshlrev_b64 v[2:3], v2, v[38:39]
	v_lshrrev_b32_e32 v4, 3, v0
	v_sub_u32_e32 v3, 29, v5
	v_cmp_gt_u32_e64 s[8:9], 8, v0
	v_and_b32_e32 v2, 7, v2
	v_cndmask_b32_e64 v0, v4, v3, s[8:9]
	v_mov_b32_e32 v3, 0x2000
	v_cndmask_b32_e64 v1, v1, v2, s[8:9]
	v_lshlrev_b32_e32 v2, 8, v38
	v_lshl_add_u32 v0, v0, 10, v3
	v_and_or_b32 v0, v2, s41, v0
	v_lshl_or_b32 v0, v1, 7, v0
	v_cvt_f32_f16_e32 v19, v0
	v_mov_b32_e32 v1, 0
.LBB304_32:                             ;   in Loop: Header=BB304_13 Depth=1
	s_or_b64 exec, exec, s[36:37]
.LBB304_33:                             ;   in Loop: Header=BB304_13 Depth=1
	s_or_b64 exec, exec, s[34:35]
.LBB304_34:                             ;   in Loop: Header=BB304_13 Depth=1
	s_or_b64 exec, exec, s[30:31]
	v_cmp_lt_u32_e64 s[8:9], s42, v36
	s_and_saveexec_b64 s[30:31], s[8:9]
	s_cbranch_execz .LBB304_40
; %bb.35:                               ;   in Loop: Header=BB304_13 Depth=1
	v_lshrrev_b32_e32 v36, 24, v36
	v_cmp_ne_u32_e64 s[8:9], s39, v36
	v_bfrev_b32_e32 v0, 1
	buffer_store_dword v0, off, s[0:3], s32 offset:156 ; 4-byte Folded Spill
	s_and_saveexec_b64 s[34:35], s[8:9]
	s_cbranch_execz .LBB304_39
; %bb.36:                               ;   in Loop: Header=BB304_13 Depth=1
	v_and_b32_e32 v0, 0x7f, v36
	v_cmp_ne_u32_e64 s[8:9], s40, v0
	v_mov_b32_e32 v2, 0x7fc02000
	buffer_store_dword v2, off, s[0:3], s32 offset:156 ; 4-byte Folded Spill
	s_and_saveexec_b64 s[36:37], s[8:9]
	s_cbranch_execz .LBB304_38
; %bb.37:                               ;   in Loop: Header=BB304_13 Depth=1
	v_and_b32_e32 v1, 7, v36
	v_ffbh_u32_e32 v2, v1
	v_min_u32_e32 v5, 32, v2
	v_subrev_u32_e32 v2, 28, v5
	v_lshlrev_b64 v[2:3], v2, v[36:37]
	v_lshrrev_b32_e32 v4, 3, v0
	v_sub_u32_e32 v3, 29, v5
	v_cmp_gt_u32_e64 s[8:9], 8, v0
	v_and_b32_e32 v2, 7, v2
	v_cndmask_b32_e64 v0, v4, v3, s[8:9]
	v_mov_b32_e32 v3, 0x2000
	v_cndmask_b32_e64 v1, v1, v2, s[8:9]
	v_lshlrev_b32_e32 v2, 8, v36
	v_lshl_add_u32 v0, v0, 10, v3
	v_and_or_b32 v0, v2, s41, v0
	v_lshl_or_b32 v0, v1, 7, v0
	v_cvt_f32_f16_e32 v0, v0
	v_mov_b32_e32 v1, 0
	buffer_store_dword v0, off, s[0:3], s32 offset:156 ; 4-byte Folded Spill
.LBB304_38:                             ;   in Loop: Header=BB304_13 Depth=1
	s_or_b64 exec, exec, s[36:37]
.LBB304_39:                             ;   in Loop: Header=BB304_13 Depth=1
	s_or_b64 exec, exec, s[34:35]
.LBB304_40:                             ;   in Loop: Header=BB304_13 Depth=1
	s_or_b64 exec, exec, s[30:31]
	flat_load_dword v36, v[34:35] offset:8
	v_mov_b32_e32 v18, 0
	v_mov_b32_e32 v48, 0
	s_waitcnt vmcnt(0) lgkmcnt(0)
	v_cmp_ne_u16_sdwa s[8:9], v36, v1 src0_sel:BYTE_0 src1_sel:DWORD
	s_and_saveexec_b64 s[30:31], s[8:9]
	s_cbranch_execz .LBB304_46
; %bb.41:                               ;   in Loop: Header=BB304_13 Depth=1
	v_cmp_ne_u16_sdwa s[8:9], v36, s39 src0_sel:BYTE_0 src1_sel:DWORD
	v_bfrev_b32_e32 v48, 1
	s_and_saveexec_b64 s[34:35], s[8:9]
	s_cbranch_execz .LBB304_45
; %bb.42:                               ;   in Loop: Header=BB304_13 Depth=1
	v_and_b32_e32 v0, 0x7f, v36
	v_cmp_ne_u32_e64 s[8:9], s40, v0
	v_mov_b32_e32 v48, 0x7fc02000
	s_and_saveexec_b64 s[36:37], s[8:9]
	s_cbranch_execz .LBB304_44
; %bb.43:                               ;   in Loop: Header=BB304_13 Depth=1
	v_and_b32_e32 v1, 7, v36
	v_ffbh_u32_e32 v2, v1
	v_min_u32_e32 v5, 32, v2
	v_subrev_u32_e32 v2, 28, v5
	v_lshlrev_b64 v[2:3], v2, v[36:37]
	v_lshrrev_b32_e32 v4, 3, v0
	v_sub_u32_e32 v3, 29, v5
	v_cmp_gt_u32_e64 s[8:9], 8, v0
	v_and_b32_e32 v2, 7, v2
	v_cndmask_b32_e64 v0, v4, v3, s[8:9]
	v_mov_b32_e32 v3, 0x2000
	v_cndmask_b32_e64 v1, v1, v2, s[8:9]
	v_lshlrev_b32_e32 v2, 8, v36
	v_lshl_add_u32 v0, v0, 10, v3
	v_and_or_b32 v0, v2, s41, v0
	v_lshl_or_b32 v0, v1, 7, v0
	v_cvt_f32_f16_e32 v48, v0
	v_mov_b32_e32 v1, 0
.LBB304_44:                             ;   in Loop: Header=BB304_13 Depth=1
	s_or_b64 exec, exec, s[36:37]
.LBB304_45:                             ;   in Loop: Header=BB304_13 Depth=1
	s_or_b64 exec, exec, s[34:35]
.LBB304_46:                             ;   in Loop: Header=BB304_13 Depth=1
	s_or_b64 exec, exec, s[30:31]
	v_lshrrev_b16_e32 v38, 8, v36
	v_cmp_ne_u16_e64 s[8:9], 0, v38
	s_and_saveexec_b64 s[30:31], s[8:9]
	s_cbranch_execz .LBB304_52
; %bb.47:                               ;   in Loop: Header=BB304_13 Depth=1
	v_cmp_ne_u16_e64 s[8:9], s39, v38
	v_bfrev_b32_e32 v18, 1
	s_and_saveexec_b64 s[34:35], s[8:9]
	s_cbranch_execz .LBB304_51
; %bb.48:                               ;   in Loop: Header=BB304_13 Depth=1
	v_and_b32_e32 v0, 0x7f, v38
	v_cmp_ne_u32_e64 s[8:9], s40, v0
	v_mov_b32_e32 v18, 0x7fc02000
	s_and_saveexec_b64 s[36:37], s[8:9]
	s_cbranch_execz .LBB304_50
; %bb.49:                               ;   in Loop: Header=BB304_13 Depth=1
	v_and_b32_e32 v2, 7, v38
	v_lshrrev_b32_e32 v3, 3, v0
	v_cmp_gt_u32_e64 s[8:9], 8, v0
	v_ffbh_u32_e32 v0, v2
	v_min_u32_e32 v4, 32, v0
	v_subrev_u32_e32 v0, 28, v4
	v_lshlrev_b64 v[0:1], v0, v[38:39]
	v_sub_u32_e32 v1, 29, v4
	v_and_b32_e32 v0, 7, v0
	v_cndmask_b32_e64 v1, v3, v1, s[8:9]
	v_mov_b32_e32 v3, 0x2000
	v_cndmask_b32_e64 v0, v2, v0, s[8:9]
	v_lshlrev_b32_e32 v2, 8, v38
	v_lshl_add_u32 v1, v1, 10, v3
	v_and_or_b32 v1, v2, s41, v1
	v_lshl_or_b32 v0, v0, 7, v1
	v_cvt_f32_f16_e32 v18, v0
	v_mov_b32_e32 v1, 0
.LBB304_50:                             ;   in Loop: Header=BB304_13 Depth=1
	s_or_b64 exec, exec, s[36:37]
.LBB304_51:                             ;   in Loop: Header=BB304_13 Depth=1
	s_or_b64 exec, exec, s[34:35]
.LBB304_52:                             ;   in Loop: Header=BB304_13 Depth=1
	s_or_b64 exec, exec, s[30:31]
	v_lshrrev_b32_e32 v38, 16, v36
	v_cmp_ne_u16_sdwa s[8:9], v38, v1 src0_sel:BYTE_0 src1_sel:DWORD
	v_mov_b32_e32 v45, 0
	v_mov_b32_e32 v0, 0
	buffer_store_dword v0, off, s[0:3], s32 offset:160 ; 4-byte Folded Spill
	s_and_saveexec_b64 s[30:31], s[8:9]
	s_cbranch_execz .LBB304_58
; %bb.53:                               ;   in Loop: Header=BB304_13 Depth=1
	v_cmp_ne_u16_sdwa s[8:9], v38, s39 src0_sel:BYTE_0 src1_sel:DWORD
	v_bfrev_b32_e32 v0, 1
	buffer_store_dword v0, off, s[0:3], s32 offset:160 ; 4-byte Folded Spill
	s_and_saveexec_b64 s[34:35], s[8:9]
	s_cbranch_execz .LBB304_57
; %bb.54:                               ;   in Loop: Header=BB304_13 Depth=1
	v_bfe_u32 v0, v36, 16, 7
	v_cmp_ne_u32_e64 s[8:9], s40, v0
	v_mov_b32_e32 v2, 0x7fc02000
	buffer_store_dword v2, off, s[0:3], s32 offset:160 ; 4-byte Folded Spill
	s_and_saveexec_b64 s[36:37], s[8:9]
	s_cbranch_execz .LBB304_56
; %bb.55:                               ;   in Loop: Header=BB304_13 Depth=1
	v_and_b32_e32 v1, 7, v38
	v_ffbh_u32_e32 v2, v1
	v_min_u32_e32 v5, 32, v2
	v_subrev_u32_e32 v2, 28, v5
	v_lshlrev_b64 v[2:3], v2, v[38:39]
	v_lshrrev_b32_e32 v4, 3, v0
	v_sub_u32_e32 v3, 29, v5
	v_cmp_gt_u32_e64 s[8:9], 8, v0
	v_and_b32_e32 v2, 7, v2
	v_cndmask_b32_e64 v0, v4, v3, s[8:9]
	v_mov_b32_e32 v3, 0x2000
	v_cndmask_b32_e64 v1, v1, v2, s[8:9]
	v_lshlrev_b32_e32 v2, 8, v38
	v_lshl_add_u32 v0, v0, 10, v3
	v_and_or_b32 v0, v2, s41, v0
	v_lshl_or_b32 v0, v1, 7, v0
	v_cvt_f32_f16_e32 v0, v0
	v_mov_b32_e32 v1, 0
	buffer_store_dword v0, off, s[0:3], s32 offset:160 ; 4-byte Folded Spill
.LBB304_56:                             ;   in Loop: Header=BB304_13 Depth=1
	s_or_b64 exec, exec, s[36:37]
.LBB304_57:                             ;   in Loop: Header=BB304_13 Depth=1
	s_or_b64 exec, exec, s[34:35]
.LBB304_58:                             ;   in Loop: Header=BB304_13 Depth=1
	s_or_b64 exec, exec, s[30:31]
	v_cmp_lt_u32_e64 s[8:9], s42, v36
	s_and_saveexec_b64 s[30:31], s[8:9]
	s_cbranch_execz .LBB304_64
; %bb.59:                               ;   in Loop: Header=BB304_13 Depth=1
	v_lshrrev_b32_e32 v36, 24, v36
	v_cmp_ne_u32_e64 s[8:9], s39, v36
	v_bfrev_b32_e32 v45, 1
	s_and_saveexec_b64 s[34:35], s[8:9]
	s_cbranch_execz .LBB304_63
; %bb.60:                               ;   in Loop: Header=BB304_13 Depth=1
	v_and_b32_e32 v0, 0x7f, v36
	v_cmp_ne_u32_e64 s[8:9], s40, v0
	v_mov_b32_e32 v45, 0x7fc02000
	s_and_saveexec_b64 s[36:37], s[8:9]
	s_cbranch_execz .LBB304_62
; %bb.61:                               ;   in Loop: Header=BB304_13 Depth=1
	v_and_b32_e32 v1, 7, v36
	v_ffbh_u32_e32 v2, v1
	v_min_u32_e32 v5, 32, v2
	v_subrev_u32_e32 v2, 28, v5
	v_lshlrev_b64 v[2:3], v2, v[36:37]
	v_lshrrev_b32_e32 v4, 3, v0
	v_sub_u32_e32 v3, 29, v5
	v_cmp_gt_u32_e64 s[8:9], 8, v0
	v_and_b32_e32 v2, 7, v2
	v_cndmask_b32_e64 v0, v4, v3, s[8:9]
	v_mov_b32_e32 v3, 0x2000
	v_cndmask_b32_e64 v1, v1, v2, s[8:9]
	v_lshlrev_b32_e32 v2, 8, v36
	v_lshl_add_u32 v0, v0, 10, v3
	v_and_or_b32 v0, v2, s41, v0
	v_lshl_or_b32 v0, v1, 7, v0
	v_cvt_f32_f16_e32 v45, v0
	v_mov_b32_e32 v1, 0
.LBB304_62:                             ;   in Loop: Header=BB304_13 Depth=1
	s_or_b64 exec, exec, s[36:37]
.LBB304_63:                             ;   in Loop: Header=BB304_13 Depth=1
	s_or_b64 exec, exec, s[34:35]
.LBB304_64:                             ;   in Loop: Header=BB304_13 Depth=1
	s_or_b64 exec, exec, s[30:31]
	flat_load_dword v36, v[34:35] offset:512
	v_mov_b32_e32 v0, 0
	buffer_store_dword v0, off, s[0:3], s32 offset:164 ; 4-byte Folded Spill
	v_mov_b32_e32 v0, 0
	buffer_store_dword v0, off, s[0:3], s32 offset:168 ; 4-byte Folded Spill
	s_waitcnt vmcnt(0) lgkmcnt(0)
	v_cmp_ne_u16_sdwa s[8:9], v36, v1 src0_sel:BYTE_0 src1_sel:DWORD
	s_and_saveexec_b64 s[30:31], s[8:9]
	s_cbranch_execz .LBB304_70
; %bb.65:                               ;   in Loop: Header=BB304_13 Depth=1
	v_cmp_ne_u16_sdwa s[8:9], v36, s39 src0_sel:BYTE_0 src1_sel:DWORD
	v_bfrev_b32_e32 v0, 1
	buffer_store_dword v0, off, s[0:3], s32 offset:168 ; 4-byte Folded Spill
	s_and_saveexec_b64 s[34:35], s[8:9]
	s_cbranch_execz .LBB304_69
; %bb.66:                               ;   in Loop: Header=BB304_13 Depth=1
	v_and_b32_e32 v0, 0x7f, v36
	v_cmp_ne_u32_e64 s[8:9], s40, v0
	v_mov_b32_e32 v2, 0x7fc02000
	buffer_store_dword v2, off, s[0:3], s32 offset:168 ; 4-byte Folded Spill
	s_and_saveexec_b64 s[36:37], s[8:9]
	s_cbranch_execz .LBB304_68
; %bb.67:                               ;   in Loop: Header=BB304_13 Depth=1
	v_and_b32_e32 v1, 7, v36
	v_ffbh_u32_e32 v2, v1
	v_min_u32_e32 v5, 32, v2
	v_subrev_u32_e32 v2, 28, v5
	v_lshlrev_b64 v[2:3], v2, v[36:37]
	v_lshrrev_b32_e32 v4, 3, v0
	v_sub_u32_e32 v3, 29, v5
	v_cmp_gt_u32_e64 s[8:9], 8, v0
	v_and_b32_e32 v2, 7, v2
	v_cndmask_b32_e64 v0, v4, v3, s[8:9]
	v_mov_b32_e32 v3, 0x2000
	v_cndmask_b32_e64 v1, v1, v2, s[8:9]
	v_lshlrev_b32_e32 v2, 8, v36
	v_lshl_add_u32 v0, v0, 10, v3
	v_and_or_b32 v0, v2, s41, v0
	v_lshl_or_b32 v0, v1, 7, v0
	v_cvt_f32_f16_e32 v0, v0
	v_mov_b32_e32 v1, 0
	buffer_store_dword v0, off, s[0:3], s32 offset:168 ; 4-byte Folded Spill
.LBB304_68:                             ;   in Loop: Header=BB304_13 Depth=1
	s_or_b64 exec, exec, s[36:37]
.LBB304_69:                             ;   in Loop: Header=BB304_13 Depth=1
	s_or_b64 exec, exec, s[34:35]
.LBB304_70:                             ;   in Loop: Header=BB304_13 Depth=1
	s_or_b64 exec, exec, s[30:31]
	v_lshrrev_b16_e32 v38, 8, v36
	v_cmp_ne_u16_e64 s[8:9], 0, v38
	s_and_saveexec_b64 s[30:31], s[8:9]
	s_cbranch_execz .LBB304_76
; %bb.71:                               ;   in Loop: Header=BB304_13 Depth=1
	v_cmp_ne_u16_e64 s[8:9], s39, v38
	v_bfrev_b32_e32 v0, 1
	buffer_store_dword v0, off, s[0:3], s32 offset:164 ; 4-byte Folded Spill
	s_and_saveexec_b64 s[34:35], s[8:9]
	s_cbranch_execz .LBB304_75
; %bb.72:                               ;   in Loop: Header=BB304_13 Depth=1
	v_and_b32_e32 v0, 0x7f, v38
	v_cmp_ne_u32_e64 s[8:9], s40, v0
	v_mov_b32_e32 v2, 0x7fc02000
	buffer_store_dword v2, off, s[0:3], s32 offset:164 ; 4-byte Folded Spill
	s_and_saveexec_b64 s[36:37], s[8:9]
	s_cbranch_execz .LBB304_74
; %bb.73:                               ;   in Loop: Header=BB304_13 Depth=1
	v_and_b32_e32 v1, 7, v38
	v_ffbh_u32_e32 v2, v1
	v_min_u32_e32 v5, 32, v2
	v_subrev_u32_e32 v2, 28, v5
	v_lshlrev_b64 v[2:3], v2, v[38:39]
	v_lshrrev_b32_e32 v4, 3, v0
	v_sub_u32_e32 v3, 29, v5
	v_cmp_gt_u32_e64 s[8:9], 8, v0
	v_and_b32_e32 v2, 7, v2
	v_cndmask_b32_e64 v0, v4, v3, s[8:9]
	v_mov_b32_e32 v3, 0x2000
	v_cndmask_b32_e64 v1, v1, v2, s[8:9]
	v_lshlrev_b32_e32 v2, 8, v38
	v_lshl_add_u32 v0, v0, 10, v3
	v_and_or_b32 v0, v2, s41, v0
	v_lshl_or_b32 v0, v1, 7, v0
	v_cvt_f32_f16_e32 v0, v0
	v_mov_b32_e32 v1, 0
	buffer_store_dword v0, off, s[0:3], s32 offset:164 ; 4-byte Folded Spill
.LBB304_74:                             ;   in Loop: Header=BB304_13 Depth=1
	s_or_b64 exec, exec, s[36:37]
.LBB304_75:                             ;   in Loop: Header=BB304_13 Depth=1
	s_or_b64 exec, exec, s[34:35]
.LBB304_76:                             ;   in Loop: Header=BB304_13 Depth=1
	s_or_b64 exec, exec, s[30:31]
	v_lshrrev_b32_e32 v38, 16, v36
	v_cmp_ne_u16_sdwa s[8:9], v38, v1 src0_sel:BYTE_0 src1_sel:DWORD
	v_mov_b32_e32 v30, 0
	v_mov_b32_e32 v50, 0
	s_and_saveexec_b64 s[30:31], s[8:9]
	s_cbranch_execz .LBB304_82
; %bb.77:                               ;   in Loop: Header=BB304_13 Depth=1
	v_cmp_ne_u16_sdwa s[8:9], v38, s39 src0_sel:BYTE_0 src1_sel:DWORD
	v_bfrev_b32_e32 v50, 1
	s_and_saveexec_b64 s[34:35], s[8:9]
	s_cbranch_execz .LBB304_81
; %bb.78:                               ;   in Loop: Header=BB304_13 Depth=1
	v_bfe_u32 v0, v36, 16, 7
	v_cmp_ne_u32_e64 s[8:9], s40, v0
	v_mov_b32_e32 v50, 0x7fc02000
	s_and_saveexec_b64 s[36:37], s[8:9]
	s_cbranch_execz .LBB304_80
; %bb.79:                               ;   in Loop: Header=BB304_13 Depth=1
	v_and_b32_e32 v1, 7, v38
	v_ffbh_u32_e32 v2, v1
	v_min_u32_e32 v5, 32, v2
	v_subrev_u32_e32 v2, 28, v5
	v_lshlrev_b64 v[2:3], v2, v[38:39]
	v_lshrrev_b32_e32 v4, 3, v0
	v_sub_u32_e32 v3, 29, v5
	v_cmp_gt_u32_e64 s[8:9], 8, v0
	v_and_b32_e32 v2, 7, v2
	v_cndmask_b32_e64 v0, v4, v3, s[8:9]
	v_mov_b32_e32 v3, 0x2000
	v_cndmask_b32_e64 v1, v1, v2, s[8:9]
	v_lshlrev_b32_e32 v2, 8, v38
	v_lshl_add_u32 v0, v0, 10, v3
	v_and_or_b32 v0, v2, s41, v0
	v_lshl_or_b32 v0, v1, 7, v0
	v_cvt_f32_f16_e32 v50, v0
	v_mov_b32_e32 v1, 0
.LBB304_80:                             ;   in Loop: Header=BB304_13 Depth=1
	s_or_b64 exec, exec, s[36:37]
.LBB304_81:                             ;   in Loop: Header=BB304_13 Depth=1
	s_or_b64 exec, exec, s[34:35]
.LBB304_82:                             ;   in Loop: Header=BB304_13 Depth=1
	s_or_b64 exec, exec, s[30:31]
	v_cmp_lt_u32_e64 s[8:9], s42, v36
	s_and_saveexec_b64 s[30:31], s[8:9]
	s_cbranch_execz .LBB304_88
; %bb.83:                               ;   in Loop: Header=BB304_13 Depth=1
	v_lshrrev_b32_e32 v36, 24, v36
	v_cmp_ne_u32_e64 s[8:9], s39, v36
	v_bfrev_b32_e32 v30, 1
	s_and_saveexec_b64 s[34:35], s[8:9]
	s_cbranch_execz .LBB304_87
; %bb.84:                               ;   in Loop: Header=BB304_13 Depth=1
	v_and_b32_e32 v0, 0x7f, v36
	v_cmp_ne_u32_e64 s[8:9], s40, v0
	v_mov_b32_e32 v30, 0x7fc02000
	s_and_saveexec_b64 s[36:37], s[8:9]
	s_cbranch_execz .LBB304_86
; %bb.85:                               ;   in Loop: Header=BB304_13 Depth=1
	v_and_b32_e32 v1, 7, v36
	v_ffbh_u32_e32 v2, v1
	v_min_u32_e32 v5, 32, v2
	v_subrev_u32_e32 v2, 28, v5
	v_lshlrev_b64 v[2:3], v2, v[36:37]
	v_lshrrev_b32_e32 v4, 3, v0
	v_sub_u32_e32 v3, 29, v5
	v_cmp_gt_u32_e64 s[8:9], 8, v0
	v_and_b32_e32 v2, 7, v2
	v_cndmask_b32_e64 v0, v4, v3, s[8:9]
	v_mov_b32_e32 v3, 0x2000
	v_cndmask_b32_e64 v1, v1, v2, s[8:9]
	v_lshlrev_b32_e32 v2, 8, v36
	v_lshl_add_u32 v0, v0, 10, v3
	v_and_or_b32 v0, v2, s41, v0
	v_lshl_or_b32 v0, v1, 7, v0
	v_cvt_f32_f16_e32 v30, v0
	v_mov_b32_e32 v1, 0
.LBB304_86:                             ;   in Loop: Header=BB304_13 Depth=1
	s_or_b64 exec, exec, s[36:37]
.LBB304_87:                             ;   in Loop: Header=BB304_13 Depth=1
	s_or_b64 exec, exec, s[34:35]
.LBB304_88:                             ;   in Loop: Header=BB304_13 Depth=1
	s_or_b64 exec, exec, s[30:31]
	flat_load_dword v36, v[34:35] offset:520
	v_mov_b32_e32 v42, 0
	v_mov_b32_e32 v40, 0
	s_waitcnt vmcnt(0) lgkmcnt(0)
	v_cmp_ne_u16_sdwa s[8:9], v36, v1 src0_sel:BYTE_0 src1_sel:DWORD
	s_and_saveexec_b64 s[30:31], s[8:9]
	s_cbranch_execz .LBB304_94
; %bb.89:                               ;   in Loop: Header=BB304_13 Depth=1
	v_cmp_ne_u16_sdwa s[8:9], v36, s39 src0_sel:BYTE_0 src1_sel:DWORD
	v_bfrev_b32_e32 v40, 1
	s_and_saveexec_b64 s[34:35], s[8:9]
	s_cbranch_execz .LBB304_93
; %bb.90:                               ;   in Loop: Header=BB304_13 Depth=1
	v_and_b32_e32 v0, 0x7f, v36
	v_cmp_ne_u32_e64 s[8:9], s40, v0
	v_mov_b32_e32 v40, 0x7fc02000
	s_and_saveexec_b64 s[36:37], s[8:9]
	s_cbranch_execz .LBB304_92
; %bb.91:                               ;   in Loop: Header=BB304_13 Depth=1
	v_and_b32_e32 v1, 7, v36
	v_ffbh_u32_e32 v2, v1
	v_min_u32_e32 v5, 32, v2
	v_subrev_u32_e32 v2, 28, v5
	v_lshlrev_b64 v[2:3], v2, v[36:37]
	v_lshrrev_b32_e32 v4, 3, v0
	v_sub_u32_e32 v3, 29, v5
	v_cmp_gt_u32_e64 s[8:9], 8, v0
	v_and_b32_e32 v2, 7, v2
	v_cndmask_b32_e64 v0, v4, v3, s[8:9]
	v_mov_b32_e32 v3, 0x2000
	v_cndmask_b32_e64 v1, v1, v2, s[8:9]
	v_lshlrev_b32_e32 v2, 8, v36
	v_lshl_add_u32 v0, v0, 10, v3
	v_and_or_b32 v0, v2, s41, v0
	v_lshl_or_b32 v0, v1, 7, v0
	v_cvt_f32_f16_e32 v40, v0
	v_mov_b32_e32 v1, 0
.LBB304_92:                             ;   in Loop: Header=BB304_13 Depth=1
	s_or_b64 exec, exec, s[36:37]
.LBB304_93:                             ;   in Loop: Header=BB304_13 Depth=1
	s_or_b64 exec, exec, s[34:35]
.LBB304_94:                             ;   in Loop: Header=BB304_13 Depth=1
	s_or_b64 exec, exec, s[30:31]
	v_lshrrev_b16_e32 v38, 8, v36
	v_cmp_ne_u16_e64 s[8:9], 0, v38
	s_and_saveexec_b64 s[30:31], s[8:9]
	s_cbranch_execz .LBB304_100
; %bb.95:                               ;   in Loop: Header=BB304_13 Depth=1
	v_cmp_ne_u16_e64 s[8:9], s39, v38
	v_bfrev_b32_e32 v42, 1
	s_and_saveexec_b64 s[34:35], s[8:9]
	s_cbranch_execz .LBB304_99
; %bb.96:                               ;   in Loop: Header=BB304_13 Depth=1
	v_and_b32_e32 v0, 0x7f, v38
	v_cmp_ne_u32_e64 s[8:9], s40, v0
	v_mov_b32_e32 v42, 0x7fc02000
	s_and_saveexec_b64 s[36:37], s[8:9]
	s_cbranch_execz .LBB304_98
; %bb.97:                               ;   in Loop: Header=BB304_13 Depth=1
	v_and_b32_e32 v2, 7, v38
	v_lshrrev_b32_e32 v3, 3, v0
	v_cmp_gt_u32_e64 s[8:9], 8, v0
	v_ffbh_u32_e32 v0, v2
	v_min_u32_e32 v4, 32, v0
	v_subrev_u32_e32 v0, 28, v4
	v_lshlrev_b64 v[0:1], v0, v[38:39]
	v_sub_u32_e32 v1, 29, v4
	v_and_b32_e32 v0, 7, v0
	v_cndmask_b32_e64 v1, v3, v1, s[8:9]
	v_mov_b32_e32 v3, 0x2000
	v_cndmask_b32_e64 v0, v2, v0, s[8:9]
	v_lshlrev_b32_e32 v2, 8, v38
	v_lshl_add_u32 v1, v1, 10, v3
	v_and_or_b32 v1, v2, s41, v1
	v_lshl_or_b32 v0, v0, 7, v1
	v_cvt_f32_f16_e32 v42, v0
	v_mov_b32_e32 v1, 0
.LBB304_98:                             ;   in Loop: Header=BB304_13 Depth=1
	s_or_b64 exec, exec, s[36:37]
.LBB304_99:                             ;   in Loop: Header=BB304_13 Depth=1
	s_or_b64 exec, exec, s[34:35]
.LBB304_100:                            ;   in Loop: Header=BB304_13 Depth=1
	s_or_b64 exec, exec, s[30:31]
	v_lshrrev_b32_e32 v38, 16, v36
	v_mov_b32_e32 v0, 0
	v_cmp_ne_u16_sdwa s[8:9], v38, v1 src0_sel:BYTE_0 src1_sel:DWORD
	buffer_store_dword v0, off, s[0:3], s32 offset:172 ; 4-byte Folded Spill
	v_mov_b32_e32 v0, 0
	buffer_store_dword v0, off, s[0:3], s32 offset:176 ; 4-byte Folded Spill
	s_and_saveexec_b64 s[30:31], s[8:9]
	s_cbranch_execz .LBB304_106
; %bb.101:                              ;   in Loop: Header=BB304_13 Depth=1
	v_cmp_ne_u16_sdwa s[8:9], v38, s39 src0_sel:BYTE_0 src1_sel:DWORD
	v_bfrev_b32_e32 v0, 1
	buffer_store_dword v0, off, s[0:3], s32 offset:176 ; 4-byte Folded Spill
	s_and_saveexec_b64 s[34:35], s[8:9]
	s_cbranch_execz .LBB304_105
; %bb.102:                              ;   in Loop: Header=BB304_13 Depth=1
	v_bfe_u32 v0, v36, 16, 7
	v_cmp_ne_u32_e64 s[8:9], s40, v0
	v_mov_b32_e32 v2, 0x7fc02000
	buffer_store_dword v2, off, s[0:3], s32 offset:176 ; 4-byte Folded Spill
	s_and_saveexec_b64 s[36:37], s[8:9]
	s_cbranch_execz .LBB304_104
; %bb.103:                              ;   in Loop: Header=BB304_13 Depth=1
	v_and_b32_e32 v1, 7, v38
	v_ffbh_u32_e32 v2, v1
	v_min_u32_e32 v5, 32, v2
	v_subrev_u32_e32 v2, 28, v5
	v_lshlrev_b64 v[2:3], v2, v[38:39]
	v_lshrrev_b32_e32 v4, 3, v0
	v_sub_u32_e32 v3, 29, v5
	v_cmp_gt_u32_e64 s[8:9], 8, v0
	v_and_b32_e32 v2, 7, v2
	v_cndmask_b32_e64 v0, v4, v3, s[8:9]
	v_mov_b32_e32 v3, 0x2000
	v_cndmask_b32_e64 v1, v1, v2, s[8:9]
	v_lshlrev_b32_e32 v2, 8, v38
	v_lshl_add_u32 v0, v0, 10, v3
	v_and_or_b32 v0, v2, s41, v0
	v_lshl_or_b32 v0, v1, 7, v0
	v_cvt_f32_f16_e32 v0, v0
	v_mov_b32_e32 v1, 0
	buffer_store_dword v0, off, s[0:3], s32 offset:176 ; 4-byte Folded Spill
.LBB304_104:                            ;   in Loop: Header=BB304_13 Depth=1
	s_or_b64 exec, exec, s[36:37]
.LBB304_105:                            ;   in Loop: Header=BB304_13 Depth=1
	s_or_b64 exec, exec, s[34:35]
.LBB304_106:                            ;   in Loop: Header=BB304_13 Depth=1
	s_or_b64 exec, exec, s[30:31]
	v_cmp_lt_u32_e64 s[8:9], s42, v36
	s_and_saveexec_b64 s[30:31], s[8:9]
	s_cbranch_execz .LBB304_112
; %bb.107:                              ;   in Loop: Header=BB304_13 Depth=1
	v_lshrrev_b32_e32 v36, 24, v36
	v_cmp_ne_u32_e64 s[8:9], s39, v36
	v_bfrev_b32_e32 v0, 1
	buffer_store_dword v0, off, s[0:3], s32 offset:172 ; 4-byte Folded Spill
	s_and_saveexec_b64 s[34:35], s[8:9]
	s_cbranch_execz .LBB304_111
; %bb.108:                              ;   in Loop: Header=BB304_13 Depth=1
	v_and_b32_e32 v0, 0x7f, v36
	v_cmp_ne_u32_e64 s[8:9], s40, v0
	v_mov_b32_e32 v2, 0x7fc02000
	buffer_store_dword v2, off, s[0:3], s32 offset:172 ; 4-byte Folded Spill
	s_and_saveexec_b64 s[36:37], s[8:9]
	s_cbranch_execz .LBB304_110
; %bb.109:                              ;   in Loop: Header=BB304_13 Depth=1
	v_and_b32_e32 v1, 7, v36
	v_ffbh_u32_e32 v2, v1
	v_min_u32_e32 v5, 32, v2
	v_subrev_u32_e32 v2, 28, v5
	v_lshlrev_b64 v[2:3], v2, v[36:37]
	v_lshrrev_b32_e32 v4, 3, v0
	v_sub_u32_e32 v3, 29, v5
	v_cmp_gt_u32_e64 s[8:9], 8, v0
	v_and_b32_e32 v2, 7, v2
	v_cndmask_b32_e64 v0, v4, v3, s[8:9]
	v_mov_b32_e32 v3, 0x2000
	v_cndmask_b32_e64 v1, v1, v2, s[8:9]
	v_lshlrev_b32_e32 v2, 8, v36
	v_lshl_add_u32 v0, v0, 10, v3
	v_and_or_b32 v0, v2, s41, v0
	v_lshl_or_b32 v0, v1, 7, v0
	v_cvt_f32_f16_e32 v0, v0
	v_mov_b32_e32 v1, 0
	buffer_store_dword v0, off, s[0:3], s32 offset:172 ; 4-byte Folded Spill
.LBB304_110:                            ;   in Loop: Header=BB304_13 Depth=1
	s_or_b64 exec, exec, s[36:37]
.LBB304_111:                            ;   in Loop: Header=BB304_13 Depth=1
	s_or_b64 exec, exec, s[34:35]
.LBB304_112:                            ;   in Loop: Header=BB304_13 Depth=1
	s_or_b64 exec, exec, s[30:31]
	flat_load_dword v36, v[34:35] offset:1024
	v_mov_b32_e32 v0, 0
	v_mov_b32_e32 v59, 0
	buffer_store_dword v0, off, s[0:3], s32 offset:180 ; 4-byte Folded Spill
	s_waitcnt vmcnt(0) lgkmcnt(0)
	v_cmp_ne_u16_sdwa s[8:9], v36, v1 src0_sel:BYTE_0 src1_sel:DWORD
	s_and_saveexec_b64 s[30:31], s[8:9]
	s_cbranch_execz .LBB304_118
; %bb.113:                              ;   in Loop: Header=BB304_13 Depth=1
	v_cmp_ne_u16_sdwa s[8:9], v36, s39 src0_sel:BYTE_0 src1_sel:DWORD
	v_bfrev_b32_e32 v59, 1
	s_and_saveexec_b64 s[34:35], s[8:9]
	s_cbranch_execz .LBB304_117
; %bb.114:                              ;   in Loop: Header=BB304_13 Depth=1
	v_and_b32_e32 v0, 0x7f, v36
	v_cmp_ne_u32_e64 s[8:9], s40, v0
	v_mov_b32_e32 v59, 0x7fc02000
	s_and_saveexec_b64 s[36:37], s[8:9]
	s_cbranch_execz .LBB304_116
; %bb.115:                              ;   in Loop: Header=BB304_13 Depth=1
	v_and_b32_e32 v1, 7, v36
	v_ffbh_u32_e32 v2, v1
	v_min_u32_e32 v5, 32, v2
	v_subrev_u32_e32 v2, 28, v5
	v_lshlrev_b64 v[2:3], v2, v[36:37]
	v_lshrrev_b32_e32 v4, 3, v0
	v_sub_u32_e32 v3, 29, v5
	v_cmp_gt_u32_e64 s[8:9], 8, v0
	v_and_b32_e32 v2, 7, v2
	v_cndmask_b32_e64 v0, v4, v3, s[8:9]
	v_mov_b32_e32 v3, 0x2000
	v_cndmask_b32_e64 v1, v1, v2, s[8:9]
	v_lshlrev_b32_e32 v2, 8, v36
	v_lshl_add_u32 v0, v0, 10, v3
	v_and_or_b32 v0, v2, s41, v0
	v_lshl_or_b32 v0, v1, 7, v0
	v_cvt_f32_f16_e32 v59, v0
	v_mov_b32_e32 v1, 0
.LBB304_116:                            ;   in Loop: Header=BB304_13 Depth=1
	s_or_b64 exec, exec, s[36:37]
.LBB304_117:                            ;   in Loop: Header=BB304_13 Depth=1
	s_or_b64 exec, exec, s[34:35]
.LBB304_118:                            ;   in Loop: Header=BB304_13 Depth=1
	s_or_b64 exec, exec, s[30:31]
	v_lshrrev_b16_e32 v38, 8, v36
	v_cmp_ne_u16_e64 s[8:9], 0, v38
	s_and_saveexec_b64 s[30:31], s[8:9]
	s_cbranch_execz .LBB304_124
; %bb.119:                              ;   in Loop: Header=BB304_13 Depth=1
	v_cmp_ne_u16_e64 s[8:9], s39, v38
	v_bfrev_b32_e32 v0, 1
	buffer_store_dword v0, off, s[0:3], s32 offset:180 ; 4-byte Folded Spill
	s_and_saveexec_b64 s[34:35], s[8:9]
	s_cbranch_execz .LBB304_123
; %bb.120:                              ;   in Loop: Header=BB304_13 Depth=1
	v_and_b32_e32 v0, 0x7f, v38
	v_cmp_ne_u32_e64 s[8:9], s40, v0
	v_mov_b32_e32 v2, 0x7fc02000
	buffer_store_dword v2, off, s[0:3], s32 offset:180 ; 4-byte Folded Spill
	s_and_saveexec_b64 s[36:37], s[8:9]
	s_cbranch_execz .LBB304_122
; %bb.121:                              ;   in Loop: Header=BB304_13 Depth=1
	v_and_b32_e32 v1, 7, v38
	v_ffbh_u32_e32 v3, v1
	v_min_u32_e32 v3, 32, v3
	v_lshrrev_b32_e32 v2, 3, v0
	v_subrev_u32_e32 v4, 28, v3
	v_sub_u32_e32 v3, 29, v3
	v_cmp_gt_u32_e64 s[8:9], 8, v0
	v_lshlrev_b64 v[4:5], v4, v[38:39]
	v_cndmask_b32_e64 v0, v2, v3, s[8:9]
	v_mov_b32_e32 v3, 0x2000
	v_and_b32_e32 v4, 7, v4
	v_lshlrev_b32_e32 v2, 8, v38
	v_lshl_add_u32 v0, v0, 10, v3
	v_cndmask_b32_e64 v1, v1, v4, s[8:9]
	v_and_or_b32 v0, v2, s41, v0
	v_lshl_or_b32 v0, v1, 7, v0
	v_cvt_f32_f16_e32 v0, v0
	v_mov_b32_e32 v1, 0
	buffer_store_dword v0, off, s[0:3], s32 offset:180 ; 4-byte Folded Spill
.LBB304_122:                            ;   in Loop: Header=BB304_13 Depth=1
	s_or_b64 exec, exec, s[36:37]
.LBB304_123:                            ;   in Loop: Header=BB304_13 Depth=1
	s_or_b64 exec, exec, s[34:35]
.LBB304_124:                            ;   in Loop: Header=BB304_13 Depth=1
	s_or_b64 exec, exec, s[30:31]
	v_lshrrev_b32_e32 v38, 16, v36
	v_cmp_ne_u16_sdwa s[8:9], v38, v1 src0_sel:BYTE_0 src1_sel:DWORD
	v_mov_b32_e32 v46, 0
	v_mov_b32_e32 v41, 0
	s_and_saveexec_b64 s[30:31], s[8:9]
	s_cbranch_execz .LBB304_130
; %bb.125:                              ;   in Loop: Header=BB304_13 Depth=1
	v_cmp_ne_u16_sdwa s[8:9], v38, s39 src0_sel:BYTE_0 src1_sel:DWORD
	v_bfrev_b32_e32 v41, 1
	s_and_saveexec_b64 s[34:35], s[8:9]
	s_cbranch_execz .LBB304_129
; %bb.126:                              ;   in Loop: Header=BB304_13 Depth=1
	v_bfe_u32 v1, v36, 16, 7
	v_cmp_ne_u32_e64 s[8:9], s40, v1
	v_mov_b32_e32 v41, 0x7fc02000
	s_and_saveexec_b64 s[36:37], s[8:9]
	s_cbranch_execz .LBB304_128
; %bb.127:                              ;   in Loop: Header=BB304_13 Depth=1
	v_and_b32_e32 v0, 7, v38
	v_ffbh_u32_e32 v3, v0
	v_min_u32_e32 v3, 32, v3
	v_lshrrev_b32_e32 v2, 3, v1
	v_subrev_u32_e32 v4, 28, v3
	v_sub_u32_e32 v3, 29, v3
	v_cmp_gt_u32_e64 s[8:9], 8, v1
	v_lshlrev_b64 v[4:5], v4, v[38:39]
	v_cndmask_b32_e64 v1, v2, v3, s[8:9]
	v_mov_b32_e32 v3, 0x2000
	v_and_b32_e32 v4, 7, v4
	v_lshlrev_b32_e32 v2, 8, v38
	v_lshl_add_u32 v1, v1, 10, v3
	v_cndmask_b32_e64 v0, v0, v4, s[8:9]
	v_and_or_b32 v1, v2, s41, v1
	v_lshl_or_b32 v0, v0, 7, v1
	v_cvt_f32_f16_e32 v41, v0
.LBB304_128:                            ;   in Loop: Header=BB304_13 Depth=1
	s_or_b64 exec, exec, s[36:37]
	v_mov_b32_e32 v1, 0
.LBB304_129:                            ;   in Loop: Header=BB304_13 Depth=1
	s_or_b64 exec, exec, s[34:35]
.LBB304_130:                            ;   in Loop: Header=BB304_13 Depth=1
	s_or_b64 exec, exec, s[30:31]
	v_cmp_lt_u32_e64 s[8:9], s42, v36
	s_and_saveexec_b64 s[30:31], s[8:9]
	s_cbranch_execz .LBB304_136
; %bb.131:                              ;   in Loop: Header=BB304_13 Depth=1
	v_lshrrev_b32_e32 v36, 24, v36
	v_cmp_ne_u32_e64 s[8:9], s39, v36
	v_bfrev_b32_e32 v46, 1
	s_and_saveexec_b64 s[34:35], s[8:9]
	s_cbranch_execz .LBB304_135
; %bb.132:                              ;   in Loop: Header=BB304_13 Depth=1
	v_and_b32_e32 v1, 0x7f, v36
	v_cmp_ne_u32_e64 s[8:9], s40, v1
	v_mov_b32_e32 v46, 0x7fc02000
	s_and_saveexec_b64 s[36:37], s[8:9]
	s_cbranch_execz .LBB304_134
; %bb.133:                              ;   in Loop: Header=BB304_13 Depth=1
	v_and_b32_e32 v2, 7, v36
	v_ffbh_u32_e32 v4, v2
	v_min_u32_e32 v6, 32, v4
	v_subrev_u32_e32 v4, 28, v6
	v_lshlrev_b64 v[4:5], v4, v[36:37]
	v_lshrrev_b32_e32 v3, 3, v1
	v_sub_u32_e32 v5, 29, v6
	v_cmp_gt_u32_e64 s[8:9], 8, v1
	v_cndmask_b32_e64 v1, v3, v5, s[8:9]
	v_mov_b32_e32 v0, 0x2000
	v_and_b32_e32 v4, 7, v4
	v_lshlrev_b32_e32 v3, 8, v36
	v_lshl_add_u32 v1, v1, 10, v0
	v_cndmask_b32_e64 v2, v2, v4, s[8:9]
	v_and_or_b32 v1, v3, s41, v1
	v_lshl_or_b32 v1, v2, 7, v1
	v_cvt_f32_f16_e32 v46, v1
.LBB304_134:                            ;   in Loop: Header=BB304_13 Depth=1
	s_or_b64 exec, exec, s[36:37]
	v_mov_b32_e32 v1, 0
.LBB304_135:                            ;   in Loop: Header=BB304_13 Depth=1
	s_or_b64 exec, exec, s[34:35]
.LBB304_136:                            ;   in Loop: Header=BB304_13 Depth=1
	s_or_b64 exec, exec, s[30:31]
	flat_load_dword v36, v[34:35] offset:1032
	v_mov_b32_e32 v23, 0
	v_mov_b32_e32 v43, 0
	s_waitcnt vmcnt(0) lgkmcnt(0)
	v_cmp_ne_u16_sdwa s[8:9], v36, v1 src0_sel:BYTE_0 src1_sel:DWORD
	s_and_saveexec_b64 s[30:31], s[8:9]
	s_cbranch_execz .LBB304_142
; %bb.137:                              ;   in Loop: Header=BB304_13 Depth=1
	v_cmp_ne_u16_sdwa s[8:9], v36, s39 src0_sel:BYTE_0 src1_sel:DWORD
	v_bfrev_b32_e32 v43, 1
	s_and_saveexec_b64 s[34:35], s[8:9]
	s_cbranch_execz .LBB304_141
; %bb.138:                              ;   in Loop: Header=BB304_13 Depth=1
	v_and_b32_e32 v1, 0x7f, v36
	v_cmp_ne_u32_e64 s[8:9], s40, v1
	v_mov_b32_e32 v43, 0x7fc02000
	s_and_saveexec_b64 s[36:37], s[8:9]
	s_cbranch_execz .LBB304_140
; %bb.139:                              ;   in Loop: Header=BB304_13 Depth=1
	v_and_b32_e32 v2, 7, v36
	v_ffbh_u32_e32 v4, v2
	v_min_u32_e32 v6, 32, v4
	v_subrev_u32_e32 v4, 28, v6
	v_lshlrev_b64 v[4:5], v4, v[36:37]
	v_lshrrev_b32_e32 v3, 3, v1
	v_sub_u32_e32 v5, 29, v6
	v_cmp_gt_u32_e64 s[8:9], 8, v1
	v_cndmask_b32_e64 v1, v3, v5, s[8:9]
	v_mov_b32_e32 v0, 0x2000
	v_and_b32_e32 v4, 7, v4
	v_lshlrev_b32_e32 v3, 8, v36
	v_lshl_add_u32 v1, v1, 10, v0
	v_cndmask_b32_e64 v2, v2, v4, s[8:9]
	v_and_or_b32 v1, v3, s41, v1
	v_lshl_or_b32 v1, v2, 7, v1
	v_cvt_f32_f16_e32 v43, v1
.LBB304_140:                            ;   in Loop: Header=BB304_13 Depth=1
	s_or_b64 exec, exec, s[36:37]
	v_mov_b32_e32 v1, 0
.LBB304_141:                            ;   in Loop: Header=BB304_13 Depth=1
	s_or_b64 exec, exec, s[34:35]
.LBB304_142:                            ;   in Loop: Header=BB304_13 Depth=1
	s_or_b64 exec, exec, s[30:31]
	v_lshrrev_b16_e32 v38, 8, v36
	v_cmp_ne_u16_e64 s[8:9], 0, v38
	s_and_saveexec_b64 s[30:31], s[8:9]
	s_cbranch_execz .LBB304_148
; %bb.143:                              ;   in Loop: Header=BB304_13 Depth=1
	v_cmp_ne_u16_e64 s[8:9], s39, v38
	v_bfrev_b32_e32 v23, 1
	s_and_saveexec_b64 s[34:35], s[8:9]
	s_cbranch_execz .LBB304_147
; %bb.144:                              ;   in Loop: Header=BB304_13 Depth=1
	v_and_b32_e32 v1, 0x7f, v38
	v_cmp_ne_u32_e64 s[8:9], s40, v1
	v_mov_b32_e32 v23, 0x7fc02000
	s_and_saveexec_b64 s[36:37], s[8:9]
	s_cbranch_execz .LBB304_146
; %bb.145:                              ;   in Loop: Header=BB304_13 Depth=1
	v_and_b32_e32 v2, 7, v38
	v_ffbh_u32_e32 v4, v2
	v_min_u32_e32 v6, 32, v4
	v_subrev_u32_e32 v4, 28, v6
	v_lshlrev_b64 v[4:5], v4, v[38:39]
	v_lshrrev_b32_e32 v3, 3, v1
	v_sub_u32_e32 v5, 29, v6
	v_cmp_gt_u32_e64 s[8:9], 8, v1
	v_cndmask_b32_e64 v1, v3, v5, s[8:9]
	v_mov_b32_e32 v0, 0x2000
	v_and_b32_e32 v4, 7, v4
	v_lshlrev_b32_e32 v3, 8, v38
	v_lshl_add_u32 v1, v1, 10, v0
	v_cndmask_b32_e64 v2, v2, v4, s[8:9]
	v_and_or_b32 v1, v3, s41, v1
	v_lshl_or_b32 v1, v2, 7, v1
	v_cvt_f32_f16_e32 v23, v1
.LBB304_146:                            ;   in Loop: Header=BB304_13 Depth=1
	s_or_b64 exec, exec, s[36:37]
	v_mov_b32_e32 v1, 0
.LBB304_147:                            ;   in Loop: Header=BB304_13 Depth=1
	s_or_b64 exec, exec, s[34:35]
.LBB304_148:                            ;   in Loop: Header=BB304_13 Depth=1
	s_or_b64 exec, exec, s[30:31]
	v_lshrrev_b32_e32 v38, 16, v36
	v_cmp_ne_u16_sdwa s[8:9], v38, v1 src0_sel:BYTE_0 src1_sel:DWORD
	v_mov_b32_e32 v14, 0
	v_mov_b32_e32 v17, 0
	s_and_saveexec_b64 s[30:31], s[8:9]
	s_cbranch_execz .LBB304_154
; %bb.149:                              ;   in Loop: Header=BB304_13 Depth=1
	v_cmp_ne_u16_sdwa s[8:9], v38, s39 src0_sel:BYTE_0 src1_sel:DWORD
	v_bfrev_b32_e32 v17, 1
	s_and_saveexec_b64 s[34:35], s[8:9]
	s_cbranch_execz .LBB304_153
; %bb.150:                              ;   in Loop: Header=BB304_13 Depth=1
	v_bfe_u32 v1, v36, 16, 7
	v_cmp_ne_u32_e64 s[8:9], s40, v1
	v_mov_b32_e32 v17, 0x7fc02000
	s_and_saveexec_b64 s[36:37], s[8:9]
	s_cbranch_execz .LBB304_152
; %bb.151:                              ;   in Loop: Header=BB304_13 Depth=1
	v_and_b32_e32 v2, 7, v38
	v_ffbh_u32_e32 v4, v2
	v_min_u32_e32 v6, 32, v4
	v_subrev_u32_e32 v4, 28, v6
	v_lshlrev_b64 v[4:5], v4, v[38:39]
	v_lshrrev_b32_e32 v3, 3, v1
	v_sub_u32_e32 v5, 29, v6
	v_cmp_gt_u32_e64 s[8:9], 8, v1
	v_cndmask_b32_e64 v1, v3, v5, s[8:9]
	v_mov_b32_e32 v0, 0x2000
	v_and_b32_e32 v4, 7, v4
	v_lshlrev_b32_e32 v3, 8, v38
	v_lshl_add_u32 v1, v1, 10, v0
	v_cndmask_b32_e64 v2, v2, v4, s[8:9]
	v_and_or_b32 v1, v3, s41, v1
	v_lshl_or_b32 v1, v2, 7, v1
	v_cvt_f32_f16_e32 v17, v1
.LBB304_152:                            ;   in Loop: Header=BB304_13 Depth=1
	s_or_b64 exec, exec, s[36:37]
	v_mov_b32_e32 v1, 0
.LBB304_153:                            ;   in Loop: Header=BB304_13 Depth=1
	s_or_b64 exec, exec, s[34:35]
.LBB304_154:                            ;   in Loop: Header=BB304_13 Depth=1
	s_or_b64 exec, exec, s[30:31]
	v_cmp_lt_u32_e64 s[8:9], s42, v36
	s_and_saveexec_b64 s[30:31], s[8:9]
	s_cbranch_execz .LBB304_160
; %bb.155:                              ;   in Loop: Header=BB304_13 Depth=1
	v_lshrrev_b32_e32 v36, 24, v36
	v_cmp_ne_u32_e64 s[8:9], s39, v36
	v_bfrev_b32_e32 v14, 1
	s_and_saveexec_b64 s[34:35], s[8:9]
	s_cbranch_execz .LBB304_159
; %bb.156:                              ;   in Loop: Header=BB304_13 Depth=1
	v_and_b32_e32 v1, 0x7f, v36
	v_cmp_ne_u32_e64 s[8:9], s40, v1
	v_mov_b32_e32 v14, 0x7fc02000
	s_and_saveexec_b64 s[36:37], s[8:9]
	s_cbranch_execz .LBB304_158
; %bb.157:                              ;   in Loop: Header=BB304_13 Depth=1
	v_and_b32_e32 v2, 7, v36
	v_ffbh_u32_e32 v4, v2
	v_min_u32_e32 v6, 32, v4
	v_subrev_u32_e32 v4, 28, v6
	v_lshlrev_b64 v[4:5], v4, v[36:37]
	v_lshrrev_b32_e32 v3, 3, v1
	v_sub_u32_e32 v5, 29, v6
	v_cmp_gt_u32_e64 s[8:9], 8, v1
	v_cndmask_b32_e64 v1, v3, v5, s[8:9]
	v_mov_b32_e32 v0, 0x2000
	v_and_b32_e32 v4, 7, v4
	v_lshlrev_b32_e32 v3, 8, v36
	v_lshl_add_u32 v1, v1, 10, v0
	v_cndmask_b32_e64 v2, v2, v4, s[8:9]
	v_and_or_b32 v1, v3, s41, v1
	v_lshl_or_b32 v1, v2, 7, v1
	v_cvt_f32_f16_e32 v14, v1
.LBB304_158:                            ;   in Loop: Header=BB304_13 Depth=1
	s_or_b64 exec, exec, s[36:37]
	v_mov_b32_e32 v1, 0
.LBB304_159:                            ;   in Loop: Header=BB304_13 Depth=1
	s_or_b64 exec, exec, s[34:35]
.LBB304_160:                            ;   in Loop: Header=BB304_13 Depth=1
	s_or_b64 exec, exec, s[30:31]
	flat_load_dword v36, v[34:35] offset:1536
	v_mov_b32_e32 v12, 0
	v_mov_b32_e32 v56, 0
	s_waitcnt vmcnt(0) lgkmcnt(0)
	v_cmp_ne_u16_sdwa s[8:9], v36, v1 src0_sel:BYTE_0 src1_sel:DWORD
	s_and_saveexec_b64 s[30:31], s[8:9]
	s_cbranch_execz .LBB304_166
; %bb.161:                              ;   in Loop: Header=BB304_13 Depth=1
	v_cmp_ne_u16_sdwa s[8:9], v36, s39 src0_sel:BYTE_0 src1_sel:DWORD
	v_bfrev_b32_e32 v56, 1
	s_and_saveexec_b64 s[34:35], s[8:9]
	s_cbranch_execz .LBB304_165
; %bb.162:                              ;   in Loop: Header=BB304_13 Depth=1
	v_and_b32_e32 v1, 0x7f, v36
	v_cmp_ne_u32_e64 s[8:9], s40, v1
	v_mov_b32_e32 v56, 0x7fc02000
	s_and_saveexec_b64 s[36:37], s[8:9]
	s_cbranch_execz .LBB304_164
; %bb.163:                              ;   in Loop: Header=BB304_13 Depth=1
	v_and_b32_e32 v2, 7, v36
	v_ffbh_u32_e32 v4, v2
	v_min_u32_e32 v6, 32, v4
	v_subrev_u32_e32 v4, 28, v6
	v_lshlrev_b64 v[4:5], v4, v[36:37]
	v_lshrrev_b32_e32 v3, 3, v1
	v_sub_u32_e32 v5, 29, v6
	v_cmp_gt_u32_e64 s[8:9], 8, v1
	v_cndmask_b32_e64 v1, v3, v5, s[8:9]
	v_mov_b32_e32 v0, 0x2000
	v_and_b32_e32 v4, 7, v4
	v_lshlrev_b32_e32 v3, 8, v36
	v_lshl_add_u32 v1, v1, 10, v0
	v_cndmask_b32_e64 v2, v2, v4, s[8:9]
	v_and_or_b32 v1, v3, s41, v1
	v_lshl_or_b32 v1, v2, 7, v1
	v_cvt_f32_f16_e32 v56, v1
.LBB304_164:                            ;   in Loop: Header=BB304_13 Depth=1
	s_or_b64 exec, exec, s[36:37]
	v_mov_b32_e32 v1, 0
.LBB304_165:                            ;   in Loop: Header=BB304_13 Depth=1
	s_or_b64 exec, exec, s[34:35]
.LBB304_166:                            ;   in Loop: Header=BB304_13 Depth=1
	s_or_b64 exec, exec, s[30:31]
	v_lshrrev_b16_e32 v38, 8, v36
	v_cmp_ne_u16_e64 s[8:9], 0, v38
	s_and_saveexec_b64 s[30:31], s[8:9]
	s_cbranch_execz .LBB304_172
; %bb.167:                              ;   in Loop: Header=BB304_13 Depth=1
	v_cmp_ne_u16_e64 s[8:9], s39, v38
	v_bfrev_b32_e32 v12, 1
	s_and_saveexec_b64 s[34:35], s[8:9]
	s_cbranch_execz .LBB304_171
; %bb.168:                              ;   in Loop: Header=BB304_13 Depth=1
	v_and_b32_e32 v1, 0x7f, v38
	v_cmp_ne_u32_e64 s[8:9], s40, v1
	v_mov_b32_e32 v12, 0x7fc02000
	s_and_saveexec_b64 s[36:37], s[8:9]
	s_cbranch_execz .LBB304_170
; %bb.169:                              ;   in Loop: Header=BB304_13 Depth=1
	v_and_b32_e32 v2, 7, v38
	v_ffbh_u32_e32 v4, v2
	v_min_u32_e32 v6, 32, v4
	v_subrev_u32_e32 v4, 28, v6
	v_lshlrev_b64 v[4:5], v4, v[38:39]
	v_lshrrev_b32_e32 v3, 3, v1
	v_sub_u32_e32 v5, 29, v6
	v_cmp_gt_u32_e64 s[8:9], 8, v1
	v_cndmask_b32_e64 v1, v3, v5, s[8:9]
	v_mov_b32_e32 v0, 0x2000
	v_and_b32_e32 v4, 7, v4
	v_lshlrev_b32_e32 v3, 8, v38
	v_lshl_add_u32 v1, v1, 10, v0
	v_cndmask_b32_e64 v2, v2, v4, s[8:9]
	v_and_or_b32 v1, v3, s41, v1
	v_lshl_or_b32 v1, v2, 7, v1
	v_cvt_f32_f16_e32 v12, v1
.LBB304_170:                            ;   in Loop: Header=BB304_13 Depth=1
	s_or_b64 exec, exec, s[36:37]
	v_mov_b32_e32 v1, 0
.LBB304_171:                            ;   in Loop: Header=BB304_13 Depth=1
	s_or_b64 exec, exec, s[34:35]
.LBB304_172:                            ;   in Loop: Header=BB304_13 Depth=1
	s_or_b64 exec, exec, s[30:31]
	v_lshrrev_b32_e32 v38, 16, v36
	v_cmp_ne_u16_sdwa s[8:9], v38, v1 src0_sel:BYTE_0 src1_sel:DWORD
	v_mov_b32_e32 v16, 0
	v_mov_b32_e32 v37, 0
	s_and_saveexec_b64 s[30:31], s[8:9]
	s_cbranch_execz .LBB304_178
; %bb.173:                              ;   in Loop: Header=BB304_13 Depth=1
	v_cmp_ne_u16_sdwa s[8:9], v38, s39 src0_sel:BYTE_0 src1_sel:DWORD
	v_bfrev_b32_e32 v37, 1
	s_and_saveexec_b64 s[34:35], s[8:9]
	s_cbranch_execz .LBB304_177
; %bb.174:                              ;   in Loop: Header=BB304_13 Depth=1
	v_bfe_u32 v1, v36, 16, 7
	v_cmp_ne_u32_e64 s[8:9], s40, v1
	v_mov_b32_e32 v37, 0x7fc02000
	s_and_saveexec_b64 s[36:37], s[8:9]
	s_cbranch_execz .LBB304_176
; %bb.175:                              ;   in Loop: Header=BB304_13 Depth=1
	v_and_b32_e32 v2, 7, v38
	v_ffbh_u32_e32 v4, v2
	v_min_u32_e32 v6, 32, v4
	v_subrev_u32_e32 v4, 28, v6
	v_lshlrev_b64 v[4:5], v4, v[38:39]
	v_lshrrev_b32_e32 v3, 3, v1
	v_sub_u32_e32 v5, 29, v6
	v_cmp_gt_u32_e64 s[8:9], 8, v1
	v_cndmask_b32_e64 v1, v3, v5, s[8:9]
	v_mov_b32_e32 v0, 0x2000
	v_and_b32_e32 v4, 7, v4
	v_lshlrev_b32_e32 v3, 8, v38
	v_lshl_add_u32 v1, v1, 10, v0
	v_cndmask_b32_e64 v2, v2, v4, s[8:9]
	v_and_or_b32 v1, v3, s41, v1
	v_lshl_or_b32 v1, v2, 7, v1
	v_cvt_f32_f16_e32 v37, v1
.LBB304_176:                            ;   in Loop: Header=BB304_13 Depth=1
	s_or_b64 exec, exec, s[36:37]
	v_mov_b32_e32 v1, 0
.LBB304_177:                            ;   in Loop: Header=BB304_13 Depth=1
	s_or_b64 exec, exec, s[34:35]
.LBB304_178:                            ;   in Loop: Header=BB304_13 Depth=1
	s_or_b64 exec, exec, s[30:31]
	v_cmp_lt_u32_e64 s[8:9], s42, v36
	s_and_saveexec_b64 s[30:31], s[8:9]
	s_cbranch_execz .LBB304_184
; %bb.179:                              ;   in Loop: Header=BB304_13 Depth=1
	v_lshrrev_b32_e32 v36, 24, v36
	v_cmp_ne_u32_e64 s[8:9], s39, v36
	v_bfrev_b32_e32 v16, 1
	s_and_saveexec_b64 s[34:35], s[8:9]
	s_cbranch_execz .LBB304_183
; %bb.180:                              ;   in Loop: Header=BB304_13 Depth=1
	v_and_b32_e32 v1, 0x7f, v36
	v_cmp_ne_u32_e64 s[8:9], s40, v1
	v_mov_b32_e32 v16, 0x7fc02000
	s_and_saveexec_b64 s[36:37], s[8:9]
	s_cbranch_execz .LBB304_182
; %bb.181:                              ;   in Loop: Header=BB304_13 Depth=1
	v_and_b32_e32 v2, 7, v36
	v_ffbh_u32_e32 v4, v2
	v_min_u32_e32 v6, 32, v4
	v_subrev_u32_e32 v4, 28, v6
	v_lshlrev_b64 v[4:5], v4, v[36:37]
	v_lshrrev_b32_e32 v3, 3, v1
	v_sub_u32_e32 v5, 29, v6
	v_cmp_gt_u32_e64 s[8:9], 8, v1
	v_cndmask_b32_e64 v1, v3, v5, s[8:9]
	v_mov_b32_e32 v0, 0x2000
	v_and_b32_e32 v4, 7, v4
	v_lshlrev_b32_e32 v3, 8, v36
	v_lshl_add_u32 v1, v1, 10, v0
	v_cndmask_b32_e64 v2, v2, v4, s[8:9]
	v_and_or_b32 v1, v3, s41, v1
	v_lshl_or_b32 v1, v2, 7, v1
	v_cvt_f32_f16_e32 v16, v1
.LBB304_182:                            ;   in Loop: Header=BB304_13 Depth=1
	s_or_b64 exec, exec, s[36:37]
	v_mov_b32_e32 v1, 0
.LBB304_183:                            ;   in Loop: Header=BB304_13 Depth=1
	s_or_b64 exec, exec, s[34:35]
.LBB304_184:                            ;   in Loop: Header=BB304_13 Depth=1
	s_or_b64 exec, exec, s[30:31]
	flat_load_dword v36, v[34:35] offset:1544
	v_mov_b32_e32 v55, 0
	v_mov_b32_e32 v13, 0
	s_waitcnt vmcnt(0) lgkmcnt(0)
	v_cmp_ne_u16_sdwa s[8:9], v36, v1 src0_sel:BYTE_0 src1_sel:DWORD
	s_and_saveexec_b64 s[30:31], s[8:9]
	s_cbranch_execz .LBB304_190
; %bb.185:                              ;   in Loop: Header=BB304_13 Depth=1
	v_cmp_ne_u16_sdwa s[8:9], v36, s39 src0_sel:BYTE_0 src1_sel:DWORD
	v_bfrev_b32_e32 v13, 1
	s_and_saveexec_b64 s[34:35], s[8:9]
	s_cbranch_execz .LBB304_189
; %bb.186:                              ;   in Loop: Header=BB304_13 Depth=1
	v_and_b32_e32 v1, 0x7f, v36
	v_cmp_ne_u32_e64 s[8:9], s40, v1
	v_mov_b32_e32 v13, 0x7fc02000
	s_and_saveexec_b64 s[36:37], s[8:9]
	s_cbranch_execz .LBB304_188
; %bb.187:                              ;   in Loop: Header=BB304_13 Depth=1
	v_and_b32_e32 v2, 7, v36
	v_ffbh_u32_e32 v4, v2
	v_min_u32_e32 v6, 32, v4
	v_subrev_u32_e32 v4, 28, v6
	v_lshlrev_b64 v[4:5], v4, v[36:37]
	v_lshrrev_b32_e32 v3, 3, v1
	v_sub_u32_e32 v5, 29, v6
	v_cmp_gt_u32_e64 s[8:9], 8, v1
	v_cndmask_b32_e64 v1, v3, v5, s[8:9]
	v_mov_b32_e32 v0, 0x2000
	v_and_b32_e32 v4, 7, v4
	v_lshlrev_b32_e32 v3, 8, v36
	v_lshl_add_u32 v1, v1, 10, v0
	v_cndmask_b32_e64 v2, v2, v4, s[8:9]
	v_and_or_b32 v1, v3, s41, v1
	v_lshl_or_b32 v1, v2, 7, v1
	v_cvt_f32_f16_e32 v13, v1
.LBB304_188:                            ;   in Loop: Header=BB304_13 Depth=1
	s_or_b64 exec, exec, s[36:37]
	v_mov_b32_e32 v1, 0
.LBB304_189:                            ;   in Loop: Header=BB304_13 Depth=1
	s_or_b64 exec, exec, s[34:35]
.LBB304_190:                            ;   in Loop: Header=BB304_13 Depth=1
	s_or_b64 exec, exec, s[30:31]
	v_lshrrev_b16_e32 v38, 8, v36
	v_cmp_ne_u16_e64 s[8:9], 0, v38
	s_and_saveexec_b64 s[30:31], s[8:9]
	s_cbranch_execz .LBB304_196
; %bb.191:                              ;   in Loop: Header=BB304_13 Depth=1
	v_cmp_ne_u16_e64 s[8:9], s39, v38
	v_bfrev_b32_e32 v55, 1
	s_and_saveexec_b64 s[34:35], s[8:9]
	s_cbranch_execz .LBB304_195
; %bb.192:                              ;   in Loop: Header=BB304_13 Depth=1
	v_and_b32_e32 v1, 0x7f, v38
	v_cmp_ne_u32_e64 s[8:9], s40, v1
	v_mov_b32_e32 v55, 0x7fc02000
	s_and_saveexec_b64 s[36:37], s[8:9]
	s_cbranch_execz .LBB304_194
; %bb.193:                              ;   in Loop: Header=BB304_13 Depth=1
	v_and_b32_e32 v2, 7, v38
	v_lshrrev_b32_e32 v3, 3, v1
	v_cmp_gt_u32_e64 s[8:9], 8, v1
	v_ffbh_u32_e32 v1, v2
	v_min_u32_e32 v1, 32, v1
	v_subrev_u32_e32 v4, 28, v1
	v_sub_u32_e32 v1, 29, v1
	v_lshlrev_b64 v[4:5], v4, v[38:39]
	v_cndmask_b32_e64 v1, v3, v1, s[8:9]
	v_mov_b32_e32 v0, 0x2000
	v_and_b32_e32 v4, 7, v4
	v_lshlrev_b32_e32 v3, 8, v38
	v_lshl_add_u32 v1, v1, 10, v0
	v_cndmask_b32_e64 v2, v2, v4, s[8:9]
	v_and_or_b32 v1, v3, s41, v1
	v_lshl_or_b32 v1, v2, 7, v1
	v_cvt_f32_f16_e32 v55, v1
.LBB304_194:                            ;   in Loop: Header=BB304_13 Depth=1
	s_or_b64 exec, exec, s[36:37]
	v_mov_b32_e32 v1, 0
.LBB304_195:                            ;   in Loop: Header=BB304_13 Depth=1
	s_or_b64 exec, exec, s[34:35]
.LBB304_196:                            ;   in Loop: Header=BB304_13 Depth=1
	s_or_b64 exec, exec, s[30:31]
	v_lshrrev_b32_e32 v38, 16, v36
	v_cmp_ne_u16_sdwa s[8:9], v38, v1 src0_sel:BYTE_0 src1_sel:DWORD
	v_mov_b32_e32 v53, 0
	v_mov_b32_e32 v54, 0
	s_and_saveexec_b64 s[30:31], s[8:9]
	s_cbranch_execz .LBB304_202
; %bb.197:                              ;   in Loop: Header=BB304_13 Depth=1
	v_cmp_ne_u16_sdwa s[8:9], v38, s39 src0_sel:BYTE_0 src1_sel:DWORD
	v_bfrev_b32_e32 v54, 1
	s_and_saveexec_b64 s[34:35], s[8:9]
	s_cbranch_execz .LBB304_201
; %bb.198:                              ;   in Loop: Header=BB304_13 Depth=1
	v_bfe_u32 v1, v36, 16, 7
	v_cmp_ne_u32_e64 s[8:9], s40, v1
	v_mov_b32_e32 v54, 0x7fc02000
	s_and_saveexec_b64 s[36:37], s[8:9]
	s_cbranch_execz .LBB304_200
; %bb.199:                              ;   in Loop: Header=BB304_13 Depth=1
	v_and_b32_e32 v2, 7, v38
	v_ffbh_u32_e32 v4, v2
	v_min_u32_e32 v6, 32, v4
	v_subrev_u32_e32 v4, 28, v6
	v_lshlrev_b64 v[4:5], v4, v[38:39]
	v_lshrrev_b32_e32 v3, 3, v1
	v_sub_u32_e32 v5, 29, v6
	v_cmp_gt_u32_e64 s[8:9], 8, v1
	v_cndmask_b32_e64 v1, v3, v5, s[8:9]
	v_mov_b32_e32 v0, 0x2000
	v_and_b32_e32 v4, 7, v4
	v_lshlrev_b32_e32 v3, 8, v38
	v_lshl_add_u32 v1, v1, 10, v0
	v_cndmask_b32_e64 v2, v2, v4, s[8:9]
	v_and_or_b32 v1, v3, s41, v1
	v_lshl_or_b32 v1, v2, 7, v1
	v_cvt_f32_f16_e32 v54, v1
.LBB304_200:                            ;   in Loop: Header=BB304_13 Depth=1
	s_or_b64 exec, exec, s[36:37]
	v_mov_b32_e32 v1, 0
.LBB304_201:                            ;   in Loop: Header=BB304_13 Depth=1
	s_or_b64 exec, exec, s[34:35]
.LBB304_202:                            ;   in Loop: Header=BB304_13 Depth=1
	s_or_b64 exec, exec, s[30:31]
	v_cmp_lt_u32_e64 s[8:9], s42, v36
	s_and_saveexec_b64 s[30:31], s[8:9]
	s_cbranch_execz .LBB304_208
; %bb.203:                              ;   in Loop: Header=BB304_13 Depth=1
	v_lshrrev_b32_e32 v36, 24, v36
	v_cmp_ne_u32_e64 s[8:9], s39, v36
	v_bfrev_b32_e32 v53, 1
	s_and_saveexec_b64 s[34:35], s[8:9]
	s_cbranch_execz .LBB304_207
; %bb.204:                              ;   in Loop: Header=BB304_13 Depth=1
	v_and_b32_e32 v1, 0x7f, v36
	v_cmp_ne_u32_e64 s[8:9], s40, v1
	v_mov_b32_e32 v53, 0x7fc02000
	s_and_saveexec_b64 s[36:37], s[8:9]
	s_cbranch_execz .LBB304_206
; %bb.205:                              ;   in Loop: Header=BB304_13 Depth=1
	v_and_b32_e32 v2, 7, v36
	v_ffbh_u32_e32 v4, v2
	v_min_u32_e32 v6, 32, v4
	v_subrev_u32_e32 v4, 28, v6
	v_lshlrev_b64 v[4:5], v4, v[36:37]
	v_lshrrev_b32_e32 v3, 3, v1
	v_sub_u32_e32 v5, 29, v6
	v_cmp_gt_u32_e64 s[8:9], 8, v1
	v_cndmask_b32_e64 v1, v3, v5, s[8:9]
	v_mov_b32_e32 v0, 0x2000
	v_and_b32_e32 v4, 7, v4
	v_lshlrev_b32_e32 v3, 8, v36
	v_lshl_add_u32 v1, v1, 10, v0
	v_cndmask_b32_e64 v2, v2, v4, s[8:9]
	v_and_or_b32 v1, v3, s41, v1
	v_lshl_or_b32 v1, v2, 7, v1
	v_cvt_f32_f16_e32 v53, v1
.LBB304_206:                            ;   in Loop: Header=BB304_13 Depth=1
	s_or_b64 exec, exec, s[36:37]
	v_mov_b32_e32 v1, 0
.LBB304_207:                            ;   in Loop: Header=BB304_13 Depth=1
	s_or_b64 exec, exec, s[34:35]
.LBB304_208:                            ;   in Loop: Header=BB304_13 Depth=1
	s_or_b64 exec, exec, s[30:31]
	flat_load_dword v36, v[34:35] offset:2048
	v_mov_b32_e32 v7, 0
	v_mov_b32_e32 v28, 0
	s_waitcnt vmcnt(0) lgkmcnt(0)
	v_cmp_ne_u16_sdwa s[8:9], v36, v1 src0_sel:BYTE_0 src1_sel:DWORD
	s_and_saveexec_b64 s[30:31], s[8:9]
	s_cbranch_execz .LBB304_214
; %bb.209:                              ;   in Loop: Header=BB304_13 Depth=1
	v_cmp_ne_u16_sdwa s[8:9], v36, s39 src0_sel:BYTE_0 src1_sel:DWORD
	v_bfrev_b32_e32 v28, 1
	s_and_saveexec_b64 s[34:35], s[8:9]
	s_cbranch_execz .LBB304_213
; %bb.210:                              ;   in Loop: Header=BB304_13 Depth=1
	v_and_b32_e32 v1, 0x7f, v36
	v_cmp_ne_u32_e64 s[8:9], s40, v1
	v_mov_b32_e32 v28, 0x7fc02000
	s_and_saveexec_b64 s[36:37], s[8:9]
	s_cbranch_execz .LBB304_212
; %bb.211:                              ;   in Loop: Header=BB304_13 Depth=1
	v_and_b32_e32 v2, 7, v36
	v_ffbh_u32_e32 v4, v2
	v_min_u32_e32 v6, 32, v4
	v_subrev_u32_e32 v4, 28, v6
	v_lshlrev_b64 v[4:5], v4, v[36:37]
	v_lshrrev_b32_e32 v3, 3, v1
	v_sub_u32_e32 v5, 29, v6
	v_cmp_gt_u32_e64 s[8:9], 8, v1
	v_cndmask_b32_e64 v1, v3, v5, s[8:9]
	v_mov_b32_e32 v0, 0x2000
	v_and_b32_e32 v4, 7, v4
	v_lshlrev_b32_e32 v3, 8, v36
	v_lshl_add_u32 v1, v1, 10, v0
	v_cndmask_b32_e64 v2, v2, v4, s[8:9]
	v_and_or_b32 v1, v3, s41, v1
	v_lshl_or_b32 v1, v2, 7, v1
	v_cvt_f32_f16_e32 v28, v1
.LBB304_212:                            ;   in Loop: Header=BB304_13 Depth=1
	s_or_b64 exec, exec, s[36:37]
	v_mov_b32_e32 v1, 0
.LBB304_213:                            ;   in Loop: Header=BB304_13 Depth=1
	s_or_b64 exec, exec, s[34:35]
.LBB304_214:                            ;   in Loop: Header=BB304_13 Depth=1
	s_or_b64 exec, exec, s[30:31]
	v_lshrrev_b16_e32 v38, 8, v36
	v_cmp_ne_u16_e64 s[8:9], 0, v38
	s_and_saveexec_b64 s[30:31], s[8:9]
	s_cbranch_execz .LBB304_220
; %bb.215:                              ;   in Loop: Header=BB304_13 Depth=1
	v_cmp_ne_u16_e64 s[8:9], s39, v38
	v_bfrev_b32_e32 v7, 1
	s_and_saveexec_b64 s[34:35], s[8:9]
	s_cbranch_execz .LBB304_219
; %bb.216:                              ;   in Loop: Header=BB304_13 Depth=1
	v_and_b32_e32 v1, 0x7f, v38
	v_cmp_ne_u32_e64 s[8:9], s40, v1
	v_mov_b32_e32 v7, 0x7fc02000
	s_and_saveexec_b64 s[36:37], s[8:9]
	s_cbranch_execz .LBB304_218
; %bb.217:                              ;   in Loop: Header=BB304_13 Depth=1
	v_and_b32_e32 v2, 7, v38
	v_ffbh_u32_e32 v4, v2
	v_min_u32_e32 v6, 32, v4
	v_subrev_u32_e32 v4, 28, v6
	v_lshlrev_b64 v[4:5], v4, v[38:39]
	v_lshrrev_b32_e32 v3, 3, v1
	v_sub_u32_e32 v5, 29, v6
	v_cmp_gt_u32_e64 s[8:9], 8, v1
	v_cndmask_b32_e64 v1, v3, v5, s[8:9]
	v_mov_b32_e32 v0, 0x2000
	v_and_b32_e32 v4, 7, v4
	v_lshlrev_b32_e32 v3, 8, v38
	v_lshl_add_u32 v1, v1, 10, v0
	v_cndmask_b32_e64 v2, v2, v4, s[8:9]
	v_and_or_b32 v1, v3, s41, v1
	v_lshl_or_b32 v1, v2, 7, v1
	v_cvt_f32_f16_e32 v7, v1
.LBB304_218:                            ;   in Loop: Header=BB304_13 Depth=1
	s_or_b64 exec, exec, s[36:37]
	v_mov_b32_e32 v1, 0
.LBB304_219:                            ;   in Loop: Header=BB304_13 Depth=1
	s_or_b64 exec, exec, s[34:35]
.LBB304_220:                            ;   in Loop: Header=BB304_13 Depth=1
	s_or_b64 exec, exec, s[30:31]
	v_lshrrev_b32_e32 v38, 16, v36
	v_cmp_ne_u16_sdwa s[8:9], v38, v1 src0_sel:BYTE_0 src1_sel:DWORD
	v_mov_b32_e32 v8, 0
	v_mov_b32_e32 v9, 0
	s_and_saveexec_b64 s[30:31], s[8:9]
	s_cbranch_execz .LBB304_226
; %bb.221:                              ;   in Loop: Header=BB304_13 Depth=1
	v_cmp_ne_u16_sdwa s[8:9], v38, s39 src0_sel:BYTE_0 src1_sel:DWORD
	v_bfrev_b32_e32 v9, 1
	s_and_saveexec_b64 s[34:35], s[8:9]
	s_cbranch_execz .LBB304_225
; %bb.222:                              ;   in Loop: Header=BB304_13 Depth=1
	v_bfe_u32 v1, v36, 16, 7
	v_cmp_ne_u32_e64 s[8:9], s40, v1
	v_mov_b32_e32 v9, 0x7fc02000
	s_and_saveexec_b64 s[36:37], s[8:9]
	s_cbranch_execz .LBB304_224
; %bb.223:                              ;   in Loop: Header=BB304_13 Depth=1
	v_and_b32_e32 v2, 7, v38
	v_ffbh_u32_e32 v4, v2
	v_min_u32_e32 v6, 32, v4
	v_subrev_u32_e32 v4, 28, v6
	v_lshlrev_b64 v[4:5], v4, v[38:39]
	v_lshrrev_b32_e32 v3, 3, v1
	v_sub_u32_e32 v5, 29, v6
	v_cmp_gt_u32_e64 s[8:9], 8, v1
	v_cndmask_b32_e64 v1, v3, v5, s[8:9]
	v_mov_b32_e32 v0, 0x2000
	v_and_b32_e32 v4, 7, v4
	v_lshlrev_b32_e32 v3, 8, v38
	v_lshl_add_u32 v1, v1, 10, v0
	v_cndmask_b32_e64 v2, v2, v4, s[8:9]
	v_and_or_b32 v1, v3, s41, v1
	v_lshl_or_b32 v1, v2, 7, v1
	v_cvt_f32_f16_e32 v9, v1
.LBB304_224:                            ;   in Loop: Header=BB304_13 Depth=1
	s_or_b64 exec, exec, s[36:37]
	v_mov_b32_e32 v1, 0
.LBB304_225:                            ;   in Loop: Header=BB304_13 Depth=1
	s_or_b64 exec, exec, s[34:35]
.LBB304_226:                            ;   in Loop: Header=BB304_13 Depth=1
	s_or_b64 exec, exec, s[30:31]
	v_cmp_lt_u32_e64 s[8:9], s42, v36
	s_and_saveexec_b64 s[30:31], s[8:9]
	s_cbranch_execz .LBB304_232
; %bb.227:                              ;   in Loop: Header=BB304_13 Depth=1
	v_lshrrev_b32_e32 v36, 24, v36
	v_cmp_ne_u32_e64 s[8:9], s39, v36
	v_bfrev_b32_e32 v8, 1
	s_and_saveexec_b64 s[34:35], s[8:9]
	s_cbranch_execz .LBB304_231
; %bb.228:                              ;   in Loop: Header=BB304_13 Depth=1
	v_and_b32_e32 v1, 0x7f, v36
	v_cmp_ne_u32_e64 s[8:9], s40, v1
	v_mov_b32_e32 v8, 0x7fc02000
	s_and_saveexec_b64 s[36:37], s[8:9]
	s_cbranch_execz .LBB304_230
; %bb.229:                              ;   in Loop: Header=BB304_13 Depth=1
	v_and_b32_e32 v2, 7, v36
	v_ffbh_u32_e32 v4, v2
	v_min_u32_e32 v6, 32, v4
	v_subrev_u32_e32 v4, 28, v6
	v_lshlrev_b64 v[4:5], v4, v[36:37]
	v_lshrrev_b32_e32 v3, 3, v1
	v_sub_u32_e32 v5, 29, v6
	v_cmp_gt_u32_e64 s[8:9], 8, v1
	v_cndmask_b32_e64 v1, v3, v5, s[8:9]
	v_mov_b32_e32 v0, 0x2000
	v_and_b32_e32 v4, 7, v4
	v_lshlrev_b32_e32 v3, 8, v36
	v_lshl_add_u32 v1, v1, 10, v0
	v_cndmask_b32_e64 v2, v2, v4, s[8:9]
	v_and_or_b32 v1, v3, s41, v1
	v_lshl_or_b32 v1, v2, 7, v1
	v_cvt_f32_f16_e32 v8, v1
.LBB304_230:                            ;   in Loop: Header=BB304_13 Depth=1
	s_or_b64 exec, exec, s[36:37]
	v_mov_b32_e32 v1, 0
.LBB304_231:                            ;   in Loop: Header=BB304_13 Depth=1
	s_or_b64 exec, exec, s[34:35]
.LBB304_232:                            ;   in Loop: Header=BB304_13 Depth=1
	s_or_b64 exec, exec, s[30:31]
	flat_load_dword v36, v[34:35] offset:2056
	v_mov_b32_e32 v58, 0
	v_mov_b32_e32 v22, 0
	s_waitcnt vmcnt(0) lgkmcnt(0)
	v_cmp_ne_u16_sdwa s[8:9], v36, v1 src0_sel:BYTE_0 src1_sel:DWORD
	s_and_saveexec_b64 s[30:31], s[8:9]
	s_cbranch_execz .LBB304_238
; %bb.233:                              ;   in Loop: Header=BB304_13 Depth=1
	v_cmp_ne_u16_sdwa s[8:9], v36, s39 src0_sel:BYTE_0 src1_sel:DWORD
	v_bfrev_b32_e32 v22, 1
	s_and_saveexec_b64 s[34:35], s[8:9]
	s_cbranch_execz .LBB304_237
; %bb.234:                              ;   in Loop: Header=BB304_13 Depth=1
	v_and_b32_e32 v1, 0x7f, v36
	v_cmp_ne_u32_e64 s[8:9], s40, v1
	v_mov_b32_e32 v22, 0x7fc02000
	s_and_saveexec_b64 s[36:37], s[8:9]
	s_cbranch_execz .LBB304_236
; %bb.235:                              ;   in Loop: Header=BB304_13 Depth=1
	v_and_b32_e32 v2, 7, v36
	v_ffbh_u32_e32 v4, v2
	v_min_u32_e32 v6, 32, v4
	v_subrev_u32_e32 v4, 28, v6
	v_lshlrev_b64 v[4:5], v4, v[36:37]
	v_lshrrev_b32_e32 v3, 3, v1
	v_sub_u32_e32 v5, 29, v6
	v_cmp_gt_u32_e64 s[8:9], 8, v1
	v_cndmask_b32_e64 v1, v3, v5, s[8:9]
	v_mov_b32_e32 v0, 0x2000
	v_and_b32_e32 v4, 7, v4
	v_lshlrev_b32_e32 v3, 8, v36
	v_lshl_add_u32 v1, v1, 10, v0
	v_cndmask_b32_e64 v2, v2, v4, s[8:9]
	v_and_or_b32 v1, v3, s41, v1
	v_lshl_or_b32 v1, v2, 7, v1
	v_cvt_f32_f16_e32 v22, v1
.LBB304_236:                            ;   in Loop: Header=BB304_13 Depth=1
	s_or_b64 exec, exec, s[36:37]
	v_mov_b32_e32 v1, 0
.LBB304_237:                            ;   in Loop: Header=BB304_13 Depth=1
	s_or_b64 exec, exec, s[34:35]
.LBB304_238:                            ;   in Loop: Header=BB304_13 Depth=1
	s_or_b64 exec, exec, s[30:31]
	v_lshrrev_b16_e32 v38, 8, v36
	v_cmp_ne_u16_e64 s[8:9], 0, v38
	s_and_saveexec_b64 s[30:31], s[8:9]
	s_cbranch_execz .LBB304_244
; %bb.239:                              ;   in Loop: Header=BB304_13 Depth=1
	v_cmp_ne_u16_e64 s[8:9], s39, v38
	v_bfrev_b32_e32 v58, 1
	s_and_saveexec_b64 s[34:35], s[8:9]
	s_cbranch_execz .LBB304_243
; %bb.240:                              ;   in Loop: Header=BB304_13 Depth=1
	v_and_b32_e32 v1, 0x7f, v38
	v_cmp_ne_u32_e64 s[8:9], s40, v1
	v_mov_b32_e32 v58, 0x7fc02000
	s_and_saveexec_b64 s[36:37], s[8:9]
	s_cbranch_execz .LBB304_242
; %bb.241:                              ;   in Loop: Header=BB304_13 Depth=1
	v_and_b32_e32 v2, 7, v38
	v_ffbh_u32_e32 v4, v2
	v_min_u32_e32 v6, 32, v4
	v_subrev_u32_e32 v4, 28, v6
	v_lshlrev_b64 v[4:5], v4, v[38:39]
	v_lshrrev_b32_e32 v3, 3, v1
	v_sub_u32_e32 v5, 29, v6
	v_cmp_gt_u32_e64 s[8:9], 8, v1
	v_cndmask_b32_e64 v1, v3, v5, s[8:9]
	v_mov_b32_e32 v0, 0x2000
	v_and_b32_e32 v4, 7, v4
	v_lshlrev_b32_e32 v3, 8, v38
	v_lshl_add_u32 v1, v1, 10, v0
	v_cndmask_b32_e64 v2, v2, v4, s[8:9]
	v_and_or_b32 v1, v3, s41, v1
	v_lshl_or_b32 v1, v2, 7, v1
	v_cvt_f32_f16_e32 v58, v1
.LBB304_242:                            ;   in Loop: Header=BB304_13 Depth=1
	s_or_b64 exec, exec, s[36:37]
	v_mov_b32_e32 v1, 0
.LBB304_243:                            ;   in Loop: Header=BB304_13 Depth=1
	s_or_b64 exec, exec, s[34:35]
.LBB304_244:                            ;   in Loop: Header=BB304_13 Depth=1
	s_or_b64 exec, exec, s[30:31]
	v_lshrrev_b32_e32 v38, 16, v36
	v_cmp_ne_u16_sdwa s[8:9], v38, v1 src0_sel:BYTE_0 src1_sel:DWORD
	v_mov_b32_e32 v6, 0
	v_mov_b32_e32 v44, 0
	s_and_saveexec_b64 s[30:31], s[8:9]
	s_cbranch_execz .LBB304_250
; %bb.245:                              ;   in Loop: Header=BB304_13 Depth=1
	v_cmp_ne_u16_sdwa s[8:9], v38, s39 src0_sel:BYTE_0 src1_sel:DWORD
	v_bfrev_b32_e32 v44, 1
	s_and_saveexec_b64 s[34:35], s[8:9]
	s_cbranch_execz .LBB304_249
; %bb.246:                              ;   in Loop: Header=BB304_13 Depth=1
	v_bfe_u32 v1, v36, 16, 7
	v_cmp_ne_u32_e64 s[8:9], s40, v1
	v_mov_b32_e32 v44, 0x7fc02000
	s_and_saveexec_b64 s[36:37], s[8:9]
	s_cbranch_execz .LBB304_248
; %bb.247:                              ;   in Loop: Header=BB304_13 Depth=1
	v_and_b32_e32 v2, 7, v38
	v_ffbh_u32_e32 v4, v2
	v_min_u32_e32 v10, 32, v4
	v_subrev_u32_e32 v4, 28, v10
	v_lshlrev_b64 v[4:5], v4, v[38:39]
	v_lshrrev_b32_e32 v3, 3, v1
	v_sub_u32_e32 v5, 29, v10
	v_cmp_gt_u32_e64 s[8:9], 8, v1
	v_cndmask_b32_e64 v1, v3, v5, s[8:9]
	v_mov_b32_e32 v0, 0x2000
	v_and_b32_e32 v4, 7, v4
	v_lshlrev_b32_e32 v3, 8, v38
	v_lshl_add_u32 v1, v1, 10, v0
	v_cndmask_b32_e64 v2, v2, v4, s[8:9]
	v_and_or_b32 v1, v3, s41, v1
	v_lshl_or_b32 v1, v2, 7, v1
	v_cvt_f32_f16_e32 v44, v1
.LBB304_248:                            ;   in Loop: Header=BB304_13 Depth=1
	s_or_b64 exec, exec, s[36:37]
	v_mov_b32_e32 v1, 0
.LBB304_249:                            ;   in Loop: Header=BB304_13 Depth=1
	s_or_b64 exec, exec, s[34:35]
.LBB304_250:                            ;   in Loop: Header=BB304_13 Depth=1
	s_or_b64 exec, exec, s[30:31]
	v_cmp_lt_u32_e64 s[8:9], s42, v36
	s_and_saveexec_b64 s[30:31], s[8:9]
	s_cbranch_execz .LBB304_256
; %bb.251:                              ;   in Loop: Header=BB304_13 Depth=1
	v_lshrrev_b32_e32 v36, 24, v36
	v_cmp_ne_u32_e64 s[8:9], s39, v36
	v_bfrev_b32_e32 v6, 1
	s_and_saveexec_b64 s[34:35], s[8:9]
	s_cbranch_execz .LBB304_255
; %bb.252:                              ;   in Loop: Header=BB304_13 Depth=1
	v_and_b32_e32 v1, 0x7f, v36
	v_cmp_ne_u32_e64 s[8:9], s40, v1
	v_mov_b32_e32 v6, 0x7fc02000
	s_and_saveexec_b64 s[36:37], s[8:9]
	s_cbranch_execz .LBB304_254
; %bb.253:                              ;   in Loop: Header=BB304_13 Depth=1
	v_and_b32_e32 v2, 7, v36
	v_ffbh_u32_e32 v4, v2
	v_min_u32_e32 v6, 32, v4
	v_subrev_u32_e32 v4, 28, v6
	v_lshlrev_b64 v[4:5], v4, v[36:37]
	v_lshrrev_b32_e32 v3, 3, v1
	v_sub_u32_e32 v5, 29, v6
	v_cmp_gt_u32_e64 s[8:9], 8, v1
	v_cndmask_b32_e64 v1, v3, v5, s[8:9]
	v_mov_b32_e32 v0, 0x2000
	v_and_b32_e32 v4, 7, v4
	v_lshlrev_b32_e32 v3, 8, v36
	v_lshl_add_u32 v1, v1, 10, v0
	v_cndmask_b32_e64 v2, v2, v4, s[8:9]
	v_and_or_b32 v1, v3, s41, v1
	v_lshl_or_b32 v1, v2, 7, v1
	v_cvt_f32_f16_e32 v6, v1
.LBB304_254:                            ;   in Loop: Header=BB304_13 Depth=1
	s_or_b64 exec, exec, s[36:37]
	v_mov_b32_e32 v1, 0
.LBB304_255:                            ;   in Loop: Header=BB304_13 Depth=1
	s_or_b64 exec, exec, s[34:35]
.LBB304_256:                            ;   in Loop: Header=BB304_13 Depth=1
	s_or_b64 exec, exec, s[30:31]
	flat_load_dword v36, v[34:35] offset:2560
	v_mov_b32_e32 v25, 0
	v_mov_b32_e32 v24, 0
	s_waitcnt vmcnt(0) lgkmcnt(0)
	v_cmp_ne_u16_sdwa s[8:9], v36, v1 src0_sel:BYTE_0 src1_sel:DWORD
	s_and_saveexec_b64 s[30:31], s[8:9]
	s_cbranch_execz .LBB304_262
; %bb.257:                              ;   in Loop: Header=BB304_13 Depth=1
	v_cmp_ne_u16_sdwa s[8:9], v36, s39 src0_sel:BYTE_0 src1_sel:DWORD
	v_bfrev_b32_e32 v24, 1
	s_and_saveexec_b64 s[34:35], s[8:9]
	s_cbranch_execz .LBB304_261
; %bb.258:                              ;   in Loop: Header=BB304_13 Depth=1
	v_and_b32_e32 v1, 0x7f, v36
	v_cmp_ne_u32_e64 s[8:9], s40, v1
	v_mov_b32_e32 v24, 0x7fc02000
	s_and_saveexec_b64 s[36:37], s[8:9]
	s_cbranch_execz .LBB304_260
; %bb.259:                              ;   in Loop: Header=BB304_13 Depth=1
	v_and_b32_e32 v2, 7, v36
	v_ffbh_u32_e32 v4, v2
	v_min_u32_e32 v10, 32, v4
	v_subrev_u32_e32 v4, 28, v10
	v_lshlrev_b64 v[4:5], v4, v[36:37]
	v_lshrrev_b32_e32 v3, 3, v1
	v_sub_u32_e32 v5, 29, v10
	v_cmp_gt_u32_e64 s[8:9], 8, v1
	v_cndmask_b32_e64 v1, v3, v5, s[8:9]
	v_mov_b32_e32 v0, 0x2000
	v_and_b32_e32 v4, 7, v4
	v_lshlrev_b32_e32 v3, 8, v36
	v_lshl_add_u32 v1, v1, 10, v0
	v_cndmask_b32_e64 v2, v2, v4, s[8:9]
	v_and_or_b32 v1, v3, s41, v1
	v_lshl_or_b32 v1, v2, 7, v1
	v_cvt_f32_f16_e32 v24, v1
.LBB304_260:                            ;   in Loop: Header=BB304_13 Depth=1
	s_or_b64 exec, exec, s[36:37]
	v_mov_b32_e32 v1, 0
.LBB304_261:                            ;   in Loop: Header=BB304_13 Depth=1
	s_or_b64 exec, exec, s[34:35]
.LBB304_262:                            ;   in Loop: Header=BB304_13 Depth=1
	s_or_b64 exec, exec, s[30:31]
	v_lshrrev_b16_e32 v38, 8, v36
	v_cmp_ne_u16_e64 s[8:9], 0, v38
	s_and_saveexec_b64 s[30:31], s[8:9]
	s_cbranch_execz .LBB304_268
; %bb.263:                              ;   in Loop: Header=BB304_13 Depth=1
	v_cmp_ne_u16_e64 s[8:9], s39, v38
	v_bfrev_b32_e32 v25, 1
	s_and_saveexec_b64 s[34:35], s[8:9]
	s_cbranch_execz .LBB304_267
; %bb.264:                              ;   in Loop: Header=BB304_13 Depth=1
	v_and_b32_e32 v1, 0x7f, v38
	v_cmp_ne_u32_e64 s[8:9], s40, v1
	v_mov_b32_e32 v25, 0x7fc02000
	s_and_saveexec_b64 s[36:37], s[8:9]
	s_cbranch_execz .LBB304_266
; %bb.265:                              ;   in Loop: Header=BB304_13 Depth=1
	v_and_b32_e32 v2, 7, v38
	v_ffbh_u32_e32 v4, v2
	v_min_u32_e32 v10, 32, v4
	v_subrev_u32_e32 v4, 28, v10
	v_lshlrev_b64 v[4:5], v4, v[38:39]
	v_lshrrev_b32_e32 v3, 3, v1
	v_sub_u32_e32 v5, 29, v10
	v_cmp_gt_u32_e64 s[8:9], 8, v1
	v_cndmask_b32_e64 v1, v3, v5, s[8:9]
	v_mov_b32_e32 v0, 0x2000
	v_and_b32_e32 v4, 7, v4
	v_lshlrev_b32_e32 v3, 8, v38
	v_lshl_add_u32 v1, v1, 10, v0
	v_cndmask_b32_e64 v2, v2, v4, s[8:9]
	v_and_or_b32 v1, v3, s41, v1
	v_lshl_or_b32 v1, v2, 7, v1
	v_cvt_f32_f16_e32 v25, v1
.LBB304_266:                            ;   in Loop: Header=BB304_13 Depth=1
	s_or_b64 exec, exec, s[36:37]
	v_mov_b32_e32 v1, 0
.LBB304_267:                            ;   in Loop: Header=BB304_13 Depth=1
	s_or_b64 exec, exec, s[34:35]
.LBB304_268:                            ;   in Loop: Header=BB304_13 Depth=1
	s_or_b64 exec, exec, s[30:31]
	v_lshrrev_b32_e32 v38, 16, v36
	v_cmp_ne_u16_sdwa s[8:9], v38, v1 src0_sel:BYTE_0 src1_sel:DWORD
	v_mov_b32_e32 v61, 0
	v_mov_b32_e32 v62, 0
	s_and_saveexec_b64 s[30:31], s[8:9]
	s_cbranch_execz .LBB304_274
; %bb.269:                              ;   in Loop: Header=BB304_13 Depth=1
	v_cmp_ne_u16_sdwa s[8:9], v38, s39 src0_sel:BYTE_0 src1_sel:DWORD
	v_bfrev_b32_e32 v62, 1
	s_and_saveexec_b64 s[34:35], s[8:9]
	s_cbranch_execz .LBB304_273
; %bb.270:                              ;   in Loop: Header=BB304_13 Depth=1
	v_bfe_u32 v1, v36, 16, 7
	v_cmp_ne_u32_e64 s[8:9], s40, v1
	v_mov_b32_e32 v62, 0x7fc02000
	s_and_saveexec_b64 s[36:37], s[8:9]
	s_cbranch_execz .LBB304_272
; %bb.271:                              ;   in Loop: Header=BB304_13 Depth=1
	v_and_b32_e32 v2, 7, v38
	v_ffbh_u32_e32 v4, v2
	v_min_u32_e32 v10, 32, v4
	v_subrev_u32_e32 v4, 28, v10
	v_lshlrev_b64 v[4:5], v4, v[38:39]
	v_lshrrev_b32_e32 v3, 3, v1
	v_sub_u32_e32 v5, 29, v10
	v_cmp_gt_u32_e64 s[8:9], 8, v1
	v_cndmask_b32_e64 v1, v3, v5, s[8:9]
	v_mov_b32_e32 v0, 0x2000
	v_and_b32_e32 v4, 7, v4
	v_lshlrev_b32_e32 v3, 8, v38
	v_lshl_add_u32 v1, v1, 10, v0
	v_cndmask_b32_e64 v2, v2, v4, s[8:9]
	v_and_or_b32 v1, v3, s41, v1
	v_lshl_or_b32 v1, v2, 7, v1
	v_cvt_f32_f16_e32 v62, v1
.LBB304_272:                            ;   in Loop: Header=BB304_13 Depth=1
	s_or_b64 exec, exec, s[36:37]
	v_mov_b32_e32 v1, 0
.LBB304_273:                            ;   in Loop: Header=BB304_13 Depth=1
	s_or_b64 exec, exec, s[34:35]
.LBB304_274:                            ;   in Loop: Header=BB304_13 Depth=1
	s_or_b64 exec, exec, s[30:31]
	v_cmp_lt_u32_e64 s[8:9], s42, v36
	s_and_saveexec_b64 s[30:31], s[8:9]
	s_cbranch_execz .LBB304_280
; %bb.275:                              ;   in Loop: Header=BB304_13 Depth=1
	v_lshrrev_b32_e32 v36, 24, v36
	v_cmp_ne_u32_e64 s[8:9], s39, v36
	v_bfrev_b32_e32 v61, 1
	s_and_saveexec_b64 s[34:35], s[8:9]
	s_cbranch_execz .LBB304_279
; %bb.276:                              ;   in Loop: Header=BB304_13 Depth=1
	v_and_b32_e32 v1, 0x7f, v36
	v_cmp_ne_u32_e64 s[8:9], s40, v1
	v_mov_b32_e32 v61, 0x7fc02000
	s_and_saveexec_b64 s[36:37], s[8:9]
	s_cbranch_execz .LBB304_278
; %bb.277:                              ;   in Loop: Header=BB304_13 Depth=1
	v_and_b32_e32 v2, 7, v36
	v_ffbh_u32_e32 v4, v2
	v_min_u32_e32 v10, 32, v4
	v_subrev_u32_e32 v4, 28, v10
	v_lshlrev_b64 v[4:5], v4, v[36:37]
	v_lshrrev_b32_e32 v3, 3, v1
	v_sub_u32_e32 v5, 29, v10
	v_cmp_gt_u32_e64 s[8:9], 8, v1
	v_cndmask_b32_e64 v1, v3, v5, s[8:9]
	v_mov_b32_e32 v0, 0x2000
	v_and_b32_e32 v4, 7, v4
	v_lshlrev_b32_e32 v3, 8, v36
	v_lshl_add_u32 v1, v1, 10, v0
	v_cndmask_b32_e64 v2, v2, v4, s[8:9]
	v_and_or_b32 v1, v3, s41, v1
	v_lshl_or_b32 v1, v2, 7, v1
	v_cvt_f32_f16_e32 v61, v1
.LBB304_278:                            ;   in Loop: Header=BB304_13 Depth=1
	s_or_b64 exec, exec, s[36:37]
	v_mov_b32_e32 v1, 0
.LBB304_279:                            ;   in Loop: Header=BB304_13 Depth=1
	s_or_b64 exec, exec, s[34:35]
.LBB304_280:                            ;   in Loop: Header=BB304_13 Depth=1
	s_or_b64 exec, exec, s[30:31]
	flat_load_dword v36, v[34:35] offset:2568
	v_mov_b32_e32 v31, 0
	v_mov_b32_e32 v29, 0
	s_waitcnt vmcnt(0) lgkmcnt(0)
	v_cmp_ne_u16_sdwa s[8:9], v36, v1 src0_sel:BYTE_0 src1_sel:DWORD
	s_and_saveexec_b64 s[30:31], s[8:9]
	s_cbranch_execz .LBB304_286
; %bb.281:                              ;   in Loop: Header=BB304_13 Depth=1
	v_cmp_ne_u16_sdwa s[8:9], v36, s39 src0_sel:BYTE_0 src1_sel:DWORD
	v_bfrev_b32_e32 v29, 1
	s_and_saveexec_b64 s[34:35], s[8:9]
	s_cbranch_execz .LBB304_285
; %bb.282:                              ;   in Loop: Header=BB304_13 Depth=1
	v_and_b32_e32 v1, 0x7f, v36
	v_cmp_ne_u32_e64 s[8:9], s40, v1
	v_mov_b32_e32 v29, 0x7fc02000
	s_and_saveexec_b64 s[36:37], s[8:9]
	s_cbranch_execz .LBB304_284
; %bb.283:                              ;   in Loop: Header=BB304_13 Depth=1
	v_and_b32_e32 v2, 7, v36
	v_ffbh_u32_e32 v4, v2
	v_min_u32_e32 v10, 32, v4
	v_subrev_u32_e32 v4, 28, v10
	v_lshlrev_b64 v[4:5], v4, v[36:37]
	v_lshrrev_b32_e32 v3, 3, v1
	v_sub_u32_e32 v5, 29, v10
	v_cmp_gt_u32_e64 s[8:9], 8, v1
	v_cndmask_b32_e64 v1, v3, v5, s[8:9]
	v_mov_b32_e32 v0, 0x2000
	v_and_b32_e32 v4, 7, v4
	v_lshlrev_b32_e32 v3, 8, v36
	v_lshl_add_u32 v1, v1, 10, v0
	v_cndmask_b32_e64 v2, v2, v4, s[8:9]
	v_and_or_b32 v1, v3, s41, v1
	v_lshl_or_b32 v1, v2, 7, v1
	v_cvt_f32_f16_e32 v29, v1
.LBB304_284:                            ;   in Loop: Header=BB304_13 Depth=1
	s_or_b64 exec, exec, s[36:37]
	v_mov_b32_e32 v1, 0
.LBB304_285:                            ;   in Loop: Header=BB304_13 Depth=1
	s_or_b64 exec, exec, s[34:35]
.LBB304_286:                            ;   in Loop: Header=BB304_13 Depth=1
	s_or_b64 exec, exec, s[30:31]
	v_lshrrev_b16_e32 v38, 8, v36
	v_cmp_ne_u16_e64 s[8:9], 0, v38
	s_and_saveexec_b64 s[30:31], s[8:9]
	s_cbranch_execz .LBB304_292
; %bb.287:                              ;   in Loop: Header=BB304_13 Depth=1
	v_cmp_ne_u16_e64 s[8:9], s39, v38
	v_bfrev_b32_e32 v31, 1
	s_and_saveexec_b64 s[34:35], s[8:9]
	s_cbranch_execz .LBB304_291
; %bb.288:                              ;   in Loop: Header=BB304_13 Depth=1
	v_and_b32_e32 v1, 0x7f, v38
	v_cmp_ne_u32_e64 s[8:9], s40, v1
	v_mov_b32_e32 v31, 0x7fc02000
	s_and_saveexec_b64 s[36:37], s[8:9]
	s_cbranch_execz .LBB304_290
; %bb.289:                              ;   in Loop: Header=BB304_13 Depth=1
	v_and_b32_e32 v2, 7, v38
	v_ffbh_u32_e32 v4, v2
	v_min_u32_e32 v10, 32, v4
	v_subrev_u32_e32 v4, 28, v10
	v_lshlrev_b64 v[4:5], v4, v[38:39]
	v_lshrrev_b32_e32 v3, 3, v1
	v_sub_u32_e32 v5, 29, v10
	v_cmp_gt_u32_e64 s[8:9], 8, v1
	v_cndmask_b32_e64 v1, v3, v5, s[8:9]
	v_mov_b32_e32 v0, 0x2000
	v_and_b32_e32 v4, 7, v4
	v_lshlrev_b32_e32 v3, 8, v38
	v_lshl_add_u32 v1, v1, 10, v0
	v_cndmask_b32_e64 v2, v2, v4, s[8:9]
	v_and_or_b32 v1, v3, s41, v1
	v_lshl_or_b32 v1, v2, 7, v1
	v_cvt_f32_f16_e32 v31, v1
.LBB304_290:                            ;   in Loop: Header=BB304_13 Depth=1
	s_or_b64 exec, exec, s[36:37]
	v_mov_b32_e32 v1, 0
.LBB304_291:                            ;   in Loop: Header=BB304_13 Depth=1
	s_or_b64 exec, exec, s[34:35]
.LBB304_292:                            ;   in Loop: Header=BB304_13 Depth=1
	s_or_b64 exec, exec, s[30:31]
	v_lshrrev_b32_e32 v38, 16, v36
	v_cmp_ne_u16_sdwa s[8:9], v38, v1 src0_sel:BYTE_0 src1_sel:DWORD
	v_mov_b32_e32 v51, 0
	v_mov_b32_e32 v27, 0
	s_and_saveexec_b64 s[30:31], s[8:9]
	s_cbranch_execz .LBB304_298
; %bb.293:                              ;   in Loop: Header=BB304_13 Depth=1
	v_cmp_ne_u16_sdwa s[8:9], v38, s39 src0_sel:BYTE_0 src1_sel:DWORD
	v_bfrev_b32_e32 v27, 1
	s_and_saveexec_b64 s[34:35], s[8:9]
	s_cbranch_execz .LBB304_297
; %bb.294:                              ;   in Loop: Header=BB304_13 Depth=1
	v_bfe_u32 v1, v36, 16, 7
	v_cmp_ne_u32_e64 s[8:9], s40, v1
	v_mov_b32_e32 v27, 0x7fc02000
	s_and_saveexec_b64 s[36:37], s[8:9]
	s_cbranch_execz .LBB304_296
; %bb.295:                              ;   in Loop: Header=BB304_13 Depth=1
	v_and_b32_e32 v2, 7, v38
	v_ffbh_u32_e32 v4, v2
	v_min_u32_e32 v10, 32, v4
	v_subrev_u32_e32 v4, 28, v10
	v_lshlrev_b64 v[4:5], v4, v[38:39]
	v_lshrrev_b32_e32 v3, 3, v1
	v_sub_u32_e32 v5, 29, v10
	v_cmp_gt_u32_e64 s[8:9], 8, v1
	v_cndmask_b32_e64 v1, v3, v5, s[8:9]
	v_mov_b32_e32 v0, 0x2000
	v_and_b32_e32 v4, 7, v4
	v_lshlrev_b32_e32 v3, 8, v38
	v_lshl_add_u32 v1, v1, 10, v0
	v_cndmask_b32_e64 v2, v2, v4, s[8:9]
	v_and_or_b32 v1, v3, s41, v1
	v_lshl_or_b32 v1, v2, 7, v1
	v_cvt_f32_f16_e32 v27, v1
.LBB304_296:                            ;   in Loop: Header=BB304_13 Depth=1
	s_or_b64 exec, exec, s[36:37]
	v_mov_b32_e32 v1, 0
.LBB304_297:                            ;   in Loop: Header=BB304_13 Depth=1
	s_or_b64 exec, exec, s[34:35]
.LBB304_298:                            ;   in Loop: Header=BB304_13 Depth=1
	s_or_b64 exec, exec, s[30:31]
	v_cmp_lt_u32_e64 s[8:9], s42, v36
	s_and_saveexec_b64 s[30:31], s[8:9]
	s_cbranch_execz .LBB304_304
; %bb.299:                              ;   in Loop: Header=BB304_13 Depth=1
	v_lshrrev_b32_e32 v36, 24, v36
	v_cmp_ne_u32_e64 s[8:9], s39, v36
	v_bfrev_b32_e32 v51, 1
	s_and_saveexec_b64 s[34:35], s[8:9]
	s_cbranch_execz .LBB304_303
; %bb.300:                              ;   in Loop: Header=BB304_13 Depth=1
	v_and_b32_e32 v1, 0x7f, v36
	v_cmp_ne_u32_e64 s[8:9], s40, v1
	v_mov_b32_e32 v51, 0x7fc02000
	s_and_saveexec_b64 s[36:37], s[8:9]
	s_cbranch_execz .LBB304_302
; %bb.301:                              ;   in Loop: Header=BB304_13 Depth=1
	v_and_b32_e32 v2, 7, v36
	v_ffbh_u32_e32 v4, v2
	v_min_u32_e32 v10, 32, v4
	v_subrev_u32_e32 v4, 28, v10
	v_lshlrev_b64 v[4:5], v4, v[36:37]
	v_lshrrev_b32_e32 v3, 3, v1
	v_sub_u32_e32 v5, 29, v10
	v_cmp_gt_u32_e64 s[8:9], 8, v1
	v_cndmask_b32_e64 v1, v3, v5, s[8:9]
	v_mov_b32_e32 v0, 0x2000
	v_and_b32_e32 v4, 7, v4
	v_lshlrev_b32_e32 v3, 8, v36
	v_lshl_add_u32 v1, v1, 10, v0
	v_cndmask_b32_e64 v2, v2, v4, s[8:9]
	v_and_or_b32 v1, v3, s41, v1
	v_lshl_or_b32 v1, v2, 7, v1
	v_cvt_f32_f16_e32 v51, v1
.LBB304_302:                            ;   in Loop: Header=BB304_13 Depth=1
	s_or_b64 exec, exec, s[36:37]
	v_mov_b32_e32 v1, 0
.LBB304_303:                            ;   in Loop: Header=BB304_13 Depth=1
	s_or_b64 exec, exec, s[34:35]
.LBB304_304:                            ;   in Loop: Header=BB304_13 Depth=1
	s_or_b64 exec, exec, s[30:31]
	flat_load_dword v36, v[34:35] offset:3072
	v_mov_b32_e32 v26, 0
	v_mov_b32_e32 v49, 0
	s_waitcnt vmcnt(0) lgkmcnt(0)
	v_cmp_ne_u16_sdwa s[8:9], v36, v1 src0_sel:BYTE_0 src1_sel:DWORD
	s_and_saveexec_b64 s[30:31], s[8:9]
	s_cbranch_execz .LBB304_310
; %bb.305:                              ;   in Loop: Header=BB304_13 Depth=1
	v_cmp_ne_u16_sdwa s[8:9], v36, s39 src0_sel:BYTE_0 src1_sel:DWORD
	v_bfrev_b32_e32 v49, 1
	s_and_saveexec_b64 s[34:35], s[8:9]
	s_cbranch_execz .LBB304_309
; %bb.306:                              ;   in Loop: Header=BB304_13 Depth=1
	v_and_b32_e32 v1, 0x7f, v36
	v_cmp_ne_u32_e64 s[8:9], s40, v1
	v_mov_b32_e32 v49, 0x7fc02000
	s_and_saveexec_b64 s[36:37], s[8:9]
	s_cbranch_execz .LBB304_308
; %bb.307:                              ;   in Loop: Header=BB304_13 Depth=1
	v_and_b32_e32 v2, 7, v36
	v_ffbh_u32_e32 v4, v2
	v_min_u32_e32 v10, 32, v4
	v_subrev_u32_e32 v4, 28, v10
	v_lshlrev_b64 v[4:5], v4, v[36:37]
	v_lshrrev_b32_e32 v3, 3, v1
	v_sub_u32_e32 v5, 29, v10
	v_cmp_gt_u32_e64 s[8:9], 8, v1
	v_cndmask_b32_e64 v1, v3, v5, s[8:9]
	v_mov_b32_e32 v0, 0x2000
	v_and_b32_e32 v4, 7, v4
	v_lshlrev_b32_e32 v3, 8, v36
	v_lshl_add_u32 v1, v1, 10, v0
	v_cndmask_b32_e64 v2, v2, v4, s[8:9]
	v_and_or_b32 v1, v3, s41, v1
	v_lshl_or_b32 v1, v2, 7, v1
	v_cvt_f32_f16_e32 v49, v1
.LBB304_308:                            ;   in Loop: Header=BB304_13 Depth=1
	s_or_b64 exec, exec, s[36:37]
	v_mov_b32_e32 v1, 0
.LBB304_309:                            ;   in Loop: Header=BB304_13 Depth=1
	s_or_b64 exec, exec, s[34:35]
.LBB304_310:                            ;   in Loop: Header=BB304_13 Depth=1
	s_or_b64 exec, exec, s[30:31]
	v_lshrrev_b16_e32 v38, 8, v36
	v_cmp_ne_u16_e64 s[8:9], 0, v38
	s_and_saveexec_b64 s[30:31], s[8:9]
	s_cbranch_execz .LBB304_316
; %bb.311:                              ;   in Loop: Header=BB304_13 Depth=1
	v_cmp_ne_u16_e64 s[8:9], s39, v38
	v_bfrev_b32_e32 v26, 1
	s_and_saveexec_b64 s[34:35], s[8:9]
	s_cbranch_execz .LBB304_315
; %bb.312:                              ;   in Loop: Header=BB304_13 Depth=1
	v_and_b32_e32 v1, 0x7f, v38
	v_cmp_ne_u32_e64 s[8:9], s40, v1
	v_mov_b32_e32 v26, 0x7fc02000
	s_and_saveexec_b64 s[36:37], s[8:9]
	s_cbranch_execz .LBB304_314
; %bb.313:                              ;   in Loop: Header=BB304_13 Depth=1
	v_and_b32_e32 v2, 7, v38
	v_ffbh_u32_e32 v4, v2
	v_min_u32_e32 v10, 32, v4
	v_subrev_u32_e32 v4, 28, v10
	v_lshlrev_b64 v[4:5], v4, v[38:39]
	v_lshrrev_b32_e32 v3, 3, v1
	v_sub_u32_e32 v5, 29, v10
	v_cmp_gt_u32_e64 s[8:9], 8, v1
	v_cndmask_b32_e64 v1, v3, v5, s[8:9]
	v_mov_b32_e32 v0, 0x2000
	v_and_b32_e32 v4, 7, v4
	v_lshlrev_b32_e32 v3, 8, v38
	v_lshl_add_u32 v1, v1, 10, v0
	v_cndmask_b32_e64 v2, v2, v4, s[8:9]
	v_and_or_b32 v1, v3, s41, v1
	v_lshl_or_b32 v1, v2, 7, v1
	v_cvt_f32_f16_e32 v26, v1
.LBB304_314:                            ;   in Loop: Header=BB304_13 Depth=1
	s_or_b64 exec, exec, s[36:37]
	v_mov_b32_e32 v1, 0
.LBB304_315:                            ;   in Loop: Header=BB304_13 Depth=1
	s_or_b64 exec, exec, s[34:35]
.LBB304_316:                            ;   in Loop: Header=BB304_13 Depth=1
	s_or_b64 exec, exec, s[30:31]
	v_lshrrev_b32_e32 v38, 16, v36
	v_cmp_ne_u16_sdwa s[8:9], v38, v1 src0_sel:BYTE_0 src1_sel:DWORD
	v_mov_b32_e32 v52, 0
	v_mov_b32_e32 v5, 0
	s_and_saveexec_b64 s[30:31], s[8:9]
	s_cbranch_execz .LBB304_322
; %bb.317:                              ;   in Loop: Header=BB304_13 Depth=1
	v_cmp_ne_u16_sdwa s[8:9], v38, s39 src0_sel:BYTE_0 src1_sel:DWORD
	v_bfrev_b32_e32 v5, 1
	s_and_saveexec_b64 s[34:35], s[8:9]
	s_cbranch_execz .LBB304_321
; %bb.318:                              ;   in Loop: Header=BB304_13 Depth=1
	v_bfe_u32 v1, v36, 16, 7
	v_cmp_ne_u32_e64 s[8:9], s40, v1
	v_mov_b32_e32 v5, 0x7fc02000
	s_and_saveexec_b64 s[36:37], s[8:9]
	s_cbranch_execz .LBB304_320
; %bb.319:                              ;   in Loop: Header=BB304_13 Depth=1
	v_and_b32_e32 v2, 7, v38
	v_ffbh_u32_e32 v4, v2
	v_min_u32_e32 v10, 32, v4
	v_subrev_u32_e32 v4, 28, v10
	v_lshlrev_b64 v[4:5], v4, v[38:39]
	v_lshrrev_b32_e32 v3, 3, v1
	v_sub_u32_e32 v5, 29, v10
	v_cmp_gt_u32_e64 s[8:9], 8, v1
	v_cndmask_b32_e64 v1, v3, v5, s[8:9]
	v_mov_b32_e32 v0, 0x2000
	v_and_b32_e32 v4, 7, v4
	v_lshlrev_b32_e32 v3, 8, v38
	v_lshl_add_u32 v1, v1, 10, v0
	v_cndmask_b32_e64 v2, v2, v4, s[8:9]
	v_and_or_b32 v1, v3, s41, v1
	v_lshl_or_b32 v1, v2, 7, v1
	v_cvt_f32_f16_e32 v5, v1
.LBB304_320:                            ;   in Loop: Header=BB304_13 Depth=1
	s_or_b64 exec, exec, s[36:37]
	v_mov_b32_e32 v1, 0
.LBB304_321:                            ;   in Loop: Header=BB304_13 Depth=1
	s_or_b64 exec, exec, s[34:35]
.LBB304_322:                            ;   in Loop: Header=BB304_13 Depth=1
	s_or_b64 exec, exec, s[30:31]
	v_cmp_lt_u32_e64 s[8:9], s42, v36
	s_and_saveexec_b64 s[30:31], s[8:9]
	s_cbranch_execz .LBB304_328
; %bb.323:                              ;   in Loop: Header=BB304_13 Depth=1
	v_lshrrev_b32_e32 v36, 24, v36
	v_cmp_ne_u32_e64 s[8:9], s39, v36
	v_bfrev_b32_e32 v52, 1
	s_and_saveexec_b64 s[34:35], s[8:9]
	s_cbranch_execz .LBB304_327
; %bb.324:                              ;   in Loop: Header=BB304_13 Depth=1
	v_and_b32_e32 v1, 0x7f, v36
	v_cmp_ne_u32_e64 s[8:9], s40, v1
	v_mov_b32_e32 v52, 0x7fc02000
	s_and_saveexec_b64 s[36:37], s[8:9]
	s_cbranch_execz .LBB304_326
; %bb.325:                              ;   in Loop: Header=BB304_13 Depth=1
	v_and_b32_e32 v2, 7, v36
	v_ffbh_u32_e32 v4, v2
	v_min_u32_e32 v4, 32, v4
	v_lshrrev_b32_e32 v3, 3, v1
	v_subrev_u32_e32 v10, 28, v4
	v_sub_u32_e32 v4, 29, v4
	v_cmp_gt_u32_e64 s[8:9], 8, v1
	v_lshlrev_b64 v[10:11], v10, v[36:37]
	v_cndmask_b32_e64 v1, v3, v4, s[8:9]
	v_mov_b32_e32 v0, 0x2000
	v_and_b32_e32 v10, 7, v10
	v_lshlrev_b32_e32 v3, 8, v36
	v_lshl_add_u32 v1, v1, 10, v0
	v_cndmask_b32_e64 v2, v2, v10, s[8:9]
	v_and_or_b32 v1, v3, s41, v1
	v_lshl_or_b32 v1, v2, 7, v1
	v_cvt_f32_f16_e32 v52, v1
.LBB304_326:                            ;   in Loop: Header=BB304_13 Depth=1
	s_or_b64 exec, exec, s[36:37]
	v_mov_b32_e32 v1, 0
.LBB304_327:                            ;   in Loop: Header=BB304_13 Depth=1
	s_or_b64 exec, exec, s[34:35]
.LBB304_328:                            ;   in Loop: Header=BB304_13 Depth=1
	s_or_b64 exec, exec, s[30:31]
	flat_load_dword v36, v[34:35] offset:3080
	v_mov_b32_e32 v4, 0
	v_mov_b32_e32 v39, 0
	s_waitcnt vmcnt(0) lgkmcnt(0)
	v_cmp_ne_u16_sdwa s[8:9], v36, v1 src0_sel:BYTE_0 src1_sel:DWORD
	s_and_saveexec_b64 s[30:31], s[8:9]
	s_cbranch_execz .LBB304_334
; %bb.329:                              ;   in Loop: Header=BB304_13 Depth=1
	v_cmp_ne_u16_sdwa s[8:9], v36, s39 src0_sel:BYTE_0 src1_sel:DWORD
	v_bfrev_b32_e32 v39, 1
	s_and_saveexec_b64 s[34:35], s[8:9]
	s_cbranch_execz .LBB304_333
; %bb.330:                              ;   in Loop: Header=BB304_13 Depth=1
	v_and_b32_e32 v1, 0x7f, v36
	v_cmp_ne_u32_e64 s[8:9], s40, v1
	v_mov_b32_e32 v39, 0x7fc02000
	s_and_saveexec_b64 s[36:37], s[8:9]
	s_cbranch_execz .LBB304_332
; %bb.331:                              ;   in Loop: Header=BB304_13 Depth=1
	v_and_b32_e32 v2, 7, v36
	v_ffbh_u32_e32 v10, v2
	v_min_u32_e32 v20, 32, v10
	v_subrev_u32_e32 v10, 28, v20
	v_lshlrev_b64 v[10:11], v10, v[36:37]
	v_lshrrev_b32_e32 v3, 3, v1
	v_sub_u32_e32 v11, 29, v20
	v_cmp_gt_u32_e64 s[8:9], 8, v1
	v_cndmask_b32_e64 v1, v3, v11, s[8:9]
	v_mov_b32_e32 v0, 0x2000
	v_and_b32_e32 v10, 7, v10
	v_lshlrev_b32_e32 v3, 8, v36
	v_lshl_add_u32 v1, v1, 10, v0
	v_cndmask_b32_e64 v2, v2, v10, s[8:9]
	v_and_or_b32 v1, v3, s41, v1
	v_lshl_or_b32 v1, v2, 7, v1
	v_cvt_f32_f16_e32 v39, v1
.LBB304_332:                            ;   in Loop: Header=BB304_13 Depth=1
	s_or_b64 exec, exec, s[36:37]
	v_mov_b32_e32 v1, 0
.LBB304_333:                            ;   in Loop: Header=BB304_13 Depth=1
	s_or_b64 exec, exec, s[34:35]
.LBB304_334:                            ;   in Loop: Header=BB304_13 Depth=1
	s_or_b64 exec, exec, s[30:31]
	v_lshrrev_b16_e32 v38, 8, v36
	v_cmp_ne_u16_e64 s[8:9], 0, v38
	s_and_saveexec_b64 s[30:31], s[8:9]
	s_cbranch_execz .LBB304_340
; %bb.335:                              ;   in Loop: Header=BB304_13 Depth=1
	v_cmp_ne_u16_e64 s[8:9], s39, v38
	v_bfrev_b32_e32 v4, 1
	s_and_saveexec_b64 s[34:35], s[8:9]
	s_cbranch_execz .LBB304_339
; %bb.336:                              ;   in Loop: Header=BB304_13 Depth=1
	v_and_b32_e32 v1, 0x7f, v38
	v_cmp_ne_u32_e64 s[8:9], s40, v1
	v_mov_b32_e32 v4, 0x7fc02000
	s_and_saveexec_b64 s[36:37], s[8:9]
	s_cbranch_execz .LBB304_338
; %bb.337:                              ;   in Loop: Header=BB304_13 Depth=1
	v_and_b32_e32 v2, 7, v38
	v_ffbh_u32_e32 v4, v2
	v_min_u32_e32 v4, 32, v4
	v_lshrrev_b32_e32 v3, 3, v1
	v_subrev_u32_e32 v10, 28, v4
	v_sub_u32_e32 v4, 29, v4
	v_cmp_gt_u32_e64 s[8:9], 8, v1
	v_lshlrev_b64 v[10:11], v10, v[38:39]
	v_cndmask_b32_e64 v1, v3, v4, s[8:9]
	v_mov_b32_e32 v0, 0x2000
	v_and_b32_e32 v10, 7, v10
	v_lshlrev_b32_e32 v3, 8, v38
	v_lshl_add_u32 v1, v1, 10, v0
	v_cndmask_b32_e64 v2, v2, v10, s[8:9]
	v_and_or_b32 v1, v3, s41, v1
	v_lshl_or_b32 v1, v2, 7, v1
	v_cvt_f32_f16_e32 v4, v1
.LBB304_338:                            ;   in Loop: Header=BB304_13 Depth=1
	s_or_b64 exec, exec, s[36:37]
	v_mov_b32_e32 v1, 0
.LBB304_339:                            ;   in Loop: Header=BB304_13 Depth=1
	s_or_b64 exec, exec, s[34:35]
.LBB304_340:                            ;   in Loop: Header=BB304_13 Depth=1
	s_or_b64 exec, exec, s[30:31]
	v_lshrrev_b32_e32 v38, 16, v36
	v_cmp_ne_u16_sdwa s[8:9], v38, v1 src0_sel:BYTE_0 src1_sel:DWORD
	v_mov_b32_e32 v57, 0
	v_mov_b32_e32 v20, 0
	s_and_saveexec_b64 s[30:31], s[8:9]
	s_cbranch_execz .LBB304_346
; %bb.341:                              ;   in Loop: Header=BB304_13 Depth=1
	v_cmp_ne_u16_sdwa s[8:9], v38, s39 src0_sel:BYTE_0 src1_sel:DWORD
	v_bfrev_b32_e32 v20, 1
	s_and_saveexec_b64 s[34:35], s[8:9]
	s_cbranch_execz .LBB304_345
; %bb.342:                              ;   in Loop: Header=BB304_13 Depth=1
	v_bfe_u32 v1, v36, 16, 7
	v_cmp_ne_u32_e64 s[8:9], s40, v1
	v_mov_b32_e32 v20, 0x7fc02000
	s_and_saveexec_b64 s[36:37], s[8:9]
	s_cbranch_execz .LBB304_344
; %bb.343:                              ;   in Loop: Header=BB304_13 Depth=1
	v_and_b32_e32 v2, 7, v38
	v_ffbh_u32_e32 v10, v2
	v_min_u32_e32 v20, 32, v10
	v_subrev_u32_e32 v10, 28, v20
	v_lshlrev_b64 v[10:11], v10, v[38:39]
	v_lshrrev_b32_e32 v3, 3, v1
	v_sub_u32_e32 v11, 29, v20
	v_cmp_gt_u32_e64 s[8:9], 8, v1
	v_cndmask_b32_e64 v1, v3, v11, s[8:9]
	v_mov_b32_e32 v0, 0x2000
	v_and_b32_e32 v10, 7, v10
	v_lshlrev_b32_e32 v3, 8, v38
	v_lshl_add_u32 v1, v1, 10, v0
	v_cndmask_b32_e64 v2, v2, v10, s[8:9]
	v_and_or_b32 v1, v3, s41, v1
	v_lshl_or_b32 v1, v2, 7, v1
	v_cvt_f32_f16_e32 v20, v1
.LBB304_344:                            ;   in Loop: Header=BB304_13 Depth=1
	s_or_b64 exec, exec, s[36:37]
	v_mov_b32_e32 v1, 0
.LBB304_345:                            ;   in Loop: Header=BB304_13 Depth=1
	s_or_b64 exec, exec, s[34:35]
.LBB304_346:                            ;   in Loop: Header=BB304_13 Depth=1
	s_or_b64 exec, exec, s[30:31]
	v_cmp_lt_u32_e64 s[8:9], s42, v36
	s_and_saveexec_b64 s[30:31], s[8:9]
	s_cbranch_execz .LBB304_352
; %bb.347:                              ;   in Loop: Header=BB304_13 Depth=1
	v_lshrrev_b32_e32 v36, 24, v36
	v_cmp_ne_u32_e64 s[8:9], s39, v36
	v_bfrev_b32_e32 v57, 1
	s_and_saveexec_b64 s[34:35], s[8:9]
	s_cbranch_execz .LBB304_351
; %bb.348:                              ;   in Loop: Header=BB304_13 Depth=1
	v_and_b32_e32 v1, 0x7f, v36
	v_cmp_ne_u32_e64 s[8:9], s40, v1
	v_mov_b32_e32 v57, 0x7fc02000
	s_and_saveexec_b64 s[36:37], s[8:9]
	s_cbranch_execz .LBB304_350
; %bb.349:                              ;   in Loop: Header=BB304_13 Depth=1
	v_and_b32_e32 v2, 7, v36
	v_ffbh_u32_e32 v10, v2
	v_min_u32_e32 v21, 32, v10
	v_subrev_u32_e32 v10, 28, v21
	v_lshlrev_b64 v[10:11], v10, v[36:37]
	v_lshrrev_b32_e32 v3, 3, v1
	v_sub_u32_e32 v11, 29, v21
	v_cmp_gt_u32_e64 s[8:9], 8, v1
	v_cndmask_b32_e64 v1, v3, v11, s[8:9]
	v_mov_b32_e32 v0, 0x2000
	v_and_b32_e32 v10, 7, v10
	v_lshlrev_b32_e32 v3, 8, v36
	v_lshl_add_u32 v1, v1, 10, v0
	v_cndmask_b32_e64 v2, v2, v10, s[8:9]
	v_and_or_b32 v1, v3, s41, v1
	v_lshl_or_b32 v1, v2, 7, v1
	v_cvt_f32_f16_e32 v57, v1
.LBB304_350:                            ;   in Loop: Header=BB304_13 Depth=1
	s_or_b64 exec, exec, s[36:37]
	v_mov_b32_e32 v1, 0
.LBB304_351:                            ;   in Loop: Header=BB304_13 Depth=1
	s_or_b64 exec, exec, s[34:35]
.LBB304_352:                            ;   in Loop: Header=BB304_13 Depth=1
	s_or_b64 exec, exec, s[30:31]
	flat_load_dword v34, v[34:35] offset:3584
	v_mov_b32_e32 v11, 0
	v_mov_b32_e32 v47, 0
	s_waitcnt vmcnt(0) lgkmcnt(0)
	v_cmp_ne_u16_sdwa s[8:9], v34, v1 src0_sel:BYTE_0 src1_sel:DWORD
	s_and_saveexec_b64 s[30:31], s[8:9]
	s_cbranch_execz .LBB304_358
; %bb.353:                              ;   in Loop: Header=BB304_13 Depth=1
	v_cmp_ne_u16_sdwa s[8:9], v34, s39 src0_sel:BYTE_0 src1_sel:DWORD
	v_bfrev_b32_e32 v47, 1
	s_and_saveexec_b64 s[34:35], s[8:9]
	s_cbranch_execz .LBB304_357
; %bb.354:                              ;   in Loop: Header=BB304_13 Depth=1
	v_and_b32_e32 v1, 0x7f, v34
	v_cmp_ne_u32_e64 s[8:9], s40, v1
	v_mov_b32_e32 v47, 0x7fc02000
	s_and_saveexec_b64 s[36:37], s[8:9]
	s_cbranch_execz .LBB304_356
; %bb.355:                              ;   in Loop: Header=BB304_13 Depth=1
	v_and_b32_e32 v10, 7, v34
	v_ffbh_u32_e32 v2, v10
	v_min_u32_e32 v35, 32, v2
	v_subrev_u32_e32 v2, 28, v35
	v_lshlrev_b64 v[2:3], v2, v[34:35]
	v_lshrrev_b32_e32 v21, 3, v1
	v_sub_u32_e32 v3, 29, v35
	v_cmp_gt_u32_e64 s[8:9], 8, v1
	v_cndmask_b32_e64 v1, v21, v3, s[8:9]
	v_mov_b32_e32 v0, 0x2000
	v_and_b32_e32 v2, 7, v2
	v_lshlrev_b32_e32 v3, 8, v34
	v_lshl_add_u32 v1, v1, 10, v0
	v_cndmask_b32_e64 v2, v10, v2, s[8:9]
	v_and_or_b32 v1, v3, s41, v1
	v_lshl_or_b32 v1, v2, 7, v1
	v_cvt_f32_f16_e32 v47, v1
.LBB304_356:                            ;   in Loop: Header=BB304_13 Depth=1
	s_or_b64 exec, exec, s[36:37]
	v_mov_b32_e32 v1, 0
.LBB304_357:                            ;   in Loop: Header=BB304_13 Depth=1
	s_or_b64 exec, exec, s[34:35]
.LBB304_358:                            ;   in Loop: Header=BB304_13 Depth=1
	s_or_b64 exec, exec, s[30:31]
	v_lshrrev_b16_e32 v36, 8, v34
	v_cmp_ne_u16_e64 s[8:9], 0, v36
	s_and_saveexec_b64 s[30:31], s[8:9]
	s_cbranch_execz .LBB304_364
; %bb.359:                              ;   in Loop: Header=BB304_13 Depth=1
	v_cmp_ne_u16_e64 s[8:9], s39, v36
	v_bfrev_b32_e32 v11, 1
	s_and_saveexec_b64 s[34:35], s[8:9]
	s_cbranch_execz .LBB304_363
; %bb.360:                              ;   in Loop: Header=BB304_13 Depth=1
	v_and_b32_e32 v1, 0x7f, v36
	v_cmp_ne_u32_e64 s[8:9], s40, v1
	v_mov_b32_e32 v11, 0x7fc02000
	s_and_saveexec_b64 s[36:37], s[8:9]
	s_cbranch_execz .LBB304_362
; %bb.361:                              ;   in Loop: Header=BB304_13 Depth=1
	v_and_b32_e32 v10, 7, v36
	v_ffbh_u32_e32 v2, v10
	v_min_u32_e32 v21, 32, v2
	v_subrev_u32_e32 v2, 28, v21
	v_lshlrev_b64 v[2:3], v2, v[36:37]
	v_lshrrev_b32_e32 v11, 3, v1
	v_sub_u32_e32 v3, 29, v21
	v_cmp_gt_u32_e64 s[8:9], 8, v1
	v_cndmask_b32_e64 v1, v11, v3, s[8:9]
	v_mov_b32_e32 v0, 0x2000
	v_and_b32_e32 v2, 7, v2
	v_lshlrev_b32_e32 v3, 8, v36
	v_lshl_add_u32 v1, v1, 10, v0
	v_cndmask_b32_e64 v2, v10, v2, s[8:9]
	v_and_or_b32 v1, v3, s41, v1
	v_lshl_or_b32 v1, v2, 7, v1
	v_cvt_f32_f16_e32 v11, v1
.LBB304_362:                            ;   in Loop: Header=BB304_13 Depth=1
	s_or_b64 exec, exec, s[36:37]
	v_mov_b32_e32 v1, 0
.LBB304_363:                            ;   in Loop: Header=BB304_13 Depth=1
	s_or_b64 exec, exec, s[34:35]
.LBB304_364:                            ;   in Loop: Header=BB304_13 Depth=1
	s_or_b64 exec, exec, s[30:31]
	v_lshrrev_b32_e32 v36, 16, v34
	v_cmp_ne_u16_sdwa s[8:9], v36, v1 src0_sel:BYTE_0 src1_sel:DWORD
	v_mov_b32_e32 v10, 0
	v_mov_b32_e32 v1, 0
	s_and_saveexec_b64 s[30:31], s[8:9]
	s_cbranch_execz .LBB304_370
; %bb.365:                              ;   in Loop: Header=BB304_13 Depth=1
	v_cmp_ne_u16_sdwa s[8:9], v36, s39 src0_sel:BYTE_0 src1_sel:DWORD
	v_bfrev_b32_e32 v1, 1
	s_and_saveexec_b64 s[34:35], s[8:9]
	s_cbranch_execz .LBB304_369
; %bb.366:                              ;   in Loop: Header=BB304_13 Depth=1
	v_bfe_u32 v21, v34, 16, 7
	v_cmp_ne_u32_e64 s[8:9], s40, v21
	v_mov_b32_e32 v1, 0x7fc02000
	s_and_saveexec_b64 s[36:37], s[8:9]
	s_cbranch_execz .LBB304_368
; %bb.367:                              ;   in Loop: Header=BB304_13 Depth=1
	v_and_b32_e32 v1, 7, v36
	v_ffbh_u32_e32 v2, v1
	v_min_u32_e32 v38, 32, v2
	v_subrev_u32_e32 v2, 28, v38
	v_lshlrev_b64 v[2:3], v2, v[36:37]
	v_lshrrev_b32_e32 v35, 3, v21
	v_sub_u32_e32 v3, 29, v38
	v_cmp_gt_u32_e64 s[8:9], 8, v21
	v_and_b32_e32 v2, 7, v2
	v_cndmask_b32_e64 v3, v35, v3, s[8:9]
	v_mov_b32_e32 v0, 0x2000
	v_cndmask_b32_e64 v1, v1, v2, s[8:9]
	v_lshlrev_b32_e32 v2, 8, v36
	v_lshl_add_u32 v3, v3, 10, v0
	v_and_or_b32 v2, v2, s41, v3
	v_lshl_or_b32 v1, v1, 7, v2
	v_cvt_f32_f16_e32 v1, v1
.LBB304_368:                            ;   in Loop: Header=BB304_13 Depth=1
	s_or_b64 exec, exec, s[36:37]
.LBB304_369:                            ;   in Loop: Header=BB304_13 Depth=1
	s_or_b64 exec, exec, s[34:35]
.LBB304_370:                            ;   in Loop: Header=BB304_13 Depth=1
	s_or_b64 exec, exec, s[30:31]
	v_accvgpr_write_b32 a52, v42
	v_accvgpr_write_b32 a51, v40
	;; [unrolled: 1-line block ×4, first 2 shown]
	v_cmp_lt_u32_e64 s[8:9], s42, v34
	s_and_saveexec_b64 s[30:31], s[8:9]
	s_cbranch_execz .LBB304_376
; %bb.371:                              ;   in Loop: Header=BB304_13 Depth=1
	v_lshrrev_b32_e32 v34, 24, v34
	v_cmp_ne_u32_e64 s[8:9], s39, v34
	v_bfrev_b32_e32 v10, 1
	s_and_saveexec_b64 s[34:35], s[8:9]
	s_cbranch_execz .LBB304_375
; %bb.372:                              ;   in Loop: Header=BB304_13 Depth=1
	v_and_b32_e32 v21, 0x7f, v34
	v_cmp_ne_u32_e64 s[8:9], s40, v21
	v_mov_b32_e32 v10, 0x7fc02000
	s_and_saveexec_b64 s[36:37], s[8:9]
	s_cbranch_execz .LBB304_374
; %bb.373:                              ;   in Loop: Header=BB304_13 Depth=1
	v_and_b32_e32 v10, 7, v34
	v_ffbh_u32_e32 v2, v10
	v_min_u32_e32 v36, 32, v2
	v_lshrrev_b32_e32 v35, 3, v21
	v_subrev_u32_e32 v2, 28, v36
	v_lshlrev_b64 v[2:3], v2, v[34:35]
	v_sub_u32_e32 v3, 29, v36
	v_cmp_gt_u32_e64 s[8:9], 8, v21
	v_and_b32_e32 v2, 7, v2
	v_cndmask_b32_e64 v3, v35, v3, s[8:9]
	v_mov_b32_e32 v0, 0x2000
	v_cndmask_b32_e64 v2, v10, v2, s[8:9]
	v_lshlrev_b32_e32 v10, 8, v34
	v_lshl_add_u32 v3, v3, 10, v0
	v_and_or_b32 v3, v10, s41, v3
	v_lshl_or_b32 v2, v2, 7, v3
	v_cvt_f32_f16_e32 v10, v2
.LBB304_374:                            ;   in Loop: Header=BB304_13 Depth=1
	s_or_b64 exec, exec, s[36:37]
.LBB304_375:                            ;   in Loop: Header=BB304_13 Depth=1
	s_or_b64 exec, exec, s[34:35]
.LBB304_376:                            ;   in Loop: Header=BB304_13 Depth=1
	s_or_b64 exec, exec, s[30:31]
	buffer_load_dword v0, off, s[0:3], s32 offset:152 ; 4-byte Folded Reload
	v_accvgpr_read_b32 v30, a42
	ds_read_b64 v[2:3], v30
	v_fma_mixlo_f16 v38, v60, v15, 0
	v_fma_mixlo_f16 v35, v60, v48, 0
	;; [unrolled: 1-line block ×3, first 2 shown]
	v_and_b32_e32 v35, 0xffff, v35
	s_waitcnt lgkmcnt(0)
	v_lshrrev_b32_e32 v21, 16, v2
	v_and_b32_e32 v2, 0xffff, v2
	v_lshrrev_b32_e32 v34, 16, v3
	v_and_b32_e32 v3, 0xffff, v3
	v_fma_mixlo_f16 v19, v60, v46, 0
	v_fma_mixlo_f16 v17, v60, v17, 0
	;; [unrolled: 1-line block ×9, first 2 shown]
	v_and_b32_e32 v6, 0xffff, v6
	v_fma_mixlo_f16 v31, v60, v31, 0
	v_fma_mixlo_f16 v49, v60, v49, 0
	;; [unrolled: 1-line block ×5, first 2 shown]
	v_and_b32_e32 v1, 0xffff, v1
	s_waitcnt vmcnt(0)
	v_fma_mixlo_f16 v36, v60, v0, 0
	buffer_load_dword v0, off, s[0:3], s32 offset:156 ; 4-byte Folded Reload
	s_waitcnt vmcnt(0)
	v_fma_mixlo_f16 v50, v60, v0, 0
	;;#ASMSTART
	v_cvt_f32_f16 v0, v2;
	;;#ASMEND
	v_and_b32_e32 v2, 0xffff, v38
	;;#ASMSTART
	v_cvt_f32_f16 v21, v21;
	;;#ASMEND
	;;#ASMSTART
	v_cvt_f32_f16 v38, v2;
	;;#ASMEND
	v_and_b32_e32 v2, 0xffff, v36
	;;#ASMSTART
	v_cvt_f32_f16 v40, v2;
	;;#ASMEND
	v_and_b32_e32 v2, 0xffff, v48
	;;#ASMSTART
	v_cvt_f32_f16 v15, v3;
	;;#ASMEND
	;;#ASMSTART
	v_cvt_f32_f16 v34, v34;
	;;#ASMEND
	;;#ASMSTART
	v_cvt_f32_f16 v48, v2;
	;;#ASMEND
	v_and_b32_e32 v2, 0xffff, v50
	;;#ASMSTART
	v_cvt_f32_f16 v42, v2;
	;;#ASMEND
	ds_read_b64 v[2:3], v30 offset:8
	s_waitcnt lgkmcnt(0)
	v_and_b32_e32 v36, 0xffff, v2
	;;#ASMSTART
	v_cvt_f32_f16 v36, v36;
	;;#ASMEND
	v_lshrrev_b32_e32 v2, 16, v2
	;;#ASMSTART
	v_cvt_f32_f16 v2, v2;
	;;#ASMEND
	;;#ASMSTART
	v_cvt_f32_f16 v35, v35;
	;;#ASMEND
	v_mul_f32_e32 v36, v36, v35
	v_fmac_f32_e32 v36, v0, v38
	v_fma_mixlo_f16 v0, v60, v18, 0
	v_and_b32_e32 v0, 0xffff, v0
	;;#ASMSTART
	v_cvt_f32_f16 v0, v0;
	;;#ASMEND
	v_mul_f32_e32 v38, v2, v0
	v_lshrrev_b32_e32 v0, 16, v3
	v_and_b32_e32 v2, 0xffff, v3
	buffer_load_dword v3, off, s[0:3], s32 offset:160 ; 4-byte Folded Reload
	;;#ASMSTART
	v_cvt_f32_f16 v2, v2;
	;;#ASMEND
	v_fmac_f32_e32 v38, v21, v40
	;;#ASMSTART
	v_cvt_f32_f16 v0, v0;
	;;#ASMEND
	v_fma_mixlo_f16 v40, v60, v43, 0
	v_fma_mixlo_f16 v18, v60, v41, 0
	s_waitcnt vmcnt(0)
	v_fma_mixlo_f16 v3, v60, v3, 0
	v_and_b32_e32 v3, 0xffff, v3
	;;#ASMSTART
	v_cvt_f32_f16 v3, v3;
	;;#ASMEND
	v_mul_f32_e32 v21, v2, v3
	v_fma_mixlo_f16 v2, v60, v45, 0
	v_and_b32_e32 v2, 0xffff, v2
	;;#ASMSTART
	v_cvt_f32_f16 v2, v2;
	;;#ASMEND
	v_mul_f32_e32 v50, v0, v2
	buffer_load_dword v0, off, s[0:3], s32 offset:168 ; 4-byte Folded Reload
	v_fmac_f32_e32 v50, v34, v42
	ds_read_b64 v[34:35], v30 offset:16
	v_fmac_f32_e32 v21, v15, v48
	v_fma_mixlo_f16 v48, v60, v24, 0
	v_fma_mixlo_f16 v24, v60, v61, 0
	;; [unrolled: 1-line block ×3, first 2 shown]
	s_waitcnt lgkmcnt(0)
	v_and_b32_e32 v2, 0xffff, v34
	;;#ASMSTART
	v_cvt_f32_f16 v2, v2;
	;;#ASMEND
	v_lshrrev_b32_e32 v3, 16, v34
	;;#ASMSTART
	v_cvt_f32_f16 v15, v3;
	;;#ASMEND
	v_fma_mixlo_f16 v22, v60, v44, 0
	v_fma_mixlo_f16 v44, v60, v7, 0
	;; [unrolled: 1-line block ×22, first 2 shown]
	v_and_b32_e32 v8, 0xffff, v8
	v_and_b32_e32 v7, 0xffff, v7
	;; [unrolled: 1-line block ×5, first 2 shown]
	s_waitcnt vmcnt(0)
	v_fma_mixlo_f16 v0, v60, v0, 0
	v_and_b32_e32 v0, 0xffff, v0
	;;#ASMSTART
	v_cvt_f32_f16 v0, v0;
	;;#ASMEND
	v_fmac_f32_e32 v36, v2, v0
	buffer_load_dword v2, off, s[0:3], s32 offset:180 ; 4-byte Folded Reload
	v_fma_mixlo_f16 v0, v60, v23, 0
	s_waitcnt vmcnt(0)
	v_fma_mixlo_f16 v42, v60, v2, 0
	v_accvgpr_read_b32 v2, a52
	v_fma_mixlo_f16 v16, v60, v2, 0
	v_accvgpr_read_b32 v2, a51
	v_fma_mixlo_f16 v43, v60, v2, 0
	buffer_load_dword v2, off, s[0:3], s32 offset:176 ; 4-byte Folded Reload
	s_waitcnt vmcnt(0)
	v_fma_mixlo_f16 v23, v60, v2, 0
	buffer_load_dword v2, off, s[0:3], s32 offset:172 ; 4-byte Folded Reload
	s_waitcnt vmcnt(0)
	;; [unrolled: 3-line block ×3, first 2 shown]
	v_fma_mixlo_f16 v59, v60, v2, 0
	v_and_b32_e32 v10, 0xffff, v59
	v_accvgpr_read_b32 v2, a50
	;;#ASMSTART
	v_cvt_f32_f16 v10, v10;
	;;#ASMEND
	v_fma_mixlo_f16 v41, v60, v2, 0
	v_accvgpr_read_b32 v2, a49
	v_fmac_f32_e32 v38, v15, v10
	v_lshrrev_b32_e32 v10, 16, v35
	v_fma_mixlo_f16 v45, v60, v2, 0
	v_fma_mixlo_f16 v2, v60, v11, 0
	v_and_b32_e32 v11, 0xffff, v35
	;;#ASMSTART
	v_cvt_f32_f16 v15, v11;
	;;#ASMEND
	;;#ASMSTART
	v_cvt_f32_f16 v35, v10;
	;;#ASMEND
	v_and_b32_e32 v10, 0xffff, v41
	;;#ASMSTART
	v_cvt_f32_f16 v41, v10;
	;;#ASMEND
	v_and_b32_e32 v10, 0xffff, v45
	;;#ASMSTART
	v_cvt_f32_f16 v45, v10;
	;;#ASMEND
	ds_read_b64 v[10:11], v30 offset:24
	v_fmac_f32_e32 v21, v15, v41
	v_fmac_f32_e32 v50, v35, v45
	v_and_b32_e32 v2, 0xffff, v2
	s_waitcnt lgkmcnt(0)
	v_lshrrev_b32_e32 v15, 16, v10
	v_and_b32_e32 v10, 0xffff, v10
	;;#ASMSTART
	v_cvt_f32_f16 v35, v10;
	;;#ASMEND
	v_and_b32_e32 v10, 0xffff, v43
	;;#ASMSTART
	v_cvt_f32_f16 v15, v15;
	;;#ASMEND
	;;#ASMSTART
	v_cvt_f32_f16 v41, v10;
	;;#ASMEND
	v_and_b32_e32 v10, 0xffff, v16
	;;#ASMSTART
	v_cvt_f32_f16 v16, v10;
	;;#ASMEND
	v_lshrrev_b32_e32 v10, 16, v11
	v_and_b32_e32 v11, 0xffff, v11
	;;#ASMSTART
	v_cvt_f32_f16 v43, v11;
	;;#ASMEND
	;;#ASMSTART
	v_cvt_f32_f16 v45, v10;
	;;#ASMEND
	v_and_b32_e32 v10, 0xffff, v23
	;;#ASMSTART
	v_cvt_f32_f16 v23, v10;
	;;#ASMEND
	v_and_b32_e32 v10, 0xffff, v46
	;;#ASMSTART
	v_cvt_f32_f16 v46, v10;
	;;#ASMEND
	ds_read_b64 v[10:11], v30 offset:32
	v_fmac_f32_e32 v38, v15, v16
	v_fmac_f32_e32 v21, v43, v23
	v_fmac_f32_e32 v36, v35, v41
	v_fmac_f32_e32 v50, v45, v46
	s_waitcnt lgkmcnt(0)
	v_lshrrev_b32_e32 v15, 16, v10
	v_and_b32_e32 v10, 0xffff, v10
	;;#ASMSTART
	v_cvt_f32_f16 v16, v10;
	;;#ASMEND
	v_and_b32_e32 v10, 0xffff, v56
	;;#ASMSTART
	v_cvt_f32_f16 v15, v15;
	;;#ASMEND
	;;#ASMSTART
	v_cvt_f32_f16 v23, v10;
	;;#ASMEND
	v_and_b32_e32 v10, 0xffff, v42
	;;#ASMSTART
	v_cvt_f32_f16 v35, v10;
	;;#ASMEND
	v_lshrrev_b32_e32 v10, 16, v11
	v_and_b32_e32 v11, 0xffff, v11
	;;#ASMSTART
	v_cvt_f32_f16 v41, v11;
	;;#ASMEND
	;;#ASMSTART
	v_cvt_f32_f16 v42, v10;
	;;#ASMEND
	v_and_b32_e32 v10, 0xffff, v18
	;;#ASMSTART
	v_cvt_f32_f16 v18, v10;
	;;#ASMEND
	v_and_b32_e32 v10, 0xffff, v19
	;;#ASMSTART
	v_cvt_f32_f16 v19, v10;
	;;#ASMEND
	ds_read_b64 v[10:11], v30 offset:40
	v_fmac_f32_e32 v38, v15, v35
	v_fmac_f32_e32 v36, v16, v23
	v_fmac_f32_e32 v21, v41, v18
	v_fmac_f32_e32 v50, v42, v19
	;; [unrolled: 38-line block ×4, first 2 shown]
	s_waitcnt lgkmcnt(0)
	v_lshrrev_b32_e32 v12, 16, v10
	v_and_b32_e32 v10, 0xffff, v10
	;;#ASMSTART
	v_cvt_f32_f16 v14, v10;
	;;#ASMEND
	v_and_b32_e32 v10, 0xffff, v62
	;;#ASMSTART
	v_cvt_f32_f16 v12, v12;
	;;#ASMEND
	;;#ASMSTART
	v_cvt_f32_f16 v15, v10;
	;;#ASMEND
	v_and_b32_e32 v10, 0xffff, v55
	;;#ASMSTART
	v_cvt_f32_f16 v16, v10;
	;;#ASMEND
	v_lshrrev_b32_e32 v10, 16, v11
	v_and_b32_e32 v11, 0xffff, v11
	;;#ASMSTART
	v_cvt_f32_f16 v17, v11;
	;;#ASMEND
	;;#ASMSTART
	v_cvt_f32_f16 v18, v10;
	;;#ASMEND
	v_and_b32_e32 v10, 0xffff, v13
	;;#ASMSTART
	v_cvt_f32_f16 v13, v10;
	;;#ASMEND
	;;#ASMSTART
	v_cvt_f32_f16 v8, v8;
	;;#ASMEND
	ds_read_b64 v[10:11], v30 offset:64
	v_fmac_f32_e32 v50, v18, v8
	v_fmac_f32_e32 v38, v12, v16
	v_fmac_f32_e32 v21, v17, v13
	v_fmac_f32_e32 v36, v14, v15
	s_waitcnt lgkmcnt(0)
	v_lshrrev_b32_e32 v8, 16, v10
	v_and_b32_e32 v10, 0xffff, v10
	;;#ASMSTART
	v_cvt_f32_f16 v10, v10;
	;;#ASMEND
	;;#ASMSTART
	v_cvt_f32_f16 v12, v8;
	;;#ASMEND
	v_and_b32_e32 v8, 0xffff, v28
	;;#ASMSTART
	v_cvt_f32_f16 v13, v8;
	;;#ASMEND
	v_and_b32_e32 v8, 0xffff, v44
	;;#ASMSTART
	v_cvt_f32_f16 v14, v8;
	;;#ASMEND
	v_lshrrev_b32_e32 v8, 16, v11
	v_and_b32_e32 v11, 0xffff, v11
	;;#ASMSTART
	v_cvt_f32_f16 v11, v11;
	;;#ASMEND
	;;#ASMSTART
	v_cvt_f32_f16 v15, v8;
	;;#ASMEND
	v_and_b32_e32 v8, 0xffff, v9
	;;#ASMSTART
	v_cvt_f32_f16 v16, v8;
	;;#ASMEND
	;;#ASMSTART
	v_cvt_f32_f16 v7, v7;
	;;#ASMEND
	ds_read_b64 v[8:9], v30 offset:72
	v_fmac_f32_e32 v50, v15, v7
	v_fmac_f32_e32 v36, v10, v13
	;; [unrolled: 1-line block ×4, first 2 shown]
	s_waitcnt lgkmcnt(0)
	v_lshrrev_b32_e32 v7, 16, v8
	v_and_b32_e32 v8, 0xffff, v8
	;;#ASMSTART
	v_cvt_f32_f16 v8, v8;
	;;#ASMEND
	;;#ASMSTART
	v_cvt_f32_f16 v10, v7;
	;;#ASMEND
	v_and_b32_e32 v7, 0xffff, v61
	;;#ASMSTART
	v_cvt_f32_f16 v11, v7;
	;;#ASMEND
	v_and_b32_e32 v7, 0xffff, v58
	;;#ASMSTART
	v_cvt_f32_f16 v12, v7;
	;;#ASMEND
	v_lshrrev_b32_e32 v7, 16, v9
	v_and_b32_e32 v9, 0xffff, v9
	;;#ASMSTART
	v_cvt_f32_f16 v9, v9;
	;;#ASMEND
	;;#ASMSTART
	v_cvt_f32_f16 v13, v7;
	;;#ASMEND
	v_and_b32_e32 v7, 0xffff, v22
	;;#ASMSTART
	v_cvt_f32_f16 v14, v7;
	;;#ASMEND
	;;#ASMSTART
	v_cvt_f32_f16 v15, v6;
	;;#ASMEND
	ds_read_b64 v[6:7], v30 offset:80
	v_fmac_f32_e32 v36, v8, v11
	v_fmac_f32_e32 v21, v9, v14
	;; [unrolled: 1-line block ×4, first 2 shown]
	s_waitcnt lgkmcnt(0)
	v_lshrrev_b32_e32 v8, 16, v6
	v_and_b32_e32 v6, 0xffff, v6
	;;#ASMSTART
	v_cvt_f32_f16 v9, v6;
	;;#ASMEND
	v_and_b32_e32 v6, 0xffff, v48
	;;#ASMSTART
	v_cvt_f32_f16 v8, v8;
	;;#ASMEND
	;;#ASMSTART
	v_cvt_f32_f16 v10, v6;
	;;#ASMEND
	v_and_b32_e32 v6, 0xffff, v51
	;;#ASMSTART
	v_cvt_f32_f16 v11, v6;
	;;#ASMEND
	v_lshrrev_b32_e32 v6, 16, v7
	v_and_b32_e32 v7, 0xffff, v7
	;;#ASMSTART
	v_cvt_f32_f16 v12, v7;
	;;#ASMEND
	;;#ASMSTART
	v_cvt_f32_f16 v13, v6;
	;;#ASMEND
	v_and_b32_e32 v6, 0xffff, v25
	;;#ASMSTART
	v_cvt_f32_f16 v14, v6;
	;;#ASMEND
	v_and_b32_e32 v6, 0xffff, v24
	;;#ASMSTART
	v_cvt_f32_f16 v15, v6;
	;;#ASMEND
	ds_read_b64 v[6:7], v30 offset:88
	v_fmac_f32_e32 v38, v8, v11
	v_fmac_f32_e32 v36, v9, v10
	;; [unrolled: 1-line block ×4, first 2 shown]
	s_waitcnt lgkmcnt(0)
	v_lshrrev_b32_e32 v8, 16, v6
	v_and_b32_e32 v6, 0xffff, v6
	;;#ASMSTART
	v_cvt_f32_f16 v9, v6;
	;;#ASMEND
	v_and_b32_e32 v6, 0xffff, v52
	;;#ASMSTART
	v_cvt_f32_f16 v8, v8;
	;;#ASMEND
	;;#ASMSTART
	v_cvt_f32_f16 v10, v6;
	;;#ASMEND
	v_and_b32_e32 v6, 0xffff, v31
	;;#ASMSTART
	v_cvt_f32_f16 v11, v6;
	;;#ASMEND
	v_lshrrev_b32_e32 v6, 16, v7
	v_and_b32_e32 v7, 0xffff, v7
	;;#ASMSTART
	v_cvt_f32_f16 v12, v7;
	;;#ASMEND
	;;#ASMSTART
	v_cvt_f32_f16 v13, v6;
	;;#ASMEND
	v_and_b32_e32 v6, 0xffff, v29
	;;#ASMSTART
	v_cvt_f32_f16 v14, v6;
	;;#ASMEND
	v_and_b32_e32 v6, 0xffff, v27
	;;#ASMSTART
	v_cvt_f32_f16 v15, v6;
	;;#ASMEND
	ds_read_b64 v[6:7], v30 offset:96
	v_fmac_f32_e32 v38, v8, v11
	v_fmac_f32_e32 v36, v9, v10
	;; [unrolled: 1-line block ×4, first 2 shown]
	s_waitcnt lgkmcnt(0)
	v_lshrrev_b32_e32 v8, 16, v6
	v_and_b32_e32 v6, 0xffff, v6
	;;#ASMSTART
	v_cvt_f32_f16 v9, v6;
	;;#ASMEND
	v_and_b32_e32 v6, 0xffff, v49
	;;#ASMSTART
	v_cvt_f32_f16 v8, v8;
	;;#ASMEND
	;;#ASMSTART
	v_cvt_f32_f16 v10, v6;
	;;#ASMEND
	v_and_b32_e32 v6, 0xffff, v57
	;;#ASMSTART
	v_cvt_f32_f16 v11, v6;
	;;#ASMEND
	v_lshrrev_b32_e32 v6, 16, v7
	v_and_b32_e32 v7, 0xffff, v7
	;;#ASMSTART
	v_cvt_f32_f16 v12, v7;
	;;#ASMEND
	;;#ASMSTART
	v_cvt_f32_f16 v13, v6;
	;;#ASMEND
	v_and_b32_e32 v6, 0xffff, v26
	;;#ASMSTART
	v_cvt_f32_f16 v14, v6;
	;;#ASMEND
	;;#ASMSTART
	v_cvt_f32_f16 v5, v5;
	;;#ASMEND
	ds_read_b64 v[6:7], v30 offset:104
	v_fmac_f32_e32 v50, v13, v5
	v_fmac_f32_e32 v38, v8, v11
	;; [unrolled: 1-line block ×4, first 2 shown]
	s_waitcnt lgkmcnt(0)
	v_lshrrev_b32_e32 v5, 16, v6
	v_and_b32_e32 v6, 0xffff, v6
	;;#ASMSTART
	v_cvt_f32_f16 v6, v6;
	;;#ASMEND
	;;#ASMSTART
	v_cvt_f32_f16 v8, v5;
	;;#ASMEND
	v_and_b32_e32 v5, 0xffff, v39
	;;#ASMSTART
	v_cvt_f32_f16 v9, v5;
	;;#ASMEND
	v_and_b32_e32 v5, 0xffff, v34
	;;#ASMSTART
	v_cvt_f32_f16 v10, v5;
	;;#ASMEND
	v_lshrrev_b32_e32 v5, 16, v7
	v_and_b32_e32 v7, 0xffff, v7
	;;#ASMSTART
	v_cvt_f32_f16 v7, v7;
	;;#ASMEND
	;;#ASMSTART
	v_cvt_f32_f16 v11, v5;
	;;#ASMEND
	v_and_b32_e32 v5, 0xffff, v20
	;;#ASMSTART
	v_cvt_f32_f16 v12, v5;
	;;#ASMEND
	;;#ASMSTART
	v_cvt_f32_f16 v13, v4;
	;;#ASMEND
	ds_read_b64 v[4:5], v30 offset:112
	v_fmac_f32_e32 v36, v6, v9
	v_fmac_f32_e32 v38, v8, v10
	;; [unrolled: 1-line block ×4, first 2 shown]
	s_waitcnt lgkmcnt(0)
	v_lshrrev_b32_e32 v6, 16, v4
	v_and_b32_e32 v4, 0xffff, v4
	;;#ASMSTART
	v_cvt_f32_f16 v4, v4;
	;;#ASMEND
	;;#ASMSTART
	v_cvt_f32_f16 v6, v6;
	;;#ASMEND
	;; [unrolled: 3-line block ×4, first 2 shown]
	v_fmac_f32_e32 v36, v4, v3
	v_and_b32_e32 v3, 0xffff, v5
	v_fmac_f32_e32 v38, v6, v2
	v_lshrrev_b32_e32 v2, 16, v5
	;;#ASMSTART
	v_cvt_f32_f16 v3, v3;
	;;#ASMEND
	;;#ASMSTART
	v_cvt_f32_f16 v2, v2;
	;;#ASMEND
	;;#ASMSTART
	v_cvt_f32_f16 v1, v1;
	;;#ASMEND
	v_and_b32_e32 v0, 0xffff, v47
	v_fmac_f32_e32 v21, v3, v1
	v_accvgpr_read_b32 v3, a47
	;;#ASMSTART
	v_cvt_f32_f16 v0, v0;
	;;#ASMEND
	v_fmac_f32_e32 v50, v2, v0
	v_and_b32_e32 v2, 64, v3
	v_xor_b32_e32 v1, 1, v3
	v_add_u32_e32 v2, 64, v2
	v_add_f32_e32 v0, v36, v38
	v_cmp_lt_i32_e64 s[8:9], v1, v2
	v_add_f32_e32 v0, v0, v21
	v_cndmask_b32_e64 v1, v3, v1, s[8:9]
	v_add_f32_e32 v0, v50, v0
	v_lshlrev_b32_e32 v1, 2, v1
	ds_bpermute_b32 v1, v1, v0
	s_and_saveexec_b64 s[30:31], vcc
	s_cbranch_execz .LBB304_11
; %bb.377:                              ;   in Loop: Header=BB304_13 Depth=1
	v_accvgpr_read_b32 v4, a43
	v_accvgpr_read_b32 v2, a46
	;; [unrolled: 1-line block ×3, first 2 shown]
	v_add_u32_e32 v2, v2, v4
	v_add_u32_e32 v3, v3, v4
	buffer_load_dword v4, off, s[0:3], s32 offset:188 ; 4-byte Folded Reload
	v_cvt_f32_i32_e32 v2, v2
	s_waitcnt lgkmcnt(0)
	v_add_f32_e32 v0, v0, v1
	v_accvgpr_read_b32 v1, a34
	s_load_dword s8, s[22:23], 0x0
	s_waitcnt vmcnt(0)
	v_mul_f32_e32 v2, v4, v2
	v_cndmask_b32_e64 v2, 0, v2, s[6:7]
	v_fmac_f32_e32 v2, v0, v1
	buffer_load_dword v1, off, s[0:3], s32 offset:184 ; 4-byte Folded Reload
	v_accvgpr_read_b32 v4, a45
	v_accvgpr_read_b32 v0, a8
	s_waitcnt lgkmcnt(0)
	v_add_u32_e32 v4, s8, v4
	v_cmp_lt_i32_e64 s[8:9], v3, v0
	v_cndmask_b32_e64 v0, 0, v2, s[8:9]
	ds_write_b32 v4, v0
	s_waitcnt vmcnt(0)
	v_max_f32_e32 v0, v1, v1
	v_max_f32_e32 v0, v0, v2
	v_cndmask_b32_e64 v1, v1, v0, s[8:9]
	buffer_store_dword v1, off, s[0:3], s32 offset:184 ; 4-byte Folded Spill
	s_branch .LBB304_11
.LBB304_378:
	s_or_b64 exec, exec, s[28:29]
	buffer_load_dword v7, off, s[0:3], s32 offset:184 ; 4-byte Folded Reload
	v_accvgpr_read_b32 v6, a36
.LBB304_379:
	s_or_b64 exec, exec, s[20:21]
	v_mbcnt_hi_u32_b32 v1, -1, v6
	v_and_b32_e32 v0, 64, v1
	v_add_u32_e32 v2, 64, v0
	v_xor_b32_e32 v0, 32, v1
	v_cmp_lt_i32_e32 vcc, v0, v2
	v_cndmask_b32_e32 v0, v1, v0, vcc
	v_lshlrev_b32_e32 v3, 2, v0
	s_waitcnt vmcnt(0)
	ds_bpermute_b32 v0, v3, v7
	v_xor_b32_e32 v5, 16, v1
	v_max_f32_e32 v4, v7, v7
	v_cmp_lt_i32_e32 vcc, v5, v2
	v_xor_b32_e32 v6, 8, v1
	s_waitcnt lgkmcnt(0)
	v_max_f32_e32 v0, v0, v0
	v_max_f32_e32 v0, v4, v0
	v_cndmask_b32_e32 v4, v1, v5, vcc
	v_lshlrev_b32_e32 v4, 2, v4
	ds_bpermute_b32 v5, v4, v0
	v_cmp_lt_i32_e32 vcc, v6, v2
	v_xor_b32_e32 v7, 4, v1
	v_xor_b32_e32 v9, 2, v1
	s_lshr_b32 s28, s38, 16
	s_waitcnt lgkmcnt(0)
	v_max_f32_e32 v5, v5, v5
	v_max_f32_e32 v0, v0, v5
	v_cndmask_b32_e32 v5, v1, v6, vcc
	v_lshlrev_b32_e32 v5, 2, v5
	ds_bpermute_b32 v6, v5, v0
	v_cmp_lt_i32_e32 vcc, v7, v2
	s_waitcnt lgkmcnt(0)
	v_max_f32_e32 v6, v6, v6
	v_max_f32_e32 v0, v0, v6
	v_cndmask_b32_e32 v6, v1, v7, vcc
	v_lshlrev_b32_e32 v6, 2, v6
	ds_bpermute_b32 v7, v6, v0
	v_cmp_lt_i32_e32 vcc, v9, v2
	s_waitcnt lgkmcnt(0)
	v_max_f32_e32 v7, v7, v7
	v_max_f32_e32 v8, v0, v7
	v_cndmask_b32_e32 v0, v1, v9, vcc
	v_lshlrev_b32_e32 v13, 2, v0
	ds_bpermute_b32 v9, v13, v8
	v_accvgpr_read_b32 v0, a2
	v_and_b32_e32 v0, 63, v0
	v_accvgpr_read_b32 v7, a25
	v_cmp_eq_u32_e32 vcc, 0, v0
	v_lshlrev_b32_e32 v7, 2, v7
	s_and_saveexec_b64 s[6:7], vcc
	s_cbranch_execz .LBB304_381
; %bb.380:
	s_waitcnt lgkmcnt(0)
	v_max_f32_e32 v9, v9, v9
	v_max_f32_e32 v8, v8, v8
	;; [unrolled: 1-line block ×3, first 2 shown]
	ds_write_b32 v7, v8 offset:240
.LBB304_381:
	s_or_b64 exec, exec, s[6:7]
	v_cmp_gt_u32_e64 s[6:7], 2, v0
	s_waitcnt lgkmcnt(0)
	v_mov_b32_e32 v9, 0xff7fffff
	v_lshlrev_b32_e32 v8, 2, v0
	s_barrier
	s_and_saveexec_b64 s[8:9], s[6:7]
	s_cbranch_execz .LBB304_383
; %bb.382:
	ds_read_b32 v9, v8 offset:240
.LBB304_383:
	s_or_b64 exec, exec, s[8:9]
	v_xor_b32_e32 v10, 1, v1
	v_cmp_lt_i32_e64 s[8:9], v10, v2
	v_cndmask_b32_e64 v2, v1, v10, s[8:9]
	v_lshlrev_b32_e32 v40, 2, v2
	s_waitcnt lgkmcnt(0)
	ds_bpermute_b32 v2, v40, v9
	v_accvgpr_read_b32 v10, a11
	v_subrev_u32_e32 v10, s27, v10
	v_max_f32_e32 v9, v9, v9
	v_lshlrev_b32_e32 v1, 2, v1
	s_waitcnt lgkmcnt(0)
	v_max_f32_e32 v2, v2, v2
	v_lshl_add_u32 v11, v10, 5, s19
	v_max_f32_e32 v2, v9, v2
	v_and_b32_e32 v10, 0x100, v1
	ds_bpermute_b32 v1, v10, v2
	v_accvgpr_read_b32 v2, a8
	v_min_i32_e32 v9, v11, v2
	v_subrev_u32_e32 v2, s19, v9
	v_accvgpr_read_b32 v11, a2
	v_cmp_lt_i32_e64 s[8:9], v11, v2
	v_mov_b32_e32 v11, 0
	s_and_saveexec_b64 s[20:21], s[8:9]
	s_cbranch_execz .LBB304_387
; %bb.384:
	s_ashr_i32 s17, s16, 31
	s_lshl_b64 s[10:11], s[16:17], 2
	s_getpc_b64 s[22:23]
	s_add_u32 s22, s22, llvm.amdgcn.dynlds.offset.table@rel32@lo+4
	s_addc_u32 s23, s23, llvm.amdgcn.dynlds.offset.table@rel32@hi+12
	s_add_u32 s10, s10, s22
	s_addc_u32 s11, s11, s23
	s_load_dword s10, s[10:11], 0x0
	v_accvgpr_read_b32 v14, a2
	s_mov_b64 s[22:23], 0
	v_mov_b32_e32 v11, 0
	s_waitcnt lgkmcnt(0)
	v_lshl_add_u32 v12, v14, 2, s10
.LBB304_385:                            ; =>This Inner Loop Header: Depth=1
	ds_read_b32 v15, v12
	v_add_u32_e32 v14, 0x80, v14
	v_cmp_ge_i32_e64 s[10:11], v14, v2
	s_or_b64 s[22:23], s[10:11], s[22:23]
	s_waitcnt lgkmcnt(0)
	v_sub_f32_e32 v15, v15, v1
	v_mul_f32_e32 v15, 0x3fb8aa3b, v15
	v_exp_f32_e32 v15, v15
	ds_write_b32 v12, v15
	v_add_f32_e32 v11, v11, v15
	v_add_u32_e32 v12, 0x200, v12
	s_andn2_b64 exec, exec, s[22:23]
	s_cbranch_execnz .LBB304_385
; %bb.386:
	s_or_b64 exec, exec, s[22:23]
.LBB304_387:
	s_or_b64 exec, exec, s[20:21]
	ds_bpermute_b32 v3, v3, v11
	s_waitcnt lgkmcnt(0)
	v_add_f32_e32 v3, v11, v3
	ds_bpermute_b32 v4, v4, v3
	s_waitcnt lgkmcnt(0)
	v_add_f32_e32 v3, v3, v4
	;; [unrolled: 3-line block ×6, first 2 shown]
	s_and_saveexec_b64 s[10:11], vcc
	s_cbranch_execz .LBB304_389
; %bb.388:
	ds_write_b32 v7, v3 offset:248
.LBB304_389:
	s_or_b64 exec, exec, s[10:11]
	s_waitcnt lgkmcnt(0)
	s_barrier
	s_and_saveexec_b64 s[10:11], s[6:7]
	s_cbranch_execz .LBB304_391
; %bb.390:
	ds_read_b32 v3, v8 offset:248
.LBB304_391:
	s_or_b64 exec, exec, s[10:11]
	s_waitcnt lgkmcnt(0)
	ds_bpermute_b32 v4, v40, v3
	s_waitcnt lgkmcnt(0)
	v_add_f32_e32 v3, v3, v4
	ds_bpermute_b32 v3, v10, v3
	s_and_saveexec_b64 s[6:7], s[8:9]
	s_cbranch_execz .LBB304_404
; %bb.392:
	s_waitcnt lgkmcnt(0)
	v_add_f32_e32 v4, 0x358637bd, v3
	v_div_scale_f32 v5, s[8:9], v4, v4, 1.0
	v_rcp_f32_e32 v6, v5
	v_div_scale_f32 v7, vcc, 1.0, v4, 1.0
	s_movk_i32 s8, 0x7f
	v_fma_f32 v8, -v5, v6, 1.0
	v_fmac_f32_e32 v6, v8, v6
	v_mul_f32_e32 v8, v7, v6
	v_fma_f32 v10, -v5, v8, v7
	v_fmac_f32_e32 v8, v10, v6
	v_fma_f32 v5, -v5, v8, v7
	v_div_fmas_f32 v5, v5, v6, v8
	v_accvgpr_read_b32 v6, a2
	v_div_fixup_f32 v8, v5, v4, 1.0
	v_xad_u32 v4, v6, -1, v9
	v_subrev_u32_e32 v5, s19, v4
	v_cmp_lt_u32_e32 vcc, s8, v5
	s_mov_b64 s[10:11], -1
	v_accvgpr_read_b32 v4, a2
	s_and_saveexec_b64 s[8:9], vcc
	s_cbranch_execz .LBB304_401
; %bb.393:
	v_lshrrev_b32_e32 v4, 7, v5
	v_add_u32_e32 v6, -1, v4
	v_lshrrev_b32_e32 v5, 1, v6
	v_mov_b32_e32 v9, v8
	v_add_u32_e32 v5, 1, v5
	v_cmp_lt_u32_e32 vcc, 13, v6
	v_mov_b32_e32 v10, 0
	s_and_saveexec_b64 s[10:11], vcc
	s_cbranch_execz .LBB304_397
; %bb.394:
	s_ashr_i32 s17, s16, 31
	s_lshl_b64 s[20:21], s[16:17], 2
	s_getpc_b64 s[22:23]
	s_add_u32 s22, s22, llvm.amdgcn.dynlds.offset.table@rel32@lo+4
	s_addc_u32 s23, s23, llvm.amdgcn.dynlds.offset.table@rel32@hi+12
	s_add_u32 s20, s20, s22
	s_addc_u32 s21, s21, s23
	s_load_dword s19, s[20:21], 0x0
	v_accvgpr_read_b32 v7, a2
	v_and_b32_e32 v6, -8, v5
	s_mov_b32 s17, 0
	s_mov_b64 s[20:21], 0
	s_waitcnt lgkmcnt(0)
	v_lshl_add_u32 v7, v7, 2, s19
.LBB304_395:                            ; =>This Inner Loop Header: Depth=1
	ds_read2st64_b32 v[10:11], v7 offset1:2
	ds_read2st64_b32 v[14:15], v7 offset0:4 offset1:6
	ds_read2st64_b32 v[20:21], v7 offset0:8 offset1:10
	;; [unrolled: 1-line block ×3, first 2 shown]
	v_add_u32_e32 v6, -8, v6
	s_waitcnt lgkmcnt(3)
	v_pk_mul_f32 v[10:11], v[8:9], v[10:11]
	s_waitcnt lgkmcnt(2)
	v_pk_mul_f32 v[14:15], v[8:9], v[14:15]
	ds_write2st64_b32 v7, v10, v11 offset1:2
	ds_write2st64_b32 v7, v14, v15 offset0:4 offset1:6
	ds_read2st64_b32 v[14:15], v7 offset0:16 offset1:18
	s_waitcnt lgkmcnt(4)
	v_pk_mul_f32 v[10:11], v[8:9], v[20:21]
	ds_write2st64_b32 v7, v10, v11 offset0:8 offset1:10
	s_waitcnt lgkmcnt(4)
	v_pk_mul_f32 v[10:11], v[8:9], v[24:25]
	ds_write2st64_b32 v7, v10, v11 offset0:12 offset1:14
	ds_read2st64_b32 v[10:11], v7 offset0:20 offset1:22
	s_waitcnt lgkmcnt(3)
	v_pk_mul_f32 v[14:15], v[8:9], v[14:15]
	ds_read2st64_b32 v[20:21], v7 offset0:24 offset1:26
	ds_write2st64_b32 v7, v14, v15 offset0:16 offset1:18
	ds_read2st64_b32 v[14:15], v7 offset0:28 offset1:30
	s_waitcnt lgkmcnt(3)
	v_pk_mul_f32 v[10:11], v[8:9], v[10:11]
	ds_write2st64_b32 v7, v10, v11 offset0:20 offset1:22
	s_waitcnt lgkmcnt(3)
	v_pk_mul_f32 v[10:11], v[8:9], v[20:21]
	ds_write2st64_b32 v7, v10, v11 offset0:24 offset1:26
	s_waitcnt lgkmcnt(2)
	v_pk_mul_f32 v[10:11], v[8:9], v[14:15]
	s_add_i32 s17, s17, 16
	v_cmp_eq_u32_e32 vcc, 0, v6
	ds_write2st64_b32 v7, v10, v11 offset0:28 offset1:30
	v_add_u32_e32 v7, 0x2000, v7
	s_or_b64 s[20:21], vcc, s[20:21]
	v_mov_b32_e32 v10, s17
	s_andn2_b64 exec, exec, s[20:21]
	s_cbranch_execnz .LBB304_395
; %bb.396:
	s_or_b64 exec, exec, s[20:21]
.LBB304_397:
	s_or_b64 exec, exec, s[10:11]
	v_and_b32_e32 v5, 7, v5
	v_cmp_ne_u32_e32 vcc, 0, v5
	s_and_saveexec_b64 s[10:11], vcc
	s_cbranch_execz .LBB304_400
; %bb.398:
	s_ashr_i32 s17, s16, 31
	s_lshl_b64 s[20:21], s[16:17], 2
	s_getpc_b64 s[22:23]
	s_add_u32 s22, s22, llvm.amdgcn.dynlds.offset.table@rel32@lo+4
	s_addc_u32 s23, s23, llvm.amdgcn.dynlds.offset.table@rel32@hi+12
	s_add_u32 s20, s20, s22
	s_addc_u32 s21, s21, s23
	s_load_dword s17, s[20:21], 0x0
	v_accvgpr_read_b32 v7, a2
	v_lshlrev_b32_e32 v6, 9, v10
	v_lshlrev_b32_e32 v7, 2, v7
	s_mov_b64 s[20:21], 0
	s_waitcnt lgkmcnt(0)
	v_add3_u32 v6, v6, v7, s17
.LBB304_399:                            ; =>This Inner Loop Header: Depth=1
	ds_read2st64_b32 v[10:11], v6 offset1:2
	v_add_u32_e32 v5, -1, v5
	v_cmp_eq_u32_e32 vcc, 0, v5
	s_or_b64 s[20:21], vcc, s[20:21]
	s_waitcnt lgkmcnt(0)
	v_pk_mul_f32 v[10:11], v[8:9], v[10:11]
	ds_write2st64_b32 v6, v10, v11 offset1:2
	v_add_u32_e32 v6, 0x400, v6
	s_andn2_b64 exec, exec, s[20:21]
	s_cbranch_execnz .LBB304_399
.LBB304_400:
	s_or_b64 exec, exec, s[10:11]
	v_add_u32_e32 v5, 1, v4
	v_and_b32_e32 v6, 0x3fffffe, v5
	v_accvgpr_read_b32 v4, a2
	v_cmp_ne_u32_e32 vcc, v5, v6
	v_lshl_add_u32 v4, v6, 7, v4
	s_orn2_b64 s[10:11], vcc, exec
.LBB304_401:
	s_or_b64 exec, exec, s[8:9]
	s_and_b64 exec, exec, s[10:11]
	s_cbranch_execz .LBB304_404
; %bb.402:
	s_ashr_i32 s17, s16, 31
	s_lshl_b64 s[8:9], s[16:17], 2
	s_getpc_b64 s[10:11]
	s_add_u32 s10, s10, llvm.amdgcn.dynlds.offset.table@rel32@lo+4
	s_addc_u32 s11, s11, llvm.amdgcn.dynlds.offset.table@rel32@hi+12
	s_add_u32 s8, s8, s10
	s_addc_u32 s9, s9, s11
	s_load_dword s8, s[8:9], 0x0
	s_waitcnt lgkmcnt(0)
	v_lshl_add_u32 v5, v4, 2, s8
	s_mov_b64 s[8:9], 0
.LBB304_403:                            ; =>This Inner Loop Header: Depth=1
	ds_read_b32 v6, v5
	v_add_u32_e32 v4, 0x80, v4
	v_cmp_ge_i32_e32 vcc, v4, v2
	s_or_b64 s[8:9], vcc, s[8:9]
	s_waitcnt lgkmcnt(0)
	v_mul_f32_e32 v6, v8, v6
	ds_write_b32 v5, v6
	v_add_u32_e32 v5, 0x200, v5
	s_andn2_b64 exec, exec, s[8:9]
	s_cbranch_execnz .LBB304_403
.LBB304_404:
	s_or_b64 exec, exec, s[6:7]
	v_cmp_ne_u16_e64 s[6:7], s28, 0
	s_cmp_lg_u64 s[6:7], 0
	s_addc_u32 s27, s13, 0
	v_accvgpr_read_b32 v2, a2
	s_mul_i32 s6, s27, s18
	v_cmp_eq_u32_e32 vcc, 0, v2
	s_mul_i32 s8, s6, s15
	s_waitcnt lgkmcnt(0)
	s_barrier
	s_and_saveexec_b64 s[6:7], vcc
	s_cbranch_execz .LBB304_406
; %bb.405:
	s_mul_i32 s12, s27, s12
	s_ashr_i32 s9, s8, 31
	s_ashr_i32 s13, s12, 31
	;; [unrolled: 1-line block ×3, first 2 shown]
	s_lshl_b64 s[10:11], s[8:9], 2
	s_lshl_b64 s[12:13], s[12:13], 2
	;; [unrolled: 1-line block ×3, first 2 shown]
	s_add_u32 s9, s18, s12
	s_addc_u32 s12, s19, s13
	s_add_u32 s9, s9, s10
	s_addc_u32 s10, s12, s11
	v_accvgpr_read_b32 v4, a23
	v_mov_b32_e32 v2, s10
	v_add_co_u32_e32 v4, vcc, s9, v4
	v_accvgpr_read_b32 v5, a22
	v_addc_co_u32_e32 v5, vcc, v2, v5, vcc
	v_accvgpr_read_b32 v2, a21
	flat_store_dword v[4:5], v1
	v_mov_b32_e32 v1, s10
	v_add_co_u32_e32 v4, vcc, s9, v2
	v_accvgpr_read_b32 v2, a20
	v_addc_co_u32_e32 v5, vcc, v1, v2, vcc
	flat_store_dword v[4:5], v3
.LBB304_406:
	s_or_b64 exec, exec, s[6:7]
	s_ashr_i32 s17, s16, 31
	s_lshl_b64 s[6:7], s[16:17], 2
	s_getpc_b64 s[10:11]
	s_add_u32 s10, s10, llvm.amdgcn.dynlds.offset.table@rel32@lo+4
	s_addc_u32 s11, s11, llvm.amdgcn.dynlds.offset.table@rel32@hi+12
	s_add_u32 s10, s6, s10
	v_lshrrev_b32_e32 v62, 2, v0
	v_accvgpr_read_b32 v0, a2
	s_addc_u32 s11, s7, s11
	s_mov_b32 s16, 0
	v_mov_b32_e32 v39, 0
	v_and_b32_e32 v20, 3, v0
	v_mov_b32_e32 v38, 0
	v_mov_b32_e32 v37, 0
	;; [unrolled: 1-line block ×7, first 2 shown]
	s_and_saveexec_b64 s[12:13], s[4:5]
	s_cbranch_execz .LBB304_814
; %bb.407:
	v_accvgpr_read_b32 v0, a24
	v_and_b32_e32 v41, 24, v0
	v_accvgpr_read_b32 v0, a19
	v_accvgpr_read_b32 v1, a30
	v_add_co_u32_e32 v0, vcc, v0, v1
	v_accvgpr_read_b32 v1, a18
	v_accvgpr_read_b32 v2, a31
	v_addc_co_u32_e32 v1, vcc, v1, v2, vcc
	v_accvgpr_read_b32 v30, a35
	v_accvgpr_read_b32 v2, a29
	v_max_i32_e32 v11, v30, v2
	v_cvt_f32_u32_e32 v3, v11
	v_or_b32_e32 v4, 0x70, v62
	s_movk_i32 s4, 0x78
	v_cmp_gt_u32_e32 vcc, s4, v4
	v_rcp_iflag_f32_e32 v3, v3
	v_lshl_or_b32 v10, v4, 5, v41
	v_sub_u32_e32 v4, 0, v11
	v_accvgpr_read_b32 v6, a26
	v_mul_f32_e32 v3, 0x4f7ffffe, v3
	v_cvt_u32_f32_e32 v5, v3
	s_load_dword s6, s[10:11], 0x0
	v_accvgpr_read_b32 v7, a27
	s_mov_b32 s22, s16
	v_mul_lo_u32 v4, v4, v5
	v_mul_hi_u32 v4, v5, v4
	v_add_u32_e32 v12, v5, v4
	v_accvgpr_read_b32 v4, a12
	v_accvgpr_read_b32 v5, a13
	v_lshlrev_b64 v[4:5], 2, v[4:5]
	v_add_co_u32_e64 v4, s[4:5], v6, v4
	v_addc_co_u32_e64 v5, s[4:5], v7, v5, s[4:5]
	v_accvgpr_read_b32 v6, a17
	v_add_co_u32_e64 v14, s[4:5], v6, v4
	v_accvgpr_read_b32 v4, a16
	v_addc_co_u32_e64 v15, s[4:5], v4, v5, s[4:5]
	v_lshlrev_b32_e32 v4, 5, v20
	v_accvgpr_read_b32 v5, a25
	s_mov_b32 s23, s16
	s_mov_b32 s28, -1
	v_accvgpr_read_b32 v2, a28
	v_lshl_or_b32 v4, v5, 7, v4
	s_mov_b32 s17, s16
	s_mov_b32 s18, s16
	;; [unrolled: 1-line block ×5, first 2 shown]
	v_pk_mov_b32 v[38:39], s[22:23], s[22:23] op_sel:[0,1]
	s_mov_b32 s29, 0xffffff
	v_add_u32_e32 v44, -1, v2
	v_lshl_or_b32 v2, v62, 5, v41
	v_mov_b32_e32 v9, 0
	v_accvgpr_read_b32 v3, a8
	v_accvgpr_write_b32 a16, v20
	s_waitcnt lgkmcnt(0)
	v_add_u32_e32 v19, s6, v4
	s_mov_b64 s[30:31], 0
	v_pk_mov_b32 v[36:37], s[20:21], s[20:21] op_sel:[0,1]
	v_pk_mov_b32 v[34:35], s[18:19], s[18:19] op_sel:[0,1]
	;; [unrolled: 1-line block ×3, first 2 shown]
	s_movk_i32 s9, 0x80
	s_movk_i32 s15, 0x7f
	s_mov_b32 s36, 0x8000
	s_movk_i32 s37, 0x380
	s_mov_b32 s38, 0x3020706
	s_mov_b32 s39, 0x1000504
	;; [unrolled: 1-line block ×3, first 2 shown]
	v_mov_b32_e32 v45, 0x2000
	v_accvgpr_read_b32 v7, a15
	s_branch .LBB304_411
.LBB304_408:                            ;   in Loop: Header=BB304_411 Depth=1
	s_or_b64 exec, exec, s[6:7]
	;;#ASMSTART
	v_pk_mul_f16 v6, v58, v17;

	;;#ASMEND
	;;#ASMSTART
	v_pk_mul_f16 v7, v57, v8;

	;;#ASMEND
	;; [unrolled: 4-line block ×4, first 2 shown]
	;;#ASMSTART
	v_pk_add_f16 v6, v6, v7;

	;;#ASMEND
	;;#ASMSTART
	v_pk_add_f16 v4, v6, v4;

	;;#ASMEND
	;; [unrolled: 4-line block ×3, first 2 shown]
	v_lshrrev_b32_e32 v5, 16, v4
	v_and_b32_e32 v4, 0xffff, v4
	;;#ASMSTART
	v_cvt_f32_f16 v4, v4;
	;;#ASMEND
	;;#ASMSTART
	v_cvt_f32_f16 v5, v5;
	;;#ASMEND
	v_add_f32_e32 v4, v4, v5
	v_add_f32_e32 v39, v39, v4
.LBB304_409:                            ;   in Loop: Header=BB304_411 Depth=1
	s_or_b64 exec, exec, s[18:19]
.LBB304_410:                            ;   in Loop: Header=BB304_411 Depth=1
	s_or_b64 exec, exec, s[16:17]
	v_accvgpr_read_b32 v6, a12
	v_add_co_u32_e64 v14, s[4:5], 8, v14
	v_add_u32_e32 v6, 2, v6
	v_addc_co_u32_e64 v15, s[4:5], 0, v15, s[4:5]
	v_accvgpr_read_b32 v4, a11
	v_accvgpr_read_b32 v7, a13
	v_cmp_ge_i32_e64 s[4:5], v6, v4
	v_add_u32_e32 v7, 64, v7
	v_accvgpr_write_b32 a12, v6
	s_or_b64 s[30:31], s[4:5], s[30:31]
	v_add_u32_e32 v19, 0x100, v19
	s_andn2_b64 exec, exec, s[30:31]
	s_cbranch_execz .LBB304_813
.LBB304_411:                            ; =>This Inner Loop Header: Depth=1
	v_ashrrev_i32_e32 v4, 31, v7
	v_accvgpr_read_b32 v5, a9
	v_xor_b32_e32 v4, v4, v5
	v_sub_u32_e32 v5, 0, v7
	v_max_i32_e32 v5, v7, v5
	v_accvgpr_read_b32 v6, a7
	v_mul_hi_u32 v6, v5, v6
	v_accvgpr_read_b32 v8, a3
	v_accvgpr_write_b32 a13, v7
	v_mul_lo_u32 v7, v6, v8
	v_sub_u32_e32 v5, v5, v7
	v_add_u32_e32 v7, 1, v6
	v_cmp_ge_u32_e64 s[4:5], v5, v8
	v_cndmask_b32_e64 v6, v6, v7, s[4:5]
	v_sub_u32_e32 v7, v5, v8
	v_cndmask_b32_e64 v5, v5, v7, s[4:5]
	v_add_u32_e32 v7, 1, v6
	v_cmp_ge_u32_e64 s[4:5], v5, v8
	v_cndmask_b32_e64 v5, v6, v7, s[4:5]
	v_xor_b32_e32 v5, v5, v4
	v_sub_u32_e32 v4, v5, v4
	v_accvgpr_read_b32 v6, a10
	v_add_u32_e32 v5, v4, v6
	v_sub_u32_e32 v7, 0, v5
	v_ashrrev_i32_e32 v6, 31, v5
	v_max_i32_e32 v5, v5, v7
	v_mul_hi_u32 v7, v5, v12
	v_mul_lo_u32 v7, v7, v11
	v_sub_u32_e32 v5, v5, v7
	v_sub_u32_e32 v7, v5, v11
	v_cmp_ge_u32_e64 s[4:5], v5, v11
	v_cndmask_b32_e64 v5, v5, v7, s[4:5]
	v_sub_u32_e32 v7, v5, v11
	v_cmp_ge_u32_e64 s[4:5], v5, v11
	v_cndmask_b32_e64 v5, v5, v7, s[4:5]
	v_xor_b32_e32 v5, v5, v6
	v_sub_u32_e32 v5, v5, v6
	v_cmp_eq_u32_e64 s[4:5], 0, v5
	v_accvgpr_read_b32 v5, a14
	v_cmp_gt_i32_e64 s[6:7], v4, v5
	s_or_b64 s[4:5], s[4:5], s[6:7]
	s_and_saveexec_b64 s[16:17], s[4:5]
	s_cbranch_execz .LBB304_410
; %bb.412:                              ;   in Loop: Header=BB304_411 Depth=1
	flat_load_dword v8, v[14:15]
	ds_read2_b64 v[4:7], v19 offset1:1
	ds_read2_b64 v[24:27], v19 offset0:2 offset1:3
	v_accvgpr_read_b32 v16, a6
	v_accvgpr_read_b32 v29, a5
	s_waitcnt lgkmcnt(0)
	;;#ASMSTART
	v_cvt_f16_f32 v4, v4;

	;;#ASMEND
	;;#ASMSTART
	v_cvt_f16_f32 v5, v5;

	;;#ASMEND
	;; [unrolled: 4-line block ×8, first 2 shown]
	v_accvgpr_read_b32 v28, a4
	flat_load_dword v28, v[28:29]
	v_mov_b32_e32 v48, 0
	v_mov_b32_e32 v30, 0
	s_waitcnt vmcnt(0)
	v_mad_i64_i32 v[20:21], s[4:5], v8, v16, v[0:1]
	v_add_co_u32_e64 v24, s[4:5], v20, v2
	v_addc_co_u32_e64 v25, s[4:5], 0, v21, s[4:5]
	flat_load_dwordx2 v[50:51], v[24:25]
	s_waitcnt vmcnt(0) lgkmcnt(0)
	v_cmp_ne_u16_sdwa s[4:5], v50, v9 src0_sel:BYTE_0 src1_sel:DWORD
	s_and_saveexec_b64 s[6:7], s[4:5]
	s_cbranch_execz .LBB304_418
; %bb.413:                              ;   in Loop: Header=BB304_411 Depth=1
	v_cmp_ne_u16_sdwa s[4:5], v50, s9 src0_sel:BYTE_0 src1_sel:DWORD
	v_bfrev_b32_e32 v30, 1
	s_and_saveexec_b64 s[18:19], s[4:5]
	s_cbranch_execz .LBB304_417
; %bb.414:                              ;   in Loop: Header=BB304_411 Depth=1
	v_and_b32_e32 v8, 0x7f, v50
	v_cmp_ne_u32_e64 s[4:5], s15, v8
	v_mov_b32_e32 v30, 0x7fc02000
	s_and_saveexec_b64 s[20:21], s[4:5]
	s_cbranch_execz .LBB304_416
; %bb.415:                              ;   in Loop: Header=BB304_411 Depth=1
	v_and_b32_e32 v16, 7, v50
	v_ffbh_u32_e32 v16, v16
	v_min_u32_e32 v16, 32, v16
	v_subrev_u32_e32 v23, 28, v16
	v_cmp_gt_u32_e64 s[4:5], 8, v8
	v_lshrrev_b32_e32 v18, 3, v8
	v_sub_u32_e32 v16, 29, v16
	v_cndmask_b32_e64 v8, 0, v23, s[4:5]
	v_lshlrev_b64 v[30:31], v8, v[50:51]
	v_cndmask_b32_e64 v8, v18, v16, s[4:5]
	v_lshlrev_b32_e32 v18, 8, v50
	v_lshl_add_u32 v8, v8, 10, v45
	v_lshlrev_b32_e32 v16, 7, v30
	v_and_or_b32 v8, v18, s36, v8
	v_and_or_b32 v8, v16, s37, v8
	v_cvt_f32_f16_e32 v30, v8
.LBB304_416:                            ;   in Loop: Header=BB304_411 Depth=1
	s_or_b64 exec, exec, s[20:21]
.LBB304_417:                            ;   in Loop: Header=BB304_411 Depth=1
	s_or_b64 exec, exec, s[18:19]
.LBB304_418:                            ;   in Loop: Header=BB304_411 Depth=1
	s_or_b64 exec, exec, s[6:7]
	v_lshrrev_b16_e32 v8, 8, v50
	v_cmp_ne_u16_e64 s[4:5], 0, v8
	s_and_saveexec_b64 s[6:7], s[4:5]
	s_cbranch_execz .LBB304_424
; %bb.419:                              ;   in Loop: Header=BB304_411 Depth=1
	v_cmp_ne_u16_e64 s[4:5], s9, v8
	v_bfrev_b32_e32 v48, 1
	s_and_saveexec_b64 s[18:19], s[4:5]
	s_cbranch_execz .LBB304_423
; %bb.420:                              ;   in Loop: Header=BB304_411 Depth=1
	v_and_b32_e32 v29, 0x7f, v8
	v_cmp_ne_u32_e64 s[4:5], s15, v29
	v_mov_b32_e32 v48, 0x7fc02000
	s_and_saveexec_b64 s[20:21], s[4:5]
	s_cbranch_execz .LBB304_422
; %bb.421:                              ;   in Loop: Header=BB304_411 Depth=1
	v_and_b32_e32 v16, 7, v8
	v_ffbh_u32_e32 v23, v16
	v_min_u32_e32 v23, 32, v23
	v_lshrrev_b32_e32 v18, 3, v29
	v_subrev_u32_e32 v31, 28, v23
	v_sub_u32_e32 v23, 29, v23
	v_cmp_gt_u32_e64 s[4:5], 8, v29
	v_lshlrev_b64 v[48:49], v31, v[8:9]
	v_cndmask_b32_e64 v18, v18, v23, s[4:5]
	v_and_b32_e32 v31, 7, v48
	v_lshlrev_b32_e32 v8, 8, v8
	v_lshl_add_u32 v18, v18, 10, v45
	v_cndmask_b32_e64 v16, v16, v31, s[4:5]
	v_and_or_b32 v8, v8, s36, v18
	v_lshl_or_b32 v8, v16, 7, v8
	v_cvt_f32_f16_e32 v48, v8
.LBB304_422:                            ;   in Loop: Header=BB304_411 Depth=1
	s_or_b64 exec, exec, s[20:21]
.LBB304_423:                            ;   in Loop: Header=BB304_411 Depth=1
	s_or_b64 exec, exec, s[18:19]
.LBB304_424:                            ;   in Loop: Header=BB304_411 Depth=1
	s_or_b64 exec, exec, s[6:7]
	v_lshrrev_b32_e32 v8, 16, v50
	v_cmp_ne_u16_sdwa s[4:5], v8, v9 src0_sel:BYTE_0 src1_sel:DWORD
	v_mov_b32_e32 v49, 0
	v_mov_b32_e32 v31, 0
	s_and_saveexec_b64 s[6:7], s[4:5]
	s_cbranch_execz .LBB304_430
; %bb.425:                              ;   in Loop: Header=BB304_411 Depth=1
	v_cmp_ne_u16_sdwa s[4:5], v8, s9 src0_sel:BYTE_0 src1_sel:DWORD
	v_bfrev_b32_e32 v31, 1
	s_and_saveexec_b64 s[18:19], s[4:5]
	s_cbranch_execz .LBB304_429
; %bb.426:                              ;   in Loop: Header=BB304_411 Depth=1
	v_bfe_u32 v29, v50, 16, 7
	v_cmp_ne_u32_e64 s[4:5], s15, v29
	v_mov_b32_e32 v31, 0x7fc02000
	s_and_saveexec_b64 s[20:21], s[4:5]
	s_cbranch_execz .LBB304_428
; %bb.427:                              ;   in Loop: Header=BB304_411 Depth=1
	v_and_b32_e32 v16, 7, v8
	v_ffbh_u32_e32 v23, v16
	v_min_u32_e32 v23, 32, v23
	v_lshrrev_b32_e32 v18, 3, v29
	v_subrev_u32_e32 v31, 28, v23
	v_sub_u32_e32 v23, 29, v23
	v_cmp_gt_u32_e64 s[4:5], 8, v29
	v_lshlrev_b64 v[52:53], v31, v[8:9]
	v_cndmask_b32_e64 v18, v18, v23, s[4:5]
	v_and_b32_e32 v31, 7, v52
	v_lshlrev_b32_e32 v8, 8, v8
	v_lshl_add_u32 v18, v18, 10, v45
	v_cndmask_b32_e64 v16, v16, v31, s[4:5]
	v_and_or_b32 v8, v8, s36, v18
	v_lshl_or_b32 v8, v16, 7, v8
	v_cvt_f32_f16_e32 v31, v8
.LBB304_428:                            ;   in Loop: Header=BB304_411 Depth=1
	s_or_b64 exec, exec, s[20:21]
.LBB304_429:                            ;   in Loop: Header=BB304_411 Depth=1
	s_or_b64 exec, exec, s[18:19]
.LBB304_430:                            ;   in Loop: Header=BB304_411 Depth=1
	s_or_b64 exec, exec, s[6:7]
	v_cmp_lt_u32_e64 s[4:5], s29, v50
	s_and_saveexec_b64 s[6:7], s[4:5]
	s_cbranch_execz .LBB304_436
; %bb.431:                              ;   in Loop: Header=BB304_411 Depth=1
	v_lshrrev_b32_e32 v8, 24, v50
	v_cmp_ne_u32_e64 s[4:5], s9, v8
	v_bfrev_b32_e32 v49, 1
	s_and_saveexec_b64 s[18:19], s[4:5]
	s_cbranch_execz .LBB304_435
; %bb.432:                              ;   in Loop: Header=BB304_411 Depth=1
	v_and_b32_e32 v29, 0x7f, v8
	v_cmp_ne_u32_e64 s[4:5], s15, v29
	v_mov_b32_e32 v49, 0x7fc02000
	s_and_saveexec_b64 s[20:21], s[4:5]
	s_cbranch_execz .LBB304_434
; %bb.433:                              ;   in Loop: Header=BB304_411 Depth=1
	v_and_b32_e32 v16, 7, v8
	v_ffbh_u32_e32 v23, v16
	v_min_u32_e32 v23, 32, v23
	v_lshrrev_b32_e32 v18, 3, v29
	v_subrev_u32_e32 v49, 28, v23
	v_sub_u32_e32 v23, 29, v23
	v_cmp_gt_u32_e64 s[4:5], 8, v29
	v_lshlrev_b64 v[52:53], v49, v[8:9]
	v_cndmask_b32_e64 v18, v18, v23, s[4:5]
	v_and_b32_e32 v49, 7, v52
	v_lshlrev_b32_e32 v8, 8, v8
	v_lshl_add_u32 v18, v18, 10, v45
	v_cndmask_b32_e64 v16, v16, v49, s[4:5]
	v_and_or_b32 v8, v8, s36, v18
	v_lshl_or_b32 v8, v16, 7, v8
	v_cvt_f32_f16_e32 v49, v8
.LBB304_434:                            ;   in Loop: Header=BB304_411 Depth=1
	s_or_b64 exec, exec, s[20:21]
.LBB304_435:                            ;   in Loop: Header=BB304_411 Depth=1
	s_or_b64 exec, exec, s[18:19]
.LBB304_436:                            ;   in Loop: Header=BB304_411 Depth=1
	s_or_b64 exec, exec, s[6:7]
	v_mov_b32_e32 v8, v51
	v_cmp_ne_u16_sdwa s[4:5], v51, v9 src0_sel:BYTE_0 src1_sel:DWORD
	v_mov_b32_e32 v52, 0
	v_mov_b32_e32 v29, 0
	s_and_saveexec_b64 s[6:7], s[4:5]
	s_cbranch_execz .LBB304_442
; %bb.437:                              ;   in Loop: Header=BB304_411 Depth=1
	v_cmp_ne_u16_sdwa s[4:5], v51, s9 src0_sel:BYTE_0 src1_sel:DWORD
	v_bfrev_b32_e32 v29, 1
	s_and_saveexec_b64 s[18:19], s[4:5]
	s_cbranch_execz .LBB304_441
; %bb.438:                              ;   in Loop: Header=BB304_411 Depth=1
	v_and_b32_e32 v53, 0x7f, v51
	v_cmp_ne_u32_e64 s[4:5], s15, v53
	v_mov_b32_e32 v29, 0x7fc02000
	s_and_saveexec_b64 s[20:21], s[4:5]
	s_cbranch_execz .LBB304_440
; %bb.439:                              ;   in Loop: Header=BB304_411 Depth=1
	v_and_b32_e32 v16, 7, v51
	v_ffbh_u32_e32 v16, v16
	v_min_u32_e32 v16, 32, v16
	v_lshrrev_b32_e32 v18, 3, v53
	v_subrev_u32_e32 v23, 28, v16
	v_sub_u32_e32 v16, 29, v16
	v_cmp_gt_u32_e64 s[4:5], 8, v53
	v_cndmask_b32_e64 v23, 0, v23, s[4:5]
	v_cndmask_b32_e64 v16, v18, v16, s[4:5]
	v_lshlrev_b64 v[54:55], v23, v[8:9]
	v_lshlrev_b32_e32 v23, 8, v51
	v_lshl_add_u32 v16, v16, 10, v45
	v_lshlrev_b32_e32 v18, 7, v54
	v_and_or_b32 v16, v23, s36, v16
	v_and_or_b32 v16, v18, s37, v16
	v_cvt_f32_f16_e32 v29, v16
.LBB304_440:                            ;   in Loop: Header=BB304_411 Depth=1
	s_or_b64 exec, exec, s[20:21]
.LBB304_441:                            ;   in Loop: Header=BB304_411 Depth=1
	s_or_b64 exec, exec, s[18:19]
.LBB304_442:                            ;   in Loop: Header=BB304_411 Depth=1
	s_or_b64 exec, exec, s[6:7]
	v_lshrrev_b16_e32 v8, 8, v8
	v_cmp_ne_u16_e64 s[4:5], 0, v8
	s_and_saveexec_b64 s[6:7], s[4:5]
	s_cbranch_execz .LBB304_448
; %bb.443:                              ;   in Loop: Header=BB304_411 Depth=1
	v_cmp_ne_u16_e64 s[4:5], s9, v8
	v_bfrev_b32_e32 v52, 1
	s_and_saveexec_b64 s[18:19], s[4:5]
	s_cbranch_execz .LBB304_447
; %bb.444:                              ;   in Loop: Header=BB304_411 Depth=1
	v_and_b32_e32 v53, 0x7f, v8
	v_cmp_ne_u32_e64 s[4:5], s15, v53
	v_mov_b32_e32 v52, 0x7fc02000
	s_and_saveexec_b64 s[20:21], s[4:5]
	s_cbranch_execz .LBB304_446
; %bb.445:                              ;   in Loop: Header=BB304_411 Depth=1
	v_and_b32_e32 v16, 7, v8
	v_ffbh_u32_e32 v23, v16
	v_min_u32_e32 v23, 32, v23
	v_lshrrev_b32_e32 v18, 3, v53
	v_subrev_u32_e32 v52, 28, v23
	v_sub_u32_e32 v23, 29, v23
	v_cmp_gt_u32_e64 s[4:5], 8, v53
	v_lshlrev_b64 v[54:55], v52, v[8:9]
	v_cndmask_b32_e64 v18, v18, v23, s[4:5]
	v_and_b32_e32 v52, 7, v54
	v_lshlrev_b32_e32 v8, 8, v8
	v_lshl_add_u32 v18, v18, 10, v45
	v_cndmask_b32_e64 v16, v16, v52, s[4:5]
	v_and_or_b32 v8, v8, s36, v18
	v_lshl_or_b32 v8, v16, 7, v8
	v_cvt_f32_f16_e32 v52, v8
.LBB304_446:                            ;   in Loop: Header=BB304_411 Depth=1
	s_or_b64 exec, exec, s[20:21]
.LBB304_447:                            ;   in Loop: Header=BB304_411 Depth=1
	s_or_b64 exec, exec, s[18:19]
.LBB304_448:                            ;   in Loop: Header=BB304_411 Depth=1
	s_or_b64 exec, exec, s[6:7]
	v_lshrrev_b32_e32 v8, 16, v51
	v_cmp_ne_u16_sdwa s[4:5], v8, v9 src0_sel:BYTE_0 src1_sel:DWORD
	v_mov_b32_e32 v53, 0
	v_mov_b32_e32 v54, 0
	s_and_saveexec_b64 s[6:7], s[4:5]
	s_cbranch_execz .LBB304_454
; %bb.449:                              ;   in Loop: Header=BB304_411 Depth=1
	v_cmp_ne_u16_sdwa s[4:5], v8, s9 src0_sel:BYTE_0 src1_sel:DWORD
	v_bfrev_b32_e32 v54, 1
	s_and_saveexec_b64 s[18:19], s[4:5]
	s_cbranch_execz .LBB304_453
; %bb.450:                              ;   in Loop: Header=BB304_411 Depth=1
	v_bfe_u32 v55, v51, 16, 7
	v_cmp_ne_u32_e64 s[4:5], s15, v55
	v_mov_b32_e32 v54, 0x7fc02000
	s_and_saveexec_b64 s[20:21], s[4:5]
	s_cbranch_execz .LBB304_452
; %bb.451:                              ;   in Loop: Header=BB304_411 Depth=1
	v_and_b32_e32 v16, 7, v8
	v_ffbh_u32_e32 v23, v16
	v_min_u32_e32 v23, 32, v23
	v_lshrrev_b32_e32 v18, 3, v55
	v_subrev_u32_e32 v54, 28, v23
	v_sub_u32_e32 v23, 29, v23
	v_cmp_gt_u32_e64 s[4:5], 8, v55
	v_lshlrev_b64 v[46:47], v54, v[8:9]
	v_cndmask_b32_e64 v18, v18, v23, s[4:5]
	v_and_b32_e32 v54, 7, v46
	v_lshlrev_b32_e32 v8, 8, v8
	v_lshl_add_u32 v18, v18, 10, v45
	v_cndmask_b32_e64 v16, v16, v54, s[4:5]
	v_and_or_b32 v8, v8, s36, v18
	v_lshl_or_b32 v8, v16, 7, v8
	v_cvt_f32_f16_e32 v54, v8
.LBB304_452:                            ;   in Loop: Header=BB304_411 Depth=1
	s_or_b64 exec, exec, s[20:21]
.LBB304_453:                            ;   in Loop: Header=BB304_411 Depth=1
	s_or_b64 exec, exec, s[18:19]
.LBB304_454:                            ;   in Loop: Header=BB304_411 Depth=1
	s_or_b64 exec, exec, s[6:7]
	v_cmp_lt_u64_e64 s[4:5], s[28:29], v[50:51]
	s_and_saveexec_b64 s[6:7], s[4:5]
	s_cbranch_execz .LBB304_460
; %bb.455:                              ;   in Loop: Header=BB304_411 Depth=1
	v_lshrrev_b32_e32 v8, 24, v51
	v_cmp_ne_u32_e64 s[4:5], s9, v8
	v_bfrev_b32_e32 v53, 1
	s_and_saveexec_b64 s[18:19], s[4:5]
	s_cbranch_execz .LBB304_459
; %bb.456:                              ;   in Loop: Header=BB304_411 Depth=1
	v_and_b32_e32 v50, 0x7f, v8
	v_cmp_ne_u32_e64 s[4:5], s15, v50
	v_mov_b32_e32 v53, 0x7fc02000
	s_and_saveexec_b64 s[20:21], s[4:5]
	s_cbranch_execz .LBB304_458
; %bb.457:                              ;   in Loop: Header=BB304_411 Depth=1
	v_and_b32_e32 v16, 7, v8
	v_ffbh_u32_e32 v23, v16
	v_min_u32_e32 v23, 32, v23
	v_lshrrev_b32_e32 v18, 3, v50
	v_subrev_u32_e32 v51, 28, v23
	v_sub_u32_e32 v23, 29, v23
	v_cmp_gt_u32_e64 s[4:5], 8, v50
	v_lshlrev_b64 v[46:47], v51, v[8:9]
	v_cndmask_b32_e64 v18, v18, v23, s[4:5]
	v_and_b32_e32 v51, 7, v46
	v_lshlrev_b32_e32 v8, 8, v8
	v_lshl_add_u32 v18, v18, 10, v45
	v_cndmask_b32_e64 v16, v16, v51, s[4:5]
	v_and_or_b32 v8, v8, s36, v18
	v_lshl_or_b32 v8, v16, 7, v8
	v_cvt_f32_f16_e32 v53, v8
.LBB304_458:                            ;   in Loop: Header=BB304_411 Depth=1
	s_or_b64 exec, exec, s[20:21]
.LBB304_459:                            ;   in Loop: Header=BB304_411 Depth=1
	s_or_b64 exec, exec, s[18:19]
.LBB304_460:                            ;   in Loop: Header=BB304_411 Depth=1
	s_or_b64 exec, exec, s[6:7]
	v_pk_mul_f32 v[48:49], v[28:29], v[48:49] op_sel_hi:[0,1]
	v_pk_mul_f32 v[30:31], v[28:29], v[30:31] op_sel_hi:[0,1]
	v_cvt_f16_f32_e32 v8, v49
	v_cvt_f16_f32_e32 v16, v48
	;; [unrolled: 1-line block ×4, first 2 shown]
	v_accvgpr_read_b32 v30, a13
	v_add_u32_e32 v46, v41, v30
	v_accvgpr_read_b32 v30, a12
	v_pack_b32_f16 v16, v16, v8
	v_pack_b32_f16 v18, v23, v18
	v_cmp_eq_u32_e64 s[4:5], v44, v30
	v_perm_b32 v8, v18, v16, s38
	v_perm_b32 v30, v18, v16, s39
	v_fma_mixlo_f16 v16, v28, v52, 0
	v_lshlrev_b32_e32 v16, 16, v16
	v_fma_mixlo_f16 v18, v28, v29, 0
	v_or_b32_sdwa v29, v16, v18 dst_sel:DWORD dst_unused:UNUSED_PAD src0_sel:DWORD src1_sel:WORD_0
	v_fma_mixlo_f16 v16, v28, v53, 0
	v_fma_mixlo_f16 v31, v28, v54, 0
	v_lshlrev_b32_e32 v16, 16, v16
	v_or_b32_sdwa v28, v16, v31 dst_sel:DWORD dst_unused:UNUSED_PAD src0_sel:DWORD src1_sel:WORD_0
	s_and_saveexec_b64 s[18:19], s[4:5]
	s_cbranch_execz .LBB304_462
; %bb.461:                              ;   in Loop: Header=BB304_411 Depth=1
	v_add_u32_e32 v16, 1, v46
	v_lshrrev_b32_e32 v18, 16, v30
	v_cmp_lt_i32_e64 s[6:7], v16, v3
	v_accvgpr_read_b32 v48, a8
	v_cndmask_b32_e64 v16, 0, v18, s[6:7]
	v_cmp_lt_i32_e64 s[6:7], v46, v48
	v_cndmask_b32_e64 v18, 0, v30, s[6:7]
	v_perm_b32 v30, v16, v18, s40
	v_or_b32_e32 v16, 3, v46
	v_or_b32_e32 v18, 2, v46
	v_lshrrev_b32_e32 v23, 16, v8
	v_cmp_lt_i32_e64 s[6:7], v16, v3
	v_cndmask_b32_e64 v16, 0, v23, s[6:7]
	v_cmp_lt_i32_e64 s[6:7], v18, v48
	v_cndmask_b32_e64 v8, 0, v8, s[6:7]
	v_perm_b32 v8, v16, v8, s40
	v_or_b32_e32 v16, 5, v46
	v_or_b32_e32 v18, 4, v46
	v_lshrrev_b32_e32 v23, 16, v29
	v_cmp_lt_i32_e64 s[6:7], v16, v3
	;; [unrolled: 8-line block ×3, first 2 shown]
	v_cndmask_b32_e64 v16, 0, v23, s[6:7]
	v_cmp_lt_i32_e64 s[6:7], v18, v48
	v_cndmask_b32_e64 v18, 0, v31, s[6:7]
	v_perm_b32 v28, v16, v18, s40
.LBB304_462:                            ;   in Loop: Header=BB304_411 Depth=1
	s_or_b64 exec, exec, s[18:19]
	v_and_b32_e32 v4, 0xffff, v4
	v_lshl_or_b32 v58, v5, 16, v4
	v_and_b32_e32 v4, 0xffff, v6
	v_lshl_or_b32 v57, v7, 16, v4
	;; [unrolled: 2-line block ×4, first 2 shown]
	;;#ASMSTART
	v_pk_mul_f16 v4, v58, v30;

	;;#ASMEND
	;;#ASMSTART
	v_pk_mul_f16 v5, v57, v8;

	;;#ASMEND
	;; [unrolled: 4-line block ×4, first 2 shown]
	;;#ASMSTART
	v_pk_add_f16 v4, v4, v5;

	;;#ASMEND
	;;#ASMSTART
	v_pk_add_f16 v4, v4, v6;

	;;#ASMEND
	;; [unrolled: 4-line block ×3, first 2 shown]
	v_lshrrev_b32_e32 v5, 16, v4
	v_and_b32_e32 v4, 0xffff, v4
	;;#ASMSTART
	v_cvt_f32_f16 v59, v4;
	;;#ASMEND
	;;#ASMSTART
	v_cvt_f32_f16 v60, v5;
	;;#ASMEND
	v_accvgpr_read_b32 v4, a4
	flat_load_dwordx2 v[50:51], v[24:25] offset:512
	v_accvgpr_read_b32 v5, a5
	flat_load_dword v28, v[4:5]
	v_mov_b32_e32 v48, 0
	v_mov_b32_e32 v30, 0
	s_waitcnt vmcnt(0) lgkmcnt(0)
	v_cmp_ne_u16_sdwa s[6:7], v50, v9 src0_sel:BYTE_0 src1_sel:DWORD
	s_and_saveexec_b64 s[18:19], s[6:7]
	s_cbranch_execz .LBB304_468
; %bb.463:                              ;   in Loop: Header=BB304_411 Depth=1
	v_cmp_ne_u16_sdwa s[6:7], v50, s9 src0_sel:BYTE_0 src1_sel:DWORD
	v_bfrev_b32_e32 v30, 1
	s_and_saveexec_b64 s[20:21], s[6:7]
	s_cbranch_execz .LBB304_467
; %bb.464:                              ;   in Loop: Header=BB304_411 Depth=1
	v_and_b32_e32 v4, 0x7f, v50
	v_cmp_ne_u32_e64 s[6:7], s15, v4
	v_mov_b32_e32 v30, 0x7fc02000
	s_and_saveexec_b64 s[22:23], s[6:7]
	s_cbranch_execz .LBB304_466
; %bb.465:                              ;   in Loop: Header=BB304_411 Depth=1
	v_and_b32_e32 v5, 7, v50
	v_ffbh_u32_e32 v5, v5
	v_min_u32_e32 v5, 32, v5
	v_subrev_u32_e32 v7, 28, v5
	v_cmp_gt_u32_e64 s[6:7], 8, v4
	v_lshrrev_b32_e32 v6, 3, v4
	v_cndmask_b32_e64 v4, 0, v7, s[6:7]
	v_sub_u32_e32 v8, 29, v5
	v_lshlrev_b64 v[4:5], v4, v[50:51]
	v_cndmask_b32_e64 v5, v6, v8, s[6:7]
	v_lshlrev_b32_e32 v6, 8, v50
	v_lshl_add_u32 v5, v5, 10, v45
	v_lshlrev_b32_e32 v4, 7, v4
	v_and_or_b32 v5, v6, s36, v5
	v_and_or_b32 v4, v4, s37, v5
	v_cvt_f32_f16_e32 v30, v4
.LBB304_466:                            ;   in Loop: Header=BB304_411 Depth=1
	s_or_b64 exec, exec, s[22:23]
.LBB304_467:                            ;   in Loop: Header=BB304_411 Depth=1
	s_or_b64 exec, exec, s[20:21]
.LBB304_468:                            ;   in Loop: Header=BB304_411 Depth=1
	s_or_b64 exec, exec, s[18:19]
	v_lshrrev_b16_e32 v8, 8, v50
	v_cmp_ne_u16_e64 s[6:7], 0, v8
	s_and_saveexec_b64 s[18:19], s[6:7]
	s_cbranch_execz .LBB304_474
; %bb.469:                              ;   in Loop: Header=BB304_411 Depth=1
	v_cmp_ne_u16_e64 s[6:7], s9, v8
	v_bfrev_b32_e32 v48, 1
	s_and_saveexec_b64 s[20:21], s[6:7]
	s_cbranch_execz .LBB304_473
; %bb.470:                              ;   in Loop: Header=BB304_411 Depth=1
	v_and_b32_e32 v4, 0x7f, v8
	v_cmp_ne_u32_e64 s[6:7], s15, v4
	v_mov_b32_e32 v48, 0x7fc02000
	s_and_saveexec_b64 s[22:23], s[6:7]
	s_cbranch_execz .LBB304_472
; %bb.471:                              ;   in Loop: Header=BB304_411 Depth=1
	v_and_b32_e32 v5, 7, v8
	v_ffbh_u32_e32 v6, v5
	v_min_u32_e32 v17, 32, v6
	v_subrev_u32_e32 v6, 28, v17
	v_lshlrev_b64 v[6:7], v6, v[8:9]
	v_lshrrev_b32_e32 v16, 3, v4
	v_sub_u32_e32 v7, 29, v17
	v_cmp_gt_u32_e64 s[6:7], 8, v4
	v_and_b32_e32 v6, 7, v6
	v_cndmask_b32_e64 v4, v16, v7, s[6:7]
	v_cndmask_b32_e64 v5, v5, v6, s[6:7]
	v_lshlrev_b32_e32 v6, 8, v8
	v_lshl_add_u32 v4, v4, 10, v45
	v_and_or_b32 v4, v6, s36, v4
	v_lshl_or_b32 v4, v5, 7, v4
	v_cvt_f32_f16_e32 v48, v4
.LBB304_472:                            ;   in Loop: Header=BB304_411 Depth=1
	s_or_b64 exec, exec, s[22:23]
.LBB304_473:                            ;   in Loop: Header=BB304_411 Depth=1
	s_or_b64 exec, exec, s[20:21]
.LBB304_474:                            ;   in Loop: Header=BB304_411 Depth=1
	s_or_b64 exec, exec, s[18:19]
	v_lshrrev_b32_e32 v8, 16, v50
	v_cmp_ne_u16_sdwa s[6:7], v8, v9 src0_sel:BYTE_0 src1_sel:DWORD
	v_mov_b32_e32 v49, 0
	v_mov_b32_e32 v31, 0
	s_and_saveexec_b64 s[18:19], s[6:7]
	s_cbranch_execz .LBB304_480
; %bb.475:                              ;   in Loop: Header=BB304_411 Depth=1
	v_cmp_ne_u16_sdwa s[6:7], v8, s9 src0_sel:BYTE_0 src1_sel:DWORD
	v_bfrev_b32_e32 v31, 1
	s_and_saveexec_b64 s[20:21], s[6:7]
	s_cbranch_execz .LBB304_479
; %bb.476:                              ;   in Loop: Header=BB304_411 Depth=1
	v_bfe_u32 v4, v50, 16, 7
	v_cmp_ne_u32_e64 s[6:7], s15, v4
	v_mov_b32_e32 v31, 0x7fc02000
	s_and_saveexec_b64 s[22:23], s[6:7]
	s_cbranch_execz .LBB304_478
; %bb.477:                              ;   in Loop: Header=BB304_411 Depth=1
	v_and_b32_e32 v5, 7, v8
	v_ffbh_u32_e32 v6, v5
	v_min_u32_e32 v17, 32, v6
	v_subrev_u32_e32 v6, 28, v17
	v_lshlrev_b64 v[6:7], v6, v[8:9]
	v_lshrrev_b32_e32 v16, 3, v4
	v_sub_u32_e32 v7, 29, v17
	v_cmp_gt_u32_e64 s[6:7], 8, v4
	v_and_b32_e32 v6, 7, v6
	v_cndmask_b32_e64 v4, v16, v7, s[6:7]
	v_cndmask_b32_e64 v5, v5, v6, s[6:7]
	v_lshlrev_b32_e32 v6, 8, v8
	v_lshl_add_u32 v4, v4, 10, v45
	v_and_or_b32 v4, v6, s36, v4
	v_lshl_or_b32 v4, v5, 7, v4
	v_cvt_f32_f16_e32 v31, v4
.LBB304_478:                            ;   in Loop: Header=BB304_411 Depth=1
	s_or_b64 exec, exec, s[22:23]
.LBB304_479:                            ;   in Loop: Header=BB304_411 Depth=1
	s_or_b64 exec, exec, s[20:21]
.LBB304_480:                            ;   in Loop: Header=BB304_411 Depth=1
	s_or_b64 exec, exec, s[18:19]
	v_cmp_lt_u32_e64 s[6:7], s29, v50
	s_and_saveexec_b64 s[18:19], s[6:7]
	s_cbranch_execz .LBB304_486
; %bb.481:                              ;   in Loop: Header=BB304_411 Depth=1
	v_lshrrev_b32_e32 v8, 24, v50
	v_cmp_ne_u32_e64 s[6:7], s9, v8
	v_bfrev_b32_e32 v49, 1
	s_and_saveexec_b64 s[20:21], s[6:7]
	s_cbranch_execz .LBB304_485
; %bb.482:                              ;   in Loop: Header=BB304_411 Depth=1
	v_and_b32_e32 v4, 0x7f, v8
	v_cmp_ne_u32_e64 s[6:7], s15, v4
	v_mov_b32_e32 v49, 0x7fc02000
	s_and_saveexec_b64 s[22:23], s[6:7]
	s_cbranch_execz .LBB304_484
; %bb.483:                              ;   in Loop: Header=BB304_411 Depth=1
	v_and_b32_e32 v5, 7, v8
	v_ffbh_u32_e32 v6, v5
	v_min_u32_e32 v17, 32, v6
	v_subrev_u32_e32 v6, 28, v17
	v_lshlrev_b64 v[6:7], v6, v[8:9]
	v_lshrrev_b32_e32 v16, 3, v4
	v_sub_u32_e32 v7, 29, v17
	v_cmp_gt_u32_e64 s[6:7], 8, v4
	v_and_b32_e32 v6, 7, v6
	v_cndmask_b32_e64 v4, v16, v7, s[6:7]
	v_cndmask_b32_e64 v5, v5, v6, s[6:7]
	v_lshlrev_b32_e32 v6, 8, v8
	v_lshl_add_u32 v4, v4, 10, v45
	v_and_or_b32 v4, v6, s36, v4
	v_lshl_or_b32 v4, v5, 7, v4
	v_cvt_f32_f16_e32 v49, v4
.LBB304_484:                            ;   in Loop: Header=BB304_411 Depth=1
	s_or_b64 exec, exec, s[22:23]
.LBB304_485:                            ;   in Loop: Header=BB304_411 Depth=1
	s_or_b64 exec, exec, s[20:21]
.LBB304_486:                            ;   in Loop: Header=BB304_411 Depth=1
	s_or_b64 exec, exec, s[18:19]
	v_mov_b32_e32 v8, v51
	v_cmp_ne_u16_sdwa s[6:7], v51, v9 src0_sel:BYTE_0 src1_sel:DWORD
	v_mov_b32_e32 v5, 0
	v_mov_b32_e32 v4, 0
	s_and_saveexec_b64 s[18:19], s[6:7]
	s_cbranch_execz .LBB304_492
; %bb.487:                              ;   in Loop: Header=BB304_411 Depth=1
	v_cmp_ne_u16_sdwa s[6:7], v51, s9 src0_sel:BYTE_0 src1_sel:DWORD
	v_bfrev_b32_e32 v4, 1
	s_and_saveexec_b64 s[20:21], s[6:7]
	s_cbranch_execz .LBB304_491
; %bb.488:                              ;   in Loop: Header=BB304_411 Depth=1
	v_and_b32_e32 v6, 0x7f, v51
	v_cmp_ne_u32_e64 s[6:7], s15, v6
	v_mov_b32_e32 v4, 0x7fc02000
	s_and_saveexec_b64 s[22:23], s[6:7]
	s_cbranch_execz .LBB304_490
; %bb.489:                              ;   in Loop: Header=BB304_411 Depth=1
	v_and_b32_e32 v4, 7, v51
	v_ffbh_u32_e32 v4, v4
	v_min_u32_e32 v4, 32, v4
	v_subrev_u32_e32 v7, 28, v4
	v_cmp_gt_u32_e64 s[6:7], 8, v6
	v_lshrrev_b32_e32 v16, 3, v6
	v_sub_u32_e32 v4, 29, v4
	v_cndmask_b32_e64 v6, 0, v7, s[6:7]
	v_lshlrev_b64 v[6:7], v6, v[8:9]
	v_cndmask_b32_e64 v4, v16, v4, s[6:7]
	v_lshlrev_b32_e32 v7, 8, v51
	v_lshl_add_u32 v4, v4, 10, v45
	v_lshlrev_b32_e32 v6, 7, v6
	v_and_or_b32 v4, v7, s36, v4
	v_and_or_b32 v4, v6, s37, v4
	v_cvt_f32_f16_e32 v4, v4
.LBB304_490:                            ;   in Loop: Header=BB304_411 Depth=1
	s_or_b64 exec, exec, s[22:23]
.LBB304_491:                            ;   in Loop: Header=BB304_411 Depth=1
	s_or_b64 exec, exec, s[20:21]
.LBB304_492:                            ;   in Loop: Header=BB304_411 Depth=1
	s_or_b64 exec, exec, s[18:19]
	v_lshrrev_b16_e32 v8, 8, v8
	v_cmp_ne_u16_e64 s[6:7], 0, v8
	s_and_saveexec_b64 s[18:19], s[6:7]
	s_cbranch_execz .LBB304_498
; %bb.493:                              ;   in Loop: Header=BB304_411 Depth=1
	v_cmp_ne_u16_e64 s[6:7], s9, v8
	v_bfrev_b32_e32 v5, 1
	s_and_saveexec_b64 s[20:21], s[6:7]
	s_cbranch_execz .LBB304_497
; %bb.494:                              ;   in Loop: Header=BB304_411 Depth=1
	v_and_b32_e32 v6, 0x7f, v8
	v_cmp_ne_u32_e64 s[6:7], s15, v6
	v_mov_b32_e32 v5, 0x7fc02000
	s_and_saveexec_b64 s[22:23], s[6:7]
	s_cbranch_execz .LBB304_496
; %bb.495:                              ;   in Loop: Header=BB304_411 Depth=1
	v_and_b32_e32 v5, 7, v8
	v_ffbh_u32_e32 v16, v5
	v_min_u32_e32 v16, 32, v16
	v_lshrrev_b32_e32 v7, 3, v6
	v_subrev_u32_e32 v17, 28, v16
	v_sub_u32_e32 v16, 29, v16
	v_cmp_gt_u32_e64 s[6:7], 8, v6
	v_lshlrev_b64 v[26:27], v17, v[8:9]
	v_cndmask_b32_e64 v6, v7, v16, s[6:7]
	v_and_b32_e32 v17, 7, v26
	v_lshlrev_b32_e32 v7, 8, v8
	v_lshl_add_u32 v6, v6, 10, v45
	v_cndmask_b32_e64 v5, v5, v17, s[6:7]
	v_and_or_b32 v6, v7, s36, v6
	v_lshl_or_b32 v5, v5, 7, v6
	v_cvt_f32_f16_e32 v5, v5
.LBB304_496:                            ;   in Loop: Header=BB304_411 Depth=1
	s_or_b64 exec, exec, s[22:23]
.LBB304_497:                            ;   in Loop: Header=BB304_411 Depth=1
	s_or_b64 exec, exec, s[20:21]
.LBB304_498:                            ;   in Loop: Header=BB304_411 Depth=1
	s_or_b64 exec, exec, s[18:19]
	v_lshrrev_b32_e32 v8, 16, v51
	v_cmp_ne_u16_sdwa s[6:7], v8, v9 src0_sel:BYTE_0 src1_sel:DWORD
	v_mov_b32_e32 v6, 0
	v_mov_b32_e32 v7, 0
	s_and_saveexec_b64 s[18:19], s[6:7]
	s_cbranch_execz .LBB304_504
; %bb.499:                              ;   in Loop: Header=BB304_411 Depth=1
	v_cmp_ne_u16_sdwa s[6:7], v8, s9 src0_sel:BYTE_0 src1_sel:DWORD
	v_bfrev_b32_e32 v7, 1
	s_and_saveexec_b64 s[20:21], s[6:7]
	s_cbranch_execz .LBB304_503
; %bb.500:                              ;   in Loop: Header=BB304_411 Depth=1
	v_bfe_u32 v17, v51, 16, 7
	v_cmp_ne_u32_e64 s[6:7], s15, v17
	v_mov_b32_e32 v7, 0x7fc02000
	s_and_saveexec_b64 s[22:23], s[6:7]
	s_cbranch_execz .LBB304_502
; %bb.501:                              ;   in Loop: Header=BB304_411 Depth=1
	v_and_b32_e32 v7, 7, v8
	v_ffbh_u32_e32 v18, v7
	v_min_u32_e32 v18, 32, v18
	v_lshrrev_b32_e32 v16, 3, v17
	v_subrev_u32_e32 v22, 28, v18
	v_sub_u32_e32 v18, 29, v18
	v_cmp_gt_u32_e64 s[6:7], 8, v17
	v_lshlrev_b64 v[26:27], v22, v[8:9]
	v_cndmask_b32_e64 v16, v16, v18, s[6:7]
	v_and_b32_e32 v22, 7, v26
	v_lshlrev_b32_e32 v8, 8, v8
	v_lshl_add_u32 v16, v16, 10, v45
	v_cndmask_b32_e64 v7, v7, v22, s[6:7]
	v_and_or_b32 v8, v8, s36, v16
	v_lshl_or_b32 v7, v7, 7, v8
	v_cvt_f32_f16_e32 v7, v7
.LBB304_502:                            ;   in Loop: Header=BB304_411 Depth=1
	s_or_b64 exec, exec, s[22:23]
.LBB304_503:                            ;   in Loop: Header=BB304_411 Depth=1
	s_or_b64 exec, exec, s[20:21]
.LBB304_504:                            ;   in Loop: Header=BB304_411 Depth=1
	s_or_b64 exec, exec, s[18:19]
	v_cmp_lt_u64_e64 s[6:7], s[28:29], v[50:51]
	s_and_saveexec_b64 s[18:19], s[6:7]
	s_cbranch_execz .LBB304_510
; %bb.505:                              ;   in Loop: Header=BB304_411 Depth=1
	v_lshrrev_b32_e32 v8, 24, v51
	v_cmp_ne_u32_e64 s[6:7], s9, v8
	v_bfrev_b32_e32 v6, 1
	s_and_saveexec_b64 s[20:21], s[6:7]
	s_cbranch_execz .LBB304_509
; %bb.506:                              ;   in Loop: Header=BB304_411 Depth=1
	v_and_b32_e32 v17, 0x7f, v8
	v_cmp_ne_u32_e64 s[6:7], s15, v17
	v_mov_b32_e32 v6, 0x7fc02000
	s_and_saveexec_b64 s[22:23], s[6:7]
	s_cbranch_execz .LBB304_508
; %bb.507:                              ;   in Loop: Header=BB304_411 Depth=1
	v_and_b32_e32 v6, 7, v8
	v_ffbh_u32_e32 v18, v6
	v_min_u32_e32 v18, 32, v18
	v_lshrrev_b32_e32 v16, 3, v17
	v_subrev_u32_e32 v22, 28, v18
	v_sub_u32_e32 v18, 29, v18
	v_cmp_gt_u32_e64 s[6:7], 8, v17
	v_lshlrev_b64 v[26:27], v22, v[8:9]
	v_cndmask_b32_e64 v16, v16, v18, s[6:7]
	v_and_b32_e32 v22, 7, v26
	v_lshlrev_b32_e32 v8, 8, v8
	v_lshl_add_u32 v16, v16, 10, v45
	v_cndmask_b32_e64 v6, v6, v22, s[6:7]
	v_and_or_b32 v8, v8, s36, v16
	v_lshl_or_b32 v6, v6, 7, v8
	v_cvt_f32_f16_e32 v6, v6
.LBB304_508:                            ;   in Loop: Header=BB304_411 Depth=1
	s_or_b64 exec, exec, s[22:23]
.LBB304_509:                            ;   in Loop: Header=BB304_411 Depth=1
	s_or_b64 exec, exec, s[20:21]
.LBB304_510:                            ;   in Loop: Header=BB304_411 Depth=1
	s_or_b64 exec, exec, s[18:19]
	v_pk_mul_f32 v[26:27], v[28:29], v[48:49] op_sel_hi:[0,1]
	v_pk_mul_f32 v[30:31], v[28:29], v[30:31] op_sel_hi:[0,1]
	v_cvt_f16_f32_e32 v8, v27
	v_cvt_f16_f32_e32 v16, v26
	;; [unrolled: 1-line block ×4, first 2 shown]
	v_fma_mixlo_f16 v5, v28, v5, 0
	v_lshlrev_b32_e32 v5, 16, v5
	v_fma_mixlo_f16 v4, v28, v4, 0
	v_or_b32_sdwa v4, v5, v4 dst_sel:DWORD dst_unused:UNUSED_PAD src0_sel:DWORD src1_sel:WORD_0
	v_fma_mixlo_f16 v5, v28, v6, 0
	v_pack_b32_f16 v16, v16, v8
	v_pack_b32_f16 v17, v18, v17
	v_fma_mixlo_f16 v7, v28, v7, 0
	v_lshlrev_b32_e32 v5, 16, v5
	v_perm_b32 v8, v17, v16, s38
	v_perm_b32 v17, v17, v16, s39
	v_or_b32_sdwa v5, v5, v7 dst_sel:DWORD dst_unused:UNUSED_PAD src0_sel:DWORD src1_sel:WORD_0
	s_and_saveexec_b64 s[18:19], s[4:5]
	s_cbranch_execz .LBB304_512
; %bb.511:                              ;   in Loop: Header=BB304_411 Depth=1
	v_add_u32_e32 v6, 1, v46
	v_lshrrev_b32_e32 v16, 16, v17
	v_cmp_lt_i32_e64 s[6:7], v6, v3
	v_accvgpr_read_b32 v22, a8
	v_cndmask_b32_e64 v6, 0, v16, s[6:7]
	v_cmp_lt_i32_e64 s[6:7], v46, v22
	v_cndmask_b32_e64 v16, 0, v17, s[6:7]
	v_perm_b32 v17, v6, v16, s40
	v_or_b32_e32 v6, 3, v46
	v_or_b32_e32 v16, 2, v46
	v_lshrrev_b32_e32 v18, 16, v8
	v_cmp_lt_i32_e64 s[6:7], v6, v3
	v_cndmask_b32_e64 v6, 0, v18, s[6:7]
	v_cmp_lt_i32_e64 s[6:7], v16, v22
	v_cndmask_b32_e64 v8, 0, v8, s[6:7]
	v_perm_b32 v8, v6, v8, s40
	v_or_b32_e32 v6, 5, v46
	v_or_b32_e32 v16, 4, v46
	v_lshrrev_b32_e32 v18, 16, v4
	v_cmp_lt_i32_e64 s[6:7], v6, v3
	;; [unrolled: 8-line block ×3, first 2 shown]
	v_cndmask_b32_e64 v5, 0, v5, s[6:7]
	v_cmp_lt_i32_e64 s[6:7], v16, v22
	v_cndmask_b32_e64 v6, 0, v7, s[6:7]
	v_perm_b32 v5, v5, v6, s40
.LBB304_512:                            ;   in Loop: Header=BB304_411 Depth=1
	s_or_b64 exec, exec, s[18:19]
	;;#ASMSTART
	v_pk_mul_f16 v6, v58, v17;

	;;#ASMEND
	;;#ASMSTART
	v_pk_mul_f16 v7, v57, v8;

	;;#ASMEND
	;; [unrolled: 4-line block ×4, first 2 shown]
	;;#ASMSTART
	v_pk_add_f16 v6, v6, v7;

	;;#ASMEND
	;;#ASMSTART
	v_pk_add_f16 v4, v6, v4;

	;;#ASMEND
	;; [unrolled: 4-line block ×3, first 2 shown]
	v_lshrrev_b32_e32 v5, 16, v4
	v_and_b32_e32 v4, 0xffff, v4
	v_accvgpr_read_b32 v7, a5
	;;#ASMSTART
	v_cvt_f32_f16 v4, v4;
	;;#ASMEND
	;;#ASMSTART
	v_cvt_f32_f16 v5, v5;
	;;#ASMEND
	flat_load_dwordx2 v[50:51], v[24:25] offset:1024
	v_accvgpr_read_b32 v6, a4
	flat_load_dword v28, v[6:7]
	v_mov_b32_e32 v48, 0
	v_mov_b32_e32 v30, 0
	s_waitcnt vmcnt(0) lgkmcnt(0)
	v_cmp_ne_u16_sdwa s[6:7], v50, v9 src0_sel:BYTE_0 src1_sel:DWORD
	s_and_saveexec_b64 s[18:19], s[6:7]
	s_cbranch_execz .LBB304_518
; %bb.513:                              ;   in Loop: Header=BB304_411 Depth=1
	v_cmp_ne_u16_sdwa s[6:7], v50, s9 src0_sel:BYTE_0 src1_sel:DWORD
	v_bfrev_b32_e32 v30, 1
	s_and_saveexec_b64 s[20:21], s[6:7]
	s_cbranch_execz .LBB304_517
; %bb.514:                              ;   in Loop: Header=BB304_411 Depth=1
	v_and_b32_e32 v6, 0x7f, v50
	v_cmp_ne_u32_e64 s[6:7], s15, v6
	v_mov_b32_e32 v30, 0x7fc02000
	s_and_saveexec_b64 s[22:23], s[6:7]
	s_cbranch_execz .LBB304_516
; %bb.515:                              ;   in Loop: Header=BB304_411 Depth=1
	v_and_b32_e32 v7, 7, v50
	v_ffbh_u32_e32 v7, v7
	v_min_u32_e32 v7, 32, v7
	v_subrev_u32_e32 v16, 28, v7
	v_cmp_gt_u32_e64 s[6:7], 8, v6
	v_lshrrev_b32_e32 v8, 3, v6
	v_cndmask_b32_e64 v6, 0, v16, s[6:7]
	v_sub_u32_e32 v17, 29, v7
	v_lshlrev_b64 v[6:7], v6, v[50:51]
	v_cndmask_b32_e64 v7, v8, v17, s[6:7]
	v_lshlrev_b32_e32 v8, 8, v50
	v_lshl_add_u32 v7, v7, 10, v45
	v_lshlrev_b32_e32 v6, 7, v6
	v_and_or_b32 v7, v8, s36, v7
	v_and_or_b32 v6, v6, s37, v7
	v_cvt_f32_f16_e32 v30, v6
.LBB304_516:                            ;   in Loop: Header=BB304_411 Depth=1
	s_or_b64 exec, exec, s[22:23]
.LBB304_517:                            ;   in Loop: Header=BB304_411 Depth=1
	s_or_b64 exec, exec, s[20:21]
.LBB304_518:                            ;   in Loop: Header=BB304_411 Depth=1
	s_or_b64 exec, exec, s[18:19]
	v_lshrrev_b16_e32 v8, 8, v50
	v_cmp_ne_u16_e64 s[6:7], 0, v8
	s_and_saveexec_b64 s[18:19], s[6:7]
	s_cbranch_execz .LBB304_524
; %bb.519:                              ;   in Loop: Header=BB304_411 Depth=1
	v_cmp_ne_u16_e64 s[6:7], s9, v8
	v_bfrev_b32_e32 v48, 1
	s_and_saveexec_b64 s[20:21], s[6:7]
	s_cbranch_execz .LBB304_523
; %bb.520:                              ;   in Loop: Header=BB304_411 Depth=1
	v_and_b32_e32 v6, 0x7f, v8
	v_cmp_ne_u32_e64 s[6:7], s15, v6
	v_mov_b32_e32 v48, 0x7fc02000
	s_and_saveexec_b64 s[22:23], s[6:7]
	s_cbranch_execz .LBB304_522
; %bb.521:                              ;   in Loop: Header=BB304_411 Depth=1
	v_and_b32_e32 v7, 7, v8
	v_ffbh_u32_e32 v17, v7
	v_min_u32_e32 v17, 32, v17
	v_lshrrev_b32_e32 v16, 3, v6
	v_subrev_u32_e32 v18, 28, v17
	v_sub_u32_e32 v17, 29, v17
	v_cmp_gt_u32_e64 s[6:7], 8, v6
	v_lshlrev_b64 v[26:27], v18, v[8:9]
	v_cndmask_b32_e64 v6, v16, v17, s[6:7]
	v_and_b32_e32 v18, 7, v26
	v_lshlrev_b32_e32 v8, 8, v8
	v_lshl_add_u32 v6, v6, 10, v45
	v_cndmask_b32_e64 v7, v7, v18, s[6:7]
	v_and_or_b32 v6, v8, s36, v6
	v_lshl_or_b32 v6, v7, 7, v6
	v_cvt_f32_f16_e32 v48, v6
.LBB304_522:                            ;   in Loop: Header=BB304_411 Depth=1
	s_or_b64 exec, exec, s[22:23]
.LBB304_523:                            ;   in Loop: Header=BB304_411 Depth=1
	s_or_b64 exec, exec, s[20:21]
.LBB304_524:                            ;   in Loop: Header=BB304_411 Depth=1
	s_or_b64 exec, exec, s[18:19]
	v_lshrrev_b32_e32 v8, 16, v50
	v_cmp_ne_u16_sdwa s[6:7], v8, v9 src0_sel:BYTE_0 src1_sel:DWORD
	v_mov_b32_e32 v49, 0
	v_mov_b32_e32 v31, 0
	s_and_saveexec_b64 s[18:19], s[6:7]
	s_cbranch_execz .LBB304_530
; %bb.525:                              ;   in Loop: Header=BB304_411 Depth=1
	v_cmp_ne_u16_sdwa s[6:7], v8, s9 src0_sel:BYTE_0 src1_sel:DWORD
	v_bfrev_b32_e32 v31, 1
	s_and_saveexec_b64 s[20:21], s[6:7]
	s_cbranch_execz .LBB304_529
; %bb.526:                              ;   in Loop: Header=BB304_411 Depth=1
	v_bfe_u32 v6, v50, 16, 7
	v_cmp_ne_u32_e64 s[6:7], s15, v6
	v_mov_b32_e32 v31, 0x7fc02000
	s_and_saveexec_b64 s[22:23], s[6:7]
	s_cbranch_execz .LBB304_528
; %bb.527:                              ;   in Loop: Header=BB304_411 Depth=1
	v_and_b32_e32 v7, 7, v8
	v_ffbh_u32_e32 v17, v7
	v_min_u32_e32 v17, 32, v17
	v_lshrrev_b32_e32 v16, 3, v6
	v_subrev_u32_e32 v18, 28, v17
	v_sub_u32_e32 v17, 29, v17
	v_cmp_gt_u32_e64 s[6:7], 8, v6
	v_lshlrev_b64 v[26:27], v18, v[8:9]
	v_cndmask_b32_e64 v6, v16, v17, s[6:7]
	v_and_b32_e32 v18, 7, v26
	v_lshlrev_b32_e32 v8, 8, v8
	v_lshl_add_u32 v6, v6, 10, v45
	v_cndmask_b32_e64 v7, v7, v18, s[6:7]
	v_and_or_b32 v6, v8, s36, v6
	v_lshl_or_b32 v6, v7, 7, v6
	v_cvt_f32_f16_e32 v31, v6
.LBB304_528:                            ;   in Loop: Header=BB304_411 Depth=1
	s_or_b64 exec, exec, s[22:23]
.LBB304_529:                            ;   in Loop: Header=BB304_411 Depth=1
	s_or_b64 exec, exec, s[20:21]
.LBB304_530:                            ;   in Loop: Header=BB304_411 Depth=1
	s_or_b64 exec, exec, s[18:19]
	v_cmp_lt_u32_e64 s[6:7], s29, v50
	s_and_saveexec_b64 s[18:19], s[6:7]
	s_cbranch_execz .LBB304_536
; %bb.531:                              ;   in Loop: Header=BB304_411 Depth=1
	v_lshrrev_b32_e32 v8, 24, v50
	v_cmp_ne_u32_e64 s[6:7], s9, v8
	v_bfrev_b32_e32 v49, 1
	s_and_saveexec_b64 s[20:21], s[6:7]
	s_cbranch_execz .LBB304_535
; %bb.532:                              ;   in Loop: Header=BB304_411 Depth=1
	v_and_b32_e32 v6, 0x7f, v8
	v_cmp_ne_u32_e64 s[6:7], s15, v6
	v_mov_b32_e32 v49, 0x7fc02000
	s_and_saveexec_b64 s[22:23], s[6:7]
	s_cbranch_execz .LBB304_534
; %bb.533:                              ;   in Loop: Header=BB304_411 Depth=1
	v_and_b32_e32 v7, 7, v8
	v_ffbh_u32_e32 v17, v7
	v_min_u32_e32 v17, 32, v17
	v_lshrrev_b32_e32 v16, 3, v6
	v_subrev_u32_e32 v18, 28, v17
	v_sub_u32_e32 v17, 29, v17
	v_cmp_gt_u32_e64 s[6:7], 8, v6
	v_lshlrev_b64 v[26:27], v18, v[8:9]
	v_cndmask_b32_e64 v6, v16, v17, s[6:7]
	v_and_b32_e32 v18, 7, v26
	v_lshlrev_b32_e32 v8, 8, v8
	v_lshl_add_u32 v6, v6, 10, v45
	v_cndmask_b32_e64 v7, v7, v18, s[6:7]
	v_and_or_b32 v6, v8, s36, v6
	v_lshl_or_b32 v6, v7, 7, v6
	v_cvt_f32_f16_e32 v49, v6
.LBB304_534:                            ;   in Loop: Header=BB304_411 Depth=1
	s_or_b64 exec, exec, s[22:23]
.LBB304_535:                            ;   in Loop: Header=BB304_411 Depth=1
	s_or_b64 exec, exec, s[20:21]
.LBB304_536:                            ;   in Loop: Header=BB304_411 Depth=1
	s_or_b64 exec, exec, s[18:19]
	v_mov_b32_e32 v8, v51
	v_cmp_ne_u16_sdwa s[6:7], v51, v9 src0_sel:BYTE_0 src1_sel:DWORD
	v_mov_b32_e32 v7, 0
	v_mov_b32_e32 v6, 0
	s_and_saveexec_b64 s[18:19], s[6:7]
	s_cbranch_execz .LBB304_542
; %bb.537:                              ;   in Loop: Header=BB304_411 Depth=1
	v_cmp_ne_u16_sdwa s[6:7], v51, s9 src0_sel:BYTE_0 src1_sel:DWORD
	v_bfrev_b32_e32 v6, 1
	s_and_saveexec_b64 s[20:21], s[6:7]
	s_cbranch_execz .LBB304_541
; %bb.538:                              ;   in Loop: Header=BB304_411 Depth=1
	v_and_b32_e32 v17, 0x7f, v51
	v_cmp_ne_u32_e64 s[6:7], s15, v17
	v_mov_b32_e32 v6, 0x7fc02000
	s_and_saveexec_b64 s[22:23], s[6:7]
	s_cbranch_execz .LBB304_540
; %bb.539:                              ;   in Loop: Header=BB304_411 Depth=1
	v_and_b32_e32 v6, 7, v51
	v_ffbh_u32_e32 v6, v6
	v_min_u32_e32 v6, 32, v6
	v_lshrrev_b32_e32 v16, 3, v17
	v_subrev_u32_e32 v18, 28, v6
	v_sub_u32_e32 v6, 29, v6
	v_cmp_gt_u32_e64 s[6:7], 8, v17
	v_cndmask_b32_e64 v17, 0, v18, s[6:7]
	v_cndmask_b32_e64 v6, v16, v6, s[6:7]
	v_lshlrev_b64 v[26:27], v17, v[8:9]
	v_lshlrev_b32_e32 v17, 8, v51
	v_lshl_add_u32 v6, v6, 10, v45
	v_lshlrev_b32_e32 v16, 7, v26
	v_and_or_b32 v6, v17, s36, v6
	v_and_or_b32 v6, v16, s37, v6
	v_cvt_f32_f16_e32 v6, v6
.LBB304_540:                            ;   in Loop: Header=BB304_411 Depth=1
	s_or_b64 exec, exec, s[22:23]
.LBB304_541:                            ;   in Loop: Header=BB304_411 Depth=1
	s_or_b64 exec, exec, s[20:21]
.LBB304_542:                            ;   in Loop: Header=BB304_411 Depth=1
	s_or_b64 exec, exec, s[18:19]
	v_lshrrev_b16_e32 v8, 8, v8
	v_cmp_ne_u16_e64 s[6:7], 0, v8
	s_and_saveexec_b64 s[18:19], s[6:7]
	s_cbranch_execz .LBB304_548
; %bb.543:                              ;   in Loop: Header=BB304_411 Depth=1
	v_cmp_ne_u16_e64 s[6:7], s9, v8
	v_bfrev_b32_e32 v7, 1
	s_and_saveexec_b64 s[20:21], s[6:7]
	s_cbranch_execz .LBB304_547
; %bb.544:                              ;   in Loop: Header=BB304_411 Depth=1
	v_and_b32_e32 v17, 0x7f, v8
	v_cmp_ne_u32_e64 s[6:7], s15, v17
	v_mov_b32_e32 v7, 0x7fc02000
	s_and_saveexec_b64 s[22:23], s[6:7]
	s_cbranch_execz .LBB304_546
; %bb.545:                              ;   in Loop: Header=BB304_411 Depth=1
	v_and_b32_e32 v7, 7, v8
	v_ffbh_u32_e32 v18, v7
	v_min_u32_e32 v18, 32, v18
	v_lshrrev_b32_e32 v16, 3, v17
	v_subrev_u32_e32 v22, 28, v18
	v_sub_u32_e32 v18, 29, v18
	v_cmp_gt_u32_e64 s[6:7], 8, v17
	v_lshlrev_b64 v[26:27], v22, v[8:9]
	v_cndmask_b32_e64 v16, v16, v18, s[6:7]
	v_and_b32_e32 v22, 7, v26
	v_lshlrev_b32_e32 v8, 8, v8
	v_lshl_add_u32 v16, v16, 10, v45
	v_cndmask_b32_e64 v7, v7, v22, s[6:7]
	v_and_or_b32 v8, v8, s36, v16
	v_lshl_or_b32 v7, v7, 7, v8
	v_cvt_f32_f16_e32 v7, v7
.LBB304_546:                            ;   in Loop: Header=BB304_411 Depth=1
	s_or_b64 exec, exec, s[22:23]
.LBB304_547:                            ;   in Loop: Header=BB304_411 Depth=1
	s_or_b64 exec, exec, s[20:21]
.LBB304_548:                            ;   in Loop: Header=BB304_411 Depth=1
	s_or_b64 exec, exec, s[18:19]
	v_lshrrev_b32_e32 v8, 16, v51
	v_cmp_ne_u16_sdwa s[6:7], v8, v9 src0_sel:BYTE_0 src1_sel:DWORD
	v_mov_b32_e32 v17, 0
	v_mov_b32_e32 v22, 0
	s_and_saveexec_b64 s[18:19], s[6:7]
	s_cbranch_execz .LBB304_554
; %bb.549:                              ;   in Loop: Header=BB304_411 Depth=1
	v_cmp_ne_u16_sdwa s[6:7], v8, s9 src0_sel:BYTE_0 src1_sel:DWORD
	v_bfrev_b32_e32 v22, 1
	s_and_saveexec_b64 s[20:21], s[6:7]
	s_cbranch_execz .LBB304_553
; %bb.550:                              ;   in Loop: Header=BB304_411 Depth=1
	v_bfe_u32 v26, v51, 16, 7
	v_cmp_ne_u32_e64 s[6:7], s15, v26
	v_mov_b32_e32 v22, 0x7fc02000
	s_and_saveexec_b64 s[22:23], s[6:7]
	s_cbranch_execz .LBB304_552
; %bb.551:                              ;   in Loop: Header=BB304_411 Depth=1
	v_and_b32_e32 v16, 7, v8
	v_ffbh_u32_e32 v22, v16
	v_min_u32_e32 v22, 32, v22
	v_lshrrev_b32_e32 v18, 3, v26
	v_subrev_u32_e32 v23, 28, v22
	v_sub_u32_e32 v22, 29, v22
	v_cmp_gt_u32_e64 s[6:7], 8, v26
	v_lshlrev_b64 v[52:53], v23, v[8:9]
	v_cndmask_b32_e64 v18, v18, v22, s[6:7]
	v_and_b32_e32 v23, 7, v52
	v_lshlrev_b32_e32 v8, 8, v8
	v_lshl_add_u32 v18, v18, 10, v45
	v_cndmask_b32_e64 v16, v16, v23, s[6:7]
	v_and_or_b32 v8, v8, s36, v18
	v_lshl_or_b32 v8, v16, 7, v8
	v_cvt_f32_f16_e32 v22, v8
.LBB304_552:                            ;   in Loop: Header=BB304_411 Depth=1
	s_or_b64 exec, exec, s[22:23]
.LBB304_553:                            ;   in Loop: Header=BB304_411 Depth=1
	s_or_b64 exec, exec, s[20:21]
.LBB304_554:                            ;   in Loop: Header=BB304_411 Depth=1
	s_or_b64 exec, exec, s[18:19]
	v_cmp_lt_u64_e64 s[6:7], s[28:29], v[50:51]
	s_and_saveexec_b64 s[18:19], s[6:7]
	s_cbranch_execz .LBB304_560
; %bb.555:                              ;   in Loop: Header=BB304_411 Depth=1
	v_lshrrev_b32_e32 v8, 24, v51
	v_cmp_ne_u32_e64 s[6:7], s9, v8
	v_bfrev_b32_e32 v17, 1
	s_and_saveexec_b64 s[20:21], s[6:7]
	s_cbranch_execz .LBB304_559
; %bb.556:                              ;   in Loop: Header=BB304_411 Depth=1
	v_and_b32_e32 v26, 0x7f, v8
	v_cmp_ne_u32_e64 s[6:7], s15, v26
	v_mov_b32_e32 v17, 0x7fc02000
	s_and_saveexec_b64 s[22:23], s[6:7]
	s_cbranch_execz .LBB304_558
; %bb.557:                              ;   in Loop: Header=BB304_411 Depth=1
	v_and_b32_e32 v16, 7, v8
	v_ffbh_u32_e32 v18, v16
	v_min_u32_e32 v18, 32, v18
	v_lshrrev_b32_e32 v17, 3, v26
	v_subrev_u32_e32 v23, 28, v18
	v_sub_u32_e32 v18, 29, v18
	v_cmp_gt_u32_e64 s[6:7], 8, v26
	v_lshlrev_b64 v[50:51], v23, v[8:9]
	v_cndmask_b32_e64 v17, v17, v18, s[6:7]
	v_and_b32_e32 v23, 7, v50
	v_lshlrev_b32_e32 v8, 8, v8
	v_lshl_add_u32 v17, v17, 10, v45
	v_cndmask_b32_e64 v16, v16, v23, s[6:7]
	v_and_or_b32 v8, v8, s36, v17
	v_lshl_or_b32 v8, v16, 7, v8
	v_cvt_f32_f16_e32 v17, v8
.LBB304_558:                            ;   in Loop: Header=BB304_411 Depth=1
	s_or_b64 exec, exec, s[22:23]
.LBB304_559:                            ;   in Loop: Header=BB304_411 Depth=1
	s_or_b64 exec, exec, s[20:21]
.LBB304_560:                            ;   in Loop: Header=BB304_411 Depth=1
	s_or_b64 exec, exec, s[18:19]
	v_pk_mul_f32 v[26:27], v[28:29], v[48:49] op_sel_hi:[0,1]
	v_pk_mul_f32 v[30:31], v[28:29], v[30:31] op_sel_hi:[0,1]
	v_cvt_f16_f32_e32 v8, v27
	v_cvt_f16_f32_e32 v16, v26
	v_cvt_f16_f32_e32 v18, v31
	v_cvt_f16_f32_e32 v23, v30
	v_fma_mixlo_f16 v7, v28, v7, 0
	v_lshlrev_b32_e32 v7, 16, v7
	v_fma_mixlo_f16 v6, v28, v6, 0
	v_or_b32_sdwa v6, v7, v6 dst_sel:DWORD dst_unused:UNUSED_PAD src0_sel:DWORD src1_sel:WORD_0
	v_fma_mixlo_f16 v7, v28, v17, 0
	v_pack_b32_f16 v16, v16, v8
	v_pack_b32_f16 v18, v23, v18
	v_fma_mixlo_f16 v22, v28, v22, 0
	v_lshlrev_b32_e32 v7, 16, v7
	v_perm_b32 v8, v18, v16, s38
	v_perm_b32 v26, v18, v16, s39
	v_or_b32_sdwa v7, v7, v22 dst_sel:DWORD dst_unused:UNUSED_PAD src0_sel:DWORD src1_sel:WORD_0
	s_and_saveexec_b64 s[18:19], s[4:5]
	s_cbranch_execz .LBB304_562
; %bb.561:                              ;   in Loop: Header=BB304_411 Depth=1
	v_add_u32_e32 v16, 1, v46
	v_lshrrev_b32_e32 v17, 16, v26
	v_cmp_lt_i32_e64 s[6:7], v16, v3
	v_accvgpr_read_b32 v28, a8
	v_cndmask_b32_e64 v16, 0, v17, s[6:7]
	v_cmp_lt_i32_e64 s[6:7], v46, v28
	v_cndmask_b32_e64 v17, 0, v26, s[6:7]
	v_perm_b32 v26, v16, v17, s40
	v_or_b32_e32 v16, 3, v46
	v_or_b32_e32 v17, 2, v46
	v_lshrrev_b32_e32 v18, 16, v8
	v_cmp_lt_i32_e64 s[6:7], v16, v3
	v_cndmask_b32_e64 v16, 0, v18, s[6:7]
	v_cmp_lt_i32_e64 s[6:7], v17, v28
	v_cndmask_b32_e64 v8, 0, v8, s[6:7]
	v_perm_b32 v8, v16, v8, s40
	v_or_b32_e32 v16, 5, v46
	v_or_b32_e32 v17, 4, v46
	v_lshrrev_b32_e32 v18, 16, v6
	v_cmp_lt_i32_e64 s[6:7], v16, v3
	;; [unrolled: 8-line block ×3, first 2 shown]
	v_cndmask_b32_e64 v7, 0, v7, s[6:7]
	v_cmp_lt_i32_e64 s[6:7], v17, v28
	v_cndmask_b32_e64 v16, 0, v22, s[6:7]
	v_perm_b32 v7, v7, v16, s40
.LBB304_562:                            ;   in Loop: Header=BB304_411 Depth=1
	s_or_b64 exec, exec, s[18:19]
	;;#ASMSTART
	v_pk_mul_f16 v16, v58, v26;

	;;#ASMEND
	;;#ASMSTART
	v_pk_mul_f16 v8, v57, v8;

	;;#ASMEND
	;; [unrolled: 4-line block ×4, first 2 shown]
	;;#ASMSTART
	v_pk_add_f16 v8, v16, v8;

	;;#ASMEND
	;;#ASMSTART
	v_pk_add_f16 v6, v8, v6;

	;;#ASMEND
	;; [unrolled: 4-line block ×3, first 2 shown]
	v_lshrrev_b32_e32 v7, 16, v6
	v_and_b32_e32 v6, 0xffff, v6
	;;#ASMSTART
	v_cvt_f32_f16 v17, v6;
	;;#ASMEND
	;;#ASMSTART
	v_cvt_f32_f16 v61, v7;
	;;#ASMEND
	v_accvgpr_read_b32 v7, a5
	flat_load_dwordx2 v[50:51], v[24:25] offset:1536
	v_accvgpr_read_b32 v6, a4
	flat_load_dword v28, v[6:7]
	v_mov_b32_e32 v48, 0
	v_mov_b32_e32 v30, 0
	s_waitcnt vmcnt(0) lgkmcnt(0)
	v_cmp_ne_u16_sdwa s[6:7], v50, v9 src0_sel:BYTE_0 src1_sel:DWORD
	s_and_saveexec_b64 s[18:19], s[6:7]
	s_cbranch_execz .LBB304_568
; %bb.563:                              ;   in Loop: Header=BB304_411 Depth=1
	v_cmp_ne_u16_sdwa s[6:7], v50, s9 src0_sel:BYTE_0 src1_sel:DWORD
	v_bfrev_b32_e32 v30, 1
	s_and_saveexec_b64 s[20:21], s[6:7]
	s_cbranch_execz .LBB304_567
; %bb.564:                              ;   in Loop: Header=BB304_411 Depth=1
	v_and_b32_e32 v6, 0x7f, v50
	v_cmp_ne_u32_e64 s[6:7], s15, v6
	v_mov_b32_e32 v30, 0x7fc02000
	s_and_saveexec_b64 s[22:23], s[6:7]
	s_cbranch_execz .LBB304_566
; %bb.565:                              ;   in Loop: Header=BB304_411 Depth=1
	v_and_b32_e32 v7, 7, v50
	v_ffbh_u32_e32 v7, v7
	v_min_u32_e32 v7, 32, v7
	v_subrev_u32_e32 v16, 28, v7
	v_cmp_gt_u32_e64 s[6:7], 8, v6
	v_lshrrev_b32_e32 v8, 3, v6
	v_cndmask_b32_e64 v6, 0, v16, s[6:7]
	v_sub_u32_e32 v18, 29, v7
	v_lshlrev_b64 v[6:7], v6, v[50:51]
	v_cndmask_b32_e64 v7, v8, v18, s[6:7]
	v_lshlrev_b32_e32 v8, 8, v50
	v_lshl_add_u32 v7, v7, 10, v45
	v_lshlrev_b32_e32 v6, 7, v6
	v_and_or_b32 v7, v8, s36, v7
	v_and_or_b32 v6, v6, s37, v7
	v_cvt_f32_f16_e32 v30, v6
.LBB304_566:                            ;   in Loop: Header=BB304_411 Depth=1
	s_or_b64 exec, exec, s[22:23]
.LBB304_567:                            ;   in Loop: Header=BB304_411 Depth=1
	s_or_b64 exec, exec, s[20:21]
.LBB304_568:                            ;   in Loop: Header=BB304_411 Depth=1
	s_or_b64 exec, exec, s[18:19]
	v_lshrrev_b16_e32 v8, 8, v50
	v_cmp_ne_u16_e64 s[6:7], 0, v8
	s_and_saveexec_b64 s[18:19], s[6:7]
	s_cbranch_execz .LBB304_574
; %bb.569:                              ;   in Loop: Header=BB304_411 Depth=1
	v_cmp_ne_u16_e64 s[6:7], s9, v8
	v_bfrev_b32_e32 v48, 1
	s_and_saveexec_b64 s[20:21], s[6:7]
	s_cbranch_execz .LBB304_573
; %bb.570:                              ;   in Loop: Header=BB304_411 Depth=1
	v_and_b32_e32 v6, 0x7f, v8
	v_cmp_ne_u32_e64 s[6:7], s15, v6
	v_mov_b32_e32 v48, 0x7fc02000
	s_and_saveexec_b64 s[22:23], s[6:7]
	s_cbranch_execz .LBB304_572
; %bb.571:                              ;   in Loop: Header=BB304_411 Depth=1
	v_and_b32_e32 v7, 7, v8
	v_ffbh_u32_e32 v18, v7
	v_min_u32_e32 v18, 32, v18
	v_lshrrev_b32_e32 v16, 3, v6
	v_subrev_u32_e32 v22, 28, v18
	v_sub_u32_e32 v18, 29, v18
	v_cmp_gt_u32_e64 s[6:7], 8, v6
	v_lshlrev_b64 v[26:27], v22, v[8:9]
	v_cndmask_b32_e64 v6, v16, v18, s[6:7]
	v_and_b32_e32 v22, 7, v26
	v_lshlrev_b32_e32 v8, 8, v8
	v_lshl_add_u32 v6, v6, 10, v45
	v_cndmask_b32_e64 v7, v7, v22, s[6:7]
	v_and_or_b32 v6, v8, s36, v6
	v_lshl_or_b32 v6, v7, 7, v6
	v_cvt_f32_f16_e32 v48, v6
.LBB304_572:                            ;   in Loop: Header=BB304_411 Depth=1
	s_or_b64 exec, exec, s[22:23]
.LBB304_573:                            ;   in Loop: Header=BB304_411 Depth=1
	s_or_b64 exec, exec, s[20:21]
.LBB304_574:                            ;   in Loop: Header=BB304_411 Depth=1
	s_or_b64 exec, exec, s[18:19]
	v_lshrrev_b32_e32 v8, 16, v50
	v_cmp_ne_u16_sdwa s[6:7], v8, v9 src0_sel:BYTE_0 src1_sel:DWORD
	v_mov_b32_e32 v49, 0
	v_mov_b32_e32 v31, 0
	s_and_saveexec_b64 s[18:19], s[6:7]
	s_cbranch_execz .LBB304_580
; %bb.575:                              ;   in Loop: Header=BB304_411 Depth=1
	v_cmp_ne_u16_sdwa s[6:7], v8, s9 src0_sel:BYTE_0 src1_sel:DWORD
	v_bfrev_b32_e32 v31, 1
	s_and_saveexec_b64 s[20:21], s[6:7]
	s_cbranch_execz .LBB304_579
; %bb.576:                              ;   in Loop: Header=BB304_411 Depth=1
	v_bfe_u32 v6, v50, 16, 7
	v_cmp_ne_u32_e64 s[6:7], s15, v6
	v_mov_b32_e32 v31, 0x7fc02000
	s_and_saveexec_b64 s[22:23], s[6:7]
	s_cbranch_execz .LBB304_578
; %bb.577:                              ;   in Loop: Header=BB304_411 Depth=1
	v_and_b32_e32 v7, 7, v8
	v_ffbh_u32_e32 v18, v7
	v_min_u32_e32 v18, 32, v18
	v_lshrrev_b32_e32 v16, 3, v6
	v_subrev_u32_e32 v22, 28, v18
	v_sub_u32_e32 v18, 29, v18
	v_cmp_gt_u32_e64 s[6:7], 8, v6
	v_lshlrev_b64 v[26:27], v22, v[8:9]
	v_cndmask_b32_e64 v6, v16, v18, s[6:7]
	v_and_b32_e32 v22, 7, v26
	v_lshlrev_b32_e32 v8, 8, v8
	v_lshl_add_u32 v6, v6, 10, v45
	v_cndmask_b32_e64 v7, v7, v22, s[6:7]
	v_and_or_b32 v6, v8, s36, v6
	v_lshl_or_b32 v6, v7, 7, v6
	v_cvt_f32_f16_e32 v31, v6
.LBB304_578:                            ;   in Loop: Header=BB304_411 Depth=1
	s_or_b64 exec, exec, s[22:23]
.LBB304_579:                            ;   in Loop: Header=BB304_411 Depth=1
	s_or_b64 exec, exec, s[20:21]
.LBB304_580:                            ;   in Loop: Header=BB304_411 Depth=1
	s_or_b64 exec, exec, s[18:19]
	v_cmp_lt_u32_e64 s[6:7], s29, v50
	s_and_saveexec_b64 s[18:19], s[6:7]
	s_cbranch_execz .LBB304_586
; %bb.581:                              ;   in Loop: Header=BB304_411 Depth=1
	v_lshrrev_b32_e32 v8, 24, v50
	v_cmp_ne_u32_e64 s[6:7], s9, v8
	v_bfrev_b32_e32 v49, 1
	s_and_saveexec_b64 s[20:21], s[6:7]
	s_cbranch_execz .LBB304_585
; %bb.582:                              ;   in Loop: Header=BB304_411 Depth=1
	v_and_b32_e32 v6, 0x7f, v8
	v_cmp_ne_u32_e64 s[6:7], s15, v6
	v_mov_b32_e32 v49, 0x7fc02000
	s_and_saveexec_b64 s[22:23], s[6:7]
	s_cbranch_execz .LBB304_584
; %bb.583:                              ;   in Loop: Header=BB304_411 Depth=1
	v_and_b32_e32 v7, 7, v8
	v_ffbh_u32_e32 v18, v7
	v_min_u32_e32 v18, 32, v18
	v_lshrrev_b32_e32 v16, 3, v6
	v_subrev_u32_e32 v22, 28, v18
	v_sub_u32_e32 v18, 29, v18
	v_cmp_gt_u32_e64 s[6:7], 8, v6
	v_lshlrev_b64 v[26:27], v22, v[8:9]
	v_cndmask_b32_e64 v6, v16, v18, s[6:7]
	v_and_b32_e32 v22, 7, v26
	v_lshlrev_b32_e32 v8, 8, v8
	v_lshl_add_u32 v6, v6, 10, v45
	v_cndmask_b32_e64 v7, v7, v22, s[6:7]
	v_and_or_b32 v6, v8, s36, v6
	v_lshl_or_b32 v6, v7, 7, v6
	v_cvt_f32_f16_e32 v49, v6
.LBB304_584:                            ;   in Loop: Header=BB304_411 Depth=1
	s_or_b64 exec, exec, s[22:23]
.LBB304_585:                            ;   in Loop: Header=BB304_411 Depth=1
	s_or_b64 exec, exec, s[20:21]
.LBB304_586:                            ;   in Loop: Header=BB304_411 Depth=1
	s_or_b64 exec, exec, s[18:19]
	v_mov_b32_e32 v8, v51
	v_cmp_ne_u16_sdwa s[6:7], v51, v9 src0_sel:BYTE_0 src1_sel:DWORD
	v_mov_b32_e32 v7, 0
	v_mov_b32_e32 v6, 0
	s_and_saveexec_b64 s[18:19], s[6:7]
	s_cbranch_execz .LBB304_592
; %bb.587:                              ;   in Loop: Header=BB304_411 Depth=1
	v_cmp_ne_u16_sdwa s[6:7], v51, s9 src0_sel:BYTE_0 src1_sel:DWORD
	v_bfrev_b32_e32 v6, 1
	s_and_saveexec_b64 s[20:21], s[6:7]
	s_cbranch_execz .LBB304_591
; %bb.588:                              ;   in Loop: Header=BB304_411 Depth=1
	v_and_b32_e32 v22, 0x7f, v51
	v_cmp_ne_u32_e64 s[6:7], s15, v22
	v_mov_b32_e32 v6, 0x7fc02000
	s_and_saveexec_b64 s[22:23], s[6:7]
	s_cbranch_execz .LBB304_590
; %bb.589:                              ;   in Loop: Header=BB304_411 Depth=1
	v_and_b32_e32 v6, 7, v51
	v_ffbh_u32_e32 v6, v6
	v_min_u32_e32 v6, 32, v6
	v_lshrrev_b32_e32 v16, 3, v22
	v_subrev_u32_e32 v18, 28, v6
	v_sub_u32_e32 v6, 29, v6
	v_cmp_gt_u32_e64 s[6:7], 8, v22
	v_cndmask_b32_e64 v18, 0, v18, s[6:7]
	v_cndmask_b32_e64 v6, v16, v6, s[6:7]
	v_lshlrev_b64 v[26:27], v18, v[8:9]
	v_lshlrev_b32_e32 v18, 8, v51
	v_lshl_add_u32 v6, v6, 10, v45
	v_lshlrev_b32_e32 v16, 7, v26
	v_and_or_b32 v6, v18, s36, v6
	v_and_or_b32 v6, v16, s37, v6
	v_cvt_f32_f16_e32 v6, v6
.LBB304_590:                            ;   in Loop: Header=BB304_411 Depth=1
	s_or_b64 exec, exec, s[22:23]
.LBB304_591:                            ;   in Loop: Header=BB304_411 Depth=1
	s_or_b64 exec, exec, s[20:21]
.LBB304_592:                            ;   in Loop: Header=BB304_411 Depth=1
	s_or_b64 exec, exec, s[18:19]
	v_lshrrev_b16_e32 v8, 8, v8
	v_cmp_ne_u16_e64 s[6:7], 0, v8
	s_and_saveexec_b64 s[18:19], s[6:7]
	s_cbranch_execz .LBB304_598
; %bb.593:                              ;   in Loop: Header=BB304_411 Depth=1
	v_cmp_ne_u16_e64 s[6:7], s9, v8
	v_bfrev_b32_e32 v7, 1
	s_and_saveexec_b64 s[20:21], s[6:7]
	s_cbranch_execz .LBB304_597
; %bb.594:                              ;   in Loop: Header=BB304_411 Depth=1
	v_and_b32_e32 v22, 0x7f, v8
	v_cmp_ne_u32_e64 s[6:7], s15, v22
	v_mov_b32_e32 v7, 0x7fc02000
	s_and_saveexec_b64 s[22:23], s[6:7]
	s_cbranch_execz .LBB304_596
; %bb.595:                              ;   in Loop: Header=BB304_411 Depth=1
	v_and_b32_e32 v7, 7, v8
	v_ffbh_u32_e32 v18, v7
	v_min_u32_e32 v18, 32, v18
	v_lshrrev_b32_e32 v16, 3, v22
	v_subrev_u32_e32 v23, 28, v18
	v_sub_u32_e32 v18, 29, v18
	v_cmp_gt_u32_e64 s[6:7], 8, v22
	v_lshlrev_b64 v[26:27], v23, v[8:9]
	v_cndmask_b32_e64 v16, v16, v18, s[6:7]
	v_and_b32_e32 v23, 7, v26
	v_lshlrev_b32_e32 v8, 8, v8
	v_lshl_add_u32 v16, v16, 10, v45
	v_cndmask_b32_e64 v7, v7, v23, s[6:7]
	v_and_or_b32 v8, v8, s36, v16
	v_lshl_or_b32 v7, v7, 7, v8
	v_cvt_f32_f16_e32 v7, v7
.LBB304_596:                            ;   in Loop: Header=BB304_411 Depth=1
	s_or_b64 exec, exec, s[22:23]
.LBB304_597:                            ;   in Loop: Header=BB304_411 Depth=1
	s_or_b64 exec, exec, s[20:21]
.LBB304_598:                            ;   in Loop: Header=BB304_411 Depth=1
	s_or_b64 exec, exec, s[18:19]
	v_lshrrev_b32_e32 v8, 16, v51
	v_cmp_ne_u16_sdwa s[6:7], v8, v9 src0_sel:BYTE_0 src1_sel:DWORD
	v_mov_b32_e32 v22, 0
	v_mov_b32_e32 v26, 0
	s_and_saveexec_b64 s[18:19], s[6:7]
	s_cbranch_execz .LBB304_604
; %bb.599:                              ;   in Loop: Header=BB304_411 Depth=1
	v_cmp_ne_u16_sdwa s[6:7], v8, s9 src0_sel:BYTE_0 src1_sel:DWORD
	v_bfrev_b32_e32 v26, 1
	s_and_saveexec_b64 s[20:21], s[6:7]
	s_cbranch_execz .LBB304_603
; %bb.600:                              ;   in Loop: Header=BB304_411 Depth=1
	v_bfe_u32 v27, v51, 16, 7
	v_cmp_ne_u32_e64 s[6:7], s15, v27
	v_mov_b32_e32 v26, 0x7fc02000
	s_and_saveexec_b64 s[22:23], s[6:7]
	s_cbranch_execz .LBB304_602
; %bb.601:                              ;   in Loop: Header=BB304_411 Depth=1
	v_and_b32_e32 v16, 7, v8
	v_ffbh_u32_e32 v23, v16
	v_min_u32_e32 v23, 32, v23
	v_lshrrev_b32_e32 v18, 3, v27
	v_subrev_u32_e32 v26, 28, v23
	v_sub_u32_e32 v23, 29, v23
	v_cmp_gt_u32_e64 s[6:7], 8, v27
	v_lshlrev_b64 v[52:53], v26, v[8:9]
	v_cndmask_b32_e64 v18, v18, v23, s[6:7]
	v_and_b32_e32 v26, 7, v52
	v_lshlrev_b32_e32 v8, 8, v8
	v_lshl_add_u32 v18, v18, 10, v45
	v_cndmask_b32_e64 v16, v16, v26, s[6:7]
	v_and_or_b32 v8, v8, s36, v18
	v_lshl_or_b32 v8, v16, 7, v8
	v_cvt_f32_f16_e32 v26, v8
.LBB304_602:                            ;   in Loop: Header=BB304_411 Depth=1
	s_or_b64 exec, exec, s[22:23]
.LBB304_603:                            ;   in Loop: Header=BB304_411 Depth=1
	s_or_b64 exec, exec, s[20:21]
.LBB304_604:                            ;   in Loop: Header=BB304_411 Depth=1
	s_or_b64 exec, exec, s[18:19]
	v_cmp_lt_u64_e64 s[6:7], s[28:29], v[50:51]
	s_and_saveexec_b64 s[18:19], s[6:7]
	s_cbranch_execz .LBB304_610
; %bb.605:                              ;   in Loop: Header=BB304_411 Depth=1
	v_lshrrev_b32_e32 v8, 24, v51
	v_cmp_ne_u32_e64 s[6:7], s9, v8
	v_bfrev_b32_e32 v22, 1
	s_and_saveexec_b64 s[20:21], s[6:7]
	s_cbranch_execz .LBB304_609
; %bb.606:                              ;   in Loop: Header=BB304_411 Depth=1
	v_and_b32_e32 v27, 0x7f, v8
	v_cmp_ne_u32_e64 s[6:7], s15, v27
	v_mov_b32_e32 v22, 0x7fc02000
	s_and_saveexec_b64 s[22:23], s[6:7]
	s_cbranch_execz .LBB304_608
; %bb.607:                              ;   in Loop: Header=BB304_411 Depth=1
	v_and_b32_e32 v16, 7, v8
	v_ffbh_u32_e32 v22, v16
	v_min_u32_e32 v22, 32, v22
	v_lshrrev_b32_e32 v18, 3, v27
	v_subrev_u32_e32 v23, 28, v22
	v_sub_u32_e32 v22, 29, v22
	v_cmp_gt_u32_e64 s[6:7], 8, v27
	v_lshlrev_b64 v[50:51], v23, v[8:9]
	v_cndmask_b32_e64 v18, v18, v22, s[6:7]
	v_and_b32_e32 v23, 7, v50
	v_lshlrev_b32_e32 v8, 8, v8
	v_lshl_add_u32 v18, v18, 10, v45
	v_cndmask_b32_e64 v16, v16, v23, s[6:7]
	v_and_or_b32 v8, v8, s36, v18
	v_lshl_or_b32 v8, v16, 7, v8
	v_cvt_f32_f16_e32 v22, v8
.LBB304_608:                            ;   in Loop: Header=BB304_411 Depth=1
	s_or_b64 exec, exec, s[22:23]
.LBB304_609:                            ;   in Loop: Header=BB304_411 Depth=1
	s_or_b64 exec, exec, s[20:21]
.LBB304_610:                            ;   in Loop: Header=BB304_411 Depth=1
	s_or_b64 exec, exec, s[18:19]
	v_pk_mul_f32 v[48:49], v[28:29], v[48:49] op_sel_hi:[0,1]
	v_pk_mul_f32 v[30:31], v[28:29], v[30:31] op_sel_hi:[0,1]
	v_cvt_f16_f32_e32 v8, v49
	v_cvt_f16_f32_e32 v16, v48
	;; [unrolled: 1-line block ×4, first 2 shown]
	v_fma_mixlo_f16 v7, v28, v7, 0
	v_lshlrev_b32_e32 v7, 16, v7
	v_fma_mixlo_f16 v6, v28, v6, 0
	v_or_b32_sdwa v6, v7, v6 dst_sel:DWORD dst_unused:UNUSED_PAD src0_sel:DWORD src1_sel:WORD_0
	v_fma_mixlo_f16 v7, v28, v22, 0
	v_pack_b32_f16 v16, v16, v8
	v_pack_b32_f16 v18, v23, v18
	v_fma_mixlo_f16 v26, v28, v26, 0
	v_lshlrev_b32_e32 v7, 16, v7
	v_perm_b32 v8, v18, v16, s38
	v_perm_b32 v27, v18, v16, s39
	v_or_b32_sdwa v7, v7, v26 dst_sel:DWORD dst_unused:UNUSED_PAD src0_sel:DWORD src1_sel:WORD_0
	s_and_saveexec_b64 s[18:19], s[4:5]
	s_cbranch_execz .LBB304_612
; %bb.611:                              ;   in Loop: Header=BB304_411 Depth=1
	v_add_u32_e32 v16, 1, v46
	v_lshrrev_b32_e32 v18, 16, v27
	v_cmp_lt_i32_e64 s[6:7], v16, v3
	v_accvgpr_read_b32 v28, a8
	v_cndmask_b32_e64 v16, 0, v18, s[6:7]
	v_cmp_lt_i32_e64 s[6:7], v46, v28
	v_cndmask_b32_e64 v18, 0, v27, s[6:7]
	v_perm_b32 v27, v16, v18, s40
	v_or_b32_e32 v16, 3, v46
	v_or_b32_e32 v18, 2, v46
	v_lshrrev_b32_e32 v22, 16, v8
	v_cmp_lt_i32_e64 s[6:7], v16, v3
	v_cndmask_b32_e64 v16, 0, v22, s[6:7]
	v_cmp_lt_i32_e64 s[6:7], v18, v28
	v_cndmask_b32_e64 v8, 0, v8, s[6:7]
	v_perm_b32 v8, v16, v8, s40
	v_or_b32_e32 v16, 5, v46
	v_or_b32_e32 v18, 4, v46
	v_lshrrev_b32_e32 v22, 16, v6
	v_cmp_lt_i32_e64 s[6:7], v16, v3
	;; [unrolled: 8-line block ×3, first 2 shown]
	v_cndmask_b32_e64 v7, 0, v7, s[6:7]
	v_cmp_lt_i32_e64 s[6:7], v18, v28
	v_cndmask_b32_e64 v16, 0, v26, s[6:7]
	v_perm_b32 v7, v7, v16, s40
.LBB304_612:                            ;   in Loop: Header=BB304_411 Depth=1
	s_or_b64 exec, exec, s[18:19]
	;;#ASMSTART
	v_pk_mul_f16 v16, v58, v27;

	;;#ASMEND
	;;#ASMSTART
	v_pk_mul_f16 v8, v57, v8;

	;;#ASMEND
	;; [unrolled: 4-line block ×4, first 2 shown]
	;;#ASMSTART
	v_pk_add_f16 v8, v16, v8;

	;;#ASMEND
	;;#ASMSTART
	v_pk_add_f16 v6, v8, v6;

	;;#ASMEND
	;; [unrolled: 4-line block ×3, first 2 shown]
	v_accvgpr_read_b32 v23, a5
	v_lshrrev_b32_e32 v8, 16, v6
	v_and_b32_e32 v6, 0xffff, v6
	;;#ASMSTART
	v_cvt_f32_f16 v7, v6;
	;;#ASMEND
	;;#ASMSTART
	v_cvt_f32_f16 v53, v8;
	;;#ASMEND
	flat_load_dwordx2 v[50:51], v[24:25] offset:2048
	v_accvgpr_read_b32 v22, a4
	flat_load_dword v28, v[22:23]
	v_mov_b32_e32 v48, 0
	v_mov_b32_e32 v30, 0
	s_waitcnt vmcnt(0) lgkmcnt(0)
	v_cmp_ne_u16_sdwa s[6:7], v50, v9 src0_sel:BYTE_0 src1_sel:DWORD
	s_and_saveexec_b64 s[18:19], s[6:7]
	s_cbranch_execz .LBB304_618
; %bb.613:                              ;   in Loop: Header=BB304_411 Depth=1
	v_cmp_ne_u16_sdwa s[6:7], v50, s9 src0_sel:BYTE_0 src1_sel:DWORD
	v_bfrev_b32_e32 v30, 1
	s_and_saveexec_b64 s[20:21], s[6:7]
	s_cbranch_execz .LBB304_617
; %bb.614:                              ;   in Loop: Header=BB304_411 Depth=1
	v_and_b32_e32 v6, 0x7f, v50
	v_cmp_ne_u32_e64 s[6:7], s15, v6
	v_mov_b32_e32 v30, 0x7fc02000
	s_and_saveexec_b64 s[22:23], s[6:7]
	s_cbranch_execz .LBB304_616
; %bb.615:                              ;   in Loop: Header=BB304_411 Depth=1
	v_and_b32_e32 v8, 7, v50
	v_ffbh_u32_e32 v8, v8
	v_min_u32_e32 v8, 32, v8
	v_subrev_u32_e32 v18, 28, v8
	v_cmp_gt_u32_e64 s[6:7], 8, v6
	v_lshrrev_b32_e32 v16, 3, v6
	v_sub_u32_e32 v8, 29, v8
	v_cndmask_b32_e64 v6, 0, v18, s[6:7]
	v_lshlrev_b64 v[26:27], v6, v[50:51]
	v_cndmask_b32_e64 v6, v16, v8, s[6:7]
	v_lshlrev_b32_e32 v16, 8, v50
	v_lshl_add_u32 v6, v6, 10, v45
	v_lshlrev_b32_e32 v8, 7, v26
	v_and_or_b32 v6, v16, s36, v6
	v_and_or_b32 v6, v8, s37, v6
	v_cvt_f32_f16_e32 v30, v6
.LBB304_616:                            ;   in Loop: Header=BB304_411 Depth=1
	s_or_b64 exec, exec, s[22:23]
.LBB304_617:                            ;   in Loop: Header=BB304_411 Depth=1
	s_or_b64 exec, exec, s[20:21]
.LBB304_618:                            ;   in Loop: Header=BB304_411 Depth=1
	s_or_b64 exec, exec, s[18:19]
	v_lshrrev_b16_e32 v8, 8, v50
	v_cmp_ne_u16_e64 s[6:7], 0, v8
	s_and_saveexec_b64 s[18:19], s[6:7]
	s_cbranch_execz .LBB304_624
; %bb.619:                              ;   in Loop: Header=BB304_411 Depth=1
	v_cmp_ne_u16_e64 s[6:7], s9, v8
	v_bfrev_b32_e32 v48, 1
	s_and_saveexec_b64 s[20:21], s[6:7]
	s_cbranch_execz .LBB304_623
; %bb.620:                              ;   in Loop: Header=BB304_411 Depth=1
	v_and_b32_e32 v6, 0x7f, v8
	v_cmp_ne_u32_e64 s[6:7], s15, v6
	v_mov_b32_e32 v48, 0x7fc02000
	s_and_saveexec_b64 s[22:23], s[6:7]
	s_cbranch_execz .LBB304_622
; %bb.621:                              ;   in Loop: Header=BB304_411 Depth=1
	v_and_b32_e32 v16, 7, v8
	v_ffbh_u32_e32 v22, v16
	v_min_u32_e32 v22, 32, v22
	v_lshrrev_b32_e32 v18, 3, v6
	v_subrev_u32_e32 v23, 28, v22
	v_sub_u32_e32 v22, 29, v22
	v_cmp_gt_u32_e64 s[6:7], 8, v6
	v_lshlrev_b64 v[26:27], v23, v[8:9]
	v_cndmask_b32_e64 v6, v18, v22, s[6:7]
	v_and_b32_e32 v23, 7, v26
	v_lshlrev_b32_e32 v8, 8, v8
	v_lshl_add_u32 v6, v6, 10, v45
	v_cndmask_b32_e64 v16, v16, v23, s[6:7]
	v_and_or_b32 v6, v8, s36, v6
	v_lshl_or_b32 v6, v16, 7, v6
	v_cvt_f32_f16_e32 v48, v6
.LBB304_622:                            ;   in Loop: Header=BB304_411 Depth=1
	s_or_b64 exec, exec, s[22:23]
.LBB304_623:                            ;   in Loop: Header=BB304_411 Depth=1
	s_or_b64 exec, exec, s[20:21]
.LBB304_624:                            ;   in Loop: Header=BB304_411 Depth=1
	s_or_b64 exec, exec, s[18:19]
	v_lshrrev_b32_e32 v8, 16, v50
	v_cmp_ne_u16_sdwa s[6:7], v8, v9 src0_sel:BYTE_0 src1_sel:DWORD
	v_mov_b32_e32 v49, 0
	v_mov_b32_e32 v31, 0
	s_and_saveexec_b64 s[18:19], s[6:7]
	s_cbranch_execz .LBB304_630
; %bb.625:                              ;   in Loop: Header=BB304_411 Depth=1
	v_cmp_ne_u16_sdwa s[6:7], v8, s9 src0_sel:BYTE_0 src1_sel:DWORD
	v_bfrev_b32_e32 v31, 1
	s_and_saveexec_b64 s[20:21], s[6:7]
	s_cbranch_execz .LBB304_629
; %bb.626:                              ;   in Loop: Header=BB304_411 Depth=1
	v_bfe_u32 v6, v50, 16, 7
	v_cmp_ne_u32_e64 s[6:7], s15, v6
	v_mov_b32_e32 v31, 0x7fc02000
	s_and_saveexec_b64 s[22:23], s[6:7]
	s_cbranch_execz .LBB304_628
; %bb.627:                              ;   in Loop: Header=BB304_411 Depth=1
	v_and_b32_e32 v16, 7, v8
	v_ffbh_u32_e32 v22, v16
	v_min_u32_e32 v22, 32, v22
	v_lshrrev_b32_e32 v18, 3, v6
	v_subrev_u32_e32 v23, 28, v22
	v_sub_u32_e32 v22, 29, v22
	v_cmp_gt_u32_e64 s[6:7], 8, v6
	v_lshlrev_b64 v[26:27], v23, v[8:9]
	v_cndmask_b32_e64 v6, v18, v22, s[6:7]
	v_and_b32_e32 v23, 7, v26
	v_lshlrev_b32_e32 v8, 8, v8
	v_lshl_add_u32 v6, v6, 10, v45
	v_cndmask_b32_e64 v16, v16, v23, s[6:7]
	v_and_or_b32 v6, v8, s36, v6
	v_lshl_or_b32 v6, v16, 7, v6
	v_cvt_f32_f16_e32 v31, v6
.LBB304_628:                            ;   in Loop: Header=BB304_411 Depth=1
	s_or_b64 exec, exec, s[22:23]
.LBB304_629:                            ;   in Loop: Header=BB304_411 Depth=1
	s_or_b64 exec, exec, s[20:21]
.LBB304_630:                            ;   in Loop: Header=BB304_411 Depth=1
	s_or_b64 exec, exec, s[18:19]
	v_cmp_lt_u32_e64 s[6:7], s29, v50
	s_and_saveexec_b64 s[18:19], s[6:7]
	s_cbranch_execz .LBB304_636
; %bb.631:                              ;   in Loop: Header=BB304_411 Depth=1
	v_lshrrev_b32_e32 v8, 24, v50
	v_cmp_ne_u32_e64 s[6:7], s9, v8
	v_bfrev_b32_e32 v49, 1
	s_and_saveexec_b64 s[20:21], s[6:7]
	s_cbranch_execz .LBB304_635
; %bb.632:                              ;   in Loop: Header=BB304_411 Depth=1
	v_and_b32_e32 v6, 0x7f, v8
	v_cmp_ne_u32_e64 s[6:7], s15, v6
	v_mov_b32_e32 v49, 0x7fc02000
	s_and_saveexec_b64 s[22:23], s[6:7]
	s_cbranch_execz .LBB304_634
; %bb.633:                              ;   in Loop: Header=BB304_411 Depth=1
	v_and_b32_e32 v16, 7, v8
	v_ffbh_u32_e32 v22, v16
	v_min_u32_e32 v22, 32, v22
	v_lshrrev_b32_e32 v18, 3, v6
	v_subrev_u32_e32 v23, 28, v22
	v_sub_u32_e32 v22, 29, v22
	v_cmp_gt_u32_e64 s[6:7], 8, v6
	v_lshlrev_b64 v[26:27], v23, v[8:9]
	v_cndmask_b32_e64 v6, v18, v22, s[6:7]
	v_and_b32_e32 v23, 7, v26
	v_lshlrev_b32_e32 v8, 8, v8
	v_lshl_add_u32 v6, v6, 10, v45
	v_cndmask_b32_e64 v16, v16, v23, s[6:7]
	v_and_or_b32 v6, v8, s36, v6
	v_lshl_or_b32 v6, v16, 7, v6
	v_cvt_f32_f16_e32 v49, v6
.LBB304_634:                            ;   in Loop: Header=BB304_411 Depth=1
	s_or_b64 exec, exec, s[22:23]
.LBB304_635:                            ;   in Loop: Header=BB304_411 Depth=1
	s_or_b64 exec, exec, s[20:21]
.LBB304_636:                            ;   in Loop: Header=BB304_411 Depth=1
	s_or_b64 exec, exec, s[18:19]
	v_mov_b32_e32 v8, v51
	v_cmp_ne_u16_sdwa s[6:7], v51, v9 src0_sel:BYTE_0 src1_sel:DWORD
	v_mov_b32_e32 v22, 0
	v_mov_b32_e32 v6, 0
	s_and_saveexec_b64 s[18:19], s[6:7]
	s_cbranch_execz .LBB304_642
; %bb.637:                              ;   in Loop: Header=BB304_411 Depth=1
	v_cmp_ne_u16_sdwa s[6:7], v51, s9 src0_sel:BYTE_0 src1_sel:DWORD
	v_bfrev_b32_e32 v6, 1
	s_and_saveexec_b64 s[20:21], s[6:7]
	s_cbranch_execz .LBB304_641
; %bb.638:                              ;   in Loop: Header=BB304_411 Depth=1
	v_and_b32_e32 v26, 0x7f, v51
	v_cmp_ne_u32_e64 s[6:7], s15, v26
	v_mov_b32_e32 v6, 0x7fc02000
	s_and_saveexec_b64 s[22:23], s[6:7]
	s_cbranch_execz .LBB304_640
; %bb.639:                              ;   in Loop: Header=BB304_411 Depth=1
	v_and_b32_e32 v6, 7, v51
	v_ffbh_u32_e32 v6, v6
	v_min_u32_e32 v6, 32, v6
	v_lshrrev_b32_e32 v16, 3, v26
	v_subrev_u32_e32 v18, 28, v6
	v_sub_u32_e32 v6, 29, v6
	v_cmp_gt_u32_e64 s[6:7], 8, v26
	v_cndmask_b32_e64 v18, 0, v18, s[6:7]
	v_cndmask_b32_e64 v6, v16, v6, s[6:7]
	v_lshlrev_b64 v[26:27], v18, v[8:9]
	v_lshlrev_b32_e32 v18, 8, v51
	v_lshl_add_u32 v6, v6, 10, v45
	v_lshlrev_b32_e32 v16, 7, v26
	v_and_or_b32 v6, v18, s36, v6
	v_and_or_b32 v6, v16, s37, v6
	v_cvt_f32_f16_e32 v6, v6
.LBB304_640:                            ;   in Loop: Header=BB304_411 Depth=1
	s_or_b64 exec, exec, s[22:23]
.LBB304_641:                            ;   in Loop: Header=BB304_411 Depth=1
	s_or_b64 exec, exec, s[20:21]
.LBB304_642:                            ;   in Loop: Header=BB304_411 Depth=1
	s_or_b64 exec, exec, s[18:19]
	v_lshrrev_b16_e32 v8, 8, v8
	v_cmp_ne_u16_e64 s[6:7], 0, v8
	s_and_saveexec_b64 s[18:19], s[6:7]
	s_cbranch_execz .LBB304_648
; %bb.643:                              ;   in Loop: Header=BB304_411 Depth=1
	v_cmp_ne_u16_e64 s[6:7], s9, v8
	v_bfrev_b32_e32 v22, 1
	s_and_saveexec_b64 s[20:21], s[6:7]
	s_cbranch_execz .LBB304_647
; %bb.644:                              ;   in Loop: Header=BB304_411 Depth=1
	v_and_b32_e32 v26, 0x7f, v8
	v_cmp_ne_u32_e64 s[6:7], s15, v26
	v_mov_b32_e32 v22, 0x7fc02000
	s_and_saveexec_b64 s[22:23], s[6:7]
	s_cbranch_execz .LBB304_646
; %bb.645:                              ;   in Loop: Header=BB304_411 Depth=1
	v_and_b32_e32 v16, 7, v8
	v_ffbh_u32_e32 v22, v16
	v_min_u32_e32 v22, 32, v22
	v_lshrrev_b32_e32 v18, 3, v26
	v_subrev_u32_e32 v23, 28, v22
	v_sub_u32_e32 v22, 29, v22
	v_cmp_gt_u32_e64 s[6:7], 8, v26
	v_lshlrev_b64 v[54:55], v23, v[8:9]
	v_cndmask_b32_e64 v18, v18, v22, s[6:7]
	v_and_b32_e32 v23, 7, v54
	v_lshlrev_b32_e32 v8, 8, v8
	v_lshl_add_u32 v18, v18, 10, v45
	v_cndmask_b32_e64 v16, v16, v23, s[6:7]
	v_and_or_b32 v8, v8, s36, v18
	v_lshl_or_b32 v8, v16, 7, v8
	v_cvt_f32_f16_e32 v22, v8
.LBB304_646:                            ;   in Loop: Header=BB304_411 Depth=1
	s_or_b64 exec, exec, s[22:23]
.LBB304_647:                            ;   in Loop: Header=BB304_411 Depth=1
	s_or_b64 exec, exec, s[20:21]
.LBB304_648:                            ;   in Loop: Header=BB304_411 Depth=1
	s_or_b64 exec, exec, s[18:19]
	v_lshrrev_b32_e32 v8, 16, v51
	v_cmp_ne_u16_sdwa s[6:7], v8, v9 src0_sel:BYTE_0 src1_sel:DWORD
	v_mov_b32_e32 v26, 0
	v_mov_b32_e32 v27, 0
	s_and_saveexec_b64 s[18:19], s[6:7]
	s_cbranch_execz .LBB304_654
; %bb.649:                              ;   in Loop: Header=BB304_411 Depth=1
	v_cmp_ne_u16_sdwa s[6:7], v8, s9 src0_sel:BYTE_0 src1_sel:DWORD
	v_bfrev_b32_e32 v27, 1
	s_and_saveexec_b64 s[20:21], s[6:7]
	s_cbranch_execz .LBB304_653
; %bb.650:                              ;   in Loop: Header=BB304_411 Depth=1
	v_bfe_u32 v29, v51, 16, 7
	v_cmp_ne_u32_e64 s[6:7], s15, v29
	v_mov_b32_e32 v27, 0x7fc02000
	s_and_saveexec_b64 s[22:23], s[6:7]
	s_cbranch_execz .LBB304_652
; %bb.651:                              ;   in Loop: Header=BB304_411 Depth=1
	v_and_b32_e32 v16, 7, v8
	v_ffbh_u32_e32 v23, v16
	v_min_u32_e32 v23, 32, v23
	v_lshrrev_b32_e32 v18, 3, v29
	v_subrev_u32_e32 v27, 28, v23
	v_sub_u32_e32 v23, 29, v23
	v_cmp_gt_u32_e64 s[6:7], 8, v29
	v_lshlrev_b64 v[54:55], v27, v[8:9]
	v_cndmask_b32_e64 v18, v18, v23, s[6:7]
	v_and_b32_e32 v27, 7, v54
	v_lshlrev_b32_e32 v8, 8, v8
	v_lshl_add_u32 v18, v18, 10, v45
	v_cndmask_b32_e64 v16, v16, v27, s[6:7]
	v_and_or_b32 v8, v8, s36, v18
	v_lshl_or_b32 v8, v16, 7, v8
	v_cvt_f32_f16_e32 v27, v8
.LBB304_652:                            ;   in Loop: Header=BB304_411 Depth=1
	s_or_b64 exec, exec, s[22:23]
.LBB304_653:                            ;   in Loop: Header=BB304_411 Depth=1
	s_or_b64 exec, exec, s[20:21]
.LBB304_654:                            ;   in Loop: Header=BB304_411 Depth=1
	s_or_b64 exec, exec, s[18:19]
	v_cmp_lt_u64_e64 s[6:7], s[28:29], v[50:51]
	s_and_saveexec_b64 s[18:19], s[6:7]
	s_cbranch_execz .LBB304_660
; %bb.655:                              ;   in Loop: Header=BB304_411 Depth=1
	v_lshrrev_b32_e32 v8, 24, v51
	v_cmp_ne_u32_e64 s[6:7], s9, v8
	v_bfrev_b32_e32 v26, 1
	s_and_saveexec_b64 s[20:21], s[6:7]
	s_cbranch_execz .LBB304_659
; %bb.656:                              ;   in Loop: Header=BB304_411 Depth=1
	v_and_b32_e32 v29, 0x7f, v8
	v_cmp_ne_u32_e64 s[6:7], s15, v29
	v_mov_b32_e32 v26, 0x7fc02000
	s_and_saveexec_b64 s[22:23], s[6:7]
	s_cbranch_execz .LBB304_658
; %bb.657:                              ;   in Loop: Header=BB304_411 Depth=1
	v_and_b32_e32 v16, 7, v8
	v_ffbh_u32_e32 v23, v16
	v_min_u32_e32 v23, 32, v23
	v_lshrrev_b32_e32 v18, 3, v29
	v_subrev_u32_e32 v26, 28, v23
	v_sub_u32_e32 v23, 29, v23
	v_cmp_gt_u32_e64 s[6:7], 8, v29
	v_lshlrev_b64 v[50:51], v26, v[8:9]
	v_cndmask_b32_e64 v18, v18, v23, s[6:7]
	v_and_b32_e32 v26, 7, v50
	v_lshlrev_b32_e32 v8, 8, v8
	v_lshl_add_u32 v18, v18, 10, v45
	v_cndmask_b32_e64 v16, v16, v26, s[6:7]
	v_and_or_b32 v8, v8, s36, v18
	v_lshl_or_b32 v8, v16, 7, v8
	v_cvt_f32_f16_e32 v26, v8
.LBB304_658:                            ;   in Loop: Header=BB304_411 Depth=1
	s_or_b64 exec, exec, s[22:23]
.LBB304_659:                            ;   in Loop: Header=BB304_411 Depth=1
	s_or_b64 exec, exec, s[20:21]
.LBB304_660:                            ;   in Loop: Header=BB304_411 Depth=1
	s_or_b64 exec, exec, s[18:19]
	v_pk_mul_f32 v[48:49], v[28:29], v[48:49] op_sel_hi:[0,1]
	v_pk_mul_f32 v[30:31], v[28:29], v[30:31] op_sel_hi:[0,1]
	v_cvt_f16_f32_e32 v8, v49
	v_cvt_f16_f32_e32 v16, v48
	;; [unrolled: 1-line block ×4, first 2 shown]
	v_fma_mixlo_f16 v6, v28, v6, 0
	v_pack_b32_f16 v16, v16, v8
	v_fma_mixlo_f16 v27, v28, v27, 0
	v_pack_b32_f16 v18, v23, v18
	v_perm_b32 v8, v18, v16, s38
	v_perm_b32 v29, v18, v16, s39
	v_fma_mixlo_f16 v16, v28, v22, 0
	v_lshlrev_b32_e32 v16, 16, v16
	v_or_b32_sdwa v6, v16, v6 dst_sel:DWORD dst_unused:UNUSED_PAD src0_sel:DWORD src1_sel:WORD_0
	v_fma_mixlo_f16 v16, v28, v26, 0
	v_lshlrev_b32_e32 v16, 16, v16
	v_or_b32_sdwa v22, v16, v27 dst_sel:DWORD dst_unused:UNUSED_PAD src0_sel:DWORD src1_sel:WORD_0
	s_and_saveexec_b64 s[18:19], s[4:5]
	s_cbranch_execz .LBB304_662
; %bb.661:                              ;   in Loop: Header=BB304_411 Depth=1
	v_add_u32_e32 v16, 1, v46
	v_lshrrev_b32_e32 v18, 16, v29
	v_cmp_lt_i32_e64 s[6:7], v16, v3
	v_accvgpr_read_b32 v26, a8
	v_cndmask_b32_e64 v16, 0, v18, s[6:7]
	v_cmp_lt_i32_e64 s[6:7], v46, v26
	v_cndmask_b32_e64 v18, 0, v29, s[6:7]
	v_perm_b32 v29, v16, v18, s40
	v_or_b32_e32 v16, 3, v46
	v_or_b32_e32 v18, 2, v46
	v_lshrrev_b32_e32 v23, 16, v8
	v_cmp_lt_i32_e64 s[6:7], v16, v3
	v_cndmask_b32_e64 v16, 0, v23, s[6:7]
	v_cmp_lt_i32_e64 s[6:7], v18, v26
	v_cndmask_b32_e64 v8, 0, v8, s[6:7]
	v_perm_b32 v8, v16, v8, s40
	v_or_b32_e32 v16, 5, v46
	v_or_b32_e32 v18, 4, v46
	v_lshrrev_b32_e32 v23, 16, v6
	v_cmp_lt_i32_e64 s[6:7], v16, v3
	;; [unrolled: 8-line block ×3, first 2 shown]
	v_cndmask_b32_e64 v16, 0, v22, s[6:7]
	v_cmp_lt_i32_e64 s[6:7], v18, v26
	v_cndmask_b32_e64 v18, 0, v27, s[6:7]
	v_perm_b32 v22, v16, v18, s40
.LBB304_662:                            ;   in Loop: Header=BB304_411 Depth=1
	s_or_b64 exec, exec, s[18:19]
	;;#ASMSTART
	v_pk_mul_f16 v16, v58, v29;

	;;#ASMEND
	;;#ASMSTART
	v_pk_mul_f16 v8, v57, v8;

	;;#ASMEND
	;; [unrolled: 4-line block ×4, first 2 shown]
	;;#ASMSTART
	v_pk_add_f16 v8, v16, v8;

	;;#ASMEND
	;;#ASMSTART
	v_pk_add_f16 v6, v8, v6;

	;;#ASMEND
	;; [unrolled: 4-line block ×3, first 2 shown]
	v_lshrrev_b32_e32 v8, 16, v6
	v_and_b32_e32 v6, 0xffff, v6
	v_accvgpr_read_b32 v27, a5
	;;#ASMSTART
	v_cvt_f32_f16 v6, v6;
	;;#ASMEND
	;;#ASMSTART
	v_cvt_f32_f16 v22, v8;
	;;#ASMEND
	flat_load_dwordx2 v[50:51], v[24:25] offset:2560
	v_accvgpr_read_b32 v26, a4
	flat_load_dword v28, v[26:27]
	v_mov_b32_e32 v48, 0
	v_mov_b32_e32 v30, 0
	s_waitcnt vmcnt(0) lgkmcnt(0)
	v_cmp_ne_u16_sdwa s[6:7], v50, v9 src0_sel:BYTE_0 src1_sel:DWORD
	s_and_saveexec_b64 s[18:19], s[6:7]
	s_cbranch_execz .LBB304_668
; %bb.663:                              ;   in Loop: Header=BB304_411 Depth=1
	v_cmp_ne_u16_sdwa s[6:7], v50, s9 src0_sel:BYTE_0 src1_sel:DWORD
	v_bfrev_b32_e32 v30, 1
	s_and_saveexec_b64 s[20:21], s[6:7]
	s_cbranch_execz .LBB304_667
; %bb.664:                              ;   in Loop: Header=BB304_411 Depth=1
	v_and_b32_e32 v8, 0x7f, v50
	v_cmp_ne_u32_e64 s[6:7], s15, v8
	v_mov_b32_e32 v30, 0x7fc02000
	s_and_saveexec_b64 s[22:23], s[6:7]
	s_cbranch_execz .LBB304_666
; %bb.665:                              ;   in Loop: Header=BB304_411 Depth=1
	v_and_b32_e32 v16, 7, v50
	v_ffbh_u32_e32 v16, v16
	v_min_u32_e32 v16, 32, v16
	v_subrev_u32_e32 v23, 28, v16
	v_cmp_gt_u32_e64 s[6:7], 8, v8
	v_lshrrev_b32_e32 v18, 3, v8
	v_sub_u32_e32 v16, 29, v16
	v_cndmask_b32_e64 v8, 0, v23, s[6:7]
	v_lshlrev_b64 v[26:27], v8, v[50:51]
	v_cndmask_b32_e64 v8, v18, v16, s[6:7]
	v_lshlrev_b32_e32 v18, 8, v50
	v_lshl_add_u32 v8, v8, 10, v45
	v_lshlrev_b32_e32 v16, 7, v26
	v_and_or_b32 v8, v18, s36, v8
	v_and_or_b32 v8, v16, s37, v8
	v_cvt_f32_f16_e32 v30, v8
.LBB304_666:                            ;   in Loop: Header=BB304_411 Depth=1
	s_or_b64 exec, exec, s[22:23]
.LBB304_667:                            ;   in Loop: Header=BB304_411 Depth=1
	s_or_b64 exec, exec, s[20:21]
.LBB304_668:                            ;   in Loop: Header=BB304_411 Depth=1
	s_or_b64 exec, exec, s[18:19]
	v_lshrrev_b16_e32 v8, 8, v50
	v_cmp_ne_u16_e64 s[6:7], 0, v8
	s_and_saveexec_b64 s[18:19], s[6:7]
	s_cbranch_execz .LBB304_674
; %bb.669:                              ;   in Loop: Header=BB304_411 Depth=1
	v_cmp_ne_u16_e64 s[6:7], s9, v8
	v_bfrev_b32_e32 v48, 1
	s_and_saveexec_b64 s[20:21], s[6:7]
	s_cbranch_execz .LBB304_673
; %bb.670:                              ;   in Loop: Header=BB304_411 Depth=1
	v_and_b32_e32 v26, 0x7f, v8
	v_cmp_ne_u32_e64 s[6:7], s15, v26
	v_mov_b32_e32 v48, 0x7fc02000
	s_and_saveexec_b64 s[22:23], s[6:7]
	s_cbranch_execz .LBB304_672
; %bb.671:                              ;   in Loop: Header=BB304_411 Depth=1
	v_and_b32_e32 v16, 7, v8
	v_ffbh_u32_e32 v23, v16
	v_min_u32_e32 v23, 32, v23
	v_lshrrev_b32_e32 v18, 3, v26
	v_subrev_u32_e32 v27, 28, v23
	v_sub_u32_e32 v23, 29, v23
	v_cmp_gt_u32_e64 s[6:7], 8, v26
	v_lshlrev_b64 v[48:49], v27, v[8:9]
	v_cndmask_b32_e64 v18, v18, v23, s[6:7]
	v_and_b32_e32 v27, 7, v48
	v_lshlrev_b32_e32 v8, 8, v8
	v_lshl_add_u32 v18, v18, 10, v45
	v_cndmask_b32_e64 v16, v16, v27, s[6:7]
	v_and_or_b32 v8, v8, s36, v18
	v_lshl_or_b32 v8, v16, 7, v8
	v_cvt_f32_f16_e32 v48, v8
.LBB304_672:                            ;   in Loop: Header=BB304_411 Depth=1
	s_or_b64 exec, exec, s[22:23]
.LBB304_673:                            ;   in Loop: Header=BB304_411 Depth=1
	s_or_b64 exec, exec, s[20:21]
.LBB304_674:                            ;   in Loop: Header=BB304_411 Depth=1
	s_or_b64 exec, exec, s[18:19]
	v_lshrrev_b32_e32 v8, 16, v50
	v_cmp_ne_u16_sdwa s[6:7], v8, v9 src0_sel:BYTE_0 src1_sel:DWORD
	v_mov_b32_e32 v49, 0
	v_mov_b32_e32 v31, 0
	s_and_saveexec_b64 s[18:19], s[6:7]
	s_cbranch_execz .LBB304_680
; %bb.675:                              ;   in Loop: Header=BB304_411 Depth=1
	v_cmp_ne_u16_sdwa s[6:7], v8, s9 src0_sel:BYTE_0 src1_sel:DWORD
	v_bfrev_b32_e32 v31, 1
	s_and_saveexec_b64 s[20:21], s[6:7]
	s_cbranch_execz .LBB304_679
; %bb.676:                              ;   in Loop: Header=BB304_411 Depth=1
	v_bfe_u32 v26, v50, 16, 7
	v_cmp_ne_u32_e64 s[6:7], s15, v26
	v_mov_b32_e32 v31, 0x7fc02000
	s_and_saveexec_b64 s[22:23], s[6:7]
	s_cbranch_execz .LBB304_678
; %bb.677:                              ;   in Loop: Header=BB304_411 Depth=1
	v_and_b32_e32 v16, 7, v8
	v_ffbh_u32_e32 v23, v16
	v_min_u32_e32 v23, 32, v23
	v_lshrrev_b32_e32 v18, 3, v26
	v_subrev_u32_e32 v27, 28, v23
	v_sub_u32_e32 v23, 29, v23
	v_cmp_gt_u32_e64 s[6:7], 8, v26
	v_lshlrev_b64 v[54:55], v27, v[8:9]
	v_cndmask_b32_e64 v18, v18, v23, s[6:7]
	v_and_b32_e32 v27, 7, v54
	v_lshlrev_b32_e32 v8, 8, v8
	v_lshl_add_u32 v18, v18, 10, v45
	v_cndmask_b32_e64 v16, v16, v27, s[6:7]
	v_and_or_b32 v8, v8, s36, v18
	v_lshl_or_b32 v8, v16, 7, v8
	v_cvt_f32_f16_e32 v31, v8
.LBB304_678:                            ;   in Loop: Header=BB304_411 Depth=1
	s_or_b64 exec, exec, s[22:23]
.LBB304_679:                            ;   in Loop: Header=BB304_411 Depth=1
	s_or_b64 exec, exec, s[20:21]
.LBB304_680:                            ;   in Loop: Header=BB304_411 Depth=1
	s_or_b64 exec, exec, s[18:19]
	v_cmp_lt_u32_e64 s[6:7], s29, v50
	s_and_saveexec_b64 s[18:19], s[6:7]
	s_cbranch_execz .LBB304_686
; %bb.681:                              ;   in Loop: Header=BB304_411 Depth=1
	v_lshrrev_b32_e32 v8, 24, v50
	v_cmp_ne_u32_e64 s[6:7], s9, v8
	v_bfrev_b32_e32 v49, 1
	s_and_saveexec_b64 s[20:21], s[6:7]
	s_cbranch_execz .LBB304_685
; %bb.682:                              ;   in Loop: Header=BB304_411 Depth=1
	v_and_b32_e32 v26, 0x7f, v8
	v_cmp_ne_u32_e64 s[6:7], s15, v26
	v_mov_b32_e32 v49, 0x7fc02000
	s_and_saveexec_b64 s[22:23], s[6:7]
	s_cbranch_execz .LBB304_684
; %bb.683:                              ;   in Loop: Header=BB304_411 Depth=1
	v_and_b32_e32 v16, 7, v8
	v_ffbh_u32_e32 v23, v16
	v_min_u32_e32 v23, 32, v23
	v_lshrrev_b32_e32 v18, 3, v26
	v_subrev_u32_e32 v27, 28, v23
	v_sub_u32_e32 v23, 29, v23
	v_cmp_gt_u32_e64 s[6:7], 8, v26
	v_lshlrev_b64 v[54:55], v27, v[8:9]
	v_cndmask_b32_e64 v18, v18, v23, s[6:7]
	v_and_b32_e32 v27, 7, v54
	v_lshlrev_b32_e32 v8, 8, v8
	v_lshl_add_u32 v18, v18, 10, v45
	v_cndmask_b32_e64 v16, v16, v27, s[6:7]
	v_and_or_b32 v8, v8, s36, v18
	v_lshl_or_b32 v8, v16, 7, v8
	v_cvt_f32_f16_e32 v49, v8
.LBB304_684:                            ;   in Loop: Header=BB304_411 Depth=1
	s_or_b64 exec, exec, s[22:23]
.LBB304_685:                            ;   in Loop: Header=BB304_411 Depth=1
	s_or_b64 exec, exec, s[20:21]
.LBB304_686:                            ;   in Loop: Header=BB304_411 Depth=1
	s_or_b64 exec, exec, s[18:19]
	v_mov_b32_e32 v8, v51
	v_cmp_ne_u16_sdwa s[6:7], v51, v9 src0_sel:BYTE_0 src1_sel:DWORD
	v_mov_b32_e32 v27, 0
	v_mov_b32_e32 v26, 0
	s_and_saveexec_b64 s[18:19], s[6:7]
	s_cbranch_execz .LBB304_692
; %bb.687:                              ;   in Loop: Header=BB304_411 Depth=1
	v_cmp_ne_u16_sdwa s[6:7], v51, s9 src0_sel:BYTE_0 src1_sel:DWORD
	v_bfrev_b32_e32 v26, 1
	s_and_saveexec_b64 s[20:21], s[6:7]
	s_cbranch_execz .LBB304_691
; %bb.688:                              ;   in Loop: Header=BB304_411 Depth=1
	v_and_b32_e32 v29, 0x7f, v51
	v_cmp_ne_u32_e64 s[6:7], s15, v29
	v_mov_b32_e32 v26, 0x7fc02000
	s_and_saveexec_b64 s[22:23], s[6:7]
	s_cbranch_execz .LBB304_690
; %bb.689:                              ;   in Loop: Header=BB304_411 Depth=1
	v_and_b32_e32 v16, 7, v51
	v_ffbh_u32_e32 v16, v16
	v_min_u32_e32 v16, 32, v16
	v_lshrrev_b32_e32 v18, 3, v29
	v_subrev_u32_e32 v23, 28, v16
	v_sub_u32_e32 v16, 29, v16
	v_cmp_gt_u32_e64 s[6:7], 8, v29
	v_cndmask_b32_e64 v23, 0, v23, s[6:7]
	v_cndmask_b32_e64 v16, v18, v16, s[6:7]
	v_lshlrev_b64 v[54:55], v23, v[8:9]
	v_lshlrev_b32_e32 v23, 8, v51
	v_lshl_add_u32 v16, v16, 10, v45
	v_lshlrev_b32_e32 v18, 7, v54
	v_and_or_b32 v16, v23, s36, v16
	v_and_or_b32 v16, v18, s37, v16
	v_cvt_f32_f16_e32 v26, v16
.LBB304_690:                            ;   in Loop: Header=BB304_411 Depth=1
	s_or_b64 exec, exec, s[22:23]
.LBB304_691:                            ;   in Loop: Header=BB304_411 Depth=1
	s_or_b64 exec, exec, s[20:21]
.LBB304_692:                            ;   in Loop: Header=BB304_411 Depth=1
	s_or_b64 exec, exec, s[18:19]
	v_lshrrev_b16_e32 v8, 8, v8
	v_cmp_ne_u16_e64 s[6:7], 0, v8
	s_and_saveexec_b64 s[18:19], s[6:7]
	s_cbranch_execz .LBB304_698
; %bb.693:                              ;   in Loop: Header=BB304_411 Depth=1
	v_cmp_ne_u16_e64 s[6:7], s9, v8
	v_bfrev_b32_e32 v27, 1
	s_and_saveexec_b64 s[20:21], s[6:7]
	s_cbranch_execz .LBB304_697
; %bb.694:                              ;   in Loop: Header=BB304_411 Depth=1
	v_and_b32_e32 v29, 0x7f, v8
	v_cmp_ne_u32_e64 s[6:7], s15, v29
	v_mov_b32_e32 v27, 0x7fc02000
	s_and_saveexec_b64 s[22:23], s[6:7]
	s_cbranch_execz .LBB304_696
; %bb.695:                              ;   in Loop: Header=BB304_411 Depth=1
	v_and_b32_e32 v16, 7, v8
	v_ffbh_u32_e32 v23, v16
	v_min_u32_e32 v23, 32, v23
	v_lshrrev_b32_e32 v18, 3, v29
	v_subrev_u32_e32 v27, 28, v23
	v_sub_u32_e32 v23, 29, v23
	v_cmp_gt_u32_e64 s[6:7], 8, v29
	v_lshlrev_b64 v[54:55], v27, v[8:9]
	v_cndmask_b32_e64 v18, v18, v23, s[6:7]
	v_and_b32_e32 v27, 7, v54
	v_lshlrev_b32_e32 v8, 8, v8
	v_lshl_add_u32 v18, v18, 10, v45
	v_cndmask_b32_e64 v16, v16, v27, s[6:7]
	v_and_or_b32 v8, v8, s36, v18
	v_lshl_or_b32 v8, v16, 7, v8
	v_cvt_f32_f16_e32 v27, v8
.LBB304_696:                            ;   in Loop: Header=BB304_411 Depth=1
	s_or_b64 exec, exec, s[22:23]
.LBB304_697:                            ;   in Loop: Header=BB304_411 Depth=1
	s_or_b64 exec, exec, s[20:21]
.LBB304_698:                            ;   in Loop: Header=BB304_411 Depth=1
	s_or_b64 exec, exec, s[18:19]
	v_lshrrev_b32_e32 v8, 16, v51
	v_cmp_ne_u16_sdwa s[6:7], v8, v9 src0_sel:BYTE_0 src1_sel:DWORD
	v_mov_b32_e32 v29, 0
	v_mov_b32_e32 v52, 0
	s_and_saveexec_b64 s[18:19], s[6:7]
	s_cbranch_execz .LBB304_704
; %bb.699:                              ;   in Loop: Header=BB304_411 Depth=1
	v_cmp_ne_u16_sdwa s[6:7], v8, s9 src0_sel:BYTE_0 src1_sel:DWORD
	v_bfrev_b32_e32 v52, 1
	s_and_saveexec_b64 s[20:21], s[6:7]
	s_cbranch_execz .LBB304_703
; %bb.700:                              ;   in Loop: Header=BB304_411 Depth=1
	v_bfe_u32 v54, v51, 16, 7
	v_cmp_ne_u32_e64 s[6:7], s15, v54
	v_mov_b32_e32 v52, 0x7fc02000
	s_and_saveexec_b64 s[22:23], s[6:7]
	s_cbranch_execz .LBB304_702
; %bb.701:                              ;   in Loop: Header=BB304_411 Depth=1
	v_and_b32_e32 v16, 7, v8
	v_ffbh_u32_e32 v23, v16
	v_min_u32_e32 v23, 32, v23
	v_lshrrev_b32_e32 v18, 3, v54
	v_subrev_u32_e32 v52, 28, v23
	v_sub_u32_e32 v23, 29, v23
	v_cmp_gt_u32_e64 s[6:7], 8, v54
	v_lshlrev_b64 v[42:43], v52, v[8:9]
	v_cndmask_b32_e64 v18, v18, v23, s[6:7]
	v_and_b32_e32 v52, 7, v42
	v_lshlrev_b32_e32 v8, 8, v8
	v_lshl_add_u32 v18, v18, 10, v45
	v_cndmask_b32_e64 v16, v16, v52, s[6:7]
	v_and_or_b32 v8, v8, s36, v18
	v_lshl_or_b32 v8, v16, 7, v8
	v_cvt_f32_f16_e32 v52, v8
.LBB304_702:                            ;   in Loop: Header=BB304_411 Depth=1
	s_or_b64 exec, exec, s[22:23]
.LBB304_703:                            ;   in Loop: Header=BB304_411 Depth=1
	s_or_b64 exec, exec, s[20:21]
.LBB304_704:                            ;   in Loop: Header=BB304_411 Depth=1
	s_or_b64 exec, exec, s[18:19]
	v_cmp_lt_u64_e64 s[6:7], s[28:29], v[50:51]
	s_and_saveexec_b64 s[18:19], s[6:7]
	s_cbranch_execz .LBB304_710
; %bb.705:                              ;   in Loop: Header=BB304_411 Depth=1
	v_lshrrev_b32_e32 v8, 24, v51
	v_cmp_ne_u32_e64 s[6:7], s9, v8
	v_bfrev_b32_e32 v29, 1
	s_and_saveexec_b64 s[20:21], s[6:7]
	s_cbranch_execz .LBB304_709
; %bb.706:                              ;   in Loop: Header=BB304_411 Depth=1
	v_and_b32_e32 v50, 0x7f, v8
	v_cmp_ne_u32_e64 s[6:7], s15, v50
	v_mov_b32_e32 v29, 0x7fc02000
	s_and_saveexec_b64 s[22:23], s[6:7]
	s_cbranch_execz .LBB304_708
; %bb.707:                              ;   in Loop: Header=BB304_411 Depth=1
	v_and_b32_e32 v16, 7, v8
	v_ffbh_u32_e32 v23, v16
	v_min_u32_e32 v23, 32, v23
	v_lshrrev_b32_e32 v18, 3, v50
	v_subrev_u32_e32 v29, 28, v23
	v_sub_u32_e32 v23, 29, v23
	v_cmp_gt_u32_e64 s[6:7], 8, v50
	v_lshlrev_b64 v[54:55], v29, v[8:9]
	v_cndmask_b32_e64 v18, v18, v23, s[6:7]
	v_and_b32_e32 v29, 7, v54
	v_lshlrev_b32_e32 v8, 8, v8
	v_lshl_add_u32 v18, v18, 10, v45
	v_cndmask_b32_e64 v16, v16, v29, s[6:7]
	v_and_or_b32 v8, v8, s36, v18
	v_lshl_or_b32 v8, v16, 7, v8
	v_cvt_f32_f16_e32 v29, v8
.LBB304_708:                            ;   in Loop: Header=BB304_411 Depth=1
	s_or_b64 exec, exec, s[22:23]
.LBB304_709:                            ;   in Loop: Header=BB304_411 Depth=1
	s_or_b64 exec, exec, s[20:21]
.LBB304_710:                            ;   in Loop: Header=BB304_411 Depth=1
	s_or_b64 exec, exec, s[18:19]
	v_pk_mul_f32 v[48:49], v[28:29], v[48:49] op_sel_hi:[0,1]
	v_pk_mul_f32 v[30:31], v[28:29], v[30:31] op_sel_hi:[0,1]
	v_cvt_f16_f32_e32 v8, v49
	v_cvt_f16_f32_e32 v16, v48
	;; [unrolled: 1-line block ×4, first 2 shown]
	v_fma_mixlo_f16 v31, v28, v52, 0
	v_pack_b32_f16 v16, v16, v8
	v_pack_b32_f16 v18, v23, v18
	v_perm_b32 v8, v18, v16, s38
	v_perm_b32 v30, v18, v16, s39
	v_fma_mixlo_f16 v16, v28, v27, 0
	v_lshlrev_b32_e32 v16, 16, v16
	v_fma_mixlo_f16 v18, v28, v26, 0
	v_or_b32_sdwa v26, v16, v18 dst_sel:DWORD dst_unused:UNUSED_PAD src0_sel:DWORD src1_sel:WORD_0
	v_fma_mixlo_f16 v16, v28, v29, 0
	v_lshlrev_b32_e32 v16, 16, v16
	v_or_b32_sdwa v27, v16, v31 dst_sel:DWORD dst_unused:UNUSED_PAD src0_sel:DWORD src1_sel:WORD_0
	s_and_saveexec_b64 s[18:19], s[4:5]
	s_cbranch_execz .LBB304_712
; %bb.711:                              ;   in Loop: Header=BB304_411 Depth=1
	v_add_u32_e32 v16, 1, v46
	v_lshrrev_b32_e32 v18, 16, v30
	v_cmp_lt_i32_e64 s[6:7], v16, v3
	v_accvgpr_read_b32 v28, a8
	v_cndmask_b32_e64 v16, 0, v18, s[6:7]
	v_cmp_lt_i32_e64 s[6:7], v46, v28
	v_cndmask_b32_e64 v18, 0, v30, s[6:7]
	v_perm_b32 v30, v16, v18, s40
	v_or_b32_e32 v16, 3, v46
	v_or_b32_e32 v18, 2, v46
	v_lshrrev_b32_e32 v23, 16, v8
	v_cmp_lt_i32_e64 s[6:7], v16, v3
	v_cndmask_b32_e64 v16, 0, v23, s[6:7]
	v_cmp_lt_i32_e64 s[6:7], v18, v28
	v_cndmask_b32_e64 v8, 0, v8, s[6:7]
	v_perm_b32 v8, v16, v8, s40
	v_or_b32_e32 v16, 5, v46
	v_or_b32_e32 v18, 4, v46
	v_lshrrev_b32_e32 v23, 16, v26
	v_cmp_lt_i32_e64 s[6:7], v16, v3
	;; [unrolled: 8-line block ×3, first 2 shown]
	v_cndmask_b32_e64 v16, 0, v23, s[6:7]
	v_cmp_lt_i32_e64 s[6:7], v18, v28
	v_cndmask_b32_e64 v18, 0, v31, s[6:7]
	v_perm_b32 v27, v16, v18, s40
.LBB304_712:                            ;   in Loop: Header=BB304_411 Depth=1
	s_or_b64 exec, exec, s[18:19]
	;;#ASMSTART
	v_pk_mul_f16 v16, v58, v30;

	;;#ASMEND
	;;#ASMSTART
	v_pk_mul_f16 v8, v57, v8;

	;;#ASMEND
	;; [unrolled: 4-line block ×4, first 2 shown]
	;;#ASMSTART
	v_pk_add_f16 v8, v16, v8;

	;;#ASMEND
	;;#ASMSTART
	v_pk_add_f16 v8, v8, v18;

	;;#ASMEND
	;; [unrolled: 4-line block ×3, first 2 shown]
	v_lshrrev_b32_e32 v16, 16, v8
	v_and_b32_e32 v8, 0xffff, v8
	;;#ASMSTART
	v_cvt_f32_f16 v26, v8;
	;;#ASMEND
	;;#ASMSTART
	v_cvt_f32_f16 v27, v16;
	;;#ASMEND
	flat_load_dwordx2 v[48:49], v[24:25] offset:3072
	v_accvgpr_read_b32 v25, a5
	v_accvgpr_read_b32 v24, a4
	flat_load_dword v24, v[24:25]
	v_mov_b32_e32 v30, 0
	v_mov_b32_e32 v28, 0
	s_waitcnt vmcnt(0) lgkmcnt(0)
	v_cmp_ne_u16_sdwa s[6:7], v48, v9 src0_sel:BYTE_0 src1_sel:DWORD
	s_and_saveexec_b64 s[18:19], s[6:7]
	s_cbranch_execz .LBB304_718
; %bb.713:                              ;   in Loop: Header=BB304_411 Depth=1
	v_cmp_ne_u16_sdwa s[6:7], v48, s9 src0_sel:BYTE_0 src1_sel:DWORD
	v_bfrev_b32_e32 v28, 1
	s_and_saveexec_b64 s[20:21], s[6:7]
	s_cbranch_execz .LBB304_717
; %bb.714:                              ;   in Loop: Header=BB304_411 Depth=1
	v_and_b32_e32 v8, 0x7f, v48
	v_cmp_ne_u32_e64 s[6:7], s15, v8
	v_mov_b32_e32 v28, 0x7fc02000
	s_and_saveexec_b64 s[22:23], s[6:7]
	s_cbranch_execz .LBB304_716
; %bb.715:                              ;   in Loop: Header=BB304_411 Depth=1
	v_and_b32_e32 v16, 7, v48
	v_ffbh_u32_e32 v16, v16
	v_min_u32_e32 v16, 32, v16
	v_subrev_u32_e32 v23, 28, v16
	v_cmp_gt_u32_e64 s[6:7], 8, v8
	v_lshrrev_b32_e32 v18, 3, v8
	v_sub_u32_e32 v16, 29, v16
	v_cndmask_b32_e64 v8, 0, v23, s[6:7]
	v_lshlrev_b64 v[28:29], v8, v[48:49]
	v_cndmask_b32_e64 v8, v18, v16, s[6:7]
	v_lshlrev_b32_e32 v18, 8, v48
	v_lshl_add_u32 v8, v8, 10, v45
	v_lshlrev_b32_e32 v16, 7, v28
	v_and_or_b32 v8, v18, s36, v8
	v_and_or_b32 v8, v16, s37, v8
	v_cvt_f32_f16_e32 v28, v8
.LBB304_716:                            ;   in Loop: Header=BB304_411 Depth=1
	s_or_b64 exec, exec, s[22:23]
.LBB304_717:                            ;   in Loop: Header=BB304_411 Depth=1
	s_or_b64 exec, exec, s[20:21]
.LBB304_718:                            ;   in Loop: Header=BB304_411 Depth=1
	s_or_b64 exec, exec, s[18:19]
	v_lshrrev_b16_e32 v8, 8, v48
	v_cmp_ne_u16_e64 s[6:7], 0, v8
	s_and_saveexec_b64 s[18:19], s[6:7]
	s_cbranch_execz .LBB304_724
; %bb.719:                              ;   in Loop: Header=BB304_411 Depth=1
	v_cmp_ne_u16_e64 s[6:7], s9, v8
	v_bfrev_b32_e32 v30, 1
	s_and_saveexec_b64 s[20:21], s[6:7]
	s_cbranch_execz .LBB304_723
; %bb.720:                              ;   in Loop: Header=BB304_411 Depth=1
	v_and_b32_e32 v25, 0x7f, v8
	v_cmp_ne_u32_e64 s[6:7], s15, v25
	v_mov_b32_e32 v30, 0x7fc02000
	s_and_saveexec_b64 s[22:23], s[6:7]
	s_cbranch_execz .LBB304_722
; %bb.721:                              ;   in Loop: Header=BB304_411 Depth=1
	v_and_b32_e32 v16, 7, v8
	v_ffbh_u32_e32 v23, v16
	v_min_u32_e32 v23, 32, v23
	v_lshrrev_b32_e32 v18, 3, v25
	v_subrev_u32_e32 v29, 28, v23
	v_sub_u32_e32 v23, 29, v23
	v_cmp_gt_u32_e64 s[6:7], 8, v25
	v_lshlrev_b64 v[30:31], v29, v[8:9]
	v_cndmask_b32_e64 v18, v18, v23, s[6:7]
	v_and_b32_e32 v29, 7, v30
	v_lshlrev_b32_e32 v8, 8, v8
	v_lshl_add_u32 v18, v18, 10, v45
	v_cndmask_b32_e64 v16, v16, v29, s[6:7]
	v_and_or_b32 v8, v8, s36, v18
	v_lshl_or_b32 v8, v16, 7, v8
	v_cvt_f32_f16_e32 v30, v8
.LBB304_722:                            ;   in Loop: Header=BB304_411 Depth=1
	s_or_b64 exec, exec, s[22:23]
.LBB304_723:                            ;   in Loop: Header=BB304_411 Depth=1
	s_or_b64 exec, exec, s[20:21]
.LBB304_724:                            ;   in Loop: Header=BB304_411 Depth=1
	s_or_b64 exec, exec, s[18:19]
	v_lshrrev_b32_e32 v8, 16, v48
	v_cmp_ne_u16_sdwa s[6:7], v8, v9 src0_sel:BYTE_0 src1_sel:DWORD
	v_mov_b32_e32 v31, 0
	v_mov_b32_e32 v29, 0
	s_and_saveexec_b64 s[18:19], s[6:7]
	s_cbranch_execz .LBB304_730
; %bb.725:                              ;   in Loop: Header=BB304_411 Depth=1
	v_cmp_ne_u16_sdwa s[6:7], v8, s9 src0_sel:BYTE_0 src1_sel:DWORD
	v_bfrev_b32_e32 v29, 1
	s_and_saveexec_b64 s[20:21], s[6:7]
	s_cbranch_execz .LBB304_729
; %bb.726:                              ;   in Loop: Header=BB304_411 Depth=1
	v_bfe_u32 v25, v48, 16, 7
	v_cmp_ne_u32_e64 s[6:7], s15, v25
	v_mov_b32_e32 v29, 0x7fc02000
	s_and_saveexec_b64 s[22:23], s[6:7]
	s_cbranch_execz .LBB304_728
; %bb.727:                              ;   in Loop: Header=BB304_411 Depth=1
	v_and_b32_e32 v16, 7, v8
	v_ffbh_u32_e32 v23, v16
	v_min_u32_e32 v23, 32, v23
	v_lshrrev_b32_e32 v18, 3, v25
	v_subrev_u32_e32 v29, 28, v23
	v_sub_u32_e32 v23, 29, v23
	v_cmp_gt_u32_e64 s[6:7], 8, v25
	v_lshlrev_b64 v[50:51], v29, v[8:9]
	v_cndmask_b32_e64 v18, v18, v23, s[6:7]
	v_and_b32_e32 v29, 7, v50
	v_lshlrev_b32_e32 v8, 8, v8
	v_lshl_add_u32 v18, v18, 10, v45
	v_cndmask_b32_e64 v16, v16, v29, s[6:7]
	v_and_or_b32 v8, v8, s36, v18
	v_lshl_or_b32 v8, v16, 7, v8
	v_cvt_f32_f16_e32 v29, v8
.LBB304_728:                            ;   in Loop: Header=BB304_411 Depth=1
	s_or_b64 exec, exec, s[22:23]
.LBB304_729:                            ;   in Loop: Header=BB304_411 Depth=1
	s_or_b64 exec, exec, s[20:21]
.LBB304_730:                            ;   in Loop: Header=BB304_411 Depth=1
	s_or_b64 exec, exec, s[18:19]
	v_cmp_lt_u32_e64 s[6:7], s29, v48
	s_and_saveexec_b64 s[18:19], s[6:7]
	s_cbranch_execz .LBB304_736
; %bb.731:                              ;   in Loop: Header=BB304_411 Depth=1
	v_lshrrev_b32_e32 v8, 24, v48
	v_cmp_ne_u32_e64 s[6:7], s9, v8
	v_bfrev_b32_e32 v31, 1
	s_and_saveexec_b64 s[20:21], s[6:7]
	s_cbranch_execz .LBB304_735
; %bb.732:                              ;   in Loop: Header=BB304_411 Depth=1
	v_and_b32_e32 v25, 0x7f, v8
	v_cmp_ne_u32_e64 s[6:7], s15, v25
	v_mov_b32_e32 v31, 0x7fc02000
	s_and_saveexec_b64 s[22:23], s[6:7]
	s_cbranch_execz .LBB304_734
; %bb.733:                              ;   in Loop: Header=BB304_411 Depth=1
	v_and_b32_e32 v16, 7, v8
	v_ffbh_u32_e32 v23, v16
	v_min_u32_e32 v23, 32, v23
	v_lshrrev_b32_e32 v18, 3, v25
	v_subrev_u32_e32 v31, 28, v23
	v_sub_u32_e32 v23, 29, v23
	v_cmp_gt_u32_e64 s[6:7], 8, v25
	v_lshlrev_b64 v[50:51], v31, v[8:9]
	v_cndmask_b32_e64 v18, v18, v23, s[6:7]
	v_and_b32_e32 v31, 7, v50
	v_lshlrev_b32_e32 v8, 8, v8
	v_lshl_add_u32 v18, v18, 10, v45
	v_cndmask_b32_e64 v16, v16, v31, s[6:7]
	v_and_or_b32 v8, v8, s36, v18
	v_lshl_or_b32 v8, v16, 7, v8
	v_cvt_f32_f16_e32 v31, v8
.LBB304_734:                            ;   in Loop: Header=BB304_411 Depth=1
	s_or_b64 exec, exec, s[22:23]
.LBB304_735:                            ;   in Loop: Header=BB304_411 Depth=1
	s_or_b64 exec, exec, s[20:21]
.LBB304_736:                            ;   in Loop: Header=BB304_411 Depth=1
	s_or_b64 exec, exec, s[18:19]
	v_mov_b32_e32 v8, v49
	v_cmp_ne_u16_sdwa s[6:7], v49, v9 src0_sel:BYTE_0 src1_sel:DWORD
	v_mov_b32_e32 v50, 0
	v_mov_b32_e32 v25, 0
	s_and_saveexec_b64 s[18:19], s[6:7]
	s_cbranch_execz .LBB304_742
; %bb.737:                              ;   in Loop: Header=BB304_411 Depth=1
	v_cmp_ne_u16_sdwa s[6:7], v49, s9 src0_sel:BYTE_0 src1_sel:DWORD
	v_bfrev_b32_e32 v25, 1
	s_and_saveexec_b64 s[20:21], s[6:7]
	s_cbranch_execz .LBB304_741
; %bb.738:                              ;   in Loop: Header=BB304_411 Depth=1
	v_and_b32_e32 v51, 0x7f, v49
	v_cmp_ne_u32_e64 s[6:7], s15, v51
	v_mov_b32_e32 v25, 0x7fc02000
	s_and_saveexec_b64 s[22:23], s[6:7]
	s_cbranch_execz .LBB304_740
; %bb.739:                              ;   in Loop: Header=BB304_411 Depth=1
	v_and_b32_e32 v16, 7, v49
	v_ffbh_u32_e32 v16, v16
	v_min_u32_e32 v16, 32, v16
	v_lshrrev_b32_e32 v18, 3, v51
	v_subrev_u32_e32 v23, 28, v16
	v_sub_u32_e32 v16, 29, v16
	v_cmp_gt_u32_e64 s[6:7], 8, v51
	v_cndmask_b32_e64 v23, 0, v23, s[6:7]
	v_cndmask_b32_e64 v16, v18, v16, s[6:7]
	v_lshlrev_b64 v[54:55], v23, v[8:9]
	v_lshlrev_b32_e32 v23, 8, v49
	v_lshl_add_u32 v16, v16, 10, v45
	v_lshlrev_b32_e32 v18, 7, v54
	v_and_or_b32 v16, v23, s36, v16
	v_and_or_b32 v16, v18, s37, v16
	v_cvt_f32_f16_e32 v25, v16
.LBB304_740:                            ;   in Loop: Header=BB304_411 Depth=1
	s_or_b64 exec, exec, s[22:23]
.LBB304_741:                            ;   in Loop: Header=BB304_411 Depth=1
	s_or_b64 exec, exec, s[20:21]
.LBB304_742:                            ;   in Loop: Header=BB304_411 Depth=1
	s_or_b64 exec, exec, s[18:19]
	v_lshrrev_b16_e32 v8, 8, v8
	v_cmp_ne_u16_e64 s[6:7], 0, v8
	s_and_saveexec_b64 s[18:19], s[6:7]
	s_cbranch_execz .LBB304_748
; %bb.743:                              ;   in Loop: Header=BB304_411 Depth=1
	v_cmp_ne_u16_e64 s[6:7], s9, v8
	v_bfrev_b32_e32 v50, 1
	s_and_saveexec_b64 s[20:21], s[6:7]
	s_cbranch_execz .LBB304_747
; %bb.744:                              ;   in Loop: Header=BB304_411 Depth=1
	v_and_b32_e32 v51, 0x7f, v8
	v_cmp_ne_u32_e64 s[6:7], s15, v51
	v_mov_b32_e32 v50, 0x7fc02000
	s_and_saveexec_b64 s[22:23], s[6:7]
	s_cbranch_execz .LBB304_746
; %bb.745:                              ;   in Loop: Header=BB304_411 Depth=1
	v_and_b32_e32 v16, 7, v8
	v_ffbh_u32_e32 v23, v16
	v_min_u32_e32 v23, 32, v23
	v_lshrrev_b32_e32 v18, 3, v51
	v_subrev_u32_e32 v50, 28, v23
	v_sub_u32_e32 v23, 29, v23
	v_cmp_gt_u32_e64 s[6:7], 8, v51
	v_lshlrev_b64 v[54:55], v50, v[8:9]
	v_cndmask_b32_e64 v18, v18, v23, s[6:7]
	v_and_b32_e32 v50, 7, v54
	v_lshlrev_b32_e32 v8, 8, v8
	v_lshl_add_u32 v18, v18, 10, v45
	v_cndmask_b32_e64 v16, v16, v50, s[6:7]
	v_and_or_b32 v8, v8, s36, v18
	v_lshl_or_b32 v8, v16, 7, v8
	v_cvt_f32_f16_e32 v50, v8
.LBB304_746:                            ;   in Loop: Header=BB304_411 Depth=1
	s_or_b64 exec, exec, s[22:23]
.LBB304_747:                            ;   in Loop: Header=BB304_411 Depth=1
	s_or_b64 exec, exec, s[20:21]
.LBB304_748:                            ;   in Loop: Header=BB304_411 Depth=1
	s_or_b64 exec, exec, s[18:19]
	v_lshrrev_b32_e32 v8, 16, v49
	v_cmp_ne_u16_sdwa s[6:7], v8, v9 src0_sel:BYTE_0 src1_sel:DWORD
	v_mov_b32_e32 v51, 0
	v_mov_b32_e32 v52, 0
	s_and_saveexec_b64 s[18:19], s[6:7]
	s_cbranch_execz .LBB304_754
; %bb.749:                              ;   in Loop: Header=BB304_411 Depth=1
	v_cmp_ne_u16_sdwa s[6:7], v8, s9 src0_sel:BYTE_0 src1_sel:DWORD
	v_bfrev_b32_e32 v52, 1
	s_and_saveexec_b64 s[20:21], s[6:7]
	s_cbranch_execz .LBB304_753
; %bb.750:                              ;   in Loop: Header=BB304_411 Depth=1
	v_bfe_u32 v54, v49, 16, 7
	v_cmp_ne_u32_e64 s[6:7], s15, v54
	v_mov_b32_e32 v52, 0x7fc02000
	s_and_saveexec_b64 s[22:23], s[6:7]
	s_cbranch_execz .LBB304_752
; %bb.751:                              ;   in Loop: Header=BB304_411 Depth=1
	v_and_b32_e32 v16, 7, v8
	v_ffbh_u32_e32 v23, v16
	v_min_u32_e32 v23, 32, v23
	v_lshrrev_b32_e32 v18, 3, v54
	v_subrev_u32_e32 v52, 28, v23
	v_sub_u32_e32 v23, 29, v23
	v_cmp_gt_u32_e64 s[6:7], 8, v54
	v_lshlrev_b64 v[42:43], v52, v[8:9]
	v_cndmask_b32_e64 v18, v18, v23, s[6:7]
	v_and_b32_e32 v52, 7, v42
	v_lshlrev_b32_e32 v8, 8, v8
	v_lshl_add_u32 v18, v18, 10, v45
	v_cndmask_b32_e64 v16, v16, v52, s[6:7]
	v_and_or_b32 v8, v8, s36, v18
	v_lshl_or_b32 v8, v16, 7, v8
	v_cvt_f32_f16_e32 v52, v8
.LBB304_752:                            ;   in Loop: Header=BB304_411 Depth=1
	s_or_b64 exec, exec, s[22:23]
.LBB304_753:                            ;   in Loop: Header=BB304_411 Depth=1
	s_or_b64 exec, exec, s[20:21]
.LBB304_754:                            ;   in Loop: Header=BB304_411 Depth=1
	s_or_b64 exec, exec, s[18:19]
	v_cmp_lt_u64_e64 s[6:7], s[28:29], v[48:49]
	s_and_saveexec_b64 s[18:19], s[6:7]
	s_cbranch_execz .LBB304_760
; %bb.755:                              ;   in Loop: Header=BB304_411 Depth=1
	v_lshrrev_b32_e32 v8, 24, v49
	v_cmp_ne_u32_e64 s[6:7], s9, v8
	v_bfrev_b32_e32 v51, 1
	s_and_saveexec_b64 s[20:21], s[6:7]
	s_cbranch_execz .LBB304_759
; %bb.756:                              ;   in Loop: Header=BB304_411 Depth=1
	v_and_b32_e32 v48, 0x7f, v8
	v_cmp_ne_u32_e64 s[6:7], s15, v48
	v_mov_b32_e32 v51, 0x7fc02000
	s_and_saveexec_b64 s[22:23], s[6:7]
	s_cbranch_execz .LBB304_758
; %bb.757:                              ;   in Loop: Header=BB304_411 Depth=1
	v_and_b32_e32 v16, 7, v8
	v_ffbh_u32_e32 v23, v16
	v_min_u32_e32 v23, 32, v23
	v_lshrrev_b32_e32 v18, 3, v48
	v_subrev_u32_e32 v49, 28, v23
	v_sub_u32_e32 v23, 29, v23
	v_cmp_gt_u32_e64 s[6:7], 8, v48
	v_lshlrev_b64 v[54:55], v49, v[8:9]
	v_cndmask_b32_e64 v18, v18, v23, s[6:7]
	v_and_b32_e32 v49, 7, v54
	v_lshlrev_b32_e32 v8, 8, v8
	v_lshl_add_u32 v18, v18, 10, v45
	v_cndmask_b32_e64 v16, v16, v49, s[6:7]
	v_and_or_b32 v8, v8, s36, v18
	v_lshl_or_b32 v8, v16, 7, v8
	v_cvt_f32_f16_e32 v51, v8
.LBB304_758:                            ;   in Loop: Header=BB304_411 Depth=1
	s_or_b64 exec, exec, s[22:23]
.LBB304_759:                            ;   in Loop: Header=BB304_411 Depth=1
	s_or_b64 exec, exec, s[20:21]
.LBB304_760:                            ;   in Loop: Header=BB304_411 Depth=1
	s_or_b64 exec, exec, s[18:19]
	v_pk_mul_f32 v[30:31], v[24:25], v[30:31] op_sel_hi:[0,1]
	v_pk_mul_f32 v[28:29], v[24:25], v[28:29] op_sel_hi:[0,1]
	v_cvt_f16_f32_e32 v8, v31
	v_cvt_f16_f32_e32 v16, v30
	v_cvt_f16_f32_e32 v18, v29
	v_cvt_f16_f32_e32 v23, v28
	v_fma_mixlo_f16 v29, v24, v52, 0
	v_pack_b32_f16 v16, v16, v8
	v_pack_b32_f16 v18, v23, v18
	v_perm_b32 v8, v18, v16, s38
	v_perm_b32 v28, v18, v16, s39
	v_fma_mixlo_f16 v16, v24, v50, 0
	v_lshlrev_b32_e32 v16, 16, v16
	v_fma_mixlo_f16 v18, v24, v25, 0
	v_or_b32_sdwa v25, v16, v18 dst_sel:DWORD dst_unused:UNUSED_PAD src0_sel:DWORD src1_sel:WORD_0
	v_fma_mixlo_f16 v16, v24, v51, 0
	v_lshlrev_b32_e32 v16, 16, v16
	v_or_b32_sdwa v24, v16, v29 dst_sel:DWORD dst_unused:UNUSED_PAD src0_sel:DWORD src1_sel:WORD_0
	s_and_saveexec_b64 s[18:19], s[4:5]
	s_cbranch_execz .LBB304_762
; %bb.761:                              ;   in Loop: Header=BB304_411 Depth=1
	v_add_u32_e32 v16, 1, v46
	v_lshrrev_b32_e32 v18, 16, v28
	v_cmp_lt_i32_e64 s[6:7], v16, v3
	v_accvgpr_read_b32 v30, a8
	v_cndmask_b32_e64 v16, 0, v18, s[6:7]
	v_cmp_lt_i32_e64 s[6:7], v46, v30
	v_cndmask_b32_e64 v18, 0, v28, s[6:7]
	v_perm_b32 v28, v16, v18, s40
	v_or_b32_e32 v16, 3, v46
	v_or_b32_e32 v18, 2, v46
	v_lshrrev_b32_e32 v23, 16, v8
	v_cmp_lt_i32_e64 s[6:7], v16, v3
	v_cndmask_b32_e64 v16, 0, v23, s[6:7]
	v_cmp_lt_i32_e64 s[6:7], v18, v30
	v_cndmask_b32_e64 v8, 0, v8, s[6:7]
	v_perm_b32 v8, v16, v8, s40
	v_or_b32_e32 v16, 5, v46
	v_or_b32_e32 v18, 4, v46
	v_lshrrev_b32_e32 v23, 16, v25
	v_cmp_lt_i32_e64 s[6:7], v16, v3
	;; [unrolled: 8-line block ×3, first 2 shown]
	v_cndmask_b32_e64 v16, 0, v23, s[6:7]
	v_cmp_lt_i32_e64 s[6:7], v18, v30
	v_cndmask_b32_e64 v18, 0, v29, s[6:7]
	v_perm_b32 v24, v16, v18, s40
.LBB304_762:                            ;   in Loop: Header=BB304_411 Depth=1
	s_or_b64 exec, exec, s[18:19]
	v_add_f32_e32 v4, v4, v5
	v_add_f32_e32 v33, v33, v4
	;; [unrolled: 1-line block ×10, first 2 shown]
	;;#ASMSTART
	v_pk_mul_f16 v4, v58, v28;

	;;#ASMEND
	;;#ASMSTART
	v_pk_mul_f16 v5, v57, v8;

	;;#ASMEND
	;; [unrolled: 4-line block ×4, first 2 shown]
	;;#ASMSTART
	v_pk_add_f16 v4, v4, v5;

	;;#ASMEND
	;;#ASMSTART
	v_pk_add_f16 v4, v4, v6;

	;;#ASMEND
	;; [unrolled: 4-line block ×3, first 2 shown]
	v_lshrrev_b32_e32 v5, 16, v4
	v_and_b32_e32 v4, 0xffff, v4
	;;#ASMSTART
	v_cvt_f32_f16 v4, v4;
	;;#ASMEND
	v_add_f32_e32 v16, v59, v60
	;;#ASMSTART
	v_cvt_f32_f16 v5, v5;
	;;#ASMEND
	v_add_f32_e32 v4, v4, v5
	v_add_f32_e32 v32, v32, v16
	;; [unrolled: 1-line block ×3, first 2 shown]
	s_and_saveexec_b64 s[18:19], vcc
	s_cbranch_execz .LBB304_409
; %bb.763:                              ;   in Loop: Header=BB304_411 Depth=1
	v_add_co_u32_e64 v4, s[6:7], v20, v10
	v_addc_co_u32_e64 v5, s[6:7], 0, v21, s[6:7]
	flat_load_dwordx2 v[30:31], v[4:5]
	v_accvgpr_read_b32 v4, a4
	v_accvgpr_read_b32 v5, a5
	flat_load_dword v20, v[4:5]
	v_mov_b32_e32 v28, 0
	v_mov_b32_e32 v24, 0
	s_waitcnt vmcnt(0) lgkmcnt(0)
	v_cmp_ne_u16_sdwa s[6:7], v30, v9 src0_sel:BYTE_0 src1_sel:DWORD
	s_and_saveexec_b64 s[20:21], s[6:7]
	s_cbranch_execz .LBB304_769
; %bb.764:                              ;   in Loop: Header=BB304_411 Depth=1
	v_cmp_ne_u16_sdwa s[6:7], v30, s9 src0_sel:BYTE_0 src1_sel:DWORD
	v_bfrev_b32_e32 v24, 1
	s_and_saveexec_b64 s[22:23], s[6:7]
	s_cbranch_execz .LBB304_768
; %bb.765:                              ;   in Loop: Header=BB304_411 Depth=1
	v_and_b32_e32 v4, 0x7f, v30
	v_cmp_ne_u32_e64 s[6:7], s15, v4
	v_mov_b32_e32 v24, 0x7fc02000
	s_and_saveexec_b64 s[34:35], s[6:7]
	s_cbranch_execz .LBB304_767
; %bb.766:                              ;   in Loop: Header=BB304_411 Depth=1
	v_and_b32_e32 v5, 7, v30
	v_ffbh_u32_e32 v5, v5
	v_min_u32_e32 v5, 32, v5
	v_subrev_u32_e32 v7, 28, v5
	v_cmp_gt_u32_e64 s[6:7], 8, v4
	v_lshrrev_b32_e32 v6, 3, v4
	v_cndmask_b32_e64 v4, 0, v7, s[6:7]
	v_sub_u32_e32 v8, 29, v5
	v_lshlrev_b64 v[4:5], v4, v[30:31]
	v_cndmask_b32_e64 v5, v6, v8, s[6:7]
	v_lshlrev_b32_e32 v6, 8, v30
	v_lshl_add_u32 v5, v5, 10, v45
	v_lshlrev_b32_e32 v4, 7, v4
	v_and_or_b32 v5, v6, s36, v5
	v_and_or_b32 v4, v4, s37, v5
	v_cvt_f32_f16_e32 v24, v4
.LBB304_767:                            ;   in Loop: Header=BB304_411 Depth=1
	s_or_b64 exec, exec, s[34:35]
.LBB304_768:                            ;   in Loop: Header=BB304_411 Depth=1
	s_or_b64 exec, exec, s[22:23]
.LBB304_769:                            ;   in Loop: Header=BB304_411 Depth=1
	s_or_b64 exec, exec, s[20:21]
	v_lshrrev_b16_e32 v8, 8, v30
	v_cmp_ne_u16_e64 s[6:7], 0, v8
	s_and_saveexec_b64 s[20:21], s[6:7]
	s_cbranch_execz .LBB304_775
; %bb.770:                              ;   in Loop: Header=BB304_411 Depth=1
	v_cmp_ne_u16_e64 s[6:7], s9, v8
	v_bfrev_b32_e32 v28, 1
	s_and_saveexec_b64 s[22:23], s[6:7]
	s_cbranch_execz .LBB304_774
; %bb.771:                              ;   in Loop: Header=BB304_411 Depth=1
	v_and_b32_e32 v4, 0x7f, v8
	v_cmp_ne_u32_e64 s[6:7], s15, v4
	v_mov_b32_e32 v28, 0x7fc02000
	s_and_saveexec_b64 s[34:35], s[6:7]
	s_cbranch_execz .LBB304_773
; %bb.772:                              ;   in Loop: Header=BB304_411 Depth=1
	v_and_b32_e32 v5, 7, v8
	v_ffbh_u32_e32 v6, v5
	v_min_u32_e32 v17, 32, v6
	v_subrev_u32_e32 v6, 28, v17
	v_lshlrev_b64 v[6:7], v6, v[8:9]
	v_lshrrev_b32_e32 v16, 3, v4
	v_sub_u32_e32 v7, 29, v17
	v_cmp_gt_u32_e64 s[6:7], 8, v4
	v_and_b32_e32 v6, 7, v6
	v_cndmask_b32_e64 v4, v16, v7, s[6:7]
	v_cndmask_b32_e64 v5, v5, v6, s[6:7]
	v_lshlrev_b32_e32 v6, 8, v8
	v_lshl_add_u32 v4, v4, 10, v45
	v_and_or_b32 v4, v6, s36, v4
	v_lshl_or_b32 v4, v5, 7, v4
	v_cvt_f32_f16_e32 v28, v4
.LBB304_773:                            ;   in Loop: Header=BB304_411 Depth=1
	s_or_b64 exec, exec, s[34:35]
.LBB304_774:                            ;   in Loop: Header=BB304_411 Depth=1
	s_or_b64 exec, exec, s[22:23]
.LBB304_775:                            ;   in Loop: Header=BB304_411 Depth=1
	s_or_b64 exec, exec, s[20:21]
	v_lshrrev_b32_e32 v8, 16, v30
	v_cmp_ne_u16_sdwa s[6:7], v8, v9 src0_sel:BYTE_0 src1_sel:DWORD
	v_mov_b32_e32 v29, 0
	v_mov_b32_e32 v25, 0
	s_and_saveexec_b64 s[20:21], s[6:7]
	s_cbranch_execz .LBB304_781
; %bb.776:                              ;   in Loop: Header=BB304_411 Depth=1
	v_cmp_ne_u16_sdwa s[6:7], v8, s9 src0_sel:BYTE_0 src1_sel:DWORD
	v_bfrev_b32_e32 v25, 1
	s_and_saveexec_b64 s[22:23], s[6:7]
	s_cbranch_execz .LBB304_780
; %bb.777:                              ;   in Loop: Header=BB304_411 Depth=1
	v_bfe_u32 v4, v30, 16, 7
	v_cmp_ne_u32_e64 s[6:7], s15, v4
	v_mov_b32_e32 v25, 0x7fc02000
	s_and_saveexec_b64 s[34:35], s[6:7]
	s_cbranch_execz .LBB304_779
; %bb.778:                              ;   in Loop: Header=BB304_411 Depth=1
	v_and_b32_e32 v5, 7, v8
	v_ffbh_u32_e32 v6, v5
	v_min_u32_e32 v17, 32, v6
	v_subrev_u32_e32 v6, 28, v17
	v_lshlrev_b64 v[6:7], v6, v[8:9]
	v_lshrrev_b32_e32 v16, 3, v4
	v_sub_u32_e32 v7, 29, v17
	v_cmp_gt_u32_e64 s[6:7], 8, v4
	v_and_b32_e32 v6, 7, v6
	v_cndmask_b32_e64 v4, v16, v7, s[6:7]
	v_cndmask_b32_e64 v5, v5, v6, s[6:7]
	v_lshlrev_b32_e32 v6, 8, v8
	v_lshl_add_u32 v4, v4, 10, v45
	v_and_or_b32 v4, v6, s36, v4
	v_lshl_or_b32 v4, v5, 7, v4
	v_cvt_f32_f16_e32 v25, v4
.LBB304_779:                            ;   in Loop: Header=BB304_411 Depth=1
	s_or_b64 exec, exec, s[34:35]
.LBB304_780:                            ;   in Loop: Header=BB304_411 Depth=1
	s_or_b64 exec, exec, s[22:23]
.LBB304_781:                            ;   in Loop: Header=BB304_411 Depth=1
	s_or_b64 exec, exec, s[20:21]
	v_cmp_lt_u32_e64 s[6:7], s29, v30
	s_and_saveexec_b64 s[20:21], s[6:7]
	s_cbranch_execz .LBB304_787
; %bb.782:                              ;   in Loop: Header=BB304_411 Depth=1
	v_lshrrev_b32_e32 v8, 24, v30
	v_cmp_ne_u32_e64 s[6:7], s9, v8
	v_bfrev_b32_e32 v29, 1
	s_and_saveexec_b64 s[22:23], s[6:7]
	s_cbranch_execz .LBB304_786
; %bb.783:                              ;   in Loop: Header=BB304_411 Depth=1
	v_and_b32_e32 v4, 0x7f, v8
	v_cmp_ne_u32_e64 s[6:7], s15, v4
	v_mov_b32_e32 v29, 0x7fc02000
	s_and_saveexec_b64 s[34:35], s[6:7]
	s_cbranch_execz .LBB304_785
; %bb.784:                              ;   in Loop: Header=BB304_411 Depth=1
	v_and_b32_e32 v5, 7, v8
	v_ffbh_u32_e32 v6, v5
	v_min_u32_e32 v17, 32, v6
	v_subrev_u32_e32 v6, 28, v17
	v_lshlrev_b64 v[6:7], v6, v[8:9]
	v_lshrrev_b32_e32 v16, 3, v4
	v_sub_u32_e32 v7, 29, v17
	v_cmp_gt_u32_e64 s[6:7], 8, v4
	v_and_b32_e32 v6, 7, v6
	v_cndmask_b32_e64 v4, v16, v7, s[6:7]
	v_cndmask_b32_e64 v5, v5, v6, s[6:7]
	v_lshlrev_b32_e32 v6, 8, v8
	v_lshl_add_u32 v4, v4, 10, v45
	v_and_or_b32 v4, v6, s36, v4
	v_lshl_or_b32 v4, v5, 7, v4
	v_cvt_f32_f16_e32 v29, v4
.LBB304_785:                            ;   in Loop: Header=BB304_411 Depth=1
	s_or_b64 exec, exec, s[34:35]
.LBB304_786:                            ;   in Loop: Header=BB304_411 Depth=1
	s_or_b64 exec, exec, s[22:23]
.LBB304_787:                            ;   in Loop: Header=BB304_411 Depth=1
	s_or_b64 exec, exec, s[20:21]
	v_mov_b32_e32 v8, v31
	v_cmp_ne_u16_sdwa s[6:7], v31, v9 src0_sel:BYTE_0 src1_sel:DWORD
	v_mov_b32_e32 v5, 0
	v_mov_b32_e32 v4, 0
	s_and_saveexec_b64 s[20:21], s[6:7]
	s_cbranch_execz .LBB304_793
; %bb.788:                              ;   in Loop: Header=BB304_411 Depth=1
	v_cmp_ne_u16_sdwa s[6:7], v31, s9 src0_sel:BYTE_0 src1_sel:DWORD
	v_bfrev_b32_e32 v4, 1
	s_and_saveexec_b64 s[22:23], s[6:7]
	s_cbranch_execz .LBB304_792
; %bb.789:                              ;   in Loop: Header=BB304_411 Depth=1
	v_and_b32_e32 v6, 0x7f, v31
	v_cmp_ne_u32_e64 s[6:7], s15, v6
	v_mov_b32_e32 v4, 0x7fc02000
	s_and_saveexec_b64 s[34:35], s[6:7]
	s_cbranch_execz .LBB304_791
; %bb.790:                              ;   in Loop: Header=BB304_411 Depth=1
	v_and_b32_e32 v4, 7, v31
	v_ffbh_u32_e32 v4, v4
	v_min_u32_e32 v4, 32, v4
	v_subrev_u32_e32 v7, 28, v4
	v_cmp_gt_u32_e64 s[6:7], 8, v6
	v_lshrrev_b32_e32 v16, 3, v6
	v_sub_u32_e32 v4, 29, v4
	v_cndmask_b32_e64 v6, 0, v7, s[6:7]
	v_lshlrev_b64 v[6:7], v6, v[8:9]
	v_cndmask_b32_e64 v4, v16, v4, s[6:7]
	v_lshlrev_b32_e32 v7, 8, v31
	v_lshl_add_u32 v4, v4, 10, v45
	v_lshlrev_b32_e32 v6, 7, v6
	v_and_or_b32 v4, v7, s36, v4
	v_and_or_b32 v4, v6, s37, v4
	v_cvt_f32_f16_e32 v4, v4
.LBB304_791:                            ;   in Loop: Header=BB304_411 Depth=1
	s_or_b64 exec, exec, s[34:35]
.LBB304_792:                            ;   in Loop: Header=BB304_411 Depth=1
	s_or_b64 exec, exec, s[22:23]
.LBB304_793:                            ;   in Loop: Header=BB304_411 Depth=1
	s_or_b64 exec, exec, s[20:21]
	v_lshrrev_b16_e32 v8, 8, v8
	v_cmp_ne_u16_e64 s[6:7], 0, v8
	s_and_saveexec_b64 s[20:21], s[6:7]
	s_cbranch_execz .LBB304_799
; %bb.794:                              ;   in Loop: Header=BB304_411 Depth=1
	v_cmp_ne_u16_e64 s[6:7], s9, v8
	v_bfrev_b32_e32 v5, 1
	s_and_saveexec_b64 s[22:23], s[6:7]
	s_cbranch_execz .LBB304_798
; %bb.795:                              ;   in Loop: Header=BB304_411 Depth=1
	v_and_b32_e32 v6, 0x7f, v8
	v_cmp_ne_u32_e64 s[6:7], s15, v6
	v_mov_b32_e32 v5, 0x7fc02000
	s_and_saveexec_b64 s[34:35], s[6:7]
	s_cbranch_execz .LBB304_797
; %bb.796:                              ;   in Loop: Header=BB304_411 Depth=1
	v_and_b32_e32 v5, 7, v8
	v_ffbh_u32_e32 v16, v5
	v_min_u32_e32 v16, 32, v16
	v_lshrrev_b32_e32 v7, 3, v6
	v_subrev_u32_e32 v17, 28, v16
	v_sub_u32_e32 v16, 29, v16
	v_cmp_gt_u32_e64 s[6:7], 8, v6
	v_lshlrev_b64 v[26:27], v17, v[8:9]
	v_cndmask_b32_e64 v6, v7, v16, s[6:7]
	v_and_b32_e32 v17, 7, v26
	v_lshlrev_b32_e32 v7, 8, v8
	v_lshl_add_u32 v6, v6, 10, v45
	v_cndmask_b32_e64 v5, v5, v17, s[6:7]
	v_and_or_b32 v6, v7, s36, v6
	v_lshl_or_b32 v5, v5, 7, v6
	v_cvt_f32_f16_e32 v5, v5
.LBB304_797:                            ;   in Loop: Header=BB304_411 Depth=1
	s_or_b64 exec, exec, s[34:35]
.LBB304_798:                            ;   in Loop: Header=BB304_411 Depth=1
	s_or_b64 exec, exec, s[22:23]
.LBB304_799:                            ;   in Loop: Header=BB304_411 Depth=1
	s_or_b64 exec, exec, s[20:21]
	v_lshrrev_b32_e32 v8, 16, v31
	v_cmp_ne_u16_sdwa s[6:7], v8, v9 src0_sel:BYTE_0 src1_sel:DWORD
	v_mov_b32_e32 v6, 0
	v_mov_b32_e32 v7, 0
	s_and_saveexec_b64 s[20:21], s[6:7]
	s_cbranch_execz .LBB304_805
; %bb.800:                              ;   in Loop: Header=BB304_411 Depth=1
	v_cmp_ne_u16_sdwa s[6:7], v8, s9 src0_sel:BYTE_0 src1_sel:DWORD
	v_bfrev_b32_e32 v7, 1
	s_and_saveexec_b64 s[22:23], s[6:7]
	s_cbranch_execz .LBB304_804
; %bb.801:                              ;   in Loop: Header=BB304_411 Depth=1
	v_bfe_u32 v17, v31, 16, 7
	v_cmp_ne_u32_e64 s[6:7], s15, v17
	v_mov_b32_e32 v7, 0x7fc02000
	s_and_saveexec_b64 s[34:35], s[6:7]
	s_cbranch_execz .LBB304_803
; %bb.802:                              ;   in Loop: Header=BB304_411 Depth=1
	v_and_b32_e32 v7, 7, v8
	v_ffbh_u32_e32 v18, v7
	v_min_u32_e32 v18, 32, v18
	v_lshrrev_b32_e32 v16, 3, v17
	v_subrev_u32_e32 v21, 28, v18
	v_sub_u32_e32 v18, 29, v18
	v_cmp_gt_u32_e64 s[6:7], 8, v17
	v_lshlrev_b64 v[26:27], v21, v[8:9]
	v_cndmask_b32_e64 v16, v16, v18, s[6:7]
	v_and_b32_e32 v21, 7, v26
	v_lshlrev_b32_e32 v8, 8, v8
	v_lshl_add_u32 v16, v16, 10, v45
	v_cndmask_b32_e64 v7, v7, v21, s[6:7]
	v_and_or_b32 v8, v8, s36, v16
	v_lshl_or_b32 v7, v7, 7, v8
	v_cvt_f32_f16_e32 v7, v7
.LBB304_803:                            ;   in Loop: Header=BB304_411 Depth=1
	s_or_b64 exec, exec, s[34:35]
.LBB304_804:                            ;   in Loop: Header=BB304_411 Depth=1
	s_or_b64 exec, exec, s[22:23]
.LBB304_805:                            ;   in Loop: Header=BB304_411 Depth=1
	s_or_b64 exec, exec, s[20:21]
	v_cmp_lt_u64_e64 s[6:7], s[28:29], v[30:31]
	s_and_saveexec_b64 s[20:21], s[6:7]
	s_cbranch_execz .LBB304_811
; %bb.806:                              ;   in Loop: Header=BB304_411 Depth=1
	v_lshrrev_b32_e32 v8, 24, v31
	v_cmp_ne_u32_e64 s[6:7], s9, v8
	v_bfrev_b32_e32 v6, 1
	s_and_saveexec_b64 s[22:23], s[6:7]
	s_cbranch_execz .LBB304_810
; %bb.807:                              ;   in Loop: Header=BB304_411 Depth=1
	v_and_b32_e32 v17, 0x7f, v8
	v_cmp_ne_u32_e64 s[6:7], s15, v17
	v_mov_b32_e32 v6, 0x7fc02000
	s_and_saveexec_b64 s[34:35], s[6:7]
	s_cbranch_execz .LBB304_809
; %bb.808:                              ;   in Loop: Header=BB304_411 Depth=1
	v_and_b32_e32 v6, 7, v8
	v_ffbh_u32_e32 v18, v6
	v_min_u32_e32 v18, 32, v18
	v_lshrrev_b32_e32 v16, 3, v17
	v_subrev_u32_e32 v21, 28, v18
	v_sub_u32_e32 v18, 29, v18
	v_cmp_gt_u32_e64 s[6:7], 8, v17
	v_lshlrev_b64 v[26:27], v21, v[8:9]
	v_cndmask_b32_e64 v16, v16, v18, s[6:7]
	v_and_b32_e32 v21, 7, v26
	v_lshlrev_b32_e32 v8, 8, v8
	v_lshl_add_u32 v16, v16, 10, v45
	v_cndmask_b32_e64 v6, v6, v21, s[6:7]
	v_and_or_b32 v8, v8, s36, v16
	v_lshl_or_b32 v6, v6, 7, v8
	v_cvt_f32_f16_e32 v6, v6
.LBB304_809:                            ;   in Loop: Header=BB304_411 Depth=1
	s_or_b64 exec, exec, s[34:35]
.LBB304_810:                            ;   in Loop: Header=BB304_411 Depth=1
	s_or_b64 exec, exec, s[22:23]
.LBB304_811:                            ;   in Loop: Header=BB304_411 Depth=1
	s_or_b64 exec, exec, s[20:21]
	v_pk_mul_f32 v[26:27], v[20:21], v[28:29] op_sel_hi:[0,1]
	v_pk_mul_f32 v[24:25], v[20:21], v[24:25] op_sel_hi:[0,1]
	v_cvt_f16_f32_e32 v8, v27
	v_cvt_f16_f32_e32 v16, v26
	;; [unrolled: 1-line block ×4, first 2 shown]
	v_fma_mixlo_f16 v5, v20, v5, 0
	v_lshlrev_b32_e32 v5, 16, v5
	v_fma_mixlo_f16 v4, v20, v4, 0
	v_or_b32_sdwa v4, v5, v4 dst_sel:DWORD dst_unused:UNUSED_PAD src0_sel:DWORD src1_sel:WORD_0
	v_fma_mixlo_f16 v5, v20, v6, 0
	v_pack_b32_f16 v16, v16, v8
	v_pack_b32_f16 v17, v18, v17
	v_fma_mixlo_f16 v7, v20, v7, 0
	v_lshlrev_b32_e32 v5, 16, v5
	v_perm_b32 v8, v17, v16, s38
	v_perm_b32 v17, v17, v16, s39
	v_or_b32_sdwa v5, v5, v7 dst_sel:DWORD dst_unused:UNUSED_PAD src0_sel:DWORD src1_sel:WORD_0
	s_and_saveexec_b64 s[6:7], s[4:5]
	s_cbranch_execz .LBB304_408
; %bb.812:                              ;   in Loop: Header=BB304_411 Depth=1
	v_add_u32_e32 v6, 1, v46
	v_lshrrev_b32_e32 v16, 16, v17
	v_cmp_lt_i32_e64 s[4:5], v6, v3
	v_accvgpr_read_b32 v20, a8
	v_cndmask_b32_e64 v6, 0, v16, s[4:5]
	v_cmp_lt_i32_e64 s[4:5], v46, v20
	v_cndmask_b32_e64 v16, 0, v17, s[4:5]
	v_perm_b32 v17, v6, v16, s40
	v_or_b32_e32 v6, 3, v46
	v_or_b32_e32 v16, 2, v46
	v_lshrrev_b32_e32 v18, 16, v8
	v_cmp_lt_i32_e64 s[4:5], v6, v3
	v_cndmask_b32_e64 v6, 0, v18, s[4:5]
	v_cmp_lt_i32_e64 s[4:5], v16, v20
	v_cndmask_b32_e64 v8, 0, v8, s[4:5]
	v_perm_b32 v8, v6, v8, s40
	v_or_b32_e32 v6, 5, v46
	v_or_b32_e32 v16, 4, v46
	v_lshrrev_b32_e32 v18, 16, v4
	v_cmp_lt_i32_e64 s[4:5], v6, v3
	;; [unrolled: 8-line block ×3, first 2 shown]
	v_cndmask_b32_e64 v5, 0, v5, s[4:5]
	v_cmp_lt_i32_e64 s[4:5], v16, v20
	v_cndmask_b32_e64 v6, 0, v7, s[4:5]
	v_perm_b32 v5, v5, v6, s40
	s_branch .LBB304_408
.LBB304_813:
	s_or_b64 exec, exec, s[30:31]
	v_accvgpr_read_b32 v20, a16
.LBB304_814:
	s_or_b64 exec, exec, s[12:13]
	ds_bpermute_b32 v0, v13, v32
	ds_bpermute_b32 v1, v13, v33
	ds_bpermute_b32 v2, v13, v34
	ds_bpermute_b32 v3, v13, v35
	ds_bpermute_b32 v6, v13, v36
	ds_bpermute_b32 v7, v13, v37
	ds_bpermute_b32 v8, v13, v38
	ds_bpermute_b32 v9, v13, v39
	s_waitcnt lgkmcnt(0)
	v_pk_add_f32 v[0:1], v[32:33], v[0:1]
	ds_bpermute_b32 v4, v40, v0
	ds_bpermute_b32 v5, v40, v1
	v_pk_add_f32 v[2:3], v[34:35], v[2:3]
	v_pk_add_f32 v[12:13], v[36:37], v[6:7]
	;; [unrolled: 1-line block ×3, first 2 shown]
	ds_bpermute_b32 v10, v40, v2
	ds_bpermute_b32 v11, v40, v3
	;; [unrolled: 1-line block ×6, first 2 shown]
	s_waitcnt lgkmcnt(0)
	v_pk_add_f32 v[8:9], v[0:1], v[4:5]
	v_accvgpr_read_b32 v4, a2
	v_pk_add_f32 v[6:7], v[2:3], v[10:11]
	v_pk_add_f32 v[2:3], v[12:13], v[14:15]
	;; [unrolled: 1-line block ×3, first 2 shown]
	v_and_b32_e32 v4, 0x3c0, v4
	s_barrier
	v_cmp_eq_u32_e32 vcc, 64, v4
	s_mov_b64 s[6:7], exec
	s_and_b64 s[4:5], s[6:7], vcc
	v_accvgpr_read_b32 v11, a0
	v_accvgpr_read_b32 v12, a1
	s_mov_b64 exec, s[4:5]
	s_cbranch_execz .LBB304_819
; %bb.815:
	v_cmp_eq_u32_e32 vcc, 0, v20
	s_and_saveexec_b64 s[4:5], vcc
	s_cbranch_execz .LBB304_817
; %bb.816:
	s_load_dword s9, s[10:11], 0x0
	s_waitcnt lgkmcnt(0)
	v_lshl_add_u32 v4, v62, 2, s9
	ds_write2_b32 v4, v8, v9 offset1:16
	ds_write2_b32 v4, v6, v7 offset0:32 offset1:48
	ds_write2_b32 v4, v2, v3 offset0:64 offset1:80
	ds_write_b32 v4, v0 offset:384
.LBB304_817:
	s_or_b64 exec, exec, s[4:5]
	v_or_b32_e32 v4, 0x70, v62
	s_movk_i32 s4, 0x78
	v_cmp_gt_u32_e64 s[4:5], s4, v4
	s_and_b64 s[4:5], vcc, s[4:5]
	s_and_b64 exec, exec, s[4:5]
	s_cbranch_execz .LBB304_819
; %bb.818:
	s_load_dword s4, s[10:11], 0x0
	s_waitcnt lgkmcnt(0)
	v_lshl_add_u32 v4, v62, 2, s4
	ds_write_b32 v4, v1 offset:448
.LBB304_819:
	s_or_b64 exec, exec, s[6:7]
	v_accvgpr_read_b32 v4, a2
	v_cmp_gt_u32_e32 vcc, 64, v4
	v_lshrrev_b32_e32 v4, 2, v4
	s_waitcnt lgkmcnt(0)
	s_barrier
	s_and_saveexec_b64 s[12:13], vcc
	s_cbranch_execz .LBB304_831
; %bb.820:
	v_cmp_eq_u32_e64 s[4:5], 0, v20
	s_and_saveexec_b64 s[6:7], s[4:5]
	s_cbranch_execnz .LBB304_837
; %bb.821:
	s_or_b64 exec, exec, s[6:7]
	s_and_saveexec_b64 s[6:7], s[4:5]
	s_cbranch_execnz .LBB304_838
.LBB304_822:
	s_or_b64 exec, exec, s[6:7]
	s_and_saveexec_b64 s[6:7], s[4:5]
	s_cbranch_execnz .LBB304_839
.LBB304_823:
	s_or_b64 exec, exec, s[6:7]
	s_and_saveexec_b64 s[6:7], s[4:5]
	s_cbranch_execnz .LBB304_840
.LBB304_824:
	s_or_b64 exec, exec, s[6:7]
	s_and_saveexec_b64 s[6:7], s[4:5]
	s_cbranch_execnz .LBB304_841
.LBB304_825:
	s_or_b64 exec, exec, s[6:7]
	s_and_saveexec_b64 s[6:7], s[4:5]
	s_cbranch_execnz .LBB304_842
.LBB304_826:
	s_or_b64 exec, exec, s[6:7]
	s_and_saveexec_b64 s[6:7], s[4:5]
	s_cbranch_execz .LBB304_828
.LBB304_827:
	s_load_dword s9, s[10:11], 0x0
	s_waitcnt lgkmcnt(0)
	v_lshl_add_u32 v5, v4, 2, s9
	ds_read_b32 v5, v5 offset:384
	s_waitcnt lgkmcnt(0)
	v_add_f32_e32 v0, v0, v5
.LBB304_828:
	s_or_b64 exec, exec, s[6:7]
	v_or_b32_e32 v5, 0x70, v4
	s_movk_i32 s6, 0x78
	v_cmp_gt_u32_e64 s[6:7], s6, v5
	s_and_b64 s[6:7], s[4:5], s[6:7]
	s_and_saveexec_b64 s[4:5], s[6:7]
	s_cbranch_execz .LBB304_830
; %bb.829:
	s_load_dword s6, s[10:11], 0x0
	s_waitcnt lgkmcnt(0)
	v_lshl_add_u32 v5, v4, 2, s6
	ds_read_b32 v5, v5 offset:448
	s_waitcnt lgkmcnt(0)
	v_add_f32_e32 v1, v1, v5
.LBB304_830:
	s_or_b64 exec, exec, s[4:5]
.LBB304_831:
	s_or_b64 exec, exec, s[12:13]
	s_barrier
	s_and_b64 exec, exec, vcc
	s_cbranch_execz .LBB304_836
; %bb.832:
	s_mul_i32 s4, s8, 0x78
	s_mul_i32 s6, s26, s27
	;; [unrolled: 1-line block ×3, first 2 shown]
	s_ashr_i32 s5, s4, 31
	s_ashr_i32 s7, s6, 31
	;; [unrolled: 1-line block ×3, first 2 shown]
	s_lshl_b64 s[4:5], s[4:5], 1
	s_lshl_b64 s[6:7], s[6:7], 1
	;; [unrolled: 1-line block ×3, first 2 shown]
	s_add_u32 s6, s10, s6
	s_addc_u32 s7, s11, s7
	s_add_u32 s4, s6, s4
	s_addc_u32 s5, s7, s5
	v_mov_b32_e32 v10, s5
	v_add_co_u32_e32 v5, vcc, s4, v12
	v_addc_co_u32_e32 v10, vcc, v10, v11, vcc
	s_movk_i32 s9, 0x78
	v_cmp_eq_u32_e32 vcc, 0, v20
	v_lshlrev_b32_e32 v11, 1, v4
	s_and_saveexec_b64 s[6:7], vcc
	s_cbranch_execz .LBB304_834
; %bb.833:
	v_add_co_u32_e64 v12, s[4:5], v5, v11
	v_addc_co_u32_e64 v13, s[4:5], 0, v10, s[4:5]
	;;#ASMSTART
	v_cvt_f16_f32 v8, v8;

	;;#ASMEND
	flat_store_short v[12:13], v8
	;;#ASMSTART
	v_cvt_f16_f32 v8, v9;

	;;#ASMEND
	flat_store_short v[12:13], v8 offset:32
	;;#ASMSTART
	v_cvt_f16_f32 v6, v6;

	;;#ASMEND
	flat_store_short v[12:13], v6 offset:64
	;; [unrolled: 5-line block ×6, first 2 shown]
.LBB304_834:
	s_or_b64 exec, exec, s[6:7]
	v_or_b32_e32 v0, 0x70, v4
	v_cmp_gt_u32_e64 s[4:5], s9, v0
	s_and_b64 s[4:5], vcc, s[4:5]
	s_and_b64 exec, exec, s[4:5]
	s_cbranch_execz .LBB304_836
; %bb.835:
	v_add_co_u32_e32 v2, vcc, v5, v11
	v_addc_co_u32_e32 v3, vcc, 0, v10, vcc
	;;#ASMSTART
	v_cvt_f16_f32 v0, v1;

	;;#ASMEND
	flat_store_short v[2:3], v0 offset:224
.LBB304_836:
	s_or_b64 exec, exec, s[24:25]
	buffer_load_dword a52, off, s[0:3], s32 offset:8 ; 4-byte Folded Reload
	buffer_load_dword a51, off, s[0:3], s32 offset:12 ; 4-byte Folded Reload
	;; [unrolled: 1-line block ×36, first 2 shown]
	v_readlane_b32 s30, v63, 9
	v_readlane_b32 s31, v63, 10
	;; [unrolled: 1-line block ×11, first 2 shown]
	s_or_saveexec_b64 s[4:5], -1
	buffer_load_dword v63, off, s[0:3], s32 offset:192 ; 4-byte Folded Reload
	s_mov_b64 exec, s[4:5]
	s_waitcnt vmcnt(0) lgkmcnt(0)
	s_setpc_b64 s[30:31]
.LBB304_837:
	s_load_dword s9, s[10:11], 0x0
	s_waitcnt lgkmcnt(0)
	v_lshl_add_u32 v5, v4, 2, s9
	ds_read_b32 v5, v5
	s_waitcnt lgkmcnt(0)
	v_add_f32_e32 v8, v8, v5
	s_or_b64 exec, exec, s[6:7]
	s_and_saveexec_b64 s[6:7], s[4:5]
	s_cbranch_execz .LBB304_822
.LBB304_838:
	s_load_dword s9, s[10:11], 0x0
	s_waitcnt lgkmcnt(0)
	v_lshl_add_u32 v5, v4, 2, s9
	ds_read_b32 v5, v5 offset:64
	s_waitcnt lgkmcnt(0)
	v_add_f32_e32 v9, v9, v5
	s_or_b64 exec, exec, s[6:7]
	s_and_saveexec_b64 s[6:7], s[4:5]
	s_cbranch_execz .LBB304_823
.LBB304_839:
	s_load_dword s9, s[10:11], 0x0
	s_waitcnt lgkmcnt(0)
	v_lshl_add_u32 v5, v4, 2, s9
	ds_read_b32 v5, v5 offset:128
	s_waitcnt lgkmcnt(0)
	v_add_f32_e32 v6, v6, v5
	s_or_b64 exec, exec, s[6:7]
	s_and_saveexec_b64 s[6:7], s[4:5]
	s_cbranch_execz .LBB304_824
.LBB304_840:
	s_load_dword s9, s[10:11], 0x0
	s_waitcnt lgkmcnt(0)
	v_lshl_add_u32 v5, v4, 2, s9
	ds_read_b32 v5, v5 offset:192
	s_waitcnt lgkmcnt(0)
	v_add_f32_e32 v7, v7, v5
	s_or_b64 exec, exec, s[6:7]
	s_and_saveexec_b64 s[6:7], s[4:5]
	s_cbranch_execz .LBB304_825
.LBB304_841:
	s_load_dword s9, s[10:11], 0x0
	s_waitcnt lgkmcnt(0)
	v_lshl_add_u32 v5, v4, 2, s9
	ds_read_b32 v5, v5 offset:256
	s_waitcnt lgkmcnt(0)
	v_add_f32_e32 v2, v2, v5
	s_or_b64 exec, exec, s[6:7]
	s_and_saveexec_b64 s[6:7], s[4:5]
	s_cbranch_execz .LBB304_826
.LBB304_842:
	s_load_dword s9, s[10:11], 0x0
	s_waitcnt lgkmcnt(0)
	v_lshl_add_u32 v5, v4, 2, s9
	ds_read_b32 v5, v5 offset:320
	s_waitcnt lgkmcnt(0)
	v_add_f32_e32 v3, v3, v5
	s_or_b64 exec, exec, s[6:7]
	s_and_saveexec_b64 s[6:7], s[4:5]
	s_cbranch_execnz .LBB304_827
	s_branch .LBB304_828
.Lfunc_end304:
	.size	_ZN4vllm22paged_attention_kernelIthLi120ELi32ELi128ELNS_18Fp8KVCacheDataTypeE1ELb1ELi512EEEvPfS2_PT_PKS3_PKT0_S9_ifPKiSB_iPKfiiiSD_SD_iiiii, .Lfunc_end304-_ZN4vllm22paged_attention_kernelIthLi120ELi32ELi128ELNS_18Fp8KVCacheDataTypeE1ELb1ELi512EEEvPfS2_PT_PKS3_PKT0_S9_ifPKiSB_iPKfiiiSD_SD_iiiii
                                        ; -- End function
	.section	.AMDGPU.csdata,"",@progbits
; Function info:
; codeLenInByte = 37556
; NumSgprs: 47
; NumVgprs: 64
; NumAgprs: 53
; TotalNumVgprs: 117
; ScratchSize: 200
; MemoryBound: 0
	.section	.text._ZN4vllm25paged_attention_v2_kernelIthLi120ELi32ELi128ELNS_18Fp8KVCacheDataTypeE1ELb1ELi512EEEvPfS2_PT_PKS3_PKT0_S9_ifPKiSB_iPKfiiiSD_SD_iiiii,"axG",@progbits,_ZN4vllm25paged_attention_v2_kernelIthLi120ELi32ELi128ELNS_18Fp8KVCacheDataTypeE1ELb1ELi512EEEvPfS2_PT_PKS3_PKT0_S9_ifPKiSB_iPKfiiiSD_SD_iiiii,comdat
	.protected	_ZN4vllm25paged_attention_v2_kernelIthLi120ELi32ELi128ELNS_18Fp8KVCacheDataTypeE1ELb1ELi512EEEvPfS2_PT_PKS3_PKT0_S9_ifPKiSB_iPKfiiiSD_SD_iiiii ; -- Begin function _ZN4vllm25paged_attention_v2_kernelIthLi120ELi32ELi128ELNS_18Fp8KVCacheDataTypeE1ELb1ELi512EEEvPfS2_PT_PKS3_PKT0_S9_ifPKiSB_iPKfiiiSD_SD_iiiii
	.globl	_ZN4vllm25paged_attention_v2_kernelIthLi120ELi32ELi128ELNS_18Fp8KVCacheDataTypeE1ELb1ELi512EEEvPfS2_PT_PKS3_PKT0_S9_ifPKiSB_iPKfiiiSD_SD_iiiii
	.p2align	8
	.type	_ZN4vllm25paged_attention_v2_kernelIthLi120ELi32ELi128ELNS_18Fp8KVCacheDataTypeE1ELb1ELi512EEEvPfS2_PT_PKS3_PKT0_S9_ifPKiSB_iPKfiiiSD_SD_iiiii,@function
_ZN4vllm25paged_attention_v2_kernelIthLi120ELi32ELi128ELNS_18Fp8KVCacheDataTypeE1ELb1ELi512EEEvPfS2_PT_PKS3_PKT0_S9_ifPKiSB_iPKfiiiSD_SD_iiiii: ; @_ZN4vllm25paged_attention_v2_kernelIthLi120ELi32ELi128ELNS_18Fp8KVCacheDataTypeE1ELb1ELi512EEEvPfS2_PT_PKS3_PKT0_S9_ifPKiSB_iPKfiiiSD_SD_iiiii
; %bb.0:
	s_add_u32 flat_scratch_lo, s6, s11
	s_addc_u32 flat_scratch_hi, s7, 0
	s_add_u32 s0, s0, s11
	s_mov_b32 s12, s8
	s_load_dwordx8 s[24:31], s[4:5], 0x0
	s_load_dwordx8 s[16:23], s[4:5], 0x20
	s_load_dwordx2 s[6:7], s[4:5], 0x40
	s_load_dwordx4 s[44:47], s[4:5], 0x78
	s_load_dwordx2 s[34:35], s[4:5], 0x50
	s_load_dword s11, s[4:5], 0x48
	s_load_dword s8, s[4:5], 0x88
	s_load_dwordx8 s[36:43], s[4:5], 0x58
	s_mov_b32 s32, 0
	s_addc_u32 s1, s1, 0
	s_waitcnt lgkmcnt(0)
	v_mov_b32_e32 v1, s47
	buffer_store_dword v1, off, s[0:3], s32
	v_mov_b32_e32 v1, s8
	s_add_u32 s8, s4, 0x90
	s_mov_b32 s13, s9
	buffer_store_dword v1, off, s[0:3], s32 offset:4
	s_addc_u32 s9, s5, 0
	s_mov_b32 s14, s10
	s_mov_b32 s15, 43
	v_mov_b32_e32 v31, v0
	v_mov_b32_e32 v0, s24
	;; [unrolled: 1-line block ×32, first 2 shown]
	s_getpc_b64 s[4:5]
	s_add_u32 s4, s4, _ZN4vllm22paged_attention_kernelIthLi120ELi32ELi128ELNS_18Fp8KVCacheDataTypeE1ELb1ELi512EEEvPfS2_PT_PKS3_PKT0_S9_ifPKiSB_iPKfiiiSD_SD_iiiii@rel32@lo+4
	s_addc_u32 s5, s5, _ZN4vllm22paged_attention_kernelIthLi120ELi32ELi128ELNS_18Fp8KVCacheDataTypeE1ELb1ELi512EEEvPfS2_PT_PKS3_PKT0_S9_ifPKiSB_iPKfiiiSD_SD_iiiii@rel32@hi+12
	s_swappc_b64 s[30:31], s[4:5]
	s_endpgm
	.section	.rodata,"a",@progbits
	.p2align	6, 0x0
	.amdhsa_kernel _ZN4vllm25paged_attention_v2_kernelIthLi120ELi32ELi128ELNS_18Fp8KVCacheDataTypeE1ELb1ELi512EEEvPfS2_PT_PKS3_PKT0_S9_ifPKiSB_iPKfiiiSD_SD_iiiii
		.amdhsa_group_segment_fixed_size 256
		.amdhsa_private_segment_fixed_size 200
		.amdhsa_kernarg_size 400
		.amdhsa_user_sgpr_count 8
		.amdhsa_user_sgpr_private_segment_buffer 1
		.amdhsa_user_sgpr_dispatch_ptr 0
		.amdhsa_user_sgpr_queue_ptr 0
		.amdhsa_user_sgpr_kernarg_segment_ptr 1
		.amdhsa_user_sgpr_dispatch_id 0
		.amdhsa_user_sgpr_flat_scratch_init 1
		.amdhsa_user_sgpr_kernarg_preload_length 0
		.amdhsa_user_sgpr_kernarg_preload_offset 0
		.amdhsa_user_sgpr_private_segment_size 0
		.amdhsa_uses_dynamic_stack 0
		.amdhsa_system_sgpr_private_segment_wavefront_offset 1
		.amdhsa_system_sgpr_workgroup_id_x 1
		.amdhsa_system_sgpr_workgroup_id_y 1
		.amdhsa_system_sgpr_workgroup_id_z 1
		.amdhsa_system_sgpr_workgroup_info 0
		.amdhsa_system_vgpr_workitem_id 0
		.amdhsa_next_free_vgpr 117
		.amdhsa_next_free_sgpr 48
		.amdhsa_accum_offset 64
		.amdhsa_reserve_vcc 1
		.amdhsa_reserve_flat_scratch 1
		.amdhsa_float_round_mode_32 0
		.amdhsa_float_round_mode_16_64 0
		.amdhsa_float_denorm_mode_32 3
		.amdhsa_float_denorm_mode_16_64 3
		.amdhsa_dx10_clamp 1
		.amdhsa_ieee_mode 1
		.amdhsa_fp16_overflow 0
		.amdhsa_tg_split 0
		.amdhsa_exception_fp_ieee_invalid_op 0
		.amdhsa_exception_fp_denorm_src 0
		.amdhsa_exception_fp_ieee_div_zero 0
		.amdhsa_exception_fp_ieee_overflow 0
		.amdhsa_exception_fp_ieee_underflow 0
		.amdhsa_exception_fp_ieee_inexact 0
		.amdhsa_exception_int_div_zero 0
	.end_amdhsa_kernel
	.section	.text._ZN4vllm25paged_attention_v2_kernelIthLi120ELi32ELi128ELNS_18Fp8KVCacheDataTypeE1ELb1ELi512EEEvPfS2_PT_PKS3_PKT0_S9_ifPKiSB_iPKfiiiSD_SD_iiiii,"axG",@progbits,_ZN4vllm25paged_attention_v2_kernelIthLi120ELi32ELi128ELNS_18Fp8KVCacheDataTypeE1ELb1ELi512EEEvPfS2_PT_PKS3_PKT0_S9_ifPKiSB_iPKfiiiSD_SD_iiiii,comdat
.Lfunc_end305:
	.size	_ZN4vllm25paged_attention_v2_kernelIthLi120ELi32ELi128ELNS_18Fp8KVCacheDataTypeE1ELb1ELi512EEEvPfS2_PT_PKS3_PKT0_S9_ifPKiSB_iPKfiiiSD_SD_iiiii, .Lfunc_end305-_ZN4vllm25paged_attention_v2_kernelIthLi120ELi32ELi128ELNS_18Fp8KVCacheDataTypeE1ELb1ELi512EEEvPfS2_PT_PKS3_PKT0_S9_ifPKiSB_iPKfiiiSD_SD_iiiii
                                        ; -- End function
	.section	.AMDGPU.csdata,"",@progbits
; Kernel info:
; codeLenInByte = 296
; NumSgprs: 54
; NumVgprs: 64
; NumAgprs: 53
; TotalNumVgprs: 117
; ScratchSize: 200
; MemoryBound: 0
; FloatMode: 240
; IeeeMode: 1
; LDSByteSize: 256 bytes/workgroup (compile time only)
; SGPRBlocks: 6
; VGPRBlocks: 14
; NumSGPRsForWavesPerEU: 54
; NumVGPRsForWavesPerEU: 117
; AccumOffset: 64
; Occupancy: 4
; WaveLimiterHint : 1
; COMPUTE_PGM_RSRC2:SCRATCH_EN: 1
; COMPUTE_PGM_RSRC2:USER_SGPR: 8
; COMPUTE_PGM_RSRC2:TRAP_HANDLER: 0
; COMPUTE_PGM_RSRC2:TGID_X_EN: 1
; COMPUTE_PGM_RSRC2:TGID_Y_EN: 1
; COMPUTE_PGM_RSRC2:TGID_Z_EN: 1
; COMPUTE_PGM_RSRC2:TIDIG_COMP_CNT: 0
; COMPUTE_PGM_RSRC3_GFX90A:ACCUM_OFFSET: 15
; COMPUTE_PGM_RSRC3_GFX90A:TG_SPLIT: 0
	.text
	.p2align	2                               ; -- Begin function _ZN4vllm22paged_attention_kernelIthLi128ELi32ELi128ELNS_18Fp8KVCacheDataTypeE1ELb1ELi512EEEvPfS2_PT_PKS3_PKT0_S9_ifPKiSB_iPKfiiiSD_SD_iiiii
	.type	_ZN4vllm22paged_attention_kernelIthLi128ELi32ELi128ELNS_18Fp8KVCacheDataTypeE1ELb1ELi512EEEvPfS2_PT_PKS3_PKT0_S9_ifPKiSB_iPKfiiiSD_SD_iiiii,@function
_ZN4vllm22paged_attention_kernelIthLi128ELi32ELi128ELNS_18Fp8KVCacheDataTypeE1ELb1ELi512EEEvPfS2_PT_PKS3_PKT0_S9_ifPKiSB_iPKfiiiSD_SD_iiiii: ; @_ZN4vllm22paged_attention_kernelIthLi128ELi32ELi128ELNS_18Fp8KVCacheDataTypeE1ELb1ELi512EEEvPfS2_PT_PKS3_PKT0_S9_ifPKiSB_iPKfiiiSD_SD_iiiii
; %bb.0:
	s_waitcnt vmcnt(0) expcnt(0) lgkmcnt(0)
	s_or_saveexec_b64 s[4:5], -1
	buffer_store_dword v63, off, s[0:3], s32 offset:252 ; 4-byte Folded Spill
	s_mov_b64 exec, s[4:5]
	buffer_store_dword v40, off, s[0:3], s32 offset:184 ; 4-byte Folded Spill
	buffer_store_dword v41, off, s[0:3], s32 offset:180 ; 4-byte Folded Spill
	;; [unrolled: 1-line block ×45, first 2 shown]
	v_writelane_b32 v63, s34, 0
	v_writelane_b32 v63, s35, 1
	;; [unrolled: 1-line block ×11, first 2 shown]
	s_mov_b32 s18, s13
	s_ashr_i32 s19, s13, 31
	v_accvgpr_write_b32 a4, v26
	v_accvgpr_write_b32 a35, v25
	s_lshl_b64 s[4:5], s[18:19], 2
	v_accvgpr_write_b32 a5, v27
	v_accvgpr_write_b32 a34, v24
	v_mov_b32_e32 v25, v1
	v_mov_b32_e32 v26, v0
	v_mov_b32_e32 v1, s5
	v_add_co_u32_e32 v0, vcc, s4, v16
	v_addc_co_u32_e32 v1, vcc, v17, v1, vcc
	v_mov_b32_e32 v36, v2
	flat_load_dword v2, v[0:1]
	s_nop 0
	buffer_load_dword v0, off, s[0:3], s32 offset:4
	buffer_load_dword v1, off, s[0:3], s32
	s_lshl_b32 s19, s14, 9
	v_accvgpr_write_b32 a6, v22
	v_mov_b32_e32 v33, v20
	v_mov_b32_e32 v32, v19
	v_accvgpr_write_b32 a33, v13
	v_mov_b32_e32 v22, v11
	v_mov_b32_e32 v24, v10
	;; [unrolled: 1-line block ×3, first 2 shown]
	s_waitcnt vmcnt(0) lgkmcnt(0)
	v_accvgpr_write_b32 a8, v2
	v_cmp_lt_i32_e32 vcc, s19, v2
	s_and_saveexec_b64 s[24:25], vcc
	s_cbranch_execz .LBB306_851
; %bb.1:
	v_sub_u32_e32 v2, 0, v12
	v_max_i32_e32 v2, v12, v2
	v_cvt_f32_u32_e32 v3, v2
	s_load_dword s4, s[8:9], 0x10
	s_load_dword s6, s[8:9], 0x0
	v_accvgpr_write_b32 a0, v5
	v_sub_u32_e32 v5, 0, v2
	v_rcp_iflag_f32_e32 v3, v3
	s_waitcnt lgkmcnt(0)
	s_lshr_b32 s4, s4, 16
	s_cmp_lg_u32 s4, 0
	s_cselect_b64 s[4:5], -1, 0
	v_mul_f32_e32 v3, 0x4f7ffffe, v3
	v_cvt_u32_f32_e32 v3, v3
	s_cmp_lg_u64 s[4:5], 0
	s_mov_b32 s16, s15
	s_addc_u32 s15, s6, 0
	v_mul_lo_u32 v5, v5, v3
	v_mul_hi_u32 v5, v3, v5
	s_abs_i32 s4, s15
	v_add_u32_e32 v3, v3, v5
	v_mul_hi_u32 v3, s4, v3
	v_mul_lo_u32 v5, v3, v2
	v_sub_u32_e32 v5, s4, v5
	v_add_u32_e32 v10, 1, v3
	v_cmp_ge_u32_e32 vcc, v5, v2
	v_cndmask_b32_e32 v3, v3, v10, vcc
	v_sub_u32_e32 v10, v5, v2
	v_cndmask_b32_e32 v5, v5, v10, vcc
	v_accvgpr_write_b32 a1, v4
	v_xor_b32_e32 v4, s15, v12
	v_add_u32_e32 v10, 1, v3
	v_cmp_ge_u32_e32 vcc, v5, v2
	v_ashrrev_i32_e32 v4, 31, v4
	v_cndmask_b32_e32 v2, v3, v10, vcc
	v_xor_b32_e32 v2, v2, v4
	v_sub_u32_e32 v2, v2, v4
	v_sub_u32_e32 v3, 0, v2
	v_max_i32_e32 v3, v2, v3
	v_cvt_f32_u32_e32 v4, v3
	v_sub_u32_e32 v5, 0, v3
	s_abs_i32 s6, s12
	v_cmp_ne_u64_e32 vcc, 0, v[32:33]
	v_rcp_iflag_f32_e32 v4, v4
	v_mul_f32_e32 v4, 0x4f7ffffe, v4
	v_cvt_u32_f32_e32 v4, v4
	v_mul_lo_u32 v5, v5, v4
	v_mul_hi_u32 v5, v4, v5
	v_add_u32_e32 v4, v4, v5
	v_mad_u64_u32 v[34:35], s[4:5], s6, v4, 0
	v_mov_b32_e32 v4, 0
	buffer_store_dword v4, off, s[0:3], s32 offset:248 ; 4-byte Folded Spill
	s_and_saveexec_b64 s[4:5], vcc
	s_cbranch_execz .LBB306_3
; %bb.2:
	s_ashr_i32 s13, s12, 31
	s_lshl_b64 s[10:11], s[12:13], 2
	v_mov_b32_e32 v5, s11
	v_add_co_u32_e32 v4, vcc, s10, v32
	v_addc_co_u32_e32 v5, vcc, v33, v5, vcc
	flat_load_dword v4, v[4:5]
	s_waitcnt vmcnt(0) lgkmcnt(0)
	buffer_store_dword v4, off, s[0:3], s32 offset:248 ; 4-byte Folded Spill
.LBB306_3:
	s_or_b64 exec, exec, s[4:5]
	v_and_b32_e32 v5, 0x3ff, v31
	s_ashr_i32 s7, s12, 31
	v_ashrrev_i32_e32 v4, 31, v2
	v_and_b32_e32 v2, 1, v5
	s_lshl_b32 s26, s12, 7
	v_cmp_gt_u32_e32 vcc, 32, v5
	v_accvgpr_write_b32 a2, v5
	v_lshlrev_b32_e32 v31, 3, v5
	s_and_saveexec_b64 s[4:5], vcc
	s_cbranch_execz .LBB306_5
; %bb.4:
	v_mul_lo_u32 v10, s18, v21
	v_ashrrev_i32_e32 v11, 31, v10
	v_lshlrev_b64 v[10:11], 1, v[10:11]
	v_add_co_u32_e32 v5, vcc, v6, v10
	s_ashr_i32 s27, s26, 31
	v_addc_co_u32_e32 v6, vcc, v7, v11, vcc
	s_lshl_b64 s[10:11], s[26:27], 1
	v_mov_b32_e32 v7, s11
	v_add_co_u32_e32 v5, vcc, s10, v5
	v_addc_co_u32_e32 v7, vcc, v6, v7, vcc
	v_add_co_u32_e32 v6, vcc, v5, v31
	v_addc_co_u32_e32 v7, vcc, 0, v7, vcc
	flat_load_dwordx2 v[6:7], v[6:7]
	v_accvgpr_read_b32 v5, a2
	v_lshlrev_b32_e32 v5, 2, v5
	v_and_b32_e32 v5, 0xff8, v5
	v_lshl_add_u32 v5, v2, 7, v5
	s_waitcnt vmcnt(0) lgkmcnt(0)
	ds_write_b64 v5, v[6:7]
.LBB306_5:
	s_or_b64 exec, exec, s[4:5]
	v_mul_lo_u32 v5, v35, v3
	v_sub_u32_e32 v5, s6, v5
	v_add_u32_e32 v6, 1, v35
	v_cmp_ge_u32_e32 vcc, v5, v3
	v_sub_u32_e32 v7, v5, v3
	v_cndmask_b32_e32 v6, v35, v6, vcc
	v_cndmask_b32_e32 v5, v5, v7, vcc
	v_add_u32_e32 v7, 1, v6
	v_cmp_ge_u32_e32 vcc, v5, v3
	v_sub_u32_e32 v5, 0, v1
	v_cndmask_b32_e32 v3, v6, v7, vcc
	v_max_i32_e32 v6, v1, v5
	v_cvt_f32_u32_e32 v5, v6
	v_xor_b32_e32 v4, s7, v4
	v_xor_b32_e32 v3, v3, v4
	v_sub_u32_e32 v20, v3, v4
	v_rcp_iflag_f32_e32 v3, v5
	v_accvgpr_read_b32 v4, a8
	v_accvgpr_write_b32 a3, v6
	v_sub_u32_e32 v6, 0, v6
	v_mul_f32_e32 v3, 0x4f7ffffe, v3
	v_cvt_u32_f32_e32 v5, v3
	v_add_u32_e32 v4, -1, v4
	v_sub_u32_e32 v3, 0, v4
	v_max_i32_e32 v3, v4, v3
	v_mul_lo_u32 v6, v6, v5
	v_mul_hi_u32 v6, v5, v6
	v_add_u32_e32 v5, v5, v6
	v_accvgpr_write_b32 a7, v5
	v_mad_u64_u32 v[32:33], s[4:5], v3, v5, 0
	v_cmp_gt_i32_e32 vcc, 0, v0
	s_waitcnt lgkmcnt(0)
	s_barrier
	s_waitcnt lgkmcnt(0)
                                        ; implicit-def: $agpr10
	s_and_saveexec_b64 s[4:5], vcc
	s_xor_b64 s[4:5], exec, s[4:5]
; %bb.6:
	v_mad_u64_u32 v[6:7], s[6:7], v28, v12, v[20:21]
	v_mul_lo_u32 v0, v6, v0
	v_sub_u32_e32 v0, 1, v0
	v_accvgpr_write_b32 a10, v0
                                        ; implicit-def: $vgpr28
                                        ; implicit-def: $vgpr0
; %bb.7:
	s_or_saveexec_b64 s[4:5], s[4:5]
	v_ashrrev_i32_e32 v1, 31, v1
	v_ashrrev_i32_e32 v4, 31, v4
	v_accvgpr_write_b32 a9, v1
	s_xor_b64 exec, exec, s[4:5]
; %bb.8:
	v_mul_lo_u32 v1, s15, v28
	v_add_u32_e32 v1, s12, v1
	v_mad_u64_u32 v[0:1], s[6:7], v1, v0, 1
	v_accvgpr_write_b32 a10, v0
; %bb.9:
	s_or_b64 exec, exec, s[4:5]
	v_accvgpr_read_b32 v5, a9
	v_accvgpr_read_b32 v7, a3
	v_xor_b32_e32 v4, v4, v5
	v_mul_lo_u32 v5, v33, v7
	v_sub_u32_e32 v3, v3, v5
	v_add_u32_e32 v5, 1, v33
	v_cmp_ge_u32_e32 vcc, v3, v7
	v_sub_u32_e32 v6, v3, v7
	v_cndmask_b32_e32 v5, v33, v5, vcc
	v_cndmask_b32_e32 v3, v3, v6, vcc
	v_add_u32_e32 v6, 1, v5
	v_cmp_ge_u32_e32 vcc, v3, v7
	v_cndmask_b32_e32 v3, v5, v6, vcc
	v_xor_b32_e32 v3, v3, v4
	v_sub_u32_e32 v3, v3, v4
	v_accvgpr_read_b32 v4, a8
	v_add_u32_e32 v4, 31, v4
	v_ashrrev_i32_e32 v5, 31, v4
	v_lshrrev_b32_e32 v5, 27, v5
	v_add_u32_e32 v4, v4, v5
	v_ashrrev_i32_e32 v48, 5, v4
	s_lshl_b32 s27, s14, 4
	v_accvgpr_read_b32 v4, a2
	s_load_dword s38, s[8:9], 0x14
	s_load_dword s13, s[8:9], 0x8
	s_add_i32 s4, s27, 16
	v_lshrrev_b32_e32 v21, 6, v4
	v_min_i32_e32 v5, s4, v48
	v_or_b32_e32 v4, s27, v21
	v_mul_lo_u32 v0, s18, v18
	v_accvgpr_write_b32 a11, v5
	v_cmp_lt_i32_e64 s[4:5], v4, v5
	v_ashrrev_i32_e32 v5, 31, v4
	v_ashrrev_i32_e32 v1, 31, v0
	v_sub_u32_e32 v3, v3, v29
	v_mul_lo_u32 v20, v20, v23
	v_accvgpr_write_b32 a13, v5
	v_mov_b32_e32 v6, 0xff7fffff
	v_accvgpr_write_b32 a14, v3
	v_accvgpr_write_b32 a12, v4
	v_ashrrev_i32_e32 v23, 31, v20
	v_sub_u32_e32 v49, 0, v30
	v_lshlrev_b64 v[28:29], 2, v[0:1]
	v_mbcnt_lo_u32_b32 v4, -1, 0
	v_lshl_add_u32 v0, v21, 5, s19
	s_mov_b64 s[20:21], exec
	s_and_b64 s[6:7], s[20:21], s[4:5]
	v_accvgpr_write_b32 a15, v0
	s_mov_b64 exec, s[6:7]
	s_cbranch_execz .LBB306_403
; %bb.10:
	v_accvgpr_read_b32 v0, a2
	v_bfe_u32 v5, v0, 1, 5
	v_add_co_u32_e64 v0, s[6:7], v8, v20
	v_addc_co_u32_e64 v1, s[6:7], v9, v23, s[6:7]
	v_lshlrev_b32_e32 v3, 4, v5
	v_add_co_u32_e64 v0, s[6:7], v0, v3
	v_addc_co_u32_e64 v1, s[6:7], 0, v1, s[6:7]
	v_accvgpr_write_b32 a39, v1
	v_accvgpr_write_b32 a38, v0
	v_lshlrev_b32_e32 v1, 7, v2
	v_accvgpr_write_b32 a42, v1
	buffer_load_dword v1, off, s[0:3], s32 offset:248 ; 4-byte Folded Reload
	v_lshlrev_b32_e32 v0, 2, v2
	v_max_i32_e32 v3, v30, v49
	v_accvgpr_write_b32 a40, v0
	v_cvt_f32_u32_e32 v0, v3
	s_ashr_i32 s17, s16, 31
	v_cmp_eq_u32_e32 vcc, 0, v2
	s_lshl_b64 s[8:9], s[16:17], 2
	v_rcp_iflag_f32_e32 v0, v0
	v_accvgpr_write_b32 a41, v3
	s_getpc_b64 s[10:11]
	s_add_u32 s10, s10, llvm.amdgcn.dynlds.offset.table@rel32@lo+4
	s_addc_u32 s11, s11, llvm.amdgcn.dynlds.offset.table@rel32@hi+12
	s_add_u32 s22, s8, s10
	v_mul_f32_e32 v0, 0x4f7ffffe, v0
	v_cvt_u32_f32_e32 v0, v0
	s_addc_u32 s23, s9, s11
	s_load_dword s17, s[22:23], 0x0
	v_accvgpr_write_b32 a28, v28
	v_accvgpr_write_b32 a27, v48
	v_accvgpr_write_b32 a25, v31
	v_accvgpr_write_b32 a24, v36
	v_accvgpr_write_b32 a23, v27
	v_accvgpr_write_b32 a22, v26
	v_accvgpr_write_b32 a21, v25
	v_accvgpr_write_b32 a20, v24
	v_accvgpr_write_b32 a19, v22
	v_accvgpr_write_b32 a30, v20
	v_accvgpr_write_b32 a31, v23
	v_mov_b32_e32 v41, 0
	v_accvgpr_write_b32 a18, v30
	v_accvgpr_write_b32 a32, v49
	;; [unrolled: 1-line block ×5, first 2 shown]
	v_lshl_add_u32 v45, v21, 5, s19
	v_accvgpr_write_b32 a26, v21
	v_accvgpr_write_b32 a37, v5
	s_mov_b64 s[28:29], 0
	s_movk_i32 s39, 0x80
	s_movk_i32 s40, 0x7f
	s_mov_b32 s41, 0x8000
	s_mov_b32 s42, 0xffffff
	v_accvgpr_write_b32 a36, v4
	s_waitcnt vmcnt(0)
	v_cmp_neq_f32_e64 s[6:7], 0, v1
	v_sub_u32_e32 v1, 0, v3
	v_mul_lo_u32 v1, v1, v0
	v_mul_hi_u32 v1, v0, v1
	v_accvgpr_read_b32 v2, a12
	v_add_u32_e32 v0, v0, v1
	v_accvgpr_read_b32 v3, a13
	v_accvgpr_write_b32 a44, v0
	v_lshlrev_b64 v[0:1], 2, v[2:3]
	v_add_co_u32_e64 v0, s[8:9], v28, v0
	v_addc_co_u32_e64 v1, s[8:9], v29, v1, s[8:9]
	v_add_co_u32_e64 v32, s[8:9], v14, v0
	v_lshlrev_b32_e32 v0, 2, v5
	v_lshl_or_b32 v44, v21, 7, v0
	v_accvgpr_read_b32 v0, a8
	v_sub_u32_e32 v0, v5, v0
	v_add_u32_e32 v0, 1, v0
	v_accvgpr_write_b32 a43, v0
	v_mbcnt_hi_u32_b32 v0, -1, v4
	v_addc_co_u32_e64 v33, s[8:9], v15, v1, s[8:9]
	v_accvgpr_write_b32 a45, v0
	v_mov_b32_e32 v0, 0xff7fffff
	v_mov_b32_e32 v59, v2
	buffer_store_dword v0, off, s[0:3], s32 offset:244 ; 4-byte Folded Spill
	s_branch .LBB306_13
.LBB306_11:                             ;   in Loop: Header=BB306_13 Depth=1
	s_or_b64 exec, exec, s[30:31]
.LBB306_12:                             ;   in Loop: Header=BB306_13 Depth=1
	s_or_b64 exec, exec, s[10:11]
	v_add_co_u32_e64 v32, s[8:9], 8, v32
	v_add_u32_e32 v59, 2, v59
	v_addc_co_u32_e64 v33, s[8:9], 0, v33, s[8:9]
	v_accvgpr_read_b32 v0, a11
	v_cmp_ge_i32_e64 s[8:9], v59, v0
	v_add_u32_e32 v45, 64, v45
	s_or_b64 s[28:29], s[8:9], s[28:29]
	v_add_u32_e32 v44, 0x100, v44
	s_andn2_b64 exec, exec, s[28:29]
	s_cbranch_execz .LBB306_402
.LBB306_13:                             ; =>This Inner Loop Header: Depth=1
	v_ashrrev_i32_e32 v0, 31, v45
	s_waitcnt lgkmcnt(0)
	v_accvgpr_read_b32 v1, a9
	v_xor_b32_e32 v0, v0, v1
	v_sub_u32_e32 v1, 0, v45
	v_max_i32_e32 v1, v45, v1
	v_accvgpr_read_b32 v2, a7
	v_mul_hi_u32 v2, v1, v2
	v_accvgpr_read_b32 v4, a3
	v_mul_lo_u32 v3, v2, v4
	v_sub_u32_e32 v1, v1, v3
	v_add_u32_e32 v3, 1, v2
	v_cmp_ge_u32_e64 s[8:9], v1, v4
	v_cndmask_b32_e64 v2, v2, v3, s[8:9]
	v_sub_u32_e32 v3, v1, v4
	v_cndmask_b32_e64 v1, v1, v3, s[8:9]
	v_add_u32_e32 v3, 1, v2
	v_cmp_ge_u32_e64 s[8:9], v1, v4
	v_cndmask_b32_e64 v1, v2, v3, s[8:9]
	v_xor_b32_e32 v1, v1, v0
	v_sub_u32_e32 v0, v1, v0
	v_accvgpr_read_b32 v2, a10
	v_add_u32_e32 v1, v0, v2
	v_sub_u32_e32 v3, 0, v1
	v_ashrrev_i32_e32 v2, 31, v1
	v_max_i32_e32 v1, v1, v3
	v_accvgpr_read_b32 v4, a44
	v_mul_hi_u32 v3, v1, v4
	v_accvgpr_read_b32 v4, a41
	v_mul_lo_u32 v3, v3, v4
	v_sub_u32_e32 v1, v1, v3
	v_sub_u32_e32 v3, v1, v4
	v_cmp_ge_u32_e64 s[8:9], v1, v4
	v_cndmask_b32_e64 v1, v1, v3, s[8:9]
	v_sub_u32_e32 v3, v1, v4
	v_cmp_ge_u32_e64 s[8:9], v1, v4
	v_cndmask_b32_e64 v1, v1, v3, s[8:9]
	v_xor_b32_e32 v1, v1, v2
	v_sub_u32_e32 v1, v1, v2
	v_cmp_ne_u32_e64 s[8:9], 0, v1
	v_accvgpr_read_b32 v1, a14
	v_cmp_le_i32_e64 s[10:11], v0, v1
	s_and_b64 s[8:9], s[8:9], s[10:11]
	s_and_b64 s[30:31], vcc, s[8:9]
	s_and_saveexec_b64 s[10:11], s[30:31]
	s_cbranch_execz .LBB306_15
; %bb.14:                               ;   in Loop: Header=BB306_13 Depth=1
	s_waitcnt lgkmcnt(0)
	v_add_u32_e32 v0, s17, v44
	v_mov_b32_e32 v1, 0xff7fffff
	ds_write_b32 v0, v1
.LBB306_15:                             ;   in Loop: Header=BB306_13 Depth=1
	s_or_b64 exec, exec, s[10:11]
	s_xor_b64 s[8:9], s[8:9], -1
	s_and_saveexec_b64 s[10:11], s[8:9]
	s_cbranch_execz .LBB306_12
; %bb.16:                               ;   in Loop: Header=BB306_13 Depth=1
	flat_load_dword v0, v[32:33]
	v_accvgpr_read_b32 v4, a38
	v_accvgpr_read_b32 v2, a6
	;; [unrolled: 1-line block ×3, first 2 shown]
	v_mov_b32_e32 v46, 0
	s_waitcnt vmcnt(0) lgkmcnt(0)
	v_mad_i64_i32 v[0:1], s[8:9], v0, v2, v[4:5]
	v_accvgpr_read_b32 v2, a40
	v_add_co_u32_e64 v34, s[8:9], v0, v2
	v_addc_co_u32_e64 v35, s[8:9], 0, v1, s[8:9]
	v_accvgpr_read_b32 v0, a34
	flat_load_dword v36, v[34:35]
	v_accvgpr_read_b32 v1, a35
	flat_load_dword v60, v[0:1]
	v_mov_b32_e32 v0, 0
	buffer_store_dword v0, off, s[0:3], s32 offset:188 ; 4-byte Folded Spill
	s_waitcnt vmcnt(0) lgkmcnt(0)
	v_cmp_ne_u16_sdwa s[8:9], v36, v41 src0_sel:BYTE_0 src1_sel:DWORD
	s_and_saveexec_b64 s[30:31], s[8:9]
	s_cbranch_execz .LBB306_22
; %bb.17:                               ;   in Loop: Header=BB306_13 Depth=1
	v_cmp_ne_u16_sdwa s[8:9], v36, s39 src0_sel:BYTE_0 src1_sel:DWORD
	v_bfrev_b32_e32 v0, 1
	buffer_store_dword v0, off, s[0:3], s32 offset:188 ; 4-byte Folded Spill
	s_and_saveexec_b64 s[34:35], s[8:9]
	s_cbranch_execz .LBB306_21
; %bb.18:                               ;   in Loop: Header=BB306_13 Depth=1
	v_and_b32_e32 v0, 0x7f, v36
	v_cmp_ne_u32_e64 s[8:9], s40, v0
	v_mov_b32_e32 v1, 0x7fc02000
	buffer_store_dword v1, off, s[0:3], s32 offset:188 ; 4-byte Folded Spill
	s_and_saveexec_b64 s[36:37], s[8:9]
	s_cbranch_execz .LBB306_20
; %bb.19:                               ;   in Loop: Header=BB306_13 Depth=1
	v_and_b32_e32 v1, 7, v36
	v_ffbh_u32_e32 v2, v1
	v_min_u32_e32 v5, 32, v2
	v_subrev_u32_e32 v2, 28, v5
	v_lshlrev_b64 v[2:3], v2, v[36:37]
	v_lshrrev_b32_e32 v4, 3, v0
	v_sub_u32_e32 v3, 29, v5
	v_cmp_gt_u32_e64 s[8:9], 8, v0
	v_and_b32_e32 v2, 7, v2
	v_cndmask_b32_e64 v0, v4, v3, s[8:9]
	v_mov_b32_e32 v3, 0x2000
	v_cndmask_b32_e64 v1, v1, v2, s[8:9]
	v_lshlrev_b32_e32 v2, 8, v36
	v_lshl_add_u32 v0, v0, 10, v3
	v_and_or_b32 v0, v2, s41, v0
	v_lshl_or_b32 v0, v1, 7, v0
	v_cvt_f32_f16_e32 v0, v0
	buffer_store_dword v0, off, s[0:3], s32 offset:188 ; 4-byte Folded Spill
.LBB306_20:                             ;   in Loop: Header=BB306_13 Depth=1
	s_or_b64 exec, exec, s[36:37]
.LBB306_21:                             ;   in Loop: Header=BB306_13 Depth=1
	s_or_b64 exec, exec, s[34:35]
.LBB306_22:                             ;   in Loop: Header=BB306_13 Depth=1
	s_or_b64 exec, exec, s[30:31]
	v_lshrrev_b16_e32 v38, 8, v36
	v_cmp_ne_u16_e64 s[8:9], 0, v38
	s_and_saveexec_b64 s[30:31], s[8:9]
	s_cbranch_execz .LBB306_28
; %bb.23:                               ;   in Loop: Header=BB306_13 Depth=1
	v_cmp_ne_u16_e64 s[8:9], s39, v38
	v_bfrev_b32_e32 v46, 1
	s_and_saveexec_b64 s[34:35], s[8:9]
	s_cbranch_execz .LBB306_27
; %bb.24:                               ;   in Loop: Header=BB306_13 Depth=1
	v_and_b32_e32 v0, 0x7f, v38
	v_cmp_ne_u32_e64 s[8:9], s40, v0
	v_mov_b32_e32 v46, 0x7fc02000
	s_and_saveexec_b64 s[36:37], s[8:9]
	s_cbranch_execz .LBB306_26
; %bb.25:                               ;   in Loop: Header=BB306_13 Depth=1
	v_and_b32_e32 v1, 7, v38
	v_ffbh_u32_e32 v2, v1
	v_min_u32_e32 v5, 32, v2
	v_subrev_u32_e32 v2, 28, v5
	v_lshlrev_b64 v[2:3], v2, v[38:39]
	v_lshrrev_b32_e32 v4, 3, v0
	v_sub_u32_e32 v3, 29, v5
	v_cmp_gt_u32_e64 s[8:9], 8, v0
	v_and_b32_e32 v2, 7, v2
	v_cndmask_b32_e64 v0, v4, v3, s[8:9]
	v_mov_b32_e32 v3, 0x2000
	v_cndmask_b32_e64 v1, v1, v2, s[8:9]
	v_lshlrev_b32_e32 v2, 8, v38
	v_lshl_add_u32 v0, v0, 10, v3
	v_and_or_b32 v0, v2, s41, v0
	v_lshl_or_b32 v0, v1, 7, v0
	v_cvt_f32_f16_e32 v46, v0
.LBB306_26:                             ;   in Loop: Header=BB306_13 Depth=1
	s_or_b64 exec, exec, s[36:37]
.LBB306_27:                             ;   in Loop: Header=BB306_13 Depth=1
	s_or_b64 exec, exec, s[34:35]
.LBB306_28:                             ;   in Loop: Header=BB306_13 Depth=1
	s_or_b64 exec, exec, s[30:31]
	v_lshrrev_b32_e32 v38, 16, v36
	v_mov_b32_e32 v0, 0
	v_cmp_ne_u16_sdwa s[8:9], v38, v41 src0_sel:BYTE_0 src1_sel:DWORD
	buffer_store_dword v0, off, s[0:3], s32 offset:192 ; 4-byte Folded Spill
	v_mov_b32_e32 v0, 0
	buffer_store_dword v0, off, s[0:3], s32 offset:196 ; 4-byte Folded Spill
	s_and_saveexec_b64 s[30:31], s[8:9]
	s_cbranch_execz .LBB306_34
; %bb.29:                               ;   in Loop: Header=BB306_13 Depth=1
	v_cmp_ne_u16_sdwa s[8:9], v38, s39 src0_sel:BYTE_0 src1_sel:DWORD
	v_bfrev_b32_e32 v0, 1
	buffer_store_dword v0, off, s[0:3], s32 offset:196 ; 4-byte Folded Spill
	s_and_saveexec_b64 s[34:35], s[8:9]
	s_cbranch_execz .LBB306_33
; %bb.30:                               ;   in Loop: Header=BB306_13 Depth=1
	v_bfe_u32 v0, v36, 16, 7
	v_cmp_ne_u32_e64 s[8:9], s40, v0
	v_mov_b32_e32 v1, 0x7fc02000
	buffer_store_dword v1, off, s[0:3], s32 offset:196 ; 4-byte Folded Spill
	s_and_saveexec_b64 s[36:37], s[8:9]
	s_cbranch_execz .LBB306_32
; %bb.31:                               ;   in Loop: Header=BB306_13 Depth=1
	v_and_b32_e32 v1, 7, v38
	v_ffbh_u32_e32 v2, v1
	v_min_u32_e32 v5, 32, v2
	v_subrev_u32_e32 v2, 28, v5
	v_lshlrev_b64 v[2:3], v2, v[38:39]
	v_lshrrev_b32_e32 v4, 3, v0
	v_sub_u32_e32 v3, 29, v5
	v_cmp_gt_u32_e64 s[8:9], 8, v0
	v_and_b32_e32 v2, 7, v2
	v_cndmask_b32_e64 v0, v4, v3, s[8:9]
	v_mov_b32_e32 v3, 0x2000
	v_cndmask_b32_e64 v1, v1, v2, s[8:9]
	v_lshlrev_b32_e32 v2, 8, v38
	v_lshl_add_u32 v0, v0, 10, v3
	v_and_or_b32 v0, v2, s41, v0
	v_lshl_or_b32 v0, v1, 7, v0
	v_cvt_f32_f16_e32 v0, v0
	buffer_store_dword v0, off, s[0:3], s32 offset:196 ; 4-byte Folded Spill
.LBB306_32:                             ;   in Loop: Header=BB306_13 Depth=1
	s_or_b64 exec, exec, s[36:37]
.LBB306_33:                             ;   in Loop: Header=BB306_13 Depth=1
	s_or_b64 exec, exec, s[34:35]
.LBB306_34:                             ;   in Loop: Header=BB306_13 Depth=1
	s_or_b64 exec, exec, s[30:31]
	v_cmp_lt_u32_e64 s[8:9], s42, v36
	s_and_saveexec_b64 s[30:31], s[8:9]
	s_cbranch_execz .LBB306_40
; %bb.35:                               ;   in Loop: Header=BB306_13 Depth=1
	v_lshrrev_b32_e32 v36, 24, v36
	v_cmp_ne_u32_e64 s[8:9], s39, v36
	v_bfrev_b32_e32 v0, 1
	buffer_store_dword v0, off, s[0:3], s32 offset:192 ; 4-byte Folded Spill
	s_and_saveexec_b64 s[34:35], s[8:9]
	s_cbranch_execz .LBB306_39
; %bb.36:                               ;   in Loop: Header=BB306_13 Depth=1
	v_and_b32_e32 v0, 0x7f, v36
	v_cmp_ne_u32_e64 s[8:9], s40, v0
	v_mov_b32_e32 v1, 0x7fc02000
	buffer_store_dword v1, off, s[0:3], s32 offset:192 ; 4-byte Folded Spill
	s_and_saveexec_b64 s[36:37], s[8:9]
	s_cbranch_execz .LBB306_38
; %bb.37:                               ;   in Loop: Header=BB306_13 Depth=1
	v_and_b32_e32 v1, 7, v36
	v_ffbh_u32_e32 v2, v1
	v_min_u32_e32 v5, 32, v2
	v_subrev_u32_e32 v2, 28, v5
	v_lshlrev_b64 v[2:3], v2, v[36:37]
	v_lshrrev_b32_e32 v4, 3, v0
	v_sub_u32_e32 v3, 29, v5
	v_cmp_gt_u32_e64 s[8:9], 8, v0
	v_and_b32_e32 v2, 7, v2
	v_cndmask_b32_e64 v0, v4, v3, s[8:9]
	v_mov_b32_e32 v3, 0x2000
	v_cndmask_b32_e64 v1, v1, v2, s[8:9]
	v_lshlrev_b32_e32 v2, 8, v36
	v_lshl_add_u32 v0, v0, 10, v3
	v_and_or_b32 v0, v2, s41, v0
	v_lshl_or_b32 v0, v1, 7, v0
	v_cvt_f32_f16_e32 v0, v0
	buffer_store_dword v0, off, s[0:3], s32 offset:192 ; 4-byte Folded Spill
.LBB306_38:                             ;   in Loop: Header=BB306_13 Depth=1
	s_or_b64 exec, exec, s[36:37]
.LBB306_39:                             ;   in Loop: Header=BB306_13 Depth=1
	s_or_b64 exec, exec, s[34:35]
.LBB306_40:                             ;   in Loop: Header=BB306_13 Depth=1
	s_or_b64 exec, exec, s[30:31]
	flat_load_dword v36, v[34:35] offset:8
	v_mov_b32_e32 v0, 0
	buffer_store_dword v0, off, s[0:3], s32 offset:204 ; 4-byte Folded Spill
	v_mov_b32_e32 v0, 0
	buffer_store_dword v0, off, s[0:3], s32 offset:200 ; 4-byte Folded Spill
	s_waitcnt vmcnt(0) lgkmcnt(0)
	v_cmp_ne_u16_sdwa s[8:9], v36, v41 src0_sel:BYTE_0 src1_sel:DWORD
	s_and_saveexec_b64 s[30:31], s[8:9]
	s_cbranch_execz .LBB306_46
; %bb.41:                               ;   in Loop: Header=BB306_13 Depth=1
	v_cmp_ne_u16_sdwa s[8:9], v36, s39 src0_sel:BYTE_0 src1_sel:DWORD
	v_bfrev_b32_e32 v0, 1
	buffer_store_dword v0, off, s[0:3], s32 offset:200 ; 4-byte Folded Spill
	s_and_saveexec_b64 s[34:35], s[8:9]
	s_cbranch_execz .LBB306_45
; %bb.42:                               ;   in Loop: Header=BB306_13 Depth=1
	v_and_b32_e32 v0, 0x7f, v36
	v_cmp_ne_u32_e64 s[8:9], s40, v0
	v_mov_b32_e32 v1, 0x7fc02000
	buffer_store_dword v1, off, s[0:3], s32 offset:200 ; 4-byte Folded Spill
	s_and_saveexec_b64 s[36:37], s[8:9]
	s_cbranch_execz .LBB306_44
; %bb.43:                               ;   in Loop: Header=BB306_13 Depth=1
	v_and_b32_e32 v1, 7, v36
	v_ffbh_u32_e32 v2, v1
	v_min_u32_e32 v5, 32, v2
	v_subrev_u32_e32 v2, 28, v5
	v_lshlrev_b64 v[2:3], v2, v[36:37]
	v_lshrrev_b32_e32 v4, 3, v0
	v_sub_u32_e32 v3, 29, v5
	v_cmp_gt_u32_e64 s[8:9], 8, v0
	v_and_b32_e32 v2, 7, v2
	v_cndmask_b32_e64 v0, v4, v3, s[8:9]
	v_mov_b32_e32 v3, 0x2000
	v_cndmask_b32_e64 v1, v1, v2, s[8:9]
	v_lshlrev_b32_e32 v2, 8, v36
	v_lshl_add_u32 v0, v0, 10, v3
	v_and_or_b32 v0, v2, s41, v0
	v_lshl_or_b32 v0, v1, 7, v0
	v_cvt_f32_f16_e32 v0, v0
	buffer_store_dword v0, off, s[0:3], s32 offset:200 ; 4-byte Folded Spill
.LBB306_44:                             ;   in Loop: Header=BB306_13 Depth=1
	s_or_b64 exec, exec, s[36:37]
.LBB306_45:                             ;   in Loop: Header=BB306_13 Depth=1
	s_or_b64 exec, exec, s[34:35]
.LBB306_46:                             ;   in Loop: Header=BB306_13 Depth=1
	s_or_b64 exec, exec, s[30:31]
	v_lshrrev_b16_e32 v38, 8, v36
	v_cmp_ne_u16_e64 s[8:9], 0, v38
	s_and_saveexec_b64 s[30:31], s[8:9]
	s_cbranch_execz .LBB306_52
; %bb.47:                               ;   in Loop: Header=BB306_13 Depth=1
	v_cmp_ne_u16_e64 s[8:9], s39, v38
	v_bfrev_b32_e32 v0, 1
	buffer_store_dword v0, off, s[0:3], s32 offset:204 ; 4-byte Folded Spill
	s_and_saveexec_b64 s[34:35], s[8:9]
	s_cbranch_execz .LBB306_51
; %bb.48:                               ;   in Loop: Header=BB306_13 Depth=1
	v_and_b32_e32 v0, 0x7f, v38
	v_cmp_ne_u32_e64 s[8:9], s40, v0
	v_mov_b32_e32 v1, 0x7fc02000
	buffer_store_dword v1, off, s[0:3], s32 offset:204 ; 4-byte Folded Spill
	s_and_saveexec_b64 s[36:37], s[8:9]
	s_cbranch_execz .LBB306_50
; %bb.49:                               ;   in Loop: Header=BB306_13 Depth=1
	v_and_b32_e32 v2, 7, v38
	v_lshrrev_b32_e32 v3, 3, v0
	v_cmp_gt_u32_e64 s[8:9], 8, v0
	v_ffbh_u32_e32 v0, v2
	v_min_u32_e32 v4, 32, v0
	v_subrev_u32_e32 v0, 28, v4
	v_lshlrev_b64 v[0:1], v0, v[38:39]
	v_sub_u32_e32 v1, 29, v4
	v_and_b32_e32 v0, 7, v0
	v_cndmask_b32_e64 v1, v3, v1, s[8:9]
	v_mov_b32_e32 v3, 0x2000
	v_cndmask_b32_e64 v0, v2, v0, s[8:9]
	v_lshlrev_b32_e32 v2, 8, v38
	v_lshl_add_u32 v1, v1, 10, v3
	v_and_or_b32 v1, v2, s41, v1
	v_lshl_or_b32 v0, v0, 7, v1
	v_cvt_f32_f16_e32 v0, v0
	buffer_store_dword v0, off, s[0:3], s32 offset:204 ; 4-byte Folded Spill
.LBB306_50:                             ;   in Loop: Header=BB306_13 Depth=1
	s_or_b64 exec, exec, s[36:37]
.LBB306_51:                             ;   in Loop: Header=BB306_13 Depth=1
	s_or_b64 exec, exec, s[34:35]
.LBB306_52:                             ;   in Loop: Header=BB306_13 Depth=1
	s_or_b64 exec, exec, s[30:31]
	v_lshrrev_b32_e32 v38, 16, v36
	v_mov_b32_e32 v0, 0
	v_cmp_ne_u16_sdwa s[8:9], v38, v41 src0_sel:BYTE_0 src1_sel:DWORD
	buffer_store_dword v0, off, s[0:3], s32 offset:208 ; 4-byte Folded Spill
	v_mov_b32_e32 v0, 0
	buffer_store_dword v0, off, s[0:3], s32 offset:212 ; 4-byte Folded Spill
	s_and_saveexec_b64 s[30:31], s[8:9]
	s_cbranch_execz .LBB306_58
; %bb.53:                               ;   in Loop: Header=BB306_13 Depth=1
	v_cmp_ne_u16_sdwa s[8:9], v38, s39 src0_sel:BYTE_0 src1_sel:DWORD
	v_bfrev_b32_e32 v0, 1
	buffer_store_dword v0, off, s[0:3], s32 offset:212 ; 4-byte Folded Spill
	s_and_saveexec_b64 s[34:35], s[8:9]
	s_cbranch_execz .LBB306_57
; %bb.54:                               ;   in Loop: Header=BB306_13 Depth=1
	v_bfe_u32 v0, v36, 16, 7
	v_cmp_ne_u32_e64 s[8:9], s40, v0
	v_mov_b32_e32 v1, 0x7fc02000
	buffer_store_dword v1, off, s[0:3], s32 offset:212 ; 4-byte Folded Spill
	s_and_saveexec_b64 s[36:37], s[8:9]
	s_cbranch_execz .LBB306_56
; %bb.55:                               ;   in Loop: Header=BB306_13 Depth=1
	v_and_b32_e32 v1, 7, v38
	v_ffbh_u32_e32 v2, v1
	v_min_u32_e32 v5, 32, v2
	v_subrev_u32_e32 v2, 28, v5
	v_lshlrev_b64 v[2:3], v2, v[38:39]
	v_lshrrev_b32_e32 v4, 3, v0
	v_sub_u32_e32 v3, 29, v5
	v_cmp_gt_u32_e64 s[8:9], 8, v0
	v_and_b32_e32 v2, 7, v2
	v_cndmask_b32_e64 v0, v4, v3, s[8:9]
	v_mov_b32_e32 v3, 0x2000
	v_cndmask_b32_e64 v1, v1, v2, s[8:9]
	v_lshlrev_b32_e32 v2, 8, v38
	v_lshl_add_u32 v0, v0, 10, v3
	v_and_or_b32 v0, v2, s41, v0
	v_lshl_or_b32 v0, v1, 7, v0
	v_cvt_f32_f16_e32 v0, v0
	buffer_store_dword v0, off, s[0:3], s32 offset:212 ; 4-byte Folded Spill
.LBB306_56:                             ;   in Loop: Header=BB306_13 Depth=1
	s_or_b64 exec, exec, s[36:37]
.LBB306_57:                             ;   in Loop: Header=BB306_13 Depth=1
	s_or_b64 exec, exec, s[34:35]
.LBB306_58:                             ;   in Loop: Header=BB306_13 Depth=1
	s_or_b64 exec, exec, s[30:31]
	v_cmp_lt_u32_e64 s[8:9], s42, v36
	s_and_saveexec_b64 s[30:31], s[8:9]
	s_cbranch_execz .LBB306_64
; %bb.59:                               ;   in Loop: Header=BB306_13 Depth=1
	v_lshrrev_b32_e32 v36, 24, v36
	v_cmp_ne_u32_e64 s[8:9], s39, v36
	v_bfrev_b32_e32 v0, 1
	buffer_store_dword v0, off, s[0:3], s32 offset:208 ; 4-byte Folded Spill
	s_and_saveexec_b64 s[34:35], s[8:9]
	s_cbranch_execz .LBB306_63
; %bb.60:                               ;   in Loop: Header=BB306_13 Depth=1
	v_and_b32_e32 v0, 0x7f, v36
	v_cmp_ne_u32_e64 s[8:9], s40, v0
	v_mov_b32_e32 v1, 0x7fc02000
	buffer_store_dword v1, off, s[0:3], s32 offset:208 ; 4-byte Folded Spill
	s_and_saveexec_b64 s[36:37], s[8:9]
	s_cbranch_execz .LBB306_62
; %bb.61:                               ;   in Loop: Header=BB306_13 Depth=1
	v_and_b32_e32 v1, 7, v36
	v_ffbh_u32_e32 v2, v1
	v_min_u32_e32 v5, 32, v2
	v_subrev_u32_e32 v2, 28, v5
	v_lshlrev_b64 v[2:3], v2, v[36:37]
	v_lshrrev_b32_e32 v4, 3, v0
	v_sub_u32_e32 v3, 29, v5
	v_cmp_gt_u32_e64 s[8:9], 8, v0
	v_and_b32_e32 v2, 7, v2
	v_cndmask_b32_e64 v0, v4, v3, s[8:9]
	v_mov_b32_e32 v3, 0x2000
	v_cndmask_b32_e64 v1, v1, v2, s[8:9]
	v_lshlrev_b32_e32 v2, 8, v36
	v_lshl_add_u32 v0, v0, 10, v3
	v_and_or_b32 v0, v2, s41, v0
	v_lshl_or_b32 v0, v1, 7, v0
	v_cvt_f32_f16_e32 v0, v0
	buffer_store_dword v0, off, s[0:3], s32 offset:208 ; 4-byte Folded Spill
.LBB306_62:                             ;   in Loop: Header=BB306_13 Depth=1
	s_or_b64 exec, exec, s[36:37]
.LBB306_63:                             ;   in Loop: Header=BB306_13 Depth=1
	s_or_b64 exec, exec, s[34:35]
.LBB306_64:                             ;   in Loop: Header=BB306_13 Depth=1
	s_or_b64 exec, exec, s[30:31]
	flat_load_dword v36, v[34:35] offset:512
	v_mov_b32_e32 v55, 0
	v_mov_b32_e32 v0, 0
	buffer_store_dword v0, off, s[0:3], s32 offset:216 ; 4-byte Folded Spill
	s_waitcnt vmcnt(0) lgkmcnt(0)
	v_cmp_ne_u16_sdwa s[8:9], v36, v41 src0_sel:BYTE_0 src1_sel:DWORD
	s_and_saveexec_b64 s[30:31], s[8:9]
	s_cbranch_execz .LBB306_70
; %bb.65:                               ;   in Loop: Header=BB306_13 Depth=1
	v_cmp_ne_u16_sdwa s[8:9], v36, s39 src0_sel:BYTE_0 src1_sel:DWORD
	v_bfrev_b32_e32 v0, 1
	buffer_store_dword v0, off, s[0:3], s32 offset:216 ; 4-byte Folded Spill
	s_and_saveexec_b64 s[34:35], s[8:9]
	s_cbranch_execz .LBB306_69
; %bb.66:                               ;   in Loop: Header=BB306_13 Depth=1
	v_and_b32_e32 v0, 0x7f, v36
	v_cmp_ne_u32_e64 s[8:9], s40, v0
	v_mov_b32_e32 v1, 0x7fc02000
	buffer_store_dword v1, off, s[0:3], s32 offset:216 ; 4-byte Folded Spill
	s_and_saveexec_b64 s[36:37], s[8:9]
	s_cbranch_execz .LBB306_68
; %bb.67:                               ;   in Loop: Header=BB306_13 Depth=1
	v_and_b32_e32 v1, 7, v36
	v_ffbh_u32_e32 v2, v1
	v_min_u32_e32 v5, 32, v2
	v_subrev_u32_e32 v2, 28, v5
	v_lshlrev_b64 v[2:3], v2, v[36:37]
	v_lshrrev_b32_e32 v4, 3, v0
	v_sub_u32_e32 v3, 29, v5
	v_cmp_gt_u32_e64 s[8:9], 8, v0
	v_and_b32_e32 v2, 7, v2
	v_cndmask_b32_e64 v0, v4, v3, s[8:9]
	v_mov_b32_e32 v3, 0x2000
	v_cndmask_b32_e64 v1, v1, v2, s[8:9]
	v_lshlrev_b32_e32 v2, 8, v36
	v_lshl_add_u32 v0, v0, 10, v3
	v_and_or_b32 v0, v2, s41, v0
	v_lshl_or_b32 v0, v1, 7, v0
	v_cvt_f32_f16_e32 v0, v0
	buffer_store_dword v0, off, s[0:3], s32 offset:216 ; 4-byte Folded Spill
.LBB306_68:                             ;   in Loop: Header=BB306_13 Depth=1
	s_or_b64 exec, exec, s[36:37]
.LBB306_69:                             ;   in Loop: Header=BB306_13 Depth=1
	s_or_b64 exec, exec, s[34:35]
.LBB306_70:                             ;   in Loop: Header=BB306_13 Depth=1
	s_or_b64 exec, exec, s[30:31]
	v_lshrrev_b16_e32 v38, 8, v36
	v_cmp_ne_u16_e64 s[8:9], 0, v38
	s_and_saveexec_b64 s[30:31], s[8:9]
	s_cbranch_execz .LBB306_76
; %bb.71:                               ;   in Loop: Header=BB306_13 Depth=1
	v_cmp_ne_u16_e64 s[8:9], s39, v38
	v_bfrev_b32_e32 v55, 1
	s_and_saveexec_b64 s[34:35], s[8:9]
	s_cbranch_execz .LBB306_75
; %bb.72:                               ;   in Loop: Header=BB306_13 Depth=1
	v_and_b32_e32 v0, 0x7f, v38
	v_cmp_ne_u32_e64 s[8:9], s40, v0
	v_mov_b32_e32 v55, 0x7fc02000
	s_and_saveexec_b64 s[36:37], s[8:9]
	s_cbranch_execz .LBB306_74
; %bb.73:                               ;   in Loop: Header=BB306_13 Depth=1
	v_and_b32_e32 v1, 7, v38
	v_ffbh_u32_e32 v2, v1
	v_min_u32_e32 v5, 32, v2
	v_subrev_u32_e32 v2, 28, v5
	v_lshlrev_b64 v[2:3], v2, v[38:39]
	v_lshrrev_b32_e32 v4, 3, v0
	v_sub_u32_e32 v3, 29, v5
	v_cmp_gt_u32_e64 s[8:9], 8, v0
	v_and_b32_e32 v2, 7, v2
	v_cndmask_b32_e64 v0, v4, v3, s[8:9]
	v_mov_b32_e32 v3, 0x2000
	v_cndmask_b32_e64 v1, v1, v2, s[8:9]
	v_lshlrev_b32_e32 v2, 8, v38
	v_lshl_add_u32 v0, v0, 10, v3
	v_and_or_b32 v0, v2, s41, v0
	v_lshl_or_b32 v0, v1, 7, v0
	v_cvt_f32_f16_e32 v55, v0
.LBB306_74:                             ;   in Loop: Header=BB306_13 Depth=1
	s_or_b64 exec, exec, s[36:37]
.LBB306_75:                             ;   in Loop: Header=BB306_13 Depth=1
	s_or_b64 exec, exec, s[34:35]
.LBB306_76:                             ;   in Loop: Header=BB306_13 Depth=1
	s_or_b64 exec, exec, s[30:31]
	v_lshrrev_b32_e32 v38, 16, v36
	v_mov_b32_e32 v0, 0
	v_cmp_ne_u16_sdwa s[8:9], v38, v41 src0_sel:BYTE_0 src1_sel:DWORD
	buffer_store_dword v0, off, s[0:3], s32 offset:220 ; 4-byte Folded Spill
	v_mov_b32_e32 v0, 0
	buffer_store_dword v0, off, s[0:3], s32 offset:224 ; 4-byte Folded Spill
	s_and_saveexec_b64 s[30:31], s[8:9]
	s_cbranch_execz .LBB306_82
; %bb.77:                               ;   in Loop: Header=BB306_13 Depth=1
	v_cmp_ne_u16_sdwa s[8:9], v38, s39 src0_sel:BYTE_0 src1_sel:DWORD
	v_bfrev_b32_e32 v0, 1
	buffer_store_dword v0, off, s[0:3], s32 offset:224 ; 4-byte Folded Spill
	s_and_saveexec_b64 s[34:35], s[8:9]
	s_cbranch_execz .LBB306_81
; %bb.78:                               ;   in Loop: Header=BB306_13 Depth=1
	v_bfe_u32 v0, v36, 16, 7
	v_cmp_ne_u32_e64 s[8:9], s40, v0
	v_mov_b32_e32 v1, 0x7fc02000
	buffer_store_dword v1, off, s[0:3], s32 offset:224 ; 4-byte Folded Spill
	s_and_saveexec_b64 s[36:37], s[8:9]
	s_cbranch_execz .LBB306_80
; %bb.79:                               ;   in Loop: Header=BB306_13 Depth=1
	v_and_b32_e32 v1, 7, v38
	v_ffbh_u32_e32 v2, v1
	v_min_u32_e32 v5, 32, v2
	v_subrev_u32_e32 v2, 28, v5
	v_lshlrev_b64 v[2:3], v2, v[38:39]
	v_lshrrev_b32_e32 v4, 3, v0
	v_sub_u32_e32 v3, 29, v5
	v_cmp_gt_u32_e64 s[8:9], 8, v0
	v_and_b32_e32 v2, 7, v2
	v_cndmask_b32_e64 v0, v4, v3, s[8:9]
	v_mov_b32_e32 v3, 0x2000
	v_cndmask_b32_e64 v1, v1, v2, s[8:9]
	v_lshlrev_b32_e32 v2, 8, v38
	v_lshl_add_u32 v0, v0, 10, v3
	v_and_or_b32 v0, v2, s41, v0
	v_lshl_or_b32 v0, v1, 7, v0
	v_cvt_f32_f16_e32 v0, v0
	buffer_store_dword v0, off, s[0:3], s32 offset:224 ; 4-byte Folded Spill
.LBB306_80:                             ;   in Loop: Header=BB306_13 Depth=1
	s_or_b64 exec, exec, s[36:37]
.LBB306_81:                             ;   in Loop: Header=BB306_13 Depth=1
	s_or_b64 exec, exec, s[34:35]
.LBB306_82:                             ;   in Loop: Header=BB306_13 Depth=1
	s_or_b64 exec, exec, s[30:31]
	v_cmp_lt_u32_e64 s[8:9], s42, v36
	s_and_saveexec_b64 s[30:31], s[8:9]
	s_cbranch_execz .LBB306_88
; %bb.83:                               ;   in Loop: Header=BB306_13 Depth=1
	v_lshrrev_b32_e32 v36, 24, v36
	v_cmp_ne_u32_e64 s[8:9], s39, v36
	v_bfrev_b32_e32 v0, 1
	buffer_store_dword v0, off, s[0:3], s32 offset:220 ; 4-byte Folded Spill
	s_and_saveexec_b64 s[34:35], s[8:9]
	s_cbranch_execz .LBB306_87
; %bb.84:                               ;   in Loop: Header=BB306_13 Depth=1
	v_and_b32_e32 v0, 0x7f, v36
	v_cmp_ne_u32_e64 s[8:9], s40, v0
	v_mov_b32_e32 v1, 0x7fc02000
	buffer_store_dword v1, off, s[0:3], s32 offset:220 ; 4-byte Folded Spill
	s_and_saveexec_b64 s[36:37], s[8:9]
	s_cbranch_execz .LBB306_86
; %bb.85:                               ;   in Loop: Header=BB306_13 Depth=1
	v_and_b32_e32 v1, 7, v36
	v_ffbh_u32_e32 v2, v1
	v_min_u32_e32 v5, 32, v2
	v_subrev_u32_e32 v2, 28, v5
	v_lshlrev_b64 v[2:3], v2, v[36:37]
	v_lshrrev_b32_e32 v4, 3, v0
	v_sub_u32_e32 v3, 29, v5
	v_cmp_gt_u32_e64 s[8:9], 8, v0
	v_and_b32_e32 v2, 7, v2
	v_cndmask_b32_e64 v0, v4, v3, s[8:9]
	v_mov_b32_e32 v3, 0x2000
	v_cndmask_b32_e64 v1, v1, v2, s[8:9]
	v_lshlrev_b32_e32 v2, 8, v36
	v_lshl_add_u32 v0, v0, 10, v3
	v_and_or_b32 v0, v2, s41, v0
	v_lshl_or_b32 v0, v1, 7, v0
	v_cvt_f32_f16_e32 v0, v0
	buffer_store_dword v0, off, s[0:3], s32 offset:220 ; 4-byte Folded Spill
.LBB306_86:                             ;   in Loop: Header=BB306_13 Depth=1
	s_or_b64 exec, exec, s[36:37]
.LBB306_87:                             ;   in Loop: Header=BB306_13 Depth=1
	s_or_b64 exec, exec, s[34:35]
.LBB306_88:                             ;   in Loop: Header=BB306_13 Depth=1
	s_or_b64 exec, exec, s[30:31]
	flat_load_dword v36, v[34:35] offset:520
	v_mov_b32_e32 v0, 0
	buffer_store_dword v0, off, s[0:3], s32 offset:232 ; 4-byte Folded Spill
	v_mov_b32_e32 v0, 0
	buffer_store_dword v0, off, s[0:3], s32 offset:228 ; 4-byte Folded Spill
	s_waitcnt vmcnt(0) lgkmcnt(0)
	v_cmp_ne_u16_sdwa s[8:9], v36, v41 src0_sel:BYTE_0 src1_sel:DWORD
	s_and_saveexec_b64 s[30:31], s[8:9]
	s_cbranch_execz .LBB306_94
; %bb.89:                               ;   in Loop: Header=BB306_13 Depth=1
	v_cmp_ne_u16_sdwa s[8:9], v36, s39 src0_sel:BYTE_0 src1_sel:DWORD
	v_bfrev_b32_e32 v0, 1
	buffer_store_dword v0, off, s[0:3], s32 offset:228 ; 4-byte Folded Spill
	s_and_saveexec_b64 s[34:35], s[8:9]
	s_cbranch_execz .LBB306_93
; %bb.90:                               ;   in Loop: Header=BB306_13 Depth=1
	v_and_b32_e32 v0, 0x7f, v36
	v_cmp_ne_u32_e64 s[8:9], s40, v0
	v_mov_b32_e32 v1, 0x7fc02000
	buffer_store_dword v1, off, s[0:3], s32 offset:228 ; 4-byte Folded Spill
	s_and_saveexec_b64 s[36:37], s[8:9]
	s_cbranch_execz .LBB306_92
; %bb.91:                               ;   in Loop: Header=BB306_13 Depth=1
	v_and_b32_e32 v1, 7, v36
	v_ffbh_u32_e32 v2, v1
	v_min_u32_e32 v5, 32, v2
	v_subrev_u32_e32 v2, 28, v5
	v_lshlrev_b64 v[2:3], v2, v[36:37]
	v_lshrrev_b32_e32 v4, 3, v0
	v_sub_u32_e32 v3, 29, v5
	v_cmp_gt_u32_e64 s[8:9], 8, v0
	v_and_b32_e32 v2, 7, v2
	v_cndmask_b32_e64 v0, v4, v3, s[8:9]
	v_mov_b32_e32 v3, 0x2000
	v_cndmask_b32_e64 v1, v1, v2, s[8:9]
	v_lshlrev_b32_e32 v2, 8, v36
	v_lshl_add_u32 v0, v0, 10, v3
	v_and_or_b32 v0, v2, s41, v0
	v_lshl_or_b32 v0, v1, 7, v0
	v_cvt_f32_f16_e32 v0, v0
	buffer_store_dword v0, off, s[0:3], s32 offset:228 ; 4-byte Folded Spill
.LBB306_92:                             ;   in Loop: Header=BB306_13 Depth=1
	s_or_b64 exec, exec, s[36:37]
.LBB306_93:                             ;   in Loop: Header=BB306_13 Depth=1
	s_or_b64 exec, exec, s[34:35]
.LBB306_94:                             ;   in Loop: Header=BB306_13 Depth=1
	s_or_b64 exec, exec, s[30:31]
	v_lshrrev_b16_e32 v38, 8, v36
	v_cmp_ne_u16_e64 s[8:9], 0, v38
	s_and_saveexec_b64 s[30:31], s[8:9]
	s_cbranch_execz .LBB306_100
; %bb.95:                               ;   in Loop: Header=BB306_13 Depth=1
	v_cmp_ne_u16_e64 s[8:9], s39, v38
	v_bfrev_b32_e32 v0, 1
	buffer_store_dword v0, off, s[0:3], s32 offset:232 ; 4-byte Folded Spill
	s_and_saveexec_b64 s[34:35], s[8:9]
	s_cbranch_execz .LBB306_99
; %bb.96:                               ;   in Loop: Header=BB306_13 Depth=1
	v_and_b32_e32 v0, 0x7f, v38
	v_cmp_ne_u32_e64 s[8:9], s40, v0
	v_mov_b32_e32 v1, 0x7fc02000
	buffer_store_dword v1, off, s[0:3], s32 offset:232 ; 4-byte Folded Spill
	s_and_saveexec_b64 s[36:37], s[8:9]
	s_cbranch_execz .LBB306_98
; %bb.97:                               ;   in Loop: Header=BB306_13 Depth=1
	v_and_b32_e32 v2, 7, v38
	v_lshrrev_b32_e32 v3, 3, v0
	v_cmp_gt_u32_e64 s[8:9], 8, v0
	v_ffbh_u32_e32 v0, v2
	v_min_u32_e32 v4, 32, v0
	v_subrev_u32_e32 v0, 28, v4
	v_lshlrev_b64 v[0:1], v0, v[38:39]
	v_sub_u32_e32 v1, 29, v4
	v_and_b32_e32 v0, 7, v0
	v_cndmask_b32_e64 v1, v3, v1, s[8:9]
	v_mov_b32_e32 v3, 0x2000
	v_cndmask_b32_e64 v0, v2, v0, s[8:9]
	v_lshlrev_b32_e32 v2, 8, v38
	v_lshl_add_u32 v1, v1, 10, v3
	v_and_or_b32 v1, v2, s41, v1
	v_lshl_or_b32 v0, v0, 7, v1
	v_cvt_f32_f16_e32 v0, v0
	buffer_store_dword v0, off, s[0:3], s32 offset:232 ; 4-byte Folded Spill
.LBB306_98:                             ;   in Loop: Header=BB306_13 Depth=1
	s_or_b64 exec, exec, s[36:37]
.LBB306_99:                             ;   in Loop: Header=BB306_13 Depth=1
	s_or_b64 exec, exec, s[34:35]
.LBB306_100:                            ;   in Loop: Header=BB306_13 Depth=1
	s_or_b64 exec, exec, s[30:31]
	v_lshrrev_b32_e32 v38, 16, v36
	v_mov_b32_e32 v0, 0
	v_cmp_ne_u16_sdwa s[8:9], v38, v41 src0_sel:BYTE_0 src1_sel:DWORD
	buffer_store_dword v0, off, s[0:3], s32 offset:236 ; 4-byte Folded Spill
	v_mov_b32_e32 v0, 0
	buffer_store_dword v0, off, s[0:3], s32 offset:240 ; 4-byte Folded Spill
	s_and_saveexec_b64 s[30:31], s[8:9]
	s_cbranch_execz .LBB306_106
; %bb.101:                              ;   in Loop: Header=BB306_13 Depth=1
	v_cmp_ne_u16_sdwa s[8:9], v38, s39 src0_sel:BYTE_0 src1_sel:DWORD
	v_bfrev_b32_e32 v0, 1
	buffer_store_dword v0, off, s[0:3], s32 offset:240 ; 4-byte Folded Spill
	s_and_saveexec_b64 s[34:35], s[8:9]
	s_cbranch_execz .LBB306_105
; %bb.102:                              ;   in Loop: Header=BB306_13 Depth=1
	v_bfe_u32 v0, v36, 16, 7
	v_cmp_ne_u32_e64 s[8:9], s40, v0
	v_mov_b32_e32 v1, 0x7fc02000
	buffer_store_dword v1, off, s[0:3], s32 offset:240 ; 4-byte Folded Spill
	s_and_saveexec_b64 s[36:37], s[8:9]
	s_cbranch_execz .LBB306_104
; %bb.103:                              ;   in Loop: Header=BB306_13 Depth=1
	v_and_b32_e32 v1, 7, v38
	v_ffbh_u32_e32 v2, v1
	v_min_u32_e32 v5, 32, v2
	v_subrev_u32_e32 v2, 28, v5
	v_lshlrev_b64 v[2:3], v2, v[38:39]
	v_lshrrev_b32_e32 v4, 3, v0
	v_sub_u32_e32 v3, 29, v5
	v_cmp_gt_u32_e64 s[8:9], 8, v0
	v_and_b32_e32 v2, 7, v2
	v_cndmask_b32_e64 v0, v4, v3, s[8:9]
	v_mov_b32_e32 v3, 0x2000
	v_cndmask_b32_e64 v1, v1, v2, s[8:9]
	v_lshlrev_b32_e32 v2, 8, v38
	v_lshl_add_u32 v0, v0, 10, v3
	v_and_or_b32 v0, v2, s41, v0
	v_lshl_or_b32 v0, v1, 7, v0
	v_cvt_f32_f16_e32 v0, v0
	buffer_store_dword v0, off, s[0:3], s32 offset:240 ; 4-byte Folded Spill
.LBB306_104:                            ;   in Loop: Header=BB306_13 Depth=1
	s_or_b64 exec, exec, s[36:37]
.LBB306_105:                            ;   in Loop: Header=BB306_13 Depth=1
	s_or_b64 exec, exec, s[34:35]
.LBB306_106:                            ;   in Loop: Header=BB306_13 Depth=1
	s_or_b64 exec, exec, s[30:31]
	v_cmp_lt_u32_e64 s[8:9], s42, v36
	s_and_saveexec_b64 s[30:31], s[8:9]
	s_cbranch_execz .LBB306_112
; %bb.107:                              ;   in Loop: Header=BB306_13 Depth=1
	v_lshrrev_b32_e32 v36, 24, v36
	v_cmp_ne_u32_e64 s[8:9], s39, v36
	v_bfrev_b32_e32 v0, 1
	buffer_store_dword v0, off, s[0:3], s32 offset:236 ; 4-byte Folded Spill
	s_and_saveexec_b64 s[34:35], s[8:9]
	s_cbranch_execz .LBB306_111
; %bb.108:                              ;   in Loop: Header=BB306_13 Depth=1
	v_and_b32_e32 v0, 0x7f, v36
	v_cmp_ne_u32_e64 s[8:9], s40, v0
	v_mov_b32_e32 v1, 0x7fc02000
	buffer_store_dword v1, off, s[0:3], s32 offset:236 ; 4-byte Folded Spill
	s_and_saveexec_b64 s[36:37], s[8:9]
	s_cbranch_execz .LBB306_110
; %bb.109:                              ;   in Loop: Header=BB306_13 Depth=1
	v_and_b32_e32 v1, 7, v36
	v_ffbh_u32_e32 v4, v1
	v_min_u32_e32 v6, 32, v4
	v_subrev_u32_e32 v4, 28, v6
	v_lshlrev_b64 v[4:5], v4, v[36:37]
	v_lshrrev_b32_e32 v3, 3, v0
	v_sub_u32_e32 v5, 29, v6
	v_cmp_gt_u32_e64 s[8:9], 8, v0
	v_cndmask_b32_e64 v0, v3, v5, s[8:9]
	v_mov_b32_e32 v2, 0x2000
	v_and_b32_e32 v4, 7, v4
	v_lshlrev_b32_e32 v3, 8, v36
	v_lshl_add_u32 v0, v0, 10, v2
	v_cndmask_b32_e64 v1, v1, v4, s[8:9]
	v_and_or_b32 v0, v3, s41, v0
	v_lshl_or_b32 v0, v1, 7, v0
	v_cvt_f32_f16_e32 v0, v0
	buffer_store_dword v0, off, s[0:3], s32 offset:236 ; 4-byte Folded Spill
.LBB306_110:                            ;   in Loop: Header=BB306_13 Depth=1
	s_or_b64 exec, exec, s[36:37]
.LBB306_111:                            ;   in Loop: Header=BB306_13 Depth=1
	s_or_b64 exec, exec, s[34:35]
.LBB306_112:                            ;   in Loop: Header=BB306_13 Depth=1
	s_or_b64 exec, exec, s[30:31]
	flat_load_dword v36, v[34:35] offset:1024
	v_mov_b32_e32 v0, 0
	v_mov_b32_e32 v54, 0
	s_waitcnt vmcnt(0) lgkmcnt(0)
	v_cmp_ne_u16_sdwa s[8:9], v36, v41 src0_sel:BYTE_0 src1_sel:DWORD
	s_and_saveexec_b64 s[30:31], s[8:9]
	s_cbranch_execz .LBB306_118
; %bb.113:                              ;   in Loop: Header=BB306_13 Depth=1
	v_cmp_ne_u16_sdwa s[8:9], v36, s39 src0_sel:BYTE_0 src1_sel:DWORD
	v_bfrev_b32_e32 v54, 1
	s_and_saveexec_b64 s[34:35], s[8:9]
	s_cbranch_execz .LBB306_117
; %bb.114:                              ;   in Loop: Header=BB306_13 Depth=1
	v_and_b32_e32 v1, 0x7f, v36
	v_cmp_ne_u32_e64 s[8:9], s40, v1
	v_mov_b32_e32 v54, 0x7fc02000
	s_and_saveexec_b64 s[36:37], s[8:9]
	s_cbranch_execz .LBB306_116
; %bb.115:                              ;   in Loop: Header=BB306_13 Depth=1
	v_and_b32_e32 v3, 7, v36
	v_ffbh_u32_e32 v4, v3
	v_min_u32_e32 v7, 32, v4
	v_subrev_u32_e32 v4, 28, v7
	v_lshlrev_b64 v[4:5], v4, v[36:37]
	v_lshrrev_b32_e32 v6, 3, v1
	v_sub_u32_e32 v5, 29, v7
	v_cmp_gt_u32_e64 s[8:9], 8, v1
	v_and_b32_e32 v4, 7, v4
	v_cndmask_b32_e64 v1, v6, v5, s[8:9]
	v_mov_b32_e32 v2, 0x2000
	v_cndmask_b32_e64 v3, v3, v4, s[8:9]
	v_lshlrev_b32_e32 v4, 8, v36
	v_lshl_add_u32 v1, v1, 10, v2
	v_and_or_b32 v1, v4, s41, v1
	v_lshl_or_b32 v1, v3, 7, v1
	v_cvt_f32_f16_e32 v54, v1
.LBB306_116:                            ;   in Loop: Header=BB306_13 Depth=1
	s_or_b64 exec, exec, s[36:37]
.LBB306_117:                            ;   in Loop: Header=BB306_13 Depth=1
	s_or_b64 exec, exec, s[34:35]
.LBB306_118:                            ;   in Loop: Header=BB306_13 Depth=1
	s_or_b64 exec, exec, s[30:31]
	v_lshrrev_b16_e32 v38, 8, v36
	v_cmp_ne_u16_e64 s[8:9], 0, v38
	s_and_saveexec_b64 s[30:31], s[8:9]
	s_cbranch_execz .LBB306_124
; %bb.119:                              ;   in Loop: Header=BB306_13 Depth=1
	v_cmp_ne_u16_e64 s[8:9], s39, v38
	v_bfrev_b32_e32 v0, 1
	s_and_saveexec_b64 s[34:35], s[8:9]
	s_cbranch_execz .LBB306_123
; %bb.120:                              ;   in Loop: Header=BB306_13 Depth=1
	v_and_b32_e32 v1, 0x7f, v38
	v_cmp_ne_u32_e64 s[8:9], s40, v1
	v_mov_b32_e32 v0, 0x7fc02000
	s_and_saveexec_b64 s[36:37], s[8:9]
	s_cbranch_execz .LBB306_122
; %bb.121:                              ;   in Loop: Header=BB306_13 Depth=1
	v_and_b32_e32 v0, 7, v38
	v_ffbh_u32_e32 v4, v0
	v_min_u32_e32 v6, 32, v4
	v_subrev_u32_e32 v4, 28, v6
	v_lshlrev_b64 v[4:5], v4, v[38:39]
	v_lshrrev_b32_e32 v3, 3, v1
	v_sub_u32_e32 v5, 29, v6
	v_cmp_gt_u32_e64 s[8:9], 8, v1
	v_cndmask_b32_e64 v1, v3, v5, s[8:9]
	v_mov_b32_e32 v2, 0x2000
	v_and_b32_e32 v4, 7, v4
	v_lshlrev_b32_e32 v3, 8, v38
	v_lshl_add_u32 v1, v1, 10, v2
	v_cndmask_b32_e64 v0, v0, v4, s[8:9]
	v_and_or_b32 v1, v3, s41, v1
	v_lshl_or_b32 v0, v0, 7, v1
	v_cvt_f32_f16_e32 v0, v0
.LBB306_122:                            ;   in Loop: Header=BB306_13 Depth=1
	s_or_b64 exec, exec, s[36:37]
.LBB306_123:                            ;   in Loop: Header=BB306_13 Depth=1
	s_or_b64 exec, exec, s[34:35]
.LBB306_124:                            ;   in Loop: Header=BB306_13 Depth=1
	s_or_b64 exec, exec, s[30:31]
	v_lshrrev_b32_e32 v38, 16, v36
	v_cmp_ne_u16_sdwa s[8:9], v38, v41 src0_sel:BYTE_0 src1_sel:DWORD
	v_mov_b32_e32 v10, 0
	v_mov_b32_e32 v23, 0
	s_and_saveexec_b64 s[30:31], s[8:9]
	s_cbranch_execz .LBB306_130
; %bb.125:                              ;   in Loop: Header=BB306_13 Depth=1
	v_cmp_ne_u16_sdwa s[8:9], v38, s39 src0_sel:BYTE_0 src1_sel:DWORD
	v_bfrev_b32_e32 v23, 1
	s_and_saveexec_b64 s[34:35], s[8:9]
	s_cbranch_execz .LBB306_129
; %bb.126:                              ;   in Loop: Header=BB306_13 Depth=1
	v_bfe_u32 v1, v36, 16, 7
	v_cmp_ne_u32_e64 s[8:9], s40, v1
	v_mov_b32_e32 v23, 0x7fc02000
	s_and_saveexec_b64 s[36:37], s[8:9]
	s_cbranch_execz .LBB306_128
; %bb.127:                              ;   in Loop: Header=BB306_13 Depth=1
	v_and_b32_e32 v3, 7, v38
	v_ffbh_u32_e32 v4, v3
	v_min_u32_e32 v7, 32, v4
	v_subrev_u32_e32 v4, 28, v7
	v_lshlrev_b64 v[4:5], v4, v[38:39]
	v_lshrrev_b32_e32 v6, 3, v1
	v_sub_u32_e32 v5, 29, v7
	v_cmp_gt_u32_e64 s[8:9], 8, v1
	v_and_b32_e32 v4, 7, v4
	v_cndmask_b32_e64 v1, v6, v5, s[8:9]
	v_mov_b32_e32 v2, 0x2000
	v_cndmask_b32_e64 v3, v3, v4, s[8:9]
	v_lshlrev_b32_e32 v4, 8, v38
	v_lshl_add_u32 v1, v1, 10, v2
	v_and_or_b32 v1, v4, s41, v1
	v_lshl_or_b32 v1, v3, 7, v1
	v_cvt_f32_f16_e32 v23, v1
.LBB306_128:                            ;   in Loop: Header=BB306_13 Depth=1
	s_or_b64 exec, exec, s[36:37]
.LBB306_129:                            ;   in Loop: Header=BB306_13 Depth=1
	s_or_b64 exec, exec, s[34:35]
.LBB306_130:                            ;   in Loop: Header=BB306_13 Depth=1
	s_or_b64 exec, exec, s[30:31]
	v_cmp_lt_u32_e64 s[8:9], s42, v36
	s_and_saveexec_b64 s[30:31], s[8:9]
	s_cbranch_execz .LBB306_136
; %bb.131:                              ;   in Loop: Header=BB306_13 Depth=1
	v_lshrrev_b32_e32 v36, 24, v36
	v_cmp_ne_u32_e64 s[8:9], s39, v36
	v_bfrev_b32_e32 v10, 1
	s_and_saveexec_b64 s[34:35], s[8:9]
	s_cbranch_execz .LBB306_135
; %bb.132:                              ;   in Loop: Header=BB306_13 Depth=1
	v_and_b32_e32 v1, 0x7f, v36
	v_cmp_ne_u32_e64 s[8:9], s40, v1
	v_mov_b32_e32 v10, 0x7fc02000
	s_and_saveexec_b64 s[36:37], s[8:9]
	s_cbranch_execz .LBB306_134
; %bb.133:                              ;   in Loop: Header=BB306_13 Depth=1
	v_and_b32_e32 v3, 7, v36
	v_ffbh_u32_e32 v4, v3
	v_min_u32_e32 v7, 32, v4
	v_subrev_u32_e32 v4, 28, v7
	v_lshlrev_b64 v[4:5], v4, v[36:37]
	v_lshrrev_b32_e32 v6, 3, v1
	v_sub_u32_e32 v5, 29, v7
	v_cmp_gt_u32_e64 s[8:9], 8, v1
	v_and_b32_e32 v4, 7, v4
	v_cndmask_b32_e64 v1, v6, v5, s[8:9]
	v_mov_b32_e32 v2, 0x2000
	v_cndmask_b32_e64 v3, v3, v4, s[8:9]
	v_lshlrev_b32_e32 v4, 8, v36
	v_lshl_add_u32 v1, v1, 10, v2
	v_and_or_b32 v1, v4, s41, v1
	v_lshl_or_b32 v1, v3, 7, v1
	v_cvt_f32_f16_e32 v10, v1
.LBB306_134:                            ;   in Loop: Header=BB306_13 Depth=1
	s_or_b64 exec, exec, s[36:37]
.LBB306_135:                            ;   in Loop: Header=BB306_13 Depth=1
	s_or_b64 exec, exec, s[34:35]
.LBB306_136:                            ;   in Loop: Header=BB306_13 Depth=1
	s_or_b64 exec, exec, s[30:31]
	flat_load_dword v36, v[34:35] offset:1032
	v_mov_b32_e32 v52, 0
	v_mov_b32_e32 v40, 0
	s_waitcnt vmcnt(0) lgkmcnt(0)
	v_cmp_ne_u16_sdwa s[8:9], v36, v41 src0_sel:BYTE_0 src1_sel:DWORD
	s_and_saveexec_b64 s[30:31], s[8:9]
	s_cbranch_execz .LBB306_142
; %bb.137:                              ;   in Loop: Header=BB306_13 Depth=1
	v_cmp_ne_u16_sdwa s[8:9], v36, s39 src0_sel:BYTE_0 src1_sel:DWORD
	v_bfrev_b32_e32 v40, 1
	s_and_saveexec_b64 s[34:35], s[8:9]
	s_cbranch_execz .LBB306_141
; %bb.138:                              ;   in Loop: Header=BB306_13 Depth=1
	v_and_b32_e32 v1, 0x7f, v36
	v_cmp_ne_u32_e64 s[8:9], s40, v1
	v_mov_b32_e32 v40, 0x7fc02000
	s_and_saveexec_b64 s[36:37], s[8:9]
	s_cbranch_execz .LBB306_140
; %bb.139:                              ;   in Loop: Header=BB306_13 Depth=1
	v_and_b32_e32 v3, 7, v36
	v_ffbh_u32_e32 v4, v3
	v_min_u32_e32 v7, 32, v4
	v_subrev_u32_e32 v4, 28, v7
	v_lshlrev_b64 v[4:5], v4, v[36:37]
	v_lshrrev_b32_e32 v6, 3, v1
	v_sub_u32_e32 v5, 29, v7
	v_cmp_gt_u32_e64 s[8:9], 8, v1
	v_and_b32_e32 v4, 7, v4
	v_cndmask_b32_e64 v1, v6, v5, s[8:9]
	v_mov_b32_e32 v2, 0x2000
	v_cndmask_b32_e64 v3, v3, v4, s[8:9]
	v_lshlrev_b32_e32 v4, 8, v36
	v_lshl_add_u32 v1, v1, 10, v2
	v_and_or_b32 v1, v4, s41, v1
	v_lshl_or_b32 v1, v3, 7, v1
	v_cvt_f32_f16_e32 v40, v1
.LBB306_140:                            ;   in Loop: Header=BB306_13 Depth=1
	s_or_b64 exec, exec, s[36:37]
.LBB306_141:                            ;   in Loop: Header=BB306_13 Depth=1
	s_or_b64 exec, exec, s[34:35]
.LBB306_142:                            ;   in Loop: Header=BB306_13 Depth=1
	s_or_b64 exec, exec, s[30:31]
	v_lshrrev_b16_e32 v38, 8, v36
	v_cmp_ne_u16_e64 s[8:9], 0, v38
	s_and_saveexec_b64 s[30:31], s[8:9]
	s_cbranch_execz .LBB306_148
; %bb.143:                              ;   in Loop: Header=BB306_13 Depth=1
	v_cmp_ne_u16_e64 s[8:9], s39, v38
	v_bfrev_b32_e32 v52, 1
	s_and_saveexec_b64 s[34:35], s[8:9]
	s_cbranch_execz .LBB306_147
; %bb.144:                              ;   in Loop: Header=BB306_13 Depth=1
	v_and_b32_e32 v1, 0x7f, v38
	v_cmp_ne_u32_e64 s[8:9], s40, v1
	v_mov_b32_e32 v52, 0x7fc02000
	s_and_saveexec_b64 s[36:37], s[8:9]
	s_cbranch_execz .LBB306_146
; %bb.145:                              ;   in Loop: Header=BB306_13 Depth=1
	v_and_b32_e32 v3, 7, v38
	v_ffbh_u32_e32 v4, v3
	v_min_u32_e32 v7, 32, v4
	v_subrev_u32_e32 v4, 28, v7
	v_lshlrev_b64 v[4:5], v4, v[38:39]
	v_lshrrev_b32_e32 v6, 3, v1
	v_sub_u32_e32 v5, 29, v7
	v_cmp_gt_u32_e64 s[8:9], 8, v1
	v_and_b32_e32 v4, 7, v4
	v_cndmask_b32_e64 v1, v6, v5, s[8:9]
	v_mov_b32_e32 v2, 0x2000
	v_cndmask_b32_e64 v3, v3, v4, s[8:9]
	v_lshlrev_b32_e32 v4, 8, v38
	v_lshl_add_u32 v1, v1, 10, v2
	v_and_or_b32 v1, v4, s41, v1
	v_lshl_or_b32 v1, v3, 7, v1
	v_cvt_f32_f16_e32 v52, v1
.LBB306_146:                            ;   in Loop: Header=BB306_13 Depth=1
	s_or_b64 exec, exec, s[36:37]
.LBB306_147:                            ;   in Loop: Header=BB306_13 Depth=1
	s_or_b64 exec, exec, s[34:35]
.LBB306_148:                            ;   in Loop: Header=BB306_13 Depth=1
	s_or_b64 exec, exec, s[30:31]
	v_lshrrev_b32_e32 v38, 16, v36
	v_cmp_ne_u16_sdwa s[8:9], v38, v41 src0_sel:BYTE_0 src1_sel:DWORD
	v_mov_b32_e32 v15, 0
	v_mov_b32_e32 v14, 0
	s_and_saveexec_b64 s[30:31], s[8:9]
	s_cbranch_execz .LBB306_154
; %bb.149:                              ;   in Loop: Header=BB306_13 Depth=1
	v_cmp_ne_u16_sdwa s[8:9], v38, s39 src0_sel:BYTE_0 src1_sel:DWORD
	v_bfrev_b32_e32 v14, 1
	s_and_saveexec_b64 s[34:35], s[8:9]
	s_cbranch_execz .LBB306_153
; %bb.150:                              ;   in Loop: Header=BB306_13 Depth=1
	v_bfe_u32 v1, v36, 16, 7
	v_cmp_ne_u32_e64 s[8:9], s40, v1
	v_mov_b32_e32 v14, 0x7fc02000
	s_and_saveexec_b64 s[36:37], s[8:9]
	s_cbranch_execz .LBB306_152
; %bb.151:                              ;   in Loop: Header=BB306_13 Depth=1
	v_and_b32_e32 v3, 7, v38
	v_ffbh_u32_e32 v4, v3
	v_min_u32_e32 v7, 32, v4
	v_subrev_u32_e32 v4, 28, v7
	v_lshlrev_b64 v[4:5], v4, v[38:39]
	v_lshrrev_b32_e32 v6, 3, v1
	v_sub_u32_e32 v5, 29, v7
	v_cmp_gt_u32_e64 s[8:9], 8, v1
	v_and_b32_e32 v4, 7, v4
	v_cndmask_b32_e64 v1, v6, v5, s[8:9]
	v_mov_b32_e32 v2, 0x2000
	v_cndmask_b32_e64 v3, v3, v4, s[8:9]
	v_lshlrev_b32_e32 v4, 8, v38
	v_lshl_add_u32 v1, v1, 10, v2
	v_and_or_b32 v1, v4, s41, v1
	v_lshl_or_b32 v1, v3, 7, v1
	v_cvt_f32_f16_e32 v14, v1
.LBB306_152:                            ;   in Loop: Header=BB306_13 Depth=1
	s_or_b64 exec, exec, s[36:37]
.LBB306_153:                            ;   in Loop: Header=BB306_13 Depth=1
	s_or_b64 exec, exec, s[34:35]
.LBB306_154:                            ;   in Loop: Header=BB306_13 Depth=1
	s_or_b64 exec, exec, s[30:31]
	v_cmp_lt_u32_e64 s[8:9], s42, v36
	s_and_saveexec_b64 s[30:31], s[8:9]
	s_cbranch_execz .LBB306_160
; %bb.155:                              ;   in Loop: Header=BB306_13 Depth=1
	v_lshrrev_b32_e32 v36, 24, v36
	v_cmp_ne_u32_e64 s[8:9], s39, v36
	v_bfrev_b32_e32 v15, 1
	s_and_saveexec_b64 s[34:35], s[8:9]
	s_cbranch_execz .LBB306_159
; %bb.156:                              ;   in Loop: Header=BB306_13 Depth=1
	v_and_b32_e32 v1, 0x7f, v36
	v_cmp_ne_u32_e64 s[8:9], s40, v1
	v_mov_b32_e32 v15, 0x7fc02000
	s_and_saveexec_b64 s[36:37], s[8:9]
	s_cbranch_execz .LBB306_158
; %bb.157:                              ;   in Loop: Header=BB306_13 Depth=1
	v_and_b32_e32 v3, 7, v36
	v_ffbh_u32_e32 v4, v3
	v_min_u32_e32 v7, 32, v4
	v_subrev_u32_e32 v4, 28, v7
	v_lshlrev_b64 v[4:5], v4, v[36:37]
	v_lshrrev_b32_e32 v6, 3, v1
	v_sub_u32_e32 v5, 29, v7
	v_cmp_gt_u32_e64 s[8:9], 8, v1
	v_and_b32_e32 v4, 7, v4
	v_cndmask_b32_e64 v1, v6, v5, s[8:9]
	v_mov_b32_e32 v2, 0x2000
	v_cndmask_b32_e64 v3, v3, v4, s[8:9]
	v_lshlrev_b32_e32 v4, 8, v36
	v_lshl_add_u32 v1, v1, 10, v2
	v_and_or_b32 v1, v4, s41, v1
	v_lshl_or_b32 v1, v3, 7, v1
	v_cvt_f32_f16_e32 v15, v1
.LBB306_158:                            ;   in Loop: Header=BB306_13 Depth=1
	s_or_b64 exec, exec, s[36:37]
.LBB306_159:                            ;   in Loop: Header=BB306_13 Depth=1
	s_or_b64 exec, exec, s[34:35]
.LBB306_160:                            ;   in Loop: Header=BB306_13 Depth=1
	s_or_b64 exec, exec, s[30:31]
	flat_load_dword v36, v[34:35] offset:1536
	v_mov_b32_e32 v12, 0
	v_mov_b32_e32 v56, 0
	s_waitcnt vmcnt(0) lgkmcnt(0)
	v_cmp_ne_u16_sdwa s[8:9], v36, v41 src0_sel:BYTE_0 src1_sel:DWORD
	s_and_saveexec_b64 s[30:31], s[8:9]
	s_cbranch_execz .LBB306_166
; %bb.161:                              ;   in Loop: Header=BB306_13 Depth=1
	v_cmp_ne_u16_sdwa s[8:9], v36, s39 src0_sel:BYTE_0 src1_sel:DWORD
	v_bfrev_b32_e32 v56, 1
	s_and_saveexec_b64 s[34:35], s[8:9]
	s_cbranch_execz .LBB306_165
; %bb.162:                              ;   in Loop: Header=BB306_13 Depth=1
	v_and_b32_e32 v1, 0x7f, v36
	v_cmp_ne_u32_e64 s[8:9], s40, v1
	v_mov_b32_e32 v56, 0x7fc02000
	s_and_saveexec_b64 s[36:37], s[8:9]
	s_cbranch_execz .LBB306_164
; %bb.163:                              ;   in Loop: Header=BB306_13 Depth=1
	v_and_b32_e32 v3, 7, v36
	v_ffbh_u32_e32 v4, v3
	v_min_u32_e32 v7, 32, v4
	v_subrev_u32_e32 v4, 28, v7
	v_lshlrev_b64 v[4:5], v4, v[36:37]
	v_lshrrev_b32_e32 v6, 3, v1
	v_sub_u32_e32 v5, 29, v7
	v_cmp_gt_u32_e64 s[8:9], 8, v1
	v_and_b32_e32 v4, 7, v4
	v_cndmask_b32_e64 v1, v6, v5, s[8:9]
	v_mov_b32_e32 v2, 0x2000
	v_cndmask_b32_e64 v3, v3, v4, s[8:9]
	v_lshlrev_b32_e32 v4, 8, v36
	v_lshl_add_u32 v1, v1, 10, v2
	v_and_or_b32 v1, v4, s41, v1
	v_lshl_or_b32 v1, v3, 7, v1
	v_cvt_f32_f16_e32 v56, v1
.LBB306_164:                            ;   in Loop: Header=BB306_13 Depth=1
	s_or_b64 exec, exec, s[36:37]
.LBB306_165:                            ;   in Loop: Header=BB306_13 Depth=1
	s_or_b64 exec, exec, s[34:35]
.LBB306_166:                            ;   in Loop: Header=BB306_13 Depth=1
	s_or_b64 exec, exec, s[30:31]
	v_lshrrev_b16_e32 v38, 8, v36
	v_cmp_ne_u16_e64 s[8:9], 0, v38
	s_and_saveexec_b64 s[30:31], s[8:9]
	s_cbranch_execz .LBB306_172
; %bb.167:                              ;   in Loop: Header=BB306_13 Depth=1
	v_cmp_ne_u16_e64 s[8:9], s39, v38
	v_bfrev_b32_e32 v12, 1
	s_and_saveexec_b64 s[34:35], s[8:9]
	s_cbranch_execz .LBB306_171
; %bb.168:                              ;   in Loop: Header=BB306_13 Depth=1
	v_and_b32_e32 v1, 0x7f, v38
	v_cmp_ne_u32_e64 s[8:9], s40, v1
	v_mov_b32_e32 v12, 0x7fc02000
	s_and_saveexec_b64 s[36:37], s[8:9]
	s_cbranch_execz .LBB306_170
; %bb.169:                              ;   in Loop: Header=BB306_13 Depth=1
	v_and_b32_e32 v3, 7, v38
	v_ffbh_u32_e32 v4, v3
	v_min_u32_e32 v7, 32, v4
	v_subrev_u32_e32 v4, 28, v7
	v_lshlrev_b64 v[4:5], v4, v[38:39]
	v_lshrrev_b32_e32 v6, 3, v1
	v_sub_u32_e32 v5, 29, v7
	v_cmp_gt_u32_e64 s[8:9], 8, v1
	v_and_b32_e32 v4, 7, v4
	v_cndmask_b32_e64 v1, v6, v5, s[8:9]
	v_mov_b32_e32 v2, 0x2000
	v_cndmask_b32_e64 v3, v3, v4, s[8:9]
	v_lshlrev_b32_e32 v4, 8, v38
	v_lshl_add_u32 v1, v1, 10, v2
	v_and_or_b32 v1, v4, s41, v1
	v_lshl_or_b32 v1, v3, 7, v1
	v_cvt_f32_f16_e32 v12, v1
.LBB306_170:                            ;   in Loop: Header=BB306_13 Depth=1
	s_or_b64 exec, exec, s[36:37]
.LBB306_171:                            ;   in Loop: Header=BB306_13 Depth=1
	s_or_b64 exec, exec, s[34:35]
.LBB306_172:                            ;   in Loop: Header=BB306_13 Depth=1
	s_or_b64 exec, exec, s[30:31]
	v_lshrrev_b32_e32 v38, 16, v36
	v_cmp_ne_u16_sdwa s[8:9], v38, v41 src0_sel:BYTE_0 src1_sel:DWORD
	v_mov_b32_e32 v30, 0
	v_mov_b32_e32 v37, 0
	s_and_saveexec_b64 s[30:31], s[8:9]
	s_cbranch_execz .LBB306_178
; %bb.173:                              ;   in Loop: Header=BB306_13 Depth=1
	v_cmp_ne_u16_sdwa s[8:9], v38, s39 src0_sel:BYTE_0 src1_sel:DWORD
	v_bfrev_b32_e32 v37, 1
	s_and_saveexec_b64 s[34:35], s[8:9]
	s_cbranch_execz .LBB306_177
; %bb.174:                              ;   in Loop: Header=BB306_13 Depth=1
	v_bfe_u32 v1, v36, 16, 7
	v_cmp_ne_u32_e64 s[8:9], s40, v1
	v_mov_b32_e32 v37, 0x7fc02000
	s_and_saveexec_b64 s[36:37], s[8:9]
	s_cbranch_execz .LBB306_176
; %bb.175:                              ;   in Loop: Header=BB306_13 Depth=1
	v_and_b32_e32 v3, 7, v38
	v_ffbh_u32_e32 v4, v3
	v_min_u32_e32 v7, 32, v4
	v_subrev_u32_e32 v4, 28, v7
	v_lshlrev_b64 v[4:5], v4, v[38:39]
	v_lshrrev_b32_e32 v6, 3, v1
	v_sub_u32_e32 v5, 29, v7
	v_cmp_gt_u32_e64 s[8:9], 8, v1
	v_and_b32_e32 v4, 7, v4
	v_cndmask_b32_e64 v1, v6, v5, s[8:9]
	v_mov_b32_e32 v2, 0x2000
	v_cndmask_b32_e64 v3, v3, v4, s[8:9]
	v_lshlrev_b32_e32 v4, 8, v38
	v_lshl_add_u32 v1, v1, 10, v2
	v_and_or_b32 v1, v4, s41, v1
	v_lshl_or_b32 v1, v3, 7, v1
	v_cvt_f32_f16_e32 v37, v1
.LBB306_176:                            ;   in Loop: Header=BB306_13 Depth=1
	s_or_b64 exec, exec, s[36:37]
.LBB306_177:                            ;   in Loop: Header=BB306_13 Depth=1
	s_or_b64 exec, exec, s[34:35]
.LBB306_178:                            ;   in Loop: Header=BB306_13 Depth=1
	s_or_b64 exec, exec, s[30:31]
	v_cmp_lt_u32_e64 s[8:9], s42, v36
	s_and_saveexec_b64 s[30:31], s[8:9]
	s_cbranch_execz .LBB306_184
; %bb.179:                              ;   in Loop: Header=BB306_13 Depth=1
	v_lshrrev_b32_e32 v36, 24, v36
	v_cmp_ne_u32_e64 s[8:9], s39, v36
	v_bfrev_b32_e32 v30, 1
	s_and_saveexec_b64 s[34:35], s[8:9]
	s_cbranch_execz .LBB306_183
; %bb.180:                              ;   in Loop: Header=BB306_13 Depth=1
	v_and_b32_e32 v1, 0x7f, v36
	v_cmp_ne_u32_e64 s[8:9], s40, v1
	v_mov_b32_e32 v30, 0x7fc02000
	s_and_saveexec_b64 s[36:37], s[8:9]
	s_cbranch_execz .LBB306_182
; %bb.181:                              ;   in Loop: Header=BB306_13 Depth=1
	v_and_b32_e32 v3, 7, v36
	v_ffbh_u32_e32 v4, v3
	v_min_u32_e32 v7, 32, v4
	v_subrev_u32_e32 v4, 28, v7
	v_lshlrev_b64 v[4:5], v4, v[36:37]
	v_lshrrev_b32_e32 v6, 3, v1
	v_sub_u32_e32 v5, 29, v7
	v_cmp_gt_u32_e64 s[8:9], 8, v1
	v_and_b32_e32 v4, 7, v4
	v_cndmask_b32_e64 v1, v6, v5, s[8:9]
	v_mov_b32_e32 v2, 0x2000
	v_cndmask_b32_e64 v3, v3, v4, s[8:9]
	v_lshlrev_b32_e32 v4, 8, v36
	v_lshl_add_u32 v1, v1, 10, v2
	v_and_or_b32 v1, v4, s41, v1
	v_lshl_or_b32 v1, v3, 7, v1
	v_cvt_f32_f16_e32 v30, v1
.LBB306_182:                            ;   in Loop: Header=BB306_13 Depth=1
	s_or_b64 exec, exec, s[36:37]
.LBB306_183:                            ;   in Loop: Header=BB306_13 Depth=1
	s_or_b64 exec, exec, s[34:35]
.LBB306_184:                            ;   in Loop: Header=BB306_13 Depth=1
	s_or_b64 exec, exec, s[30:31]
	flat_load_dword v36, v[34:35] offset:1544
	v_mov_b32_e32 v50, 0
	v_mov_b32_e32 v2, 0
	s_waitcnt vmcnt(0) lgkmcnt(0)
	v_cmp_ne_u16_sdwa s[8:9], v36, v41 src0_sel:BYTE_0 src1_sel:DWORD
	s_and_saveexec_b64 s[30:31], s[8:9]
	s_cbranch_execz .LBB306_190
; %bb.185:                              ;   in Loop: Header=BB306_13 Depth=1
	v_cmp_ne_u16_sdwa s[8:9], v36, s39 src0_sel:BYTE_0 src1_sel:DWORD
	v_bfrev_b32_e32 v2, 1
	s_and_saveexec_b64 s[34:35], s[8:9]
	s_cbranch_execz .LBB306_189
; %bb.186:                              ;   in Loop: Header=BB306_13 Depth=1
	v_and_b32_e32 v1, 0x7f, v36
	v_cmp_ne_u32_e64 s[8:9], s40, v1
	v_mov_b32_e32 v2, 0x7fc02000
	s_and_saveexec_b64 s[36:37], s[8:9]
	s_cbranch_execz .LBB306_188
; %bb.187:                              ;   in Loop: Header=BB306_13 Depth=1
	v_and_b32_e32 v3, 7, v36
	v_ffbh_u32_e32 v4, v3
	v_min_u32_e32 v7, 32, v4
	v_subrev_u32_e32 v4, 28, v7
	v_lshlrev_b64 v[4:5], v4, v[36:37]
	v_lshrrev_b32_e32 v6, 3, v1
	v_sub_u32_e32 v5, 29, v7
	v_cmp_gt_u32_e64 s[8:9], 8, v1
	v_and_b32_e32 v4, 7, v4
	v_cndmask_b32_e64 v1, v6, v5, s[8:9]
	v_mov_b32_e32 v2, 0x2000
	v_cndmask_b32_e64 v3, v3, v4, s[8:9]
	v_lshlrev_b32_e32 v4, 8, v36
	v_lshl_add_u32 v1, v1, 10, v2
	v_and_or_b32 v1, v4, s41, v1
	v_lshl_or_b32 v1, v3, 7, v1
	v_cvt_f32_f16_e32 v2, v1
.LBB306_188:                            ;   in Loop: Header=BB306_13 Depth=1
	s_or_b64 exec, exec, s[36:37]
.LBB306_189:                            ;   in Loop: Header=BB306_13 Depth=1
	s_or_b64 exec, exec, s[34:35]
.LBB306_190:                            ;   in Loop: Header=BB306_13 Depth=1
	s_or_b64 exec, exec, s[30:31]
	v_lshrrev_b16_e32 v38, 8, v36
	v_cmp_ne_u16_e64 s[8:9], 0, v38
	s_and_saveexec_b64 s[30:31], s[8:9]
	s_cbranch_execz .LBB306_196
; %bb.191:                              ;   in Loop: Header=BB306_13 Depth=1
	v_cmp_ne_u16_e64 s[8:9], s39, v38
	v_bfrev_b32_e32 v50, 1
	s_and_saveexec_b64 s[34:35], s[8:9]
	s_cbranch_execz .LBB306_195
; %bb.192:                              ;   in Loop: Header=BB306_13 Depth=1
	v_and_b32_e32 v1, 0x7f, v38
	v_cmp_ne_u32_e64 s[8:9], s40, v1
	v_mov_b32_e32 v50, 0x7fc02000
	s_and_saveexec_b64 s[36:37], s[8:9]
	s_cbranch_execz .LBB306_194
; %bb.193:                              ;   in Loop: Header=BB306_13 Depth=1
	v_and_b32_e32 v3, 7, v38
	v_lshrrev_b32_e32 v6, 3, v1
	v_cmp_gt_u32_e64 s[8:9], 8, v1
	v_ffbh_u32_e32 v1, v3
	v_min_u32_e32 v1, 32, v1
	v_subrev_u32_e32 v4, 28, v1
	v_lshlrev_b64 v[4:5], v4, v[38:39]
	v_sub_u32_e32 v1, 29, v1
	v_and_b32_e32 v4, 7, v4
	v_cndmask_b32_e64 v1, v6, v1, s[8:9]
	v_mov_b32_e32 v5, 0x2000
	v_cndmask_b32_e64 v3, v3, v4, s[8:9]
	v_lshlrev_b32_e32 v4, 8, v38
	v_lshl_add_u32 v1, v1, 10, v5
	v_and_or_b32 v1, v4, s41, v1
	v_lshl_or_b32 v1, v3, 7, v1
	v_cvt_f32_f16_e32 v50, v1
.LBB306_194:                            ;   in Loop: Header=BB306_13 Depth=1
	s_or_b64 exec, exec, s[36:37]
.LBB306_195:                            ;   in Loop: Header=BB306_13 Depth=1
	s_or_b64 exec, exec, s[34:35]
.LBB306_196:                            ;   in Loop: Header=BB306_13 Depth=1
	s_or_b64 exec, exec, s[30:31]
	v_lshrrev_b32_e32 v38, 16, v36
	v_cmp_ne_u16_sdwa s[8:9], v38, v41 src0_sel:BYTE_0 src1_sel:DWORD
	v_mov_b32_e32 v28, 0
	v_mov_b32_e32 v48, 0
	s_and_saveexec_b64 s[30:31], s[8:9]
	s_cbranch_execz .LBB306_202
; %bb.197:                              ;   in Loop: Header=BB306_13 Depth=1
	v_cmp_ne_u16_sdwa s[8:9], v38, s39 src0_sel:BYTE_0 src1_sel:DWORD
	v_bfrev_b32_e32 v48, 1
	s_and_saveexec_b64 s[34:35], s[8:9]
	s_cbranch_execz .LBB306_201
; %bb.198:                              ;   in Loop: Header=BB306_13 Depth=1
	v_bfe_u32 v1, v36, 16, 7
	v_cmp_ne_u32_e64 s[8:9], s40, v1
	v_mov_b32_e32 v48, 0x7fc02000
	s_and_saveexec_b64 s[36:37], s[8:9]
	s_cbranch_execz .LBB306_200
; %bb.199:                              ;   in Loop: Header=BB306_13 Depth=1
	v_and_b32_e32 v3, 7, v38
	v_ffbh_u32_e32 v4, v3
	v_min_u32_e32 v7, 32, v4
	v_subrev_u32_e32 v4, 28, v7
	v_lshlrev_b64 v[4:5], v4, v[38:39]
	v_lshrrev_b32_e32 v6, 3, v1
	v_sub_u32_e32 v5, 29, v7
	v_cmp_gt_u32_e64 s[8:9], 8, v1
	v_and_b32_e32 v4, 7, v4
	v_cndmask_b32_e64 v1, v6, v5, s[8:9]
	v_mov_b32_e32 v5, 0x2000
	v_cndmask_b32_e64 v3, v3, v4, s[8:9]
	v_lshlrev_b32_e32 v4, 8, v38
	v_lshl_add_u32 v1, v1, 10, v5
	v_and_or_b32 v1, v4, s41, v1
	v_lshl_or_b32 v1, v3, 7, v1
	v_cvt_f32_f16_e32 v48, v1
.LBB306_200:                            ;   in Loop: Header=BB306_13 Depth=1
	s_or_b64 exec, exec, s[36:37]
.LBB306_201:                            ;   in Loop: Header=BB306_13 Depth=1
	s_or_b64 exec, exec, s[34:35]
.LBB306_202:                            ;   in Loop: Header=BB306_13 Depth=1
	s_or_b64 exec, exec, s[30:31]
	v_cmp_lt_u32_e64 s[8:9], s42, v36
	s_and_saveexec_b64 s[30:31], s[8:9]
	s_cbranch_execz .LBB306_208
; %bb.203:                              ;   in Loop: Header=BB306_13 Depth=1
	v_lshrrev_b32_e32 v36, 24, v36
	v_cmp_ne_u32_e64 s[8:9], s39, v36
	v_bfrev_b32_e32 v28, 1
	s_and_saveexec_b64 s[34:35], s[8:9]
	s_cbranch_execz .LBB306_207
; %bb.204:                              ;   in Loop: Header=BB306_13 Depth=1
	v_and_b32_e32 v1, 0x7f, v36
	v_cmp_ne_u32_e64 s[8:9], s40, v1
	v_mov_b32_e32 v28, 0x7fc02000
	s_and_saveexec_b64 s[36:37], s[8:9]
	s_cbranch_execz .LBB306_206
; %bb.205:                              ;   in Loop: Header=BB306_13 Depth=1
	v_and_b32_e32 v3, 7, v36
	v_ffbh_u32_e32 v4, v3
	v_min_u32_e32 v7, 32, v4
	v_subrev_u32_e32 v4, 28, v7
	v_lshlrev_b64 v[4:5], v4, v[36:37]
	v_lshrrev_b32_e32 v6, 3, v1
	v_sub_u32_e32 v5, 29, v7
	v_cmp_gt_u32_e64 s[8:9], 8, v1
	v_and_b32_e32 v4, 7, v4
	v_cndmask_b32_e64 v1, v6, v5, s[8:9]
	v_mov_b32_e32 v5, 0x2000
	v_cndmask_b32_e64 v3, v3, v4, s[8:9]
	v_lshlrev_b32_e32 v4, 8, v36
	v_lshl_add_u32 v1, v1, 10, v5
	v_and_or_b32 v1, v4, s41, v1
	v_lshl_or_b32 v1, v3, 7, v1
	v_cvt_f32_f16_e32 v28, v1
.LBB306_206:                            ;   in Loop: Header=BB306_13 Depth=1
	s_or_b64 exec, exec, s[36:37]
.LBB306_207:                            ;   in Loop: Header=BB306_13 Depth=1
	s_or_b64 exec, exec, s[34:35]
.LBB306_208:                            ;   in Loop: Header=BB306_13 Depth=1
	s_or_b64 exec, exec, s[30:31]
	flat_load_dword v36, v[34:35] offset:2048
	v_mov_b32_e32 v61, 0
	v_mov_b32_e32 v7, 0
	s_waitcnt vmcnt(0) lgkmcnt(0)
	v_cmp_ne_u16_sdwa s[8:9], v36, v41 src0_sel:BYTE_0 src1_sel:DWORD
	s_and_saveexec_b64 s[30:31], s[8:9]
	s_cbranch_execz .LBB306_214
; %bb.209:                              ;   in Loop: Header=BB306_13 Depth=1
	v_cmp_ne_u16_sdwa s[8:9], v36, s39 src0_sel:BYTE_0 src1_sel:DWORD
	v_bfrev_b32_e32 v7, 1
	s_and_saveexec_b64 s[34:35], s[8:9]
	s_cbranch_execz .LBB306_213
; %bb.210:                              ;   in Loop: Header=BB306_13 Depth=1
	v_and_b32_e32 v1, 0x7f, v36
	v_cmp_ne_u32_e64 s[8:9], s40, v1
	v_mov_b32_e32 v7, 0x7fc02000
	s_and_saveexec_b64 s[36:37], s[8:9]
	s_cbranch_execz .LBB306_212
; %bb.211:                              ;   in Loop: Header=BB306_13 Depth=1
	v_and_b32_e32 v3, 7, v36
	v_ffbh_u32_e32 v4, v3
	v_min_u32_e32 v7, 32, v4
	v_subrev_u32_e32 v4, 28, v7
	v_lshlrev_b64 v[4:5], v4, v[36:37]
	v_lshrrev_b32_e32 v6, 3, v1
	v_sub_u32_e32 v5, 29, v7
	v_cmp_gt_u32_e64 s[8:9], 8, v1
	v_and_b32_e32 v4, 7, v4
	v_cndmask_b32_e64 v1, v6, v5, s[8:9]
	v_mov_b32_e32 v5, 0x2000
	v_cndmask_b32_e64 v3, v3, v4, s[8:9]
	v_lshlrev_b32_e32 v4, 8, v36
	v_lshl_add_u32 v1, v1, 10, v5
	v_and_or_b32 v1, v4, s41, v1
	v_lshl_or_b32 v1, v3, 7, v1
	v_cvt_f32_f16_e32 v7, v1
.LBB306_212:                            ;   in Loop: Header=BB306_13 Depth=1
	s_or_b64 exec, exec, s[36:37]
.LBB306_213:                            ;   in Loop: Header=BB306_13 Depth=1
	s_or_b64 exec, exec, s[34:35]
.LBB306_214:                            ;   in Loop: Header=BB306_13 Depth=1
	s_or_b64 exec, exec, s[30:31]
	v_lshrrev_b16_e32 v38, 8, v36
	v_cmp_ne_u16_e64 s[8:9], 0, v38
	s_and_saveexec_b64 s[30:31], s[8:9]
	s_cbranch_execz .LBB306_220
; %bb.215:                              ;   in Loop: Header=BB306_13 Depth=1
	v_cmp_ne_u16_e64 s[8:9], s39, v38
	v_bfrev_b32_e32 v61, 1
	s_and_saveexec_b64 s[34:35], s[8:9]
	s_cbranch_execz .LBB306_219
; %bb.216:                              ;   in Loop: Header=BB306_13 Depth=1
	v_and_b32_e32 v1, 0x7f, v38
	v_cmp_ne_u32_e64 s[8:9], s40, v1
	v_mov_b32_e32 v61, 0x7fc02000
	s_and_saveexec_b64 s[36:37], s[8:9]
	s_cbranch_execz .LBB306_218
; %bb.217:                              ;   in Loop: Header=BB306_13 Depth=1
	v_and_b32_e32 v3, 7, v38
	v_ffbh_u32_e32 v4, v3
	v_min_u32_e32 v8, 32, v4
	v_subrev_u32_e32 v4, 28, v8
	v_lshlrev_b64 v[4:5], v4, v[38:39]
	v_lshrrev_b32_e32 v6, 3, v1
	v_sub_u32_e32 v5, 29, v8
	v_cmp_gt_u32_e64 s[8:9], 8, v1
	v_and_b32_e32 v4, 7, v4
	v_cndmask_b32_e64 v1, v6, v5, s[8:9]
	v_mov_b32_e32 v5, 0x2000
	v_cndmask_b32_e64 v3, v3, v4, s[8:9]
	v_lshlrev_b32_e32 v4, 8, v38
	v_lshl_add_u32 v1, v1, 10, v5
	v_and_or_b32 v1, v4, s41, v1
	v_lshl_or_b32 v1, v3, 7, v1
	v_cvt_f32_f16_e32 v61, v1
.LBB306_218:                            ;   in Loop: Header=BB306_13 Depth=1
	s_or_b64 exec, exec, s[36:37]
.LBB306_219:                            ;   in Loop: Header=BB306_13 Depth=1
	s_or_b64 exec, exec, s[34:35]
.LBB306_220:                            ;   in Loop: Header=BB306_13 Depth=1
	s_or_b64 exec, exec, s[30:31]
	v_lshrrev_b32_e32 v38, 16, v36
	v_cmp_ne_u16_sdwa s[8:9], v38, v41 src0_sel:BYTE_0 src1_sel:DWORD
	v_mov_b32_e32 v8, 0
	v_mov_b32_e32 v9, 0
	s_and_saveexec_b64 s[30:31], s[8:9]
	s_cbranch_execz .LBB306_226
; %bb.221:                              ;   in Loop: Header=BB306_13 Depth=1
	v_cmp_ne_u16_sdwa s[8:9], v38, s39 src0_sel:BYTE_0 src1_sel:DWORD
	v_bfrev_b32_e32 v9, 1
	s_and_saveexec_b64 s[34:35], s[8:9]
	s_cbranch_execz .LBB306_225
; %bb.222:                              ;   in Loop: Header=BB306_13 Depth=1
	v_bfe_u32 v1, v36, 16, 7
	v_cmp_ne_u32_e64 s[8:9], s40, v1
	v_mov_b32_e32 v9, 0x7fc02000
	s_and_saveexec_b64 s[36:37], s[8:9]
	s_cbranch_execz .LBB306_224
; %bb.223:                              ;   in Loop: Header=BB306_13 Depth=1
	v_and_b32_e32 v3, 7, v38
	v_ffbh_u32_e32 v4, v3
	v_min_u32_e32 v9, 32, v4
	v_subrev_u32_e32 v4, 28, v9
	v_lshlrev_b64 v[4:5], v4, v[38:39]
	v_lshrrev_b32_e32 v6, 3, v1
	v_sub_u32_e32 v5, 29, v9
	v_cmp_gt_u32_e64 s[8:9], 8, v1
	v_and_b32_e32 v4, 7, v4
	v_cndmask_b32_e64 v1, v6, v5, s[8:9]
	v_mov_b32_e32 v5, 0x2000
	v_cndmask_b32_e64 v3, v3, v4, s[8:9]
	v_lshlrev_b32_e32 v4, 8, v38
	v_lshl_add_u32 v1, v1, 10, v5
	v_and_or_b32 v1, v4, s41, v1
	v_lshl_or_b32 v1, v3, 7, v1
	v_cvt_f32_f16_e32 v9, v1
.LBB306_224:                            ;   in Loop: Header=BB306_13 Depth=1
	s_or_b64 exec, exec, s[36:37]
.LBB306_225:                            ;   in Loop: Header=BB306_13 Depth=1
	s_or_b64 exec, exec, s[34:35]
.LBB306_226:                            ;   in Loop: Header=BB306_13 Depth=1
	s_or_b64 exec, exec, s[30:31]
	v_cmp_lt_u32_e64 s[8:9], s42, v36
	s_and_saveexec_b64 s[30:31], s[8:9]
	s_cbranch_execz .LBB306_232
; %bb.227:                              ;   in Loop: Header=BB306_13 Depth=1
	v_lshrrev_b32_e32 v36, 24, v36
	v_cmp_ne_u32_e64 s[8:9], s39, v36
	v_bfrev_b32_e32 v8, 1
	s_and_saveexec_b64 s[34:35], s[8:9]
	s_cbranch_execz .LBB306_231
; %bb.228:                              ;   in Loop: Header=BB306_13 Depth=1
	v_and_b32_e32 v1, 0x7f, v36
	v_cmp_ne_u32_e64 s[8:9], s40, v1
	v_mov_b32_e32 v8, 0x7fc02000
	s_and_saveexec_b64 s[36:37], s[8:9]
	s_cbranch_execz .LBB306_230
; %bb.229:                              ;   in Loop: Header=BB306_13 Depth=1
	v_and_b32_e32 v3, 7, v36
	v_ffbh_u32_e32 v4, v3
	v_min_u32_e32 v8, 32, v4
	v_subrev_u32_e32 v4, 28, v8
	v_lshlrev_b64 v[4:5], v4, v[36:37]
	v_lshrrev_b32_e32 v6, 3, v1
	v_sub_u32_e32 v5, 29, v8
	v_cmp_gt_u32_e64 s[8:9], 8, v1
	v_and_b32_e32 v4, 7, v4
	v_cndmask_b32_e64 v1, v6, v5, s[8:9]
	v_mov_b32_e32 v5, 0x2000
	v_cndmask_b32_e64 v3, v3, v4, s[8:9]
	v_lshlrev_b32_e32 v4, 8, v36
	v_lshl_add_u32 v1, v1, 10, v5
	v_and_or_b32 v1, v4, s41, v1
	v_lshl_or_b32 v1, v3, 7, v1
	v_cvt_f32_f16_e32 v8, v1
.LBB306_230:                            ;   in Loop: Header=BB306_13 Depth=1
	s_or_b64 exec, exec, s[36:37]
.LBB306_231:                            ;   in Loop: Header=BB306_13 Depth=1
	s_or_b64 exec, exec, s[34:35]
.LBB306_232:                            ;   in Loop: Header=BB306_13 Depth=1
	s_or_b64 exec, exec, s[30:31]
	flat_load_dword v36, v[34:35] offset:2056
	v_mov_b32_e32 v25, 0
	v_mov_b32_e32 v53, 0
	s_waitcnt vmcnt(0) lgkmcnt(0)
	v_cmp_ne_u16_sdwa s[8:9], v36, v41 src0_sel:BYTE_0 src1_sel:DWORD
	s_and_saveexec_b64 s[30:31], s[8:9]
	s_cbranch_execz .LBB306_238
; %bb.233:                              ;   in Loop: Header=BB306_13 Depth=1
	v_cmp_ne_u16_sdwa s[8:9], v36, s39 src0_sel:BYTE_0 src1_sel:DWORD
	v_bfrev_b32_e32 v53, 1
	s_and_saveexec_b64 s[34:35], s[8:9]
	s_cbranch_execz .LBB306_237
; %bb.234:                              ;   in Loop: Header=BB306_13 Depth=1
	v_and_b32_e32 v1, 0x7f, v36
	v_cmp_ne_u32_e64 s[8:9], s40, v1
	v_mov_b32_e32 v53, 0x7fc02000
	s_and_saveexec_b64 s[36:37], s[8:9]
	s_cbranch_execz .LBB306_236
; %bb.235:                              ;   in Loop: Header=BB306_13 Depth=1
	v_and_b32_e32 v3, 7, v36
	v_ffbh_u32_e32 v4, v3
	v_min_u32_e32 v11, 32, v4
	v_subrev_u32_e32 v4, 28, v11
	v_lshlrev_b64 v[4:5], v4, v[36:37]
	v_lshrrev_b32_e32 v6, 3, v1
	v_sub_u32_e32 v5, 29, v11
	v_cmp_gt_u32_e64 s[8:9], 8, v1
	v_and_b32_e32 v4, 7, v4
	v_cndmask_b32_e64 v1, v6, v5, s[8:9]
	v_mov_b32_e32 v5, 0x2000
	v_cndmask_b32_e64 v3, v3, v4, s[8:9]
	v_lshlrev_b32_e32 v4, 8, v36
	v_lshl_add_u32 v1, v1, 10, v5
	v_and_or_b32 v1, v4, s41, v1
	v_lshl_or_b32 v1, v3, 7, v1
	v_cvt_f32_f16_e32 v53, v1
.LBB306_236:                            ;   in Loop: Header=BB306_13 Depth=1
	s_or_b64 exec, exec, s[36:37]
.LBB306_237:                            ;   in Loop: Header=BB306_13 Depth=1
	s_or_b64 exec, exec, s[34:35]
.LBB306_238:                            ;   in Loop: Header=BB306_13 Depth=1
	s_or_b64 exec, exec, s[30:31]
	v_lshrrev_b16_e32 v38, 8, v36
	v_cmp_ne_u16_e64 s[8:9], 0, v38
	s_and_saveexec_b64 s[30:31], s[8:9]
	s_cbranch_execz .LBB306_244
; %bb.239:                              ;   in Loop: Header=BB306_13 Depth=1
	v_cmp_ne_u16_e64 s[8:9], s39, v38
	v_bfrev_b32_e32 v25, 1
	s_and_saveexec_b64 s[34:35], s[8:9]
	s_cbranch_execz .LBB306_243
; %bb.240:                              ;   in Loop: Header=BB306_13 Depth=1
	v_and_b32_e32 v1, 0x7f, v38
	v_cmp_ne_u32_e64 s[8:9], s40, v1
	v_mov_b32_e32 v25, 0x7fc02000
	s_and_saveexec_b64 s[36:37], s[8:9]
	s_cbranch_execz .LBB306_242
; %bb.241:                              ;   in Loop: Header=BB306_13 Depth=1
	v_and_b32_e32 v3, 7, v38
	v_ffbh_u32_e32 v4, v3
	v_min_u32_e32 v11, 32, v4
	v_subrev_u32_e32 v4, 28, v11
	v_lshlrev_b64 v[4:5], v4, v[38:39]
	v_lshrrev_b32_e32 v6, 3, v1
	v_sub_u32_e32 v5, 29, v11
	v_cmp_gt_u32_e64 s[8:9], 8, v1
	v_and_b32_e32 v4, 7, v4
	v_cndmask_b32_e64 v1, v6, v5, s[8:9]
	v_mov_b32_e32 v5, 0x2000
	v_cndmask_b32_e64 v3, v3, v4, s[8:9]
	v_lshlrev_b32_e32 v4, 8, v38
	v_lshl_add_u32 v1, v1, 10, v5
	v_and_or_b32 v1, v4, s41, v1
	v_lshl_or_b32 v1, v3, 7, v1
	v_cvt_f32_f16_e32 v25, v1
.LBB306_242:                            ;   in Loop: Header=BB306_13 Depth=1
	s_or_b64 exec, exec, s[36:37]
.LBB306_243:                            ;   in Loop: Header=BB306_13 Depth=1
	s_or_b64 exec, exec, s[34:35]
.LBB306_244:                            ;   in Loop: Header=BB306_13 Depth=1
	s_or_b64 exec, exec, s[30:31]
	v_lshrrev_b32_e32 v38, 16, v36
	v_cmp_ne_u16_sdwa s[8:9], v38, v41 src0_sel:BYTE_0 src1_sel:DWORD
	v_mov_b32_e32 v49, 0
	v_mov_b32_e32 v6, 0
	s_and_saveexec_b64 s[30:31], s[8:9]
	s_cbranch_execz .LBB306_250
; %bb.245:                              ;   in Loop: Header=BB306_13 Depth=1
	v_cmp_ne_u16_sdwa s[8:9], v38, s39 src0_sel:BYTE_0 src1_sel:DWORD
	v_bfrev_b32_e32 v6, 1
	s_and_saveexec_b64 s[34:35], s[8:9]
	s_cbranch_execz .LBB306_249
; %bb.246:                              ;   in Loop: Header=BB306_13 Depth=1
	v_bfe_u32 v1, v36, 16, 7
	v_cmp_ne_u32_e64 s[8:9], s40, v1
	v_mov_b32_e32 v6, 0x7fc02000
	s_and_saveexec_b64 s[36:37], s[8:9]
	s_cbranch_execz .LBB306_248
; %bb.247:                              ;   in Loop: Header=BB306_13 Depth=1
	v_and_b32_e32 v3, 7, v38
	v_ffbh_u32_e32 v4, v3
	v_min_u32_e32 v11, 32, v4
	v_subrev_u32_e32 v4, 28, v11
	v_lshlrev_b64 v[4:5], v4, v[38:39]
	v_lshrrev_b32_e32 v6, 3, v1
	v_sub_u32_e32 v5, 29, v11
	v_cmp_gt_u32_e64 s[8:9], 8, v1
	v_and_b32_e32 v4, 7, v4
	v_cndmask_b32_e64 v1, v6, v5, s[8:9]
	v_mov_b32_e32 v5, 0x2000
	v_cndmask_b32_e64 v3, v3, v4, s[8:9]
	v_lshlrev_b32_e32 v4, 8, v38
	v_lshl_add_u32 v1, v1, 10, v5
	v_and_or_b32 v1, v4, s41, v1
	v_lshl_or_b32 v1, v3, 7, v1
	v_cvt_f32_f16_e32 v6, v1
.LBB306_248:                            ;   in Loop: Header=BB306_13 Depth=1
	s_or_b64 exec, exec, s[36:37]
.LBB306_249:                            ;   in Loop: Header=BB306_13 Depth=1
	s_or_b64 exec, exec, s[34:35]
.LBB306_250:                            ;   in Loop: Header=BB306_13 Depth=1
	s_or_b64 exec, exec, s[30:31]
	v_cmp_lt_u32_e64 s[8:9], s42, v36
	s_and_saveexec_b64 s[30:31], s[8:9]
	s_cbranch_execz .LBB306_256
; %bb.251:                              ;   in Loop: Header=BB306_13 Depth=1
	v_lshrrev_b32_e32 v36, 24, v36
	v_cmp_ne_u32_e64 s[8:9], s39, v36
	v_bfrev_b32_e32 v49, 1
	s_and_saveexec_b64 s[34:35], s[8:9]
	s_cbranch_execz .LBB306_255
; %bb.252:                              ;   in Loop: Header=BB306_13 Depth=1
	v_and_b32_e32 v1, 0x7f, v36
	v_cmp_ne_u32_e64 s[8:9], s40, v1
	v_mov_b32_e32 v49, 0x7fc02000
	s_and_saveexec_b64 s[36:37], s[8:9]
	s_cbranch_execz .LBB306_254
; %bb.253:                              ;   in Loop: Header=BB306_13 Depth=1
	v_and_b32_e32 v3, 7, v36
	v_ffbh_u32_e32 v4, v3
	v_min_u32_e32 v16, 32, v4
	v_subrev_u32_e32 v4, 28, v16
	v_lshlrev_b64 v[4:5], v4, v[36:37]
	v_lshrrev_b32_e32 v11, 3, v1
	v_sub_u32_e32 v5, 29, v16
	v_cmp_gt_u32_e64 s[8:9], 8, v1
	v_and_b32_e32 v4, 7, v4
	v_cndmask_b32_e64 v1, v11, v5, s[8:9]
	v_mov_b32_e32 v5, 0x2000
	v_cndmask_b32_e64 v3, v3, v4, s[8:9]
	v_lshlrev_b32_e32 v4, 8, v36
	v_lshl_add_u32 v1, v1, 10, v5
	v_and_or_b32 v1, v4, s41, v1
	v_lshl_or_b32 v1, v3, 7, v1
	v_cvt_f32_f16_e32 v49, v1
.LBB306_254:                            ;   in Loop: Header=BB306_13 Depth=1
	s_or_b64 exec, exec, s[36:37]
.LBB306_255:                            ;   in Loop: Header=BB306_13 Depth=1
	s_or_b64 exec, exec, s[34:35]
.LBB306_256:                            ;   in Loop: Header=BB306_13 Depth=1
	s_or_b64 exec, exec, s[30:31]
	flat_load_dword v36, v[34:35] offset:2560
	v_mov_b32_e32 v51, 0
	v_mov_b32_e32 v24, 0
	s_waitcnt vmcnt(0) lgkmcnt(0)
	v_cmp_ne_u16_sdwa s[8:9], v36, v41 src0_sel:BYTE_0 src1_sel:DWORD
	s_and_saveexec_b64 s[30:31], s[8:9]
	s_cbranch_execz .LBB306_262
; %bb.257:                              ;   in Loop: Header=BB306_13 Depth=1
	v_cmp_ne_u16_sdwa s[8:9], v36, s39 src0_sel:BYTE_0 src1_sel:DWORD
	v_bfrev_b32_e32 v24, 1
	s_and_saveexec_b64 s[34:35], s[8:9]
	s_cbranch_execz .LBB306_261
; %bb.258:                              ;   in Loop: Header=BB306_13 Depth=1
	v_and_b32_e32 v1, 0x7f, v36
	v_cmp_ne_u32_e64 s[8:9], s40, v1
	v_mov_b32_e32 v24, 0x7fc02000
	s_and_saveexec_b64 s[36:37], s[8:9]
	s_cbranch_execz .LBB306_260
; %bb.259:                              ;   in Loop: Header=BB306_13 Depth=1
	v_and_b32_e32 v3, 7, v36
	v_ffbh_u32_e32 v4, v3
	v_min_u32_e32 v16, 32, v4
	v_subrev_u32_e32 v4, 28, v16
	v_lshlrev_b64 v[4:5], v4, v[36:37]
	v_lshrrev_b32_e32 v11, 3, v1
	v_sub_u32_e32 v5, 29, v16
	v_cmp_gt_u32_e64 s[8:9], 8, v1
	v_and_b32_e32 v4, 7, v4
	v_cndmask_b32_e64 v1, v11, v5, s[8:9]
	v_mov_b32_e32 v5, 0x2000
	v_cndmask_b32_e64 v3, v3, v4, s[8:9]
	v_lshlrev_b32_e32 v4, 8, v36
	v_lshl_add_u32 v1, v1, 10, v5
	v_and_or_b32 v1, v4, s41, v1
	v_lshl_or_b32 v1, v3, 7, v1
	v_cvt_f32_f16_e32 v24, v1
.LBB306_260:                            ;   in Loop: Header=BB306_13 Depth=1
	s_or_b64 exec, exec, s[36:37]
.LBB306_261:                            ;   in Loop: Header=BB306_13 Depth=1
	s_or_b64 exec, exec, s[34:35]
.LBB306_262:                            ;   in Loop: Header=BB306_13 Depth=1
	s_or_b64 exec, exec, s[30:31]
	v_lshrrev_b16_e32 v38, 8, v36
	v_cmp_ne_u16_e64 s[8:9], 0, v38
	s_and_saveexec_b64 s[30:31], s[8:9]
	s_cbranch_execz .LBB306_268
; %bb.263:                              ;   in Loop: Header=BB306_13 Depth=1
	v_cmp_ne_u16_e64 s[8:9], s39, v38
	v_bfrev_b32_e32 v51, 1
	s_and_saveexec_b64 s[34:35], s[8:9]
	s_cbranch_execz .LBB306_267
; %bb.264:                              ;   in Loop: Header=BB306_13 Depth=1
	v_and_b32_e32 v1, 0x7f, v38
	v_cmp_ne_u32_e64 s[8:9], s40, v1
	v_mov_b32_e32 v51, 0x7fc02000
	s_and_saveexec_b64 s[36:37], s[8:9]
	s_cbranch_execz .LBB306_266
; %bb.265:                              ;   in Loop: Header=BB306_13 Depth=1
	v_and_b32_e32 v3, 7, v38
	v_ffbh_u32_e32 v4, v3
	v_min_u32_e32 v16, 32, v4
	v_subrev_u32_e32 v4, 28, v16
	v_lshlrev_b64 v[4:5], v4, v[38:39]
	v_lshrrev_b32_e32 v11, 3, v1
	v_sub_u32_e32 v5, 29, v16
	v_cmp_gt_u32_e64 s[8:9], 8, v1
	v_and_b32_e32 v4, 7, v4
	v_cndmask_b32_e64 v1, v11, v5, s[8:9]
	v_mov_b32_e32 v5, 0x2000
	v_cndmask_b32_e64 v3, v3, v4, s[8:9]
	v_lshlrev_b32_e32 v4, 8, v38
	v_lshl_add_u32 v1, v1, 10, v5
	v_and_or_b32 v1, v4, s41, v1
	v_lshl_or_b32 v1, v3, 7, v1
	v_cvt_f32_f16_e32 v51, v1
.LBB306_266:                            ;   in Loop: Header=BB306_13 Depth=1
	s_or_b64 exec, exec, s[36:37]
.LBB306_267:                            ;   in Loop: Header=BB306_13 Depth=1
	s_or_b64 exec, exec, s[34:35]
.LBB306_268:                            ;   in Loop: Header=BB306_13 Depth=1
	s_or_b64 exec, exec, s[30:31]
	v_lshrrev_b32_e32 v38, 16, v36
	v_cmp_ne_u16_sdwa s[8:9], v38, v41 src0_sel:BYTE_0 src1_sel:DWORD
	v_mov_b32_e32 v58, 0
	v_mov_b32_e32 v62, 0
	s_and_saveexec_b64 s[30:31], s[8:9]
	s_cbranch_execz .LBB306_274
; %bb.269:                              ;   in Loop: Header=BB306_13 Depth=1
	v_cmp_ne_u16_sdwa s[8:9], v38, s39 src0_sel:BYTE_0 src1_sel:DWORD
	v_bfrev_b32_e32 v62, 1
	s_and_saveexec_b64 s[34:35], s[8:9]
	s_cbranch_execz .LBB306_273
; %bb.270:                              ;   in Loop: Header=BB306_13 Depth=1
	v_bfe_u32 v1, v36, 16, 7
	v_cmp_ne_u32_e64 s[8:9], s40, v1
	v_mov_b32_e32 v62, 0x7fc02000
	s_and_saveexec_b64 s[36:37], s[8:9]
	s_cbranch_execz .LBB306_272
; %bb.271:                              ;   in Loop: Header=BB306_13 Depth=1
	v_and_b32_e32 v3, 7, v38
	v_ffbh_u32_e32 v4, v3
	v_min_u32_e32 v16, 32, v4
	v_subrev_u32_e32 v4, 28, v16
	v_lshlrev_b64 v[4:5], v4, v[38:39]
	v_lshrrev_b32_e32 v11, 3, v1
	v_sub_u32_e32 v5, 29, v16
	v_cmp_gt_u32_e64 s[8:9], 8, v1
	v_and_b32_e32 v4, 7, v4
	v_cndmask_b32_e64 v1, v11, v5, s[8:9]
	v_mov_b32_e32 v5, 0x2000
	v_cndmask_b32_e64 v3, v3, v4, s[8:9]
	v_lshlrev_b32_e32 v4, 8, v38
	v_lshl_add_u32 v1, v1, 10, v5
	v_and_or_b32 v1, v4, s41, v1
	v_lshl_or_b32 v1, v3, 7, v1
	v_cvt_f32_f16_e32 v62, v1
.LBB306_272:                            ;   in Loop: Header=BB306_13 Depth=1
	s_or_b64 exec, exec, s[36:37]
.LBB306_273:                            ;   in Loop: Header=BB306_13 Depth=1
	s_or_b64 exec, exec, s[34:35]
.LBB306_274:                            ;   in Loop: Header=BB306_13 Depth=1
	s_or_b64 exec, exec, s[30:31]
	v_cmp_lt_u32_e64 s[8:9], s42, v36
	s_and_saveexec_b64 s[30:31], s[8:9]
	s_cbranch_execz .LBB306_280
; %bb.275:                              ;   in Loop: Header=BB306_13 Depth=1
	v_lshrrev_b32_e32 v36, 24, v36
	v_cmp_ne_u32_e64 s[8:9], s39, v36
	v_bfrev_b32_e32 v58, 1
	s_and_saveexec_b64 s[34:35], s[8:9]
	s_cbranch_execz .LBB306_279
; %bb.276:                              ;   in Loop: Header=BB306_13 Depth=1
	v_and_b32_e32 v1, 0x7f, v36
	v_cmp_ne_u32_e64 s[8:9], s40, v1
	v_mov_b32_e32 v58, 0x7fc02000
	s_and_saveexec_b64 s[36:37], s[8:9]
	s_cbranch_execz .LBB306_278
; %bb.277:                              ;   in Loop: Header=BB306_13 Depth=1
	v_and_b32_e32 v3, 7, v36
	v_ffbh_u32_e32 v4, v3
	v_min_u32_e32 v16, 32, v4
	v_subrev_u32_e32 v4, 28, v16
	v_lshlrev_b64 v[4:5], v4, v[36:37]
	v_lshrrev_b32_e32 v11, 3, v1
	v_sub_u32_e32 v5, 29, v16
	v_cmp_gt_u32_e64 s[8:9], 8, v1
	v_and_b32_e32 v4, 7, v4
	v_cndmask_b32_e64 v1, v11, v5, s[8:9]
	v_mov_b32_e32 v5, 0x2000
	v_cndmask_b32_e64 v3, v3, v4, s[8:9]
	v_lshlrev_b32_e32 v4, 8, v36
	v_lshl_add_u32 v1, v1, 10, v5
	v_and_or_b32 v1, v4, s41, v1
	v_lshl_or_b32 v1, v3, 7, v1
	v_cvt_f32_f16_e32 v58, v1
.LBB306_278:                            ;   in Loop: Header=BB306_13 Depth=1
	s_or_b64 exec, exec, s[36:37]
.LBB306_279:                            ;   in Loop: Header=BB306_13 Depth=1
	s_or_b64 exec, exec, s[34:35]
.LBB306_280:                            ;   in Loop: Header=BB306_13 Depth=1
	s_or_b64 exec, exec, s[30:31]
	flat_load_dword v36, v[34:35] offset:2568
	v_mov_b32_e32 v57, 0
	v_mov_b32_e32 v31, 0
	s_waitcnt vmcnt(0) lgkmcnt(0)
	v_cmp_ne_u16_sdwa s[8:9], v36, v41 src0_sel:BYTE_0 src1_sel:DWORD
	s_and_saveexec_b64 s[30:31], s[8:9]
	s_cbranch_execz .LBB306_286
; %bb.281:                              ;   in Loop: Header=BB306_13 Depth=1
	v_cmp_ne_u16_sdwa s[8:9], v36, s39 src0_sel:BYTE_0 src1_sel:DWORD
	v_bfrev_b32_e32 v31, 1
	s_and_saveexec_b64 s[34:35], s[8:9]
	s_cbranch_execz .LBB306_285
; %bb.282:                              ;   in Loop: Header=BB306_13 Depth=1
	v_and_b32_e32 v1, 0x7f, v36
	v_cmp_ne_u32_e64 s[8:9], s40, v1
	v_mov_b32_e32 v31, 0x7fc02000
	s_and_saveexec_b64 s[36:37], s[8:9]
	s_cbranch_execz .LBB306_284
; %bb.283:                              ;   in Loop: Header=BB306_13 Depth=1
	v_and_b32_e32 v3, 7, v36
	v_ffbh_u32_e32 v4, v3
	v_min_u32_e32 v16, 32, v4
	v_subrev_u32_e32 v4, 28, v16
	v_lshlrev_b64 v[4:5], v4, v[36:37]
	v_lshrrev_b32_e32 v11, 3, v1
	v_sub_u32_e32 v5, 29, v16
	v_cmp_gt_u32_e64 s[8:9], 8, v1
	v_and_b32_e32 v4, 7, v4
	v_cndmask_b32_e64 v1, v11, v5, s[8:9]
	v_mov_b32_e32 v5, 0x2000
	v_cndmask_b32_e64 v3, v3, v4, s[8:9]
	v_lshlrev_b32_e32 v4, 8, v36
	v_lshl_add_u32 v1, v1, 10, v5
	v_and_or_b32 v1, v4, s41, v1
	v_lshl_or_b32 v1, v3, 7, v1
	v_cvt_f32_f16_e32 v31, v1
.LBB306_284:                            ;   in Loop: Header=BB306_13 Depth=1
	s_or_b64 exec, exec, s[36:37]
.LBB306_285:                            ;   in Loop: Header=BB306_13 Depth=1
	s_or_b64 exec, exec, s[34:35]
.LBB306_286:                            ;   in Loop: Header=BB306_13 Depth=1
	s_or_b64 exec, exec, s[30:31]
	v_lshrrev_b16_e32 v38, 8, v36
	v_cmp_ne_u16_e64 s[8:9], 0, v38
	s_and_saveexec_b64 s[30:31], s[8:9]
	s_cbranch_execz .LBB306_292
; %bb.287:                              ;   in Loop: Header=BB306_13 Depth=1
	v_cmp_ne_u16_e64 s[8:9], s39, v38
	v_bfrev_b32_e32 v57, 1
	s_and_saveexec_b64 s[34:35], s[8:9]
	s_cbranch_execz .LBB306_291
; %bb.288:                              ;   in Loop: Header=BB306_13 Depth=1
	v_and_b32_e32 v1, 0x7f, v38
	v_cmp_ne_u32_e64 s[8:9], s40, v1
	v_mov_b32_e32 v57, 0x7fc02000
	s_and_saveexec_b64 s[36:37], s[8:9]
	s_cbranch_execz .LBB306_290
; %bb.289:                              ;   in Loop: Header=BB306_13 Depth=1
	v_and_b32_e32 v3, 7, v38
	v_ffbh_u32_e32 v4, v3
	v_min_u32_e32 v16, 32, v4
	v_subrev_u32_e32 v4, 28, v16
	v_lshlrev_b64 v[4:5], v4, v[38:39]
	v_lshrrev_b32_e32 v11, 3, v1
	v_sub_u32_e32 v5, 29, v16
	v_cmp_gt_u32_e64 s[8:9], 8, v1
	v_and_b32_e32 v4, 7, v4
	v_cndmask_b32_e64 v1, v11, v5, s[8:9]
	v_mov_b32_e32 v5, 0x2000
	v_cndmask_b32_e64 v3, v3, v4, s[8:9]
	v_lshlrev_b32_e32 v4, 8, v38
	v_lshl_add_u32 v1, v1, 10, v5
	v_and_or_b32 v1, v4, s41, v1
	v_lshl_or_b32 v1, v3, 7, v1
	v_cvt_f32_f16_e32 v57, v1
.LBB306_290:                            ;   in Loop: Header=BB306_13 Depth=1
	s_or_b64 exec, exec, s[36:37]
.LBB306_291:                            ;   in Loop: Header=BB306_13 Depth=1
	s_or_b64 exec, exec, s[34:35]
.LBB306_292:                            ;   in Loop: Header=BB306_13 Depth=1
	s_or_b64 exec, exec, s[30:31]
	v_lshrrev_b32_e32 v38, 16, v36
	v_cmp_ne_u16_sdwa s[8:9], v38, v41 src0_sel:BYTE_0 src1_sel:DWORD
	v_mov_b32_e32 v21, 0
	v_mov_b32_e32 v29, 0
	s_and_saveexec_b64 s[30:31], s[8:9]
	s_cbranch_execz .LBB306_298
; %bb.293:                              ;   in Loop: Header=BB306_13 Depth=1
	v_cmp_ne_u16_sdwa s[8:9], v38, s39 src0_sel:BYTE_0 src1_sel:DWORD
	v_bfrev_b32_e32 v29, 1
	s_and_saveexec_b64 s[34:35], s[8:9]
	s_cbranch_execz .LBB306_297
; %bb.294:                              ;   in Loop: Header=BB306_13 Depth=1
	v_bfe_u32 v1, v36, 16, 7
	v_cmp_ne_u32_e64 s[8:9], s40, v1
	v_mov_b32_e32 v29, 0x7fc02000
	s_and_saveexec_b64 s[36:37], s[8:9]
	s_cbranch_execz .LBB306_296
; %bb.295:                              ;   in Loop: Header=BB306_13 Depth=1
	v_and_b32_e32 v3, 7, v38
	v_ffbh_u32_e32 v4, v3
	v_min_u32_e32 v16, 32, v4
	v_subrev_u32_e32 v4, 28, v16
	v_lshlrev_b64 v[4:5], v4, v[38:39]
	v_lshrrev_b32_e32 v11, 3, v1
	v_sub_u32_e32 v5, 29, v16
	v_cmp_gt_u32_e64 s[8:9], 8, v1
	v_and_b32_e32 v4, 7, v4
	v_cndmask_b32_e64 v1, v11, v5, s[8:9]
	v_mov_b32_e32 v5, 0x2000
	v_cndmask_b32_e64 v3, v3, v4, s[8:9]
	v_lshlrev_b32_e32 v4, 8, v38
	v_lshl_add_u32 v1, v1, 10, v5
	v_and_or_b32 v1, v4, s41, v1
	v_lshl_or_b32 v1, v3, 7, v1
	v_cvt_f32_f16_e32 v29, v1
.LBB306_296:                            ;   in Loop: Header=BB306_13 Depth=1
	s_or_b64 exec, exec, s[36:37]
.LBB306_297:                            ;   in Loop: Header=BB306_13 Depth=1
	s_or_b64 exec, exec, s[34:35]
.LBB306_298:                            ;   in Loop: Header=BB306_13 Depth=1
	s_or_b64 exec, exec, s[30:31]
	v_cmp_lt_u32_e64 s[8:9], s42, v36
	s_and_saveexec_b64 s[30:31], s[8:9]
	s_cbranch_execz .LBB306_304
; %bb.299:                              ;   in Loop: Header=BB306_13 Depth=1
	v_lshrrev_b32_e32 v36, 24, v36
	v_cmp_ne_u32_e64 s[8:9], s39, v36
	v_bfrev_b32_e32 v21, 1
	s_and_saveexec_b64 s[34:35], s[8:9]
	s_cbranch_execz .LBB306_303
; %bb.300:                              ;   in Loop: Header=BB306_13 Depth=1
	v_and_b32_e32 v1, 0x7f, v36
	v_cmp_ne_u32_e64 s[8:9], s40, v1
	v_mov_b32_e32 v21, 0x7fc02000
	s_and_saveexec_b64 s[36:37], s[8:9]
	s_cbranch_execz .LBB306_302
; %bb.301:                              ;   in Loop: Header=BB306_13 Depth=1
	v_and_b32_e32 v3, 7, v36
	v_ffbh_u32_e32 v4, v3
	v_min_u32_e32 v16, 32, v4
	v_subrev_u32_e32 v4, 28, v16
	v_lshlrev_b64 v[4:5], v4, v[36:37]
	v_lshrrev_b32_e32 v11, 3, v1
	v_sub_u32_e32 v5, 29, v16
	v_cmp_gt_u32_e64 s[8:9], 8, v1
	v_and_b32_e32 v4, 7, v4
	v_cndmask_b32_e64 v1, v11, v5, s[8:9]
	v_mov_b32_e32 v5, 0x2000
	v_cndmask_b32_e64 v3, v3, v4, s[8:9]
	v_lshlrev_b32_e32 v4, 8, v36
	v_lshl_add_u32 v1, v1, 10, v5
	v_and_or_b32 v1, v4, s41, v1
	v_lshl_or_b32 v1, v3, 7, v1
	v_cvt_f32_f16_e32 v21, v1
.LBB306_302:                            ;   in Loop: Header=BB306_13 Depth=1
	s_or_b64 exec, exec, s[36:37]
.LBB306_303:                            ;   in Loop: Header=BB306_13 Depth=1
	s_or_b64 exec, exec, s[34:35]
.LBB306_304:                            ;   in Loop: Header=BB306_13 Depth=1
	s_or_b64 exec, exec, s[30:31]
	flat_load_dword v36, v[34:35] offset:3072
	v_mov_b32_e32 v4, 0
	v_mov_b32_e32 v5, 0
	s_waitcnt vmcnt(0) lgkmcnt(0)
	v_cmp_ne_u16_sdwa s[8:9], v36, v41 src0_sel:BYTE_0 src1_sel:DWORD
	s_and_saveexec_b64 s[30:31], s[8:9]
	s_cbranch_execz .LBB306_310
; %bb.305:                              ;   in Loop: Header=BB306_13 Depth=1
	v_cmp_ne_u16_sdwa s[8:9], v36, s39 src0_sel:BYTE_0 src1_sel:DWORD
	v_bfrev_b32_e32 v5, 1
	s_and_saveexec_b64 s[34:35], s[8:9]
	s_cbranch_execz .LBB306_309
; %bb.306:                              ;   in Loop: Header=BB306_13 Depth=1
	v_and_b32_e32 v1, 0x7f, v36
	v_cmp_ne_u32_e64 s[8:9], s40, v1
	v_mov_b32_e32 v5, 0x7fc02000
	s_and_saveexec_b64 s[36:37], s[8:9]
	s_cbranch_execz .LBB306_308
; %bb.307:                              ;   in Loop: Header=BB306_13 Depth=1
	v_and_b32_e32 v3, 7, v36
	v_ffbh_u32_e32 v11, v3
	v_min_u32_e32 v11, 32, v11
	v_lshrrev_b32_e32 v5, 3, v1
	v_subrev_u32_e32 v16, 28, v11
	v_sub_u32_e32 v11, 29, v11
	v_cmp_gt_u32_e64 s[8:9], 8, v1
	v_lshlrev_b64 v[16:17], v16, v[36:37]
	v_cndmask_b32_e64 v1, v5, v11, s[8:9]
	v_mov_b32_e32 v11, 0x2000
	v_and_b32_e32 v16, 7, v16
	v_lshlrev_b32_e32 v5, 8, v36
	v_lshl_add_u32 v1, v1, 10, v11
	v_cndmask_b32_e64 v3, v3, v16, s[8:9]
	v_and_or_b32 v1, v5, s41, v1
	v_lshl_or_b32 v1, v3, 7, v1
	v_cvt_f32_f16_e32 v5, v1
.LBB306_308:                            ;   in Loop: Header=BB306_13 Depth=1
	s_or_b64 exec, exec, s[36:37]
.LBB306_309:                            ;   in Loop: Header=BB306_13 Depth=1
	s_or_b64 exec, exec, s[34:35]
.LBB306_310:                            ;   in Loop: Header=BB306_13 Depth=1
	s_or_b64 exec, exec, s[30:31]
	v_lshrrev_b16_e32 v38, 8, v36
	v_cmp_ne_u16_e64 s[8:9], 0, v38
	s_and_saveexec_b64 s[30:31], s[8:9]
	s_cbranch_execz .LBB306_316
; %bb.311:                              ;   in Loop: Header=BB306_13 Depth=1
	v_cmp_ne_u16_e64 s[8:9], s39, v38
	v_bfrev_b32_e32 v4, 1
	s_and_saveexec_b64 s[34:35], s[8:9]
	s_cbranch_execz .LBB306_315
; %bb.312:                              ;   in Loop: Header=BB306_13 Depth=1
	v_and_b32_e32 v1, 0x7f, v38
	v_cmp_ne_u32_e64 s[8:9], s40, v1
	v_mov_b32_e32 v4, 0x7fc02000
	s_and_saveexec_b64 s[36:37], s[8:9]
	s_cbranch_execz .LBB306_314
; %bb.313:                              ;   in Loop: Header=BB306_13 Depth=1
	v_and_b32_e32 v3, 7, v38
	v_ffbh_u32_e32 v11, v3
	v_min_u32_e32 v11, 32, v11
	v_lshrrev_b32_e32 v4, 3, v1
	v_subrev_u32_e32 v16, 28, v11
	v_sub_u32_e32 v11, 29, v11
	v_cmp_gt_u32_e64 s[8:9], 8, v1
	v_lshlrev_b64 v[16:17], v16, v[38:39]
	v_cndmask_b32_e64 v1, v4, v11, s[8:9]
	v_mov_b32_e32 v11, 0x2000
	v_and_b32_e32 v16, 7, v16
	v_lshlrev_b32_e32 v4, 8, v38
	v_lshl_add_u32 v1, v1, 10, v11
	v_cndmask_b32_e64 v3, v3, v16, s[8:9]
	v_and_or_b32 v1, v4, s41, v1
	v_lshl_or_b32 v1, v3, 7, v1
	v_cvt_f32_f16_e32 v4, v1
.LBB306_314:                            ;   in Loop: Header=BB306_13 Depth=1
	s_or_b64 exec, exec, s[36:37]
.LBB306_315:                            ;   in Loop: Header=BB306_13 Depth=1
	s_or_b64 exec, exec, s[34:35]
.LBB306_316:                            ;   in Loop: Header=BB306_13 Depth=1
	s_or_b64 exec, exec, s[30:31]
	v_lshrrev_b32_e32 v38, 16, v36
	v_cmp_ne_u16_sdwa s[8:9], v38, v41 src0_sel:BYTE_0 src1_sel:DWORD
	v_mov_b32_e32 v11, 0
	v_mov_b32_e32 v26, 0
	s_and_saveexec_b64 s[30:31], s[8:9]
	s_cbranch_execz .LBB306_322
; %bb.317:                              ;   in Loop: Header=BB306_13 Depth=1
	v_cmp_ne_u16_sdwa s[8:9], v38, s39 src0_sel:BYTE_0 src1_sel:DWORD
	v_bfrev_b32_e32 v26, 1
	s_and_saveexec_b64 s[34:35], s[8:9]
	s_cbranch_execz .LBB306_321
; %bb.318:                              ;   in Loop: Header=BB306_13 Depth=1
	v_bfe_u32 v1, v36, 16, 7
	v_cmp_ne_u32_e64 s[8:9], s40, v1
	v_mov_b32_e32 v26, 0x7fc02000
	s_and_saveexec_b64 s[36:37], s[8:9]
	s_cbranch_execz .LBB306_320
; %bb.319:                              ;   in Loop: Header=BB306_13 Depth=1
	v_and_b32_e32 v3, 7, v38
	v_ffbh_u32_e32 v16, v3
	v_min_u32_e32 v19, 32, v16
	v_subrev_u32_e32 v16, 28, v19
	v_lshlrev_b64 v[16:17], v16, v[38:39]
	v_lshrrev_b32_e32 v18, 3, v1
	v_sub_u32_e32 v17, 29, v19
	v_cmp_gt_u32_e64 s[8:9], 8, v1
	v_and_b32_e32 v16, 7, v16
	v_cndmask_b32_e64 v1, v18, v17, s[8:9]
	v_mov_b32_e32 v13, 0x2000
	v_cndmask_b32_e64 v3, v3, v16, s[8:9]
	v_lshlrev_b32_e32 v16, 8, v38
	v_lshl_add_u32 v1, v1, 10, v13
	v_and_or_b32 v1, v16, s41, v1
	v_lshl_or_b32 v1, v3, 7, v1
	v_cvt_f32_f16_e32 v26, v1
.LBB306_320:                            ;   in Loop: Header=BB306_13 Depth=1
	s_or_b64 exec, exec, s[36:37]
.LBB306_321:                            ;   in Loop: Header=BB306_13 Depth=1
	s_or_b64 exec, exec, s[34:35]
.LBB306_322:                            ;   in Loop: Header=BB306_13 Depth=1
	s_or_b64 exec, exec, s[30:31]
	v_cmp_lt_u32_e64 s[8:9], s42, v36
	s_and_saveexec_b64 s[30:31], s[8:9]
	s_cbranch_execz .LBB306_328
; %bb.323:                              ;   in Loop: Header=BB306_13 Depth=1
	v_lshrrev_b32_e32 v36, 24, v36
	v_cmp_ne_u32_e64 s[8:9], s39, v36
	v_bfrev_b32_e32 v11, 1
	s_and_saveexec_b64 s[34:35], s[8:9]
	s_cbranch_execz .LBB306_327
; %bb.324:                              ;   in Loop: Header=BB306_13 Depth=1
	v_and_b32_e32 v1, 0x7f, v36
	v_cmp_ne_u32_e64 s[8:9], s40, v1
	v_mov_b32_e32 v11, 0x7fc02000
	s_and_saveexec_b64 s[36:37], s[8:9]
	s_cbranch_execz .LBB306_326
; %bb.325:                              ;   in Loop: Header=BB306_13 Depth=1
	v_and_b32_e32 v3, 7, v36
	v_ffbh_u32_e32 v16, v3
	v_min_u32_e32 v18, 32, v16
	v_subrev_u32_e32 v16, 28, v18
	v_lshlrev_b64 v[16:17], v16, v[36:37]
	v_lshrrev_b32_e32 v11, 3, v1
	v_sub_u32_e32 v17, 29, v18
	v_cmp_gt_u32_e64 s[8:9], 8, v1
	v_cndmask_b32_e64 v1, v11, v17, s[8:9]
	v_mov_b32_e32 v13, 0x2000
	v_and_b32_e32 v16, 7, v16
	v_lshlrev_b32_e32 v11, 8, v36
	v_lshl_add_u32 v1, v1, 10, v13
	v_cndmask_b32_e64 v3, v3, v16, s[8:9]
	v_and_or_b32 v1, v11, s41, v1
	v_lshl_or_b32 v1, v3, 7, v1
	v_cvt_f32_f16_e32 v11, v1
.LBB306_326:                            ;   in Loop: Header=BB306_13 Depth=1
	s_or_b64 exec, exec, s[36:37]
.LBB306_327:                            ;   in Loop: Header=BB306_13 Depth=1
	s_or_b64 exec, exec, s[34:35]
.LBB306_328:                            ;   in Loop: Header=BB306_13 Depth=1
	s_or_b64 exec, exec, s[30:31]
	flat_load_dword v36, v[34:35] offset:3080
	v_mov_b32_e32 v17, 0
	v_mov_b32_e32 v20, 0
	s_waitcnt vmcnt(0) lgkmcnt(0)
	v_cmp_ne_u16_sdwa s[8:9], v36, v41 src0_sel:BYTE_0 src1_sel:DWORD
	s_and_saveexec_b64 s[30:31], s[8:9]
	s_cbranch_execz .LBB306_334
; %bb.329:                              ;   in Loop: Header=BB306_13 Depth=1
	v_cmp_ne_u16_sdwa s[8:9], v36, s39 src0_sel:BYTE_0 src1_sel:DWORD
	v_bfrev_b32_e32 v20, 1
	s_and_saveexec_b64 s[34:35], s[8:9]
	s_cbranch_execz .LBB306_333
; %bb.330:                              ;   in Loop: Header=BB306_13 Depth=1
	v_and_b32_e32 v1, 0x7f, v36
	v_cmp_ne_u32_e64 s[8:9], s40, v1
	v_mov_b32_e32 v20, 0x7fc02000
	s_and_saveexec_b64 s[36:37], s[8:9]
	s_cbranch_execz .LBB306_332
; %bb.331:                              ;   in Loop: Header=BB306_13 Depth=1
	v_and_b32_e32 v3, 7, v36
	v_ffbh_u32_e32 v18, v3
	v_min_u32_e32 v20, 32, v18
	v_subrev_u32_e32 v18, 28, v20
	v_lshlrev_b64 v[18:19], v18, v[36:37]
	v_lshrrev_b32_e32 v16, 3, v1
	v_sub_u32_e32 v19, 29, v20
	v_cmp_gt_u32_e64 s[8:9], 8, v1
	v_cndmask_b32_e64 v1, v16, v19, s[8:9]
	v_mov_b32_e32 v13, 0x2000
	v_and_b32_e32 v18, 7, v18
	v_lshlrev_b32_e32 v16, 8, v36
	v_lshl_add_u32 v1, v1, 10, v13
	v_cndmask_b32_e64 v3, v3, v18, s[8:9]
	v_and_or_b32 v1, v16, s41, v1
	v_lshl_or_b32 v1, v3, 7, v1
	v_cvt_f32_f16_e32 v20, v1
.LBB306_332:                            ;   in Loop: Header=BB306_13 Depth=1
	s_or_b64 exec, exec, s[36:37]
.LBB306_333:                            ;   in Loop: Header=BB306_13 Depth=1
	s_or_b64 exec, exec, s[34:35]
.LBB306_334:                            ;   in Loop: Header=BB306_13 Depth=1
	s_or_b64 exec, exec, s[30:31]
	v_lshrrev_b16_e32 v38, 8, v36
	v_cmp_ne_u16_e64 s[8:9], 0, v38
	s_and_saveexec_b64 s[30:31], s[8:9]
	s_cbranch_execz .LBB306_340
; %bb.335:                              ;   in Loop: Header=BB306_13 Depth=1
	v_cmp_ne_u16_e64 s[8:9], s39, v38
	v_bfrev_b32_e32 v17, 1
	s_and_saveexec_b64 s[34:35], s[8:9]
	s_cbranch_execz .LBB306_339
; %bb.336:                              ;   in Loop: Header=BB306_13 Depth=1
	v_and_b32_e32 v1, 0x7f, v38
	v_cmp_ne_u32_e64 s[8:9], s40, v1
	v_mov_b32_e32 v17, 0x7fc02000
	s_and_saveexec_b64 s[36:37], s[8:9]
	s_cbranch_execz .LBB306_338
; %bb.337:                              ;   in Loop: Header=BB306_13 Depth=1
	v_and_b32_e32 v3, 7, v38
	v_ffbh_u32_e32 v16, v3
	v_min_u32_e32 v19, 32, v16
	v_subrev_u32_e32 v16, 28, v19
	v_lshlrev_b64 v[16:17], v16, v[38:39]
	v_lshrrev_b32_e32 v18, 3, v1
	v_sub_u32_e32 v17, 29, v19
	v_cmp_gt_u32_e64 s[8:9], 8, v1
	v_and_b32_e32 v16, 7, v16
	v_cndmask_b32_e64 v1, v18, v17, s[8:9]
	v_mov_b32_e32 v13, 0x2000
	v_cndmask_b32_e64 v3, v3, v16, s[8:9]
	v_lshlrev_b32_e32 v16, 8, v38
	v_lshl_add_u32 v1, v1, 10, v13
	v_and_or_b32 v1, v16, s41, v1
	v_lshl_or_b32 v1, v3, 7, v1
	v_cvt_f32_f16_e32 v17, v1
.LBB306_338:                            ;   in Loop: Header=BB306_13 Depth=1
	s_or_b64 exec, exec, s[36:37]
.LBB306_339:                            ;   in Loop: Header=BB306_13 Depth=1
	s_or_b64 exec, exec, s[34:35]
.LBB306_340:                            ;   in Loop: Header=BB306_13 Depth=1
	s_or_b64 exec, exec, s[30:31]
	v_lshrrev_b32_e32 v38, 16, v36
	v_cmp_ne_u16_sdwa s[8:9], v38, v41 src0_sel:BYTE_0 src1_sel:DWORD
	v_mov_b32_e32 v18, 0
	v_mov_b32_e32 v19, 0
	s_and_saveexec_b64 s[30:31], s[8:9]
	s_cbranch_execz .LBB306_346
; %bb.341:                              ;   in Loop: Header=BB306_13 Depth=1
	v_cmp_ne_u16_sdwa s[8:9], v38, s39 src0_sel:BYTE_0 src1_sel:DWORD
	v_bfrev_b32_e32 v19, 1
	s_and_saveexec_b64 s[34:35], s[8:9]
	s_cbranch_execz .LBB306_345
; %bb.342:                              ;   in Loop: Header=BB306_13 Depth=1
	v_bfe_u32 v1, v36, 16, 7
	v_cmp_ne_u32_e64 s[8:9], s40, v1
	v_mov_b32_e32 v19, 0x7fc02000
	s_and_saveexec_b64 s[36:37], s[8:9]
	s_cbranch_execz .LBB306_344
; %bb.343:                              ;   in Loop: Header=BB306_13 Depth=1
	v_and_b32_e32 v3, 7, v38
	v_ffbh_u32_e32 v19, v3
	v_min_u32_e32 v19, 32, v19
	v_lshrrev_b32_e32 v16, 3, v1
	v_subrev_u32_e32 v22, 28, v19
	v_sub_u32_e32 v19, 29, v19
	v_cmp_gt_u32_e64 s[8:9], 8, v1
	v_lshlrev_b64 v[42:43], v22, v[38:39]
	v_cndmask_b32_e64 v1, v16, v19, s[8:9]
	v_mov_b32_e32 v13, 0x2000
	v_and_b32_e32 v22, 7, v42
	v_lshlrev_b32_e32 v16, 8, v38
	v_lshl_add_u32 v1, v1, 10, v13
	v_cndmask_b32_e64 v3, v3, v22, s[8:9]
	v_and_or_b32 v1, v16, s41, v1
	v_lshl_or_b32 v1, v3, 7, v1
	v_cvt_f32_f16_e32 v19, v1
.LBB306_344:                            ;   in Loop: Header=BB306_13 Depth=1
	s_or_b64 exec, exec, s[36:37]
.LBB306_345:                            ;   in Loop: Header=BB306_13 Depth=1
	s_or_b64 exec, exec, s[34:35]
.LBB306_346:                            ;   in Loop: Header=BB306_13 Depth=1
	s_or_b64 exec, exec, s[30:31]
	v_cmp_lt_u32_e64 s[8:9], s42, v36
	s_and_saveexec_b64 s[30:31], s[8:9]
	s_cbranch_execz .LBB306_352
; %bb.347:                              ;   in Loop: Header=BB306_13 Depth=1
	v_lshrrev_b32_e32 v36, 24, v36
	v_cmp_ne_u32_e64 s[8:9], s39, v36
	v_bfrev_b32_e32 v18, 1
	s_and_saveexec_b64 s[34:35], s[8:9]
	s_cbranch_execz .LBB306_351
; %bb.348:                              ;   in Loop: Header=BB306_13 Depth=1
	v_and_b32_e32 v1, 0x7f, v36
	v_cmp_ne_u32_e64 s[8:9], s40, v1
	v_mov_b32_e32 v18, 0x7fc02000
	s_and_saveexec_b64 s[36:37], s[8:9]
	s_cbranch_execz .LBB306_350
; %bb.349:                              ;   in Loop: Header=BB306_13 Depth=1
	v_and_b32_e32 v3, 7, v36
	v_ffbh_u32_e32 v18, v3
	v_min_u32_e32 v18, 32, v18
	v_lshrrev_b32_e32 v16, 3, v1
	v_subrev_u32_e32 v22, 28, v18
	v_sub_u32_e32 v18, 29, v18
	v_cmp_gt_u32_e64 s[8:9], 8, v1
	v_lshlrev_b64 v[38:39], v22, v[36:37]
	v_cndmask_b32_e64 v1, v16, v18, s[8:9]
	v_mov_b32_e32 v13, 0x2000
	v_and_b32_e32 v22, 7, v38
	v_lshlrev_b32_e32 v16, 8, v36
	v_lshl_add_u32 v1, v1, 10, v13
	v_cndmask_b32_e64 v3, v3, v22, s[8:9]
	v_and_or_b32 v1, v16, s41, v1
	v_lshl_or_b32 v1, v3, 7, v1
	v_cvt_f32_f16_e32 v18, v1
.LBB306_350:                            ;   in Loop: Header=BB306_13 Depth=1
	s_or_b64 exec, exec, s[36:37]
.LBB306_351:                            ;   in Loop: Header=BB306_13 Depth=1
	s_or_b64 exec, exec, s[34:35]
.LBB306_352:                            ;   in Loop: Header=BB306_13 Depth=1
	s_or_b64 exec, exec, s[30:31]
	flat_load_dword v36, v[34:35] offset:3584
	v_mov_b32_e32 v16, 0
	v_mov_b32_e32 v27, 0
	s_waitcnt vmcnt(0) lgkmcnt(0)
	v_cmp_ne_u16_sdwa s[8:9], v36, v41 src0_sel:BYTE_0 src1_sel:DWORD
	s_and_saveexec_b64 s[30:31], s[8:9]
	s_cbranch_execz .LBB306_358
; %bb.353:                              ;   in Loop: Header=BB306_13 Depth=1
	v_cmp_ne_u16_sdwa s[8:9], v36, s39 src0_sel:BYTE_0 src1_sel:DWORD
	v_bfrev_b32_e32 v27, 1
	s_and_saveexec_b64 s[34:35], s[8:9]
	s_cbranch_execz .LBB306_357
; %bb.354:                              ;   in Loop: Header=BB306_13 Depth=1
	v_and_b32_e32 v1, 0x7f, v36
	v_cmp_ne_u32_e64 s[8:9], s40, v1
	v_mov_b32_e32 v27, 0x7fc02000
	s_and_saveexec_b64 s[36:37], s[8:9]
	s_cbranch_execz .LBB306_356
; %bb.355:                              ;   in Loop: Header=BB306_13 Depth=1
	v_and_b32_e32 v3, 7, v36
	v_ffbh_u32_e32 v27, v3
	v_min_u32_e32 v27, 32, v27
	v_lshrrev_b32_e32 v22, 3, v1
	v_subrev_u32_e32 v38, 28, v27
	v_sub_u32_e32 v27, 29, v27
	v_cmp_gt_u32_e64 s[8:9], 8, v1
	v_lshlrev_b64 v[38:39], v38, v[36:37]
	v_cndmask_b32_e64 v1, v22, v27, s[8:9]
	v_mov_b32_e32 v13, 0x2000
	v_and_b32_e32 v38, 7, v38
	v_lshlrev_b32_e32 v22, 8, v36
	v_lshl_add_u32 v1, v1, 10, v13
	v_cndmask_b32_e64 v3, v3, v38, s[8:9]
	v_and_or_b32 v1, v22, s41, v1
	v_lshl_or_b32 v1, v3, 7, v1
	v_cvt_f32_f16_e32 v27, v1
.LBB306_356:                            ;   in Loop: Header=BB306_13 Depth=1
	s_or_b64 exec, exec, s[36:37]
.LBB306_357:                            ;   in Loop: Header=BB306_13 Depth=1
	s_or_b64 exec, exec, s[34:35]
.LBB306_358:                            ;   in Loop: Header=BB306_13 Depth=1
	s_or_b64 exec, exec, s[30:31]
	v_lshrrev_b16_e32 v38, 8, v36
	v_cmp_ne_u16_e64 s[8:9], 0, v38
	s_and_saveexec_b64 s[30:31], s[8:9]
	s_cbranch_execz .LBB306_364
; %bb.359:                              ;   in Loop: Header=BB306_13 Depth=1
	v_cmp_ne_u16_e64 s[8:9], s39, v38
	v_bfrev_b32_e32 v16, 1
	s_and_saveexec_b64 s[34:35], s[8:9]
	s_cbranch_execz .LBB306_363
; %bb.360:                              ;   in Loop: Header=BB306_13 Depth=1
	v_and_b32_e32 v1, 0x7f, v38
	v_cmp_ne_u32_e64 s[8:9], s40, v1
	v_mov_b32_e32 v16, 0x7fc02000
	s_and_saveexec_b64 s[36:37], s[8:9]
	s_cbranch_execz .LBB306_362
; %bb.361:                              ;   in Loop: Header=BB306_13 Depth=1
	v_and_b32_e32 v3, 7, v38
	v_ffbh_u32_e32 v22, v3
	v_min_u32_e32 v22, 32, v22
	v_lshrrev_b32_e32 v16, 3, v1
	v_subrev_u32_e32 v39, 28, v22
	v_sub_u32_e32 v22, 29, v22
	v_cmp_gt_u32_e64 s[8:9], 8, v1
	v_lshlrev_b64 v[42:43], v39, v[38:39]
	v_cndmask_b32_e64 v1, v16, v22, s[8:9]
	v_mov_b32_e32 v13, 0x2000
	v_and_b32_e32 v39, 7, v42
	v_lshlrev_b32_e32 v16, 8, v38
	v_lshl_add_u32 v1, v1, 10, v13
	v_cndmask_b32_e64 v3, v3, v39, s[8:9]
	v_and_or_b32 v1, v16, s41, v1
	v_lshl_or_b32 v1, v3, 7, v1
	v_cvt_f32_f16_e32 v16, v1
.LBB306_362:                            ;   in Loop: Header=BB306_13 Depth=1
	s_or_b64 exec, exec, s[36:37]
.LBB306_363:                            ;   in Loop: Header=BB306_13 Depth=1
	s_or_b64 exec, exec, s[34:35]
.LBB306_364:                            ;   in Loop: Header=BB306_13 Depth=1
	s_or_b64 exec, exec, s[30:31]
	v_lshrrev_b32_e32 v38, 16, v36
	v_cmp_ne_u16_sdwa s[8:9], v38, v41 src0_sel:BYTE_0 src1_sel:DWORD
	v_mov_b32_e32 v1, 0
	v_mov_b32_e32 v39, 0
	s_and_saveexec_b64 s[30:31], s[8:9]
	s_cbranch_execz .LBB306_370
; %bb.365:                              ;   in Loop: Header=BB306_13 Depth=1
	v_cmp_ne_u16_sdwa s[8:9], v38, s39 src0_sel:BYTE_0 src1_sel:DWORD
	v_bfrev_b32_e32 v39, 1
	s_and_saveexec_b64 s[34:35], s[8:9]
	s_cbranch_execz .LBB306_369
; %bb.366:                              ;   in Loop: Header=BB306_13 Depth=1
	v_bfe_u32 v3, v36, 16, 7
	v_cmp_ne_u32_e64 s[8:9], s40, v3
	v_mov_b32_e32 v39, 0x7fc02000
	s_and_saveexec_b64 s[36:37], s[8:9]
	s_cbranch_execz .LBB306_368
; %bb.367:                              ;   in Loop: Header=BB306_13 Depth=1
	v_and_b32_e32 v22, 7, v38
	v_mov_b32_e32 v13, v55
	v_ffbh_u32_e32 v55, v22
	v_min_u32_e32 v55, 32, v55
	v_lshrrev_b32_e32 v39, 3, v3
	v_subrev_u32_e32 v42, 28, v55
	v_sub_u32_e32 v55, 29, v55
	v_cmp_gt_u32_e64 s[8:9], 8, v3
	v_lshlrev_b64 v[42:43], v42, v[38:39]
	v_cndmask_b32_e64 v3, v39, v55, s[8:9]
	v_mov_b32_e32 v55, v13
	v_mov_b32_e32 v13, 0x2000
	v_and_b32_e32 v42, 7, v42
	v_lshlrev_b32_e32 v38, 8, v38
	v_lshl_add_u32 v3, v3, 10, v13
	v_cndmask_b32_e64 v22, v22, v42, s[8:9]
	v_and_or_b32 v3, v38, s41, v3
	v_lshl_or_b32 v3, v22, 7, v3
	v_cvt_f32_f16_e32 v39, v3
.LBB306_368:                            ;   in Loop: Header=BB306_13 Depth=1
	s_or_b64 exec, exec, s[36:37]
.LBB306_369:                            ;   in Loop: Header=BB306_13 Depth=1
	s_or_b64 exec, exec, s[34:35]
.LBB306_370:                            ;   in Loop: Header=BB306_13 Depth=1
	s_or_b64 exec, exec, s[30:31]
	v_cmp_lt_u32_e64 s[8:9], s42, v36
	s_and_saveexec_b64 s[30:31], s[8:9]
	s_cbranch_execz .LBB306_376
; %bb.371:                              ;   in Loop: Header=BB306_13 Depth=1
	v_lshrrev_b32_e32 v36, 24, v36
	v_cmp_ne_u32_e64 s[8:9], s39, v36
	v_bfrev_b32_e32 v1, 1
	s_and_saveexec_b64 s[34:35], s[8:9]
	s_cbranch_execz .LBB306_375
; %bb.372:                              ;   in Loop: Header=BB306_13 Depth=1
	v_and_b32_e32 v3, 0x7f, v36
	v_cmp_ne_u32_e64 s[8:9], s40, v3
	v_mov_b32_e32 v1, 0x7fc02000
	s_and_saveexec_b64 s[36:37], s[8:9]
	s_cbranch_execz .LBB306_374
; %bb.373:                              ;   in Loop: Header=BB306_13 Depth=1
	v_and_b32_e32 v1, 7, v36
	v_ffbh_u32_e32 v38, v1
	v_min_u32_e32 v38, 32, v38
	v_mov_b32_e32 v13, v55
	v_subrev_u32_e32 v55, 28, v38
	v_lshlrev_b64 v[42:43], v55, v[36:37]
	v_lshrrev_b32_e32 v22, 3, v3
	v_sub_u32_e32 v38, 29, v38
	v_and_b32_e32 v55, 7, v42
	v_cmp_gt_u32_e64 s[8:9], 8, v3
	v_cndmask_b32_e64 v3, v22, v38, s[8:9]
	v_cndmask_b32_e64 v1, v1, v55, s[8:9]
	v_mov_b32_e32 v55, v13
	v_mov_b32_e32 v13, 0x2000
	v_lshlrev_b32_e32 v22, 8, v36
	v_lshl_add_u32 v3, v3, 10, v13
	v_and_or_b32 v3, v22, s41, v3
	v_lshl_or_b32 v1, v1, 7, v3
	v_cvt_f32_f16_e32 v1, v1
.LBB306_374:                            ;   in Loop: Header=BB306_13 Depth=1
	s_or_b64 exec, exec, s[36:37]
.LBB306_375:                            ;   in Loop: Header=BB306_13 Depth=1
	s_or_b64 exec, exec, s[34:35]
.LBB306_376:                            ;   in Loop: Header=BB306_13 Depth=1
	s_or_b64 exec, exec, s[30:31]
	flat_load_dword v34, v[34:35] offset:3592
	v_mov_b32_e32 v38, 0
	v_mov_b32_e32 v3, 0
	s_waitcnt vmcnt(0) lgkmcnt(0)
	v_cmp_ne_u16_sdwa s[8:9], v34, v41 src0_sel:BYTE_0 src1_sel:DWORD
	s_and_saveexec_b64 s[30:31], s[8:9]
	s_cbranch_execz .LBB306_382
; %bb.377:                              ;   in Loop: Header=BB306_13 Depth=1
	v_cmp_ne_u16_sdwa s[8:9], v34, s39 src0_sel:BYTE_0 src1_sel:DWORD
	v_bfrev_b32_e32 v3, 1
	s_and_saveexec_b64 s[34:35], s[8:9]
	s_cbranch_execz .LBB306_381
; %bb.378:                              ;   in Loop: Header=BB306_13 Depth=1
	v_and_b32_e32 v22, 0x7f, v34
	v_cmp_ne_u32_e64 s[8:9], s40, v22
	v_mov_b32_e32 v3, 0x7fc02000
	s_and_saveexec_b64 s[36:37], s[8:9]
	s_cbranch_execz .LBB306_380
; %bb.379:                              ;   in Loop: Header=BB306_13 Depth=1
	v_and_b32_e32 v3, 7, v34
	v_ffbh_u32_e32 v36, v3
	v_min_u32_e32 v36, 32, v36
	v_lshrrev_b32_e32 v35, 3, v22
	v_mov_b32_e32 v13, v55
	v_subrev_u32_e32 v55, 28, v36
	v_lshlrev_b64 v[42:43], v55, v[34:35]
	v_sub_u32_e32 v36, 29, v36
	v_and_b32_e32 v55, 7, v42
	v_cmp_gt_u32_e64 s[8:9], 8, v22
	v_cndmask_b32_e64 v22, v35, v36, s[8:9]
	v_cndmask_b32_e64 v3, v3, v55, s[8:9]
	v_mov_b32_e32 v55, v13
	v_mov_b32_e32 v13, 0x2000
	v_lshlrev_b32_e32 v35, 8, v34
	v_lshl_add_u32 v22, v22, 10, v13
	v_and_or_b32 v22, v35, s41, v22
	v_lshl_or_b32 v3, v3, 7, v22
	v_cvt_f32_f16_e32 v3, v3
.LBB306_380:                            ;   in Loop: Header=BB306_13 Depth=1
	s_or_b64 exec, exec, s[36:37]
.LBB306_381:                            ;   in Loop: Header=BB306_13 Depth=1
	s_or_b64 exec, exec, s[34:35]
.LBB306_382:                            ;   in Loop: Header=BB306_13 Depth=1
	s_or_b64 exec, exec, s[30:31]
	v_lshrrev_b16_e32 v36, 8, v34
	v_cmp_ne_u16_e64 s[8:9], 0, v36
	s_and_saveexec_b64 s[30:31], s[8:9]
	s_cbranch_execz .LBB306_388
; %bb.383:                              ;   in Loop: Header=BB306_13 Depth=1
	v_cmp_ne_u16_e64 s[8:9], s39, v36
	v_bfrev_b32_e32 v38, 1
	s_and_saveexec_b64 s[34:35], s[8:9]
	s_cbranch_execz .LBB306_387
; %bb.384:                              ;   in Loop: Header=BB306_13 Depth=1
	v_and_b32_e32 v22, 0x7f, v36
	v_cmp_ne_u32_e64 s[8:9], s40, v22
	v_mov_b32_e32 v38, 0x7fc02000
	s_and_saveexec_b64 s[36:37], s[8:9]
	s_cbranch_execz .LBB306_386
; %bb.385:                              ;   in Loop: Header=BB306_13 Depth=1
	v_and_b32_e32 v35, 7, v36
	v_mov_b32_e32 v13, v55
	v_ffbh_u32_e32 v55, v35
	v_min_u32_e32 v55, 32, v55
	v_lshrrev_b32_e32 v38, 3, v22
	v_subrev_u32_e32 v42, 28, v55
	v_sub_u32_e32 v55, 29, v55
	v_cmp_gt_u32_e64 s[8:9], 8, v22
	v_lshlrev_b64 v[42:43], v42, v[36:37]
	v_cndmask_b32_e64 v22, v38, v55, s[8:9]
	v_mov_b32_e32 v55, v13
	v_mov_b32_e32 v13, 0x2000
	v_and_b32_e32 v42, 7, v42
	v_lshlrev_b32_e32 v36, 8, v36
	v_lshl_add_u32 v22, v22, 10, v13
	v_cndmask_b32_e64 v35, v35, v42, s[8:9]
	v_and_or_b32 v22, v36, s41, v22
	v_lshl_or_b32 v22, v35, 7, v22
	v_cvt_f32_f16_e32 v38, v22
.LBB306_386:                            ;   in Loop: Header=BB306_13 Depth=1
	s_or_b64 exec, exec, s[36:37]
.LBB306_387:                            ;   in Loop: Header=BB306_13 Depth=1
	s_or_b64 exec, exec, s[34:35]
.LBB306_388:                            ;   in Loop: Header=BB306_13 Depth=1
	s_or_b64 exec, exec, s[30:31]
	v_lshrrev_b32_e32 v36, 16, v34
	v_cmp_ne_u16_sdwa s[8:9], v36, v41 src0_sel:BYTE_0 src1_sel:DWORD
	v_mov_b32_e32 v47, 0
	v_mov_b32_e32 v22, 0
	s_and_saveexec_b64 s[30:31], s[8:9]
	s_cbranch_execz .LBB306_394
; %bb.389:                              ;   in Loop: Header=BB306_13 Depth=1
	v_cmp_ne_u16_sdwa s[8:9], v36, s39 src0_sel:BYTE_0 src1_sel:DWORD
	v_bfrev_b32_e32 v22, 1
	s_and_saveexec_b64 s[34:35], s[8:9]
	s_cbranch_execz .LBB306_393
; %bb.390:                              ;   in Loop: Header=BB306_13 Depth=1
	v_bfe_u32 v35, v34, 16, 7
	v_cmp_ne_u32_e64 s[8:9], s40, v35
	v_mov_b32_e32 v22, 0x7fc02000
	s_and_saveexec_b64 s[36:37], s[8:9]
	s_cbranch_execz .LBB306_392
; %bb.391:                              ;   in Loop: Header=BB306_13 Depth=1
	v_and_b32_e32 v22, 7, v36
	v_mov_b32_e32 v13, v55
	v_lshrrev_b32_e32 v55, 3, v35
	v_cmp_gt_u32_e64 s[8:9], 8, v35
	v_ffbh_u32_e32 v35, v22
	v_min_u32_e32 v35, 32, v35
	v_subrev_u32_e32 v42, 28, v35
	v_sub_u32_e32 v35, 29, v35
	v_lshlrev_b64 v[42:43], v42, v[36:37]
	v_cndmask_b32_e64 v35, v55, v35, s[8:9]
	v_mov_b32_e32 v55, v13
	v_mov_b32_e32 v13, 0x2000
	v_and_b32_e32 v42, 7, v42
	v_lshlrev_b32_e32 v36, 8, v36
	v_lshl_add_u32 v35, v35, 10, v13
	v_cndmask_b32_e64 v22, v22, v42, s[8:9]
	v_and_or_b32 v35, v36, s41, v35
	v_lshl_or_b32 v22, v22, 7, v35
	v_cvt_f32_f16_e32 v22, v22
.LBB306_392:                            ;   in Loop: Header=BB306_13 Depth=1
	s_or_b64 exec, exec, s[36:37]
.LBB306_393:                            ;   in Loop: Header=BB306_13 Depth=1
	s_or_b64 exec, exec, s[34:35]
.LBB306_394:                            ;   in Loop: Header=BB306_13 Depth=1
	s_or_b64 exec, exec, s[30:31]
	v_cmp_lt_u32_e64 s[8:9], s42, v34
	s_and_saveexec_b64 s[30:31], s[8:9]
	s_cbranch_execz .LBB306_400
; %bb.395:                              ;   in Loop: Header=BB306_13 Depth=1
	v_lshrrev_b32_e32 v34, 24, v34
	v_cmp_ne_u32_e64 s[8:9], s39, v34
	v_bfrev_b32_e32 v47, 1
	s_and_saveexec_b64 s[34:35], s[8:9]
	s_cbranch_execz .LBB306_399
; %bb.396:                              ;   in Loop: Header=BB306_13 Depth=1
	v_and_b32_e32 v35, 0x7f, v34
	v_cmp_ne_u32_e64 s[8:9], s40, v35
	v_mov_b32_e32 v47, 0x7fc02000
	s_and_saveexec_b64 s[36:37], s[8:9]
	s_cbranch_execz .LBB306_398
; %bb.397:                              ;   in Loop: Header=BB306_13 Depth=1
	v_and_b32_e32 v36, 7, v34
	v_ffbh_u32_e32 v42, v36
	v_mov_b32_e32 v13, v46
	v_min_u32_e32 v46, 32, v42
	v_subrev_u32_e32 v42, 28, v46
	v_lshlrev_b64 v[42:43], v42, v[34:35]
	v_mov_b32_e32 v47, v55
	v_lshrrev_b32_e32 v55, 3, v35
	v_sub_u32_e32 v43, 29, v46
	v_cmp_gt_u32_e64 s[8:9], 8, v35
	v_mov_b32_e32 v46, v13
	v_cndmask_b32_e64 v35, v55, v43, s[8:9]
	v_mov_b32_e32 v13, 0x2000
	v_and_b32_e32 v42, 7, v42
	v_lshlrev_b32_e32 v34, 8, v34
	v_lshl_add_u32 v35, v35, 10, v13
	v_cndmask_b32_e64 v36, v36, v42, s[8:9]
	v_and_or_b32 v34, v34, s41, v35
	v_lshl_or_b32 v34, v36, 7, v34
	v_mov_b32_e32 v55, v47
	v_cvt_f32_f16_e32 v47, v34
.LBB306_398:                            ;   in Loop: Header=BB306_13 Depth=1
	s_or_b64 exec, exec, s[36:37]
.LBB306_399:                            ;   in Loop: Header=BB306_13 Depth=1
	s_or_b64 exec, exec, s[34:35]
.LBB306_400:                            ;   in Loop: Header=BB306_13 Depth=1
	s_or_b64 exec, exec, s[30:31]
	v_fma_mixlo_f16 v1, v60, v1, 0
	v_accvgpr_write_b32 a46, v1
	v_fma_mixlo_f16 v1, v60, v17, 0
	v_accvgpr_write_b32 a53, v1
	;; [unrolled: 2-line block ×3, first 2 shown]
	v_fma_mixlo_f16 v1, v60, v19, 0
	v_fma_mixlo_f16 v19, v60, v0, 0
	buffer_load_dword v0, off, s[0:3], s32 offset:232 ; 4-byte Folded Reload
	v_accvgpr_write_b32 a52, v1
	v_fma_mixlo_f16 v1, v60, v18, 0
	v_fma_mixlo_f16 v18, v60, v23, 0
	;; [unrolled: 1-line block ×3, first 2 shown]
	v_accvgpr_write_b32 a51, v1
	v_fma_mixlo_f16 v1, v60, v4, 0
	v_accvgpr_write_b32 a57, v1
	v_fma_mixlo_f16 v1, v60, v5, 0
	;; [unrolled: 2-line block ×3, first 2 shown]
	v_fma_mixlo_f16 v26, v60, v6, 0
	v_fma_mixlo_f16 v13, v60, v16, 0
	;; [unrolled: 1-line block ×5, first 2 shown]
	v_accvgpr_write_b32 a56, v1
	v_fma_mixlo_f16 v1, v60, v11, 0
	v_fma_mixlo_f16 v11, v60, v8, 0
	;; [unrolled: 1-line block ×8, first 2 shown]
	v_accvgpr_write_b32 a55, v1
	v_fma_mixlo_f16 v1, v60, v57, 0
	v_accvgpr_write_b32 a61, v1
	v_fma_mixlo_f16 v1, v60, v29, 0
	v_fma_mixlo_f16 v29, v60, v24, 0
	;; [unrolled: 1-line block ×3, first 2 shown]
	v_accvgpr_write_b32 a48, v13
	v_fma_mixlo_f16 v13, v60, v27, 0
	v_accvgpr_write_b32 a49, v13
	v_fma_mixlo_f16 v13, v60, v39, 0
	;; [unrolled: 2-line block ×4, first 2 shown]
	v_fma_mixlo_f16 v31, v60, v51, 0
	v_accvgpr_read_b32 v13, a42
	v_accvgpr_write_b32 a59, v1
	v_fma_mixlo_f16 v39, v60, v58, 0
	v_fma_mixlo_f16 v21, v60, v25, 0
	;; [unrolled: 1-line block ×15, first 2 shown]
	v_and_b32_e32 v3, 0xffff, v3
	s_waitcnt vmcnt(0)
	v_fma_mixlo_f16 v23, v60, v0, 0
	buffer_load_dword v0, off, s[0:3], s32 offset:228 ; 4-byte Folded Reload
	s_waitcnt vmcnt(0)
	v_fma_mixlo_f16 v54, v60, v0, 0
	buffer_load_dword v0, off, s[0:3], s32 offset:240 ; 4-byte Folded Reload
	;; [unrolled: 3-line block ×5, first 2 shown]
	v_and_b32_e32 v2, 0xffff, v2
	s_waitcnt vmcnt(0)
	v_fma_mixlo_f16 v35, v60, v0, 0
	buffer_load_dword v0, off, s[0:3], s32 offset:220 ; 4-byte Folded Reload
	s_waitcnt vmcnt(0)
	v_fma_mixlo_f16 v34, v60, v0, 0
	buffer_load_dword v0, off, s[0:3], s32 offset:204 ; 4-byte Folded Reload
	;; [unrolled: 3-line block ×3, first 2 shown]
	v_and_b32_e32 v7, 0xffff, v7
	s_waitcnt vmcnt(0)
	v_fma_mixlo_f16 v8, v60, v0, 0
	buffer_load_dword v0, off, s[0:3], s32 offset:212 ; 4-byte Folded Reload
	v_and_b32_e32 v8, 0xffff, v8
	s_waitcnt vmcnt(0)
	v_fma_mixlo_f16 v12, v60, v0, 0
	buffer_load_dword v0, off, s[0:3], s32 offset:208 ; 4-byte Folded Reload
	;; [unrolled: 4-line block ×4, first 2 shown]
	s_waitcnt vmcnt(0)
	v_fma_mixlo_f16 v53, v60, v0, 0
	buffer_load_dword v0, off, s[0:3], s32 offset:192 ; 4-byte Folded Reload
	s_waitcnt vmcnt(0)
	v_fma_mixlo_f16 v51, v60, v0, 0
	v_fma_mixlo_f16 v0, v60, v22, 0
	v_accvgpr_write_b32 a50, v0
	ds_read_b64 v[0:1], v13
	v_fma_mixlo_f16 v60, v60, v47, 0
	s_waitcnt lgkmcnt(0)
	v_lshrrev_b32_e32 v22, 16, v0
	v_and_b32_e32 v0, 0xffff, v0
	;;#ASMSTART
	v_cvt_f32_f16 v47, v0;
	;;#ASMEND
	v_and_b32_e32 v0, 0xffff, v24
	;;#ASMSTART
	v_cvt_f32_f16 v22, v22;
	;;#ASMEND
	;;#ASMSTART
	v_cvt_f32_f16 v24, v0;
	;;#ASMEND
	v_and_b32_e32 v0, 0xffff, v46
	;;#ASMSTART
	v_cvt_f32_f16 v46, v0;
	;;#ASMEND
	v_lshrrev_b32_e32 v0, 16, v1
	v_and_b32_e32 v1, 0xffff, v1
	;;#ASMSTART
	v_cvt_f32_f16 v25, v1;
	;;#ASMEND
	;;#ASMSTART
	v_cvt_f32_f16 v58, v0;
	;;#ASMEND
	v_and_b32_e32 v0, 0xffff, v53
	;;#ASMSTART
	v_cvt_f32_f16 v53, v0;
	;;#ASMEND
	v_and_b32_e32 v0, 0xffff, v51
	;;#ASMSTART
	v_cvt_f32_f16 v51, v0;
	;;#ASMEND
	ds_read_b64 v[0:1], v13 offset:8
	s_waitcnt lgkmcnt(0)
	v_lshrrev_b32_e32 v61, 16, v0
	v_and_b32_e32 v0, 0xffff, v0
	;;#ASMSTART
	v_cvt_f32_f16 v0, v0;
	;;#ASMEND
	;;#ASMSTART
	v_cvt_f32_f16 v61, v61;
	;;#ASMEND
	;; [unrolled: 3-line block ×4, first 2 shown]
	v_mul_f32_e32 v7, v0, v8
	v_lshrrev_b32_e32 v0, 16, v1
	v_and_b32_e32 v1, 0xffff, v1
	v_mul_f32_e32 v8, v61, v49
	;;#ASMSTART
	v_cvt_f32_f16 v1, v1;
	;;#ASMEND
	;;#ASMSTART
	v_cvt_f32_f16 v0, v0;
	;;#ASMEND
	;; [unrolled: 3-line block ×3, first 2 shown]
	v_fmac_f32_e32 v8, v22, v46
	;;#ASMSTART
	v_cvt_f32_f16 v22, v10;
	;;#ASMEND
	v_mul_f32_e32 v10, v1, v12
	v_mul_f32_e32 v12, v0, v22
	ds_read_b64 v[0:1], v13 offset:16
	v_fmac_f32_e32 v7, v47, v24
	v_and_b32_e32 v24, 0xffff, v55
	v_fmac_f32_e32 v10, v25, v53
	v_fmac_f32_e32 v12, v58, v51
	s_waitcnt lgkmcnt(0)
	v_lshrrev_b32_e32 v22, 16, v0
	v_and_b32_e32 v0, 0xffff, v0
	;;#ASMSTART
	v_cvt_f32_f16 v0, v0;
	;;#ASMEND
	;;#ASMSTART
	v_cvt_f32_f16 v22, v22;
	;;#ASMEND
	;; [unrolled: 3-line block ×4, first 2 shown]
	v_fmac_f32_e32 v7, v0, v2
	v_fmac_f32_e32 v8, v22, v24
	v_lshrrev_b32_e32 v0, 16, v1
	v_and_b32_e32 v1, 0xffff, v1
	v_and_b32_e32 v2, 0xffff, v35
	;; [unrolled: 1-line block ×3, first 2 shown]
	;;#ASMSTART
	v_cvt_f32_f16 v1, v1;
	;;#ASMEND
	;;#ASMSTART
	v_cvt_f32_f16 v0, v0;
	;;#ASMEND
	;; [unrolled: 3-line block ×4, first 2 shown]
	ds_read_b64 v[34:35], v13 offset:24
	v_fmac_f32_e32 v10, v1, v2
	v_fmac_f32_e32 v12, v0, v22
	v_and_b32_e32 v2, 0xffff, v54
	v_and_b32_e32 v22, 0xffff, v23
	s_waitcnt lgkmcnt(0)
	v_lshrrev_b32_e32 v0, 16, v34
	v_and_b32_e32 v1, 0xffff, v34
	;;#ASMSTART
	v_cvt_f32_f16 v1, v1;
	;;#ASMEND
	;;#ASMSTART
	v_cvt_f32_f16 v0, v0;
	;;#ASMEND
	;; [unrolled: 3-line block ×4, first 2 shown]
	v_fmac_f32_e32 v7, v1, v2
	v_fmac_f32_e32 v8, v0, v22
	v_lshrrev_b32_e32 v0, 16, v35
	v_and_b32_e32 v1, 0xffff, v35
	;;#ASMSTART
	v_cvt_f32_f16 v1, v1;
	;;#ASMEND
	;;#ASMSTART
	v_cvt_f32_f16 v0, v0;
	;;#ASMEND
	v_and_b32_e32 v2, 0xffff, v6
	v_and_b32_e32 v6, 0xffff, v16
	;;#ASMSTART
	v_cvt_f32_f16 v2, v2;
	;;#ASMEND
	;;#ASMSTART
	v_cvt_f32_f16 v6, v6;
	;;#ASMEND
	v_fmac_f32_e32 v10, v1, v2
	v_fmac_f32_e32 v12, v0, v6
	ds_read_b64 v[0:1], v13 offset:32
	v_and_b32_e32 v6, 0xffff, v43
	v_and_b32_e32 v16, 0xffff, v19
	s_waitcnt lgkmcnt(0)
	v_lshrrev_b32_e32 v2, 16, v0
	v_and_b32_e32 v0, 0xffff, v0
	;;#ASMSTART
	v_cvt_f32_f16 v0, v0;
	;;#ASMEND
	;;#ASMSTART
	v_cvt_f32_f16 v2, v2;
	;;#ASMEND
	;; [unrolled: 3-line block ×4, first 2 shown]
	v_fmac_f32_e32 v7, v0, v6
	v_fmac_f32_e32 v8, v2, v16
	v_lshrrev_b32_e32 v0, 16, v1
	v_and_b32_e32 v1, 0xffff, v1
	v_and_b32_e32 v2, 0xffff, v18
	;; [unrolled: 1-line block ×3, first 2 shown]
	;;#ASMSTART
	v_cvt_f32_f16 v1, v1;
	;;#ASMEND
	;;#ASMSTART
	v_cvt_f32_f16 v0, v0;
	;;#ASMEND
	;; [unrolled: 3-line block ×4, first 2 shown]
	ds_read_b64 v[34:35], v13 offset:40
	v_fmac_f32_e32 v10, v1, v2
	v_fmac_f32_e32 v12, v0, v6
	v_and_b32_e32 v2, 0xffff, v40
	v_and_b32_e32 v6, 0xffff, v52
	s_waitcnt lgkmcnt(0)
	v_lshrrev_b32_e32 v0, 16, v34
	v_and_b32_e32 v1, 0xffff, v34
	;;#ASMSTART
	v_cvt_f32_f16 v1, v1;
	;;#ASMEND
	;;#ASMSTART
	v_cvt_f32_f16 v0, v0;
	;;#ASMEND
	;; [unrolled: 3-line block ×4, first 2 shown]
	v_fmac_f32_e32 v7, v1, v2
	v_fmac_f32_e32 v8, v0, v6
	v_lshrrev_b32_e32 v0, 16, v35
	v_and_b32_e32 v1, 0xffff, v35
	;;#ASMSTART
	v_cvt_f32_f16 v1, v1;
	;;#ASMEND
	;;#ASMSTART
	v_cvt_f32_f16 v0, v0;
	;;#ASMEND
	v_and_b32_e32 v2, 0xffff, v30
	v_and_b32_e32 v6, 0xffff, v14
	;;#ASMSTART
	v_cvt_f32_f16 v2, v2;
	;;#ASMEND
	;;#ASMSTART
	v_cvt_f32_f16 v6, v6;
	;;#ASMEND
	v_fmac_f32_e32 v10, v1, v2
	v_fmac_f32_e32 v12, v0, v6
	ds_read_b64 v[0:1], v13 offset:48
	v_and_b32_e32 v6, 0xffff, v56
	v_and_b32_e32 v14, 0xffff, v17
	s_waitcnt lgkmcnt(0)
	v_lshrrev_b32_e32 v2, 16, v0
	v_and_b32_e32 v0, 0xffff, v0
	;;#ASMSTART
	v_cvt_f32_f16 v0, v0;
	;;#ASMEND
	;;#ASMSTART
	v_cvt_f32_f16 v2, v2;
	;;#ASMEND
	;; [unrolled: 3-line block ×3, first 2 shown]
	v_fmac_f32_e32 v7, v0, v6
	v_lshrrev_b32_e32 v0, 16, v1
	v_and_b32_e32 v1, 0xffff, v1
	;;#ASMSTART
	v_cvt_f32_f16 v14, v14;
	;;#ASMEND
	v_fmac_f32_e32 v8, v2, v14
	;;#ASMSTART
	v_cvt_f32_f16 v1, v1;
	;;#ASMEND
	;;#ASMSTART
	v_cvt_f32_f16 v0, v0;
	;;#ASMEND
	v_and_b32_e32 v2, 0xffff, v37
	v_and_b32_e32 v6, 0xffff, v28
	;;#ASMSTART
	v_cvt_f32_f16 v2, v2;
	;;#ASMEND
	;;#ASMSTART
	v_cvt_f32_f16 v6, v6;
	;;#ASMEND
	v_fmac_f32_e32 v10, v1, v2
	v_fmac_f32_e32 v12, v0, v6
	ds_read_b64 v[0:1], v13 offset:56
	v_and_b32_e32 v6, 0xffff, v42
	v_and_b32_e32 v14, 0xffff, v50
	s_waitcnt lgkmcnt(0)
	v_lshrrev_b32_e32 v2, 16, v0
	v_and_b32_e32 v0, 0xffff, v0
	;;#ASMSTART
	v_cvt_f32_f16 v0, v0;
	;;#ASMEND
	;;#ASMSTART
	v_cvt_f32_f16 v2, v2;
	;;#ASMEND
	;;#ASMSTART
	v_cvt_f32_f16 v6, v6;
	;;#ASMEND
	v_fmac_f32_e32 v7, v0, v6
	v_lshrrev_b32_e32 v0, 16, v1
	v_and_b32_e32 v1, 0xffff, v1
	;;#ASMSTART
	v_cvt_f32_f16 v14, v14;
	;;#ASMEND
	v_fmac_f32_e32 v8, v2, v14
	;;#ASMSTART
	v_cvt_f32_f16 v1, v1;
	;;#ASMEND
	;;#ASMSTART
	v_cvt_f32_f16 v0, v0;
	;;#ASMEND
	v_and_b32_e32 v2, 0xffff, v48
	v_and_b32_e32 v6, 0xffff, v4
	;;#ASMSTART
	v_cvt_f32_f16 v2, v2;
	;;#ASMEND
	;;#ASMSTART
	v_cvt_f32_f16 v6, v6;
	;;#ASMEND
	v_fmac_f32_e32 v10, v1, v2
	v_fmac_f32_e32 v12, v0, v6
	ds_read_b64 v[0:1], v13 offset:64
	v_and_b32_e32 v6, 0xffff, v62
	v_and_b32_e32 v4, 0xffff, v5
	;; [unrolled: 1-line block ×3, first 2 shown]
	s_waitcnt lgkmcnt(0)
	v_lshrrev_b32_e32 v2, 16, v0
	v_and_b32_e32 v0, 0xffff, v0
	;;#ASMSTART
	v_cvt_f32_f16 v0, v0;
	;;#ASMEND
	;;#ASMSTART
	v_cvt_f32_f16 v2, v2;
	;;#ASMEND
	;; [unrolled: 3-line block ×4, first 2 shown]
	v_fmac_f32_e32 v7, v0, v6
	v_lshrrev_b32_e32 v0, 16, v1
	v_and_b32_e32 v1, 0xffff, v1
	v_fmac_f32_e32 v8, v2, v4
	;;#ASMSTART
	v_cvt_f32_f16 v1, v1;
	;;#ASMEND
	;;#ASMSTART
	v_cvt_f32_f16 v0, v0;
	;;#ASMEND
	v_and_b32_e32 v2, 0xffff, v9
	v_and_b32_e32 v4, 0xffff, v11
	;;#ASMSTART
	v_cvt_f32_f16 v2, v2;
	;;#ASMEND
	;;#ASMSTART
	v_cvt_f32_f16 v4, v4;
	;;#ASMEND
	v_fmac_f32_e32 v10, v1, v2
	v_fmac_f32_e32 v12, v0, v4
	ds_read_b64 v[0:1], v13 offset:72
	v_and_b32_e32 v4, 0xffff, v20
	s_waitcnt lgkmcnt(0)
	v_lshrrev_b32_e32 v2, 16, v0
	v_and_b32_e32 v0, 0xffff, v0
	;;#ASMSTART
	v_cvt_f32_f16 v0, v0;
	;;#ASMEND
	;;#ASMSTART
	v_cvt_f32_f16 v2, v2;
	;;#ASMEND
	;; [unrolled: 3-line block ×3, first 2 shown]
	v_fmac_f32_e32 v7, v0, v4
	v_lshrrev_b32_e32 v0, 16, v1
	v_and_b32_e32 v1, 0xffff, v1
	;;#ASMSTART
	v_cvt_f32_f16 v5, v5;
	;;#ASMEND
	v_fmac_f32_e32 v8, v2, v5
	;;#ASMSTART
	v_cvt_f32_f16 v1, v1;
	;;#ASMEND
	;;#ASMSTART
	v_cvt_f32_f16 v0, v0;
	;;#ASMEND
	v_and_b32_e32 v2, 0xffff, v26
	v_and_b32_e32 v4, 0xffff, v27
	;;#ASMSTART
	v_cvt_f32_f16 v2, v2;
	;;#ASMEND
	;;#ASMSTART
	v_cvt_f32_f16 v4, v4;
	;;#ASMEND
	v_fmac_f32_e32 v10, v1, v2
	v_fmac_f32_e32 v12, v0, v4
	ds_read_b64 v[0:1], v13 offset:80
	v_and_b32_e32 v4, 0xffff, v29
	v_and_b32_e32 v5, 0xffff, v31
	s_waitcnt lgkmcnt(0)
	v_lshrrev_b32_e32 v2, 16, v0
	v_and_b32_e32 v0, 0xffff, v0
	;;#ASMSTART
	v_cvt_f32_f16 v0, v0;
	;;#ASMEND
	;;#ASMSTART
	v_cvt_f32_f16 v2, v2;
	;;#ASMEND
	;; [unrolled: 3-line block ×3, first 2 shown]
	v_fmac_f32_e32 v7, v0, v4
	v_lshrrev_b32_e32 v0, 16, v1
	v_and_b32_e32 v1, 0xffff, v1
	;;#ASMSTART
	v_cvt_f32_f16 v5, v5;
	;;#ASMEND
	v_fmac_f32_e32 v8, v2, v5
	;;#ASMSTART
	v_cvt_f32_f16 v1, v1;
	;;#ASMEND
	;;#ASMSTART
	v_cvt_f32_f16 v0, v0;
	;;#ASMEND
	v_and_b32_e32 v2, 0xffff, v36
	v_and_b32_e32 v4, 0xffff, v39
	;;#ASMSTART
	v_cvt_f32_f16 v2, v2;
	;;#ASMEND
	;;#ASMSTART
	v_cvt_f32_f16 v4, v4;
	;;#ASMEND
	v_fmac_f32_e32 v10, v1, v2
	v_fmac_f32_e32 v12, v0, v4
	ds_read_b64 v[0:1], v13 offset:88
	v_and_b32_e32 v4, 0xffff, v57
	v_accvgpr_read_b32 v5, a61
	v_and_b32_e32 v5, 0xffff, v5
	s_waitcnt lgkmcnt(0)
	v_lshrrev_b32_e32 v2, 16, v0
	v_and_b32_e32 v0, 0xffff, v0
	;;#ASMSTART
	v_cvt_f32_f16 v0, v0;
	;;#ASMEND
	;;#ASMSTART
	v_cvt_f32_f16 v2, v2;
	;;#ASMEND
	;;#ASMSTART
	v_cvt_f32_f16 v4, v4;
	;;#ASMEND
	;;#ASMSTART
	v_cvt_f32_f16 v5, v5;
	;;#ASMEND
	v_fmac_f32_e32 v7, v0, v4
	v_fmac_f32_e32 v8, v2, v5
	v_lshrrev_b32_e32 v0, 16, v1
	v_and_b32_e32 v1, 0xffff, v1
	v_accvgpr_read_b32 v2, a60
	v_accvgpr_read_b32 v4, a59
	;;#ASMSTART
	v_cvt_f32_f16 v1, v1;
	;;#ASMEND
	;;#ASMSTART
	v_cvt_f32_f16 v0, v0;
	;;#ASMEND
	v_and_b32_e32 v2, 0xffff, v2
	v_and_b32_e32 v4, 0xffff, v4
	;;#ASMSTART
	v_cvt_f32_f16 v2, v2;
	;;#ASMEND
	;;#ASMSTART
	v_cvt_f32_f16 v4, v4;
	;;#ASMEND
	v_fmac_f32_e32 v10, v1, v2
	v_fmac_f32_e32 v12, v0, v4
	ds_read_b64 v[0:1], v13 offset:96
	v_accvgpr_read_b32 v4, a58
	v_and_b32_e32 v4, 0xffff, v4
	v_accvgpr_read_b32 v5, a57
	v_and_b32_e32 v5, 0xffff, v5
	s_waitcnt lgkmcnt(0)
	v_lshrrev_b32_e32 v2, 16, v0
	v_and_b32_e32 v0, 0xffff, v0
	;;#ASMSTART
	v_cvt_f32_f16 v0, v0;
	;;#ASMEND
	;;#ASMSTART
	v_cvt_f32_f16 v2, v2;
	;;#ASMEND
	;;#ASMSTART
	v_cvt_f32_f16 v4, v4;
	;;#ASMEND
	;;#ASMSTART
	v_cvt_f32_f16 v5, v5;
	;;#ASMEND
	v_fmac_f32_e32 v7, v0, v4
	v_fmac_f32_e32 v8, v2, v5
	v_lshrrev_b32_e32 v0, 16, v1
	v_and_b32_e32 v1, 0xffff, v1
	v_accvgpr_read_b32 v2, a56
	v_accvgpr_read_b32 v4, a55
	;;#ASMSTART
	v_cvt_f32_f16 v1, v1;
	;;#ASMEND
	;;#ASMSTART
	v_cvt_f32_f16 v0, v0;
	;;#ASMEND
	v_and_b32_e32 v2, 0xffff, v2
	v_and_b32_e32 v4, 0xffff, v4
	;;#ASMSTART
	v_cvt_f32_f16 v2, v2;
	;;#ASMEND
	;;#ASMSTART
	v_cvt_f32_f16 v4, v4;
	;;#ASMEND
	v_fmac_f32_e32 v10, v1, v2
	v_fmac_f32_e32 v12, v0, v4
	ds_read_b64 v[0:1], v13 offset:104
	v_accvgpr_read_b32 v4, a54
	;; [unrolled: 42-line block ×3, first 2 shown]
	v_and_b32_e32 v4, 0xffff, v4
	v_accvgpr_read_b32 v5, a48
	v_and_b32_e32 v5, 0xffff, v5
	s_waitcnt lgkmcnt(0)
	v_lshrrev_b32_e32 v2, 16, v0
	v_and_b32_e32 v0, 0xffff, v0
	;;#ASMSTART
	v_cvt_f32_f16 v0, v0;
	;;#ASMEND
	;;#ASMSTART
	v_cvt_f32_f16 v2, v2;
	;;#ASMEND
	;; [unrolled: 3-line block ×4, first 2 shown]
	v_fmac_f32_e32 v7, v0, v4
	v_fmac_f32_e32 v8, v2, v5
	v_lshrrev_b32_e32 v0, 16, v1
	v_and_b32_e32 v1, 0xffff, v1
	v_accvgpr_read_b32 v2, a47
	v_accvgpr_read_b32 v4, a46
	;;#ASMSTART
	v_cvt_f32_f16 v1, v1;
	;;#ASMEND
	;;#ASMSTART
	v_cvt_f32_f16 v0, v0;
	;;#ASMEND
	v_and_b32_e32 v2, 0xffff, v2
	v_and_b32_e32 v4, 0xffff, v4
	;;#ASMSTART
	v_cvt_f32_f16 v2, v2;
	;;#ASMEND
	;;#ASMSTART
	v_cvt_f32_f16 v4, v4;
	;;#ASMEND
	v_fmac_f32_e32 v10, v1, v2
	v_fmac_f32_e32 v12, v0, v4
	ds_read_b64 v[0:1], v13 offset:120
	v_and_b32_e32 v4, 0xffff, v38
	s_waitcnt lgkmcnt(0)
	v_lshrrev_b32_e32 v2, 16, v0
	v_and_b32_e32 v0, 0xffff, v0
	;;#ASMSTART
	v_cvt_f32_f16 v0, v0;
	;;#ASMEND
	;;#ASMSTART
	v_cvt_f32_f16 v2, v2;
	;;#ASMEND
	;; [unrolled: 3-line block ×4, first 2 shown]
	v_fmac_f32_e32 v8, v2, v4
	v_accvgpr_read_b32 v2, a50
	v_fmac_f32_e32 v7, v0, v3
	v_lshrrev_b32_e32 v0, 16, v1
	v_and_b32_e32 v1, 0xffff, v1
	v_and_b32_e32 v2, 0xffff, v2
	;; [unrolled: 1-line block ×3, first 2 shown]
	;;#ASMSTART
	v_cvt_f32_f16 v1, v1;
	;;#ASMEND
	;;#ASMSTART
	v_cvt_f32_f16 v0, v0;
	;;#ASMEND
	;; [unrolled: 3-line block ×4, first 2 shown]
	v_fmac_f32_e32 v12, v0, v3
	v_accvgpr_read_b32 v3, a45
	v_fmac_f32_e32 v10, v1, v2
	v_and_b32_e32 v2, 64, v3
	v_xor_b32_e32 v1, 1, v3
	v_add_u32_e32 v2, 64, v2
	v_add_f32_e32 v0, v7, v8
	v_cmp_lt_i32_e64 s[8:9], v1, v2
	v_add_f32_e32 v0, v0, v10
	v_cndmask_b32_e64 v1, v3, v1, s[8:9]
	v_add_f32_e32 v0, v12, v0
	v_lshlrev_b32_e32 v1, 2, v1
	ds_bpermute_b32 v1, v1, v0
	s_and_saveexec_b64 s[30:31], vcc
	s_cbranch_execz .LBB306_11
; %bb.401:                              ;   in Loop: Header=BB306_13 Depth=1
	buffer_load_dword v4, off, s[0:3], s32 offset:248 ; 4-byte Folded Reload
	v_accvgpr_read_b32 v2, a43
	v_add_u32_e32 v2, v2, v45
	v_cvt_f32_i32_e32 v2, v2
	s_waitcnt lgkmcnt(0)
	v_add_f32_e32 v0, v0, v1
	v_accvgpr_read_b32 v1, a33
	s_load_dword s8, s[22:23], 0x0
	v_accvgpr_read_b32 v3, a37
	v_add_u32_e32 v3, v3, v45
	s_waitcnt vmcnt(0)
	v_mul_f32_e32 v2, v4, v2
	v_cndmask_b32_e64 v2, 0, v2, s[6:7]
	v_fmac_f32_e32 v2, v0, v1
	buffer_load_dword v1, off, s[0:3], s32 offset:244 ; 4-byte Folded Reload
	v_accvgpr_read_b32 v0, a8
	s_waitcnt lgkmcnt(0)
	v_add_u32_e32 v4, s8, v44
	v_cmp_lt_i32_e64 s[8:9], v3, v0
	v_cndmask_b32_e64 v0, 0, v2, s[8:9]
	ds_write_b32 v4, v0
	s_waitcnt vmcnt(0)
	v_max_f32_e32 v0, v1, v1
	v_max_f32_e32 v0, v0, v2
	v_cndmask_b32_e64 v1, v1, v0, s[8:9]
	buffer_store_dword v1, off, s[0:3], s32 offset:244 ; 4-byte Folded Spill
	s_branch .LBB306_11
.LBB306_402:
	s_or_b64 exec, exec, s[28:29]
	buffer_load_dword v6, off, s[0:3], s32 offset:244 ; 4-byte Folded Reload
	v_accvgpr_read_b32 v28, a28
	v_accvgpr_read_b32 v15, a16
	v_accvgpr_read_b32 v14, a17
	v_accvgpr_read_b32 v30, a18
	v_accvgpr_read_b32 v22, a19
	v_accvgpr_read_b32 v24, a20
	v_accvgpr_read_b32 v25, a21
	v_accvgpr_read_b32 v26, a22
	v_accvgpr_read_b32 v27, a23
	v_accvgpr_read_b32 v36, a24
	v_accvgpr_read_b32 v31, a25
	v_accvgpr_read_b32 v21, a26
	v_accvgpr_read_b32 v29, a29
	v_accvgpr_read_b32 v48, a27
	v_accvgpr_read_b32 v20, a30
	v_accvgpr_read_b32 v23, a31
	v_accvgpr_read_b32 v49, a32
	v_accvgpr_read_b32 v4, a36
.LBB306_403:
	s_or_b64 exec, exec, s[20:21]
	v_mbcnt_hi_u32_b32 v0, -1, v4
	s_waitcnt lgkmcnt(0)
	v_and_b32_e32 v1, 64, v0
	v_add_u32_e32 v1, 64, v1
	v_xor_b32_e32 v2, 32, v0
	v_cmp_lt_i32_e32 vcc, v2, v1
	v_cndmask_b32_e32 v2, v0, v2, vcc
	v_lshlrev_b32_e32 v2, 2, v2
	s_waitcnt vmcnt(0)
	ds_bpermute_b32 v3, v2, v6
	v_xor_b32_e32 v5, 16, v0
	v_max_f32_e32 v4, v6, v6
	v_cmp_lt_i32_e32 vcc, v5, v1
	v_xor_b32_e32 v6, 8, v0
	s_waitcnt lgkmcnt(0)
	v_max_f32_e32 v3, v3, v3
	v_max_f32_e32 v4, v4, v3
	v_cndmask_b32_e32 v3, v0, v5, vcc
	v_lshlrev_b32_e32 v3, 2, v3
	ds_bpermute_b32 v5, v3, v4
	v_cmp_lt_i32_e32 vcc, v6, v1
	v_xor_b32_e32 v7, 4, v0
	v_xor_b32_e32 v8, 2, v0
	s_lshr_b32 s28, s38, 16
	s_waitcnt lgkmcnt(0)
	v_max_f32_e32 v5, v5, v5
	v_max_f32_e32 v5, v4, v5
	v_cndmask_b32_e32 v4, v0, v6, vcc
	v_lshlrev_b32_e32 v4, 2, v4
	ds_bpermute_b32 v6, v4, v5
	v_cmp_lt_i32_e32 vcc, v7, v1
	s_waitcnt lgkmcnt(0)
	v_max_f32_e32 v6, v6, v6
	v_max_f32_e32 v6, v5, v6
	v_cndmask_b32_e32 v5, v0, v7, vcc
	v_lshlrev_b32_e32 v5, 2, v5
	ds_bpermute_b32 v7, v5, v6
	v_cmp_lt_i32_e32 vcc, v8, v1
	s_waitcnt lgkmcnt(0)
	v_max_f32_e32 v7, v7, v7
	v_max_f32_e32 v7, v6, v7
	v_cndmask_b32_e32 v6, v0, v8, vcc
	v_lshlrev_b32_e32 v41, 2, v6
	ds_bpermute_b32 v8, v41, v7
	v_accvgpr_read_b32 v6, a2
	v_and_b32_e32 v50, 63, v6
	v_cmp_eq_u32_e32 vcc, 0, v50
	v_lshlrev_b32_e32 v6, 2, v21
	s_and_saveexec_b64 s[6:7], vcc
	s_cbranch_execz .LBB306_405
; %bb.404:
	s_waitcnt lgkmcnt(0)
	v_max_f32_e32 v8, v8, v8
	v_max_f32_e32 v7, v7, v7
	;; [unrolled: 1-line block ×3, first 2 shown]
	ds_write_b32 v6, v7 offset:256
.LBB306_405:
	s_or_b64 exec, exec, s[6:7]
	v_cmp_gt_u32_e64 s[6:7], 2, v50
	s_waitcnt lgkmcnt(0)
	v_mov_b32_e32 v8, 0xff7fffff
	v_lshlrev_b32_e32 v7, 2, v50
	s_barrier
	s_and_saveexec_b64 s[8:9], s[6:7]
	s_cbranch_execz .LBB306_407
; %bb.406:
	ds_read_b32 v8, v7 offset:256
.LBB306_407:
	s_or_b64 exec, exec, s[8:9]
	v_xor_b32_e32 v9, 1, v0
	v_cmp_lt_i32_e64 s[8:9], v9, v1
	v_cndmask_b32_e64 v1, v0, v9, s[8:9]
	v_lshlrev_b32_e32 v42, 2, v1
	s_waitcnt lgkmcnt(0)
	ds_bpermute_b32 v1, v42, v8
	v_max_f32_e32 v8, v8, v8
	v_lshlrev_b32_e32 v0, 2, v0
	v_accvgpr_read_b32 v9, a11
	v_subrev_u32_e32 v9, s27, v9
	s_waitcnt lgkmcnt(0)
	v_max_f32_e32 v1, v1, v1
	v_max_f32_e32 v1, v8, v1
	v_and_b32_e32 v8, 0x100, v0
	ds_bpermute_b32 v0, v8, v1
	v_lshl_add_u32 v9, v9, 5, s19
	v_accvgpr_read_b32 v10, a8
	v_min_i32_e32 v9, v9, v10
	v_subrev_u32_e32 v1, s19, v9
	v_accvgpr_read_b32 v10, a2
	v_cmp_lt_i32_e64 s[8:9], v10, v1
	v_mov_b32_e32 v10, 0
	s_and_saveexec_b64 s[20:21], s[8:9]
	s_cbranch_execz .LBB306_411
; %bb.408:
	s_ashr_i32 s17, s16, 31
	s_lshl_b64 s[10:11], s[16:17], 2
	s_getpc_b64 s[22:23]
	s_add_u32 s22, s22, llvm.amdgcn.dynlds.offset.table@rel32@lo+4
	s_addc_u32 s23, s23, llvm.amdgcn.dynlds.offset.table@rel32@hi+12
	s_add_u32 s10, s10, s22
	s_addc_u32 s11, s11, s23
	s_load_dword s10, s[10:11], 0x0
	v_accvgpr_read_b32 v12, a2
	s_mov_b64 s[22:23], 0
	v_mov_b32_e32 v10, 0
	s_waitcnt lgkmcnt(0)
	v_lshl_add_u32 v11, v12, 2, s10
.LBB306_409:                            ; =>This Inner Loop Header: Depth=1
	ds_read_b32 v13, v11
	v_add_u32_e32 v12, 0x80, v12
	v_cmp_ge_i32_e64 s[10:11], v12, v1
	s_or_b64 s[22:23], s[10:11], s[22:23]
	s_waitcnt lgkmcnt(0)
	v_sub_f32_e32 v13, v13, v0
	v_mul_f32_e32 v13, 0x3fb8aa3b, v13
	v_exp_f32_e32 v13, v13
	ds_write_b32 v11, v13
	v_add_f32_e32 v10, v10, v13
	v_add_u32_e32 v11, 0x200, v11
	s_andn2_b64 exec, exec, s[22:23]
	s_cbranch_execnz .LBB306_409
; %bb.410:
	s_or_b64 exec, exec, s[22:23]
.LBB306_411:
	s_or_b64 exec, exec, s[20:21]
	ds_bpermute_b32 v2, v2, v10
	s_waitcnt lgkmcnt(0)
	v_add_f32_e32 v2, v10, v2
	ds_bpermute_b32 v3, v3, v2
	s_waitcnt lgkmcnt(0)
	v_add_f32_e32 v2, v2, v3
	;; [unrolled: 3-line block ×6, first 2 shown]
	s_and_saveexec_b64 s[10:11], vcc
	s_cbranch_execz .LBB306_413
; %bb.412:
	ds_write_b32 v6, v2 offset:264
.LBB306_413:
	s_or_b64 exec, exec, s[10:11]
	s_waitcnt lgkmcnt(0)
	s_barrier
	s_and_saveexec_b64 s[10:11], s[6:7]
	s_cbranch_execz .LBB306_415
; %bb.414:
	ds_read_b32 v2, v7 offset:264
.LBB306_415:
	s_or_b64 exec, exec, s[10:11]
	s_waitcnt lgkmcnt(0)
	ds_bpermute_b32 v3, v42, v2
	s_waitcnt lgkmcnt(0)
	v_add_f32_e32 v2, v2, v3
	ds_bpermute_b32 v2, v8, v2
	s_and_saveexec_b64 s[6:7], s[8:9]
	s_cbranch_execz .LBB306_428
; %bb.416:
	s_waitcnt lgkmcnt(0)
	v_add_f32_e32 v3, 0x358637bd, v2
	v_div_scale_f32 v4, s[8:9], v3, v3, 1.0
	v_rcp_f32_e32 v5, v4
	v_div_scale_f32 v6, vcc, 1.0, v3, 1.0
	s_movk_i32 s8, 0x7f
	v_fma_f32 v7, -v4, v5, 1.0
	v_fmac_f32_e32 v5, v7, v5
	v_mul_f32_e32 v7, v6, v5
	v_fma_f32 v8, -v4, v7, v6
	v_fmac_f32_e32 v7, v8, v5
	v_fma_f32 v4, -v4, v7, v6
	v_div_fmas_f32 v4, v4, v5, v7
	v_accvgpr_read_b32 v5, a2
	v_div_fixup_f32 v8, v4, v3, 1.0
	v_xad_u32 v3, v5, -1, v9
	v_subrev_u32_e32 v4, s19, v3
	v_cmp_lt_u32_e32 vcc, s8, v4
	s_mov_b64 s[10:11], -1
	v_accvgpr_read_b32 v3, a2
	s_and_saveexec_b64 s[8:9], vcc
	s_cbranch_execz .LBB306_425
; %bb.417:
	v_lshrrev_b32_e32 v3, 7, v4
	v_add_u32_e32 v5, -1, v3
	v_lshrrev_b32_e32 v4, 1, v5
	v_mov_b32_e32 v9, v8
	v_add_u32_e32 v4, 1, v4
	v_cmp_lt_u32_e32 vcc, 13, v5
	v_mov_b32_e32 v7, 0
	s_and_saveexec_b64 s[10:11], vcc
	s_cbranch_execz .LBB306_421
; %bb.418:
	s_ashr_i32 s17, s16, 31
	s_lshl_b64 s[20:21], s[16:17], 2
	s_getpc_b64 s[22:23]
	s_add_u32 s22, s22, llvm.amdgcn.dynlds.offset.table@rel32@lo+4
	s_addc_u32 s23, s23, llvm.amdgcn.dynlds.offset.table@rel32@hi+12
	s_add_u32 s20, s20, s22
	s_addc_u32 s21, s21, s23
	s_load_dword s19, s[20:21], 0x0
	v_accvgpr_read_b32 v6, a2
	v_and_b32_e32 v5, -8, v4
	s_mov_b32 s17, 0
	s_mov_b64 s[20:21], 0
	s_waitcnt lgkmcnt(0)
	v_lshl_add_u32 v6, v6, 2, s19
.LBB306_419:                            ; =>This Inner Loop Header: Depth=1
	ds_read2st64_b32 v[10:11], v6 offset1:2
	ds_read2st64_b32 v[12:13], v6 offset0:4 offset1:6
	ds_read2st64_b32 v[18:19], v6 offset0:8 offset1:10
	;; [unrolled: 1-line block ×3, first 2 shown]
	v_add_u32_e32 v5, -8, v5
	s_waitcnt lgkmcnt(3)
	v_pk_mul_f32 v[10:11], v[8:9], v[10:11]
	s_waitcnt lgkmcnt(2)
	v_pk_mul_f32 v[12:13], v[8:9], v[12:13]
	ds_write2st64_b32 v6, v10, v11 offset1:2
	ds_write2st64_b32 v6, v12, v13 offset0:4 offset1:6
	ds_read2st64_b32 v[12:13], v6 offset0:16 offset1:18
	s_waitcnt lgkmcnt(4)
	v_pk_mul_f32 v[10:11], v[8:9], v[18:19]
	ds_write2st64_b32 v6, v10, v11 offset0:8 offset1:10
	s_waitcnt lgkmcnt(4)
	v_pk_mul_f32 v[10:11], v[8:9], v[16:17]
	ds_write2st64_b32 v6, v10, v11 offset0:12 offset1:14
	ds_read2st64_b32 v[10:11], v6 offset0:20 offset1:22
	s_waitcnt lgkmcnt(3)
	v_pk_mul_f32 v[12:13], v[8:9], v[12:13]
	ds_read2st64_b32 v[16:17], v6 offset0:24 offset1:26
	ds_write2st64_b32 v6, v12, v13 offset0:16 offset1:18
	ds_read2st64_b32 v[12:13], v6 offset0:28 offset1:30
	s_waitcnt lgkmcnt(3)
	v_pk_mul_f32 v[10:11], v[8:9], v[10:11]
	ds_write2st64_b32 v6, v10, v11 offset0:20 offset1:22
	s_waitcnt lgkmcnt(3)
	v_pk_mul_f32 v[10:11], v[8:9], v[16:17]
	ds_write2st64_b32 v6, v10, v11 offset0:24 offset1:26
	s_waitcnt lgkmcnt(2)
	v_pk_mul_f32 v[10:11], v[8:9], v[12:13]
	s_add_i32 s17, s17, 16
	v_cmp_eq_u32_e32 vcc, 0, v5
	ds_write2st64_b32 v6, v10, v11 offset0:28 offset1:30
	v_add_u32_e32 v6, 0x2000, v6
	s_or_b64 s[20:21], vcc, s[20:21]
	v_mov_b32_e32 v7, s17
	s_andn2_b64 exec, exec, s[20:21]
	s_cbranch_execnz .LBB306_419
; %bb.420:
	s_or_b64 exec, exec, s[20:21]
.LBB306_421:
	s_or_b64 exec, exec, s[10:11]
	v_and_b32_e32 v4, 7, v4
	v_cmp_ne_u32_e32 vcc, 0, v4
	s_and_saveexec_b64 s[10:11], vcc
	s_cbranch_execz .LBB306_424
; %bb.422:
	s_ashr_i32 s17, s16, 31
	s_lshl_b64 s[20:21], s[16:17], 2
	s_getpc_b64 s[22:23]
	s_add_u32 s22, s22, llvm.amdgcn.dynlds.offset.table@rel32@lo+4
	s_addc_u32 s23, s23, llvm.amdgcn.dynlds.offset.table@rel32@hi+12
	s_add_u32 s20, s20, s22
	s_addc_u32 s21, s21, s23
	s_load_dword s17, s[20:21], 0x0
	v_accvgpr_read_b32 v6, a2
	v_lshlrev_b32_e32 v5, 9, v7
	v_lshlrev_b32_e32 v6, 2, v6
	s_mov_b64 s[20:21], 0
	s_waitcnt lgkmcnt(0)
	v_add3_u32 v5, v5, v6, s17
.LBB306_423:                            ; =>This Inner Loop Header: Depth=1
	ds_read2st64_b32 v[6:7], v5 offset1:2
	v_add_u32_e32 v4, -1, v4
	v_cmp_eq_u32_e32 vcc, 0, v4
	s_or_b64 s[20:21], vcc, s[20:21]
	s_waitcnt lgkmcnt(0)
	v_pk_mul_f32 v[6:7], v[8:9], v[6:7]
	ds_write2st64_b32 v5, v6, v7 offset1:2
	v_add_u32_e32 v5, 0x400, v5
	s_andn2_b64 exec, exec, s[20:21]
	s_cbranch_execnz .LBB306_423
.LBB306_424:
	s_or_b64 exec, exec, s[10:11]
	v_add_u32_e32 v4, 1, v3
	v_and_b32_e32 v5, 0x3fffffe, v4
	v_accvgpr_read_b32 v3, a2
	v_cmp_ne_u32_e32 vcc, v4, v5
	v_lshl_add_u32 v3, v5, 7, v3
	s_orn2_b64 s[10:11], vcc, exec
.LBB306_425:
	s_or_b64 exec, exec, s[8:9]
	s_and_b64 exec, exec, s[10:11]
	s_cbranch_execz .LBB306_428
; %bb.426:
	s_ashr_i32 s17, s16, 31
	s_lshl_b64 s[8:9], s[16:17], 2
	s_getpc_b64 s[10:11]
	s_add_u32 s10, s10, llvm.amdgcn.dynlds.offset.table@rel32@lo+4
	s_addc_u32 s11, s11, llvm.amdgcn.dynlds.offset.table@rel32@hi+12
	s_add_u32 s8, s8, s10
	s_addc_u32 s9, s9, s11
	s_load_dword s8, s[8:9], 0x0
	s_waitcnt lgkmcnt(0)
	v_lshl_add_u32 v4, v3, 2, s8
	s_mov_b64 s[8:9], 0
.LBB306_427:                            ; =>This Inner Loop Header: Depth=1
	ds_read_b32 v5, v4
	v_add_u32_e32 v3, 0x80, v3
	v_cmp_ge_i32_e32 vcc, v3, v1
	s_or_b64 s[8:9], vcc, s[8:9]
	s_waitcnt lgkmcnt(0)
	v_mul_f32_e32 v5, v8, v5
	ds_write_b32 v4, v5
	v_add_u32_e32 v4, 0x200, v4
	s_andn2_b64 exec, exec, s[8:9]
	s_cbranch_execnz .LBB306_427
.LBB306_428:
	s_or_b64 exec, exec, s[6:7]
	v_cmp_ne_u16_e64 s[6:7], s28, 0
	s_cmp_lg_u64 s[6:7], 0
	s_addc_u32 s27, s13, 0
	v_accvgpr_read_b32 v1, a2
	s_mul_i32 s6, s27, s18
	v_cmp_eq_u32_e32 vcc, 0, v1
	s_mul_i32 s6, s6, s15
	s_waitcnt lgkmcnt(0)
	s_barrier
	s_and_saveexec_b64 s[8:9], vcc
	s_cbranch_execz .LBB306_430
; %bb.429:
	s_mul_i32 s12, s27, s12
	s_ashr_i32 s7, s6, 31
	s_ashr_i32 s13, s12, 31
	;; [unrolled: 1-line block ×3, first 2 shown]
	s_lshl_b64 s[10:11], s[6:7], 2
	s_lshl_b64 s[12:13], s[12:13], 2
	s_lshl_b64 s[18:19], s[14:15], 2
	s_add_u32 s7, s18, s12
	s_addc_u32 s12, s19, s13
	s_add_u32 s7, s7, s10
	s_addc_u32 s10, s12, s11
	v_mov_b32_e32 v1, s10
	v_add_co_u32_e32 v4, vcc, s7, v36
	v_addc_co_u32_e32 v5, vcc, v1, v27, vcc
	flat_store_dword v[4:5], v0
	v_add_co_u32_e32 v0, vcc, s7, v26
	v_addc_co_u32_e32 v1, vcc, v1, v25, vcc
	flat_store_dword v[0:1], v2
.LBB306_430:
	s_or_b64 exec, exec, s[8:9]
	s_ashr_i32 s17, s16, 31
	s_lshl_b64 s[8:9], s[16:17], 2
	s_getpc_b64 s[10:11]
	s_add_u32 s10, s10, llvm.amdgcn.dynlds.offset.table@rel32@lo+4
	s_addc_u32 s11, s11, llvm.amdgcn.dynlds.offset.table@rel32@hi+12
	v_accvgpr_read_b32 v0, a2
	s_add_u32 s8, s8, s10
	v_and_b32_e32 v0, 3, v0
	s_addc_u32 s9, s9, s11
	s_mov_b32 s16, 0
	v_mov_b32_e32 v39, 0
	v_accvgpr_write_b32 a17, v0
	v_mov_b32_e32 v38, 0
	v_mov_b32_e32 v37, 0
	v_mov_b32_e32 v36, 0
	v_mov_b32_e32 v35, 0
	v_mov_b32_e32 v34, 0
	v_mov_b32_e32 v33, 0
	v_mov_b32_e32 v32, 0
	s_and_saveexec_b64 s[10:11], s[4:5]
	s_cbranch_execz .LBB306_836
; %bb.431:
	v_max_i32_e32 v30, v30, v49
	v_cvt_f32_u32_e32 v0, v30
	v_add_co_u32_e32 v2, vcc, v24, v20
	v_addc_co_u32_e32 v4, vcc, v22, v23, vcc
	v_rcp_iflag_f32_e32 v0, v0
	v_and_b32_e32 v5, 0x1f8, v31
	v_add_co_u32_e32 v8, vcc, v2, v5
	v_mul_f32_e32 v0, 0x4f7ffffe, v0
	v_cvt_u32_f32_e32 v0, v0
	v_sub_u32_e32 v6, 0, v30
	v_addc_co_u32_e32 v9, vcc, 0, v4, vcc
	v_accvgpr_read_b32 v4, a12
	v_mul_lo_u32 v6, v6, v0
	v_accvgpr_read_b32 v5, a13
	v_mul_hi_u32 v6, v0, v6
	v_lshlrev_b64 v[4:5], 2, v[4:5]
	v_accvgpr_write_b32 a16, v50
	s_load_dword s4, s[8:9], 0x0
	v_add_u32_e32 v50, v0, v6
	v_add_co_u32_e32 v0, vcc, v28, v4
	v_addc_co_u32_e32 v2, vcc, v29, v5, vcc
	v_add_co_u32_e32 v10, vcc, v14, v0
	v_accvgpr_read_b32 v0, a17
	v_lshlrev_b32_e32 v0, 5, v0
	s_mov_b32 s22, s16
	s_mov_b32 s23, s16
	v_and_b32_e32 v53, 24, v31
	s_mov_b32 s12, -1
	v_add_u32_e32 v1, -1, v48
	v_lshl_or_b32 v0, v21, 7, v0
	s_mov_b32 s17, s16
	s_mov_b32 s18, s16
	;; [unrolled: 1-line block ×5, first 2 shown]
	v_pk_mov_b32 v[38:39], s[22:23], s[22:23] op_sel:[0,1]
	s_mov_b32 s13, 0xffffff
	v_accvgpr_write_b32 a18, v1
	v_mov_b32_e32 v1, 0
	v_accvgpr_read_b32 v3, a8
	v_addc_co_u32_e32 v11, vcc, v15, v2, vcc
	s_waitcnt lgkmcnt(0)
	v_add_u32_e32 v19, s4, v0
	s_mov_b64 s[28:29], 0
	v_pk_mov_b32 v[36:37], s[20:21], s[20:21] op_sel:[0,1]
	v_pk_mov_b32 v[34:35], s[18:19], s[18:19] op_sel:[0,1]
	;; [unrolled: 1-line block ×3, first 2 shown]
	s_movk_i32 s7, 0x80
	s_movk_i32 s15, 0x7f
	s_mov_b32 s30, 0x8000
	s_movk_i32 s31, 0x380
	s_mov_b32 s34, 0x3020706
	s_mov_b32 s35, 0x1000504
	s_mov_b32 s36, 0x5040100
	v_mov_b32_e32 v2, 0x2000
	v_accvgpr_read_b32 v5, a15
	v_accvgpr_write_b32 a15, v53
	s_branch .LBB306_434
.LBB306_432:                            ;   in Loop: Header=BB306_434 Depth=1
	s_or_b64 exec, exec, s[4:5]
	v_add_f32_e32 v4, v4, v5
	v_add_f32_e32 v33, v33, v4
	v_add_f32_e32 v4, v40, v17
	v_add_f32_e32 v34, v34, v4
	v_add_f32_e32 v4, v44, v27
	v_add_f32_e32 v35, v35, v4
	v_add_f32_e32 v4, v7, v48
	v_add_f32_e32 v36, v36, v4
	v_add_f32_e32 v4, v6, v22
	v_add_f32_e32 v37, v37, v4
	v_add_f32_e32 v4, v18, v26
	v_add_f32_e32 v38, v38, v4
	;;#ASMSTART
	v_pk_mul_f16 v4, v61, v14;

	;;#ASMEND
	;;#ASMSTART
	v_pk_mul_f16 v0, v60, v0;

	;;#ASMEND
	;; [unrolled: 4-line block ×4, first 2 shown]
	;;#ASMSTART
	v_pk_add_f16 v0, v4, v0;

	;;#ASMEND
	;;#ASMSTART
	v_pk_add_f16 v0, v0, v5;

	;;#ASMEND
	;; [unrolled: 4-line block ×3, first 2 shown]
	v_lshrrev_b32_e32 v4, 16, v0
	v_and_b32_e32 v0, 0xffff, v0
	;;#ASMSTART
	v_cvt_f32_f16 v0, v0;
	;;#ASMEND
	v_add_f32_e32 v15, v62, v43
	;;#ASMSTART
	v_cvt_f32_f16 v4, v4;
	;;#ASMEND
	v_add_f32_e32 v0, v0, v4
	v_add_f32_e32 v32, v32, v15
	;; [unrolled: 1-line block ×3, first 2 shown]
.LBB306_433:                            ;   in Loop: Header=BB306_434 Depth=1
	s_or_b64 exec, exec, s[16:17]
	v_accvgpr_read_b32 v4, a12
	v_add_co_u32_e32 v10, vcc, 8, v10
	v_add_u32_e32 v4, 2, v4
	v_addc_co_u32_e32 v11, vcc, 0, v11, vcc
	v_accvgpr_read_b32 v0, a11
	v_accvgpr_read_b32 v5, a13
	v_cmp_ge_i32_e32 vcc, v4, v0
	v_add_u32_e32 v5, 64, v5
	v_accvgpr_write_b32 a12, v4
	s_or_b64 s[28:29], vcc, s[28:29]
	v_add_u32_e32 v19, 0x100, v19
	s_andn2_b64 exec, exec, s[28:29]
	s_cbranch_execz .LBB306_835
.LBB306_434:                            ; =>This Inner Loop Header: Depth=1
	v_ashrrev_i32_e32 v0, 31, v5
	v_accvgpr_read_b32 v4, a9
	v_xor_b32_e32 v0, v0, v4
	v_sub_u32_e32 v4, 0, v5
	v_accvgpr_write_b32 a13, v5
	v_max_i32_e32 v4, v5, v4
	v_accvgpr_read_b32 v5, a7
	v_mul_hi_u32 v5, v4, v5
	v_accvgpr_read_b32 v7, a3
	v_mul_lo_u32 v6, v5, v7
	v_sub_u32_e32 v4, v4, v6
	v_add_u32_e32 v6, 1, v5
	v_cmp_ge_u32_e32 vcc, v4, v7
	v_cndmask_b32_e32 v5, v5, v6, vcc
	v_sub_u32_e32 v6, v4, v7
	v_cndmask_b32_e32 v4, v4, v6, vcc
	v_add_u32_e32 v6, 1, v5
	v_cmp_ge_u32_e32 vcc, v4, v7
	v_cndmask_b32_e32 v4, v5, v6, vcc
	v_xor_b32_e32 v4, v4, v0
	v_sub_u32_e32 v0, v4, v0
	v_accvgpr_read_b32 v4, a10
	v_add_u32_e32 v4, v0, v4
	v_sub_u32_e32 v6, 0, v4
	v_ashrrev_i32_e32 v5, 31, v4
	v_max_i32_e32 v4, v4, v6
	v_mul_hi_u32 v6, v4, v50
	v_mul_lo_u32 v6, v6, v30
	v_sub_u32_e32 v4, v4, v6
	v_sub_u32_e32 v6, v4, v30
	v_cmp_ge_u32_e32 vcc, v4, v30
	v_cndmask_b32_e32 v4, v4, v6, vcc
	v_sub_u32_e32 v6, v4, v30
	v_cmp_ge_u32_e32 vcc, v4, v30
	v_cndmask_b32_e32 v4, v4, v6, vcc
	v_xor_b32_e32 v4, v4, v5
	v_sub_u32_e32 v4, v4, v5
	v_cmp_eq_u32_e32 vcc, 0, v4
	v_accvgpr_read_b32 v4, a14
	v_cmp_gt_i32_e64 s[4:5], v0, v4
	s_or_b64 s[4:5], vcc, s[4:5]
	s_and_saveexec_b64 s[16:17], s[4:5]
	s_cbranch_execz .LBB306_433
; %bb.435:                              ;   in Loop: Header=BB306_434 Depth=1
	flat_load_dword v0, v[10:11]
	ds_read2_b64 v[4:7], v19 offset1:1
	ds_read2_b64 v[20:23], v19 offset0:2 offset1:3
	v_accvgpr_read_b32 v12, a6
	v_mov_b32_e32 v24, 0
	s_waitcnt lgkmcnt(0)
	;;#ASMSTART
	v_cvt_f16_f32 v4, v4;

	;;#ASMEND
	;;#ASMSTART
	v_cvt_f16_f32 v5, v5;

	;;#ASMEND
	;; [unrolled: 4-line block ×6, first 2 shown]
	v_accvgpr_read_b32 v21, a5
	;;#ASMSTART
	v_cvt_f16_f32 v18, v22;

	;;#ASMEND
	;;#ASMSTART
	v_cvt_f16_f32 v22, v23;

	;;#ASMEND
	v_accvgpr_read_b32 v20, a4
	flat_load_dword v14, v[20:21]
	v_mov_b32_e32 v20, 0
	s_waitcnt vmcnt(0)
	v_mad_i64_i32 v[12:13], s[4:5], v0, v12, v[8:9]
	flat_load_dwordx2 v[28:29], v[12:13]
	s_waitcnt vmcnt(0) lgkmcnt(0)
	v_cmp_ne_u16_sdwa s[18:19], v28, v1 src0_sel:BYTE_0 src1_sel:DWORD
	s_and_saveexec_b64 s[4:5], s[18:19]
	s_cbranch_execz .LBB306_441
; %bb.436:                              ;   in Loop: Header=BB306_434 Depth=1
	v_cmp_ne_u16_sdwa s[20:21], v28, s7 src0_sel:BYTE_0 src1_sel:DWORD
	v_bfrev_b32_e32 v20, 1
	s_and_saveexec_b64 s[18:19], s[20:21]
	s_cbranch_execz .LBB306_440
; %bb.437:                              ;   in Loop: Header=BB306_434 Depth=1
	v_and_b32_e32 v0, 0x7f, v28
	v_cmp_ne_u32_e32 vcc, s15, v0
	v_mov_b32_e32 v20, 0x7fc02000
	s_and_saveexec_b64 s[20:21], vcc
	s_cbranch_execz .LBB306_439
; %bb.438:                              ;   in Loop: Header=BB306_434 Depth=1
	v_and_b32_e32 v16, 7, v28
	v_ffbh_u32_e32 v16, v16
	v_min_u32_e32 v16, 32, v16
	v_subrev_u32_e32 v20, 28, v16
	v_cmp_gt_u32_e32 vcc, 8, v0
	v_lshrrev_b32_e32 v23, 3, v0
	v_sub_u32_e32 v16, 29, v16
	v_cndmask_b32_e32 v0, 0, v20, vcc
	v_lshlrev_b64 v[20:21], v0, v[28:29]
	v_cndmask_b32_e32 v0, v23, v16, vcc
	v_lshlrev_b32_e32 v16, 7, v20
	v_lshlrev_b32_e32 v20, 8, v28
	v_lshl_add_u32 v0, v0, 10, v2
	v_and_or_b32 v0, v20, s30, v0
	v_and_or_b32 v0, v16, s31, v0
	v_cvt_f32_f16_e32 v20, v0
.LBB306_439:                            ;   in Loop: Header=BB306_434 Depth=1
	s_or_b64 exec, exec, s[20:21]
.LBB306_440:                            ;   in Loop: Header=BB306_434 Depth=1
	s_or_b64 exec, exec, s[18:19]
.LBB306_441:                            ;   in Loop: Header=BB306_434 Depth=1
	s_or_b64 exec, exec, s[4:5]
	v_lshrrev_b16_e32 v0, 8, v28
	v_cmp_ne_u16_e32 vcc, 0, v0
	s_and_saveexec_b64 s[4:5], vcc
	s_cbranch_execz .LBB306_447
; %bb.442:                              ;   in Loop: Header=BB306_434 Depth=1
	v_cmp_ne_u16_e32 vcc, s7, v0
	v_bfrev_b32_e32 v24, 1
	s_and_saveexec_b64 s[18:19], vcc
	s_cbranch_execz .LBB306_446
; %bb.443:                              ;   in Loop: Header=BB306_434 Depth=1
	v_and_b32_e32 v16, 0x7f, v0
	v_cmp_ne_u32_e32 vcc, s15, v16
	v_mov_b32_e32 v24, 0x7fc02000
	s_and_saveexec_b64 s[20:21], vcc
	s_cbranch_execz .LBB306_445
; %bb.444:                              ;   in Loop: Header=BB306_434 Depth=1
	v_and_b32_e32 v21, 7, v0
	v_ffbh_u32_e32 v24, v21
	v_min_u32_e32 v26, 32, v24
	v_subrev_u32_e32 v24, 28, v26
	v_lshlrev_b64 v[24:25], v24, v[0:1]
	v_lshrrev_b32_e32 v23, 3, v16
	v_sub_u32_e32 v25, 29, v26
	v_cmp_gt_u32_e32 vcc, 8, v16
	v_cndmask_b32_e32 v16, v23, v25, vcc
	v_and_b32_e32 v24, 7, v24
	v_lshlrev_b32_e32 v0, 8, v0
	v_lshl_add_u32 v16, v16, 10, v2
	v_cndmask_b32_e32 v21, v21, v24, vcc
	v_and_or_b32 v0, v0, s30, v16
	v_lshl_or_b32 v0, v21, 7, v0
	v_cvt_f32_f16_e32 v24, v0
.LBB306_445:                            ;   in Loop: Header=BB306_434 Depth=1
	s_or_b64 exec, exec, s[20:21]
.LBB306_446:                            ;   in Loop: Header=BB306_434 Depth=1
	s_or_b64 exec, exec, s[18:19]
.LBB306_447:                            ;   in Loop: Header=BB306_434 Depth=1
	s_or_b64 exec, exec, s[4:5]
	v_lshrrev_b32_e32 v0, 16, v28
	v_cmp_ne_u16_sdwa s[18:19], v0, v1 src0_sel:BYTE_0 src1_sel:DWORD
	v_mov_b32_e32 v25, 0
	v_mov_b32_e32 v21, 0
	s_and_saveexec_b64 s[4:5], s[18:19]
	s_cbranch_execz .LBB306_453
; %bb.448:                              ;   in Loop: Header=BB306_434 Depth=1
	v_cmp_ne_u16_sdwa s[20:21], v0, s7 src0_sel:BYTE_0 src1_sel:DWORD
	v_bfrev_b32_e32 v21, 1
	s_and_saveexec_b64 s[18:19], s[20:21]
	s_cbranch_execz .LBB306_452
; %bb.449:                              ;   in Loop: Header=BB306_434 Depth=1
	v_bfe_u32 v16, v28, 16, 7
	v_cmp_ne_u32_e32 vcc, s15, v16
	v_mov_b32_e32 v21, 0x7fc02000
	s_and_saveexec_b64 s[20:21], vcc
	s_cbranch_execz .LBB306_451
; %bb.450:                              ;   in Loop: Header=BB306_434 Depth=1
	v_and_b32_e32 v21, 7, v0
	v_ffbh_u32_e32 v26, v21
	v_min_u32_e32 v31, 32, v26
	v_subrev_u32_e32 v26, 28, v31
	v_lshlrev_b64 v[26:27], v26, v[0:1]
	v_lshrrev_b32_e32 v23, 3, v16
	v_sub_u32_e32 v27, 29, v31
	v_cmp_gt_u32_e32 vcc, 8, v16
	v_cndmask_b32_e32 v16, v23, v27, vcc
	v_and_b32_e32 v26, 7, v26
	v_lshlrev_b32_e32 v0, 8, v0
	v_lshl_add_u32 v16, v16, 10, v2
	v_cndmask_b32_e32 v21, v21, v26, vcc
	v_and_or_b32 v0, v0, s30, v16
	v_lshl_or_b32 v0, v21, 7, v0
	v_cvt_f32_f16_e32 v21, v0
.LBB306_451:                            ;   in Loop: Header=BB306_434 Depth=1
	s_or_b64 exec, exec, s[20:21]
.LBB306_452:                            ;   in Loop: Header=BB306_434 Depth=1
	s_or_b64 exec, exec, s[18:19]
.LBB306_453:                            ;   in Loop: Header=BB306_434 Depth=1
	s_or_b64 exec, exec, s[4:5]
	v_cmp_lt_u32_e32 vcc, s13, v28
	s_and_saveexec_b64 s[4:5], vcc
	s_cbranch_execz .LBB306_459
; %bb.454:                              ;   in Loop: Header=BB306_434 Depth=1
	v_lshrrev_b32_e32 v0, 24, v28
	v_cmp_ne_u32_e32 vcc, s7, v0
	v_bfrev_b32_e32 v25, 1
	s_and_saveexec_b64 s[18:19], vcc
	s_cbranch_execz .LBB306_458
; %bb.455:                              ;   in Loop: Header=BB306_434 Depth=1
	v_and_b32_e32 v16, 0x7f, v0
	v_cmp_ne_u32_e32 vcc, s15, v16
	v_mov_b32_e32 v25, 0x7fc02000
	s_and_saveexec_b64 s[20:21], vcc
	s_cbranch_execz .LBB306_457
; %bb.456:                              ;   in Loop: Header=BB306_434 Depth=1
	v_and_b32_e32 v23, 7, v0
	v_ffbh_u32_e32 v26, v23
	v_min_u32_e32 v31, 32, v26
	v_subrev_u32_e32 v26, 28, v31
	v_lshlrev_b64 v[26:27], v26, v[0:1]
	v_lshrrev_b32_e32 v25, 3, v16
	v_sub_u32_e32 v27, 29, v31
	v_cmp_gt_u32_e32 vcc, 8, v16
	v_cndmask_b32_e32 v16, v25, v27, vcc
	v_and_b32_e32 v26, 7, v26
	v_lshlrev_b32_e32 v0, 8, v0
	v_lshl_add_u32 v16, v16, 10, v2
	v_cndmask_b32_e32 v23, v23, v26, vcc
	v_and_or_b32 v0, v0, s30, v16
	v_lshl_or_b32 v0, v23, 7, v0
	v_cvt_f32_f16_e32 v25, v0
.LBB306_457:                            ;   in Loop: Header=BB306_434 Depth=1
	s_or_b64 exec, exec, s[20:21]
.LBB306_458:                            ;   in Loop: Header=BB306_434 Depth=1
	s_or_b64 exec, exec, s[18:19]
.LBB306_459:                            ;   in Loop: Header=BB306_434 Depth=1
	s_or_b64 exec, exec, s[4:5]
	v_mov_b32_e32 v0, v29
	v_cmp_ne_u16_sdwa s[18:19], v29, v1 src0_sel:BYTE_0 src1_sel:DWORD
	v_mov_b32_e32 v26, 0
	v_mov_b32_e32 v16, 0
	s_and_saveexec_b64 s[4:5], s[18:19]
	s_cbranch_execz .LBB306_465
; %bb.460:                              ;   in Loop: Header=BB306_434 Depth=1
	v_cmp_ne_u16_sdwa s[20:21], v29, s7 src0_sel:BYTE_0 src1_sel:DWORD
	v_bfrev_b32_e32 v16, 1
	s_and_saveexec_b64 s[18:19], s[20:21]
	s_cbranch_execz .LBB306_464
; %bb.461:                              ;   in Loop: Header=BB306_434 Depth=1
	v_and_b32_e32 v23, 0x7f, v29
	v_cmp_ne_u32_e32 vcc, s15, v23
	v_mov_b32_e32 v16, 0x7fc02000
	s_and_saveexec_b64 s[20:21], vcc
	s_cbranch_execz .LBB306_463
; %bb.462:                              ;   in Loop: Header=BB306_434 Depth=1
	v_and_b32_e32 v16, 7, v29
	v_ffbh_u32_e32 v16, v16
	v_min_u32_e32 v16, 32, v16
	v_lshrrev_b32_e32 v27, 3, v23
	v_subrev_u32_e32 v31, 28, v16
	v_sub_u32_e32 v16, 29, v16
	v_cmp_gt_u32_e32 vcc, 8, v23
	v_cndmask_b32_e32 v23, 0, v31, vcc
	v_cndmask_b32_e32 v16, v27, v16, vcc
	v_lshlrev_b64 v[48:49], v23, v[0:1]
	v_lshlrev_b32_e32 v27, 8, v29
	v_lshl_add_u32 v16, v16, 10, v2
	v_lshlrev_b32_e32 v23, 7, v48
	v_and_or_b32 v16, v27, s30, v16
	v_and_or_b32 v16, v23, s31, v16
	v_cvt_f32_f16_e32 v16, v16
.LBB306_463:                            ;   in Loop: Header=BB306_434 Depth=1
	s_or_b64 exec, exec, s[20:21]
.LBB306_464:                            ;   in Loop: Header=BB306_434 Depth=1
	s_or_b64 exec, exec, s[18:19]
.LBB306_465:                            ;   in Loop: Header=BB306_434 Depth=1
	s_or_b64 exec, exec, s[4:5]
	v_lshrrev_b16_e32 v0, 8, v0
	v_cmp_ne_u16_e32 vcc, 0, v0
	s_and_saveexec_b64 s[4:5], vcc
	s_cbranch_execz .LBB306_471
; %bb.466:                              ;   in Loop: Header=BB306_434 Depth=1
	v_cmp_ne_u16_e32 vcc, s7, v0
	v_bfrev_b32_e32 v26, 1
	s_and_saveexec_b64 s[18:19], vcc
	s_cbranch_execz .LBB306_470
; %bb.467:                              ;   in Loop: Header=BB306_434 Depth=1
	v_and_b32_e32 v23, 0x7f, v0
	v_cmp_ne_u32_e32 vcc, s15, v23
	v_mov_b32_e32 v26, 0x7fc02000
	s_and_saveexec_b64 s[20:21], vcc
	s_cbranch_execz .LBB306_469
; %bb.468:                              ;   in Loop: Header=BB306_434 Depth=1
	v_and_b32_e32 v31, 7, v0
	v_ffbh_u32_e32 v26, v31
	v_min_u32_e32 v49, 32, v26
	v_subrev_u32_e32 v26, 28, v49
	v_lshlrev_b64 v[26:27], v26, v[0:1]
	v_lshrrev_b32_e32 v48, 3, v23
	v_sub_u32_e32 v27, 29, v49
	v_cmp_gt_u32_e32 vcc, 8, v23
	v_cndmask_b32_e32 v23, v48, v27, vcc
	v_and_b32_e32 v26, 7, v26
	v_lshlrev_b32_e32 v0, 8, v0
	v_lshl_add_u32 v23, v23, 10, v2
	v_cndmask_b32_e32 v26, v31, v26, vcc
	v_and_or_b32 v0, v0, s30, v23
	v_lshl_or_b32 v0, v26, 7, v0
	v_cvt_f32_f16_e32 v26, v0
.LBB306_469:                            ;   in Loop: Header=BB306_434 Depth=1
	s_or_b64 exec, exec, s[20:21]
.LBB306_470:                            ;   in Loop: Header=BB306_434 Depth=1
	s_or_b64 exec, exec, s[18:19]
.LBB306_471:                            ;   in Loop: Header=BB306_434 Depth=1
	s_or_b64 exec, exec, s[4:5]
	v_lshrrev_b32_e32 v0, 16, v29
	v_cmp_ne_u16_sdwa s[18:19], v0, v1 src0_sel:BYTE_0 src1_sel:DWORD
	v_mov_b32_e32 v27, 0
	v_mov_b32_e32 v31, 0
	s_and_saveexec_b64 s[4:5], s[18:19]
	s_cbranch_execz .LBB306_477
; %bb.472:                              ;   in Loop: Header=BB306_434 Depth=1
	v_cmp_ne_u16_sdwa s[20:21], v0, s7 src0_sel:BYTE_0 src1_sel:DWORD
	v_bfrev_b32_e32 v31, 1
	s_and_saveexec_b64 s[18:19], s[20:21]
	s_cbranch_execz .LBB306_476
; %bb.473:                              ;   in Loop: Header=BB306_434 Depth=1
	v_bfe_u32 v23, v29, 16, 7
	v_cmp_ne_u32_e32 vcc, s15, v23
	v_mov_b32_e32 v31, 0x7fc02000
	s_and_saveexec_b64 s[20:21], vcc
	s_cbranch_execz .LBB306_475
; %bb.474:                              ;   in Loop: Header=BB306_434 Depth=1
	v_and_b32_e32 v31, 7, v0
	v_ffbh_u32_e32 v48, v31
	v_min_u32_e32 v52, 32, v48
	v_subrev_u32_e32 v48, 28, v52
	v_lshlrev_b64 v[48:49], v48, v[0:1]
	v_lshrrev_b32_e32 v51, 3, v23
	v_sub_u32_e32 v49, 29, v52
	v_cmp_gt_u32_e32 vcc, 8, v23
	v_cndmask_b32_e32 v23, v51, v49, vcc
	v_and_b32_e32 v48, 7, v48
	v_lshlrev_b32_e32 v0, 8, v0
	v_lshl_add_u32 v23, v23, 10, v2
	v_cndmask_b32_e32 v31, v31, v48, vcc
	v_and_or_b32 v0, v0, s30, v23
	v_lshl_or_b32 v0, v31, 7, v0
	v_cvt_f32_f16_e32 v31, v0
.LBB306_475:                            ;   in Loop: Header=BB306_434 Depth=1
	s_or_b64 exec, exec, s[20:21]
.LBB306_476:                            ;   in Loop: Header=BB306_434 Depth=1
	s_or_b64 exec, exec, s[18:19]
.LBB306_477:                            ;   in Loop: Header=BB306_434 Depth=1
	s_or_b64 exec, exec, s[4:5]
	v_cmp_lt_u64_e32 vcc, s[12:13], v[28:29]
	s_and_saveexec_b64 s[4:5], vcc
	s_cbranch_execz .LBB306_483
; %bb.478:                              ;   in Loop: Header=BB306_434 Depth=1
	v_lshrrev_b32_e32 v0, 24, v29
	v_cmp_ne_u32_e32 vcc, s7, v0
	v_bfrev_b32_e32 v27, 1
	s_and_saveexec_b64 s[18:19], vcc
	s_cbranch_execz .LBB306_482
; %bb.479:                              ;   in Loop: Header=BB306_434 Depth=1
	v_and_b32_e32 v23, 0x7f, v0
	v_cmp_ne_u32_e32 vcc, s15, v23
	v_mov_b32_e32 v27, 0x7fc02000
	s_and_saveexec_b64 s[20:21], vcc
	s_cbranch_execz .LBB306_481
; %bb.480:                              ;   in Loop: Header=BB306_434 Depth=1
	v_and_b32_e32 v27, 7, v0
	v_ffbh_u32_e32 v28, v27
	v_min_u32_e32 v49, 32, v28
	v_subrev_u32_e32 v28, 28, v49
	v_lshlrev_b64 v[28:29], v28, v[0:1]
	v_lshrrev_b32_e32 v48, 3, v23
	v_sub_u32_e32 v29, 29, v49
	v_cmp_gt_u32_e32 vcc, 8, v23
	v_cndmask_b32_e32 v23, v48, v29, vcc
	v_and_b32_e32 v28, 7, v28
	v_lshlrev_b32_e32 v0, 8, v0
	v_lshl_add_u32 v23, v23, 10, v2
	v_cndmask_b32_e32 v27, v27, v28, vcc
	v_and_or_b32 v0, v0, s30, v23
	v_lshl_or_b32 v0, v27, 7, v0
	v_cvt_f32_f16_e32 v27, v0
.LBB306_481:                            ;   in Loop: Header=BB306_434 Depth=1
	s_or_b64 exec, exec, s[20:21]
.LBB306_482:                            ;   in Loop: Header=BB306_434 Depth=1
	s_or_b64 exec, exec, s[18:19]
.LBB306_483:                            ;   in Loop: Header=BB306_434 Depth=1
	s_or_b64 exec, exec, s[4:5]
	v_pk_mul_f32 v[24:25], v[14:15], v[24:25] op_sel_hi:[0,1]
	v_pk_mul_f32 v[20:21], v[14:15], v[20:21] op_sel_hi:[0,1]
	v_cvt_f16_f32_e32 v0, v25
	v_cvt_f16_f32_e32 v24, v24
	;; [unrolled: 1-line block ×4, first 2 shown]
	v_accvgpr_read_b32 v23, a13
	v_pack_b32_f16 v24, v24, v0
	v_fma_mixlo_f16 v16, v14, v16, 0
	v_pack_b32_f16 v20, v20, v21
	v_perm_b32 v0, v20, v24, s34
	v_perm_b32 v20, v20, v24, s35
	v_fma_mixlo_f16 v21, v14, v26, 0
	v_fma_mixlo_f16 v24, v14, v31, 0
	;; [unrolled: 1-line block ×3, first 2 shown]
	v_add_u32_e32 v23, v53, v23
	v_accvgpr_read_b32 v28, a12
	v_accvgpr_read_b32 v25, a18
	v_lshlrev_b32_e32 v21, 16, v21
	v_lshlrev_b32_e32 v14, 16, v14
	v_cmp_eq_u32_e32 vcc, v25, v28
	v_or_b32_sdwa v21, v21, v16 dst_sel:DWORD dst_unused:UNUSED_PAD src0_sel:DWORD src1_sel:WORD_0
	v_or_b32_sdwa v14, v14, v24 dst_sel:DWORD dst_unused:UNUSED_PAD src0_sel:DWORD src1_sel:WORD_0
	v_add_u32_e32 v57, 1, v23
	v_or_b32_e32 v56, 3, v23
	v_or_b32_e32 v47, 2, v23
	;; [unrolled: 1-line block ×6, first 2 shown]
	s_and_saveexec_b64 s[18:19], vcc
	s_cbranch_execz .LBB306_485
; %bb.484:                              ;   in Loop: Header=BB306_434 Depth=1
	v_lshrrev_b32_e32 v25, 16, v20
	v_cmp_lt_i32_e64 s[4:5], v57, v3
	v_accvgpr_read_b32 v26, a8
	v_cndmask_b32_e64 v25, 0, v25, s[4:5]
	v_cmp_lt_i32_e64 s[4:5], v23, v26
	v_cndmask_b32_e64 v20, 0, v20, s[4:5]
	v_perm_b32 v20, v25, v20, s36
	v_lshrrev_b32_e32 v25, 16, v0
	v_cmp_lt_i32_e64 s[4:5], v56, v3
	v_cndmask_b32_e64 v25, 0, v25, s[4:5]
	v_cmp_lt_i32_e64 s[4:5], v47, v26
	v_cndmask_b32_e64 v0, 0, v0, s[4:5]
	v_perm_b32 v0, v25, v0, s36
	v_lshrrev_b32_e32 v25, 16, v21
	v_cmp_lt_i32_e64 s[4:5], v46, v3
	v_cndmask_b32_e64 v25, 0, v25, s[4:5]
	v_cmp_lt_i32_e64 s[4:5], v45, v26
	v_cndmask_b32_e64 v21, 0, v21, s[4:5]
	v_lshrrev_b32_e32 v14, 16, v14
	v_cmp_lt_i32_e64 s[4:5], v16, v3
	v_cndmask_b32_e64 v14, 0, v14, s[4:5]
	v_cmp_lt_i32_e64 s[4:5], v52, v26
	v_cndmask_b32_e64 v24, 0, v24, s[4:5]
	v_perm_b32 v21, v25, v21, s36
	v_perm_b32 v14, v14, v24, s36
.LBB306_485:                            ;   in Loop: Header=BB306_434 Depth=1
	s_or_b64 exec, exec, s[18:19]
	v_and_b32_e32 v4, 0xffff, v4
	v_lshl_or_b32 v61, v5, 16, v4
	v_and_b32_e32 v4, 0xffff, v6
	v_lshl_or_b32 v60, v7, 16, v4
	;; [unrolled: 2-line block ×4, first 2 shown]
	;;#ASMSTART
	v_pk_mul_f16 v4, v61, v20;

	;;#ASMEND
	;;#ASMSTART
	v_pk_mul_f16 v0, v60, v0;

	;;#ASMEND
	;; [unrolled: 4-line block ×4, first 2 shown]
	;;#ASMSTART
	v_pk_add_f16 v0, v4, v0;

	;;#ASMEND
	;;#ASMSTART
	v_pk_add_f16 v0, v0, v5;

	;;#ASMEND
	;;#ASMSTART
	v_pk_add_f16 v0, v0, v6;

	;;#ASMEND
	v_lshrrev_b32_e32 v4, 16, v0
	v_and_b32_e32 v0, 0xffff, v0
	;;#ASMSTART
	v_cvt_f32_f16 v62, v0;
	;;#ASMEND
	;;#ASMSTART
	v_cvt_f32_f16 v43, v4;
	;;#ASMEND
	v_accvgpr_read_b32 v4, a4
	flat_load_dwordx2 v[28:29], v[12:13] offset:512
	v_accvgpr_read_b32 v5, a5
	flat_load_dword v14, v[4:5]
	v_mov_b32_e32 v24, 0
	v_mov_b32_e32 v20, 0
	s_waitcnt vmcnt(0) lgkmcnt(0)
	v_cmp_ne_u16_sdwa s[4:5], v28, v1 src0_sel:BYTE_0 src1_sel:DWORD
	s_and_saveexec_b64 s[18:19], s[4:5]
	s_cbranch_execz .LBB306_491
; %bb.486:                              ;   in Loop: Header=BB306_434 Depth=1
	v_cmp_ne_u16_sdwa s[4:5], v28, s7 src0_sel:BYTE_0 src1_sel:DWORD
	v_bfrev_b32_e32 v20, 1
	s_and_saveexec_b64 s[20:21], s[4:5]
	s_cbranch_execz .LBB306_490
; %bb.487:                              ;   in Loop: Header=BB306_434 Depth=1
	v_and_b32_e32 v0, 0x7f, v28
	v_cmp_ne_u32_e64 s[4:5], s15, v0
	v_mov_b32_e32 v20, 0x7fc02000
	s_and_saveexec_b64 s[22:23], s[4:5]
	s_cbranch_execz .LBB306_489
; %bb.488:                              ;   in Loop: Header=BB306_434 Depth=1
	v_and_b32_e32 v4, 7, v28
	v_ffbh_u32_e32 v4, v4
	v_min_u32_e32 v4, 32, v4
	v_subrev_u32_e32 v5, 28, v4
	v_cmp_gt_u32_e64 s[4:5], 8, v0
	v_lshrrev_b32_e32 v6, 3, v0
	v_sub_u32_e32 v7, 29, v4
	v_cndmask_b32_e64 v0, 0, v5, s[4:5]
	v_lshlrev_b64 v[4:5], v0, v[28:29]
	v_cndmask_b32_e64 v0, v6, v7, s[4:5]
	v_lshlrev_b32_e32 v5, 8, v28
	v_lshl_add_u32 v0, v0, 10, v2
	v_lshlrev_b32_e32 v4, 7, v4
	v_and_or_b32 v0, v5, s30, v0
	v_and_or_b32 v0, v4, s31, v0
	v_cvt_f32_f16_e32 v20, v0
.LBB306_489:                            ;   in Loop: Header=BB306_434 Depth=1
	s_or_b64 exec, exec, s[22:23]
.LBB306_490:                            ;   in Loop: Header=BB306_434 Depth=1
	s_or_b64 exec, exec, s[20:21]
.LBB306_491:                            ;   in Loop: Header=BB306_434 Depth=1
	s_or_b64 exec, exec, s[18:19]
	v_lshrrev_b16_e32 v0, 8, v28
	v_cmp_ne_u16_e64 s[4:5], 0, v0
	s_and_saveexec_b64 s[18:19], s[4:5]
	s_cbranch_execz .LBB306_497
; %bb.492:                              ;   in Loop: Header=BB306_434 Depth=1
	v_cmp_ne_u16_e64 s[4:5], s7, v0
	v_bfrev_b32_e32 v24, 1
	s_and_saveexec_b64 s[20:21], s[4:5]
	s_cbranch_execz .LBB306_496
; %bb.493:                              ;   in Loop: Header=BB306_434 Depth=1
	v_and_b32_e32 v4, 0x7f, v0
	v_cmp_ne_u32_e64 s[4:5], s15, v4
	v_mov_b32_e32 v24, 0x7fc02000
	s_and_saveexec_b64 s[22:23], s[4:5]
	s_cbranch_execz .LBB306_495
; %bb.494:                              ;   in Loop: Header=BB306_434 Depth=1
	v_and_b32_e32 v5, 7, v0
	v_ffbh_u32_e32 v6, v5
	v_min_u32_e32 v17, 32, v6
	v_subrev_u32_e32 v6, 28, v17
	v_lshlrev_b64 v[6:7], v6, v[0:1]
	v_lshrrev_b32_e32 v15, 3, v4
	v_sub_u32_e32 v7, 29, v17
	v_cmp_gt_u32_e64 s[4:5], 8, v4
	v_cndmask_b32_e64 v4, v15, v7, s[4:5]
	v_and_b32_e32 v6, 7, v6
	v_lshlrev_b32_e32 v0, 8, v0
	v_lshl_add_u32 v4, v4, 10, v2
	v_cndmask_b32_e64 v5, v5, v6, s[4:5]
	v_and_or_b32 v0, v0, s30, v4
	v_lshl_or_b32 v0, v5, 7, v0
	v_cvt_f32_f16_e32 v24, v0
.LBB306_495:                            ;   in Loop: Header=BB306_434 Depth=1
	s_or_b64 exec, exec, s[22:23]
.LBB306_496:                            ;   in Loop: Header=BB306_434 Depth=1
	s_or_b64 exec, exec, s[20:21]
.LBB306_497:                            ;   in Loop: Header=BB306_434 Depth=1
	s_or_b64 exec, exec, s[18:19]
	v_lshrrev_b32_e32 v0, 16, v28
	v_cmp_ne_u16_sdwa s[4:5], v0, v1 src0_sel:BYTE_0 src1_sel:DWORD
	v_mov_b32_e32 v25, 0
	v_mov_b32_e32 v21, 0
	s_and_saveexec_b64 s[18:19], s[4:5]
	s_cbranch_execz .LBB306_503
; %bb.498:                              ;   in Loop: Header=BB306_434 Depth=1
	v_cmp_ne_u16_sdwa s[4:5], v0, s7 src0_sel:BYTE_0 src1_sel:DWORD
	v_bfrev_b32_e32 v21, 1
	s_and_saveexec_b64 s[20:21], s[4:5]
	s_cbranch_execz .LBB306_502
; %bb.499:                              ;   in Loop: Header=BB306_434 Depth=1
	v_bfe_u32 v4, v28, 16, 7
	v_cmp_ne_u32_e64 s[4:5], s15, v4
	v_mov_b32_e32 v21, 0x7fc02000
	s_and_saveexec_b64 s[22:23], s[4:5]
	s_cbranch_execz .LBB306_501
; %bb.500:                              ;   in Loop: Header=BB306_434 Depth=1
	v_and_b32_e32 v5, 7, v0
	v_ffbh_u32_e32 v6, v5
	v_min_u32_e32 v17, 32, v6
	v_subrev_u32_e32 v6, 28, v17
	v_lshlrev_b64 v[6:7], v6, v[0:1]
	v_lshrrev_b32_e32 v15, 3, v4
	v_sub_u32_e32 v7, 29, v17
	v_cmp_gt_u32_e64 s[4:5], 8, v4
	v_cndmask_b32_e64 v4, v15, v7, s[4:5]
	v_and_b32_e32 v6, 7, v6
	v_lshlrev_b32_e32 v0, 8, v0
	v_lshl_add_u32 v4, v4, 10, v2
	v_cndmask_b32_e64 v5, v5, v6, s[4:5]
	v_and_or_b32 v0, v0, s30, v4
	v_lshl_or_b32 v0, v5, 7, v0
	v_cvt_f32_f16_e32 v21, v0
.LBB306_501:                            ;   in Loop: Header=BB306_434 Depth=1
	s_or_b64 exec, exec, s[22:23]
.LBB306_502:                            ;   in Loop: Header=BB306_434 Depth=1
	s_or_b64 exec, exec, s[20:21]
.LBB306_503:                            ;   in Loop: Header=BB306_434 Depth=1
	s_or_b64 exec, exec, s[18:19]
	v_cmp_lt_u32_e64 s[4:5], s13, v28
	s_and_saveexec_b64 s[18:19], s[4:5]
	s_cbranch_execz .LBB306_509
; %bb.504:                              ;   in Loop: Header=BB306_434 Depth=1
	v_lshrrev_b32_e32 v0, 24, v28
	v_cmp_ne_u32_e64 s[4:5], s7, v0
	v_bfrev_b32_e32 v25, 1
	s_and_saveexec_b64 s[20:21], s[4:5]
	s_cbranch_execz .LBB306_508
; %bb.505:                              ;   in Loop: Header=BB306_434 Depth=1
	v_and_b32_e32 v4, 0x7f, v0
	v_cmp_ne_u32_e64 s[4:5], s15, v4
	v_mov_b32_e32 v25, 0x7fc02000
	s_and_saveexec_b64 s[22:23], s[4:5]
	s_cbranch_execz .LBB306_507
; %bb.506:                              ;   in Loop: Header=BB306_434 Depth=1
	v_and_b32_e32 v5, 7, v0
	v_ffbh_u32_e32 v6, v5
	v_min_u32_e32 v17, 32, v6
	v_subrev_u32_e32 v6, 28, v17
	v_lshlrev_b64 v[6:7], v6, v[0:1]
	v_lshrrev_b32_e32 v15, 3, v4
	v_sub_u32_e32 v7, 29, v17
	v_cmp_gt_u32_e64 s[4:5], 8, v4
	v_cndmask_b32_e64 v4, v15, v7, s[4:5]
	v_and_b32_e32 v6, 7, v6
	v_lshlrev_b32_e32 v0, 8, v0
	v_lshl_add_u32 v4, v4, 10, v2
	v_cndmask_b32_e64 v5, v5, v6, s[4:5]
	v_and_or_b32 v0, v0, s30, v4
	v_lshl_or_b32 v0, v5, 7, v0
	v_cvt_f32_f16_e32 v25, v0
.LBB306_507:                            ;   in Loop: Header=BB306_434 Depth=1
	s_or_b64 exec, exec, s[22:23]
.LBB306_508:                            ;   in Loop: Header=BB306_434 Depth=1
	s_or_b64 exec, exec, s[20:21]
.LBB306_509:                            ;   in Loop: Header=BB306_434 Depth=1
	s_or_b64 exec, exec, s[18:19]
	v_mov_b32_e32 v0, v29
	v_cmp_ne_u16_sdwa s[4:5], v29, v1 src0_sel:BYTE_0 src1_sel:DWORD
	v_mov_b32_e32 v5, 0
	v_mov_b32_e32 v4, 0
	s_and_saveexec_b64 s[18:19], s[4:5]
	s_cbranch_execz .LBB306_515
; %bb.510:                              ;   in Loop: Header=BB306_434 Depth=1
	v_cmp_ne_u16_sdwa s[4:5], v29, s7 src0_sel:BYTE_0 src1_sel:DWORD
	v_bfrev_b32_e32 v4, 1
	s_and_saveexec_b64 s[20:21], s[4:5]
	s_cbranch_execz .LBB306_514
; %bb.511:                              ;   in Loop: Header=BB306_434 Depth=1
	v_and_b32_e32 v6, 0x7f, v29
	v_cmp_ne_u32_e64 s[4:5], s15, v6
	v_mov_b32_e32 v4, 0x7fc02000
	s_and_saveexec_b64 s[22:23], s[4:5]
	s_cbranch_execz .LBB306_513
; %bb.512:                              ;   in Loop: Header=BB306_434 Depth=1
	v_and_b32_e32 v4, 7, v29
	v_ffbh_u32_e32 v4, v4
	v_min_u32_e32 v4, 32, v4
	v_subrev_u32_e32 v7, 28, v4
	v_cmp_gt_u32_e64 s[4:5], 8, v6
	v_lshrrev_b32_e32 v15, 3, v6
	v_sub_u32_e32 v4, 29, v4
	v_cndmask_b32_e64 v6, 0, v7, s[4:5]
	v_lshlrev_b64 v[6:7], v6, v[0:1]
	v_cndmask_b32_e64 v4, v15, v4, s[4:5]
	v_lshlrev_b32_e32 v7, 8, v29
	v_lshl_add_u32 v4, v4, 10, v2
	v_lshlrev_b32_e32 v6, 7, v6
	v_and_or_b32 v4, v7, s30, v4
	v_and_or_b32 v4, v6, s31, v4
	v_cvt_f32_f16_e32 v4, v4
.LBB306_513:                            ;   in Loop: Header=BB306_434 Depth=1
	s_or_b64 exec, exec, s[22:23]
.LBB306_514:                            ;   in Loop: Header=BB306_434 Depth=1
	s_or_b64 exec, exec, s[20:21]
.LBB306_515:                            ;   in Loop: Header=BB306_434 Depth=1
	s_or_b64 exec, exec, s[18:19]
	v_lshrrev_b16_e32 v0, 8, v0
	v_cmp_ne_u16_e64 s[4:5], 0, v0
	s_and_saveexec_b64 s[18:19], s[4:5]
	s_cbranch_execz .LBB306_521
; %bb.516:                              ;   in Loop: Header=BB306_434 Depth=1
	v_cmp_ne_u16_e64 s[4:5], s7, v0
	v_bfrev_b32_e32 v5, 1
	s_and_saveexec_b64 s[20:21], s[4:5]
	s_cbranch_execz .LBB306_520
; %bb.517:                              ;   in Loop: Header=BB306_434 Depth=1
	v_and_b32_e32 v6, 0x7f, v0
	v_cmp_ne_u32_e64 s[4:5], s15, v6
	v_mov_b32_e32 v5, 0x7fc02000
	s_and_saveexec_b64 s[22:23], s[4:5]
	s_cbranch_execz .LBB306_519
; %bb.518:                              ;   in Loop: Header=BB306_434 Depth=1
	v_and_b32_e32 v5, 7, v0
	v_ffbh_u32_e32 v15, v5
	v_min_u32_e32 v15, 32, v15
	v_lshrrev_b32_e32 v7, 3, v6
	v_subrev_u32_e32 v17, 28, v15
	v_sub_u32_e32 v15, 29, v15
	v_cmp_gt_u32_e64 s[4:5], 8, v6
	v_lshlrev_b64 v[26:27], v17, v[0:1]
	v_cndmask_b32_e64 v6, v7, v15, s[4:5]
	v_and_b32_e32 v17, 7, v26
	v_lshlrev_b32_e32 v0, 8, v0
	v_lshl_add_u32 v6, v6, 10, v2
	v_cndmask_b32_e64 v5, v5, v17, s[4:5]
	v_and_or_b32 v0, v0, s30, v6
	v_lshl_or_b32 v0, v5, 7, v0
	v_cvt_f32_f16_e32 v5, v0
.LBB306_519:                            ;   in Loop: Header=BB306_434 Depth=1
	s_or_b64 exec, exec, s[22:23]
.LBB306_520:                            ;   in Loop: Header=BB306_434 Depth=1
	s_or_b64 exec, exec, s[20:21]
.LBB306_521:                            ;   in Loop: Header=BB306_434 Depth=1
	s_or_b64 exec, exec, s[18:19]
	v_lshrrev_b32_e32 v0, 16, v29
	v_cmp_ne_u16_sdwa s[4:5], v0, v1 src0_sel:BYTE_0 src1_sel:DWORD
	v_mov_b32_e32 v6, 0
	v_mov_b32_e32 v7, 0
	s_and_saveexec_b64 s[18:19], s[4:5]
	s_cbranch_execz .LBB306_527
; %bb.522:                              ;   in Loop: Header=BB306_434 Depth=1
	v_cmp_ne_u16_sdwa s[4:5], v0, s7 src0_sel:BYTE_0 src1_sel:DWORD
	v_bfrev_b32_e32 v7, 1
	s_and_saveexec_b64 s[20:21], s[4:5]
	s_cbranch_execz .LBB306_526
; %bb.523:                              ;   in Loop: Header=BB306_434 Depth=1
	v_bfe_u32 v15, v29, 16, 7
	v_cmp_ne_u32_e64 s[4:5], s15, v15
	v_mov_b32_e32 v7, 0x7fc02000
	s_and_saveexec_b64 s[22:23], s[4:5]
	s_cbranch_execz .LBB306_525
; %bb.524:                              ;   in Loop: Header=BB306_434 Depth=1
	v_and_b32_e32 v7, 7, v0
	v_ffbh_u32_e32 v18, v7
	v_min_u32_e32 v18, 32, v18
	v_lshrrev_b32_e32 v17, 3, v15
	v_subrev_u32_e32 v22, 28, v18
	v_sub_u32_e32 v18, 29, v18
	v_cmp_gt_u32_e64 s[4:5], 8, v15
	v_lshlrev_b64 v[26:27], v22, v[0:1]
	v_cndmask_b32_e64 v15, v17, v18, s[4:5]
	v_and_b32_e32 v22, 7, v26
	v_lshlrev_b32_e32 v0, 8, v0
	v_lshl_add_u32 v15, v15, 10, v2
	v_cndmask_b32_e64 v7, v7, v22, s[4:5]
	v_and_or_b32 v0, v0, s30, v15
	v_lshl_or_b32 v0, v7, 7, v0
	v_cvt_f32_f16_e32 v7, v0
.LBB306_525:                            ;   in Loop: Header=BB306_434 Depth=1
	s_or_b64 exec, exec, s[22:23]
.LBB306_526:                            ;   in Loop: Header=BB306_434 Depth=1
	s_or_b64 exec, exec, s[20:21]
.LBB306_527:                            ;   in Loop: Header=BB306_434 Depth=1
	s_or_b64 exec, exec, s[18:19]
	v_cmp_lt_u64_e64 s[4:5], s[12:13], v[28:29]
	s_and_saveexec_b64 s[18:19], s[4:5]
	s_cbranch_execz .LBB306_533
; %bb.528:                              ;   in Loop: Header=BB306_434 Depth=1
	v_lshrrev_b32_e32 v0, 24, v29
	v_cmp_ne_u32_e64 s[4:5], s7, v0
	v_bfrev_b32_e32 v6, 1
	s_and_saveexec_b64 s[20:21], s[4:5]
	s_cbranch_execz .LBB306_532
; %bb.529:                              ;   in Loop: Header=BB306_434 Depth=1
	v_and_b32_e32 v15, 0x7f, v0
	v_cmp_ne_u32_e64 s[4:5], s15, v15
	v_mov_b32_e32 v6, 0x7fc02000
	s_and_saveexec_b64 s[22:23], s[4:5]
	s_cbranch_execz .LBB306_531
; %bb.530:                              ;   in Loop: Header=BB306_434 Depth=1
	v_and_b32_e32 v6, 7, v0
	v_ffbh_u32_e32 v18, v6
	v_min_u32_e32 v18, 32, v18
	v_lshrrev_b32_e32 v17, 3, v15
	v_subrev_u32_e32 v22, 28, v18
	v_sub_u32_e32 v18, 29, v18
	v_cmp_gt_u32_e64 s[4:5], 8, v15
	v_lshlrev_b64 v[26:27], v22, v[0:1]
	v_cndmask_b32_e64 v15, v17, v18, s[4:5]
	v_and_b32_e32 v22, 7, v26
	v_lshlrev_b32_e32 v0, 8, v0
	v_lshl_add_u32 v15, v15, 10, v2
	v_cndmask_b32_e64 v6, v6, v22, s[4:5]
	v_and_or_b32 v0, v0, s30, v15
	v_lshl_or_b32 v0, v6, 7, v0
	v_cvt_f32_f16_e32 v6, v0
.LBB306_531:                            ;   in Loop: Header=BB306_434 Depth=1
	s_or_b64 exec, exec, s[22:23]
.LBB306_532:                            ;   in Loop: Header=BB306_434 Depth=1
	s_or_b64 exec, exec, s[20:21]
.LBB306_533:                            ;   in Loop: Header=BB306_434 Depth=1
	s_or_b64 exec, exec, s[18:19]
	v_pk_mul_f32 v[24:25], v[14:15], v[24:25] op_sel_hi:[0,1]
	v_pk_mul_f32 v[20:21], v[14:15], v[20:21] op_sel_hi:[0,1]
	v_cvt_f16_f32_e32 v0, v25
	v_cvt_f16_f32_e32 v15, v24
	;; [unrolled: 1-line block ×4, first 2 shown]
	v_fma_mixlo_f16 v5, v14, v5, 0
	v_lshlrev_b32_e32 v5, 16, v5
	v_fma_mixlo_f16 v4, v14, v4, 0
	v_or_b32_sdwa v4, v5, v4 dst_sel:DWORD dst_unused:UNUSED_PAD src0_sel:DWORD src1_sel:WORD_0
	v_fma_mixlo_f16 v5, v14, v6, 0
	v_pack_b32_f16 v15, v15, v0
	v_pack_b32_f16 v17, v18, v17
	v_fma_mixlo_f16 v7, v14, v7, 0
	v_lshlrev_b32_e32 v5, 16, v5
	v_perm_b32 v0, v17, v15, s34
	v_perm_b32 v15, v17, v15, s35
	v_or_b32_sdwa v5, v5, v7 dst_sel:DWORD dst_unused:UNUSED_PAD src0_sel:DWORD src1_sel:WORD_0
	s_and_saveexec_b64 s[18:19], vcc
	s_cbranch_execz .LBB306_535
; %bb.534:                              ;   in Loop: Header=BB306_434 Depth=1
	v_lshrrev_b32_e32 v6, 16, v15
	v_cmp_lt_i32_e64 s[4:5], v57, v3
	v_accvgpr_read_b32 v18, a8
	v_cndmask_b32_e64 v6, 0, v6, s[4:5]
	v_cmp_lt_i32_e64 s[4:5], v23, v18
	v_cndmask_b32_e64 v14, 0, v15, s[4:5]
	v_perm_b32 v15, v6, v14, s36
	v_lshrrev_b32_e32 v6, 16, v0
	v_cmp_lt_i32_e64 s[4:5], v56, v3
	v_cndmask_b32_e64 v6, 0, v6, s[4:5]
	v_cmp_lt_i32_e64 s[4:5], v47, v18
	v_cndmask_b32_e64 v0, 0, v0, s[4:5]
	v_perm_b32 v0, v6, v0, s36
	v_lshrrev_b32_e32 v6, 16, v4
	v_cmp_lt_i32_e64 s[4:5], v46, v3
	v_cndmask_b32_e64 v6, 0, v6, s[4:5]
	v_cmp_lt_i32_e64 s[4:5], v45, v18
	v_cndmask_b32_e64 v4, 0, v4, s[4:5]
	v_lshrrev_b32_e32 v5, 16, v5
	v_cmp_lt_i32_e64 s[4:5], v16, v3
	v_cndmask_b32_e64 v5, 0, v5, s[4:5]
	v_cmp_lt_i32_e64 s[4:5], v52, v18
	v_perm_b32 v4, v6, v4, s36
	v_cndmask_b32_e64 v6, 0, v7, s[4:5]
	v_perm_b32 v5, v5, v6, s36
.LBB306_535:                            ;   in Loop: Header=BB306_434 Depth=1
	s_or_b64 exec, exec, s[18:19]
	;;#ASMSTART
	v_pk_mul_f16 v6, v61, v15;

	;;#ASMEND
	;;#ASMSTART
	v_pk_mul_f16 v0, v60, v0;

	;;#ASMEND
	;; [unrolled: 4-line block ×4, first 2 shown]
	;;#ASMSTART
	v_pk_add_f16 v0, v6, v0;

	;;#ASMEND
	;;#ASMSTART
	v_pk_add_f16 v0, v0, v4;

	;;#ASMEND
	;; [unrolled: 4-line block ×3, first 2 shown]
	v_lshrrev_b32_e32 v5, 16, v0
	v_accvgpr_read_b32 v7, a5
	v_and_b32_e32 v0, 0xffff, v0
	;;#ASMSTART
	v_cvt_f32_f16 v4, v0;
	;;#ASMEND
	;;#ASMSTART
	v_cvt_f32_f16 v5, v5;
	;;#ASMEND
	flat_load_dwordx2 v[28:29], v[12:13] offset:1024
	v_accvgpr_read_b32 v6, a4
	flat_load_dword v14, v[6:7]
	v_mov_b32_e32 v24, 0
	v_mov_b32_e32 v20, 0
	s_waitcnt vmcnt(0) lgkmcnt(0)
	v_cmp_ne_u16_sdwa s[4:5], v28, v1 src0_sel:BYTE_0 src1_sel:DWORD
	s_and_saveexec_b64 s[18:19], s[4:5]
	s_cbranch_execz .LBB306_541
; %bb.536:                              ;   in Loop: Header=BB306_434 Depth=1
	v_cmp_ne_u16_sdwa s[4:5], v28, s7 src0_sel:BYTE_0 src1_sel:DWORD
	v_bfrev_b32_e32 v20, 1
	s_and_saveexec_b64 s[20:21], s[4:5]
	s_cbranch_execz .LBB306_540
; %bb.537:                              ;   in Loop: Header=BB306_434 Depth=1
	v_and_b32_e32 v0, 0x7f, v28
	v_cmp_ne_u32_e64 s[4:5], s15, v0
	v_mov_b32_e32 v20, 0x7fc02000
	s_and_saveexec_b64 s[22:23], s[4:5]
	s_cbranch_execz .LBB306_539
; %bb.538:                              ;   in Loop: Header=BB306_434 Depth=1
	v_and_b32_e32 v6, 7, v28
	v_ffbh_u32_e32 v6, v6
	v_min_u32_e32 v6, 32, v6
	v_subrev_u32_e32 v7, 28, v6
	v_cmp_gt_u32_e64 s[4:5], 8, v0
	v_lshrrev_b32_e32 v15, 3, v0
	v_sub_u32_e32 v17, 29, v6
	v_cndmask_b32_e64 v0, 0, v7, s[4:5]
	v_lshlrev_b64 v[6:7], v0, v[28:29]
	v_cndmask_b32_e64 v0, v15, v17, s[4:5]
	v_lshlrev_b32_e32 v7, 8, v28
	v_lshl_add_u32 v0, v0, 10, v2
	v_lshlrev_b32_e32 v6, 7, v6
	v_and_or_b32 v0, v7, s30, v0
	v_and_or_b32 v0, v6, s31, v0
	v_cvt_f32_f16_e32 v20, v0
.LBB306_539:                            ;   in Loop: Header=BB306_434 Depth=1
	s_or_b64 exec, exec, s[22:23]
.LBB306_540:                            ;   in Loop: Header=BB306_434 Depth=1
	s_or_b64 exec, exec, s[20:21]
.LBB306_541:                            ;   in Loop: Header=BB306_434 Depth=1
	s_or_b64 exec, exec, s[18:19]
	v_lshrrev_b16_e32 v0, 8, v28
	v_cmp_ne_u16_e64 s[4:5], 0, v0
	s_and_saveexec_b64 s[18:19], s[4:5]
	s_cbranch_execz .LBB306_547
; %bb.542:                              ;   in Loop: Header=BB306_434 Depth=1
	v_cmp_ne_u16_e64 s[4:5], s7, v0
	v_bfrev_b32_e32 v24, 1
	s_and_saveexec_b64 s[20:21], s[4:5]
	s_cbranch_execz .LBB306_546
; %bb.543:                              ;   in Loop: Header=BB306_434 Depth=1
	v_and_b32_e32 v6, 0x7f, v0
	v_cmp_ne_u32_e64 s[4:5], s15, v6
	v_mov_b32_e32 v24, 0x7fc02000
	s_and_saveexec_b64 s[22:23], s[4:5]
	s_cbranch_execz .LBB306_545
; %bb.544:                              ;   in Loop: Header=BB306_434 Depth=1
	v_and_b32_e32 v7, 7, v0
	v_ffbh_u32_e32 v17, v7
	v_min_u32_e32 v17, 32, v17
	v_lshrrev_b32_e32 v15, 3, v6
	v_subrev_u32_e32 v18, 28, v17
	v_sub_u32_e32 v17, 29, v17
	v_cmp_gt_u32_e64 s[4:5], 8, v6
	v_lshlrev_b64 v[24:25], v18, v[0:1]
	v_cndmask_b32_e64 v6, v15, v17, s[4:5]
	v_and_b32_e32 v18, 7, v24
	v_lshlrev_b32_e32 v0, 8, v0
	v_lshl_add_u32 v6, v6, 10, v2
	v_cndmask_b32_e64 v7, v7, v18, s[4:5]
	v_and_or_b32 v0, v0, s30, v6
	v_lshl_or_b32 v0, v7, 7, v0
	v_cvt_f32_f16_e32 v24, v0
.LBB306_545:                            ;   in Loop: Header=BB306_434 Depth=1
	s_or_b64 exec, exec, s[22:23]
.LBB306_546:                            ;   in Loop: Header=BB306_434 Depth=1
	s_or_b64 exec, exec, s[20:21]
.LBB306_547:                            ;   in Loop: Header=BB306_434 Depth=1
	s_or_b64 exec, exec, s[18:19]
	v_lshrrev_b32_e32 v0, 16, v28
	v_cmp_ne_u16_sdwa s[4:5], v0, v1 src0_sel:BYTE_0 src1_sel:DWORD
	v_mov_b32_e32 v25, 0
	v_mov_b32_e32 v21, 0
	s_and_saveexec_b64 s[18:19], s[4:5]
	s_cbranch_execz .LBB306_553
; %bb.548:                              ;   in Loop: Header=BB306_434 Depth=1
	v_cmp_ne_u16_sdwa s[4:5], v0, s7 src0_sel:BYTE_0 src1_sel:DWORD
	v_bfrev_b32_e32 v21, 1
	s_and_saveexec_b64 s[20:21], s[4:5]
	s_cbranch_execz .LBB306_552
; %bb.549:                              ;   in Loop: Header=BB306_434 Depth=1
	v_bfe_u32 v6, v28, 16, 7
	v_cmp_ne_u32_e64 s[4:5], s15, v6
	v_mov_b32_e32 v21, 0x7fc02000
	s_and_saveexec_b64 s[22:23], s[4:5]
	s_cbranch_execz .LBB306_551
; %bb.550:                              ;   in Loop: Header=BB306_434 Depth=1
	v_and_b32_e32 v7, 7, v0
	v_ffbh_u32_e32 v17, v7
	v_min_u32_e32 v17, 32, v17
	v_lshrrev_b32_e32 v15, 3, v6
	v_subrev_u32_e32 v18, 28, v17
	v_sub_u32_e32 v17, 29, v17
	v_cmp_gt_u32_e64 s[4:5], 8, v6
	v_lshlrev_b64 v[26:27], v18, v[0:1]
	v_cndmask_b32_e64 v6, v15, v17, s[4:5]
	v_and_b32_e32 v18, 7, v26
	v_lshlrev_b32_e32 v0, 8, v0
	v_lshl_add_u32 v6, v6, 10, v2
	v_cndmask_b32_e64 v7, v7, v18, s[4:5]
	v_and_or_b32 v0, v0, s30, v6
	v_lshl_or_b32 v0, v7, 7, v0
	v_cvt_f32_f16_e32 v21, v0
.LBB306_551:                            ;   in Loop: Header=BB306_434 Depth=1
	s_or_b64 exec, exec, s[22:23]
.LBB306_552:                            ;   in Loop: Header=BB306_434 Depth=1
	s_or_b64 exec, exec, s[20:21]
.LBB306_553:                            ;   in Loop: Header=BB306_434 Depth=1
	s_or_b64 exec, exec, s[18:19]
	v_cmp_lt_u32_e64 s[4:5], s13, v28
	s_and_saveexec_b64 s[18:19], s[4:5]
	s_cbranch_execz .LBB306_559
; %bb.554:                              ;   in Loop: Header=BB306_434 Depth=1
	v_lshrrev_b32_e32 v0, 24, v28
	v_cmp_ne_u32_e64 s[4:5], s7, v0
	v_bfrev_b32_e32 v25, 1
	s_and_saveexec_b64 s[20:21], s[4:5]
	s_cbranch_execz .LBB306_558
; %bb.555:                              ;   in Loop: Header=BB306_434 Depth=1
	v_and_b32_e32 v6, 0x7f, v0
	v_cmp_ne_u32_e64 s[4:5], s15, v6
	v_mov_b32_e32 v25, 0x7fc02000
	s_and_saveexec_b64 s[22:23], s[4:5]
	s_cbranch_execz .LBB306_557
; %bb.556:                              ;   in Loop: Header=BB306_434 Depth=1
	v_and_b32_e32 v7, 7, v0
	v_ffbh_u32_e32 v17, v7
	v_min_u32_e32 v17, 32, v17
	v_lshrrev_b32_e32 v15, 3, v6
	v_subrev_u32_e32 v18, 28, v17
	v_sub_u32_e32 v17, 29, v17
	v_cmp_gt_u32_e64 s[4:5], 8, v6
	v_lshlrev_b64 v[26:27], v18, v[0:1]
	v_cndmask_b32_e64 v6, v15, v17, s[4:5]
	v_and_b32_e32 v18, 7, v26
	v_lshlrev_b32_e32 v0, 8, v0
	v_lshl_add_u32 v6, v6, 10, v2
	v_cndmask_b32_e64 v7, v7, v18, s[4:5]
	v_and_or_b32 v0, v0, s30, v6
	v_lshl_or_b32 v0, v7, 7, v0
	v_cvt_f32_f16_e32 v25, v0
.LBB306_557:                            ;   in Loop: Header=BB306_434 Depth=1
	s_or_b64 exec, exec, s[22:23]
.LBB306_558:                            ;   in Loop: Header=BB306_434 Depth=1
	s_or_b64 exec, exec, s[20:21]
.LBB306_559:                            ;   in Loop: Header=BB306_434 Depth=1
	s_or_b64 exec, exec, s[18:19]
	v_mov_b32_e32 v0, v29
	v_cmp_ne_u16_sdwa s[4:5], v29, v1 src0_sel:BYTE_0 src1_sel:DWORD
	v_mov_b32_e32 v7, 0
	v_mov_b32_e32 v6, 0
	s_and_saveexec_b64 s[18:19], s[4:5]
	s_cbranch_execz .LBB306_565
; %bb.560:                              ;   in Loop: Header=BB306_434 Depth=1
	v_cmp_ne_u16_sdwa s[4:5], v29, s7 src0_sel:BYTE_0 src1_sel:DWORD
	v_bfrev_b32_e32 v6, 1
	s_and_saveexec_b64 s[20:21], s[4:5]
	s_cbranch_execz .LBB306_564
; %bb.561:                              ;   in Loop: Header=BB306_434 Depth=1
	v_and_b32_e32 v15, 0x7f, v29
	v_cmp_ne_u32_e64 s[4:5], s15, v15
	v_mov_b32_e32 v6, 0x7fc02000
	s_and_saveexec_b64 s[22:23], s[4:5]
	s_cbranch_execz .LBB306_563
; %bb.562:                              ;   in Loop: Header=BB306_434 Depth=1
	v_and_b32_e32 v6, 7, v29
	v_ffbh_u32_e32 v6, v6
	v_min_u32_e32 v6, 32, v6
	v_lshrrev_b32_e32 v17, 3, v15
	v_subrev_u32_e32 v18, 28, v6
	v_sub_u32_e32 v6, 29, v6
	v_cmp_gt_u32_e64 s[4:5], 8, v15
	v_cndmask_b32_e64 v15, 0, v18, s[4:5]
	v_cndmask_b32_e64 v6, v17, v6, s[4:5]
	v_lshlrev_b64 v[26:27], v15, v[0:1]
	v_lshlrev_b32_e32 v17, 8, v29
	v_lshl_add_u32 v6, v6, 10, v2
	v_lshlrev_b32_e32 v15, 7, v26
	v_and_or_b32 v6, v17, s30, v6
	v_and_or_b32 v6, v15, s31, v6
	v_cvt_f32_f16_e32 v6, v6
.LBB306_563:                            ;   in Loop: Header=BB306_434 Depth=1
	s_or_b64 exec, exec, s[22:23]
.LBB306_564:                            ;   in Loop: Header=BB306_434 Depth=1
	s_or_b64 exec, exec, s[20:21]
.LBB306_565:                            ;   in Loop: Header=BB306_434 Depth=1
	s_or_b64 exec, exec, s[18:19]
	v_lshrrev_b16_e32 v0, 8, v0
	v_cmp_ne_u16_e64 s[4:5], 0, v0
	s_and_saveexec_b64 s[18:19], s[4:5]
	s_cbranch_execz .LBB306_571
; %bb.566:                              ;   in Loop: Header=BB306_434 Depth=1
	v_cmp_ne_u16_e64 s[4:5], s7, v0
	v_bfrev_b32_e32 v7, 1
	s_and_saveexec_b64 s[20:21], s[4:5]
	s_cbranch_execz .LBB306_570
; %bb.567:                              ;   in Loop: Header=BB306_434 Depth=1
	v_and_b32_e32 v15, 0x7f, v0
	v_cmp_ne_u32_e64 s[4:5], s15, v15
	v_mov_b32_e32 v7, 0x7fc02000
	s_and_saveexec_b64 s[22:23], s[4:5]
	s_cbranch_execz .LBB306_569
; %bb.568:                              ;   in Loop: Header=BB306_434 Depth=1
	v_and_b32_e32 v7, 7, v0
	v_ffbh_u32_e32 v18, v7
	v_min_u32_e32 v18, 32, v18
	v_lshrrev_b32_e32 v17, 3, v15
	v_subrev_u32_e32 v22, 28, v18
	v_sub_u32_e32 v18, 29, v18
	v_cmp_gt_u32_e64 s[4:5], 8, v15
	v_lshlrev_b64 v[26:27], v22, v[0:1]
	v_cndmask_b32_e64 v15, v17, v18, s[4:5]
	v_and_b32_e32 v22, 7, v26
	v_lshlrev_b32_e32 v0, 8, v0
	v_lshl_add_u32 v15, v15, 10, v2
	v_cndmask_b32_e64 v7, v7, v22, s[4:5]
	v_and_or_b32 v0, v0, s30, v15
	v_lshl_or_b32 v0, v7, 7, v0
	v_cvt_f32_f16_e32 v7, v0
.LBB306_569:                            ;   in Loop: Header=BB306_434 Depth=1
	s_or_b64 exec, exec, s[22:23]
.LBB306_570:                            ;   in Loop: Header=BB306_434 Depth=1
	s_or_b64 exec, exec, s[20:21]
.LBB306_571:                            ;   in Loop: Header=BB306_434 Depth=1
	s_or_b64 exec, exec, s[18:19]
	v_lshrrev_b32_e32 v0, 16, v29
	v_cmp_ne_u16_sdwa s[4:5], v0, v1 src0_sel:BYTE_0 src1_sel:DWORD
	v_mov_b32_e32 v15, 0
	v_mov_b32_e32 v17, 0
	s_and_saveexec_b64 s[18:19], s[4:5]
	s_cbranch_execz .LBB306_577
; %bb.572:                              ;   in Loop: Header=BB306_434 Depth=1
	v_cmp_ne_u16_sdwa s[4:5], v0, s7 src0_sel:BYTE_0 src1_sel:DWORD
	v_bfrev_b32_e32 v17, 1
	s_and_saveexec_b64 s[20:21], s[4:5]
	s_cbranch_execz .LBB306_576
; %bb.573:                              ;   in Loop: Header=BB306_434 Depth=1
	v_bfe_u32 v18, v29, 16, 7
	v_cmp_ne_u32_e64 s[4:5], s15, v18
	v_mov_b32_e32 v17, 0x7fc02000
	s_and_saveexec_b64 s[22:23], s[4:5]
	s_cbranch_execz .LBB306_575
; %bb.574:                              ;   in Loop: Header=BB306_434 Depth=1
	v_and_b32_e32 v17, 7, v0
	v_ffbh_u32_e32 v26, v17
	v_min_u32_e32 v31, 32, v26
	v_subrev_u32_e32 v26, 28, v31
	v_lshlrev_b64 v[26:27], v26, v[0:1]
	v_lshrrev_b32_e32 v22, 3, v18
	v_sub_u32_e32 v27, 29, v31
	v_cmp_gt_u32_e64 s[4:5], 8, v18
	v_cndmask_b32_e64 v18, v22, v27, s[4:5]
	v_and_b32_e32 v26, 7, v26
	v_lshlrev_b32_e32 v0, 8, v0
	v_lshl_add_u32 v18, v18, 10, v2
	v_cndmask_b32_e64 v17, v17, v26, s[4:5]
	v_and_or_b32 v0, v0, s30, v18
	v_lshl_or_b32 v0, v17, 7, v0
	v_cvt_f32_f16_e32 v17, v0
.LBB306_575:                            ;   in Loop: Header=BB306_434 Depth=1
	s_or_b64 exec, exec, s[22:23]
.LBB306_576:                            ;   in Loop: Header=BB306_434 Depth=1
	s_or_b64 exec, exec, s[20:21]
.LBB306_577:                            ;   in Loop: Header=BB306_434 Depth=1
	s_or_b64 exec, exec, s[18:19]
	v_cmp_lt_u64_e64 s[4:5], s[12:13], v[28:29]
	s_and_saveexec_b64 s[18:19], s[4:5]
	s_cbranch_execz .LBB306_583
; %bb.578:                              ;   in Loop: Header=BB306_434 Depth=1
	v_lshrrev_b32_e32 v0, 24, v29
	v_cmp_ne_u32_e64 s[4:5], s7, v0
	v_bfrev_b32_e32 v15, 1
	s_and_saveexec_b64 s[20:21], s[4:5]
	s_cbranch_execz .LBB306_582
; %bb.579:                              ;   in Loop: Header=BB306_434 Depth=1
	v_and_b32_e32 v18, 0x7f, v0
	v_cmp_ne_u32_e64 s[4:5], s15, v18
	v_mov_b32_e32 v15, 0x7fc02000
	s_and_saveexec_b64 s[22:23], s[4:5]
	s_cbranch_execz .LBB306_581
; %bb.580:                              ;   in Loop: Header=BB306_434 Depth=1
	v_and_b32_e32 v15, 7, v0
	v_ffbh_u32_e32 v26, v15
	v_min_u32_e32 v28, 32, v26
	v_subrev_u32_e32 v26, 28, v28
	v_lshlrev_b64 v[26:27], v26, v[0:1]
	v_lshrrev_b32_e32 v22, 3, v18
	v_sub_u32_e32 v27, 29, v28
	v_cmp_gt_u32_e64 s[4:5], 8, v18
	v_cndmask_b32_e64 v18, v22, v27, s[4:5]
	v_and_b32_e32 v26, 7, v26
	v_lshlrev_b32_e32 v0, 8, v0
	v_lshl_add_u32 v18, v18, 10, v2
	v_cndmask_b32_e64 v15, v15, v26, s[4:5]
	v_and_or_b32 v0, v0, s30, v18
	v_lshl_or_b32 v0, v15, 7, v0
	v_cvt_f32_f16_e32 v15, v0
.LBB306_581:                            ;   in Loop: Header=BB306_434 Depth=1
	s_or_b64 exec, exec, s[22:23]
.LBB306_582:                            ;   in Loop: Header=BB306_434 Depth=1
	s_or_b64 exec, exec, s[20:21]
.LBB306_583:                            ;   in Loop: Header=BB306_434 Depth=1
	s_or_b64 exec, exec, s[18:19]
	v_pk_mul_f32 v[24:25], v[14:15], v[24:25] op_sel_hi:[0,1]
	v_pk_mul_f32 v[20:21], v[14:15], v[20:21] op_sel_hi:[0,1]
	v_cvt_f16_f32_e32 v0, v25
	v_cvt_f16_f32_e32 v18, v24
	;; [unrolled: 1-line block ×4, first 2 shown]
	v_fma_mixlo_f16 v7, v14, v7, 0
	v_lshlrev_b32_e32 v7, 16, v7
	v_fma_mixlo_f16 v6, v14, v6, 0
	v_or_b32_sdwa v6, v7, v6 dst_sel:DWORD dst_unused:UNUSED_PAD src0_sel:DWORD src1_sel:WORD_0
	v_fma_mixlo_f16 v7, v14, v15, 0
	v_pack_b32_f16 v18, v18, v0
	v_pack_b32_f16 v20, v20, v21
	v_fma_mixlo_f16 v17, v14, v17, 0
	v_lshlrev_b32_e32 v7, 16, v7
	v_perm_b32 v0, v20, v18, s34
	v_perm_b32 v18, v20, v18, s35
	v_or_b32_sdwa v7, v7, v17 dst_sel:DWORD dst_unused:UNUSED_PAD src0_sel:DWORD src1_sel:WORD_0
	s_and_saveexec_b64 s[18:19], vcc
	s_cbranch_execz .LBB306_585
; %bb.584:                              ;   in Loop: Header=BB306_434 Depth=1
	v_lshrrev_b32_e32 v14, 16, v18
	v_cmp_lt_i32_e64 s[4:5], v57, v3
	v_accvgpr_read_b32 v20, a8
	v_cndmask_b32_e64 v14, 0, v14, s[4:5]
	v_cmp_lt_i32_e64 s[4:5], v23, v20
	v_cndmask_b32_e64 v15, 0, v18, s[4:5]
	v_perm_b32 v18, v14, v15, s36
	v_lshrrev_b32_e32 v14, 16, v0
	v_cmp_lt_i32_e64 s[4:5], v56, v3
	v_cndmask_b32_e64 v14, 0, v14, s[4:5]
	v_cmp_lt_i32_e64 s[4:5], v47, v20
	v_cndmask_b32_e64 v0, 0, v0, s[4:5]
	v_perm_b32 v0, v14, v0, s36
	v_lshrrev_b32_e32 v14, 16, v6
	v_cmp_lt_i32_e64 s[4:5], v46, v3
	v_cndmask_b32_e64 v14, 0, v14, s[4:5]
	v_cmp_lt_i32_e64 s[4:5], v45, v20
	v_cndmask_b32_e64 v6, 0, v6, s[4:5]
	v_lshrrev_b32_e32 v7, 16, v7
	v_cmp_lt_i32_e64 s[4:5], v16, v3
	v_cndmask_b32_e64 v7, 0, v7, s[4:5]
	v_cmp_lt_i32_e64 s[4:5], v52, v20
	v_perm_b32 v6, v14, v6, s36
	v_cndmask_b32_e64 v14, 0, v17, s[4:5]
	v_perm_b32 v7, v7, v14, s36
.LBB306_585:                            ;   in Loop: Header=BB306_434 Depth=1
	s_or_b64 exec, exec, s[18:19]
	;;#ASMSTART
	v_pk_mul_f16 v14, v61, v18;

	;;#ASMEND
	;;#ASMSTART
	v_pk_mul_f16 v0, v60, v0;

	;;#ASMEND
	;; [unrolled: 4-line block ×4, first 2 shown]
	;;#ASMSTART
	v_pk_add_f16 v0, v14, v0;

	;;#ASMEND
	;;#ASMSTART
	v_pk_add_f16 v0, v0, v6;

	;;#ASMEND
	;; [unrolled: 4-line block ×3, first 2 shown]
	v_lshrrev_b32_e32 v6, 16, v0
	v_and_b32_e32 v0, 0xffff, v0
	;;#ASMSTART
	v_cvt_f32_f16 v40, v0;
	;;#ASMEND
	;;#ASMSTART
	v_cvt_f32_f16 v17, v6;
	;;#ASMEND
	v_accvgpr_read_b32 v7, a5
	flat_load_dwordx2 v[28:29], v[12:13] offset:1536
	v_accvgpr_read_b32 v6, a4
	flat_load_dword v14, v[6:7]
	v_mov_b32_e32 v24, 0
	v_mov_b32_e32 v20, 0
	s_waitcnt vmcnt(0) lgkmcnt(0)
	v_cmp_ne_u16_sdwa s[4:5], v28, v1 src0_sel:BYTE_0 src1_sel:DWORD
	s_and_saveexec_b64 s[18:19], s[4:5]
	s_cbranch_execz .LBB306_591
; %bb.586:                              ;   in Loop: Header=BB306_434 Depth=1
	v_cmp_ne_u16_sdwa s[4:5], v28, s7 src0_sel:BYTE_0 src1_sel:DWORD
	v_bfrev_b32_e32 v20, 1
	s_and_saveexec_b64 s[20:21], s[4:5]
	s_cbranch_execz .LBB306_590
; %bb.587:                              ;   in Loop: Header=BB306_434 Depth=1
	v_and_b32_e32 v0, 0x7f, v28
	v_cmp_ne_u32_e64 s[4:5], s15, v0
	v_mov_b32_e32 v20, 0x7fc02000
	s_and_saveexec_b64 s[22:23], s[4:5]
	s_cbranch_execz .LBB306_589
; %bb.588:                              ;   in Loop: Header=BB306_434 Depth=1
	v_and_b32_e32 v6, 7, v28
	v_ffbh_u32_e32 v6, v6
	v_min_u32_e32 v6, 32, v6
	v_subrev_u32_e32 v7, 28, v6
	v_cmp_gt_u32_e64 s[4:5], 8, v0
	v_lshrrev_b32_e32 v15, 3, v0
	v_sub_u32_e32 v18, 29, v6
	v_cndmask_b32_e64 v0, 0, v7, s[4:5]
	v_lshlrev_b64 v[6:7], v0, v[28:29]
	v_cndmask_b32_e64 v0, v15, v18, s[4:5]
	v_lshlrev_b32_e32 v7, 8, v28
	v_lshl_add_u32 v0, v0, 10, v2
	v_lshlrev_b32_e32 v6, 7, v6
	v_and_or_b32 v0, v7, s30, v0
	v_and_or_b32 v0, v6, s31, v0
	v_cvt_f32_f16_e32 v20, v0
.LBB306_589:                            ;   in Loop: Header=BB306_434 Depth=1
	s_or_b64 exec, exec, s[22:23]
.LBB306_590:                            ;   in Loop: Header=BB306_434 Depth=1
	s_or_b64 exec, exec, s[20:21]
.LBB306_591:                            ;   in Loop: Header=BB306_434 Depth=1
	s_or_b64 exec, exec, s[18:19]
	v_lshrrev_b16_e32 v0, 8, v28
	v_cmp_ne_u16_e64 s[4:5], 0, v0
	s_and_saveexec_b64 s[18:19], s[4:5]
	s_cbranch_execz .LBB306_597
; %bb.592:                              ;   in Loop: Header=BB306_434 Depth=1
	v_cmp_ne_u16_e64 s[4:5], s7, v0
	v_bfrev_b32_e32 v24, 1
	s_and_saveexec_b64 s[20:21], s[4:5]
	s_cbranch_execz .LBB306_596
; %bb.593:                              ;   in Loop: Header=BB306_434 Depth=1
	v_and_b32_e32 v6, 0x7f, v0
	v_cmp_ne_u32_e64 s[4:5], s15, v6
	v_mov_b32_e32 v24, 0x7fc02000
	s_and_saveexec_b64 s[22:23], s[4:5]
	s_cbranch_execz .LBB306_595
; %bb.594:                              ;   in Loop: Header=BB306_434 Depth=1
	v_and_b32_e32 v7, 7, v0
	v_ffbh_u32_e32 v18, v7
	v_min_u32_e32 v18, 32, v18
	v_lshrrev_b32_e32 v15, 3, v6
	v_subrev_u32_e32 v21, 28, v18
	v_sub_u32_e32 v18, 29, v18
	v_cmp_gt_u32_e64 s[4:5], 8, v6
	v_lshlrev_b64 v[24:25], v21, v[0:1]
	v_cndmask_b32_e64 v6, v15, v18, s[4:5]
	v_and_b32_e32 v21, 7, v24
	v_lshlrev_b32_e32 v0, 8, v0
	v_lshl_add_u32 v6, v6, 10, v2
	v_cndmask_b32_e64 v7, v7, v21, s[4:5]
	v_and_or_b32 v0, v0, s30, v6
	v_lshl_or_b32 v0, v7, 7, v0
	v_cvt_f32_f16_e32 v24, v0
.LBB306_595:                            ;   in Loop: Header=BB306_434 Depth=1
	s_or_b64 exec, exec, s[22:23]
.LBB306_596:                            ;   in Loop: Header=BB306_434 Depth=1
	s_or_b64 exec, exec, s[20:21]
.LBB306_597:                            ;   in Loop: Header=BB306_434 Depth=1
	s_or_b64 exec, exec, s[18:19]
	v_lshrrev_b32_e32 v0, 16, v28
	v_cmp_ne_u16_sdwa s[4:5], v0, v1 src0_sel:BYTE_0 src1_sel:DWORD
	v_mov_b32_e32 v25, 0
	v_mov_b32_e32 v21, 0
	s_and_saveexec_b64 s[18:19], s[4:5]
	s_cbranch_execz .LBB306_603
; %bb.598:                              ;   in Loop: Header=BB306_434 Depth=1
	v_cmp_ne_u16_sdwa s[4:5], v0, s7 src0_sel:BYTE_0 src1_sel:DWORD
	v_bfrev_b32_e32 v21, 1
	s_and_saveexec_b64 s[20:21], s[4:5]
	s_cbranch_execz .LBB306_602
; %bb.599:                              ;   in Loop: Header=BB306_434 Depth=1
	v_bfe_u32 v6, v28, 16, 7
	v_cmp_ne_u32_e64 s[4:5], s15, v6
	v_mov_b32_e32 v21, 0x7fc02000
	s_and_saveexec_b64 s[22:23], s[4:5]
	s_cbranch_execz .LBB306_601
; %bb.600:                              ;   in Loop: Header=BB306_434 Depth=1
	v_and_b32_e32 v7, 7, v0
	v_ffbh_u32_e32 v18, v7
	v_min_u32_e32 v18, 32, v18
	v_lshrrev_b32_e32 v15, 3, v6
	v_subrev_u32_e32 v21, 28, v18
	v_sub_u32_e32 v18, 29, v18
	v_cmp_gt_u32_e64 s[4:5], 8, v6
	v_lshlrev_b64 v[26:27], v21, v[0:1]
	v_cndmask_b32_e64 v6, v15, v18, s[4:5]
	v_and_b32_e32 v21, 7, v26
	v_lshlrev_b32_e32 v0, 8, v0
	v_lshl_add_u32 v6, v6, 10, v2
	v_cndmask_b32_e64 v7, v7, v21, s[4:5]
	v_and_or_b32 v0, v0, s30, v6
	v_lshl_or_b32 v0, v7, 7, v0
	v_cvt_f32_f16_e32 v21, v0
.LBB306_601:                            ;   in Loop: Header=BB306_434 Depth=1
	s_or_b64 exec, exec, s[22:23]
.LBB306_602:                            ;   in Loop: Header=BB306_434 Depth=1
	s_or_b64 exec, exec, s[20:21]
.LBB306_603:                            ;   in Loop: Header=BB306_434 Depth=1
	s_or_b64 exec, exec, s[18:19]
	v_cmp_lt_u32_e64 s[4:5], s13, v28
	s_and_saveexec_b64 s[18:19], s[4:5]
	s_cbranch_execz .LBB306_609
; %bb.604:                              ;   in Loop: Header=BB306_434 Depth=1
	v_lshrrev_b32_e32 v0, 24, v28
	v_cmp_ne_u32_e64 s[4:5], s7, v0
	v_bfrev_b32_e32 v25, 1
	s_and_saveexec_b64 s[20:21], s[4:5]
	s_cbranch_execz .LBB306_608
; %bb.605:                              ;   in Loop: Header=BB306_434 Depth=1
	v_and_b32_e32 v6, 0x7f, v0
	v_cmp_ne_u32_e64 s[4:5], s15, v6
	v_mov_b32_e32 v25, 0x7fc02000
	s_and_saveexec_b64 s[22:23], s[4:5]
	s_cbranch_execz .LBB306_607
; %bb.606:                              ;   in Loop: Header=BB306_434 Depth=1
	v_and_b32_e32 v7, 7, v0
	v_ffbh_u32_e32 v18, v7
	v_min_u32_e32 v18, 32, v18
	v_lshrrev_b32_e32 v15, 3, v6
	v_subrev_u32_e32 v22, 28, v18
	v_sub_u32_e32 v18, 29, v18
	v_cmp_gt_u32_e64 s[4:5], 8, v6
	v_lshlrev_b64 v[26:27], v22, v[0:1]
	v_cndmask_b32_e64 v6, v15, v18, s[4:5]
	v_and_b32_e32 v22, 7, v26
	v_lshlrev_b32_e32 v0, 8, v0
	v_lshl_add_u32 v6, v6, 10, v2
	v_cndmask_b32_e64 v7, v7, v22, s[4:5]
	v_and_or_b32 v0, v0, s30, v6
	v_lshl_or_b32 v0, v7, 7, v0
	v_cvt_f32_f16_e32 v25, v0
.LBB306_607:                            ;   in Loop: Header=BB306_434 Depth=1
	s_or_b64 exec, exec, s[22:23]
.LBB306_608:                            ;   in Loop: Header=BB306_434 Depth=1
	s_or_b64 exec, exec, s[20:21]
.LBB306_609:                            ;   in Loop: Header=BB306_434 Depth=1
	s_or_b64 exec, exec, s[18:19]
	v_mov_b32_e32 v0, v29
	v_cmp_ne_u16_sdwa s[4:5], v29, v1 src0_sel:BYTE_0 src1_sel:DWORD
	v_mov_b32_e32 v7, 0
	v_mov_b32_e32 v6, 0
	s_and_saveexec_b64 s[18:19], s[4:5]
	s_cbranch_execz .LBB306_615
; %bb.610:                              ;   in Loop: Header=BB306_434 Depth=1
	v_cmp_ne_u16_sdwa s[4:5], v29, s7 src0_sel:BYTE_0 src1_sel:DWORD
	v_bfrev_b32_e32 v6, 1
	s_and_saveexec_b64 s[20:21], s[4:5]
	s_cbranch_execz .LBB306_614
; %bb.611:                              ;   in Loop: Header=BB306_434 Depth=1
	v_and_b32_e32 v15, 0x7f, v29
	v_cmp_ne_u32_e64 s[4:5], s15, v15
	v_mov_b32_e32 v6, 0x7fc02000
	s_and_saveexec_b64 s[22:23], s[4:5]
	s_cbranch_execz .LBB306_613
; %bb.612:                              ;   in Loop: Header=BB306_434 Depth=1
	v_and_b32_e32 v6, 7, v29
	v_ffbh_u32_e32 v6, v6
	v_min_u32_e32 v6, 32, v6
	v_lshrrev_b32_e32 v18, 3, v15
	v_subrev_u32_e32 v22, 28, v6
	v_sub_u32_e32 v6, 29, v6
	v_cmp_gt_u32_e64 s[4:5], 8, v15
	v_cndmask_b32_e64 v15, 0, v22, s[4:5]
	v_cndmask_b32_e64 v6, v18, v6, s[4:5]
	v_lshlrev_b64 v[26:27], v15, v[0:1]
	v_lshlrev_b32_e32 v18, 8, v29
	v_lshl_add_u32 v6, v6, 10, v2
	v_lshlrev_b32_e32 v15, 7, v26
	v_and_or_b32 v6, v18, s30, v6
	v_and_or_b32 v6, v15, s31, v6
	v_cvt_f32_f16_e32 v6, v6
.LBB306_613:                            ;   in Loop: Header=BB306_434 Depth=1
	s_or_b64 exec, exec, s[22:23]
.LBB306_614:                            ;   in Loop: Header=BB306_434 Depth=1
	s_or_b64 exec, exec, s[20:21]
.LBB306_615:                            ;   in Loop: Header=BB306_434 Depth=1
	s_or_b64 exec, exec, s[18:19]
	v_lshrrev_b16_e32 v0, 8, v0
	v_cmp_ne_u16_e64 s[4:5], 0, v0
	s_and_saveexec_b64 s[18:19], s[4:5]
	s_cbranch_execz .LBB306_621
; %bb.616:                              ;   in Loop: Header=BB306_434 Depth=1
	v_cmp_ne_u16_e64 s[4:5], s7, v0
	v_bfrev_b32_e32 v7, 1
	s_and_saveexec_b64 s[20:21], s[4:5]
	s_cbranch_execz .LBB306_620
; %bb.617:                              ;   in Loop: Header=BB306_434 Depth=1
	v_and_b32_e32 v15, 0x7f, v0
	v_cmp_ne_u32_e64 s[4:5], s15, v15
	v_mov_b32_e32 v7, 0x7fc02000
	s_and_saveexec_b64 s[22:23], s[4:5]
	s_cbranch_execz .LBB306_619
; %bb.618:                              ;   in Loop: Header=BB306_434 Depth=1
	v_and_b32_e32 v7, 7, v0
	v_ffbh_u32_e32 v22, v7
	v_min_u32_e32 v22, 32, v22
	v_lshrrev_b32_e32 v18, 3, v15
	v_subrev_u32_e32 v26, 28, v22
	v_sub_u32_e32 v22, 29, v22
	v_cmp_gt_u32_e64 s[4:5], 8, v15
	v_lshlrev_b64 v[26:27], v26, v[0:1]
	v_cndmask_b32_e64 v15, v18, v22, s[4:5]
	v_and_b32_e32 v26, 7, v26
	v_lshlrev_b32_e32 v0, 8, v0
	v_lshl_add_u32 v15, v15, 10, v2
	v_cndmask_b32_e64 v7, v7, v26, s[4:5]
	v_and_or_b32 v0, v0, s30, v15
	v_lshl_or_b32 v0, v7, 7, v0
	v_cvt_f32_f16_e32 v7, v0
.LBB306_619:                            ;   in Loop: Header=BB306_434 Depth=1
	s_or_b64 exec, exec, s[22:23]
.LBB306_620:                            ;   in Loop: Header=BB306_434 Depth=1
	s_or_b64 exec, exec, s[20:21]
.LBB306_621:                            ;   in Loop: Header=BB306_434 Depth=1
	s_or_b64 exec, exec, s[18:19]
	v_lshrrev_b32_e32 v0, 16, v29
	v_cmp_ne_u16_sdwa s[4:5], v0, v1 src0_sel:BYTE_0 src1_sel:DWORD
	v_mov_b32_e32 v15, 0
	v_mov_b32_e32 v18, 0
	s_and_saveexec_b64 s[18:19], s[4:5]
	s_cbranch_execz .LBB306_627
; %bb.622:                              ;   in Loop: Header=BB306_434 Depth=1
	v_cmp_ne_u16_sdwa s[4:5], v0, s7 src0_sel:BYTE_0 src1_sel:DWORD
	v_bfrev_b32_e32 v18, 1
	s_and_saveexec_b64 s[20:21], s[4:5]
	s_cbranch_execz .LBB306_626
; %bb.623:                              ;   in Loop: Header=BB306_434 Depth=1
	v_bfe_u32 v22, v29, 16, 7
	v_cmp_ne_u32_e64 s[4:5], s15, v22
	v_mov_b32_e32 v18, 0x7fc02000
	s_and_saveexec_b64 s[22:23], s[4:5]
	s_cbranch_execz .LBB306_625
; %bb.624:                              ;   in Loop: Header=BB306_434 Depth=1
	v_and_b32_e32 v18, 7, v0
	v_ffbh_u32_e32 v26, v18
	v_min_u32_e32 v48, 32, v26
	v_subrev_u32_e32 v26, 28, v48
	v_lshlrev_b64 v[26:27], v26, v[0:1]
	v_lshrrev_b32_e32 v31, 3, v22
	v_sub_u32_e32 v27, 29, v48
	v_cmp_gt_u32_e64 s[4:5], 8, v22
	v_cndmask_b32_e64 v22, v31, v27, s[4:5]
	v_and_b32_e32 v26, 7, v26
	v_lshlrev_b32_e32 v0, 8, v0
	v_lshl_add_u32 v22, v22, 10, v2
	v_cndmask_b32_e64 v18, v18, v26, s[4:5]
	v_and_or_b32 v0, v0, s30, v22
	v_lshl_or_b32 v0, v18, 7, v0
	v_cvt_f32_f16_e32 v18, v0
.LBB306_625:                            ;   in Loop: Header=BB306_434 Depth=1
	s_or_b64 exec, exec, s[22:23]
.LBB306_626:                            ;   in Loop: Header=BB306_434 Depth=1
	s_or_b64 exec, exec, s[20:21]
.LBB306_627:                            ;   in Loop: Header=BB306_434 Depth=1
	s_or_b64 exec, exec, s[18:19]
	v_cmp_lt_u64_e64 s[4:5], s[12:13], v[28:29]
	s_and_saveexec_b64 s[18:19], s[4:5]
	s_cbranch_execz .LBB306_633
; %bb.628:                              ;   in Loop: Header=BB306_434 Depth=1
	v_lshrrev_b32_e32 v0, 24, v29
	v_cmp_ne_u32_e64 s[4:5], s7, v0
	v_bfrev_b32_e32 v15, 1
	s_and_saveexec_b64 s[20:21], s[4:5]
	s_cbranch_execz .LBB306_632
; %bb.629:                              ;   in Loop: Header=BB306_434 Depth=1
	v_and_b32_e32 v22, 0x7f, v0
	v_cmp_ne_u32_e64 s[4:5], s15, v22
	v_mov_b32_e32 v15, 0x7fc02000
	s_and_saveexec_b64 s[22:23], s[4:5]
	s_cbranch_execz .LBB306_631
; %bb.630:                              ;   in Loop: Header=BB306_434 Depth=1
	v_and_b32_e32 v15, 7, v0
	v_ffbh_u32_e32 v26, v15
	v_min_u32_e32 v29, 32, v26
	v_subrev_u32_e32 v26, 28, v29
	v_lshlrev_b64 v[26:27], v26, v[0:1]
	v_lshrrev_b32_e32 v28, 3, v22
	v_sub_u32_e32 v27, 29, v29
	v_cmp_gt_u32_e64 s[4:5], 8, v22
	v_cndmask_b32_e64 v22, v28, v27, s[4:5]
	v_and_b32_e32 v26, 7, v26
	v_lshlrev_b32_e32 v0, 8, v0
	v_lshl_add_u32 v22, v22, 10, v2
	v_cndmask_b32_e64 v15, v15, v26, s[4:5]
	v_and_or_b32 v0, v0, s30, v22
	v_lshl_or_b32 v0, v15, 7, v0
	v_cvt_f32_f16_e32 v15, v0
.LBB306_631:                            ;   in Loop: Header=BB306_434 Depth=1
	s_or_b64 exec, exec, s[22:23]
.LBB306_632:                            ;   in Loop: Header=BB306_434 Depth=1
	s_or_b64 exec, exec, s[20:21]
.LBB306_633:                            ;   in Loop: Header=BB306_434 Depth=1
	s_or_b64 exec, exec, s[18:19]
	v_pk_mul_f32 v[24:25], v[14:15], v[24:25] op_sel_hi:[0,1]
	v_pk_mul_f32 v[20:21], v[14:15], v[20:21] op_sel_hi:[0,1]
	v_cvt_f16_f32_e32 v0, v25
	v_cvt_f16_f32_e32 v22, v24
	;; [unrolled: 1-line block ×4, first 2 shown]
	v_fma_mixlo_f16 v7, v14, v7, 0
	v_lshlrev_b32_e32 v7, 16, v7
	v_fma_mixlo_f16 v6, v14, v6, 0
	v_or_b32_sdwa v6, v7, v6 dst_sel:DWORD dst_unused:UNUSED_PAD src0_sel:DWORD src1_sel:WORD_0
	v_fma_mixlo_f16 v7, v14, v15, 0
	v_pack_b32_f16 v22, v22, v0
	v_pack_b32_f16 v20, v20, v21
	v_fma_mixlo_f16 v18, v14, v18, 0
	v_lshlrev_b32_e32 v7, 16, v7
	v_perm_b32 v0, v20, v22, s34
	v_perm_b32 v20, v20, v22, s35
	v_or_b32_sdwa v7, v7, v18 dst_sel:DWORD dst_unused:UNUSED_PAD src0_sel:DWORD src1_sel:WORD_0
	s_and_saveexec_b64 s[18:19], vcc
	s_cbranch_execz .LBB306_635
; %bb.634:                              ;   in Loop: Header=BB306_434 Depth=1
	v_lshrrev_b32_e32 v14, 16, v20
	v_cmp_lt_i32_e64 s[4:5], v57, v3
	v_accvgpr_read_b32 v22, a8
	v_cndmask_b32_e64 v14, 0, v14, s[4:5]
	v_cmp_lt_i32_e64 s[4:5], v23, v22
	v_cndmask_b32_e64 v15, 0, v20, s[4:5]
	v_perm_b32 v20, v14, v15, s36
	v_lshrrev_b32_e32 v14, 16, v0
	v_cmp_lt_i32_e64 s[4:5], v56, v3
	v_cndmask_b32_e64 v14, 0, v14, s[4:5]
	v_cmp_lt_i32_e64 s[4:5], v47, v22
	v_cndmask_b32_e64 v0, 0, v0, s[4:5]
	v_perm_b32 v0, v14, v0, s36
	v_lshrrev_b32_e32 v14, 16, v6
	v_cmp_lt_i32_e64 s[4:5], v46, v3
	v_cndmask_b32_e64 v14, 0, v14, s[4:5]
	v_cmp_lt_i32_e64 s[4:5], v45, v22
	v_cndmask_b32_e64 v6, 0, v6, s[4:5]
	v_lshrrev_b32_e32 v7, 16, v7
	v_cmp_lt_i32_e64 s[4:5], v16, v3
	v_cndmask_b32_e64 v7, 0, v7, s[4:5]
	v_cmp_lt_i32_e64 s[4:5], v52, v22
	v_perm_b32 v6, v14, v6, s36
	v_cndmask_b32_e64 v14, 0, v18, s[4:5]
	v_perm_b32 v7, v7, v14, s36
.LBB306_635:                            ;   in Loop: Header=BB306_434 Depth=1
	s_or_b64 exec, exec, s[18:19]
	;;#ASMSTART
	v_pk_mul_f16 v14, v61, v20;

	;;#ASMEND
	;;#ASMSTART
	v_pk_mul_f16 v0, v60, v0;

	;;#ASMEND
	;; [unrolled: 4-line block ×4, first 2 shown]
	;;#ASMSTART
	v_pk_add_f16 v0, v14, v0;

	;;#ASMEND
	;;#ASMSTART
	v_pk_add_f16 v0, v0, v6;

	;;#ASMEND
	;; [unrolled: 4-line block ×3, first 2 shown]
	v_lshrrev_b32_e32 v6, 16, v0
	v_and_b32_e32 v0, 0xffff, v0
	;;#ASMSTART
	v_cvt_f32_f16 v44, v0;
	;;#ASMEND
	;;#ASMSTART
	v_cvt_f32_f16 v27, v6;
	;;#ASMEND
	v_accvgpr_read_b32 v7, a5
	flat_load_dwordx2 v[28:29], v[12:13] offset:2048
	v_accvgpr_read_b32 v6, a4
	flat_load_dword v14, v[6:7]
	v_mov_b32_e32 v24, 0
	v_mov_b32_e32 v20, 0
	s_waitcnt vmcnt(0) lgkmcnt(0)
	v_cmp_ne_u16_sdwa s[4:5], v28, v1 src0_sel:BYTE_0 src1_sel:DWORD
	s_and_saveexec_b64 s[18:19], s[4:5]
	s_cbranch_execz .LBB306_641
; %bb.636:                              ;   in Loop: Header=BB306_434 Depth=1
	v_cmp_ne_u16_sdwa s[4:5], v28, s7 src0_sel:BYTE_0 src1_sel:DWORD
	v_bfrev_b32_e32 v20, 1
	s_and_saveexec_b64 s[20:21], s[4:5]
	s_cbranch_execz .LBB306_640
; %bb.637:                              ;   in Loop: Header=BB306_434 Depth=1
	v_and_b32_e32 v0, 0x7f, v28
	v_cmp_ne_u32_e64 s[4:5], s15, v0
	v_mov_b32_e32 v20, 0x7fc02000
	s_and_saveexec_b64 s[22:23], s[4:5]
	s_cbranch_execz .LBB306_639
; %bb.638:                              ;   in Loop: Header=BB306_434 Depth=1
	v_and_b32_e32 v6, 7, v28
	v_ffbh_u32_e32 v6, v6
	v_min_u32_e32 v6, 32, v6
	v_subrev_u32_e32 v7, 28, v6
	v_cmp_gt_u32_e64 s[4:5], 8, v0
	v_lshrrev_b32_e32 v15, 3, v0
	v_sub_u32_e32 v18, 29, v6
	v_cndmask_b32_e64 v0, 0, v7, s[4:5]
	v_lshlrev_b64 v[6:7], v0, v[28:29]
	v_cndmask_b32_e64 v0, v15, v18, s[4:5]
	v_lshlrev_b32_e32 v7, 8, v28
	v_lshl_add_u32 v0, v0, 10, v2
	v_lshlrev_b32_e32 v6, 7, v6
	v_and_or_b32 v0, v7, s30, v0
	v_and_or_b32 v0, v6, s31, v0
	v_cvt_f32_f16_e32 v20, v0
.LBB306_639:                            ;   in Loop: Header=BB306_434 Depth=1
	s_or_b64 exec, exec, s[22:23]
.LBB306_640:                            ;   in Loop: Header=BB306_434 Depth=1
	s_or_b64 exec, exec, s[20:21]
.LBB306_641:                            ;   in Loop: Header=BB306_434 Depth=1
	s_or_b64 exec, exec, s[18:19]
	v_lshrrev_b16_e32 v0, 8, v28
	v_cmp_ne_u16_e64 s[4:5], 0, v0
	s_and_saveexec_b64 s[18:19], s[4:5]
	s_cbranch_execz .LBB306_647
; %bb.642:                              ;   in Loop: Header=BB306_434 Depth=1
	v_cmp_ne_u16_e64 s[4:5], s7, v0
	v_bfrev_b32_e32 v24, 1
	s_and_saveexec_b64 s[20:21], s[4:5]
	s_cbranch_execz .LBB306_646
; %bb.643:                              ;   in Loop: Header=BB306_434 Depth=1
	v_and_b32_e32 v6, 0x7f, v0
	v_cmp_ne_u32_e64 s[4:5], s15, v6
	v_mov_b32_e32 v24, 0x7fc02000
	s_and_saveexec_b64 s[22:23], s[4:5]
	s_cbranch_execz .LBB306_645
; %bb.644:                              ;   in Loop: Header=BB306_434 Depth=1
	v_and_b32_e32 v7, 7, v0
	v_ffbh_u32_e32 v18, v7
	v_min_u32_e32 v18, 32, v18
	v_lshrrev_b32_e32 v15, 3, v6
	v_subrev_u32_e32 v21, 28, v18
	v_sub_u32_e32 v18, 29, v18
	v_cmp_gt_u32_e64 s[4:5], 8, v6
	v_lshlrev_b64 v[24:25], v21, v[0:1]
	v_cndmask_b32_e64 v6, v15, v18, s[4:5]
	v_and_b32_e32 v21, 7, v24
	v_lshlrev_b32_e32 v0, 8, v0
	v_lshl_add_u32 v6, v6, 10, v2
	v_cndmask_b32_e64 v7, v7, v21, s[4:5]
	v_and_or_b32 v0, v0, s30, v6
	v_lshl_or_b32 v0, v7, 7, v0
	v_cvt_f32_f16_e32 v24, v0
.LBB306_645:                            ;   in Loop: Header=BB306_434 Depth=1
	s_or_b64 exec, exec, s[22:23]
.LBB306_646:                            ;   in Loop: Header=BB306_434 Depth=1
	s_or_b64 exec, exec, s[20:21]
.LBB306_647:                            ;   in Loop: Header=BB306_434 Depth=1
	s_or_b64 exec, exec, s[18:19]
	v_lshrrev_b32_e32 v0, 16, v28
	v_cmp_ne_u16_sdwa s[4:5], v0, v1 src0_sel:BYTE_0 src1_sel:DWORD
	v_mov_b32_e32 v25, 0
	v_mov_b32_e32 v21, 0
	s_and_saveexec_b64 s[18:19], s[4:5]
	s_cbranch_execz .LBB306_653
; %bb.648:                              ;   in Loop: Header=BB306_434 Depth=1
	v_cmp_ne_u16_sdwa s[4:5], v0, s7 src0_sel:BYTE_0 src1_sel:DWORD
	v_bfrev_b32_e32 v21, 1
	s_and_saveexec_b64 s[20:21], s[4:5]
	s_cbranch_execz .LBB306_652
; %bb.649:                              ;   in Loop: Header=BB306_434 Depth=1
	v_bfe_u32 v6, v28, 16, 7
	v_cmp_ne_u32_e64 s[4:5], s15, v6
	v_mov_b32_e32 v21, 0x7fc02000
	s_and_saveexec_b64 s[22:23], s[4:5]
	s_cbranch_execz .LBB306_651
; %bb.650:                              ;   in Loop: Header=BB306_434 Depth=1
	v_and_b32_e32 v7, 7, v0
	v_ffbh_u32_e32 v18, v7
	v_min_u32_e32 v18, 32, v18
	v_lshrrev_b32_e32 v15, 3, v6
	v_subrev_u32_e32 v21, 28, v18
	v_sub_u32_e32 v18, 29, v18
	v_cmp_gt_u32_e64 s[4:5], 8, v6
	v_lshlrev_b64 v[48:49], v21, v[0:1]
	v_cndmask_b32_e64 v6, v15, v18, s[4:5]
	v_and_b32_e32 v21, 7, v48
	v_lshlrev_b32_e32 v0, 8, v0
	v_lshl_add_u32 v6, v6, 10, v2
	v_cndmask_b32_e64 v7, v7, v21, s[4:5]
	v_and_or_b32 v0, v0, s30, v6
	v_lshl_or_b32 v0, v7, 7, v0
	v_cvt_f32_f16_e32 v21, v0
.LBB306_651:                            ;   in Loop: Header=BB306_434 Depth=1
	s_or_b64 exec, exec, s[22:23]
.LBB306_652:                            ;   in Loop: Header=BB306_434 Depth=1
	s_or_b64 exec, exec, s[20:21]
.LBB306_653:                            ;   in Loop: Header=BB306_434 Depth=1
	s_or_b64 exec, exec, s[18:19]
	v_cmp_lt_u32_e64 s[4:5], s13, v28
	s_and_saveexec_b64 s[18:19], s[4:5]
	s_cbranch_execz .LBB306_659
; %bb.654:                              ;   in Loop: Header=BB306_434 Depth=1
	v_lshrrev_b32_e32 v0, 24, v28
	v_cmp_ne_u32_e64 s[4:5], s7, v0
	v_bfrev_b32_e32 v25, 1
	s_and_saveexec_b64 s[20:21], s[4:5]
	s_cbranch_execz .LBB306_658
; %bb.655:                              ;   in Loop: Header=BB306_434 Depth=1
	v_and_b32_e32 v6, 0x7f, v0
	v_cmp_ne_u32_e64 s[4:5], s15, v6
	v_mov_b32_e32 v25, 0x7fc02000
	s_and_saveexec_b64 s[22:23], s[4:5]
	s_cbranch_execz .LBB306_657
; %bb.656:                              ;   in Loop: Header=BB306_434 Depth=1
	v_and_b32_e32 v7, 7, v0
	v_ffbh_u32_e32 v18, v7
	v_min_u32_e32 v18, 32, v18
	v_lshrrev_b32_e32 v15, 3, v6
	v_subrev_u32_e32 v22, 28, v18
	v_sub_u32_e32 v18, 29, v18
	v_cmp_gt_u32_e64 s[4:5], 8, v6
	v_lshlrev_b64 v[48:49], v22, v[0:1]
	v_cndmask_b32_e64 v6, v15, v18, s[4:5]
	v_and_b32_e32 v22, 7, v48
	v_lshlrev_b32_e32 v0, 8, v0
	v_lshl_add_u32 v6, v6, 10, v2
	v_cndmask_b32_e64 v7, v7, v22, s[4:5]
	v_and_or_b32 v0, v0, s30, v6
	v_lshl_or_b32 v0, v7, 7, v0
	v_cvt_f32_f16_e32 v25, v0
.LBB306_657:                            ;   in Loop: Header=BB306_434 Depth=1
	s_or_b64 exec, exec, s[22:23]
.LBB306_658:                            ;   in Loop: Header=BB306_434 Depth=1
	s_or_b64 exec, exec, s[20:21]
.LBB306_659:                            ;   in Loop: Header=BB306_434 Depth=1
	s_or_b64 exec, exec, s[18:19]
	v_mov_b32_e32 v0, v29
	v_cmp_ne_u16_sdwa s[4:5], v29, v1 src0_sel:BYTE_0 src1_sel:DWORD
	v_mov_b32_e32 v7, 0
	v_mov_b32_e32 v6, 0
	s_and_saveexec_b64 s[18:19], s[4:5]
	s_cbranch_execz .LBB306_665
; %bb.660:                              ;   in Loop: Header=BB306_434 Depth=1
	v_cmp_ne_u16_sdwa s[4:5], v29, s7 src0_sel:BYTE_0 src1_sel:DWORD
	v_bfrev_b32_e32 v6, 1
	s_and_saveexec_b64 s[20:21], s[4:5]
	s_cbranch_execz .LBB306_664
; %bb.661:                              ;   in Loop: Header=BB306_434 Depth=1
	v_and_b32_e32 v15, 0x7f, v29
	v_cmp_ne_u32_e64 s[4:5], s15, v15
	v_mov_b32_e32 v6, 0x7fc02000
	s_and_saveexec_b64 s[22:23], s[4:5]
	s_cbranch_execz .LBB306_663
; %bb.662:                              ;   in Loop: Header=BB306_434 Depth=1
	v_and_b32_e32 v6, 7, v29
	v_ffbh_u32_e32 v6, v6
	v_min_u32_e32 v6, 32, v6
	v_lshrrev_b32_e32 v18, 3, v15
	v_subrev_u32_e32 v22, 28, v6
	v_sub_u32_e32 v6, 29, v6
	v_cmp_gt_u32_e64 s[4:5], 8, v15
	v_cndmask_b32_e64 v15, 0, v22, s[4:5]
	v_cndmask_b32_e64 v6, v18, v6, s[4:5]
	v_lshlrev_b64 v[48:49], v15, v[0:1]
	v_lshlrev_b32_e32 v18, 8, v29
	v_lshl_add_u32 v6, v6, 10, v2
	v_lshlrev_b32_e32 v15, 7, v48
	v_and_or_b32 v6, v18, s30, v6
	v_and_or_b32 v6, v15, s31, v6
	v_cvt_f32_f16_e32 v6, v6
.LBB306_663:                            ;   in Loop: Header=BB306_434 Depth=1
	s_or_b64 exec, exec, s[22:23]
.LBB306_664:                            ;   in Loop: Header=BB306_434 Depth=1
	s_or_b64 exec, exec, s[20:21]
.LBB306_665:                            ;   in Loop: Header=BB306_434 Depth=1
	s_or_b64 exec, exec, s[18:19]
	v_lshrrev_b16_e32 v0, 8, v0
	v_cmp_ne_u16_e64 s[4:5], 0, v0
	s_and_saveexec_b64 s[18:19], s[4:5]
	s_cbranch_execz .LBB306_671
; %bb.666:                              ;   in Loop: Header=BB306_434 Depth=1
	v_cmp_ne_u16_e64 s[4:5], s7, v0
	v_bfrev_b32_e32 v7, 1
	s_and_saveexec_b64 s[20:21], s[4:5]
	s_cbranch_execz .LBB306_670
; %bb.667:                              ;   in Loop: Header=BB306_434 Depth=1
	v_and_b32_e32 v15, 0x7f, v0
	v_cmp_ne_u32_e64 s[4:5], s15, v15
	v_mov_b32_e32 v7, 0x7fc02000
	s_and_saveexec_b64 s[22:23], s[4:5]
	s_cbranch_execz .LBB306_669
; %bb.668:                              ;   in Loop: Header=BB306_434 Depth=1
	v_and_b32_e32 v7, 7, v0
	v_ffbh_u32_e32 v22, v7
	v_min_u32_e32 v22, 32, v22
	v_lshrrev_b32_e32 v18, 3, v15
	v_subrev_u32_e32 v26, 28, v22
	v_sub_u32_e32 v22, 29, v22
	v_cmp_gt_u32_e64 s[4:5], 8, v15
	v_lshlrev_b64 v[48:49], v26, v[0:1]
	v_cndmask_b32_e64 v15, v18, v22, s[4:5]
	v_and_b32_e32 v26, 7, v48
	v_lshlrev_b32_e32 v0, 8, v0
	v_lshl_add_u32 v15, v15, 10, v2
	v_cndmask_b32_e64 v7, v7, v26, s[4:5]
	v_and_or_b32 v0, v0, s30, v15
	v_lshl_or_b32 v0, v7, 7, v0
	v_cvt_f32_f16_e32 v7, v0
.LBB306_669:                            ;   in Loop: Header=BB306_434 Depth=1
	s_or_b64 exec, exec, s[22:23]
.LBB306_670:                            ;   in Loop: Header=BB306_434 Depth=1
	s_or_b64 exec, exec, s[20:21]
.LBB306_671:                            ;   in Loop: Header=BB306_434 Depth=1
	s_or_b64 exec, exec, s[18:19]
	v_lshrrev_b32_e32 v0, 16, v29
	v_cmp_ne_u16_sdwa s[4:5], v0, v1 src0_sel:BYTE_0 src1_sel:DWORD
	v_mov_b32_e32 v15, 0
	v_mov_b32_e32 v18, 0
	s_and_saveexec_b64 s[18:19], s[4:5]
	s_cbranch_execz .LBB306_677
; %bb.672:                              ;   in Loop: Header=BB306_434 Depth=1
	v_cmp_ne_u16_sdwa s[4:5], v0, s7 src0_sel:BYTE_0 src1_sel:DWORD
	v_bfrev_b32_e32 v18, 1
	s_and_saveexec_b64 s[20:21], s[4:5]
	s_cbranch_execz .LBB306_676
; %bb.673:                              ;   in Loop: Header=BB306_434 Depth=1
	v_bfe_u32 v22, v29, 16, 7
	v_cmp_ne_u32_e64 s[4:5], s15, v22
	v_mov_b32_e32 v18, 0x7fc02000
	s_and_saveexec_b64 s[22:23], s[4:5]
	s_cbranch_execz .LBB306_675
; %bb.674:                              ;   in Loop: Header=BB306_434 Depth=1
	v_and_b32_e32 v18, 7, v0
	v_ffbh_u32_e32 v31, v18
	v_min_u32_e32 v31, 32, v31
	v_lshrrev_b32_e32 v26, 3, v22
	v_subrev_u32_e32 v48, 28, v31
	v_sub_u32_e32 v31, 29, v31
	v_cmp_gt_u32_e64 s[4:5], 8, v22
	v_lshlrev_b64 v[48:49], v48, v[0:1]
	v_cndmask_b32_e64 v22, v26, v31, s[4:5]
	v_and_b32_e32 v48, 7, v48
	v_lshlrev_b32_e32 v0, 8, v0
	v_lshl_add_u32 v22, v22, 10, v2
	v_cndmask_b32_e64 v18, v18, v48, s[4:5]
	v_and_or_b32 v0, v0, s30, v22
	v_lshl_or_b32 v0, v18, 7, v0
	v_cvt_f32_f16_e32 v18, v0
.LBB306_675:                            ;   in Loop: Header=BB306_434 Depth=1
	s_or_b64 exec, exec, s[22:23]
.LBB306_676:                            ;   in Loop: Header=BB306_434 Depth=1
	s_or_b64 exec, exec, s[20:21]
.LBB306_677:                            ;   in Loop: Header=BB306_434 Depth=1
	s_or_b64 exec, exec, s[18:19]
	v_cmp_lt_u64_e64 s[4:5], s[12:13], v[28:29]
	s_and_saveexec_b64 s[18:19], s[4:5]
	s_cbranch_execz .LBB306_683
; %bb.678:                              ;   in Loop: Header=BB306_434 Depth=1
	v_lshrrev_b32_e32 v0, 24, v29
	v_cmp_ne_u32_e64 s[4:5], s7, v0
	v_bfrev_b32_e32 v15, 1
	s_and_saveexec_b64 s[20:21], s[4:5]
	s_cbranch_execz .LBB306_682
; %bb.679:                              ;   in Loop: Header=BB306_434 Depth=1
	v_and_b32_e32 v22, 0x7f, v0
	v_cmp_ne_u32_e64 s[4:5], s15, v22
	v_mov_b32_e32 v15, 0x7fc02000
	s_and_saveexec_b64 s[22:23], s[4:5]
	s_cbranch_execz .LBB306_681
; %bb.680:                              ;   in Loop: Header=BB306_434 Depth=1
	v_and_b32_e32 v15, 7, v0
	v_ffbh_u32_e32 v28, v15
	v_min_u32_e32 v31, 32, v28
	v_subrev_u32_e32 v28, 28, v31
	v_lshlrev_b64 v[28:29], v28, v[0:1]
	v_lshrrev_b32_e32 v26, 3, v22
	v_sub_u32_e32 v29, 29, v31
	v_cmp_gt_u32_e64 s[4:5], 8, v22
	v_cndmask_b32_e64 v22, v26, v29, s[4:5]
	v_and_b32_e32 v28, 7, v28
	v_lshlrev_b32_e32 v0, 8, v0
	v_lshl_add_u32 v22, v22, 10, v2
	v_cndmask_b32_e64 v15, v15, v28, s[4:5]
	v_and_or_b32 v0, v0, s30, v22
	v_lshl_or_b32 v0, v15, 7, v0
	v_cvt_f32_f16_e32 v15, v0
.LBB306_681:                            ;   in Loop: Header=BB306_434 Depth=1
	s_or_b64 exec, exec, s[22:23]
.LBB306_682:                            ;   in Loop: Header=BB306_434 Depth=1
	s_or_b64 exec, exec, s[20:21]
.LBB306_683:                            ;   in Loop: Header=BB306_434 Depth=1
	s_or_b64 exec, exec, s[18:19]
	v_pk_mul_f32 v[24:25], v[14:15], v[24:25] op_sel_hi:[0,1]
	v_pk_mul_f32 v[20:21], v[14:15], v[20:21] op_sel_hi:[0,1]
	v_cvt_f16_f32_e32 v0, v25
	v_cvt_f16_f32_e32 v22, v24
	;; [unrolled: 1-line block ×4, first 2 shown]
	v_fma_mixlo_f16 v7, v14, v7, 0
	v_lshlrev_b32_e32 v7, 16, v7
	v_fma_mixlo_f16 v6, v14, v6, 0
	v_or_b32_sdwa v6, v7, v6 dst_sel:DWORD dst_unused:UNUSED_PAD src0_sel:DWORD src1_sel:WORD_0
	v_fma_mixlo_f16 v7, v14, v15, 0
	v_pack_b32_f16 v22, v22, v0
	v_pack_b32_f16 v20, v20, v21
	v_fma_mixlo_f16 v18, v14, v18, 0
	v_lshlrev_b32_e32 v7, 16, v7
	v_perm_b32 v0, v20, v22, s34
	v_perm_b32 v20, v20, v22, s35
	v_or_b32_sdwa v7, v7, v18 dst_sel:DWORD dst_unused:UNUSED_PAD src0_sel:DWORD src1_sel:WORD_0
	s_and_saveexec_b64 s[18:19], vcc
	s_cbranch_execz .LBB306_685
; %bb.684:                              ;   in Loop: Header=BB306_434 Depth=1
	v_lshrrev_b32_e32 v14, 16, v20
	v_cmp_lt_i32_e64 s[4:5], v57, v3
	v_accvgpr_read_b32 v22, a8
	v_cndmask_b32_e64 v14, 0, v14, s[4:5]
	v_cmp_lt_i32_e64 s[4:5], v23, v22
	v_cndmask_b32_e64 v15, 0, v20, s[4:5]
	v_perm_b32 v20, v14, v15, s36
	v_lshrrev_b32_e32 v14, 16, v0
	v_cmp_lt_i32_e64 s[4:5], v56, v3
	v_cndmask_b32_e64 v14, 0, v14, s[4:5]
	v_cmp_lt_i32_e64 s[4:5], v47, v22
	v_cndmask_b32_e64 v0, 0, v0, s[4:5]
	v_perm_b32 v0, v14, v0, s36
	v_lshrrev_b32_e32 v14, 16, v6
	v_cmp_lt_i32_e64 s[4:5], v46, v3
	v_cndmask_b32_e64 v14, 0, v14, s[4:5]
	v_cmp_lt_i32_e64 s[4:5], v45, v22
	v_cndmask_b32_e64 v6, 0, v6, s[4:5]
	v_lshrrev_b32_e32 v7, 16, v7
	v_cmp_lt_i32_e64 s[4:5], v16, v3
	v_cndmask_b32_e64 v7, 0, v7, s[4:5]
	v_cmp_lt_i32_e64 s[4:5], v52, v22
	v_perm_b32 v6, v14, v6, s36
	v_cndmask_b32_e64 v14, 0, v18, s[4:5]
	v_perm_b32 v7, v7, v14, s36
.LBB306_685:                            ;   in Loop: Header=BB306_434 Depth=1
	s_or_b64 exec, exec, s[18:19]
	;;#ASMSTART
	v_pk_mul_f16 v14, v61, v20;

	;;#ASMEND
	;;#ASMSTART
	v_pk_mul_f16 v0, v60, v0;

	;;#ASMEND
	;; [unrolled: 4-line block ×4, first 2 shown]
	;;#ASMSTART
	v_pk_add_f16 v0, v14, v0;

	;;#ASMEND
	;;#ASMSTART
	v_pk_add_f16 v0, v0, v6;

	;;#ASMEND
	;; [unrolled: 4-line block ×3, first 2 shown]
	v_accvgpr_read_b32 v15, a5
	v_lshrrev_b32_e32 v6, 16, v0
	v_and_b32_e32 v0, 0xffff, v0
	;;#ASMSTART
	v_cvt_f32_f16 v7, v0;
	;;#ASMEND
	;;#ASMSTART
	v_cvt_f32_f16 v48, v6;
	;;#ASMEND
	flat_load_dwordx2 v[28:29], v[12:13] offset:2560
	v_accvgpr_read_b32 v14, a4
	flat_load_dword v14, v[14:15]
	v_mov_b32_e32 v24, 0
	v_mov_b32_e32 v20, 0
	s_waitcnt vmcnt(0) lgkmcnt(0)
	v_cmp_ne_u16_sdwa s[4:5], v28, v1 src0_sel:BYTE_0 src1_sel:DWORD
	s_and_saveexec_b64 s[18:19], s[4:5]
	s_cbranch_execz .LBB306_691
; %bb.686:                              ;   in Loop: Header=BB306_434 Depth=1
	v_cmp_ne_u16_sdwa s[4:5], v28, s7 src0_sel:BYTE_0 src1_sel:DWORD
	v_bfrev_b32_e32 v20, 1
	s_and_saveexec_b64 s[20:21], s[4:5]
	s_cbranch_execz .LBB306_690
; %bb.687:                              ;   in Loop: Header=BB306_434 Depth=1
	v_and_b32_e32 v0, 0x7f, v28
	v_cmp_ne_u32_e64 s[4:5], s15, v0
	v_mov_b32_e32 v20, 0x7fc02000
	s_and_saveexec_b64 s[22:23], s[4:5]
	s_cbranch_execz .LBB306_689
; %bb.688:                              ;   in Loop: Header=BB306_434 Depth=1
	v_and_b32_e32 v6, 7, v28
	v_ffbh_u32_e32 v6, v6
	v_min_u32_e32 v6, 32, v6
	v_subrev_u32_e32 v18, 28, v6
	v_cmp_gt_u32_e64 s[4:5], 8, v0
	v_lshrrev_b32_e32 v15, 3, v0
	v_sub_u32_e32 v6, 29, v6
	v_cndmask_b32_e64 v0, 0, v18, s[4:5]
	v_lshlrev_b64 v[20:21], v0, v[28:29]
	v_cndmask_b32_e64 v0, v15, v6, s[4:5]
	v_lshlrev_b32_e32 v15, 8, v28
	v_lshl_add_u32 v0, v0, 10, v2
	v_lshlrev_b32_e32 v6, 7, v20
	v_and_or_b32 v0, v15, s30, v0
	v_and_or_b32 v0, v6, s31, v0
	v_cvt_f32_f16_e32 v20, v0
.LBB306_689:                            ;   in Loop: Header=BB306_434 Depth=1
	s_or_b64 exec, exec, s[22:23]
.LBB306_690:                            ;   in Loop: Header=BB306_434 Depth=1
	s_or_b64 exec, exec, s[20:21]
.LBB306_691:                            ;   in Loop: Header=BB306_434 Depth=1
	s_or_b64 exec, exec, s[18:19]
	v_lshrrev_b16_e32 v0, 8, v28
	v_cmp_ne_u16_e64 s[4:5], 0, v0
	s_and_saveexec_b64 s[18:19], s[4:5]
	s_cbranch_execz .LBB306_697
; %bb.692:                              ;   in Loop: Header=BB306_434 Depth=1
	v_cmp_ne_u16_e64 s[4:5], s7, v0
	v_bfrev_b32_e32 v24, 1
	s_and_saveexec_b64 s[20:21], s[4:5]
	s_cbranch_execz .LBB306_696
; %bb.693:                              ;   in Loop: Header=BB306_434 Depth=1
	v_and_b32_e32 v6, 0x7f, v0
	v_cmp_ne_u32_e64 s[4:5], s15, v6
	v_mov_b32_e32 v24, 0x7fc02000
	s_and_saveexec_b64 s[22:23], s[4:5]
	s_cbranch_execz .LBB306_695
; %bb.694:                              ;   in Loop: Header=BB306_434 Depth=1
	v_and_b32_e32 v15, 7, v0
	v_ffbh_u32_e32 v21, v15
	v_min_u32_e32 v21, 32, v21
	v_lshrrev_b32_e32 v18, 3, v6
	v_subrev_u32_e32 v22, 28, v21
	v_sub_u32_e32 v21, 29, v21
	v_cmp_gt_u32_e64 s[4:5], 8, v6
	v_lshlrev_b64 v[24:25], v22, v[0:1]
	v_cndmask_b32_e64 v6, v18, v21, s[4:5]
	v_and_b32_e32 v22, 7, v24
	v_lshlrev_b32_e32 v0, 8, v0
	v_lshl_add_u32 v6, v6, 10, v2
	v_cndmask_b32_e64 v15, v15, v22, s[4:5]
	v_and_or_b32 v0, v0, s30, v6
	v_lshl_or_b32 v0, v15, 7, v0
	v_cvt_f32_f16_e32 v24, v0
.LBB306_695:                            ;   in Loop: Header=BB306_434 Depth=1
	s_or_b64 exec, exec, s[22:23]
.LBB306_696:                            ;   in Loop: Header=BB306_434 Depth=1
	s_or_b64 exec, exec, s[20:21]
.LBB306_697:                            ;   in Loop: Header=BB306_434 Depth=1
	s_or_b64 exec, exec, s[18:19]
	v_lshrrev_b32_e32 v0, 16, v28
	v_cmp_ne_u16_sdwa s[4:5], v0, v1 src0_sel:BYTE_0 src1_sel:DWORD
	v_mov_b32_e32 v25, 0
	v_mov_b32_e32 v21, 0
	s_and_saveexec_b64 s[18:19], s[4:5]
	s_cbranch_execz .LBB306_703
; %bb.698:                              ;   in Loop: Header=BB306_434 Depth=1
	v_cmp_ne_u16_sdwa s[4:5], v0, s7 src0_sel:BYTE_0 src1_sel:DWORD
	v_bfrev_b32_e32 v21, 1
	s_and_saveexec_b64 s[20:21], s[4:5]
	s_cbranch_execz .LBB306_702
; %bb.699:                              ;   in Loop: Header=BB306_434 Depth=1
	v_bfe_u32 v6, v28, 16, 7
	v_cmp_ne_u32_e64 s[4:5], s15, v6
	v_mov_b32_e32 v21, 0x7fc02000
	s_and_saveexec_b64 s[22:23], s[4:5]
	s_cbranch_execz .LBB306_701
; %bb.700:                              ;   in Loop: Header=BB306_434 Depth=1
	v_and_b32_e32 v15, 7, v0
	v_ffbh_u32_e32 v21, v15
	v_min_u32_e32 v21, 32, v21
	v_lshrrev_b32_e32 v18, 3, v6
	v_subrev_u32_e32 v22, 28, v21
	v_sub_u32_e32 v21, 29, v21
	v_cmp_gt_u32_e64 s[4:5], 8, v6
	v_lshlrev_b64 v[54:55], v22, v[0:1]
	v_cndmask_b32_e64 v6, v18, v21, s[4:5]
	v_and_b32_e32 v22, 7, v54
	v_lshlrev_b32_e32 v0, 8, v0
	v_lshl_add_u32 v6, v6, 10, v2
	v_cndmask_b32_e64 v15, v15, v22, s[4:5]
	v_and_or_b32 v0, v0, s30, v6
	v_lshl_or_b32 v0, v15, 7, v0
	v_cvt_f32_f16_e32 v21, v0
.LBB306_701:                            ;   in Loop: Header=BB306_434 Depth=1
	s_or_b64 exec, exec, s[22:23]
.LBB306_702:                            ;   in Loop: Header=BB306_434 Depth=1
	s_or_b64 exec, exec, s[20:21]
.LBB306_703:                            ;   in Loop: Header=BB306_434 Depth=1
	s_or_b64 exec, exec, s[18:19]
	v_cmp_lt_u32_e64 s[4:5], s13, v28
	s_and_saveexec_b64 s[18:19], s[4:5]
	s_cbranch_execz .LBB306_709
; %bb.704:                              ;   in Loop: Header=BB306_434 Depth=1
	v_lshrrev_b32_e32 v0, 24, v28
	v_cmp_ne_u32_e64 s[4:5], s7, v0
	v_bfrev_b32_e32 v25, 1
	s_and_saveexec_b64 s[20:21], s[4:5]
	s_cbranch_execz .LBB306_708
; %bb.705:                              ;   in Loop: Header=BB306_434 Depth=1
	v_and_b32_e32 v6, 0x7f, v0
	v_cmp_ne_u32_e64 s[4:5], s15, v6
	v_mov_b32_e32 v25, 0x7fc02000
	s_and_saveexec_b64 s[22:23], s[4:5]
	s_cbranch_execz .LBB306_707
; %bb.706:                              ;   in Loop: Header=BB306_434 Depth=1
	v_and_b32_e32 v15, 7, v0
	v_ffbh_u32_e32 v22, v15
	v_min_u32_e32 v22, 32, v22
	v_lshrrev_b32_e32 v18, 3, v6
	v_subrev_u32_e32 v25, 28, v22
	v_sub_u32_e32 v22, 29, v22
	v_cmp_gt_u32_e64 s[4:5], 8, v6
	v_lshlrev_b64 v[54:55], v25, v[0:1]
	v_cndmask_b32_e64 v6, v18, v22, s[4:5]
	v_and_b32_e32 v25, 7, v54
	v_lshlrev_b32_e32 v0, 8, v0
	v_lshl_add_u32 v6, v6, 10, v2
	v_cndmask_b32_e64 v15, v15, v25, s[4:5]
	v_and_or_b32 v0, v0, s30, v6
	v_lshl_or_b32 v0, v15, 7, v0
	v_cvt_f32_f16_e32 v25, v0
.LBB306_707:                            ;   in Loop: Header=BB306_434 Depth=1
	s_or_b64 exec, exec, s[22:23]
.LBB306_708:                            ;   in Loop: Header=BB306_434 Depth=1
	s_or_b64 exec, exec, s[20:21]
.LBB306_709:                            ;   in Loop: Header=BB306_434 Depth=1
	s_or_b64 exec, exec, s[18:19]
	v_mov_b32_e32 v0, v29
	v_cmp_ne_u16_sdwa s[4:5], v29, v1 src0_sel:BYTE_0 src1_sel:DWORD
	v_mov_b32_e32 v15, 0
	v_mov_b32_e32 v6, 0
	s_and_saveexec_b64 s[18:19], s[4:5]
	s_cbranch_execz .LBB306_715
; %bb.710:                              ;   in Loop: Header=BB306_434 Depth=1
	v_cmp_ne_u16_sdwa s[4:5], v29, s7 src0_sel:BYTE_0 src1_sel:DWORD
	v_bfrev_b32_e32 v6, 1
	s_and_saveexec_b64 s[20:21], s[4:5]
	s_cbranch_execz .LBB306_714
; %bb.711:                              ;   in Loop: Header=BB306_434 Depth=1
	v_and_b32_e32 v18, 0x7f, v29
	v_cmp_ne_u32_e64 s[4:5], s15, v18
	v_mov_b32_e32 v6, 0x7fc02000
	s_and_saveexec_b64 s[22:23], s[4:5]
	s_cbranch_execz .LBB306_713
; %bb.712:                              ;   in Loop: Header=BB306_434 Depth=1
	v_and_b32_e32 v6, 7, v29
	v_ffbh_u32_e32 v6, v6
	v_min_u32_e32 v6, 32, v6
	v_lshrrev_b32_e32 v22, 3, v18
	v_subrev_u32_e32 v26, 28, v6
	v_sub_u32_e32 v6, 29, v6
	v_cmp_gt_u32_e64 s[4:5], 8, v18
	v_cndmask_b32_e64 v18, 0, v26, s[4:5]
	v_cndmask_b32_e64 v6, v22, v6, s[4:5]
	v_lshlrev_b64 v[54:55], v18, v[0:1]
	v_lshlrev_b32_e32 v22, 8, v29
	v_lshl_add_u32 v6, v6, 10, v2
	v_lshlrev_b32_e32 v18, 7, v54
	v_and_or_b32 v6, v22, s30, v6
	v_and_or_b32 v6, v18, s31, v6
	v_cvt_f32_f16_e32 v6, v6
.LBB306_713:                            ;   in Loop: Header=BB306_434 Depth=1
	s_or_b64 exec, exec, s[22:23]
.LBB306_714:                            ;   in Loop: Header=BB306_434 Depth=1
	s_or_b64 exec, exec, s[20:21]
.LBB306_715:                            ;   in Loop: Header=BB306_434 Depth=1
	s_or_b64 exec, exec, s[18:19]
	v_lshrrev_b16_e32 v0, 8, v0
	v_cmp_ne_u16_e64 s[4:5], 0, v0
	s_and_saveexec_b64 s[18:19], s[4:5]
	s_cbranch_execz .LBB306_721
; %bb.716:                              ;   in Loop: Header=BB306_434 Depth=1
	v_cmp_ne_u16_e64 s[4:5], s7, v0
	v_bfrev_b32_e32 v15, 1
	s_and_saveexec_b64 s[20:21], s[4:5]
	s_cbranch_execz .LBB306_720
; %bb.717:                              ;   in Loop: Header=BB306_434 Depth=1
	v_and_b32_e32 v18, 0x7f, v0
	v_cmp_ne_u32_e64 s[4:5], s15, v18
	v_mov_b32_e32 v15, 0x7fc02000
	s_and_saveexec_b64 s[22:23], s[4:5]
	s_cbranch_execz .LBB306_719
; %bb.718:                              ;   in Loop: Header=BB306_434 Depth=1
	v_and_b32_e32 v15, 7, v0
	v_ffbh_u32_e32 v26, v15
	v_min_u32_e32 v26, 32, v26
	v_lshrrev_b32_e32 v22, 3, v18
	v_subrev_u32_e32 v31, 28, v26
	v_sub_u32_e32 v26, 29, v26
	v_cmp_gt_u32_e64 s[4:5], 8, v18
	v_lshlrev_b64 v[54:55], v31, v[0:1]
	v_cndmask_b32_e64 v18, v22, v26, s[4:5]
	v_and_b32_e32 v31, 7, v54
	v_lshlrev_b32_e32 v0, 8, v0
	v_lshl_add_u32 v18, v18, 10, v2
	v_cndmask_b32_e64 v15, v15, v31, s[4:5]
	v_and_or_b32 v0, v0, s30, v18
	v_lshl_or_b32 v0, v15, 7, v0
	v_cvt_f32_f16_e32 v15, v0
.LBB306_719:                            ;   in Loop: Header=BB306_434 Depth=1
	s_or_b64 exec, exec, s[22:23]
.LBB306_720:                            ;   in Loop: Header=BB306_434 Depth=1
	s_or_b64 exec, exec, s[20:21]
.LBB306_721:                            ;   in Loop: Header=BB306_434 Depth=1
	s_or_b64 exec, exec, s[18:19]
	v_lshrrev_b32_e32 v0, 16, v29
	v_cmp_ne_u16_sdwa s[4:5], v0, v1 src0_sel:BYTE_0 src1_sel:DWORD
	v_mov_b32_e32 v18, 0
	v_mov_b32_e32 v22, 0
	s_and_saveexec_b64 s[18:19], s[4:5]
	s_cbranch_execz .LBB306_727
; %bb.722:                              ;   in Loop: Header=BB306_434 Depth=1
	v_cmp_ne_u16_sdwa s[4:5], v0, s7 src0_sel:BYTE_0 src1_sel:DWORD
	v_bfrev_b32_e32 v22, 1
	s_and_saveexec_b64 s[20:21], s[4:5]
	s_cbranch_execz .LBB306_726
; %bb.723:                              ;   in Loop: Header=BB306_434 Depth=1
	v_bfe_u32 v26, v29, 16, 7
	v_cmp_ne_u32_e64 s[4:5], s15, v26
	v_mov_b32_e32 v22, 0x7fc02000
	s_and_saveexec_b64 s[22:23], s[4:5]
	s_cbranch_execz .LBB306_725
; %bb.724:                              ;   in Loop: Header=BB306_434 Depth=1
	v_and_b32_e32 v22, 7, v0
	v_ffbh_u32_e32 v49, v22
	v_min_u32_e32 v49, 32, v49
	v_lshrrev_b32_e32 v31, 3, v26
	v_subrev_u32_e32 v51, 28, v49
	v_sub_u32_e32 v49, 29, v49
	v_cmp_gt_u32_e64 s[4:5], 8, v26
	v_lshlrev_b64 v[54:55], v51, v[0:1]
	v_cndmask_b32_e64 v26, v31, v49, s[4:5]
	v_and_b32_e32 v51, 7, v54
	v_lshlrev_b32_e32 v0, 8, v0
	v_lshl_add_u32 v26, v26, 10, v2
	v_cndmask_b32_e64 v22, v22, v51, s[4:5]
	v_and_or_b32 v0, v0, s30, v26
	v_lshl_or_b32 v0, v22, 7, v0
	v_cvt_f32_f16_e32 v22, v0
.LBB306_725:                            ;   in Loop: Header=BB306_434 Depth=1
	s_or_b64 exec, exec, s[22:23]
.LBB306_726:                            ;   in Loop: Header=BB306_434 Depth=1
	s_or_b64 exec, exec, s[20:21]
.LBB306_727:                            ;   in Loop: Header=BB306_434 Depth=1
	s_or_b64 exec, exec, s[18:19]
	v_cmp_lt_u64_e64 s[4:5], s[12:13], v[28:29]
	s_and_saveexec_b64 s[18:19], s[4:5]
	s_cbranch_execz .LBB306_733
; %bb.728:                              ;   in Loop: Header=BB306_434 Depth=1
	v_lshrrev_b32_e32 v0, 24, v29
	v_cmp_ne_u32_e64 s[4:5], s7, v0
	v_bfrev_b32_e32 v18, 1
	s_and_saveexec_b64 s[20:21], s[4:5]
	s_cbranch_execz .LBB306_732
; %bb.729:                              ;   in Loop: Header=BB306_434 Depth=1
	v_and_b32_e32 v26, 0x7f, v0
	v_cmp_ne_u32_e64 s[4:5], s15, v26
	v_mov_b32_e32 v18, 0x7fc02000
	s_and_saveexec_b64 s[22:23], s[4:5]
	s_cbranch_execz .LBB306_731
; %bb.730:                              ;   in Loop: Header=BB306_434 Depth=1
	v_and_b32_e32 v18, 7, v0
	v_ffbh_u32_e32 v28, v18
	v_min_u32_e32 v49, 32, v28
	v_subrev_u32_e32 v28, 28, v49
	v_lshlrev_b64 v[28:29], v28, v[0:1]
	v_lshrrev_b32_e32 v31, 3, v26
	v_sub_u32_e32 v29, 29, v49
	v_cmp_gt_u32_e64 s[4:5], 8, v26
	v_cndmask_b32_e64 v26, v31, v29, s[4:5]
	v_and_b32_e32 v28, 7, v28
	v_lshlrev_b32_e32 v0, 8, v0
	v_lshl_add_u32 v26, v26, 10, v2
	v_cndmask_b32_e64 v18, v18, v28, s[4:5]
	v_and_or_b32 v0, v0, s30, v26
	v_lshl_or_b32 v0, v18, 7, v0
	v_cvt_f32_f16_e32 v18, v0
.LBB306_731:                            ;   in Loop: Header=BB306_434 Depth=1
	s_or_b64 exec, exec, s[22:23]
.LBB306_732:                            ;   in Loop: Header=BB306_434 Depth=1
	s_or_b64 exec, exec, s[20:21]
.LBB306_733:                            ;   in Loop: Header=BB306_434 Depth=1
	s_or_b64 exec, exec, s[18:19]
	v_pk_mul_f32 v[24:25], v[14:15], v[24:25] op_sel_hi:[0,1]
	v_pk_mul_f32 v[20:21], v[14:15], v[20:21] op_sel_hi:[0,1]
	v_cvt_f16_f32_e32 v0, v25
	v_cvt_f16_f32_e32 v24, v24
	;; [unrolled: 1-line block ×4, first 2 shown]
	v_fma_mixlo_f16 v15, v14, v15, 0
	v_lshlrev_b32_e32 v15, 16, v15
	v_fma_mixlo_f16 v6, v14, v6, 0
	v_or_b32_sdwa v6, v15, v6 dst_sel:DWORD dst_unused:UNUSED_PAD src0_sel:DWORD src1_sel:WORD_0
	v_fma_mixlo_f16 v15, v14, v22, 0
	v_fma_mixlo_f16 v14, v14, v18, 0
	v_pack_b32_f16 v24, v24, v0
	v_pack_b32_f16 v20, v20, v21
	v_lshlrev_b32_e32 v14, 16, v14
	v_perm_b32 v0, v20, v24, s34
	v_perm_b32 v20, v20, v24, s35
	v_or_b32_sdwa v14, v14, v15 dst_sel:DWORD dst_unused:UNUSED_PAD src0_sel:DWORD src1_sel:WORD_0
	s_and_saveexec_b64 s[18:19], vcc
	s_cbranch_execz .LBB306_735
; %bb.734:                              ;   in Loop: Header=BB306_434 Depth=1
	v_lshrrev_b32_e32 v18, 16, v20
	v_cmp_lt_i32_e64 s[4:5], v57, v3
	v_accvgpr_read_b32 v22, a8
	v_cndmask_b32_e64 v18, 0, v18, s[4:5]
	v_cmp_lt_i32_e64 s[4:5], v23, v22
	v_cndmask_b32_e64 v20, 0, v20, s[4:5]
	v_perm_b32 v20, v18, v20, s36
	v_lshrrev_b32_e32 v18, 16, v0
	v_cmp_lt_i32_e64 s[4:5], v56, v3
	v_cndmask_b32_e64 v18, 0, v18, s[4:5]
	v_cmp_lt_i32_e64 s[4:5], v47, v22
	v_cndmask_b32_e64 v0, 0, v0, s[4:5]
	v_perm_b32 v0, v18, v0, s36
	v_lshrrev_b32_e32 v18, 16, v6
	v_cmp_lt_i32_e64 s[4:5], v46, v3
	v_cndmask_b32_e64 v18, 0, v18, s[4:5]
	v_cmp_lt_i32_e64 s[4:5], v45, v22
	v_cndmask_b32_e64 v6, 0, v6, s[4:5]
	v_lshrrev_b32_e32 v14, 16, v14
	v_cmp_lt_i32_e64 s[4:5], v16, v3
	v_cndmask_b32_e64 v14, 0, v14, s[4:5]
	v_cmp_lt_i32_e64 s[4:5], v52, v22
	v_cndmask_b32_e64 v15, 0, v15, s[4:5]
	v_perm_b32 v6, v18, v6, s36
	v_perm_b32 v14, v14, v15, s36
.LBB306_735:                            ;   in Loop: Header=BB306_434 Depth=1
	s_or_b64 exec, exec, s[18:19]
	;;#ASMSTART
	v_pk_mul_f16 v15, v61, v20;

	;;#ASMEND
	;;#ASMSTART
	v_pk_mul_f16 v0, v60, v0;

	;;#ASMEND
	;; [unrolled: 4-line block ×4, first 2 shown]
	;;#ASMSTART
	v_pk_add_f16 v0, v15, v0;

	;;#ASMEND
	;;#ASMSTART
	v_pk_add_f16 v0, v0, v6;

	;;#ASMEND
	;; [unrolled: 4-line block ×3, first 2 shown]
	v_lshrrev_b32_e32 v14, 16, v0
	v_and_b32_e32 v0, 0xffff, v0
	;;#ASMSTART
	v_cvt_f32_f16 v6, v0;
	;;#ASMEND
	;;#ASMSTART
	v_cvt_f32_f16 v22, v14;
	;;#ASMEND
	v_accvgpr_read_b32 v15, a5
	flat_load_dwordx2 v[28:29], v[12:13] offset:3072
	v_accvgpr_read_b32 v14, a4
	flat_load_dword v14, v[14:15]
	v_mov_b32_e32 v24, 0
	v_mov_b32_e32 v20, 0
	s_waitcnt vmcnt(0) lgkmcnt(0)
	v_cmp_ne_u16_sdwa s[4:5], v28, v1 src0_sel:BYTE_0 src1_sel:DWORD
	s_and_saveexec_b64 s[18:19], s[4:5]
	s_cbranch_execz .LBB306_741
; %bb.736:                              ;   in Loop: Header=BB306_434 Depth=1
	v_cmp_ne_u16_sdwa s[4:5], v28, s7 src0_sel:BYTE_0 src1_sel:DWORD
	v_bfrev_b32_e32 v20, 1
	s_and_saveexec_b64 s[20:21], s[4:5]
	s_cbranch_execz .LBB306_740
; %bb.737:                              ;   in Loop: Header=BB306_434 Depth=1
	v_and_b32_e32 v0, 0x7f, v28
	v_cmp_ne_u32_e64 s[4:5], s15, v0
	v_mov_b32_e32 v20, 0x7fc02000
	s_and_saveexec_b64 s[22:23], s[4:5]
	s_cbranch_execz .LBB306_739
; %bb.738:                              ;   in Loop: Header=BB306_434 Depth=1
	v_and_b32_e32 v15, 7, v28
	v_ffbh_u32_e32 v15, v15
	v_min_u32_e32 v15, 32, v15
	v_subrev_u32_e32 v20, 28, v15
	v_cmp_gt_u32_e64 s[4:5], 8, v0
	v_lshrrev_b32_e32 v18, 3, v0
	v_sub_u32_e32 v15, 29, v15
	v_cndmask_b32_e64 v0, 0, v20, s[4:5]
	v_lshlrev_b64 v[20:21], v0, v[28:29]
	v_cndmask_b32_e64 v0, v18, v15, s[4:5]
	v_lshlrev_b32_e32 v18, 8, v28
	v_lshl_add_u32 v0, v0, 10, v2
	v_lshlrev_b32_e32 v15, 7, v20
	v_and_or_b32 v0, v18, s30, v0
	v_and_or_b32 v0, v15, s31, v0
	v_cvt_f32_f16_e32 v20, v0
.LBB306_739:                            ;   in Loop: Header=BB306_434 Depth=1
	s_or_b64 exec, exec, s[22:23]
.LBB306_740:                            ;   in Loop: Header=BB306_434 Depth=1
	s_or_b64 exec, exec, s[20:21]
.LBB306_741:                            ;   in Loop: Header=BB306_434 Depth=1
	s_or_b64 exec, exec, s[18:19]
	v_lshrrev_b16_e32 v0, 8, v28
	v_cmp_ne_u16_e64 s[4:5], 0, v0
	s_and_saveexec_b64 s[18:19], s[4:5]
	s_cbranch_execz .LBB306_747
; %bb.742:                              ;   in Loop: Header=BB306_434 Depth=1
	v_cmp_ne_u16_e64 s[4:5], s7, v0
	v_bfrev_b32_e32 v24, 1
	s_and_saveexec_b64 s[20:21], s[4:5]
	s_cbranch_execz .LBB306_746
; %bb.743:                              ;   in Loop: Header=BB306_434 Depth=1
	v_and_b32_e32 v15, 0x7f, v0
	v_cmp_ne_u32_e64 s[4:5], s15, v15
	v_mov_b32_e32 v24, 0x7fc02000
	s_and_saveexec_b64 s[22:23], s[4:5]
	s_cbranch_execz .LBB306_745
; %bb.744:                              ;   in Loop: Header=BB306_434 Depth=1
	v_and_b32_e32 v18, 7, v0
	v_ffbh_u32_e32 v24, v18
	v_min_u32_e32 v26, 32, v24
	v_subrev_u32_e32 v24, 28, v26
	v_lshlrev_b64 v[24:25], v24, v[0:1]
	v_lshrrev_b32_e32 v21, 3, v15
	v_sub_u32_e32 v25, 29, v26
	v_cmp_gt_u32_e64 s[4:5], 8, v15
	v_cndmask_b32_e64 v15, v21, v25, s[4:5]
	v_and_b32_e32 v24, 7, v24
	v_lshlrev_b32_e32 v0, 8, v0
	v_lshl_add_u32 v15, v15, 10, v2
	v_cndmask_b32_e64 v18, v18, v24, s[4:5]
	v_and_or_b32 v0, v0, s30, v15
	v_lshl_or_b32 v0, v18, 7, v0
	v_cvt_f32_f16_e32 v24, v0
.LBB306_745:                            ;   in Loop: Header=BB306_434 Depth=1
	s_or_b64 exec, exec, s[22:23]
.LBB306_746:                            ;   in Loop: Header=BB306_434 Depth=1
	s_or_b64 exec, exec, s[20:21]
.LBB306_747:                            ;   in Loop: Header=BB306_434 Depth=1
	s_or_b64 exec, exec, s[18:19]
	v_lshrrev_b32_e32 v0, 16, v28
	v_cmp_ne_u16_sdwa s[4:5], v0, v1 src0_sel:BYTE_0 src1_sel:DWORD
	v_mov_b32_e32 v25, 0
	v_mov_b32_e32 v21, 0
	s_and_saveexec_b64 s[18:19], s[4:5]
	s_cbranch_execz .LBB306_753
; %bb.748:                              ;   in Loop: Header=BB306_434 Depth=1
	v_cmp_ne_u16_sdwa s[4:5], v0, s7 src0_sel:BYTE_0 src1_sel:DWORD
	v_bfrev_b32_e32 v21, 1
	s_and_saveexec_b64 s[20:21], s[4:5]
	s_cbranch_execz .LBB306_752
; %bb.749:                              ;   in Loop: Header=BB306_434 Depth=1
	v_bfe_u32 v15, v28, 16, 7
	v_cmp_ne_u32_e64 s[4:5], s15, v15
	v_mov_b32_e32 v21, 0x7fc02000
	s_and_saveexec_b64 s[22:23], s[4:5]
	s_cbranch_execz .LBB306_751
; %bb.750:                              ;   in Loop: Header=BB306_434 Depth=1
	v_and_b32_e32 v18, 7, v0
	v_ffbh_u32_e32 v26, v18
	v_min_u32_e32 v26, 32, v26
	v_lshrrev_b32_e32 v21, 3, v15
	v_subrev_u32_e32 v31, 28, v26
	v_sub_u32_e32 v26, 29, v26
	v_cmp_gt_u32_e64 s[4:5], 8, v15
	v_lshlrev_b64 v[54:55], v31, v[0:1]
	v_cndmask_b32_e64 v15, v21, v26, s[4:5]
	v_and_b32_e32 v31, 7, v54
	v_lshlrev_b32_e32 v0, 8, v0
	v_lshl_add_u32 v15, v15, 10, v2
	v_cndmask_b32_e64 v18, v18, v31, s[4:5]
	v_and_or_b32 v0, v0, s30, v15
	v_lshl_or_b32 v0, v18, 7, v0
	v_cvt_f32_f16_e32 v21, v0
.LBB306_751:                            ;   in Loop: Header=BB306_434 Depth=1
	s_or_b64 exec, exec, s[22:23]
.LBB306_752:                            ;   in Loop: Header=BB306_434 Depth=1
	s_or_b64 exec, exec, s[20:21]
.LBB306_753:                            ;   in Loop: Header=BB306_434 Depth=1
	s_or_b64 exec, exec, s[18:19]
	v_cmp_lt_u32_e64 s[4:5], s13, v28
	s_and_saveexec_b64 s[18:19], s[4:5]
	s_cbranch_execz .LBB306_759
; %bb.754:                              ;   in Loop: Header=BB306_434 Depth=1
	v_lshrrev_b32_e32 v0, 24, v28
	v_cmp_ne_u32_e64 s[4:5], s7, v0
	v_bfrev_b32_e32 v25, 1
	s_and_saveexec_b64 s[20:21], s[4:5]
	s_cbranch_execz .LBB306_758
; %bb.755:                              ;   in Loop: Header=BB306_434 Depth=1
	v_and_b32_e32 v15, 0x7f, v0
	v_cmp_ne_u32_e64 s[4:5], s15, v15
	v_mov_b32_e32 v25, 0x7fc02000
	s_and_saveexec_b64 s[22:23], s[4:5]
	s_cbranch_execz .LBB306_757
; %bb.756:                              ;   in Loop: Header=BB306_434 Depth=1
	v_and_b32_e32 v18, 7, v0
	v_ffbh_u32_e32 v26, v18
	v_min_u32_e32 v26, 32, v26
	v_lshrrev_b32_e32 v25, 3, v15
	v_subrev_u32_e32 v31, 28, v26
	v_sub_u32_e32 v26, 29, v26
	v_cmp_gt_u32_e64 s[4:5], 8, v15
	v_lshlrev_b64 v[54:55], v31, v[0:1]
	v_cndmask_b32_e64 v15, v25, v26, s[4:5]
	v_and_b32_e32 v31, 7, v54
	v_lshlrev_b32_e32 v0, 8, v0
	v_lshl_add_u32 v15, v15, 10, v2
	v_cndmask_b32_e64 v18, v18, v31, s[4:5]
	v_and_or_b32 v0, v0, s30, v15
	v_lshl_or_b32 v0, v18, 7, v0
	v_cvt_f32_f16_e32 v25, v0
.LBB306_757:                            ;   in Loop: Header=BB306_434 Depth=1
	s_or_b64 exec, exec, s[22:23]
.LBB306_758:                            ;   in Loop: Header=BB306_434 Depth=1
	s_or_b64 exec, exec, s[20:21]
.LBB306_759:                            ;   in Loop: Header=BB306_434 Depth=1
	s_or_b64 exec, exec, s[18:19]
	v_mov_b32_e32 v0, v29
	v_cmp_ne_u16_sdwa s[4:5], v29, v1 src0_sel:BYTE_0 src1_sel:DWORD
	v_mov_b32_e32 v18, 0
	v_mov_b32_e32 v15, 0
	s_and_saveexec_b64 s[18:19], s[4:5]
	s_cbranch_execz .LBB306_765
; %bb.760:                              ;   in Loop: Header=BB306_434 Depth=1
	v_cmp_ne_u16_sdwa s[4:5], v29, s7 src0_sel:BYTE_0 src1_sel:DWORD
	v_bfrev_b32_e32 v15, 1
	s_and_saveexec_b64 s[20:21], s[4:5]
	s_cbranch_execz .LBB306_764
; %bb.761:                              ;   in Loop: Header=BB306_434 Depth=1
	v_and_b32_e32 v26, 0x7f, v29
	v_cmp_ne_u32_e64 s[4:5], s15, v26
	v_mov_b32_e32 v15, 0x7fc02000
	s_and_saveexec_b64 s[22:23], s[4:5]
	s_cbranch_execz .LBB306_763
; %bb.762:                              ;   in Loop: Header=BB306_434 Depth=1
	v_and_b32_e32 v15, 7, v29
	v_ffbh_u32_e32 v15, v15
	v_min_u32_e32 v15, 32, v15
	v_lshrrev_b32_e32 v31, 3, v26
	v_subrev_u32_e32 v49, 28, v15
	v_sub_u32_e32 v15, 29, v15
	v_cmp_gt_u32_e64 s[4:5], 8, v26
	v_cndmask_b32_e64 v26, 0, v49, s[4:5]
	v_cndmask_b32_e64 v15, v31, v15, s[4:5]
	v_lshlrev_b64 v[54:55], v26, v[0:1]
	v_lshlrev_b32_e32 v31, 8, v29
	v_lshl_add_u32 v15, v15, 10, v2
	v_lshlrev_b32_e32 v26, 7, v54
	v_and_or_b32 v15, v31, s30, v15
	v_and_or_b32 v15, v26, s31, v15
	v_cvt_f32_f16_e32 v15, v15
.LBB306_763:                            ;   in Loop: Header=BB306_434 Depth=1
	s_or_b64 exec, exec, s[22:23]
.LBB306_764:                            ;   in Loop: Header=BB306_434 Depth=1
	s_or_b64 exec, exec, s[20:21]
.LBB306_765:                            ;   in Loop: Header=BB306_434 Depth=1
	s_or_b64 exec, exec, s[18:19]
	v_lshrrev_b16_e32 v0, 8, v0
	v_cmp_ne_u16_e64 s[4:5], 0, v0
	s_and_saveexec_b64 s[18:19], s[4:5]
	s_cbranch_execz .LBB306_771
; %bb.766:                              ;   in Loop: Header=BB306_434 Depth=1
	v_cmp_ne_u16_e64 s[4:5], s7, v0
	v_bfrev_b32_e32 v18, 1
	s_and_saveexec_b64 s[20:21], s[4:5]
	s_cbranch_execz .LBB306_770
; %bb.767:                              ;   in Loop: Header=BB306_434 Depth=1
	v_and_b32_e32 v26, 0x7f, v0
	v_cmp_ne_u32_e64 s[4:5], s15, v26
	v_mov_b32_e32 v18, 0x7fc02000
	s_and_saveexec_b64 s[22:23], s[4:5]
	s_cbranch_execz .LBB306_769
; %bb.768:                              ;   in Loop: Header=BB306_434 Depth=1
	v_and_b32_e32 v18, 7, v0
	v_ffbh_u32_e32 v49, v18
	v_min_u32_e32 v49, 32, v49
	v_lshrrev_b32_e32 v31, 3, v26
	v_subrev_u32_e32 v51, 28, v49
	v_sub_u32_e32 v49, 29, v49
	v_cmp_gt_u32_e64 s[4:5], 8, v26
	v_lshlrev_b64 v[54:55], v51, v[0:1]
	v_cndmask_b32_e64 v26, v31, v49, s[4:5]
	v_and_b32_e32 v51, 7, v54
	v_lshlrev_b32_e32 v0, 8, v0
	v_lshl_add_u32 v26, v26, 10, v2
	v_cndmask_b32_e64 v18, v18, v51, s[4:5]
	v_and_or_b32 v0, v0, s30, v26
	v_lshl_or_b32 v0, v18, 7, v0
	v_cvt_f32_f16_e32 v18, v0
.LBB306_769:                            ;   in Loop: Header=BB306_434 Depth=1
	s_or_b64 exec, exec, s[22:23]
.LBB306_770:                            ;   in Loop: Header=BB306_434 Depth=1
	s_or_b64 exec, exec, s[20:21]
.LBB306_771:                            ;   in Loop: Header=BB306_434 Depth=1
	s_or_b64 exec, exec, s[18:19]
	v_lshrrev_b32_e32 v0, 16, v29
	v_cmp_ne_u16_sdwa s[4:5], v0, v1 src0_sel:BYTE_0 src1_sel:DWORD
	v_mov_b32_e32 v26, 0
	v_mov_b32_e32 v31, 0
	s_and_saveexec_b64 s[18:19], s[4:5]
	s_cbranch_execz .LBB306_777
; %bb.772:                              ;   in Loop: Header=BB306_434 Depth=1
	v_cmp_ne_u16_sdwa s[4:5], v0, s7 src0_sel:BYTE_0 src1_sel:DWORD
	v_bfrev_b32_e32 v31, 1
	s_and_saveexec_b64 s[20:21], s[4:5]
	s_cbranch_execz .LBB306_776
; %bb.773:                              ;   in Loop: Header=BB306_434 Depth=1
	v_bfe_u32 v49, v29, 16, 7
	v_cmp_ne_u32_e64 s[4:5], s15, v49
	v_mov_b32_e32 v31, 0x7fc02000
	s_and_saveexec_b64 s[22:23], s[4:5]
	s_cbranch_execz .LBB306_775
; %bb.774:                              ;   in Loop: Header=BB306_434 Depth=1
	v_and_b32_e32 v31, 7, v0
	v_ffbh_u32_e32 v53, v31
	v_min_u32_e32 v53, 32, v53
	v_lshrrev_b32_e32 v51, 3, v49
	v_subrev_u32_e32 v54, 28, v53
	v_sub_u32_e32 v53, 29, v53
	v_cmp_gt_u32_e64 s[4:5], 8, v49
	v_lshlrev_b64 v[54:55], v54, v[0:1]
	v_cndmask_b32_e64 v49, v51, v53, s[4:5]
	v_and_b32_e32 v54, 7, v54
	v_lshlrev_b32_e32 v0, 8, v0
	v_lshl_add_u32 v49, v49, 10, v2
	v_cndmask_b32_e64 v31, v31, v54, s[4:5]
	v_and_or_b32 v0, v0, s30, v49
	v_lshl_or_b32 v0, v31, 7, v0
	v_cvt_f32_f16_e32 v31, v0
	v_accvgpr_read_b32 v53, a15
.LBB306_775:                            ;   in Loop: Header=BB306_434 Depth=1
	s_or_b64 exec, exec, s[22:23]
.LBB306_776:                            ;   in Loop: Header=BB306_434 Depth=1
	s_or_b64 exec, exec, s[20:21]
.LBB306_777:                            ;   in Loop: Header=BB306_434 Depth=1
	s_or_b64 exec, exec, s[18:19]
	v_cmp_lt_u64_e64 s[4:5], s[12:13], v[28:29]
	s_and_saveexec_b64 s[18:19], s[4:5]
	s_cbranch_execz .LBB306_783
; %bb.778:                              ;   in Loop: Header=BB306_434 Depth=1
	v_lshrrev_b32_e32 v0, 24, v29
	v_cmp_ne_u32_e64 s[4:5], s7, v0
	v_bfrev_b32_e32 v26, 1
	s_and_saveexec_b64 s[20:21], s[4:5]
	s_cbranch_execz .LBB306_782
; %bb.779:                              ;   in Loop: Header=BB306_434 Depth=1
	v_and_b32_e32 v28, 0x7f, v0
	v_cmp_ne_u32_e64 s[4:5], s15, v28
	v_mov_b32_e32 v26, 0x7fc02000
	s_and_saveexec_b64 s[22:23], s[4:5]
	s_cbranch_execz .LBB306_781
; %bb.780:                              ;   in Loop: Header=BB306_434 Depth=1
	v_and_b32_e32 v26, 7, v0
	v_ffbh_u32_e32 v49, v26
	v_min_u32_e32 v49, 32, v49
	v_lshrrev_b32_e32 v29, 3, v28
	v_subrev_u32_e32 v51, 28, v49
	v_sub_u32_e32 v49, 29, v49
	v_cmp_gt_u32_e64 s[4:5], 8, v28
	v_lshlrev_b64 v[54:55], v51, v[0:1]
	v_cndmask_b32_e64 v28, v29, v49, s[4:5]
	v_and_b32_e32 v51, 7, v54
	v_lshlrev_b32_e32 v0, 8, v0
	v_lshl_add_u32 v28, v28, 10, v2
	v_cndmask_b32_e64 v26, v26, v51, s[4:5]
	v_and_or_b32 v0, v0, s30, v28
	v_lshl_or_b32 v0, v26, 7, v0
	v_cvt_f32_f16_e32 v26, v0
.LBB306_781:                            ;   in Loop: Header=BB306_434 Depth=1
	s_or_b64 exec, exec, s[22:23]
.LBB306_782:                            ;   in Loop: Header=BB306_434 Depth=1
	s_or_b64 exec, exec, s[20:21]
.LBB306_783:                            ;   in Loop: Header=BB306_434 Depth=1
	s_or_b64 exec, exec, s[18:19]
	v_pk_mul_f32 v[24:25], v[14:15], v[24:25] op_sel_hi:[0,1]
	v_pk_mul_f32 v[20:21], v[14:15], v[20:21] op_sel_hi:[0,1]
	v_cvt_f16_f32_e32 v0, v25
	v_cvt_f16_f32_e32 v24, v24
	;; [unrolled: 1-line block ×4, first 2 shown]
	v_fma_mixlo_f16 v18, v14, v18, 0
	v_lshlrev_b32_e32 v18, 16, v18
	v_fma_mixlo_f16 v15, v14, v15, 0
	v_or_b32_sdwa v15, v18, v15 dst_sel:DWORD dst_unused:UNUSED_PAD src0_sel:DWORD src1_sel:WORD_0
	v_fma_mixlo_f16 v18, v14, v31, 0
	v_fma_mixlo_f16 v14, v14, v26, 0
	v_pack_b32_f16 v24, v24, v0
	v_pack_b32_f16 v20, v20, v21
	v_lshlrev_b32_e32 v14, 16, v14
	v_perm_b32 v0, v20, v24, s34
	v_perm_b32 v20, v20, v24, s35
	v_or_b32_sdwa v14, v14, v18 dst_sel:DWORD dst_unused:UNUSED_PAD src0_sel:DWORD src1_sel:WORD_0
	s_and_saveexec_b64 s[18:19], vcc
	s_cbranch_execz .LBB306_785
; %bb.784:                              ;   in Loop: Header=BB306_434 Depth=1
	v_lshrrev_b32_e32 v21, 16, v20
	v_cmp_lt_i32_e64 s[4:5], v57, v3
	v_accvgpr_read_b32 v24, a8
	v_cndmask_b32_e64 v21, 0, v21, s[4:5]
	v_cmp_lt_i32_e64 s[4:5], v23, v24
	v_cndmask_b32_e64 v20, 0, v20, s[4:5]
	v_perm_b32 v20, v21, v20, s36
	v_lshrrev_b32_e32 v21, 16, v0
	v_cmp_lt_i32_e64 s[4:5], v56, v3
	v_cndmask_b32_e64 v21, 0, v21, s[4:5]
	v_cmp_lt_i32_e64 s[4:5], v47, v24
	v_cndmask_b32_e64 v0, 0, v0, s[4:5]
	v_perm_b32 v0, v21, v0, s36
	v_lshrrev_b32_e32 v21, 16, v15
	v_cmp_lt_i32_e64 s[4:5], v46, v3
	v_cndmask_b32_e64 v21, 0, v21, s[4:5]
	v_cmp_lt_i32_e64 s[4:5], v45, v24
	v_cndmask_b32_e64 v15, 0, v15, s[4:5]
	v_lshrrev_b32_e32 v14, 16, v14
	v_cmp_lt_i32_e64 s[4:5], v16, v3
	v_cndmask_b32_e64 v14, 0, v14, s[4:5]
	v_cmp_lt_i32_e64 s[4:5], v52, v24
	v_cndmask_b32_e64 v18, 0, v18, s[4:5]
	v_perm_b32 v15, v21, v15, s36
	v_perm_b32 v14, v14, v18, s36
.LBB306_785:                            ;   in Loop: Header=BB306_434 Depth=1
	s_or_b64 exec, exec, s[18:19]
	;;#ASMSTART
	v_pk_mul_f16 v18, v61, v20;

	;;#ASMEND
	;;#ASMSTART
	v_pk_mul_f16 v0, v60, v0;

	;;#ASMEND
	;; [unrolled: 4-line block ×4, first 2 shown]
	;;#ASMSTART
	v_pk_add_f16 v0, v18, v0;

	;;#ASMEND
	;;#ASMSTART
	v_pk_add_f16 v0, v0, v15;

	;;#ASMEND
	;; [unrolled: 4-line block ×3, first 2 shown]
	v_lshrrev_b32_e32 v14, 16, v0
	v_and_b32_e32 v0, 0xffff, v0
	;;#ASMSTART
	v_cvt_f32_f16 v18, v0;
	;;#ASMEND
	;;#ASMSTART
	v_cvt_f32_f16 v26, v14;
	;;#ASMEND
	flat_load_dwordx2 v[24:25], v[12:13] offset:3584
	v_accvgpr_read_b32 v13, a5
	v_accvgpr_read_b32 v12, a4
	flat_load_dword v12, v[12:13]
	v_mov_b32_e32 v20, 0
	v_mov_b32_e32 v14, 0
	s_waitcnt vmcnt(0) lgkmcnt(0)
	v_cmp_ne_u16_sdwa s[4:5], v24, v1 src0_sel:BYTE_0 src1_sel:DWORD
	s_and_saveexec_b64 s[18:19], s[4:5]
	s_cbranch_execz .LBB306_791
; %bb.786:                              ;   in Loop: Header=BB306_434 Depth=1
	v_cmp_ne_u16_sdwa s[4:5], v24, s7 src0_sel:BYTE_0 src1_sel:DWORD
	v_bfrev_b32_e32 v14, 1
	s_and_saveexec_b64 s[20:21], s[4:5]
	s_cbranch_execz .LBB306_790
; %bb.787:                              ;   in Loop: Header=BB306_434 Depth=1
	v_and_b32_e32 v0, 0x7f, v24
	v_cmp_ne_u32_e64 s[4:5], s15, v0
	v_mov_b32_e32 v14, 0x7fc02000
	s_and_saveexec_b64 s[22:23], s[4:5]
	s_cbranch_execz .LBB306_789
; %bb.788:                              ;   in Loop: Header=BB306_434 Depth=1
	v_and_b32_e32 v13, 7, v24
	v_ffbh_u32_e32 v13, v13
	v_min_u32_e32 v13, 32, v13
	v_subrev_u32_e32 v14, 28, v13
	v_cmp_gt_u32_e64 s[4:5], 8, v0
	v_lshrrev_b32_e32 v21, 3, v0
	v_sub_u32_e32 v13, 29, v13
	v_cndmask_b32_e64 v0, 0, v14, s[4:5]
	v_lshlrev_b64 v[14:15], v0, v[24:25]
	v_cndmask_b32_e64 v0, v21, v13, s[4:5]
	v_lshlrev_b32_e32 v13, 7, v14
	v_lshlrev_b32_e32 v14, 8, v24
	v_lshl_add_u32 v0, v0, 10, v2
	v_and_or_b32 v0, v14, s30, v0
	v_and_or_b32 v0, v13, s31, v0
	v_cvt_f32_f16_e32 v14, v0
.LBB306_789:                            ;   in Loop: Header=BB306_434 Depth=1
	s_or_b64 exec, exec, s[22:23]
.LBB306_790:                            ;   in Loop: Header=BB306_434 Depth=1
	s_or_b64 exec, exec, s[20:21]
.LBB306_791:                            ;   in Loop: Header=BB306_434 Depth=1
	s_or_b64 exec, exec, s[18:19]
	v_lshrrev_b16_e32 v0, 8, v24
	v_cmp_ne_u16_e64 s[4:5], 0, v0
	s_and_saveexec_b64 s[18:19], s[4:5]
	s_cbranch_execz .LBB306_797
; %bb.792:                              ;   in Loop: Header=BB306_434 Depth=1
	v_cmp_ne_u16_e64 s[4:5], s7, v0
	v_bfrev_b32_e32 v20, 1
	s_and_saveexec_b64 s[20:21], s[4:5]
	s_cbranch_execz .LBB306_796
; %bb.793:                              ;   in Loop: Header=BB306_434 Depth=1
	v_and_b32_e32 v13, 0x7f, v0
	v_cmp_ne_u32_e64 s[4:5], s15, v13
	v_mov_b32_e32 v20, 0x7fc02000
	s_and_saveexec_b64 s[22:23], s[4:5]
	s_cbranch_execz .LBB306_795
; %bb.794:                              ;   in Loop: Header=BB306_434 Depth=1
	v_and_b32_e32 v15, 7, v0
	v_ffbh_u32_e32 v20, v15
	v_min_u32_e32 v29, 32, v20
	v_subrev_u32_e32 v20, 28, v29
	v_lshlrev_b64 v[20:21], v20, v[0:1]
	v_lshrrev_b32_e32 v28, 3, v13
	v_sub_u32_e32 v21, 29, v29
	v_cmp_gt_u32_e64 s[4:5], 8, v13
	v_cndmask_b32_e64 v13, v28, v21, s[4:5]
	v_and_b32_e32 v20, 7, v20
	v_lshlrev_b32_e32 v0, 8, v0
	v_lshl_add_u32 v13, v13, 10, v2
	v_cndmask_b32_e64 v15, v15, v20, s[4:5]
	v_and_or_b32 v0, v0, s30, v13
	v_lshl_or_b32 v0, v15, 7, v0
	v_cvt_f32_f16_e32 v20, v0
.LBB306_795:                            ;   in Loop: Header=BB306_434 Depth=1
	s_or_b64 exec, exec, s[22:23]
.LBB306_796:                            ;   in Loop: Header=BB306_434 Depth=1
	s_or_b64 exec, exec, s[20:21]
.LBB306_797:                            ;   in Loop: Header=BB306_434 Depth=1
	s_or_b64 exec, exec, s[18:19]
	v_lshrrev_b32_e32 v0, 16, v24
	v_cmp_ne_u16_sdwa s[4:5], v0, v1 src0_sel:BYTE_0 src1_sel:DWORD
	v_mov_b32_e32 v21, 0
	v_mov_b32_e32 v15, 0
	s_and_saveexec_b64 s[18:19], s[4:5]
	s_cbranch_execz .LBB306_803
; %bb.798:                              ;   in Loop: Header=BB306_434 Depth=1
	v_cmp_ne_u16_sdwa s[4:5], v0, s7 src0_sel:BYTE_0 src1_sel:DWORD
	v_bfrev_b32_e32 v15, 1
	s_and_saveexec_b64 s[20:21], s[4:5]
	s_cbranch_execz .LBB306_802
; %bb.799:                              ;   in Loop: Header=BB306_434 Depth=1
	v_bfe_u32 v13, v24, 16, 7
	v_cmp_ne_u32_e64 s[4:5], s15, v13
	v_mov_b32_e32 v15, 0x7fc02000
	s_and_saveexec_b64 s[22:23], s[4:5]
	s_cbranch_execz .LBB306_801
; %bb.800:                              ;   in Loop: Header=BB306_434 Depth=1
	v_and_b32_e32 v15, 7, v0
	v_ffbh_u32_e32 v28, v15
	v_min_u32_e32 v49, 32, v28
	v_subrev_u32_e32 v28, 28, v49
	v_lshlrev_b64 v[28:29], v28, v[0:1]
	v_lshrrev_b32_e32 v31, 3, v13
	v_sub_u32_e32 v29, 29, v49
	v_cmp_gt_u32_e64 s[4:5], 8, v13
	v_cndmask_b32_e64 v13, v31, v29, s[4:5]
	v_and_b32_e32 v28, 7, v28
	v_lshlrev_b32_e32 v0, 8, v0
	v_lshl_add_u32 v13, v13, 10, v2
	v_cndmask_b32_e64 v15, v15, v28, s[4:5]
	v_and_or_b32 v0, v0, s30, v13
	v_lshl_or_b32 v0, v15, 7, v0
	v_cvt_f32_f16_e32 v15, v0
.LBB306_801:                            ;   in Loop: Header=BB306_434 Depth=1
	s_or_b64 exec, exec, s[22:23]
.LBB306_802:                            ;   in Loop: Header=BB306_434 Depth=1
	s_or_b64 exec, exec, s[20:21]
.LBB306_803:                            ;   in Loop: Header=BB306_434 Depth=1
	s_or_b64 exec, exec, s[18:19]
	v_cmp_lt_u32_e64 s[4:5], s13, v24
	s_and_saveexec_b64 s[18:19], s[4:5]
	s_cbranch_execz .LBB306_809
; %bb.804:                              ;   in Loop: Header=BB306_434 Depth=1
	v_lshrrev_b32_e32 v0, 24, v24
	v_cmp_ne_u32_e64 s[4:5], s7, v0
	v_bfrev_b32_e32 v21, 1
	s_and_saveexec_b64 s[20:21], s[4:5]
	s_cbranch_execz .LBB306_808
; %bb.805:                              ;   in Loop: Header=BB306_434 Depth=1
	v_and_b32_e32 v13, 0x7f, v0
	v_cmp_ne_u32_e64 s[4:5], s15, v13
	v_mov_b32_e32 v21, 0x7fc02000
	s_and_saveexec_b64 s[22:23], s[4:5]
	s_cbranch_execz .LBB306_807
; %bb.806:                              ;   in Loop: Header=BB306_434 Depth=1
	v_and_b32_e32 v21, 7, v0
	v_ffbh_u32_e32 v28, v21
	v_min_u32_e32 v49, 32, v28
	v_subrev_u32_e32 v28, 28, v49
	v_lshlrev_b64 v[28:29], v28, v[0:1]
	v_lshrrev_b32_e32 v31, 3, v13
	v_sub_u32_e32 v29, 29, v49
	v_cmp_gt_u32_e64 s[4:5], 8, v13
	v_cndmask_b32_e64 v13, v31, v29, s[4:5]
	v_and_b32_e32 v28, 7, v28
	v_lshlrev_b32_e32 v0, 8, v0
	v_lshl_add_u32 v13, v13, 10, v2
	v_cndmask_b32_e64 v21, v21, v28, s[4:5]
	v_and_or_b32 v0, v0, s30, v13
	v_lshl_or_b32 v0, v21, 7, v0
	v_cvt_f32_f16_e32 v21, v0
.LBB306_807:                            ;   in Loop: Header=BB306_434 Depth=1
	s_or_b64 exec, exec, s[22:23]
.LBB306_808:                            ;   in Loop: Header=BB306_434 Depth=1
	s_or_b64 exec, exec, s[20:21]
.LBB306_809:                            ;   in Loop: Header=BB306_434 Depth=1
	s_or_b64 exec, exec, s[18:19]
	v_mov_b32_e32 v0, v25
	v_cmp_ne_u16_sdwa s[4:5], v25, v1 src0_sel:BYTE_0 src1_sel:DWORD
	v_mov_b32_e32 v28, 0
	v_mov_b32_e32 v13, 0
	s_and_saveexec_b64 s[18:19], s[4:5]
	s_cbranch_execz .LBB306_815
; %bb.810:                              ;   in Loop: Header=BB306_434 Depth=1
	v_cmp_ne_u16_sdwa s[4:5], v25, s7 src0_sel:BYTE_0 src1_sel:DWORD
	v_bfrev_b32_e32 v13, 1
	s_and_saveexec_b64 s[20:21], s[4:5]
	s_cbranch_execz .LBB306_814
; %bb.811:                              ;   in Loop: Header=BB306_434 Depth=1
	v_and_b32_e32 v29, 0x7f, v25
	v_cmp_ne_u32_e64 s[4:5], s15, v29
	v_mov_b32_e32 v13, 0x7fc02000
	s_and_saveexec_b64 s[22:23], s[4:5]
	s_cbranch_execz .LBB306_813
; %bb.812:                              ;   in Loop: Header=BB306_434 Depth=1
	v_and_b32_e32 v13, 7, v25
	v_ffbh_u32_e32 v13, v13
	v_min_u32_e32 v13, 32, v13
	v_lshrrev_b32_e32 v31, 3, v29
	v_subrev_u32_e32 v49, 28, v13
	v_sub_u32_e32 v13, 29, v13
	v_cmp_gt_u32_e64 s[4:5], 8, v29
	v_cndmask_b32_e64 v29, 0, v49, s[4:5]
	v_cndmask_b32_e64 v13, v31, v13, s[4:5]
	v_lshlrev_b64 v[54:55], v29, v[0:1]
	v_lshlrev_b32_e32 v31, 8, v25
	v_lshl_add_u32 v13, v13, 10, v2
	v_lshlrev_b32_e32 v29, 7, v54
	v_and_or_b32 v13, v31, s30, v13
	v_and_or_b32 v13, v29, s31, v13
	v_cvt_f32_f16_e32 v13, v13
.LBB306_813:                            ;   in Loop: Header=BB306_434 Depth=1
	s_or_b64 exec, exec, s[22:23]
.LBB306_814:                            ;   in Loop: Header=BB306_434 Depth=1
	s_or_b64 exec, exec, s[20:21]
.LBB306_815:                            ;   in Loop: Header=BB306_434 Depth=1
	s_or_b64 exec, exec, s[18:19]
	v_lshrrev_b16_e32 v0, 8, v0
	v_cmp_ne_u16_e64 s[4:5], 0, v0
	s_and_saveexec_b64 s[18:19], s[4:5]
	s_cbranch_execz .LBB306_821
; %bb.816:                              ;   in Loop: Header=BB306_434 Depth=1
	v_cmp_ne_u16_e64 s[4:5], s7, v0
	v_bfrev_b32_e32 v28, 1
	s_and_saveexec_b64 s[20:21], s[4:5]
	s_cbranch_execz .LBB306_820
; %bb.817:                              ;   in Loop: Header=BB306_434 Depth=1
	v_and_b32_e32 v29, 0x7f, v0
	v_cmp_ne_u32_e64 s[4:5], s15, v29
	v_mov_b32_e32 v28, 0x7fc02000
	s_and_saveexec_b64 s[22:23], s[4:5]
	s_cbranch_execz .LBB306_819
; %bb.818:                              ;   in Loop: Header=BB306_434 Depth=1
	v_and_b32_e32 v28, 7, v0
	v_ffbh_u32_e32 v49, v28
	v_min_u32_e32 v49, 32, v49
	v_lshrrev_b32_e32 v31, 3, v29
	v_subrev_u32_e32 v51, 28, v49
	v_sub_u32_e32 v49, 29, v49
	v_cmp_gt_u32_e64 s[4:5], 8, v29
	v_lshlrev_b64 v[54:55], v51, v[0:1]
	v_cndmask_b32_e64 v29, v31, v49, s[4:5]
	v_and_b32_e32 v51, 7, v54
	v_lshlrev_b32_e32 v0, 8, v0
	v_lshl_add_u32 v29, v29, 10, v2
	v_cndmask_b32_e64 v28, v28, v51, s[4:5]
	v_and_or_b32 v0, v0, s30, v29
	v_lshl_or_b32 v0, v28, 7, v0
	v_cvt_f32_f16_e32 v28, v0
.LBB306_819:                            ;   in Loop: Header=BB306_434 Depth=1
	s_or_b64 exec, exec, s[22:23]
.LBB306_820:                            ;   in Loop: Header=BB306_434 Depth=1
	s_or_b64 exec, exec, s[20:21]
.LBB306_821:                            ;   in Loop: Header=BB306_434 Depth=1
	s_or_b64 exec, exec, s[18:19]
	v_lshrrev_b32_e32 v0, 16, v25
	v_cmp_ne_u16_sdwa s[4:5], v0, v1 src0_sel:BYTE_0 src1_sel:DWORD
	v_mov_b32_e32 v29, 0
	v_mov_b32_e32 v31, 0
	s_and_saveexec_b64 s[18:19], s[4:5]
	s_cbranch_execz .LBB306_827
; %bb.822:                              ;   in Loop: Header=BB306_434 Depth=1
	v_cmp_ne_u16_sdwa s[4:5], v0, s7 src0_sel:BYTE_0 src1_sel:DWORD
	v_bfrev_b32_e32 v31, 1
	s_and_saveexec_b64 s[20:21], s[4:5]
	s_cbranch_execz .LBB306_826
; %bb.823:                              ;   in Loop: Header=BB306_434 Depth=1
	v_bfe_u32 v49, v25, 16, 7
	v_cmp_ne_u32_e64 s[4:5], s15, v49
	v_mov_b32_e32 v31, 0x7fc02000
	s_and_saveexec_b64 s[22:23], s[4:5]
	s_cbranch_execz .LBB306_825
; %bb.824:                              ;   in Loop: Header=BB306_434 Depth=1
	v_and_b32_e32 v31, 7, v0
	v_ffbh_u32_e32 v53, v31
	v_min_u32_e32 v53, 32, v53
	v_lshrrev_b32_e32 v51, 3, v49
	v_subrev_u32_e32 v54, 28, v53
	v_sub_u32_e32 v53, 29, v53
	v_cmp_gt_u32_e64 s[4:5], 8, v49
	v_lshlrev_b64 v[54:55], v54, v[0:1]
	v_cndmask_b32_e64 v49, v51, v53, s[4:5]
	v_and_b32_e32 v54, 7, v54
	v_lshlrev_b32_e32 v0, 8, v0
	v_lshl_add_u32 v49, v49, 10, v2
	v_cndmask_b32_e64 v31, v31, v54, s[4:5]
	v_and_or_b32 v0, v0, s30, v49
	v_lshl_or_b32 v0, v31, 7, v0
	v_cvt_f32_f16_e32 v31, v0
	v_accvgpr_read_b32 v53, a15
.LBB306_825:                            ;   in Loop: Header=BB306_434 Depth=1
	s_or_b64 exec, exec, s[22:23]
.LBB306_826:                            ;   in Loop: Header=BB306_434 Depth=1
	s_or_b64 exec, exec, s[20:21]
.LBB306_827:                            ;   in Loop: Header=BB306_434 Depth=1
	s_or_b64 exec, exec, s[18:19]
	v_cmp_lt_u64_e64 s[4:5], s[12:13], v[24:25]
	s_and_saveexec_b64 s[18:19], s[4:5]
	s_cbranch_execz .LBB306_833
; %bb.828:                              ;   in Loop: Header=BB306_434 Depth=1
	v_lshrrev_b32_e32 v0, 24, v25
	v_cmp_ne_u32_e64 s[4:5], s7, v0
	v_bfrev_b32_e32 v29, 1
	s_and_saveexec_b64 s[20:21], s[4:5]
	s_cbranch_execz .LBB306_832
; %bb.829:                              ;   in Loop: Header=BB306_434 Depth=1
	v_and_b32_e32 v24, 0x7f, v0
	v_cmp_ne_u32_e64 s[4:5], s15, v24
	v_mov_b32_e32 v29, 0x7fc02000
	s_and_saveexec_b64 s[22:23], s[4:5]
	s_cbranch_execz .LBB306_831
; %bb.830:                              ;   in Loop: Header=BB306_434 Depth=1
	v_and_b32_e32 v25, 7, v0
	v_ffbh_u32_e32 v49, v25
	v_min_u32_e32 v49, 32, v49
	v_lshrrev_b32_e32 v29, 3, v24
	v_subrev_u32_e32 v51, 28, v49
	v_sub_u32_e32 v49, 29, v49
	v_cmp_gt_u32_e64 s[4:5], 8, v24
	v_lshlrev_b64 v[54:55], v51, v[0:1]
	v_cndmask_b32_e64 v24, v29, v49, s[4:5]
	v_and_b32_e32 v51, 7, v54
	v_lshlrev_b32_e32 v0, 8, v0
	v_lshl_add_u32 v24, v24, 10, v2
	v_cndmask_b32_e64 v25, v25, v51, s[4:5]
	v_and_or_b32 v0, v0, s30, v24
	v_lshl_or_b32 v0, v25, 7, v0
	v_cvt_f32_f16_e32 v29, v0
.LBB306_831:                            ;   in Loop: Header=BB306_434 Depth=1
	s_or_b64 exec, exec, s[22:23]
.LBB306_832:                            ;   in Loop: Header=BB306_434 Depth=1
	s_or_b64 exec, exec, s[20:21]
.LBB306_833:                            ;   in Loop: Header=BB306_434 Depth=1
	s_or_b64 exec, exec, s[18:19]
	v_pk_mul_f32 v[14:15], v[12:13], v[14:15] op_sel_hi:[0,1]
	v_cvt_f16_f32_e32 v15, v15
	v_cvt_f16_f32_e32 v14, v14
	v_pk_mul_f32 v[20:21], v[12:13], v[20:21] op_sel_hi:[0,1]
	v_cvt_f16_f32_e32 v0, v21
	v_cvt_f16_f32_e32 v20, v20
	v_pack_b32_f16 v14, v14, v15
	v_fma_mixlo_f16 v15, v12, v28, 0
	v_lshlrev_b32_e32 v15, 16, v15
	v_fma_mixlo_f16 v13, v12, v13, 0
	v_or_b32_sdwa v13, v15, v13 dst_sel:DWORD dst_unused:UNUSED_PAD src0_sel:DWORD src1_sel:WORD_0
	v_fma_mixlo_f16 v15, v12, v31, 0
	v_fma_mixlo_f16 v12, v12, v29, 0
	v_pack_b32_f16 v20, v20, v0
	v_lshlrev_b32_e32 v12, 16, v12
	v_perm_b32 v0, v14, v20, s34
	v_perm_b32 v14, v14, v20, s35
	v_or_b32_sdwa v12, v12, v15 dst_sel:DWORD dst_unused:UNUSED_PAD src0_sel:DWORD src1_sel:WORD_0
	s_and_saveexec_b64 s[4:5], vcc
	s_cbranch_execz .LBB306_432
; %bb.834:                              ;   in Loop: Header=BB306_434 Depth=1
	v_lshrrev_b32_e32 v20, 16, v14
	v_cmp_lt_i32_e32 vcc, v57, v3
	v_accvgpr_read_b32 v24, a8
	v_cndmask_b32_e32 v20, 0, v20, vcc
	v_cmp_lt_i32_e32 vcc, v23, v24
	v_cndmask_b32_e32 v14, 0, v14, vcc
	v_perm_b32 v14, v20, v14, s36
	v_lshrrev_b32_e32 v20, 16, v0
	v_cmp_lt_i32_e32 vcc, v56, v3
	v_cndmask_b32_e32 v20, 0, v20, vcc
	v_cmp_lt_i32_e32 vcc, v47, v24
	v_cndmask_b32_e32 v0, 0, v0, vcc
	v_perm_b32 v0, v20, v0, s36
	v_lshrrev_b32_e32 v20, 16, v13
	v_cmp_lt_i32_e32 vcc, v46, v3
	v_cndmask_b32_e32 v20, 0, v20, vcc
	v_cmp_lt_i32_e32 vcc, v45, v24
	v_cndmask_b32_e32 v13, 0, v13, vcc
	v_lshrrev_b32_e32 v12, 16, v12
	v_cmp_lt_i32_e32 vcc, v16, v3
	v_cndmask_b32_e32 v12, 0, v12, vcc
	v_cmp_lt_i32_e32 vcc, v52, v24
	v_cndmask_b32_e32 v15, 0, v15, vcc
	v_perm_b32 v13, v20, v13, s36
	v_perm_b32 v12, v12, v15, s36
	s_branch .LBB306_432
.LBB306_835:
	s_or_b64 exec, exec, s[28:29]
	v_accvgpr_read_b32 v50, a16
.LBB306_836:
	s_or_b64 exec, exec, s[10:11]
	ds_bpermute_b32 v0, v41, v32
	ds_bpermute_b32 v1, v41, v33
	;; [unrolled: 1-line block ×8, first 2 shown]
	s_waitcnt lgkmcnt(0)
	v_pk_add_f32 v[0:1], v[32:33], v[0:1]
	ds_bpermute_b32 v4, v42, v0
	ds_bpermute_b32 v5, v42, v1
	v_pk_add_f32 v[2:3], v[34:35], v[2:3]
	v_pk_add_f32 v[12:13], v[36:37], v[6:7]
	;; [unrolled: 1-line block ×3, first 2 shown]
	ds_bpermute_b32 v10, v42, v2
	ds_bpermute_b32 v11, v42, v3
	;; [unrolled: 1-line block ×6, first 2 shown]
	s_waitcnt lgkmcnt(0)
	v_pk_add_f32 v[8:9], v[0:1], v[4:5]
	v_accvgpr_read_b32 v4, a2
	v_and_b32_e32 v4, 0x3c3, v4
	v_pk_add_f32 v[6:7], v[2:3], v[10:11]
	v_pk_add_f32 v[2:3], v[12:13], v[14:15]
	;; [unrolled: 1-line block ×3, first 2 shown]
	v_cmp_eq_u32_e32 vcc, 64, v4
	s_barrier
	s_and_saveexec_b64 s[4:5], vcc
	s_cbranch_execz .LBB306_838
; %bb.837:
	s_load_dword s7, s[8:9], 0x0
	s_waitcnt lgkmcnt(0)
	v_add_u32_e32 v5, s7, v50
	ds_write2_b32 v5, v8, v9 offset1:16
	ds_write2_b32 v5, v6, v7 offset0:32 offset1:48
	ds_write2_b32 v5, v2, v3 offset0:64 offset1:80
	;; [unrolled: 1-line block ×3, first 2 shown]
.LBB306_838:
	s_or_b64 exec, exec, s[4:5]
	v_accvgpr_read_b32 v5, a2
	s_waitcnt lgkmcnt(0)
	s_barrier
	v_cmp_gt_u32_e32 vcc, 64, v5
	s_mov_b64 s[4:5], exec
	s_and_b64 s[10:11], s[4:5], vcc
	v_accvgpr_read_b32 v11, a0
	v_accvgpr_read_b32 v12, a1
	s_mov_b64 exec, s[10:11]
	s_cbranch_execz .LBB306_849
; %bb.839:
	v_accvgpr_read_b32 v5, a17
	v_cmp_eq_u32_e32 vcc, 0, v5
	v_accvgpr_read_b32 v5, a2
	v_lshrrev_b32_e32 v5, 2, v5
	s_and_saveexec_b64 s[10:11], vcc
	s_cbranch_execnz .LBB306_852
; %bb.840:
	s_or_b64 exec, exec, s[10:11]
	s_and_saveexec_b64 s[10:11], vcc
	s_cbranch_execnz .LBB306_853
.LBB306_841:
	s_or_b64 exec, exec, s[10:11]
	s_and_saveexec_b64 s[10:11], vcc
	s_cbranch_execnz .LBB306_854
.LBB306_842:
	s_or_b64 exec, exec, s[10:11]
	s_and_saveexec_b64 s[10:11], vcc
	s_cbranch_execnz .LBB306_855
.LBB306_843:
	s_or_b64 exec, exec, s[10:11]
	s_and_saveexec_b64 s[10:11], vcc
	s_cbranch_execnz .LBB306_856
.LBB306_844:
	s_or_b64 exec, exec, s[10:11]
	s_and_saveexec_b64 s[10:11], vcc
	s_cbranch_execnz .LBB306_857
.LBB306_845:
	s_or_b64 exec, exec, s[10:11]
	s_and_saveexec_b64 s[10:11], vcc
	s_cbranch_execnz .LBB306_858
.LBB306_846:
	s_or_b64 exec, exec, s[10:11]
	s_and_saveexec_b64 s[10:11], vcc
	s_cbranch_execz .LBB306_848
.LBB306_847:
	s_load_dword s7, s[8:9], 0x0
	s_waitcnt lgkmcnt(0)
	v_lshl_add_u32 v5, v5, 2, s7
	ds_read_b32 v5, v5 offset:448
	s_waitcnt lgkmcnt(0)
	v_add_f32_e32 v1, v1, v5
.LBB306_848:
	s_or_b64 exec, exec, s[10:11]
.LBB306_849:
	s_or_b64 exec, exec, s[4:5]
	v_cmp_eq_u32_e32 vcc, 0, v4
	s_barrier
	s_and_b64 exec, exec, vcc
	s_cbranch_execz .LBB306_851
; %bb.850:
	s_lshl_b32 s4, s6, 7
	s_mul_i32 s6, s26, s27
	s_lshl_b32 s8, s14, 7
	s_ashr_i32 s5, s4, 31
	s_ashr_i32 s7, s6, 31
	;; [unrolled: 1-line block ×3, first 2 shown]
	s_lshl_b64 s[4:5], s[4:5], 1
	s_lshl_b64 s[6:7], s[6:7], 1
	;; [unrolled: 1-line block ×3, first 2 shown]
	s_add_u32 s6, s8, s6
	s_addc_u32 s7, s9, s7
	s_add_u32 s4, s6, s4
	s_addc_u32 s5, s7, s5
	v_mov_b32_e32 v4, s5
	v_add_co_u32_e32 v5, vcc, s4, v12
	v_addc_co_u32_e32 v10, vcc, v4, v11, vcc
	v_accvgpr_read_b32 v4, a2
	v_lshrrev_b32_e32 v4, 1, v4
	v_add_co_u32_e32 v4, vcc, v5, v4
	v_addc_co_u32_e32 v5, vcc, 0, v10, vcc
	;;#ASMSTART
	v_cvt_f16_f32 v8, v8;

	;;#ASMEND
	flat_store_short v[4:5], v8
	;;#ASMSTART
	v_cvt_f16_f32 v8, v9;

	;;#ASMEND
	flat_store_short v[4:5], v8 offset:32
	;;#ASMSTART
	v_cvt_f16_f32 v6, v6;

	;;#ASMEND
	flat_store_short v[4:5], v6 offset:64
	;;#ASMSTART
	v_cvt_f16_f32 v6, v7;

	;;#ASMEND
	flat_store_short v[4:5], v6 offset:96
	;;#ASMSTART
	v_cvt_f16_f32 v2, v2;

	;;#ASMEND
	flat_store_short v[4:5], v2 offset:128
	;;#ASMSTART
	v_cvt_f16_f32 v2, v3;

	;;#ASMEND
	flat_store_short v[4:5], v2 offset:160
	;;#ASMSTART
	v_cvt_f16_f32 v0, v0;

	;;#ASMEND
	flat_store_short v[4:5], v0 offset:192
	;;#ASMSTART
	v_cvt_f16_f32 v0, v1;

	;;#ASMEND
	flat_store_short v[4:5], v0 offset:224
.LBB306_851:
	s_or_b64 exec, exec, s[24:25]
	buffer_load_dword a61, off, s[0:3], s32 offset:8 ; 4-byte Folded Reload
	buffer_load_dword a60, off, s[0:3], s32 offset:12 ; 4-byte Folded Reload
	;; [unrolled: 1-line block ×45, first 2 shown]
	v_readlane_b32 s30, v63, 9
	v_readlane_b32 s31, v63, 10
	;; [unrolled: 1-line block ×11, first 2 shown]
	s_or_saveexec_b64 s[4:5], -1
	buffer_load_dword v63, off, s[0:3], s32 offset:252 ; 4-byte Folded Reload
	s_mov_b64 exec, s[4:5]
	s_waitcnt vmcnt(0) lgkmcnt(0)
	s_setpc_b64 s[30:31]
.LBB306_852:
	s_load_dword s7, s[8:9], 0x0
	s_waitcnt lgkmcnt(0)
	v_lshl_add_u32 v10, v5, 2, s7
	ds_read_b32 v10, v10
	s_waitcnt lgkmcnt(0)
	v_add_f32_e32 v8, v8, v10
	s_or_b64 exec, exec, s[10:11]
	s_and_saveexec_b64 s[10:11], vcc
	s_cbranch_execz .LBB306_841
.LBB306_853:
	s_load_dword s7, s[8:9], 0x0
	s_waitcnt lgkmcnt(0)
	v_lshl_add_u32 v10, v5, 2, s7
	ds_read_b32 v10, v10 offset:64
	s_waitcnt lgkmcnt(0)
	v_add_f32_e32 v9, v9, v10
	s_or_b64 exec, exec, s[10:11]
	s_and_saveexec_b64 s[10:11], vcc
	s_cbranch_execz .LBB306_842
.LBB306_854:
	s_load_dword s7, s[8:9], 0x0
	s_waitcnt lgkmcnt(0)
	v_lshl_add_u32 v10, v5, 2, s7
	ds_read_b32 v10, v10 offset:128
	s_waitcnt lgkmcnt(0)
	v_add_f32_e32 v6, v6, v10
	s_or_b64 exec, exec, s[10:11]
	s_and_saveexec_b64 s[10:11], vcc
	s_cbranch_execz .LBB306_843
.LBB306_855:
	s_load_dword s7, s[8:9], 0x0
	s_waitcnt lgkmcnt(0)
	v_lshl_add_u32 v10, v5, 2, s7
	ds_read_b32 v10, v10 offset:192
	s_waitcnt lgkmcnt(0)
	v_add_f32_e32 v7, v7, v10
	s_or_b64 exec, exec, s[10:11]
	s_and_saveexec_b64 s[10:11], vcc
	s_cbranch_execz .LBB306_844
.LBB306_856:
	s_load_dword s7, s[8:9], 0x0
	s_waitcnt lgkmcnt(0)
	v_lshl_add_u32 v10, v5, 2, s7
	ds_read_b32 v10, v10 offset:256
	s_waitcnt lgkmcnt(0)
	v_add_f32_e32 v2, v2, v10
	s_or_b64 exec, exec, s[10:11]
	s_and_saveexec_b64 s[10:11], vcc
	s_cbranch_execz .LBB306_845
.LBB306_857:
	s_load_dword s7, s[8:9], 0x0
	s_waitcnt lgkmcnt(0)
	v_lshl_add_u32 v10, v5, 2, s7
	ds_read_b32 v10, v10 offset:320
	s_waitcnt lgkmcnt(0)
	v_add_f32_e32 v3, v3, v10
	s_or_b64 exec, exec, s[10:11]
	s_and_saveexec_b64 s[10:11], vcc
	s_cbranch_execz .LBB306_846
.LBB306_858:
	s_load_dword s7, s[8:9], 0x0
	s_waitcnt lgkmcnt(0)
	v_lshl_add_u32 v10, v5, 2, s7
	ds_read_b32 v10, v10 offset:384
	s_waitcnt lgkmcnt(0)
	v_add_f32_e32 v0, v0, v10
	s_or_b64 exec, exec, s[10:11]
	s_and_saveexec_b64 s[10:11], vcc
	s_cbranch_execnz .LBB306_847
	s_branch .LBB306_848
.Lfunc_end306:
	.size	_ZN4vllm22paged_attention_kernelIthLi128ELi32ELi128ELNS_18Fp8KVCacheDataTypeE1ELb1ELi512EEEvPfS2_PT_PKS3_PKT0_S9_ifPKiSB_iPKfiiiSD_SD_iiiii, .Lfunc_end306-_ZN4vllm22paged_attention_kernelIthLi128ELi32ELi128ELNS_18Fp8KVCacheDataTypeE1ELb1ELi512EEEvPfS2_PT_PKS3_PKT0_S9_ifPKiSB_iPKfiiiSD_SD_iiiii
                                        ; -- End function
	.section	.AMDGPU.csdata,"",@progbits
; Function info:
; codeLenInByte = 38116
; NumSgprs: 47
; NumVgprs: 64
; NumAgprs: 62
; TotalNumVgprs: 126
; ScratchSize: 260
; MemoryBound: 0
	.section	.text._ZN4vllm25paged_attention_v2_kernelIthLi128ELi32ELi128ELNS_18Fp8KVCacheDataTypeE1ELb1ELi512EEEvPfS2_PT_PKS3_PKT0_S9_ifPKiSB_iPKfiiiSD_SD_iiiii,"axG",@progbits,_ZN4vllm25paged_attention_v2_kernelIthLi128ELi32ELi128ELNS_18Fp8KVCacheDataTypeE1ELb1ELi512EEEvPfS2_PT_PKS3_PKT0_S9_ifPKiSB_iPKfiiiSD_SD_iiiii,comdat
	.protected	_ZN4vllm25paged_attention_v2_kernelIthLi128ELi32ELi128ELNS_18Fp8KVCacheDataTypeE1ELb1ELi512EEEvPfS2_PT_PKS3_PKT0_S9_ifPKiSB_iPKfiiiSD_SD_iiiii ; -- Begin function _ZN4vllm25paged_attention_v2_kernelIthLi128ELi32ELi128ELNS_18Fp8KVCacheDataTypeE1ELb1ELi512EEEvPfS2_PT_PKS3_PKT0_S9_ifPKiSB_iPKfiiiSD_SD_iiiii
	.globl	_ZN4vllm25paged_attention_v2_kernelIthLi128ELi32ELi128ELNS_18Fp8KVCacheDataTypeE1ELb1ELi512EEEvPfS2_PT_PKS3_PKT0_S9_ifPKiSB_iPKfiiiSD_SD_iiiii
	.p2align	8
	.type	_ZN4vllm25paged_attention_v2_kernelIthLi128ELi32ELi128ELNS_18Fp8KVCacheDataTypeE1ELb1ELi512EEEvPfS2_PT_PKS3_PKT0_S9_ifPKiSB_iPKfiiiSD_SD_iiiii,@function
_ZN4vllm25paged_attention_v2_kernelIthLi128ELi32ELi128ELNS_18Fp8KVCacheDataTypeE1ELb1ELi512EEEvPfS2_PT_PKS3_PKT0_S9_ifPKiSB_iPKfiiiSD_SD_iiiii: ; @_ZN4vllm25paged_attention_v2_kernelIthLi128ELi32ELi128ELNS_18Fp8KVCacheDataTypeE1ELb1ELi512EEEvPfS2_PT_PKS3_PKT0_S9_ifPKiSB_iPKfiiiSD_SD_iiiii
; %bb.0:
	s_add_u32 flat_scratch_lo, s6, s11
	s_addc_u32 flat_scratch_hi, s7, 0
	s_add_u32 s0, s0, s11
	s_mov_b32 s12, s8
	s_load_dwordx8 s[24:31], s[4:5], 0x0
	s_load_dwordx8 s[16:23], s[4:5], 0x20
	s_load_dwordx2 s[6:7], s[4:5], 0x40
	s_load_dwordx4 s[44:47], s[4:5], 0x78
	s_load_dwordx2 s[34:35], s[4:5], 0x50
	s_load_dword s11, s[4:5], 0x48
	s_load_dword s8, s[4:5], 0x88
	s_load_dwordx8 s[36:43], s[4:5], 0x58
	s_mov_b32 s32, 0
	s_addc_u32 s1, s1, 0
	s_waitcnt lgkmcnt(0)
	v_mov_b32_e32 v1, s47
	buffer_store_dword v1, off, s[0:3], s32
	v_mov_b32_e32 v1, s8
	s_add_u32 s8, s4, 0x90
	s_mov_b32 s13, s9
	buffer_store_dword v1, off, s[0:3], s32 offset:4
	s_addc_u32 s9, s5, 0
	s_mov_b32 s14, s10
	s_mov_b32 s15, 45
	v_mov_b32_e32 v31, v0
	v_mov_b32_e32 v0, s24
	;; [unrolled: 1-line block ×32, first 2 shown]
	s_getpc_b64 s[4:5]
	s_add_u32 s4, s4, _ZN4vllm22paged_attention_kernelIthLi128ELi32ELi128ELNS_18Fp8KVCacheDataTypeE1ELb1ELi512EEEvPfS2_PT_PKS3_PKT0_S9_ifPKiSB_iPKfiiiSD_SD_iiiii@rel32@lo+4
	s_addc_u32 s5, s5, _ZN4vllm22paged_attention_kernelIthLi128ELi32ELi128ELNS_18Fp8KVCacheDataTypeE1ELb1ELi512EEEvPfS2_PT_PKS3_PKT0_S9_ifPKiSB_iPKfiiiSD_SD_iiiii@rel32@hi+12
	s_swappc_b64 s[30:31], s[4:5]
	s_endpgm
	.section	.rodata,"a",@progbits
	.p2align	6, 0x0
	.amdhsa_kernel _ZN4vllm25paged_attention_v2_kernelIthLi128ELi32ELi128ELNS_18Fp8KVCacheDataTypeE1ELb1ELi512EEEvPfS2_PT_PKS3_PKT0_S9_ifPKiSB_iPKfiiiSD_SD_iiiii
		.amdhsa_group_segment_fixed_size 272
		.amdhsa_private_segment_fixed_size 260
		.amdhsa_kernarg_size 400
		.amdhsa_user_sgpr_count 8
		.amdhsa_user_sgpr_private_segment_buffer 1
		.amdhsa_user_sgpr_dispatch_ptr 0
		.amdhsa_user_sgpr_queue_ptr 0
		.amdhsa_user_sgpr_kernarg_segment_ptr 1
		.amdhsa_user_sgpr_dispatch_id 0
		.amdhsa_user_sgpr_flat_scratch_init 1
		.amdhsa_user_sgpr_kernarg_preload_length 0
		.amdhsa_user_sgpr_kernarg_preload_offset 0
		.amdhsa_user_sgpr_private_segment_size 0
		.amdhsa_uses_dynamic_stack 0
		.amdhsa_system_sgpr_private_segment_wavefront_offset 1
		.amdhsa_system_sgpr_workgroup_id_x 1
		.amdhsa_system_sgpr_workgroup_id_y 1
		.amdhsa_system_sgpr_workgroup_id_z 1
		.amdhsa_system_sgpr_workgroup_info 0
		.amdhsa_system_vgpr_workitem_id 0
		.amdhsa_next_free_vgpr 126
		.amdhsa_next_free_sgpr 48
		.amdhsa_accum_offset 64
		.amdhsa_reserve_vcc 1
		.amdhsa_reserve_flat_scratch 1
		.amdhsa_float_round_mode_32 0
		.amdhsa_float_round_mode_16_64 0
		.amdhsa_float_denorm_mode_32 3
		.amdhsa_float_denorm_mode_16_64 3
		.amdhsa_dx10_clamp 1
		.amdhsa_ieee_mode 1
		.amdhsa_fp16_overflow 0
		.amdhsa_tg_split 0
		.amdhsa_exception_fp_ieee_invalid_op 0
		.amdhsa_exception_fp_denorm_src 0
		.amdhsa_exception_fp_ieee_div_zero 0
		.amdhsa_exception_fp_ieee_overflow 0
		.amdhsa_exception_fp_ieee_underflow 0
		.amdhsa_exception_fp_ieee_inexact 0
		.amdhsa_exception_int_div_zero 0
	.end_amdhsa_kernel
	.section	.text._ZN4vllm25paged_attention_v2_kernelIthLi128ELi32ELi128ELNS_18Fp8KVCacheDataTypeE1ELb1ELi512EEEvPfS2_PT_PKS3_PKT0_S9_ifPKiSB_iPKfiiiSD_SD_iiiii,"axG",@progbits,_ZN4vllm25paged_attention_v2_kernelIthLi128ELi32ELi128ELNS_18Fp8KVCacheDataTypeE1ELb1ELi512EEEvPfS2_PT_PKS3_PKT0_S9_ifPKiSB_iPKfiiiSD_SD_iiiii,comdat
.Lfunc_end307:
	.size	_ZN4vllm25paged_attention_v2_kernelIthLi128ELi32ELi128ELNS_18Fp8KVCacheDataTypeE1ELb1ELi512EEEvPfS2_PT_PKS3_PKT0_S9_ifPKiSB_iPKfiiiSD_SD_iiiii, .Lfunc_end307-_ZN4vllm25paged_attention_v2_kernelIthLi128ELi32ELi128ELNS_18Fp8KVCacheDataTypeE1ELb1ELi512EEEvPfS2_PT_PKS3_PKT0_S9_ifPKiSB_iPKfiiiSD_SD_iiiii
                                        ; -- End function
	.section	.AMDGPU.csdata,"",@progbits
; Kernel info:
; codeLenInByte = 296
; NumSgprs: 54
; NumVgprs: 64
; NumAgprs: 62
; TotalNumVgprs: 126
; ScratchSize: 260
; MemoryBound: 0
; FloatMode: 240
; IeeeMode: 1
; LDSByteSize: 272 bytes/workgroup (compile time only)
; SGPRBlocks: 6
; VGPRBlocks: 15
; NumSGPRsForWavesPerEU: 54
; NumVGPRsForWavesPerEU: 126
; AccumOffset: 64
; Occupancy: 4
; WaveLimiterHint : 1
; COMPUTE_PGM_RSRC2:SCRATCH_EN: 1
; COMPUTE_PGM_RSRC2:USER_SGPR: 8
; COMPUTE_PGM_RSRC2:TRAP_HANDLER: 0
; COMPUTE_PGM_RSRC2:TGID_X_EN: 1
; COMPUTE_PGM_RSRC2:TGID_Y_EN: 1
; COMPUTE_PGM_RSRC2:TGID_Z_EN: 1
; COMPUTE_PGM_RSRC2:TIDIG_COMP_CNT: 0
; COMPUTE_PGM_RSRC3_GFX90A:ACCUM_OFFSET: 15
; COMPUTE_PGM_RSRC3_GFX90A:TG_SPLIT: 0
	.text
	.p2align	2                               ; -- Begin function _ZN4vllm22paged_attention_kernelIthLi192ELi32ELi128ELNS_18Fp8KVCacheDataTypeE1ELb1ELi512EEEvPfS2_PT_PKS3_PKT0_S9_ifPKiSB_iPKfiiiSD_SD_iiiii
	.type	_ZN4vllm22paged_attention_kernelIthLi192ELi32ELi128ELNS_18Fp8KVCacheDataTypeE1ELb1ELi512EEEvPfS2_PT_PKS3_PKT0_S9_ifPKiSB_iPKfiiiSD_SD_iiiii,@function
_ZN4vllm22paged_attention_kernelIthLi192ELi32ELi128ELNS_18Fp8KVCacheDataTypeE1ELb1ELi512EEEvPfS2_PT_PKS3_PKT0_S9_ifPKiSB_iPKfiiiSD_SD_iiiii: ; @_ZN4vllm22paged_attention_kernelIthLi192ELi32ELi128ELNS_18Fp8KVCacheDataTypeE1ELb1ELi512EEEvPfS2_PT_PKS3_PKT0_S9_ifPKiSB_iPKfiiiSD_SD_iiiii
; %bb.0:
	s_waitcnt vmcnt(0) expcnt(0) lgkmcnt(0)
	s_or_saveexec_b64 s[4:5], -1
	buffer_store_dword v63, off, s[0:3], s32 offset:492 ; 4-byte Folded Spill
	s_mov_b64 exec, s[4:5]
	buffer_store_dword v40, off, s[0:3], s32 offset:192 ; 4-byte Folded Spill
	buffer_store_dword v41, off, s[0:3], s32 offset:188 ; 4-byte Folded Spill
	;; [unrolled: 1-line block ×47, first 2 shown]
	v_writelane_b32 v63, s34, 0
	v_writelane_b32 v63, s35, 1
	;; [unrolled: 1-line block ×11, first 2 shown]
	s_mov_b32 s22, s13
	s_ashr_i32 s23, s13, 31
	v_accvgpr_write_b32 a4, v26
	v_accvgpr_write_b32 a35, v25
	s_lshl_b64 s[4:5], s[22:23], 2
	v_accvgpr_write_b32 a5, v27
	v_accvgpr_write_b32 a34, v24
	v_mov_b32_e32 v26, v2
	v_mov_b32_e32 v24, v1
	;; [unrolled: 1-line block ×3, first 2 shown]
	v_add_co_u32_e32 v2, vcc, s4, v16
	buffer_store_dword v13, off, s[0:3], s32 offset:400 ; 4-byte Folded Spill
	buffer_store_dword v5, off, s[0:3], s32 offset:412 ; 4-byte Folded Spill
	;; [unrolled: 1-line block ×3, first 2 shown]
	v_mov_b32_e32 v25, v3
	v_addc_co_u32_e32 v3, vcc, v17, v1, vcc
	flat_load_dword v2, v[2:3]
	s_nop 0
	buffer_load_dword v13, off, s[0:3], s32 offset:4
	buffer_load_dword v1, off, s[0:3], s32
	s_lshl_b32 s23, s14, 9
	v_accvgpr_write_b32 a6, v22
	v_mov_b32_e32 v33, v20
	v_mov_b32_e32 v32, v19
	;; [unrolled: 1-line block ×4, first 2 shown]
	s_waitcnt vmcnt(0) lgkmcnt(0)
	v_accvgpr_write_b32 a8, v2
	v_cmp_lt_i32_e32 vcc, s23, v2
	s_and_saveexec_b64 s[16:17], vcc
	s_cbranch_execz .LBB308_1249
; %bb.1:
	v_sub_u32_e32 v2, 0, v12
	v_max_i32_e32 v2, v12, v2
	v_cvt_f32_u32_e32 v3, v2
	s_load_dword s4, s[8:9], 0x10
	s_load_dword s6, s[8:9], 0x0
	v_sub_u32_e32 v5, 0, v2
	s_mov_b32 s20, s15
	v_rcp_iflag_f32_e32 v3, v3
	s_waitcnt lgkmcnt(0)
	s_lshr_b32 s4, s4, 16
	s_cmp_lg_u32 s4, 0
	s_cselect_b64 s[4:5], -1, 0
	v_mul_f32_e32 v3, 0x4f7ffffe, v3
	v_cvt_u32_f32_e32 v3, v3
	s_cmp_lg_u64 s[4:5], 0
	s_addc_u32 s15, s6, 0
	s_abs_i32 s4, s15
	v_mul_lo_u32 v5, v5, v3
	v_mul_hi_u32 v5, v3, v5
	v_add_u32_e32 v3, v3, v5
	v_mul_hi_u32 v3, s4, v3
	v_mul_lo_u32 v5, v3, v2
	v_sub_u32_e32 v5, s4, v5
	v_add_u32_e32 v10, 1, v3
	v_cmp_ge_u32_e32 vcc, v5, v2
	v_cndmask_b32_e32 v3, v3, v10, vcc
	v_sub_u32_e32 v10, v5, v2
	v_cndmask_b32_e32 v5, v5, v10, vcc
	v_xor_b32_e32 v4, s15, v12
	v_add_u32_e32 v10, 1, v3
	v_cmp_ge_u32_e32 vcc, v5, v2
	v_ashrrev_i32_e32 v4, 31, v4
	v_cndmask_b32_e32 v2, v3, v10, vcc
	v_xor_b32_e32 v2, v2, v4
	v_sub_u32_e32 v2, v2, v4
	v_sub_u32_e32 v3, 0, v2
	v_max_i32_e32 v3, v2, v3
	v_cvt_f32_u32_e32 v4, v3
	v_sub_u32_e32 v5, 0, v3
	s_abs_i32 s6, s12
	v_cmp_ne_u64_e32 vcc, 0, v[32:33]
	v_rcp_iflag_f32_e32 v4, v4
	v_mul_f32_e32 v4, 0x4f7ffffe, v4
	v_cvt_u32_f32_e32 v4, v4
	v_mul_lo_u32 v5, v5, v4
	v_mul_hi_u32 v5, v4, v5
	v_add_u32_e32 v4, v4, v5
	v_mad_u64_u32 v[34:35], s[4:5], s6, v4, 0
	v_mov_b32_e32 v4, 0
	buffer_store_dword v4, off, s[0:3], s32 offset:396 ; 4-byte Folded Spill
	s_and_saveexec_b64 s[4:5], vcc
	s_cbranch_execz .LBB308_3
; %bb.2:
	s_ashr_i32 s13, s12, 31
	s_lshl_b64 s[10:11], s[12:13], 2
	v_mov_b32_e32 v5, s11
	v_add_co_u32_e32 v4, vcc, s10, v32
	v_addc_co_u32_e32 v5, vcc, v33, v5, vcc
	flat_load_dword v4, v[4:5]
	s_waitcnt vmcnt(0) lgkmcnt(0)
	buffer_store_dword v4, off, s[0:3], s32 offset:396 ; 4-byte Folded Spill
.LBB308_3:
	s_or_b64 exec, exec, s[4:5]
	v_and_b32_e32 v5, 0x3ff, v31
	s_ashr_i32 s7, s12, 31
	v_ashrrev_i32_e32 v4, 31, v2
	v_and_b32_e32 v2, 1, v5
	s_movk_i32 s10, 0xc0
	s_mul_i32 s18, s12, 0xc0
	v_cmp_gt_u32_e32 vcc, 48, v5
	v_lshlrev_b32_e32 v27, 3, v5
	buffer_store_dword v5, off, s[0:3], s32 offset:380 ; 4-byte Folded Spill
	s_and_saveexec_b64 s[4:5], vcc
	s_cbranch_execz .LBB308_5
; %bb.4:
	v_mul_lo_u32 v10, s22, v21
	v_ashrrev_i32_e32 v11, 31, v10
	v_lshlrev_b64 v[10:11], 1, v[10:11]
	v_add_co_u32_e32 v5, vcc, v6, v10
	s_ashr_i32 s19, s18, 31
	v_addc_co_u32_e32 v6, vcc, v7, v11, vcc
	s_lshl_b64 s[24:25], s[18:19], 1
	v_mov_b32_e32 v7, s25
	v_add_co_u32_e32 v5, vcc, s24, v5
	v_addc_co_u32_e32 v7, vcc, v6, v7, vcc
	v_add_co_u32_e32 v6, vcc, v5, v27
	buffer_load_dword v5, off, s[0:3], s32 offset:380 ; 4-byte Folded Reload
	v_addc_co_u32_e32 v7, vcc, 0, v7, vcc
	flat_load_dwordx2 v[6:7], v[6:7]
	s_waitcnt vmcnt(0)
	v_lshlrev_b32_e32 v5, 2, v5
	v_and_b32_e32 v5, 0xff8, v5
	v_mad_u32_u24 v5, v2, s10, v5
	s_waitcnt lgkmcnt(0)
	ds_write_b64 v5, v[6:7]
.LBB308_5:
	s_or_b64 exec, exec, s[4:5]
	v_mul_lo_u32 v5, v35, v3
	v_sub_u32_e32 v5, s6, v5
	v_add_u32_e32 v6, 1, v35
	v_cmp_ge_u32_e32 vcc, v5, v3
	v_sub_u32_e32 v7, v5, v3
	v_cndmask_b32_e32 v6, v35, v6, vcc
	v_cndmask_b32_e32 v5, v5, v7, vcc
	v_add_u32_e32 v7, 1, v6
	v_cmp_ge_u32_e32 vcc, v5, v3
	v_sub_u32_e32 v5, 0, v1
	v_cndmask_b32_e32 v3, v6, v7, vcc
	v_max_i32_e32 v6, v1, v5
	v_cvt_f32_u32_e32 v5, v6
	v_xor_b32_e32 v4, s7, v4
	v_xor_b32_e32 v3, v3, v4
	v_sub_u32_e32 v20, v3, v4
	v_rcp_iflag_f32_e32 v3, v5
	v_accvgpr_read_b32 v4, a8
	v_accvgpr_write_b32 a3, v6
	v_sub_u32_e32 v6, 0, v6
	v_mul_f32_e32 v3, 0x4f7ffffe, v3
	v_cvt_u32_f32_e32 v5, v3
	v_add_u32_e32 v4, -1, v4
	v_sub_u32_e32 v3, 0, v4
	v_max_i32_e32 v3, v4, v3
	v_mul_lo_u32 v6, v6, v5
	v_mul_hi_u32 v6, v5, v6
	v_add_u32_e32 v5, v5, v6
	v_mad_u64_u32 v[32:33], s[4:5], v3, v5, 0
	v_cmp_gt_i32_e32 vcc, 0, v13
	s_waitcnt lgkmcnt(0)
	s_barrier
	buffer_store_dword v5, off, s[0:3], s32 offset:196 ; 4-byte Folded Spill
                                        ; implicit-def: $agpr10
	s_and_saveexec_b64 s[4:5], vcc
	s_xor_b64 s[4:5], exec, s[4:5]
; %bb.6:
	v_mad_u64_u32 v[6:7], s[6:7], v28, v12, v[20:21]
	v_mul_lo_u32 v5, v6, v13
	v_sub_u32_e32 v6, 1, v5
	v_accvgpr_write_b32 a10, v6
                                        ; implicit-def: $vgpr28
                                        ; implicit-def: $vgpr13
; %bb.7:
	s_or_saveexec_b64 s[4:5], s[4:5]
	v_ashrrev_i32_e32 v1, 31, v1
	v_ashrrev_i32_e32 v4, 31, v4
	v_accvgpr_write_b32 a9, v1
	s_xor_b64 exec, exec, s[4:5]
; %bb.8:
	v_mul_lo_u32 v1, s15, v28
	v_add_u32_e32 v1, s12, v1
	v_mad_u64_u32 v[6:7], s[6:7], v1, v13, 1
	v_accvgpr_write_b32 a10, v6
; %bb.9:
	s_or_b64 exec, exec, s[4:5]
	s_load_dword s38, s[8:9], 0x14
	s_load_dword s13, s[8:9], 0x8
	buffer_load_dword v1, off, s[0:3], s32 offset:380 ; 4-byte Folded Reload
	v_accvgpr_read_b32 v5, a9
	v_accvgpr_read_b32 v7, a3
	v_xor_b32_e32 v4, v4, v5
	v_mul_lo_u32 v5, v33, v7
	v_sub_u32_e32 v3, v3, v5
	v_add_u32_e32 v5, 1, v33
	v_cmp_ge_u32_e32 vcc, v3, v7
	v_sub_u32_e32 v6, v3, v7
	v_cndmask_b32_e32 v5, v33, v5, vcc
	v_cndmask_b32_e32 v3, v3, v6, vcc
	v_add_u32_e32 v6, 1, v5
	v_cmp_ge_u32_e32 vcc, v3, v7
	v_cndmask_b32_e32 v3, v5, v6, vcc
	v_xor_b32_e32 v3, v3, v4
	v_sub_u32_e32 v3, v3, v4
	v_accvgpr_read_b32 v4, a8
	v_add_u32_e32 v4, 31, v4
	v_ashrrev_i32_e32 v5, 31, v4
	v_lshrrev_b32_e32 v5, 27, v5
	v_add_u32_e32 v4, v4, v5
	s_lshl_b32 s19, s14, 4
	v_ashrrev_i32_e32 v31, 5, v4
	s_add_i32 s4, s19, 16
	v_min_i32_e32 v5, s4, v31
	v_mul_lo_u32 v10, s22, v18
	v_accvgpr_write_b32 a11, v5
	v_ashrrev_i32_e32 v11, 31, v10
	v_mul_lo_u32 v32, v20, v23
	v_mov_b32_e32 v6, 0xff7fffff
	v_ashrrev_i32_e32 v33, 31, v32
	s_waitcnt vmcnt(0)
	v_lshrrev_b32_e32 v28, 6, v1
	v_or_b32_e32 v4, s19, v28
	v_cmp_lt_i32_e64 s[4:5], v4, v5
	v_ashrrev_i32_e32 v5, 31, v4
	v_accvgpr_write_b32 a13, v5
	v_sub_u32_e32 v1, v3, v29
	v_accvgpr_write_b32 a12, v4
	v_lshlrev_b64 v[4:5], 2, v[10:11]
	buffer_store_dword v1, off, s[0:3], s32 offset:200 ; 4-byte Folded Spill
	buffer_store_dword v4, off, s[0:3], s32 offset:420 ; 4-byte Folded Spill
	s_nop 0
	buffer_store_dword v5, off, s[0:3], s32 offset:424 ; 4-byte Folded Spill
	v_sub_u32_e32 v29, 0, v30
	v_lshl_add_u32 v18, v28, 5, s23
	v_mbcnt_lo_u32_b32 v4, -1, 0
	s_and_saveexec_b64 s[24:25], s[4:5]
	s_cbranch_execz .LBB308_595
; %bb.10:
	buffer_store_dword v31, off, s[0:3], s32 offset:428 ; 4-byte Folded Spill
	buffer_store_dword v27, off, s[0:3], s32 offset:432 ; 4-byte Folded Spill
	;; [unrolled: 1-line block ×9, first 2 shown]
	buffer_load_dword v0, off, s[0:3], s32 offset:380 ; 4-byte Folded Reload
	s_ashr_i32 s21, s20, 31
	buffer_store_dword v32, off, s[0:3], s32 offset:440 ; 4-byte Folded Spill
	buffer_store_dword v33, off, s[0:3], s32 offset:444 ; 4-byte Folded Spill
	;; [unrolled: 1-line block ×4, first 2 shown]
	s_lshl_b64 s[10:11], s[20:21], 2
	s_getpc_b64 s[26:27]
	s_add_u32 s26, s26, llvm.amdgcn.dynlds.offset.table@rel32@lo+4
	s_addc_u32 s27, s27, llvm.amdgcn.dynlds.offset.table@rel32@hi+12
	s_add_u32 s26, s10, s26
	s_addc_u32 s27, s11, s27
	v_mov_b32_e32 v6, v4
	s_load_dword s21, s[26:27], 0x0
	v_cmp_eq_u32_e64 s[6:7], 0, v2
	v_mov_b32_e32 v41, 0
	v_lshl_add_u32 v27, v28, 5, s23
	s_mov_b64 s[28:29], 0
	s_movk_i32 s39, 0x80
	s_movk_i32 s40, 0x7f
	s_mov_b32 s41, 0x8000
	s_mov_b32 s42, 0xffffff
	s_waitcnt vmcnt(4)
	v_bfe_u32 v7, v0, 1, 5
	v_add_co_u32_e32 v0, vcc, v8, v32
	v_addc_co_u32_e32 v1, vcc, v9, v33, vcc
	v_lshlrev_b32_e32 v3, 4, v7
	v_add_co_u32_e32 v0, vcc, v0, v3
	v_addc_co_u32_e32 v1, vcc, 0, v1, vcc
	v_accvgpr_write_b32 a39, v1
	v_accvgpr_write_b32 a38, v0
	v_mul_u32_u24_e32 v1, 0xc0, v2
	buffer_store_dword v1, off, s[0:3], s32 offset:388 ; 4-byte Folded Spill
	buffer_load_dword v1, off, s[0:3], s32 offset:396 ; 4-byte Folded Reload
	v_max_i32_e32 v3, v30, v29
	buffer_store_dword v3, off, s[0:3], s32 offset:376 ; 4-byte Folded Spill
	buffer_load_dword v4, off, s[0:3], s32 offset:420 ; 4-byte Folded Reload
	buffer_load_dword v5, off, s[0:3], s32 offset:424 ; 4-byte Folded Reload
	v_lshlrev_b32_e32 v0, 2, v2
	v_accvgpr_write_b32 a40, v0
	v_cvt_f32_u32_e32 v0, v3
	buffer_store_dword v14, off, s[0:3], s32 offset:484 ; 4-byte Folded Spill
	buffer_store_dword v15, off, s[0:3], s32 offset:488 ; 4-byte Folded Spill
	;; [unrolled: 1-line block ×3, first 2 shown]
	v_rcp_iflag_f32_e32 v0, v0
	buffer_store_dword v7, off, s[0:3], s32 offset:404 ; 4-byte Folded Spill
	v_mul_f32_e32 v0, 0x4f7ffffe, v0
	v_cvt_u32_f32_e32 v0, v0
	s_waitcnt vmcnt(7)
	v_cmp_neq_f32_e64 s[8:9], 0, v1
	v_sub_u32_e32 v1, 0, v3
	v_mul_lo_u32 v1, v1, v0
	v_mul_hi_u32 v1, v0, v1
	v_accvgpr_read_b32 v2, a12
	v_add_u32_e32 v0, v0, v1
	v_accvgpr_read_b32 v3, a13
	v_accvgpr_write_b32 a44, v0
	v_lshlrev_b64 v[0:1], 2, v[2:3]
	s_waitcnt vmcnt(5)
	v_add_co_u32_e32 v0, vcc, v4, v0
	s_waitcnt vmcnt(4)
	v_addc_co_u32_e32 v1, vcc, v5, v1, vcc
	v_add_co_u32_e32 v32, vcc, v14, v0
	v_lshlrev_b32_e32 v0, 2, v7
	v_lshl_or_b32 v0, v28, 7, v0
	v_accvgpr_write_b32 a43, v0
	v_accvgpr_read_b32 v0, a8
	v_sub_u32_e32 v0, v7, v0
	v_add_u32_e32 v0, 1, v0
	buffer_store_dword v0, off, s[0:3], s32 offset:408 ; 4-byte Folded Spill
	v_mbcnt_hi_u32_b32 v0, -1, v6
	v_addc_co_u32_e32 v33, vcc, v15, v1, vcc
	buffer_store_dword v0, off, s[0:3], s32 offset:392 ; 4-byte Folded Spill
	v_mov_b32_e32 v0, 0xff7fffff
	v_mov_b32_e32 v1, v2
	buffer_store_dword v0, off, s[0:3], s32 offset:384 ; 4-byte Folded Spill
	s_branch .LBB308_13
.LBB308_11:                             ;   in Loop: Header=BB308_13 Depth=1
	s_or_b64 exec, exec, s[30:31]
.LBB308_12:                             ;   in Loop: Header=BB308_13 Depth=1
	s_or_b64 exec, exec, s[10:11]
	s_waitcnt lgkmcnt(0)
	v_accvgpr_read_b32 v1, a47
	v_add_co_u32_e32 v32, vcc, 8, v32
	v_add_u32_e32 v1, 2, v1
	v_addc_co_u32_e32 v33, vcc, 0, v33, vcc
	v_accvgpr_read_b32 v0, a11
	v_cmp_ge_i32_e32 vcc, v1, v0
	v_accvgpr_read_b32 v0, a43
	v_add_u32_e32 v0, 0x100, v0
	v_add_u32_e32 v27, 64, v27
	s_or_b64 s[28:29], vcc, s[28:29]
	v_accvgpr_write_b32 a43, v0
	s_andn2_b64 exec, exec, s[28:29]
	s_cbranch_execz .LBB308_594
.LBB308_13:                             ; =>This Inner Loop Header: Depth=1
	buffer_load_dword v2, off, s[0:3], s32 offset:196 ; 4-byte Folded Reload
	v_accvgpr_write_b32 a47, v1
	v_ashrrev_i32_e32 v0, 31, v27
	v_accvgpr_read_b32 v1, a9
	v_xor_b32_e32 v0, v0, v1
	v_sub_u32_e32 v1, 0, v27
	v_max_i32_e32 v1, v27, v1
	v_accvgpr_read_b32 v4, a3
	s_waitcnt vmcnt(0)
	v_mul_hi_u32 v2, v1, v2
	v_mul_lo_u32 v3, v2, v4
	v_sub_u32_e32 v1, v1, v3
	v_add_u32_e32 v3, 1, v2
	v_cmp_ge_u32_e32 vcc, v1, v4
	v_cndmask_b32_e32 v2, v2, v3, vcc
	v_sub_u32_e32 v3, v1, v4
	v_cndmask_b32_e32 v1, v1, v3, vcc
	v_add_u32_e32 v3, 1, v2
	v_cmp_ge_u32_e32 vcc, v1, v4
	v_cndmask_b32_e32 v1, v2, v3, vcc
	v_xor_b32_e32 v1, v1, v0
	v_sub_u32_e32 v0, v1, v0
	v_accvgpr_read_b32 v2, a10
	v_add_u32_e32 v1, v0, v2
	v_sub_u32_e32 v3, 0, v1
	v_ashrrev_i32_e32 v2, 31, v1
	v_max_i32_e32 v1, v1, v3
	v_accvgpr_read_b32 v4, a44
	v_mul_hi_u32 v3, v1, v4
	buffer_load_dword v4, off, s[0:3], s32 offset:376 ; 4-byte Folded Reload
	s_waitcnt vmcnt(0)
	v_mul_lo_u32 v3, v3, v4
	v_sub_u32_e32 v1, v1, v3
	v_sub_u32_e32 v3, v1, v4
	v_cmp_ge_u32_e32 vcc, v1, v4
	v_cndmask_b32_e32 v1, v1, v3, vcc
	v_sub_u32_e32 v3, v1, v4
	v_cmp_ge_u32_e32 vcc, v1, v4
	v_cndmask_b32_e32 v1, v1, v3, vcc
	v_xor_b32_e32 v1, v1, v2
	v_sub_u32_e32 v1, v1, v2
	v_cmp_ne_u32_e32 vcc, 0, v1
	buffer_load_dword v1, off, s[0:3], s32 offset:200 ; 4-byte Folded Reload
	s_waitcnt vmcnt(0)
	v_cmp_le_i32_e64 s[10:11], v0, v1
	s_and_b64 s[10:11], vcc, s[10:11]
	s_and_b64 s[30:31], s[6:7], s[10:11]
	s_and_saveexec_b64 vcc, s[30:31]
	s_cbranch_execz .LBB308_15
; %bb.14:                               ;   in Loop: Header=BB308_13 Depth=1
	v_accvgpr_read_b32 v0, a43
	s_waitcnt lgkmcnt(0)
	v_add_u32_e32 v0, s21, v0
	v_mov_b32_e32 v1, 0xff7fffff
	ds_write_b32 v0, v1
.LBB308_15:                             ;   in Loop: Header=BB308_13 Depth=1
	s_or_b64 exec, exec, vcc
	s_xor_b64 vcc, s[10:11], -1
	s_and_saveexec_b64 s[10:11], vcc
	s_cbranch_execz .LBB308_12
; %bb.16:                               ;   in Loop: Header=BB308_13 Depth=1
	flat_load_dword v0, v[32:33]
	v_accvgpr_read_b32 v4, a38
	v_accvgpr_read_b32 v2, a6
	v_accvgpr_read_b32 v5, a39
	v_mov_b32_e32 v45, 0
	s_waitcnt vmcnt(0) lgkmcnt(0)
	v_mad_i64_i32 v[0:1], vcc, v0, v2, v[4:5]
	v_accvgpr_read_b32 v2, a40
	v_add_co_u32_e32 v34, vcc, v0, v2
	v_addc_co_u32_e32 v35, vcc, 0, v1, vcc
	v_accvgpr_read_b32 v0, a34
	flat_load_dword v36, v[34:35]
	v_accvgpr_read_b32 v1, a35
	flat_load_dword v4, v[0:1]
	v_mov_b32_e32 v0, 0
	buffer_store_dword v0, off, s[0:3], s32 offset:204 ; 4-byte Folded Spill
	s_waitcnt vmcnt(0) lgkmcnt(0)
	v_cmp_ne_u16_sdwa vcc, v36, v41 src0_sel:BYTE_0 src1_sel:DWORD
	s_and_saveexec_b64 s[30:31], vcc
	s_cbranch_execz .LBB308_22
; %bb.17:                               ;   in Loop: Header=BB308_13 Depth=1
	v_cmp_ne_u16_sdwa vcc, v36, s39 src0_sel:BYTE_0 src1_sel:DWORD
	v_bfrev_b32_e32 v45, 1
	s_and_saveexec_b64 s[34:35], vcc
	s_cbranch_execz .LBB308_21
; %bb.18:                               ;   in Loop: Header=BB308_13 Depth=1
	v_and_b32_e32 v0, 0x7f, v36
	v_cmp_ne_u32_e32 vcc, s40, v0
	v_mov_b32_e32 v45, 0x7fc02000
	s_and_saveexec_b64 s[36:37], vcc
	s_cbranch_execz .LBB308_20
; %bb.19:                               ;   in Loop: Header=BB308_13 Depth=1
	v_and_b32_e32 v1, 7, v36
	v_ffbh_u32_e32 v2, v1
	v_min_u32_e32 v6, 32, v2
	v_subrev_u32_e32 v2, 28, v6
	v_lshlrev_b64 v[2:3], v2, v[36:37]
	v_lshrrev_b32_e32 v5, 3, v0
	v_sub_u32_e32 v3, 29, v6
	v_cmp_gt_u32_e32 vcc, 8, v0
	v_and_b32_e32 v2, 7, v2
	v_cndmask_b32_e32 v0, v5, v3, vcc
	v_mov_b32_e32 v3, 0x2000
	v_cndmask_b32_e32 v1, v1, v2, vcc
	v_lshlrev_b32_e32 v2, 8, v36
	v_lshl_add_u32 v0, v0, 10, v3
	v_and_or_b32 v0, v2, s41, v0
	v_lshl_or_b32 v0, v1, 7, v0
	v_cvt_f32_f16_e32 v45, v0
.LBB308_20:                             ;   in Loop: Header=BB308_13 Depth=1
	s_or_b64 exec, exec, s[36:37]
.LBB308_21:                             ;   in Loop: Header=BB308_13 Depth=1
	s_or_b64 exec, exec, s[34:35]
.LBB308_22:                             ;   in Loop: Header=BB308_13 Depth=1
	s_or_b64 exec, exec, s[30:31]
	v_lshrrev_b16_e32 v38, 8, v36
	v_cmp_ne_u16_e32 vcc, 0, v38
	s_and_saveexec_b64 s[30:31], vcc
	s_cbranch_execz .LBB308_28
; %bb.23:                               ;   in Loop: Header=BB308_13 Depth=1
	v_cmp_ne_u16_e32 vcc, s39, v38
	v_bfrev_b32_e32 v0, 1
	buffer_store_dword v0, off, s[0:3], s32 offset:204 ; 4-byte Folded Spill
	s_and_saveexec_b64 s[34:35], vcc
	s_cbranch_execz .LBB308_27
; %bb.24:                               ;   in Loop: Header=BB308_13 Depth=1
	v_and_b32_e32 v0, 0x7f, v38
	v_cmp_ne_u32_e32 vcc, s40, v0
	v_mov_b32_e32 v1, 0x7fc02000
	buffer_store_dword v1, off, s[0:3], s32 offset:204 ; 4-byte Folded Spill
	s_and_saveexec_b64 s[36:37], vcc
	s_cbranch_execz .LBB308_26
; %bb.25:                               ;   in Loop: Header=BB308_13 Depth=1
	v_and_b32_e32 v1, 7, v38
	v_ffbh_u32_e32 v2, v1
	v_min_u32_e32 v6, 32, v2
	v_subrev_u32_e32 v2, 28, v6
	v_lshlrev_b64 v[2:3], v2, v[38:39]
	v_lshrrev_b32_e32 v5, 3, v0
	v_sub_u32_e32 v3, 29, v6
	v_cmp_gt_u32_e32 vcc, 8, v0
	v_and_b32_e32 v2, 7, v2
	v_cndmask_b32_e32 v0, v5, v3, vcc
	v_mov_b32_e32 v3, 0x2000
	v_cndmask_b32_e32 v1, v1, v2, vcc
	v_lshlrev_b32_e32 v2, 8, v38
	v_lshl_add_u32 v0, v0, 10, v3
	v_and_or_b32 v0, v2, s41, v0
	v_lshl_or_b32 v0, v1, 7, v0
	v_cvt_f32_f16_e32 v0, v0
	buffer_store_dword v0, off, s[0:3], s32 offset:204 ; 4-byte Folded Spill
.LBB308_26:                             ;   in Loop: Header=BB308_13 Depth=1
	s_or_b64 exec, exec, s[36:37]
.LBB308_27:                             ;   in Loop: Header=BB308_13 Depth=1
	s_or_b64 exec, exec, s[34:35]
.LBB308_28:                             ;   in Loop: Header=BB308_13 Depth=1
	s_or_b64 exec, exec, s[30:31]
	v_lshrrev_b32_e32 v38, 16, v36
	v_mov_b32_e32 v0, 0
	v_cmp_ne_u16_sdwa vcc, v38, v41 src0_sel:BYTE_0 src1_sel:DWORD
	buffer_store_dword v0, off, s[0:3], s32 offset:256 ; 4-byte Folded Spill
	v_mov_b32_e32 v0, 0
	buffer_store_dword v0, off, s[0:3], s32 offset:288 ; 4-byte Folded Spill
	s_and_saveexec_b64 s[30:31], vcc
	s_cbranch_execz .LBB308_34
; %bb.29:                               ;   in Loop: Header=BB308_13 Depth=1
	v_cmp_ne_u16_sdwa vcc, v38, s39 src0_sel:BYTE_0 src1_sel:DWORD
	v_bfrev_b32_e32 v0, 1
	buffer_store_dword v0, off, s[0:3], s32 offset:288 ; 4-byte Folded Spill
	s_and_saveexec_b64 s[34:35], vcc
	s_cbranch_execz .LBB308_33
; %bb.30:                               ;   in Loop: Header=BB308_13 Depth=1
	v_bfe_u32 v0, v36, 16, 7
	v_cmp_ne_u32_e32 vcc, s40, v0
	v_mov_b32_e32 v1, 0x7fc02000
	buffer_store_dword v1, off, s[0:3], s32 offset:288 ; 4-byte Folded Spill
	s_and_saveexec_b64 s[36:37], vcc
	s_cbranch_execz .LBB308_32
; %bb.31:                               ;   in Loop: Header=BB308_13 Depth=1
	v_and_b32_e32 v1, 7, v38
	v_ffbh_u32_e32 v2, v1
	v_min_u32_e32 v6, 32, v2
	v_subrev_u32_e32 v2, 28, v6
	v_lshlrev_b64 v[2:3], v2, v[38:39]
	v_lshrrev_b32_e32 v5, 3, v0
	v_sub_u32_e32 v3, 29, v6
	v_cmp_gt_u32_e32 vcc, 8, v0
	v_and_b32_e32 v2, 7, v2
	v_cndmask_b32_e32 v0, v5, v3, vcc
	v_mov_b32_e32 v3, 0x2000
	v_cndmask_b32_e32 v1, v1, v2, vcc
	v_lshlrev_b32_e32 v2, 8, v38
	v_lshl_add_u32 v0, v0, 10, v3
	v_and_or_b32 v0, v2, s41, v0
	v_lshl_or_b32 v0, v1, 7, v0
	v_cvt_f32_f16_e32 v0, v0
	buffer_store_dword v0, off, s[0:3], s32 offset:288 ; 4-byte Folded Spill
.LBB308_32:                             ;   in Loop: Header=BB308_13 Depth=1
	s_or_b64 exec, exec, s[36:37]
.LBB308_33:                             ;   in Loop: Header=BB308_13 Depth=1
	s_or_b64 exec, exec, s[34:35]
.LBB308_34:                             ;   in Loop: Header=BB308_13 Depth=1
	s_or_b64 exec, exec, s[30:31]
	v_cmp_lt_u32_e32 vcc, s42, v36
	s_and_saveexec_b64 s[30:31], vcc
	s_cbranch_execz .LBB308_40
; %bb.35:                               ;   in Loop: Header=BB308_13 Depth=1
	v_lshrrev_b32_e32 v36, 24, v36
	v_cmp_ne_u32_e32 vcc, s39, v36
	v_bfrev_b32_e32 v0, 1
	buffer_store_dword v0, off, s[0:3], s32 offset:256 ; 4-byte Folded Spill
	s_and_saveexec_b64 s[34:35], vcc
	s_cbranch_execz .LBB308_39
; %bb.36:                               ;   in Loop: Header=BB308_13 Depth=1
	v_and_b32_e32 v0, 0x7f, v36
	v_cmp_ne_u32_e32 vcc, s40, v0
	v_mov_b32_e32 v1, 0x7fc02000
	buffer_store_dword v1, off, s[0:3], s32 offset:256 ; 4-byte Folded Spill
	s_and_saveexec_b64 s[36:37], vcc
	s_cbranch_execz .LBB308_38
; %bb.37:                               ;   in Loop: Header=BB308_13 Depth=1
	v_and_b32_e32 v1, 7, v36
	v_ffbh_u32_e32 v2, v1
	v_min_u32_e32 v6, 32, v2
	v_subrev_u32_e32 v2, 28, v6
	v_lshlrev_b64 v[2:3], v2, v[36:37]
	v_lshrrev_b32_e32 v5, 3, v0
	v_sub_u32_e32 v3, 29, v6
	v_cmp_gt_u32_e32 vcc, 8, v0
	v_and_b32_e32 v2, 7, v2
	v_cndmask_b32_e32 v0, v5, v3, vcc
	v_mov_b32_e32 v3, 0x2000
	v_cndmask_b32_e32 v1, v1, v2, vcc
	v_lshlrev_b32_e32 v2, 8, v36
	v_lshl_add_u32 v0, v0, 10, v3
	v_and_or_b32 v0, v2, s41, v0
	v_lshl_or_b32 v0, v1, 7, v0
	v_cvt_f32_f16_e32 v0, v0
	buffer_store_dword v0, off, s[0:3], s32 offset:256 ; 4-byte Folded Spill
.LBB308_38:                             ;   in Loop: Header=BB308_13 Depth=1
	s_or_b64 exec, exec, s[36:37]
.LBB308_39:                             ;   in Loop: Header=BB308_13 Depth=1
	s_or_b64 exec, exec, s[34:35]
.LBB308_40:                             ;   in Loop: Header=BB308_13 Depth=1
	s_or_b64 exec, exec, s[30:31]
	flat_load_dword v36, v[34:35] offset:8
	v_mov_b32_e32 v0, 0
	buffer_store_dword v0, off, s[0:3], s32 offset:320 ; 4-byte Folded Spill
	v_mov_b32_e32 v0, 0
	buffer_store_dword v0, off, s[0:3], s32 offset:292 ; 4-byte Folded Spill
	s_waitcnt vmcnt(0) lgkmcnt(0)
	v_cmp_ne_u16_sdwa vcc, v36, v41 src0_sel:BYTE_0 src1_sel:DWORD
	s_and_saveexec_b64 s[30:31], vcc
	s_cbranch_execz .LBB308_46
; %bb.41:                               ;   in Loop: Header=BB308_13 Depth=1
	v_cmp_ne_u16_sdwa vcc, v36, s39 src0_sel:BYTE_0 src1_sel:DWORD
	v_bfrev_b32_e32 v0, 1
	buffer_store_dword v0, off, s[0:3], s32 offset:292 ; 4-byte Folded Spill
	s_and_saveexec_b64 s[34:35], vcc
	s_cbranch_execz .LBB308_45
; %bb.42:                               ;   in Loop: Header=BB308_13 Depth=1
	v_and_b32_e32 v0, 0x7f, v36
	v_cmp_ne_u32_e32 vcc, s40, v0
	v_mov_b32_e32 v1, 0x7fc02000
	buffer_store_dword v1, off, s[0:3], s32 offset:292 ; 4-byte Folded Spill
	s_and_saveexec_b64 s[36:37], vcc
	s_cbranch_execz .LBB308_44
; %bb.43:                               ;   in Loop: Header=BB308_13 Depth=1
	v_and_b32_e32 v1, 7, v36
	v_ffbh_u32_e32 v2, v1
	v_min_u32_e32 v6, 32, v2
	v_subrev_u32_e32 v2, 28, v6
	v_lshlrev_b64 v[2:3], v2, v[36:37]
	v_lshrrev_b32_e32 v5, 3, v0
	v_sub_u32_e32 v3, 29, v6
	v_cmp_gt_u32_e32 vcc, 8, v0
	v_and_b32_e32 v2, 7, v2
	v_cndmask_b32_e32 v0, v5, v3, vcc
	v_mov_b32_e32 v3, 0x2000
	v_cndmask_b32_e32 v1, v1, v2, vcc
	v_lshlrev_b32_e32 v2, 8, v36
	v_lshl_add_u32 v0, v0, 10, v3
	v_and_or_b32 v0, v2, s41, v0
	v_lshl_or_b32 v0, v1, 7, v0
	v_cvt_f32_f16_e32 v0, v0
	buffer_store_dword v0, off, s[0:3], s32 offset:292 ; 4-byte Folded Spill
.LBB308_44:                             ;   in Loop: Header=BB308_13 Depth=1
	s_or_b64 exec, exec, s[36:37]
.LBB308_45:                             ;   in Loop: Header=BB308_13 Depth=1
	s_or_b64 exec, exec, s[34:35]
.LBB308_46:                             ;   in Loop: Header=BB308_13 Depth=1
	s_or_b64 exec, exec, s[30:31]
	v_lshrrev_b16_e32 v38, 8, v36
	v_cmp_ne_u16_e32 vcc, 0, v38
	s_and_saveexec_b64 s[30:31], vcc
	s_cbranch_execz .LBB308_52
; %bb.47:                               ;   in Loop: Header=BB308_13 Depth=1
	v_cmp_ne_u16_e32 vcc, s39, v38
	v_bfrev_b32_e32 v0, 1
	buffer_store_dword v0, off, s[0:3], s32 offset:320 ; 4-byte Folded Spill
	s_and_saveexec_b64 s[34:35], vcc
	s_cbranch_execz .LBB308_51
; %bb.48:                               ;   in Loop: Header=BB308_13 Depth=1
	v_and_b32_e32 v0, 0x7f, v38
	v_cmp_ne_u32_e32 vcc, s40, v0
	v_mov_b32_e32 v1, 0x7fc02000
	buffer_store_dword v1, off, s[0:3], s32 offset:320 ; 4-byte Folded Spill
	s_and_saveexec_b64 s[36:37], vcc
	s_cbranch_execz .LBB308_50
; %bb.49:                               ;   in Loop: Header=BB308_13 Depth=1
	v_and_b32_e32 v2, 7, v38
	v_lshrrev_b32_e32 v3, 3, v0
	v_cmp_gt_u32_e32 vcc, 8, v0
	v_ffbh_u32_e32 v0, v2
	v_min_u32_e32 v5, 32, v0
	v_subrev_u32_e32 v0, 28, v5
	v_lshlrev_b64 v[0:1], v0, v[38:39]
	v_sub_u32_e32 v1, 29, v5
	v_and_b32_e32 v0, 7, v0
	v_cndmask_b32_e32 v1, v3, v1, vcc
	v_mov_b32_e32 v3, 0x2000
	v_cndmask_b32_e32 v0, v2, v0, vcc
	v_lshlrev_b32_e32 v2, 8, v38
	v_lshl_add_u32 v1, v1, 10, v3
	v_and_or_b32 v1, v2, s41, v1
	v_lshl_or_b32 v0, v0, 7, v1
	v_cvt_f32_f16_e32 v0, v0
	buffer_store_dword v0, off, s[0:3], s32 offset:320 ; 4-byte Folded Spill
.LBB308_50:                             ;   in Loop: Header=BB308_13 Depth=1
	s_or_b64 exec, exec, s[36:37]
.LBB308_51:                             ;   in Loop: Header=BB308_13 Depth=1
	s_or_b64 exec, exec, s[34:35]
.LBB308_52:                             ;   in Loop: Header=BB308_13 Depth=1
	s_or_b64 exec, exec, s[30:31]
	v_lshrrev_b32_e32 v38, 16, v36
	v_cmp_ne_u16_sdwa vcc, v38, v41 src0_sel:BYTE_0 src1_sel:DWORD
	v_mov_b32_e32 v56, 0
	v_mov_b32_e32 v0, 0
	buffer_store_dword v0, off, s[0:3], s32 offset:208 ; 4-byte Folded Spill
	s_and_saveexec_b64 s[30:31], vcc
	s_cbranch_execz .LBB308_58
; %bb.53:                               ;   in Loop: Header=BB308_13 Depth=1
	v_cmp_ne_u16_sdwa vcc, v38, s39 src0_sel:BYTE_0 src1_sel:DWORD
	v_bfrev_b32_e32 v0, 1
	buffer_store_dword v0, off, s[0:3], s32 offset:208 ; 4-byte Folded Spill
	s_and_saveexec_b64 s[34:35], vcc
	s_cbranch_execz .LBB308_57
; %bb.54:                               ;   in Loop: Header=BB308_13 Depth=1
	v_bfe_u32 v0, v36, 16, 7
	v_cmp_ne_u32_e32 vcc, s40, v0
	v_mov_b32_e32 v1, 0x7fc02000
	buffer_store_dword v1, off, s[0:3], s32 offset:208 ; 4-byte Folded Spill
	s_and_saveexec_b64 s[36:37], vcc
	s_cbranch_execz .LBB308_56
; %bb.55:                               ;   in Loop: Header=BB308_13 Depth=1
	v_and_b32_e32 v1, 7, v38
	v_ffbh_u32_e32 v2, v1
	v_min_u32_e32 v6, 32, v2
	v_subrev_u32_e32 v2, 28, v6
	v_lshlrev_b64 v[2:3], v2, v[38:39]
	v_lshrrev_b32_e32 v5, 3, v0
	v_sub_u32_e32 v3, 29, v6
	v_cmp_gt_u32_e32 vcc, 8, v0
	v_and_b32_e32 v2, 7, v2
	v_cndmask_b32_e32 v0, v5, v3, vcc
	v_mov_b32_e32 v3, 0x2000
	v_cndmask_b32_e32 v1, v1, v2, vcc
	v_lshlrev_b32_e32 v2, 8, v38
	v_lshl_add_u32 v0, v0, 10, v3
	v_and_or_b32 v0, v2, s41, v0
	v_lshl_or_b32 v0, v1, 7, v0
	v_cvt_f32_f16_e32 v0, v0
	buffer_store_dword v0, off, s[0:3], s32 offset:208 ; 4-byte Folded Spill
.LBB308_56:                             ;   in Loop: Header=BB308_13 Depth=1
	s_or_b64 exec, exec, s[36:37]
.LBB308_57:                             ;   in Loop: Header=BB308_13 Depth=1
	s_or_b64 exec, exec, s[34:35]
.LBB308_58:                             ;   in Loop: Header=BB308_13 Depth=1
	s_or_b64 exec, exec, s[30:31]
	v_cmp_lt_u32_e32 vcc, s42, v36
	s_and_saveexec_b64 s[30:31], vcc
	s_cbranch_execz .LBB308_64
; %bb.59:                               ;   in Loop: Header=BB308_13 Depth=1
	v_lshrrev_b32_e32 v36, 24, v36
	v_cmp_ne_u32_e32 vcc, s39, v36
	v_bfrev_b32_e32 v56, 1
	s_and_saveexec_b64 s[34:35], vcc
	s_cbranch_execz .LBB308_63
; %bb.60:                               ;   in Loop: Header=BB308_13 Depth=1
	v_and_b32_e32 v0, 0x7f, v36
	v_cmp_ne_u32_e32 vcc, s40, v0
	v_mov_b32_e32 v56, 0x7fc02000
	s_and_saveexec_b64 s[36:37], vcc
	s_cbranch_execz .LBB308_62
; %bb.61:                               ;   in Loop: Header=BB308_13 Depth=1
	v_and_b32_e32 v1, 7, v36
	v_ffbh_u32_e32 v2, v1
	v_min_u32_e32 v6, 32, v2
	v_subrev_u32_e32 v2, 28, v6
	v_lshlrev_b64 v[2:3], v2, v[36:37]
	v_lshrrev_b32_e32 v5, 3, v0
	v_sub_u32_e32 v3, 29, v6
	v_cmp_gt_u32_e32 vcc, 8, v0
	v_and_b32_e32 v2, 7, v2
	v_cndmask_b32_e32 v0, v5, v3, vcc
	v_mov_b32_e32 v3, 0x2000
	v_cndmask_b32_e32 v1, v1, v2, vcc
	v_lshlrev_b32_e32 v2, 8, v36
	v_lshl_add_u32 v0, v0, 10, v3
	v_and_or_b32 v0, v2, s41, v0
	v_lshl_or_b32 v0, v1, 7, v0
	v_cvt_f32_f16_e32 v56, v0
.LBB308_62:                             ;   in Loop: Header=BB308_13 Depth=1
	s_or_b64 exec, exec, s[36:37]
.LBB308_63:                             ;   in Loop: Header=BB308_13 Depth=1
	s_or_b64 exec, exec, s[34:35]
.LBB308_64:                             ;   in Loop: Header=BB308_13 Depth=1
	s_or_b64 exec, exec, s[30:31]
	flat_load_dword v36, v[34:35] offset:512
	v_mov_b32_e32 v0, 0
	buffer_store_dword v0, off, s[0:3], s32 offset:224 ; 4-byte Folded Spill
	v_mov_b32_e32 v0, 0
	buffer_store_dword v0, off, s[0:3], s32 offset:212 ; 4-byte Folded Spill
	s_waitcnt vmcnt(0) lgkmcnt(0)
	v_cmp_ne_u16_sdwa vcc, v36, v41 src0_sel:BYTE_0 src1_sel:DWORD
	s_and_saveexec_b64 s[30:31], vcc
	s_cbranch_execz .LBB308_70
; %bb.65:                               ;   in Loop: Header=BB308_13 Depth=1
	v_cmp_ne_u16_sdwa vcc, v36, s39 src0_sel:BYTE_0 src1_sel:DWORD
	v_bfrev_b32_e32 v0, 1
	buffer_store_dword v0, off, s[0:3], s32 offset:212 ; 4-byte Folded Spill
	s_and_saveexec_b64 s[34:35], vcc
	s_cbranch_execz .LBB308_69
; %bb.66:                               ;   in Loop: Header=BB308_13 Depth=1
	v_and_b32_e32 v0, 0x7f, v36
	v_cmp_ne_u32_e32 vcc, s40, v0
	v_mov_b32_e32 v1, 0x7fc02000
	buffer_store_dword v1, off, s[0:3], s32 offset:212 ; 4-byte Folded Spill
	s_and_saveexec_b64 s[36:37], vcc
	s_cbranch_execz .LBB308_68
; %bb.67:                               ;   in Loop: Header=BB308_13 Depth=1
	v_and_b32_e32 v1, 7, v36
	v_ffbh_u32_e32 v2, v1
	v_min_u32_e32 v6, 32, v2
	v_subrev_u32_e32 v2, 28, v6
	v_lshlrev_b64 v[2:3], v2, v[36:37]
	v_lshrrev_b32_e32 v5, 3, v0
	v_sub_u32_e32 v3, 29, v6
	v_cmp_gt_u32_e32 vcc, 8, v0
	v_and_b32_e32 v2, 7, v2
	v_cndmask_b32_e32 v0, v5, v3, vcc
	v_mov_b32_e32 v3, 0x2000
	v_cndmask_b32_e32 v1, v1, v2, vcc
	v_lshlrev_b32_e32 v2, 8, v36
	v_lshl_add_u32 v0, v0, 10, v3
	v_and_or_b32 v0, v2, s41, v0
	v_lshl_or_b32 v0, v1, 7, v0
	v_cvt_f32_f16_e32 v0, v0
	buffer_store_dword v0, off, s[0:3], s32 offset:212 ; 4-byte Folded Spill
.LBB308_68:                             ;   in Loop: Header=BB308_13 Depth=1
	s_or_b64 exec, exec, s[36:37]
.LBB308_69:                             ;   in Loop: Header=BB308_13 Depth=1
	s_or_b64 exec, exec, s[34:35]
.LBB308_70:                             ;   in Loop: Header=BB308_13 Depth=1
	s_or_b64 exec, exec, s[30:31]
	v_lshrrev_b16_e32 v38, 8, v36
	v_cmp_ne_u16_e32 vcc, 0, v38
	s_and_saveexec_b64 s[30:31], vcc
	s_cbranch_execz .LBB308_76
; %bb.71:                               ;   in Loop: Header=BB308_13 Depth=1
	v_cmp_ne_u16_e32 vcc, s39, v38
	v_bfrev_b32_e32 v0, 1
	buffer_store_dword v0, off, s[0:3], s32 offset:224 ; 4-byte Folded Spill
	s_and_saveexec_b64 s[34:35], vcc
	s_cbranch_execz .LBB308_75
; %bb.72:                               ;   in Loop: Header=BB308_13 Depth=1
	v_and_b32_e32 v0, 0x7f, v38
	v_cmp_ne_u32_e32 vcc, s40, v0
	v_mov_b32_e32 v1, 0x7fc02000
	buffer_store_dword v1, off, s[0:3], s32 offset:224 ; 4-byte Folded Spill
	s_and_saveexec_b64 s[36:37], vcc
	s_cbranch_execz .LBB308_74
; %bb.73:                               ;   in Loop: Header=BB308_13 Depth=1
	v_and_b32_e32 v1, 7, v38
	v_ffbh_u32_e32 v2, v1
	v_min_u32_e32 v6, 32, v2
	v_subrev_u32_e32 v2, 28, v6
	v_lshlrev_b64 v[2:3], v2, v[38:39]
	v_lshrrev_b32_e32 v5, 3, v0
	v_sub_u32_e32 v3, 29, v6
	v_cmp_gt_u32_e32 vcc, 8, v0
	v_and_b32_e32 v2, 7, v2
	v_cndmask_b32_e32 v0, v5, v3, vcc
	v_mov_b32_e32 v3, 0x2000
	v_cndmask_b32_e32 v1, v1, v2, vcc
	v_lshlrev_b32_e32 v2, 8, v38
	v_lshl_add_u32 v0, v0, 10, v3
	v_and_or_b32 v0, v2, s41, v0
	v_lshl_or_b32 v0, v1, 7, v0
	v_cvt_f32_f16_e32 v0, v0
	buffer_store_dword v0, off, s[0:3], s32 offset:224 ; 4-byte Folded Spill
.LBB308_74:                             ;   in Loop: Header=BB308_13 Depth=1
	s_or_b64 exec, exec, s[36:37]
.LBB308_75:                             ;   in Loop: Header=BB308_13 Depth=1
	s_or_b64 exec, exec, s[34:35]
.LBB308_76:                             ;   in Loop: Header=BB308_13 Depth=1
	s_or_b64 exec, exec, s[30:31]
	v_lshrrev_b32_e32 v38, 16, v36
	v_mov_b32_e32 v0, 0
	v_cmp_ne_u16_sdwa vcc, v38, v41 src0_sel:BYTE_0 src1_sel:DWORD
	buffer_store_dword v0, off, s[0:3], s32 offset:216 ; 4-byte Folded Spill
	v_mov_b32_e32 v0, 0
	buffer_store_dword v0, off, s[0:3], s32 offset:220 ; 4-byte Folded Spill
	s_and_saveexec_b64 s[30:31], vcc
	s_cbranch_execz .LBB308_82
; %bb.77:                               ;   in Loop: Header=BB308_13 Depth=1
	v_cmp_ne_u16_sdwa vcc, v38, s39 src0_sel:BYTE_0 src1_sel:DWORD
	v_bfrev_b32_e32 v0, 1
	buffer_store_dword v0, off, s[0:3], s32 offset:220 ; 4-byte Folded Spill
	s_and_saveexec_b64 s[34:35], vcc
	s_cbranch_execz .LBB308_81
; %bb.78:                               ;   in Loop: Header=BB308_13 Depth=1
	v_bfe_u32 v0, v36, 16, 7
	v_cmp_ne_u32_e32 vcc, s40, v0
	v_mov_b32_e32 v1, 0x7fc02000
	buffer_store_dword v1, off, s[0:3], s32 offset:220 ; 4-byte Folded Spill
	s_and_saveexec_b64 s[36:37], vcc
	s_cbranch_execz .LBB308_80
; %bb.79:                               ;   in Loop: Header=BB308_13 Depth=1
	v_and_b32_e32 v1, 7, v38
	v_ffbh_u32_e32 v2, v1
	v_min_u32_e32 v6, 32, v2
	v_subrev_u32_e32 v2, 28, v6
	v_lshlrev_b64 v[2:3], v2, v[38:39]
	v_lshrrev_b32_e32 v5, 3, v0
	v_sub_u32_e32 v3, 29, v6
	v_cmp_gt_u32_e32 vcc, 8, v0
	v_and_b32_e32 v2, 7, v2
	v_cndmask_b32_e32 v0, v5, v3, vcc
	v_mov_b32_e32 v3, 0x2000
	v_cndmask_b32_e32 v1, v1, v2, vcc
	v_lshlrev_b32_e32 v2, 8, v38
	v_lshl_add_u32 v0, v0, 10, v3
	v_and_or_b32 v0, v2, s41, v0
	v_lshl_or_b32 v0, v1, 7, v0
	v_cvt_f32_f16_e32 v0, v0
	buffer_store_dword v0, off, s[0:3], s32 offset:220 ; 4-byte Folded Spill
.LBB308_80:                             ;   in Loop: Header=BB308_13 Depth=1
	s_or_b64 exec, exec, s[36:37]
.LBB308_81:                             ;   in Loop: Header=BB308_13 Depth=1
	s_or_b64 exec, exec, s[34:35]
.LBB308_82:                             ;   in Loop: Header=BB308_13 Depth=1
	s_or_b64 exec, exec, s[30:31]
	v_cmp_lt_u32_e32 vcc, s42, v36
	s_and_saveexec_b64 s[30:31], vcc
	s_cbranch_execz .LBB308_88
; %bb.83:                               ;   in Loop: Header=BB308_13 Depth=1
	v_lshrrev_b32_e32 v36, 24, v36
	v_cmp_ne_u32_e32 vcc, s39, v36
	v_bfrev_b32_e32 v0, 1
	buffer_store_dword v0, off, s[0:3], s32 offset:216 ; 4-byte Folded Spill
	s_and_saveexec_b64 s[34:35], vcc
	s_cbranch_execz .LBB308_87
; %bb.84:                               ;   in Loop: Header=BB308_13 Depth=1
	v_and_b32_e32 v0, 0x7f, v36
	v_cmp_ne_u32_e32 vcc, s40, v0
	v_mov_b32_e32 v1, 0x7fc02000
	buffer_store_dword v1, off, s[0:3], s32 offset:216 ; 4-byte Folded Spill
	s_and_saveexec_b64 s[36:37], vcc
	s_cbranch_execz .LBB308_86
; %bb.85:                               ;   in Loop: Header=BB308_13 Depth=1
	v_and_b32_e32 v1, 7, v36
	v_ffbh_u32_e32 v2, v1
	v_min_u32_e32 v6, 32, v2
	v_subrev_u32_e32 v2, 28, v6
	v_lshlrev_b64 v[2:3], v2, v[36:37]
	v_lshrrev_b32_e32 v5, 3, v0
	v_sub_u32_e32 v3, 29, v6
	v_cmp_gt_u32_e32 vcc, 8, v0
	v_and_b32_e32 v2, 7, v2
	v_cndmask_b32_e32 v0, v5, v3, vcc
	v_mov_b32_e32 v3, 0x2000
	v_cndmask_b32_e32 v1, v1, v2, vcc
	v_lshlrev_b32_e32 v2, 8, v36
	v_lshl_add_u32 v0, v0, 10, v3
	v_and_or_b32 v0, v2, s41, v0
	v_lshl_or_b32 v0, v1, 7, v0
	v_cvt_f32_f16_e32 v0, v0
	buffer_store_dword v0, off, s[0:3], s32 offset:216 ; 4-byte Folded Spill
.LBB308_86:                             ;   in Loop: Header=BB308_13 Depth=1
	s_or_b64 exec, exec, s[36:37]
.LBB308_87:                             ;   in Loop: Header=BB308_13 Depth=1
	s_or_b64 exec, exec, s[34:35]
.LBB308_88:                             ;   in Loop: Header=BB308_13 Depth=1
	s_or_b64 exec, exec, s[30:31]
	flat_load_dword v36, v[34:35] offset:520
	v_mov_b32_e32 v0, 0
	buffer_store_dword v0, off, s[0:3], s32 offset:228 ; 4-byte Folded Spill
	v_mov_b32_e32 v0, 0
	buffer_store_dword v0, off, s[0:3], s32 offset:240 ; 4-byte Folded Spill
	s_waitcnt vmcnt(0) lgkmcnt(0)
	v_cmp_ne_u16_sdwa vcc, v36, v41 src0_sel:BYTE_0 src1_sel:DWORD
	s_and_saveexec_b64 s[30:31], vcc
	s_cbranch_execz .LBB308_94
; %bb.89:                               ;   in Loop: Header=BB308_13 Depth=1
	v_cmp_ne_u16_sdwa vcc, v36, s39 src0_sel:BYTE_0 src1_sel:DWORD
	v_bfrev_b32_e32 v0, 1
	buffer_store_dword v0, off, s[0:3], s32 offset:240 ; 4-byte Folded Spill
	s_and_saveexec_b64 s[34:35], vcc
	s_cbranch_execz .LBB308_93
; %bb.90:                               ;   in Loop: Header=BB308_13 Depth=1
	v_and_b32_e32 v0, 0x7f, v36
	v_cmp_ne_u32_e32 vcc, s40, v0
	v_mov_b32_e32 v1, 0x7fc02000
	buffer_store_dword v1, off, s[0:3], s32 offset:240 ; 4-byte Folded Spill
	s_and_saveexec_b64 s[36:37], vcc
	s_cbranch_execz .LBB308_92
; %bb.91:                               ;   in Loop: Header=BB308_13 Depth=1
	v_and_b32_e32 v1, 7, v36
	v_ffbh_u32_e32 v2, v1
	v_min_u32_e32 v6, 32, v2
	v_subrev_u32_e32 v2, 28, v6
	v_lshlrev_b64 v[2:3], v2, v[36:37]
	v_lshrrev_b32_e32 v5, 3, v0
	v_sub_u32_e32 v3, 29, v6
	v_cmp_gt_u32_e32 vcc, 8, v0
	v_and_b32_e32 v2, 7, v2
	v_cndmask_b32_e32 v0, v5, v3, vcc
	v_mov_b32_e32 v3, 0x2000
	v_cndmask_b32_e32 v1, v1, v2, vcc
	v_lshlrev_b32_e32 v2, 8, v36
	v_lshl_add_u32 v0, v0, 10, v3
	v_and_or_b32 v0, v2, s41, v0
	v_lshl_or_b32 v0, v1, 7, v0
	v_cvt_f32_f16_e32 v0, v0
	buffer_store_dword v0, off, s[0:3], s32 offset:240 ; 4-byte Folded Spill
.LBB308_92:                             ;   in Loop: Header=BB308_13 Depth=1
	s_or_b64 exec, exec, s[36:37]
.LBB308_93:                             ;   in Loop: Header=BB308_13 Depth=1
	s_or_b64 exec, exec, s[34:35]
.LBB308_94:                             ;   in Loop: Header=BB308_13 Depth=1
	s_or_b64 exec, exec, s[30:31]
	v_lshrrev_b16_e32 v38, 8, v36
	v_cmp_ne_u16_e32 vcc, 0, v38
	s_and_saveexec_b64 s[30:31], vcc
	s_cbranch_execz .LBB308_100
; %bb.95:                               ;   in Loop: Header=BB308_13 Depth=1
	v_cmp_ne_u16_e32 vcc, s39, v38
	v_bfrev_b32_e32 v0, 1
	buffer_store_dword v0, off, s[0:3], s32 offset:228 ; 4-byte Folded Spill
	s_and_saveexec_b64 s[34:35], vcc
	s_cbranch_execz .LBB308_99
; %bb.96:                               ;   in Loop: Header=BB308_13 Depth=1
	v_and_b32_e32 v0, 0x7f, v38
	v_cmp_ne_u32_e32 vcc, s40, v0
	v_mov_b32_e32 v1, 0x7fc02000
	buffer_store_dword v1, off, s[0:3], s32 offset:228 ; 4-byte Folded Spill
	s_and_saveexec_b64 s[36:37], vcc
	s_cbranch_execz .LBB308_98
; %bb.97:                               ;   in Loop: Header=BB308_13 Depth=1
	v_and_b32_e32 v2, 7, v38
	v_lshrrev_b32_e32 v3, 3, v0
	v_cmp_gt_u32_e32 vcc, 8, v0
	v_ffbh_u32_e32 v0, v2
	v_min_u32_e32 v5, 32, v0
	v_subrev_u32_e32 v0, 28, v5
	v_lshlrev_b64 v[0:1], v0, v[38:39]
	v_sub_u32_e32 v1, 29, v5
	v_and_b32_e32 v0, 7, v0
	v_cndmask_b32_e32 v1, v3, v1, vcc
	v_mov_b32_e32 v3, 0x2000
	v_cndmask_b32_e32 v0, v2, v0, vcc
	v_lshlrev_b32_e32 v2, 8, v38
	v_lshl_add_u32 v1, v1, 10, v3
	v_and_or_b32 v1, v2, s41, v1
	v_lshl_or_b32 v0, v0, 7, v1
	v_cvt_f32_f16_e32 v0, v0
	buffer_store_dword v0, off, s[0:3], s32 offset:228 ; 4-byte Folded Spill
.LBB308_98:                             ;   in Loop: Header=BB308_13 Depth=1
	s_or_b64 exec, exec, s[36:37]
.LBB308_99:                             ;   in Loop: Header=BB308_13 Depth=1
	s_or_b64 exec, exec, s[34:35]
.LBB308_100:                            ;   in Loop: Header=BB308_13 Depth=1
	s_or_b64 exec, exec, s[30:31]
	v_lshrrev_b32_e32 v38, 16, v36
	v_mov_b32_e32 v0, 0
	v_cmp_ne_u16_sdwa vcc, v38, v41 src0_sel:BYTE_0 src1_sel:DWORD
	buffer_store_dword v0, off, s[0:3], s32 offset:232 ; 4-byte Folded Spill
	v_mov_b32_e32 v0, 0
	buffer_store_dword v0, off, s[0:3], s32 offset:236 ; 4-byte Folded Spill
	s_and_saveexec_b64 s[30:31], vcc
	s_cbranch_execz .LBB308_106
; %bb.101:                              ;   in Loop: Header=BB308_13 Depth=1
	v_cmp_ne_u16_sdwa vcc, v38, s39 src0_sel:BYTE_0 src1_sel:DWORD
	v_bfrev_b32_e32 v0, 1
	buffer_store_dword v0, off, s[0:3], s32 offset:236 ; 4-byte Folded Spill
	s_and_saveexec_b64 s[34:35], vcc
	s_cbranch_execz .LBB308_105
; %bb.102:                              ;   in Loop: Header=BB308_13 Depth=1
	v_bfe_u32 v0, v36, 16, 7
	v_cmp_ne_u32_e32 vcc, s40, v0
	v_mov_b32_e32 v1, 0x7fc02000
	buffer_store_dword v1, off, s[0:3], s32 offset:236 ; 4-byte Folded Spill
	s_and_saveexec_b64 s[36:37], vcc
	s_cbranch_execz .LBB308_104
; %bb.103:                              ;   in Loop: Header=BB308_13 Depth=1
	v_and_b32_e32 v1, 7, v38
	v_ffbh_u32_e32 v2, v1
	v_min_u32_e32 v6, 32, v2
	v_subrev_u32_e32 v2, 28, v6
	v_lshlrev_b64 v[2:3], v2, v[38:39]
	v_lshrrev_b32_e32 v5, 3, v0
	v_sub_u32_e32 v3, 29, v6
	v_cmp_gt_u32_e32 vcc, 8, v0
	v_and_b32_e32 v2, 7, v2
	v_cndmask_b32_e32 v0, v5, v3, vcc
	v_mov_b32_e32 v3, 0x2000
	v_cndmask_b32_e32 v1, v1, v2, vcc
	v_lshlrev_b32_e32 v2, 8, v38
	v_lshl_add_u32 v0, v0, 10, v3
	v_and_or_b32 v0, v2, s41, v0
	v_lshl_or_b32 v0, v1, 7, v0
	v_cvt_f32_f16_e32 v0, v0
	buffer_store_dword v0, off, s[0:3], s32 offset:236 ; 4-byte Folded Spill
.LBB308_104:                            ;   in Loop: Header=BB308_13 Depth=1
	s_or_b64 exec, exec, s[36:37]
.LBB308_105:                            ;   in Loop: Header=BB308_13 Depth=1
	s_or_b64 exec, exec, s[34:35]
.LBB308_106:                            ;   in Loop: Header=BB308_13 Depth=1
	s_or_b64 exec, exec, s[30:31]
	v_cmp_lt_u32_e32 vcc, s42, v36
	s_and_saveexec_b64 s[30:31], vcc
	s_cbranch_execz .LBB308_112
; %bb.107:                              ;   in Loop: Header=BB308_13 Depth=1
	v_lshrrev_b32_e32 v36, 24, v36
	v_cmp_ne_u32_e32 vcc, s39, v36
	v_bfrev_b32_e32 v0, 1
	buffer_store_dword v0, off, s[0:3], s32 offset:232 ; 4-byte Folded Spill
	s_and_saveexec_b64 s[34:35], vcc
	s_cbranch_execz .LBB308_111
; %bb.108:                              ;   in Loop: Header=BB308_13 Depth=1
	v_and_b32_e32 v0, 0x7f, v36
	v_cmp_ne_u32_e32 vcc, s40, v0
	v_mov_b32_e32 v1, 0x7fc02000
	buffer_store_dword v1, off, s[0:3], s32 offset:232 ; 4-byte Folded Spill
	s_and_saveexec_b64 s[36:37], vcc
	s_cbranch_execz .LBB308_110
; %bb.109:                              ;   in Loop: Header=BB308_13 Depth=1
	v_and_b32_e32 v1, 7, v36
	v_ffbh_u32_e32 v2, v1
	v_min_u32_e32 v6, 32, v2
	v_subrev_u32_e32 v2, 28, v6
	v_lshlrev_b64 v[2:3], v2, v[36:37]
	v_lshrrev_b32_e32 v5, 3, v0
	v_sub_u32_e32 v3, 29, v6
	v_cmp_gt_u32_e32 vcc, 8, v0
	v_and_b32_e32 v2, 7, v2
	v_cndmask_b32_e32 v0, v5, v3, vcc
	v_mov_b32_e32 v3, 0x2000
	v_cndmask_b32_e32 v1, v1, v2, vcc
	v_lshlrev_b32_e32 v2, 8, v36
	v_lshl_add_u32 v0, v0, 10, v3
	v_and_or_b32 v0, v2, s41, v0
	v_lshl_or_b32 v0, v1, 7, v0
	v_cvt_f32_f16_e32 v0, v0
	buffer_store_dword v0, off, s[0:3], s32 offset:232 ; 4-byte Folded Spill
.LBB308_110:                            ;   in Loop: Header=BB308_13 Depth=1
	s_or_b64 exec, exec, s[36:37]
.LBB308_111:                            ;   in Loop: Header=BB308_13 Depth=1
	s_or_b64 exec, exec, s[34:35]
.LBB308_112:                            ;   in Loop: Header=BB308_13 Depth=1
	s_or_b64 exec, exec, s[30:31]
	flat_load_dword v36, v[34:35] offset:1024
	v_mov_b32_e32 v0, 0
	buffer_store_dword v0, off, s[0:3], s32 offset:260 ; 4-byte Folded Spill
	v_mov_b32_e32 v0, 0
	buffer_store_dword v0, off, s[0:3], s32 offset:244 ; 4-byte Folded Spill
	s_waitcnt vmcnt(0) lgkmcnt(0)
	v_cmp_ne_u16_sdwa vcc, v36, v41 src0_sel:BYTE_0 src1_sel:DWORD
	s_and_saveexec_b64 s[30:31], vcc
	s_cbranch_execz .LBB308_118
; %bb.113:                              ;   in Loop: Header=BB308_13 Depth=1
	v_cmp_ne_u16_sdwa vcc, v36, s39 src0_sel:BYTE_0 src1_sel:DWORD
	v_bfrev_b32_e32 v0, 1
	buffer_store_dword v0, off, s[0:3], s32 offset:244 ; 4-byte Folded Spill
	s_and_saveexec_b64 s[34:35], vcc
	s_cbranch_execz .LBB308_117
; %bb.114:                              ;   in Loop: Header=BB308_13 Depth=1
	v_and_b32_e32 v0, 0x7f, v36
	v_cmp_ne_u32_e32 vcc, s40, v0
	v_mov_b32_e32 v1, 0x7fc02000
	buffer_store_dword v1, off, s[0:3], s32 offset:244 ; 4-byte Folded Spill
	s_and_saveexec_b64 s[36:37], vcc
	s_cbranch_execz .LBB308_116
; %bb.115:                              ;   in Loop: Header=BB308_13 Depth=1
	v_and_b32_e32 v1, 7, v36
	v_ffbh_u32_e32 v2, v1
	v_min_u32_e32 v6, 32, v2
	v_subrev_u32_e32 v2, 28, v6
	v_lshlrev_b64 v[2:3], v2, v[36:37]
	v_lshrrev_b32_e32 v5, 3, v0
	v_sub_u32_e32 v3, 29, v6
	v_cmp_gt_u32_e32 vcc, 8, v0
	v_and_b32_e32 v2, 7, v2
	v_cndmask_b32_e32 v0, v5, v3, vcc
	v_mov_b32_e32 v3, 0x2000
	v_cndmask_b32_e32 v1, v1, v2, vcc
	v_lshlrev_b32_e32 v2, 8, v36
	v_lshl_add_u32 v0, v0, 10, v3
	v_and_or_b32 v0, v2, s41, v0
	v_lshl_or_b32 v0, v1, 7, v0
	v_cvt_f32_f16_e32 v0, v0
	buffer_store_dword v0, off, s[0:3], s32 offset:244 ; 4-byte Folded Spill
.LBB308_116:                            ;   in Loop: Header=BB308_13 Depth=1
	s_or_b64 exec, exec, s[36:37]
.LBB308_117:                            ;   in Loop: Header=BB308_13 Depth=1
	s_or_b64 exec, exec, s[34:35]
.LBB308_118:                            ;   in Loop: Header=BB308_13 Depth=1
	s_or_b64 exec, exec, s[30:31]
	v_lshrrev_b16_e32 v38, 8, v36
	v_cmp_ne_u16_e32 vcc, 0, v38
	s_and_saveexec_b64 s[30:31], vcc
	s_cbranch_execz .LBB308_124
; %bb.119:                              ;   in Loop: Header=BB308_13 Depth=1
	v_cmp_ne_u16_e32 vcc, s39, v38
	v_bfrev_b32_e32 v0, 1
	buffer_store_dword v0, off, s[0:3], s32 offset:260 ; 4-byte Folded Spill
	s_and_saveexec_b64 s[34:35], vcc
	s_cbranch_execz .LBB308_123
; %bb.120:                              ;   in Loop: Header=BB308_13 Depth=1
	v_and_b32_e32 v0, 0x7f, v38
	v_cmp_ne_u32_e32 vcc, s40, v0
	v_mov_b32_e32 v1, 0x7fc02000
	buffer_store_dword v1, off, s[0:3], s32 offset:260 ; 4-byte Folded Spill
	s_and_saveexec_b64 s[36:37], vcc
	s_cbranch_execz .LBB308_122
; %bb.121:                              ;   in Loop: Header=BB308_13 Depth=1
	v_and_b32_e32 v1, 7, v38
	v_ffbh_u32_e32 v2, v1
	v_min_u32_e32 v6, 32, v2
	v_subrev_u32_e32 v2, 28, v6
	v_lshlrev_b64 v[2:3], v2, v[38:39]
	v_lshrrev_b32_e32 v5, 3, v0
	v_sub_u32_e32 v3, 29, v6
	v_cmp_gt_u32_e32 vcc, 8, v0
	v_and_b32_e32 v2, 7, v2
	v_cndmask_b32_e32 v0, v5, v3, vcc
	v_mov_b32_e32 v3, 0x2000
	v_cndmask_b32_e32 v1, v1, v2, vcc
	v_lshlrev_b32_e32 v2, 8, v38
	v_lshl_add_u32 v0, v0, 10, v3
	v_and_or_b32 v0, v2, s41, v0
	v_lshl_or_b32 v0, v1, 7, v0
	v_cvt_f32_f16_e32 v0, v0
	buffer_store_dword v0, off, s[0:3], s32 offset:260 ; 4-byte Folded Spill
.LBB308_122:                            ;   in Loop: Header=BB308_13 Depth=1
	s_or_b64 exec, exec, s[36:37]
.LBB308_123:                            ;   in Loop: Header=BB308_13 Depth=1
	s_or_b64 exec, exec, s[34:35]
.LBB308_124:                            ;   in Loop: Header=BB308_13 Depth=1
	s_or_b64 exec, exec, s[30:31]
	v_lshrrev_b32_e32 v38, 16, v36
	v_mov_b32_e32 v0, 0
	v_cmp_ne_u16_sdwa vcc, v38, v41 src0_sel:BYTE_0 src1_sel:DWORD
	buffer_store_dword v0, off, s[0:3], s32 offset:248 ; 4-byte Folded Spill
	v_mov_b32_e32 v0, 0
	buffer_store_dword v0, off, s[0:3], s32 offset:252 ; 4-byte Folded Spill
	s_and_saveexec_b64 s[30:31], vcc
	s_cbranch_execz .LBB308_130
; %bb.125:                              ;   in Loop: Header=BB308_13 Depth=1
	v_cmp_ne_u16_sdwa vcc, v38, s39 src0_sel:BYTE_0 src1_sel:DWORD
	v_bfrev_b32_e32 v0, 1
	buffer_store_dword v0, off, s[0:3], s32 offset:252 ; 4-byte Folded Spill
	s_and_saveexec_b64 s[34:35], vcc
	s_cbranch_execz .LBB308_129
; %bb.126:                              ;   in Loop: Header=BB308_13 Depth=1
	v_bfe_u32 v0, v36, 16, 7
	v_cmp_ne_u32_e32 vcc, s40, v0
	v_mov_b32_e32 v1, 0x7fc02000
	buffer_store_dword v1, off, s[0:3], s32 offset:252 ; 4-byte Folded Spill
	s_and_saveexec_b64 s[36:37], vcc
	s_cbranch_execz .LBB308_128
; %bb.127:                              ;   in Loop: Header=BB308_13 Depth=1
	v_and_b32_e32 v1, 7, v38
	v_ffbh_u32_e32 v2, v1
	v_min_u32_e32 v6, 32, v2
	v_subrev_u32_e32 v2, 28, v6
	v_lshlrev_b64 v[2:3], v2, v[38:39]
	v_lshrrev_b32_e32 v5, 3, v0
	v_sub_u32_e32 v3, 29, v6
	v_cmp_gt_u32_e32 vcc, 8, v0
	v_and_b32_e32 v2, 7, v2
	v_cndmask_b32_e32 v0, v5, v3, vcc
	v_mov_b32_e32 v3, 0x2000
	v_cndmask_b32_e32 v1, v1, v2, vcc
	v_lshlrev_b32_e32 v2, 8, v38
	v_lshl_add_u32 v0, v0, 10, v3
	v_and_or_b32 v0, v2, s41, v0
	v_lshl_or_b32 v0, v1, 7, v0
	v_cvt_f32_f16_e32 v0, v0
	buffer_store_dword v0, off, s[0:3], s32 offset:252 ; 4-byte Folded Spill
.LBB308_128:                            ;   in Loop: Header=BB308_13 Depth=1
	s_or_b64 exec, exec, s[36:37]
.LBB308_129:                            ;   in Loop: Header=BB308_13 Depth=1
	s_or_b64 exec, exec, s[34:35]
.LBB308_130:                            ;   in Loop: Header=BB308_13 Depth=1
	s_or_b64 exec, exec, s[30:31]
	v_cmp_lt_u32_e32 vcc, s42, v36
	s_and_saveexec_b64 s[30:31], vcc
	s_cbranch_execz .LBB308_136
; %bb.131:                              ;   in Loop: Header=BB308_13 Depth=1
	v_lshrrev_b32_e32 v36, 24, v36
	v_cmp_ne_u32_e32 vcc, s39, v36
	v_bfrev_b32_e32 v0, 1
	buffer_store_dword v0, off, s[0:3], s32 offset:248 ; 4-byte Folded Spill
	s_and_saveexec_b64 s[34:35], vcc
	s_cbranch_execz .LBB308_135
; %bb.132:                              ;   in Loop: Header=BB308_13 Depth=1
	v_and_b32_e32 v0, 0x7f, v36
	v_cmp_ne_u32_e32 vcc, s40, v0
	v_mov_b32_e32 v1, 0x7fc02000
	buffer_store_dword v1, off, s[0:3], s32 offset:248 ; 4-byte Folded Spill
	s_and_saveexec_b64 s[36:37], vcc
	s_cbranch_execz .LBB308_134
; %bb.133:                              ;   in Loop: Header=BB308_13 Depth=1
	v_and_b32_e32 v1, 7, v36
	v_ffbh_u32_e32 v2, v1
	v_min_u32_e32 v6, 32, v2
	v_subrev_u32_e32 v2, 28, v6
	v_lshlrev_b64 v[2:3], v2, v[36:37]
	v_lshrrev_b32_e32 v5, 3, v0
	v_sub_u32_e32 v3, 29, v6
	v_cmp_gt_u32_e32 vcc, 8, v0
	v_and_b32_e32 v2, 7, v2
	v_cndmask_b32_e32 v0, v5, v3, vcc
	v_mov_b32_e32 v3, 0x2000
	v_cndmask_b32_e32 v1, v1, v2, vcc
	v_lshlrev_b32_e32 v2, 8, v36
	v_lshl_add_u32 v0, v0, 10, v3
	v_and_or_b32 v0, v2, s41, v0
	v_lshl_or_b32 v0, v1, 7, v0
	v_cvt_f32_f16_e32 v0, v0
	buffer_store_dword v0, off, s[0:3], s32 offset:248 ; 4-byte Folded Spill
.LBB308_134:                            ;   in Loop: Header=BB308_13 Depth=1
	s_or_b64 exec, exec, s[36:37]
.LBB308_135:                            ;   in Loop: Header=BB308_13 Depth=1
	s_or_b64 exec, exec, s[34:35]
.LBB308_136:                            ;   in Loop: Header=BB308_13 Depth=1
	s_or_b64 exec, exec, s[30:31]
	flat_load_dword v36, v[34:35] offset:1032
	v_mov_b32_e32 v0, 0
	buffer_store_dword v0, off, s[0:3], s32 offset:272 ; 4-byte Folded Spill
	v_mov_b32_e32 v0, 0
	buffer_store_dword v0, off, s[0:3], s32 offset:276 ; 4-byte Folded Spill
	s_waitcnt vmcnt(0) lgkmcnt(0)
	v_cmp_ne_u16_sdwa vcc, v36, v41 src0_sel:BYTE_0 src1_sel:DWORD
	s_and_saveexec_b64 s[30:31], vcc
	s_cbranch_execz .LBB308_142
; %bb.137:                              ;   in Loop: Header=BB308_13 Depth=1
	v_cmp_ne_u16_sdwa vcc, v36, s39 src0_sel:BYTE_0 src1_sel:DWORD
	v_bfrev_b32_e32 v0, 1
	buffer_store_dword v0, off, s[0:3], s32 offset:276 ; 4-byte Folded Spill
	s_and_saveexec_b64 s[34:35], vcc
	s_cbranch_execz .LBB308_141
; %bb.138:                              ;   in Loop: Header=BB308_13 Depth=1
	v_and_b32_e32 v0, 0x7f, v36
	v_cmp_ne_u32_e32 vcc, s40, v0
	v_mov_b32_e32 v1, 0x7fc02000
	buffer_store_dword v1, off, s[0:3], s32 offset:276 ; 4-byte Folded Spill
	s_and_saveexec_b64 s[36:37], vcc
	s_cbranch_execz .LBB308_140
; %bb.139:                              ;   in Loop: Header=BB308_13 Depth=1
	v_and_b32_e32 v1, 7, v36
	v_ffbh_u32_e32 v2, v1
	v_min_u32_e32 v6, 32, v2
	v_subrev_u32_e32 v2, 28, v6
	v_lshlrev_b64 v[2:3], v2, v[36:37]
	v_lshrrev_b32_e32 v5, 3, v0
	v_sub_u32_e32 v3, 29, v6
	v_cmp_gt_u32_e32 vcc, 8, v0
	v_and_b32_e32 v2, 7, v2
	v_cndmask_b32_e32 v0, v5, v3, vcc
	v_mov_b32_e32 v3, 0x2000
	v_cndmask_b32_e32 v1, v1, v2, vcc
	v_lshlrev_b32_e32 v2, 8, v36
	v_lshl_add_u32 v0, v0, 10, v3
	v_and_or_b32 v0, v2, s41, v0
	v_lshl_or_b32 v0, v1, 7, v0
	v_cvt_f32_f16_e32 v0, v0
	buffer_store_dword v0, off, s[0:3], s32 offset:276 ; 4-byte Folded Spill
.LBB308_140:                            ;   in Loop: Header=BB308_13 Depth=1
	s_or_b64 exec, exec, s[36:37]
.LBB308_141:                            ;   in Loop: Header=BB308_13 Depth=1
	s_or_b64 exec, exec, s[34:35]
.LBB308_142:                            ;   in Loop: Header=BB308_13 Depth=1
	s_or_b64 exec, exec, s[30:31]
	v_lshrrev_b16_e32 v38, 8, v36
	v_cmp_ne_u16_e32 vcc, 0, v38
	s_and_saveexec_b64 s[30:31], vcc
	s_cbranch_execz .LBB308_148
; %bb.143:                              ;   in Loop: Header=BB308_13 Depth=1
	v_cmp_ne_u16_e32 vcc, s39, v38
	v_bfrev_b32_e32 v0, 1
	buffer_store_dword v0, off, s[0:3], s32 offset:272 ; 4-byte Folded Spill
	s_and_saveexec_b64 s[34:35], vcc
	s_cbranch_execz .LBB308_147
; %bb.144:                              ;   in Loop: Header=BB308_13 Depth=1
	v_and_b32_e32 v0, 0x7f, v38
	v_cmp_ne_u32_e32 vcc, s40, v0
	v_mov_b32_e32 v1, 0x7fc02000
	buffer_store_dword v1, off, s[0:3], s32 offset:272 ; 4-byte Folded Spill
	s_and_saveexec_b64 s[36:37], vcc
	s_cbranch_execz .LBB308_146
; %bb.145:                              ;   in Loop: Header=BB308_13 Depth=1
	v_and_b32_e32 v1, 7, v38
	v_ffbh_u32_e32 v2, v1
	v_min_u32_e32 v6, 32, v2
	v_subrev_u32_e32 v2, 28, v6
	v_lshlrev_b64 v[2:3], v2, v[38:39]
	v_lshrrev_b32_e32 v5, 3, v0
	v_sub_u32_e32 v3, 29, v6
	v_cmp_gt_u32_e32 vcc, 8, v0
	v_and_b32_e32 v2, 7, v2
	v_cndmask_b32_e32 v0, v5, v3, vcc
	v_mov_b32_e32 v3, 0x2000
	v_cndmask_b32_e32 v1, v1, v2, vcc
	v_lshlrev_b32_e32 v2, 8, v38
	v_lshl_add_u32 v0, v0, 10, v3
	v_and_or_b32 v0, v2, s41, v0
	v_lshl_or_b32 v0, v1, 7, v0
	v_cvt_f32_f16_e32 v0, v0
	buffer_store_dword v0, off, s[0:3], s32 offset:272 ; 4-byte Folded Spill
.LBB308_146:                            ;   in Loop: Header=BB308_13 Depth=1
	s_or_b64 exec, exec, s[36:37]
.LBB308_147:                            ;   in Loop: Header=BB308_13 Depth=1
	s_or_b64 exec, exec, s[34:35]
.LBB308_148:                            ;   in Loop: Header=BB308_13 Depth=1
	s_or_b64 exec, exec, s[30:31]
	v_lshrrev_b32_e32 v38, 16, v36
	v_mov_b32_e32 v0, 0
	v_cmp_ne_u16_sdwa vcc, v38, v41 src0_sel:BYTE_0 src1_sel:DWORD
	buffer_store_dword v0, off, s[0:3], s32 offset:264 ; 4-byte Folded Spill
	v_mov_b32_e32 v0, 0
	buffer_store_dword v0, off, s[0:3], s32 offset:268 ; 4-byte Folded Spill
	s_and_saveexec_b64 s[30:31], vcc
	s_cbranch_execz .LBB308_154
; %bb.149:                              ;   in Loop: Header=BB308_13 Depth=1
	v_cmp_ne_u16_sdwa vcc, v38, s39 src0_sel:BYTE_0 src1_sel:DWORD
	v_bfrev_b32_e32 v0, 1
	buffer_store_dword v0, off, s[0:3], s32 offset:268 ; 4-byte Folded Spill
	s_and_saveexec_b64 s[34:35], vcc
	s_cbranch_execz .LBB308_153
; %bb.150:                              ;   in Loop: Header=BB308_13 Depth=1
	v_bfe_u32 v0, v36, 16, 7
	v_cmp_ne_u32_e32 vcc, s40, v0
	v_mov_b32_e32 v1, 0x7fc02000
	buffer_store_dword v1, off, s[0:3], s32 offset:268 ; 4-byte Folded Spill
	s_and_saveexec_b64 s[36:37], vcc
	s_cbranch_execz .LBB308_152
; %bb.151:                              ;   in Loop: Header=BB308_13 Depth=1
	v_and_b32_e32 v1, 7, v38
	v_ffbh_u32_e32 v2, v1
	v_min_u32_e32 v6, 32, v2
	v_subrev_u32_e32 v2, 28, v6
	v_lshlrev_b64 v[2:3], v2, v[38:39]
	v_lshrrev_b32_e32 v5, 3, v0
	v_sub_u32_e32 v3, 29, v6
	v_cmp_gt_u32_e32 vcc, 8, v0
	v_and_b32_e32 v2, 7, v2
	v_cndmask_b32_e32 v0, v5, v3, vcc
	v_mov_b32_e32 v3, 0x2000
	v_cndmask_b32_e32 v1, v1, v2, vcc
	v_lshlrev_b32_e32 v2, 8, v38
	v_lshl_add_u32 v0, v0, 10, v3
	v_and_or_b32 v0, v2, s41, v0
	v_lshl_or_b32 v0, v1, 7, v0
	v_cvt_f32_f16_e32 v0, v0
	buffer_store_dword v0, off, s[0:3], s32 offset:268 ; 4-byte Folded Spill
.LBB308_152:                            ;   in Loop: Header=BB308_13 Depth=1
	s_or_b64 exec, exec, s[36:37]
.LBB308_153:                            ;   in Loop: Header=BB308_13 Depth=1
	s_or_b64 exec, exec, s[34:35]
.LBB308_154:                            ;   in Loop: Header=BB308_13 Depth=1
	s_or_b64 exec, exec, s[30:31]
	v_cmp_lt_u32_e32 vcc, s42, v36
	s_and_saveexec_b64 s[30:31], vcc
	s_cbranch_execz .LBB308_160
; %bb.155:                              ;   in Loop: Header=BB308_13 Depth=1
	v_lshrrev_b32_e32 v36, 24, v36
	v_cmp_ne_u32_e32 vcc, s39, v36
	v_bfrev_b32_e32 v0, 1
	buffer_store_dword v0, off, s[0:3], s32 offset:264 ; 4-byte Folded Spill
	s_and_saveexec_b64 s[34:35], vcc
	s_cbranch_execz .LBB308_159
; %bb.156:                              ;   in Loop: Header=BB308_13 Depth=1
	v_and_b32_e32 v0, 0x7f, v36
	v_cmp_ne_u32_e32 vcc, s40, v0
	v_mov_b32_e32 v1, 0x7fc02000
	buffer_store_dword v1, off, s[0:3], s32 offset:264 ; 4-byte Folded Spill
	s_and_saveexec_b64 s[36:37], vcc
	s_cbranch_execz .LBB308_158
; %bb.157:                              ;   in Loop: Header=BB308_13 Depth=1
	v_and_b32_e32 v1, 7, v36
	v_ffbh_u32_e32 v2, v1
	v_min_u32_e32 v6, 32, v2
	v_subrev_u32_e32 v2, 28, v6
	v_lshlrev_b64 v[2:3], v2, v[36:37]
	v_lshrrev_b32_e32 v5, 3, v0
	v_sub_u32_e32 v3, 29, v6
	v_cmp_gt_u32_e32 vcc, 8, v0
	v_and_b32_e32 v2, 7, v2
	v_cndmask_b32_e32 v0, v5, v3, vcc
	v_mov_b32_e32 v3, 0x2000
	v_cndmask_b32_e32 v1, v1, v2, vcc
	v_lshlrev_b32_e32 v2, 8, v36
	v_lshl_add_u32 v0, v0, 10, v3
	v_and_or_b32 v0, v2, s41, v0
	v_lshl_or_b32 v0, v1, 7, v0
	v_cvt_f32_f16_e32 v0, v0
	buffer_store_dword v0, off, s[0:3], s32 offset:264 ; 4-byte Folded Spill
.LBB308_158:                            ;   in Loop: Header=BB308_13 Depth=1
	s_or_b64 exec, exec, s[36:37]
.LBB308_159:                            ;   in Loop: Header=BB308_13 Depth=1
	s_or_b64 exec, exec, s[34:35]
.LBB308_160:                            ;   in Loop: Header=BB308_13 Depth=1
	s_or_b64 exec, exec, s[30:31]
	flat_load_dword v36, v[34:35] offset:1536
	v_mov_b32_e32 v0, 0
	buffer_store_dword v0, off, s[0:3], s32 offset:296 ; 4-byte Folded Spill
	v_mov_b32_e32 v0, 0
	buffer_store_dword v0, off, s[0:3], s32 offset:300 ; 4-byte Folded Spill
	s_waitcnt vmcnt(0) lgkmcnt(0)
	v_cmp_ne_u16_sdwa vcc, v36, v41 src0_sel:BYTE_0 src1_sel:DWORD
	s_and_saveexec_b64 s[30:31], vcc
	s_cbranch_execz .LBB308_166
; %bb.161:                              ;   in Loop: Header=BB308_13 Depth=1
	v_cmp_ne_u16_sdwa vcc, v36, s39 src0_sel:BYTE_0 src1_sel:DWORD
	v_bfrev_b32_e32 v0, 1
	buffer_store_dword v0, off, s[0:3], s32 offset:300 ; 4-byte Folded Spill
	s_and_saveexec_b64 s[34:35], vcc
	s_cbranch_execz .LBB308_165
; %bb.162:                              ;   in Loop: Header=BB308_13 Depth=1
	v_and_b32_e32 v0, 0x7f, v36
	v_cmp_ne_u32_e32 vcc, s40, v0
	v_mov_b32_e32 v1, 0x7fc02000
	buffer_store_dword v1, off, s[0:3], s32 offset:300 ; 4-byte Folded Spill
	s_and_saveexec_b64 s[36:37], vcc
	s_cbranch_execz .LBB308_164
; %bb.163:                              ;   in Loop: Header=BB308_13 Depth=1
	v_and_b32_e32 v1, 7, v36
	v_ffbh_u32_e32 v2, v1
	v_min_u32_e32 v6, 32, v2
	v_subrev_u32_e32 v2, 28, v6
	v_lshlrev_b64 v[2:3], v2, v[36:37]
	v_lshrrev_b32_e32 v5, 3, v0
	v_sub_u32_e32 v3, 29, v6
	v_cmp_gt_u32_e32 vcc, 8, v0
	v_and_b32_e32 v2, 7, v2
	v_cndmask_b32_e32 v0, v5, v3, vcc
	v_mov_b32_e32 v3, 0x2000
	v_cndmask_b32_e32 v1, v1, v2, vcc
	v_lshlrev_b32_e32 v2, 8, v36
	v_lshl_add_u32 v0, v0, 10, v3
	v_and_or_b32 v0, v2, s41, v0
	v_lshl_or_b32 v0, v1, 7, v0
	v_cvt_f32_f16_e32 v0, v0
	buffer_store_dword v0, off, s[0:3], s32 offset:300 ; 4-byte Folded Spill
.LBB308_164:                            ;   in Loop: Header=BB308_13 Depth=1
	s_or_b64 exec, exec, s[36:37]
.LBB308_165:                            ;   in Loop: Header=BB308_13 Depth=1
	s_or_b64 exec, exec, s[34:35]
.LBB308_166:                            ;   in Loop: Header=BB308_13 Depth=1
	s_or_b64 exec, exec, s[30:31]
	v_lshrrev_b16_e32 v38, 8, v36
	v_cmp_ne_u16_e32 vcc, 0, v38
	s_and_saveexec_b64 s[30:31], vcc
	s_cbranch_execz .LBB308_172
; %bb.167:                              ;   in Loop: Header=BB308_13 Depth=1
	v_cmp_ne_u16_e32 vcc, s39, v38
	v_bfrev_b32_e32 v0, 1
	buffer_store_dword v0, off, s[0:3], s32 offset:296 ; 4-byte Folded Spill
	s_and_saveexec_b64 s[34:35], vcc
	s_cbranch_execz .LBB308_171
; %bb.168:                              ;   in Loop: Header=BB308_13 Depth=1
	v_and_b32_e32 v0, 0x7f, v38
	v_cmp_ne_u32_e32 vcc, s40, v0
	v_mov_b32_e32 v1, 0x7fc02000
	buffer_store_dword v1, off, s[0:3], s32 offset:296 ; 4-byte Folded Spill
	s_and_saveexec_b64 s[36:37], vcc
	s_cbranch_execz .LBB308_170
; %bb.169:                              ;   in Loop: Header=BB308_13 Depth=1
	v_and_b32_e32 v1, 7, v38
	v_ffbh_u32_e32 v2, v1
	v_min_u32_e32 v6, 32, v2
	v_subrev_u32_e32 v2, 28, v6
	v_lshlrev_b64 v[2:3], v2, v[38:39]
	v_lshrrev_b32_e32 v5, 3, v0
	v_sub_u32_e32 v3, 29, v6
	v_cmp_gt_u32_e32 vcc, 8, v0
	v_and_b32_e32 v2, 7, v2
	v_cndmask_b32_e32 v0, v5, v3, vcc
	v_mov_b32_e32 v3, 0x2000
	v_cndmask_b32_e32 v1, v1, v2, vcc
	v_lshlrev_b32_e32 v2, 8, v38
	v_lshl_add_u32 v0, v0, 10, v3
	v_and_or_b32 v0, v2, s41, v0
	v_lshl_or_b32 v0, v1, 7, v0
	v_cvt_f32_f16_e32 v0, v0
	buffer_store_dword v0, off, s[0:3], s32 offset:296 ; 4-byte Folded Spill
.LBB308_170:                            ;   in Loop: Header=BB308_13 Depth=1
	s_or_b64 exec, exec, s[36:37]
.LBB308_171:                            ;   in Loop: Header=BB308_13 Depth=1
	s_or_b64 exec, exec, s[34:35]
.LBB308_172:                            ;   in Loop: Header=BB308_13 Depth=1
	s_or_b64 exec, exec, s[30:31]
	v_lshrrev_b32_e32 v38, 16, v36
	v_mov_b32_e32 v0, 0
	v_cmp_ne_u16_sdwa vcc, v38, v41 src0_sel:BYTE_0 src1_sel:DWORD
	buffer_store_dword v0, off, s[0:3], s32 offset:280 ; 4-byte Folded Spill
	v_mov_b32_e32 v0, 0
	buffer_store_dword v0, off, s[0:3], s32 offset:284 ; 4-byte Folded Spill
	s_and_saveexec_b64 s[30:31], vcc
	s_cbranch_execz .LBB308_178
; %bb.173:                              ;   in Loop: Header=BB308_13 Depth=1
	v_cmp_ne_u16_sdwa vcc, v38, s39 src0_sel:BYTE_0 src1_sel:DWORD
	v_bfrev_b32_e32 v0, 1
	buffer_store_dword v0, off, s[0:3], s32 offset:284 ; 4-byte Folded Spill
	s_and_saveexec_b64 s[34:35], vcc
	s_cbranch_execz .LBB308_177
; %bb.174:                              ;   in Loop: Header=BB308_13 Depth=1
	v_bfe_u32 v0, v36, 16, 7
	v_cmp_ne_u32_e32 vcc, s40, v0
	v_mov_b32_e32 v1, 0x7fc02000
	buffer_store_dword v1, off, s[0:3], s32 offset:284 ; 4-byte Folded Spill
	s_and_saveexec_b64 s[36:37], vcc
	s_cbranch_execz .LBB308_176
; %bb.175:                              ;   in Loop: Header=BB308_13 Depth=1
	v_and_b32_e32 v1, 7, v38
	v_ffbh_u32_e32 v2, v1
	v_min_u32_e32 v6, 32, v2
	v_subrev_u32_e32 v2, 28, v6
	v_lshlrev_b64 v[2:3], v2, v[38:39]
	v_lshrrev_b32_e32 v5, 3, v0
	v_sub_u32_e32 v3, 29, v6
	v_cmp_gt_u32_e32 vcc, 8, v0
	v_and_b32_e32 v2, 7, v2
	v_cndmask_b32_e32 v0, v5, v3, vcc
	v_mov_b32_e32 v3, 0x2000
	v_cndmask_b32_e32 v1, v1, v2, vcc
	v_lshlrev_b32_e32 v2, 8, v38
	v_lshl_add_u32 v0, v0, 10, v3
	v_and_or_b32 v0, v2, s41, v0
	v_lshl_or_b32 v0, v1, 7, v0
	v_cvt_f32_f16_e32 v0, v0
	buffer_store_dword v0, off, s[0:3], s32 offset:284 ; 4-byte Folded Spill
.LBB308_176:                            ;   in Loop: Header=BB308_13 Depth=1
	s_or_b64 exec, exec, s[36:37]
.LBB308_177:                            ;   in Loop: Header=BB308_13 Depth=1
	s_or_b64 exec, exec, s[34:35]
.LBB308_178:                            ;   in Loop: Header=BB308_13 Depth=1
	s_or_b64 exec, exec, s[30:31]
	v_cmp_lt_u32_e32 vcc, s42, v36
	s_and_saveexec_b64 s[30:31], vcc
	s_cbranch_execz .LBB308_184
; %bb.179:                              ;   in Loop: Header=BB308_13 Depth=1
	v_lshrrev_b32_e32 v36, 24, v36
	v_cmp_ne_u32_e32 vcc, s39, v36
	v_bfrev_b32_e32 v0, 1
	buffer_store_dword v0, off, s[0:3], s32 offset:280 ; 4-byte Folded Spill
	s_and_saveexec_b64 s[34:35], vcc
	s_cbranch_execz .LBB308_183
; %bb.180:                              ;   in Loop: Header=BB308_13 Depth=1
	v_and_b32_e32 v0, 0x7f, v36
	v_cmp_ne_u32_e32 vcc, s40, v0
	v_mov_b32_e32 v1, 0x7fc02000
	buffer_store_dword v1, off, s[0:3], s32 offset:280 ; 4-byte Folded Spill
	s_and_saveexec_b64 s[36:37], vcc
	s_cbranch_execz .LBB308_182
; %bb.181:                              ;   in Loop: Header=BB308_13 Depth=1
	v_and_b32_e32 v1, 7, v36
	v_ffbh_u32_e32 v2, v1
	v_min_u32_e32 v6, 32, v2
	v_subrev_u32_e32 v2, 28, v6
	v_lshlrev_b64 v[2:3], v2, v[36:37]
	v_lshrrev_b32_e32 v5, 3, v0
	v_sub_u32_e32 v3, 29, v6
	v_cmp_gt_u32_e32 vcc, 8, v0
	v_and_b32_e32 v2, 7, v2
	v_cndmask_b32_e32 v0, v5, v3, vcc
	v_mov_b32_e32 v3, 0x2000
	v_cndmask_b32_e32 v1, v1, v2, vcc
	v_lshlrev_b32_e32 v2, 8, v36
	v_lshl_add_u32 v0, v0, 10, v3
	v_and_or_b32 v0, v2, s41, v0
	v_lshl_or_b32 v0, v1, 7, v0
	v_cvt_f32_f16_e32 v0, v0
	buffer_store_dword v0, off, s[0:3], s32 offset:280 ; 4-byte Folded Spill
.LBB308_182:                            ;   in Loop: Header=BB308_13 Depth=1
	s_or_b64 exec, exec, s[36:37]
.LBB308_183:                            ;   in Loop: Header=BB308_13 Depth=1
	s_or_b64 exec, exec, s[34:35]
.LBB308_184:                            ;   in Loop: Header=BB308_13 Depth=1
	s_or_b64 exec, exec, s[30:31]
	flat_load_dword v36, v[34:35] offset:1544
	v_mov_b32_e32 v0, 0
	buffer_store_dword v0, off, s[0:3], s32 offset:308 ; 4-byte Folded Spill
	v_mov_b32_e32 v0, 0
	buffer_store_dword v0, off, s[0:3], s32 offset:304 ; 4-byte Folded Spill
	s_waitcnt vmcnt(0) lgkmcnt(0)
	v_cmp_ne_u16_sdwa vcc, v36, v41 src0_sel:BYTE_0 src1_sel:DWORD
	s_and_saveexec_b64 s[30:31], vcc
	s_cbranch_execz .LBB308_190
; %bb.185:                              ;   in Loop: Header=BB308_13 Depth=1
	v_cmp_ne_u16_sdwa vcc, v36, s39 src0_sel:BYTE_0 src1_sel:DWORD
	v_bfrev_b32_e32 v0, 1
	buffer_store_dword v0, off, s[0:3], s32 offset:304 ; 4-byte Folded Spill
	s_and_saveexec_b64 s[34:35], vcc
	s_cbranch_execz .LBB308_189
; %bb.186:                              ;   in Loop: Header=BB308_13 Depth=1
	v_and_b32_e32 v0, 0x7f, v36
	v_cmp_ne_u32_e32 vcc, s40, v0
	v_mov_b32_e32 v1, 0x7fc02000
	buffer_store_dword v1, off, s[0:3], s32 offset:304 ; 4-byte Folded Spill
	s_and_saveexec_b64 s[36:37], vcc
	s_cbranch_execz .LBB308_188
; %bb.187:                              ;   in Loop: Header=BB308_13 Depth=1
	v_and_b32_e32 v1, 7, v36
	v_ffbh_u32_e32 v2, v1
	v_min_u32_e32 v6, 32, v2
	v_subrev_u32_e32 v2, 28, v6
	v_lshlrev_b64 v[2:3], v2, v[36:37]
	v_lshrrev_b32_e32 v5, 3, v0
	v_sub_u32_e32 v3, 29, v6
	v_cmp_gt_u32_e32 vcc, 8, v0
	v_and_b32_e32 v2, 7, v2
	v_cndmask_b32_e32 v0, v5, v3, vcc
	v_mov_b32_e32 v3, 0x2000
	v_cndmask_b32_e32 v1, v1, v2, vcc
	v_lshlrev_b32_e32 v2, 8, v36
	v_lshl_add_u32 v0, v0, 10, v3
	v_and_or_b32 v0, v2, s41, v0
	v_lshl_or_b32 v0, v1, 7, v0
	v_cvt_f32_f16_e32 v0, v0
	buffer_store_dword v0, off, s[0:3], s32 offset:304 ; 4-byte Folded Spill
.LBB308_188:                            ;   in Loop: Header=BB308_13 Depth=1
	s_or_b64 exec, exec, s[36:37]
.LBB308_189:                            ;   in Loop: Header=BB308_13 Depth=1
	s_or_b64 exec, exec, s[34:35]
.LBB308_190:                            ;   in Loop: Header=BB308_13 Depth=1
	s_or_b64 exec, exec, s[30:31]
	v_lshrrev_b16_e32 v38, 8, v36
	v_cmp_ne_u16_e32 vcc, 0, v38
	s_and_saveexec_b64 s[30:31], vcc
	s_cbranch_execz .LBB308_196
; %bb.191:                              ;   in Loop: Header=BB308_13 Depth=1
	v_cmp_ne_u16_e32 vcc, s39, v38
	v_bfrev_b32_e32 v0, 1
	buffer_store_dword v0, off, s[0:3], s32 offset:308 ; 4-byte Folded Spill
	s_and_saveexec_b64 s[34:35], vcc
	s_cbranch_execz .LBB308_195
; %bb.192:                              ;   in Loop: Header=BB308_13 Depth=1
	v_and_b32_e32 v0, 0x7f, v38
	v_cmp_ne_u32_e32 vcc, s40, v0
	v_mov_b32_e32 v1, 0x7fc02000
	buffer_store_dword v1, off, s[0:3], s32 offset:308 ; 4-byte Folded Spill
	s_and_saveexec_b64 s[36:37], vcc
	s_cbranch_execz .LBB308_194
; %bb.193:                              ;   in Loop: Header=BB308_13 Depth=1
	v_and_b32_e32 v2, 7, v38
	v_lshrrev_b32_e32 v3, 3, v0
	v_cmp_gt_u32_e32 vcc, 8, v0
	v_ffbh_u32_e32 v0, v2
	v_min_u32_e32 v5, 32, v0
	v_subrev_u32_e32 v0, 28, v5
	v_lshlrev_b64 v[0:1], v0, v[38:39]
	v_sub_u32_e32 v1, 29, v5
	v_and_b32_e32 v0, 7, v0
	v_cndmask_b32_e32 v1, v3, v1, vcc
	v_mov_b32_e32 v3, 0x2000
	v_cndmask_b32_e32 v0, v2, v0, vcc
	v_lshlrev_b32_e32 v2, 8, v38
	v_lshl_add_u32 v1, v1, 10, v3
	v_and_or_b32 v1, v2, s41, v1
	v_lshl_or_b32 v0, v0, 7, v1
	v_cvt_f32_f16_e32 v0, v0
	buffer_store_dword v0, off, s[0:3], s32 offset:308 ; 4-byte Folded Spill
.LBB308_194:                            ;   in Loop: Header=BB308_13 Depth=1
	s_or_b64 exec, exec, s[36:37]
.LBB308_195:                            ;   in Loop: Header=BB308_13 Depth=1
	s_or_b64 exec, exec, s[34:35]
.LBB308_196:                            ;   in Loop: Header=BB308_13 Depth=1
	s_or_b64 exec, exec, s[30:31]
	v_lshrrev_b32_e32 v38, 16, v36
	v_mov_b32_e32 v0, 0
	v_cmp_ne_u16_sdwa vcc, v38, v41 src0_sel:BYTE_0 src1_sel:DWORD
	buffer_store_dword v0, off, s[0:3], s32 offset:312 ; 4-byte Folded Spill
	v_mov_b32_e32 v0, 0
	buffer_store_dword v0, off, s[0:3], s32 offset:316 ; 4-byte Folded Spill
	s_and_saveexec_b64 s[30:31], vcc
	s_cbranch_execz .LBB308_202
; %bb.197:                              ;   in Loop: Header=BB308_13 Depth=1
	v_cmp_ne_u16_sdwa vcc, v38, s39 src0_sel:BYTE_0 src1_sel:DWORD
	v_bfrev_b32_e32 v0, 1
	buffer_store_dword v0, off, s[0:3], s32 offset:316 ; 4-byte Folded Spill
	s_and_saveexec_b64 s[34:35], vcc
	s_cbranch_execz .LBB308_201
; %bb.198:                              ;   in Loop: Header=BB308_13 Depth=1
	v_bfe_u32 v0, v36, 16, 7
	v_cmp_ne_u32_e32 vcc, s40, v0
	v_mov_b32_e32 v1, 0x7fc02000
	buffer_store_dword v1, off, s[0:3], s32 offset:316 ; 4-byte Folded Spill
	s_and_saveexec_b64 s[36:37], vcc
	s_cbranch_execz .LBB308_200
; %bb.199:                              ;   in Loop: Header=BB308_13 Depth=1
	v_and_b32_e32 v1, 7, v38
	v_ffbh_u32_e32 v2, v1
	v_min_u32_e32 v6, 32, v2
	v_subrev_u32_e32 v2, 28, v6
	v_lshlrev_b64 v[2:3], v2, v[38:39]
	v_lshrrev_b32_e32 v5, 3, v0
	v_sub_u32_e32 v3, 29, v6
	v_cmp_gt_u32_e32 vcc, 8, v0
	v_and_b32_e32 v2, 7, v2
	v_cndmask_b32_e32 v0, v5, v3, vcc
	v_mov_b32_e32 v3, 0x2000
	v_cndmask_b32_e32 v1, v1, v2, vcc
	v_lshlrev_b32_e32 v2, 8, v38
	v_lshl_add_u32 v0, v0, 10, v3
	v_and_or_b32 v0, v2, s41, v0
	v_lshl_or_b32 v0, v1, 7, v0
	v_cvt_f32_f16_e32 v0, v0
	buffer_store_dword v0, off, s[0:3], s32 offset:316 ; 4-byte Folded Spill
.LBB308_200:                            ;   in Loop: Header=BB308_13 Depth=1
	s_or_b64 exec, exec, s[36:37]
.LBB308_201:                            ;   in Loop: Header=BB308_13 Depth=1
	s_or_b64 exec, exec, s[34:35]
.LBB308_202:                            ;   in Loop: Header=BB308_13 Depth=1
	s_or_b64 exec, exec, s[30:31]
	v_cmp_lt_u32_e32 vcc, s42, v36
	s_and_saveexec_b64 s[30:31], vcc
	s_cbranch_execz .LBB308_208
; %bb.203:                              ;   in Loop: Header=BB308_13 Depth=1
	v_lshrrev_b32_e32 v36, 24, v36
	v_cmp_ne_u32_e32 vcc, s39, v36
	v_bfrev_b32_e32 v0, 1
	buffer_store_dword v0, off, s[0:3], s32 offset:312 ; 4-byte Folded Spill
	s_and_saveexec_b64 s[34:35], vcc
	s_cbranch_execz .LBB308_207
; %bb.204:                              ;   in Loop: Header=BB308_13 Depth=1
	v_and_b32_e32 v0, 0x7f, v36
	v_cmp_ne_u32_e32 vcc, s40, v0
	v_mov_b32_e32 v1, 0x7fc02000
	buffer_store_dword v1, off, s[0:3], s32 offset:312 ; 4-byte Folded Spill
	s_and_saveexec_b64 s[36:37], vcc
	s_cbranch_execz .LBB308_206
; %bb.205:                              ;   in Loop: Header=BB308_13 Depth=1
	v_and_b32_e32 v1, 7, v36
	v_ffbh_u32_e32 v2, v1
	v_min_u32_e32 v6, 32, v2
	v_subrev_u32_e32 v2, 28, v6
	v_lshlrev_b64 v[2:3], v2, v[36:37]
	v_lshrrev_b32_e32 v5, 3, v0
	v_sub_u32_e32 v3, 29, v6
	v_cmp_gt_u32_e32 vcc, 8, v0
	v_and_b32_e32 v2, 7, v2
	v_cndmask_b32_e32 v0, v5, v3, vcc
	v_mov_b32_e32 v3, 0x2000
	v_cndmask_b32_e32 v1, v1, v2, vcc
	v_lshlrev_b32_e32 v2, 8, v36
	v_lshl_add_u32 v0, v0, 10, v3
	v_and_or_b32 v0, v2, s41, v0
	v_lshl_or_b32 v0, v1, 7, v0
	v_cvt_f32_f16_e32 v0, v0
	buffer_store_dword v0, off, s[0:3], s32 offset:312 ; 4-byte Folded Spill
.LBB308_206:                            ;   in Loop: Header=BB308_13 Depth=1
	s_or_b64 exec, exec, s[36:37]
.LBB308_207:                            ;   in Loop: Header=BB308_13 Depth=1
	s_or_b64 exec, exec, s[34:35]
.LBB308_208:                            ;   in Loop: Header=BB308_13 Depth=1
	s_or_b64 exec, exec, s[30:31]
	flat_load_dword v36, v[34:35] offset:2048
	v_mov_b32_e32 v0, 0
	buffer_store_dword v0, off, s[0:3], s32 offset:324 ; 4-byte Folded Spill
	v_mov_b32_e32 v0, 0
	buffer_store_dword v0, off, s[0:3], s32 offset:328 ; 4-byte Folded Spill
	s_waitcnt vmcnt(0) lgkmcnt(0)
	v_cmp_ne_u16_sdwa vcc, v36, v41 src0_sel:BYTE_0 src1_sel:DWORD
	s_and_saveexec_b64 s[30:31], vcc
	s_cbranch_execz .LBB308_214
; %bb.209:                              ;   in Loop: Header=BB308_13 Depth=1
	v_cmp_ne_u16_sdwa vcc, v36, s39 src0_sel:BYTE_0 src1_sel:DWORD
	v_bfrev_b32_e32 v0, 1
	buffer_store_dword v0, off, s[0:3], s32 offset:328 ; 4-byte Folded Spill
	s_and_saveexec_b64 s[34:35], vcc
	s_cbranch_execz .LBB308_213
; %bb.210:                              ;   in Loop: Header=BB308_13 Depth=1
	v_and_b32_e32 v0, 0x7f, v36
	v_cmp_ne_u32_e32 vcc, s40, v0
	v_mov_b32_e32 v1, 0x7fc02000
	buffer_store_dword v1, off, s[0:3], s32 offset:328 ; 4-byte Folded Spill
	s_and_saveexec_b64 s[36:37], vcc
	s_cbranch_execz .LBB308_212
; %bb.211:                              ;   in Loop: Header=BB308_13 Depth=1
	v_and_b32_e32 v1, 7, v36
	v_ffbh_u32_e32 v2, v1
	v_min_u32_e32 v6, 32, v2
	v_subrev_u32_e32 v2, 28, v6
	v_lshlrev_b64 v[2:3], v2, v[36:37]
	v_lshrrev_b32_e32 v5, 3, v0
	v_sub_u32_e32 v3, 29, v6
	v_cmp_gt_u32_e32 vcc, 8, v0
	v_and_b32_e32 v2, 7, v2
	v_cndmask_b32_e32 v0, v5, v3, vcc
	v_mov_b32_e32 v3, 0x2000
	v_cndmask_b32_e32 v1, v1, v2, vcc
	v_lshlrev_b32_e32 v2, 8, v36
	v_lshl_add_u32 v0, v0, 10, v3
	v_and_or_b32 v0, v2, s41, v0
	v_lshl_or_b32 v0, v1, 7, v0
	v_cvt_f32_f16_e32 v0, v0
	buffer_store_dword v0, off, s[0:3], s32 offset:328 ; 4-byte Folded Spill
.LBB308_212:                            ;   in Loop: Header=BB308_13 Depth=1
	s_or_b64 exec, exec, s[36:37]
.LBB308_213:                            ;   in Loop: Header=BB308_13 Depth=1
	s_or_b64 exec, exec, s[34:35]
.LBB308_214:                            ;   in Loop: Header=BB308_13 Depth=1
	s_or_b64 exec, exec, s[30:31]
	v_lshrrev_b16_e32 v38, 8, v36
	v_cmp_ne_u16_e32 vcc, 0, v38
	s_and_saveexec_b64 s[30:31], vcc
	s_cbranch_execz .LBB308_220
; %bb.215:                              ;   in Loop: Header=BB308_13 Depth=1
	v_cmp_ne_u16_e32 vcc, s39, v38
	v_bfrev_b32_e32 v0, 1
	buffer_store_dword v0, off, s[0:3], s32 offset:324 ; 4-byte Folded Spill
	s_and_saveexec_b64 s[34:35], vcc
	s_cbranch_execz .LBB308_219
; %bb.216:                              ;   in Loop: Header=BB308_13 Depth=1
	v_and_b32_e32 v0, 0x7f, v38
	v_cmp_ne_u32_e32 vcc, s40, v0
	v_mov_b32_e32 v1, 0x7fc02000
	buffer_store_dword v1, off, s[0:3], s32 offset:324 ; 4-byte Folded Spill
	s_and_saveexec_b64 s[36:37], vcc
	s_cbranch_execz .LBB308_218
; %bb.217:                              ;   in Loop: Header=BB308_13 Depth=1
	v_and_b32_e32 v1, 7, v38
	v_ffbh_u32_e32 v2, v1
	v_min_u32_e32 v6, 32, v2
	v_subrev_u32_e32 v2, 28, v6
	v_lshlrev_b64 v[2:3], v2, v[38:39]
	v_lshrrev_b32_e32 v5, 3, v0
	v_sub_u32_e32 v3, 29, v6
	v_cmp_gt_u32_e32 vcc, 8, v0
	v_and_b32_e32 v2, 7, v2
	v_cndmask_b32_e32 v0, v5, v3, vcc
	v_mov_b32_e32 v3, 0x2000
	v_cndmask_b32_e32 v1, v1, v2, vcc
	v_lshlrev_b32_e32 v2, 8, v38
	v_lshl_add_u32 v0, v0, 10, v3
	v_and_or_b32 v0, v2, s41, v0
	v_lshl_or_b32 v0, v1, 7, v0
	v_cvt_f32_f16_e32 v0, v0
	buffer_store_dword v0, off, s[0:3], s32 offset:324 ; 4-byte Folded Spill
.LBB308_218:                            ;   in Loop: Header=BB308_13 Depth=1
	s_or_b64 exec, exec, s[36:37]
.LBB308_219:                            ;   in Loop: Header=BB308_13 Depth=1
	s_or_b64 exec, exec, s[34:35]
.LBB308_220:                            ;   in Loop: Header=BB308_13 Depth=1
	s_or_b64 exec, exec, s[30:31]
	v_lshrrev_b32_e32 v38, 16, v36
	v_mov_b32_e32 v0, 0
	v_cmp_ne_u16_sdwa vcc, v38, v41 src0_sel:BYTE_0 src1_sel:DWORD
	buffer_store_dword v0, off, s[0:3], s32 offset:332 ; 4-byte Folded Spill
	v_mov_b32_e32 v0, 0
	buffer_store_dword v0, off, s[0:3], s32 offset:336 ; 4-byte Folded Spill
	s_and_saveexec_b64 s[30:31], vcc
	s_cbranch_execz .LBB308_226
; %bb.221:                              ;   in Loop: Header=BB308_13 Depth=1
	v_cmp_ne_u16_sdwa vcc, v38, s39 src0_sel:BYTE_0 src1_sel:DWORD
	v_bfrev_b32_e32 v0, 1
	buffer_store_dword v0, off, s[0:3], s32 offset:336 ; 4-byte Folded Spill
	s_and_saveexec_b64 s[34:35], vcc
	s_cbranch_execz .LBB308_225
; %bb.222:                              ;   in Loop: Header=BB308_13 Depth=1
	v_bfe_u32 v0, v36, 16, 7
	v_cmp_ne_u32_e32 vcc, s40, v0
	v_mov_b32_e32 v1, 0x7fc02000
	buffer_store_dword v1, off, s[0:3], s32 offset:336 ; 4-byte Folded Spill
	s_and_saveexec_b64 s[36:37], vcc
	s_cbranch_execz .LBB308_224
; %bb.223:                              ;   in Loop: Header=BB308_13 Depth=1
	v_and_b32_e32 v1, 7, v38
	v_ffbh_u32_e32 v2, v1
	v_min_u32_e32 v6, 32, v2
	v_subrev_u32_e32 v2, 28, v6
	v_lshlrev_b64 v[2:3], v2, v[38:39]
	v_lshrrev_b32_e32 v5, 3, v0
	v_sub_u32_e32 v3, 29, v6
	v_cmp_gt_u32_e32 vcc, 8, v0
	v_and_b32_e32 v2, 7, v2
	v_cndmask_b32_e32 v0, v5, v3, vcc
	v_mov_b32_e32 v3, 0x2000
	v_cndmask_b32_e32 v1, v1, v2, vcc
	v_lshlrev_b32_e32 v2, 8, v38
	v_lshl_add_u32 v0, v0, 10, v3
	v_and_or_b32 v0, v2, s41, v0
	v_lshl_or_b32 v0, v1, 7, v0
	v_cvt_f32_f16_e32 v0, v0
	buffer_store_dword v0, off, s[0:3], s32 offset:336 ; 4-byte Folded Spill
.LBB308_224:                            ;   in Loop: Header=BB308_13 Depth=1
	s_or_b64 exec, exec, s[36:37]
.LBB308_225:                            ;   in Loop: Header=BB308_13 Depth=1
	s_or_b64 exec, exec, s[34:35]
.LBB308_226:                            ;   in Loop: Header=BB308_13 Depth=1
	s_or_b64 exec, exec, s[30:31]
	v_cmp_lt_u32_e32 vcc, s42, v36
	s_and_saveexec_b64 s[30:31], vcc
	s_cbranch_execz .LBB308_232
; %bb.227:                              ;   in Loop: Header=BB308_13 Depth=1
	v_lshrrev_b32_e32 v36, 24, v36
	v_cmp_ne_u32_e32 vcc, s39, v36
	v_bfrev_b32_e32 v0, 1
	buffer_store_dword v0, off, s[0:3], s32 offset:332 ; 4-byte Folded Spill
	s_and_saveexec_b64 s[34:35], vcc
	s_cbranch_execz .LBB308_231
; %bb.228:                              ;   in Loop: Header=BB308_13 Depth=1
	v_and_b32_e32 v0, 0x7f, v36
	v_cmp_ne_u32_e32 vcc, s40, v0
	v_mov_b32_e32 v1, 0x7fc02000
	buffer_store_dword v1, off, s[0:3], s32 offset:332 ; 4-byte Folded Spill
	s_and_saveexec_b64 s[36:37], vcc
	s_cbranch_execz .LBB308_230
; %bb.229:                              ;   in Loop: Header=BB308_13 Depth=1
	v_and_b32_e32 v1, 7, v36
	v_ffbh_u32_e32 v2, v1
	v_min_u32_e32 v6, 32, v2
	v_subrev_u32_e32 v2, 28, v6
	v_lshlrev_b64 v[2:3], v2, v[36:37]
	v_lshrrev_b32_e32 v5, 3, v0
	v_sub_u32_e32 v3, 29, v6
	v_cmp_gt_u32_e32 vcc, 8, v0
	v_and_b32_e32 v2, 7, v2
	v_cndmask_b32_e32 v0, v5, v3, vcc
	v_mov_b32_e32 v3, 0x2000
	v_cndmask_b32_e32 v1, v1, v2, vcc
	v_lshlrev_b32_e32 v2, 8, v36
	v_lshl_add_u32 v0, v0, 10, v3
	v_and_or_b32 v0, v2, s41, v0
	v_lshl_or_b32 v0, v1, 7, v0
	v_cvt_f32_f16_e32 v0, v0
	buffer_store_dword v0, off, s[0:3], s32 offset:332 ; 4-byte Folded Spill
.LBB308_230:                            ;   in Loop: Header=BB308_13 Depth=1
	s_or_b64 exec, exec, s[36:37]
.LBB308_231:                            ;   in Loop: Header=BB308_13 Depth=1
	s_or_b64 exec, exec, s[34:35]
.LBB308_232:                            ;   in Loop: Header=BB308_13 Depth=1
	s_or_b64 exec, exec, s[30:31]
	flat_load_dword v36, v[34:35] offset:2056
	v_mov_b32_e32 v0, 0
	buffer_store_dword v0, off, s[0:3], s32 offset:340 ; 4-byte Folded Spill
	v_mov_b32_e32 v0, 0
	buffer_store_dword v0, off, s[0:3], s32 offset:344 ; 4-byte Folded Spill
	s_waitcnt vmcnt(0) lgkmcnt(0)
	v_cmp_ne_u16_sdwa vcc, v36, v41 src0_sel:BYTE_0 src1_sel:DWORD
	s_and_saveexec_b64 s[30:31], vcc
	s_cbranch_execz .LBB308_238
; %bb.233:                              ;   in Loop: Header=BB308_13 Depth=1
	v_cmp_ne_u16_sdwa vcc, v36, s39 src0_sel:BYTE_0 src1_sel:DWORD
	v_bfrev_b32_e32 v0, 1
	buffer_store_dword v0, off, s[0:3], s32 offset:344 ; 4-byte Folded Spill
	s_and_saveexec_b64 s[34:35], vcc
	s_cbranch_execz .LBB308_237
; %bb.234:                              ;   in Loop: Header=BB308_13 Depth=1
	v_and_b32_e32 v0, 0x7f, v36
	v_cmp_ne_u32_e32 vcc, s40, v0
	v_mov_b32_e32 v1, 0x7fc02000
	buffer_store_dword v1, off, s[0:3], s32 offset:344 ; 4-byte Folded Spill
	s_and_saveexec_b64 s[36:37], vcc
	s_cbranch_execz .LBB308_236
; %bb.235:                              ;   in Loop: Header=BB308_13 Depth=1
	v_and_b32_e32 v1, 7, v36
	v_ffbh_u32_e32 v2, v1
	v_min_u32_e32 v6, 32, v2
	v_subrev_u32_e32 v2, 28, v6
	v_lshlrev_b64 v[2:3], v2, v[36:37]
	v_lshrrev_b32_e32 v5, 3, v0
	v_sub_u32_e32 v3, 29, v6
	v_cmp_gt_u32_e32 vcc, 8, v0
	v_and_b32_e32 v2, 7, v2
	v_cndmask_b32_e32 v0, v5, v3, vcc
	v_mov_b32_e32 v3, 0x2000
	v_cndmask_b32_e32 v1, v1, v2, vcc
	v_lshlrev_b32_e32 v2, 8, v36
	v_lshl_add_u32 v0, v0, 10, v3
	v_and_or_b32 v0, v2, s41, v0
	v_lshl_or_b32 v0, v1, 7, v0
	v_cvt_f32_f16_e32 v0, v0
	buffer_store_dword v0, off, s[0:3], s32 offset:344 ; 4-byte Folded Spill
.LBB308_236:                            ;   in Loop: Header=BB308_13 Depth=1
	s_or_b64 exec, exec, s[36:37]
.LBB308_237:                            ;   in Loop: Header=BB308_13 Depth=1
	s_or_b64 exec, exec, s[34:35]
.LBB308_238:                            ;   in Loop: Header=BB308_13 Depth=1
	s_or_b64 exec, exec, s[30:31]
	v_lshrrev_b16_e32 v38, 8, v36
	v_cmp_ne_u16_e32 vcc, 0, v38
	s_and_saveexec_b64 s[30:31], vcc
	s_cbranch_execz .LBB308_244
; %bb.239:                              ;   in Loop: Header=BB308_13 Depth=1
	v_cmp_ne_u16_e32 vcc, s39, v38
	v_bfrev_b32_e32 v0, 1
	buffer_store_dword v0, off, s[0:3], s32 offset:340 ; 4-byte Folded Spill
	s_and_saveexec_b64 s[34:35], vcc
	s_cbranch_execz .LBB308_243
; %bb.240:                              ;   in Loop: Header=BB308_13 Depth=1
	v_and_b32_e32 v0, 0x7f, v38
	v_cmp_ne_u32_e32 vcc, s40, v0
	v_mov_b32_e32 v1, 0x7fc02000
	buffer_store_dword v1, off, s[0:3], s32 offset:340 ; 4-byte Folded Spill
	s_and_saveexec_b64 s[36:37], vcc
	s_cbranch_execz .LBB308_242
; %bb.241:                              ;   in Loop: Header=BB308_13 Depth=1
	v_and_b32_e32 v1, 7, v38
	v_ffbh_u32_e32 v2, v1
	v_min_u32_e32 v6, 32, v2
	v_subrev_u32_e32 v2, 28, v6
	v_lshlrev_b64 v[2:3], v2, v[38:39]
	v_lshrrev_b32_e32 v5, 3, v0
	v_sub_u32_e32 v3, 29, v6
	v_cmp_gt_u32_e32 vcc, 8, v0
	v_and_b32_e32 v2, 7, v2
	v_cndmask_b32_e32 v0, v5, v3, vcc
	v_mov_b32_e32 v3, 0x2000
	v_cndmask_b32_e32 v1, v1, v2, vcc
	v_lshlrev_b32_e32 v2, 8, v38
	v_lshl_add_u32 v0, v0, 10, v3
	v_and_or_b32 v0, v2, s41, v0
	v_lshl_or_b32 v0, v1, 7, v0
	v_cvt_f32_f16_e32 v0, v0
	buffer_store_dword v0, off, s[0:3], s32 offset:340 ; 4-byte Folded Spill
.LBB308_242:                            ;   in Loop: Header=BB308_13 Depth=1
	s_or_b64 exec, exec, s[36:37]
.LBB308_243:                            ;   in Loop: Header=BB308_13 Depth=1
	s_or_b64 exec, exec, s[34:35]
.LBB308_244:                            ;   in Loop: Header=BB308_13 Depth=1
	s_or_b64 exec, exec, s[30:31]
	v_lshrrev_b32_e32 v38, 16, v36
	v_mov_b32_e32 v0, 0
	v_cmp_ne_u16_sdwa vcc, v38, v41 src0_sel:BYTE_0 src1_sel:DWORD
	buffer_store_dword v0, off, s[0:3], s32 offset:348 ; 4-byte Folded Spill
	v_mov_b32_e32 v0, 0
	buffer_store_dword v0, off, s[0:3], s32 offset:352 ; 4-byte Folded Spill
	s_and_saveexec_b64 s[30:31], vcc
	s_cbranch_execz .LBB308_250
; %bb.245:                              ;   in Loop: Header=BB308_13 Depth=1
	v_cmp_ne_u16_sdwa vcc, v38, s39 src0_sel:BYTE_0 src1_sel:DWORD
	v_bfrev_b32_e32 v0, 1
	buffer_store_dword v0, off, s[0:3], s32 offset:352 ; 4-byte Folded Spill
	s_and_saveexec_b64 s[34:35], vcc
	s_cbranch_execz .LBB308_249
; %bb.246:                              ;   in Loop: Header=BB308_13 Depth=1
	v_bfe_u32 v0, v36, 16, 7
	v_cmp_ne_u32_e32 vcc, s40, v0
	v_mov_b32_e32 v1, 0x7fc02000
	buffer_store_dword v1, off, s[0:3], s32 offset:352 ; 4-byte Folded Spill
	s_and_saveexec_b64 s[36:37], vcc
	s_cbranch_execz .LBB308_248
; %bb.247:                              ;   in Loop: Header=BB308_13 Depth=1
	v_and_b32_e32 v1, 7, v38
	v_ffbh_u32_e32 v2, v1
	v_min_u32_e32 v6, 32, v2
	v_subrev_u32_e32 v2, 28, v6
	v_lshlrev_b64 v[2:3], v2, v[38:39]
	v_lshrrev_b32_e32 v5, 3, v0
	v_sub_u32_e32 v3, 29, v6
	v_cmp_gt_u32_e32 vcc, 8, v0
	v_and_b32_e32 v2, 7, v2
	v_cndmask_b32_e32 v0, v5, v3, vcc
	v_mov_b32_e32 v3, 0x2000
	v_cndmask_b32_e32 v1, v1, v2, vcc
	v_lshlrev_b32_e32 v2, 8, v38
	v_lshl_add_u32 v0, v0, 10, v3
	v_and_or_b32 v0, v2, s41, v0
	v_lshl_or_b32 v0, v1, 7, v0
	v_cvt_f32_f16_e32 v0, v0
	buffer_store_dword v0, off, s[0:3], s32 offset:352 ; 4-byte Folded Spill
.LBB308_248:                            ;   in Loop: Header=BB308_13 Depth=1
	s_or_b64 exec, exec, s[36:37]
.LBB308_249:                            ;   in Loop: Header=BB308_13 Depth=1
	s_or_b64 exec, exec, s[34:35]
.LBB308_250:                            ;   in Loop: Header=BB308_13 Depth=1
	s_or_b64 exec, exec, s[30:31]
	v_cmp_lt_u32_e32 vcc, s42, v36
	s_and_saveexec_b64 s[30:31], vcc
	s_cbranch_execz .LBB308_256
; %bb.251:                              ;   in Loop: Header=BB308_13 Depth=1
	v_lshrrev_b32_e32 v36, 24, v36
	v_cmp_ne_u32_e32 vcc, s39, v36
	v_bfrev_b32_e32 v0, 1
	buffer_store_dword v0, off, s[0:3], s32 offset:348 ; 4-byte Folded Spill
	s_and_saveexec_b64 s[34:35], vcc
	s_cbranch_execz .LBB308_255
; %bb.252:                              ;   in Loop: Header=BB308_13 Depth=1
	v_and_b32_e32 v0, 0x7f, v36
	v_cmp_ne_u32_e32 vcc, s40, v0
	v_mov_b32_e32 v1, 0x7fc02000
	buffer_store_dword v1, off, s[0:3], s32 offset:348 ; 4-byte Folded Spill
	s_and_saveexec_b64 s[36:37], vcc
	s_cbranch_execz .LBB308_254
; %bb.253:                              ;   in Loop: Header=BB308_13 Depth=1
	v_and_b32_e32 v1, 7, v36
	v_ffbh_u32_e32 v2, v1
	v_min_u32_e32 v6, 32, v2
	v_subrev_u32_e32 v2, 28, v6
	v_lshlrev_b64 v[2:3], v2, v[36:37]
	v_lshrrev_b32_e32 v5, 3, v0
	v_sub_u32_e32 v3, 29, v6
	v_cmp_gt_u32_e32 vcc, 8, v0
	v_and_b32_e32 v2, 7, v2
	v_cndmask_b32_e32 v0, v5, v3, vcc
	v_mov_b32_e32 v3, 0x2000
	v_cndmask_b32_e32 v1, v1, v2, vcc
	v_lshlrev_b32_e32 v2, 8, v36
	v_lshl_add_u32 v0, v0, 10, v3
	v_and_or_b32 v0, v2, s41, v0
	v_lshl_or_b32 v0, v1, 7, v0
	v_cvt_f32_f16_e32 v0, v0
	buffer_store_dword v0, off, s[0:3], s32 offset:348 ; 4-byte Folded Spill
.LBB308_254:                            ;   in Loop: Header=BB308_13 Depth=1
	s_or_b64 exec, exec, s[36:37]
.LBB308_255:                            ;   in Loop: Header=BB308_13 Depth=1
	s_or_b64 exec, exec, s[34:35]
.LBB308_256:                            ;   in Loop: Header=BB308_13 Depth=1
	s_or_b64 exec, exec, s[30:31]
	flat_load_dword v36, v[34:35] offset:2560
	v_mov_b32_e32 v0, 0
	buffer_store_dword v0, off, s[0:3], s32 offset:356 ; 4-byte Folded Spill
	v_mov_b32_e32 v0, 0
	buffer_store_dword v0, off, s[0:3], s32 offset:360 ; 4-byte Folded Spill
	s_waitcnt vmcnt(0) lgkmcnt(0)
	v_cmp_ne_u16_sdwa vcc, v36, v41 src0_sel:BYTE_0 src1_sel:DWORD
	s_and_saveexec_b64 s[30:31], vcc
	s_cbranch_execz .LBB308_262
; %bb.257:                              ;   in Loop: Header=BB308_13 Depth=1
	v_cmp_ne_u16_sdwa vcc, v36, s39 src0_sel:BYTE_0 src1_sel:DWORD
	v_bfrev_b32_e32 v0, 1
	buffer_store_dword v0, off, s[0:3], s32 offset:360 ; 4-byte Folded Spill
	s_and_saveexec_b64 s[34:35], vcc
	s_cbranch_execz .LBB308_261
; %bb.258:                              ;   in Loop: Header=BB308_13 Depth=1
	v_and_b32_e32 v0, 0x7f, v36
	v_cmp_ne_u32_e32 vcc, s40, v0
	v_mov_b32_e32 v1, 0x7fc02000
	buffer_store_dword v1, off, s[0:3], s32 offset:360 ; 4-byte Folded Spill
	s_and_saveexec_b64 s[36:37], vcc
	s_cbranch_execz .LBB308_260
; %bb.259:                              ;   in Loop: Header=BB308_13 Depth=1
	v_and_b32_e32 v1, 7, v36
	v_ffbh_u32_e32 v2, v1
	v_min_u32_e32 v6, 32, v2
	v_subrev_u32_e32 v2, 28, v6
	v_lshlrev_b64 v[2:3], v2, v[36:37]
	v_lshrrev_b32_e32 v5, 3, v0
	v_sub_u32_e32 v3, 29, v6
	v_cmp_gt_u32_e32 vcc, 8, v0
	v_and_b32_e32 v2, 7, v2
	v_cndmask_b32_e32 v0, v5, v3, vcc
	v_mov_b32_e32 v3, 0x2000
	v_cndmask_b32_e32 v1, v1, v2, vcc
	v_lshlrev_b32_e32 v2, 8, v36
	v_lshl_add_u32 v0, v0, 10, v3
	v_and_or_b32 v0, v2, s41, v0
	v_lshl_or_b32 v0, v1, 7, v0
	v_cvt_f32_f16_e32 v0, v0
	buffer_store_dword v0, off, s[0:3], s32 offset:360 ; 4-byte Folded Spill
.LBB308_260:                            ;   in Loop: Header=BB308_13 Depth=1
	s_or_b64 exec, exec, s[36:37]
.LBB308_261:                            ;   in Loop: Header=BB308_13 Depth=1
	s_or_b64 exec, exec, s[34:35]
.LBB308_262:                            ;   in Loop: Header=BB308_13 Depth=1
	s_or_b64 exec, exec, s[30:31]
	v_lshrrev_b16_e32 v38, 8, v36
	v_cmp_ne_u16_e32 vcc, 0, v38
	s_and_saveexec_b64 s[30:31], vcc
	s_cbranch_execz .LBB308_268
; %bb.263:                              ;   in Loop: Header=BB308_13 Depth=1
	v_cmp_ne_u16_e32 vcc, s39, v38
	v_bfrev_b32_e32 v0, 1
	buffer_store_dword v0, off, s[0:3], s32 offset:356 ; 4-byte Folded Spill
	s_and_saveexec_b64 s[34:35], vcc
	s_cbranch_execz .LBB308_267
; %bb.264:                              ;   in Loop: Header=BB308_13 Depth=1
	v_and_b32_e32 v0, 0x7f, v38
	v_cmp_ne_u32_e32 vcc, s40, v0
	v_mov_b32_e32 v1, 0x7fc02000
	buffer_store_dword v1, off, s[0:3], s32 offset:356 ; 4-byte Folded Spill
	s_and_saveexec_b64 s[36:37], vcc
	s_cbranch_execz .LBB308_266
; %bb.265:                              ;   in Loop: Header=BB308_13 Depth=1
	v_and_b32_e32 v1, 7, v38
	v_ffbh_u32_e32 v2, v1
	v_min_u32_e32 v6, 32, v2
	v_subrev_u32_e32 v2, 28, v6
	v_lshlrev_b64 v[2:3], v2, v[38:39]
	v_lshrrev_b32_e32 v5, 3, v0
	v_sub_u32_e32 v3, 29, v6
	v_cmp_gt_u32_e32 vcc, 8, v0
	v_and_b32_e32 v2, 7, v2
	v_cndmask_b32_e32 v0, v5, v3, vcc
	v_mov_b32_e32 v3, 0x2000
	v_cndmask_b32_e32 v1, v1, v2, vcc
	v_lshlrev_b32_e32 v2, 8, v38
	v_lshl_add_u32 v0, v0, 10, v3
	v_and_or_b32 v0, v2, s41, v0
	v_lshl_or_b32 v0, v1, 7, v0
	v_cvt_f32_f16_e32 v0, v0
	buffer_store_dword v0, off, s[0:3], s32 offset:356 ; 4-byte Folded Spill
.LBB308_266:                            ;   in Loop: Header=BB308_13 Depth=1
	s_or_b64 exec, exec, s[36:37]
.LBB308_267:                            ;   in Loop: Header=BB308_13 Depth=1
	s_or_b64 exec, exec, s[34:35]
.LBB308_268:                            ;   in Loop: Header=BB308_13 Depth=1
	s_or_b64 exec, exec, s[30:31]
	v_lshrrev_b32_e32 v38, 16, v36
	v_mov_b32_e32 v0, 0
	v_cmp_ne_u16_sdwa vcc, v38, v41 src0_sel:BYTE_0 src1_sel:DWORD
	buffer_store_dword v0, off, s[0:3], s32 offset:364 ; 4-byte Folded Spill
	v_mov_b32_e32 v0, 0
	buffer_store_dword v0, off, s[0:3], s32 offset:368 ; 4-byte Folded Spill
	s_and_saveexec_b64 s[30:31], vcc
	s_cbranch_execz .LBB308_274
; %bb.269:                              ;   in Loop: Header=BB308_13 Depth=1
	v_cmp_ne_u16_sdwa vcc, v38, s39 src0_sel:BYTE_0 src1_sel:DWORD
	v_bfrev_b32_e32 v0, 1
	buffer_store_dword v0, off, s[0:3], s32 offset:368 ; 4-byte Folded Spill
	s_and_saveexec_b64 s[34:35], vcc
	s_cbranch_execz .LBB308_273
; %bb.270:                              ;   in Loop: Header=BB308_13 Depth=1
	v_bfe_u32 v0, v36, 16, 7
	v_cmp_ne_u32_e32 vcc, s40, v0
	v_mov_b32_e32 v1, 0x7fc02000
	buffer_store_dword v1, off, s[0:3], s32 offset:368 ; 4-byte Folded Spill
	s_and_saveexec_b64 s[36:37], vcc
	s_cbranch_execz .LBB308_272
; %bb.271:                              ;   in Loop: Header=BB308_13 Depth=1
	v_and_b32_e32 v1, 7, v38
	v_ffbh_u32_e32 v2, v1
	v_min_u32_e32 v6, 32, v2
	v_subrev_u32_e32 v2, 28, v6
	v_lshlrev_b64 v[2:3], v2, v[38:39]
	v_lshrrev_b32_e32 v5, 3, v0
	v_sub_u32_e32 v3, 29, v6
	v_cmp_gt_u32_e32 vcc, 8, v0
	v_and_b32_e32 v2, 7, v2
	v_cndmask_b32_e32 v0, v5, v3, vcc
	v_mov_b32_e32 v3, 0x2000
	v_cndmask_b32_e32 v1, v1, v2, vcc
	v_lshlrev_b32_e32 v2, 8, v38
	v_lshl_add_u32 v0, v0, 10, v3
	v_and_or_b32 v0, v2, s41, v0
	v_lshl_or_b32 v0, v1, 7, v0
	v_cvt_f32_f16_e32 v0, v0
	buffer_store_dword v0, off, s[0:3], s32 offset:368 ; 4-byte Folded Spill
.LBB308_272:                            ;   in Loop: Header=BB308_13 Depth=1
	s_or_b64 exec, exec, s[36:37]
.LBB308_273:                            ;   in Loop: Header=BB308_13 Depth=1
	s_or_b64 exec, exec, s[34:35]
.LBB308_274:                            ;   in Loop: Header=BB308_13 Depth=1
	s_or_b64 exec, exec, s[30:31]
	v_cmp_lt_u32_e32 vcc, s42, v36
	s_and_saveexec_b64 s[30:31], vcc
	s_cbranch_execz .LBB308_280
; %bb.275:                              ;   in Loop: Header=BB308_13 Depth=1
	v_lshrrev_b32_e32 v36, 24, v36
	v_cmp_ne_u32_e32 vcc, s39, v36
	v_bfrev_b32_e32 v0, 1
	buffer_store_dword v0, off, s[0:3], s32 offset:364 ; 4-byte Folded Spill
	s_and_saveexec_b64 s[34:35], vcc
	s_cbranch_execz .LBB308_279
; %bb.276:                              ;   in Loop: Header=BB308_13 Depth=1
	v_and_b32_e32 v0, 0x7f, v36
	v_cmp_ne_u32_e32 vcc, s40, v0
	v_mov_b32_e32 v1, 0x7fc02000
	buffer_store_dword v1, off, s[0:3], s32 offset:364 ; 4-byte Folded Spill
	s_and_saveexec_b64 s[36:37], vcc
	s_cbranch_execz .LBB308_278
; %bb.277:                              ;   in Loop: Header=BB308_13 Depth=1
	v_and_b32_e32 v1, 7, v36
	v_ffbh_u32_e32 v2, v1
	v_min_u32_e32 v6, 32, v2
	v_subrev_u32_e32 v2, 28, v6
	v_lshlrev_b64 v[2:3], v2, v[36:37]
	v_lshrrev_b32_e32 v5, 3, v0
	v_sub_u32_e32 v3, 29, v6
	v_cmp_gt_u32_e32 vcc, 8, v0
	v_and_b32_e32 v2, 7, v2
	v_cndmask_b32_e32 v0, v5, v3, vcc
	v_mov_b32_e32 v3, 0x2000
	v_cndmask_b32_e32 v1, v1, v2, vcc
	v_lshlrev_b32_e32 v2, 8, v36
	v_lshl_add_u32 v0, v0, 10, v3
	v_and_or_b32 v0, v2, s41, v0
	v_lshl_or_b32 v0, v1, 7, v0
	v_cvt_f32_f16_e32 v0, v0
	buffer_store_dword v0, off, s[0:3], s32 offset:364 ; 4-byte Folded Spill
.LBB308_278:                            ;   in Loop: Header=BB308_13 Depth=1
	s_or_b64 exec, exec, s[36:37]
.LBB308_279:                            ;   in Loop: Header=BB308_13 Depth=1
	s_or_b64 exec, exec, s[34:35]
.LBB308_280:                            ;   in Loop: Header=BB308_13 Depth=1
	s_or_b64 exec, exec, s[30:31]
	flat_load_dword v36, v[34:35] offset:2568
	v_mov_b32_e32 v0, 0
	v_mov_b32_e32 v59, 0
	buffer_store_dword v0, off, s[0:3], s32 offset:372 ; 4-byte Folded Spill
	s_waitcnt vmcnt(0) lgkmcnt(0)
	v_cmp_ne_u16_sdwa vcc, v36, v41 src0_sel:BYTE_0 src1_sel:DWORD
	s_and_saveexec_b64 s[30:31], vcc
	s_cbranch_execz .LBB308_286
; %bb.281:                              ;   in Loop: Header=BB308_13 Depth=1
	v_cmp_ne_u16_sdwa vcc, v36, s39 src0_sel:BYTE_0 src1_sel:DWORD
	v_bfrev_b32_e32 v59, 1
	s_and_saveexec_b64 s[34:35], vcc
	s_cbranch_execz .LBB308_285
; %bb.282:                              ;   in Loop: Header=BB308_13 Depth=1
	v_and_b32_e32 v0, 0x7f, v36
	v_cmp_ne_u32_e32 vcc, s40, v0
	v_mov_b32_e32 v59, 0x7fc02000
	s_and_saveexec_b64 s[36:37], vcc
	s_cbranch_execz .LBB308_284
; %bb.283:                              ;   in Loop: Header=BB308_13 Depth=1
	v_and_b32_e32 v1, 7, v36
	v_ffbh_u32_e32 v2, v1
	v_min_u32_e32 v6, 32, v2
	v_subrev_u32_e32 v2, 28, v6
	v_lshlrev_b64 v[2:3], v2, v[36:37]
	v_lshrrev_b32_e32 v5, 3, v0
	v_sub_u32_e32 v3, 29, v6
	v_cmp_gt_u32_e32 vcc, 8, v0
	v_and_b32_e32 v2, 7, v2
	v_cndmask_b32_e32 v0, v5, v3, vcc
	v_mov_b32_e32 v3, 0x2000
	v_cndmask_b32_e32 v1, v1, v2, vcc
	v_lshlrev_b32_e32 v2, 8, v36
	v_lshl_add_u32 v0, v0, 10, v3
	v_and_or_b32 v0, v2, s41, v0
	v_lshl_or_b32 v0, v1, 7, v0
	v_cvt_f32_f16_e32 v59, v0
.LBB308_284:                            ;   in Loop: Header=BB308_13 Depth=1
	s_or_b64 exec, exec, s[36:37]
.LBB308_285:                            ;   in Loop: Header=BB308_13 Depth=1
	s_or_b64 exec, exec, s[34:35]
.LBB308_286:                            ;   in Loop: Header=BB308_13 Depth=1
	s_or_b64 exec, exec, s[30:31]
	v_lshrrev_b16_e32 v38, 8, v36
	v_cmp_ne_u16_e32 vcc, 0, v38
	s_and_saveexec_b64 s[30:31], vcc
	s_cbranch_execz .LBB308_292
; %bb.287:                              ;   in Loop: Header=BB308_13 Depth=1
	v_cmp_ne_u16_e32 vcc, s39, v38
	v_bfrev_b32_e32 v0, 1
	buffer_store_dword v0, off, s[0:3], s32 offset:372 ; 4-byte Folded Spill
	s_and_saveexec_b64 s[34:35], vcc
	s_cbranch_execz .LBB308_291
; %bb.288:                              ;   in Loop: Header=BB308_13 Depth=1
	v_and_b32_e32 v0, 0x7f, v38
	v_cmp_ne_u32_e32 vcc, s40, v0
	v_mov_b32_e32 v1, 0x7fc02000
	buffer_store_dword v1, off, s[0:3], s32 offset:372 ; 4-byte Folded Spill
	s_and_saveexec_b64 s[36:37], vcc
	s_cbranch_execz .LBB308_290
; %bb.289:                              ;   in Loop: Header=BB308_13 Depth=1
	v_and_b32_e32 v1, 7, v38
	v_ffbh_u32_e32 v2, v1
	v_min_u32_e32 v6, 32, v2
	v_subrev_u32_e32 v2, 28, v6
	v_lshlrev_b64 v[2:3], v2, v[38:39]
	v_lshrrev_b32_e32 v5, 3, v0
	v_sub_u32_e32 v3, 29, v6
	v_cmp_gt_u32_e32 vcc, 8, v0
	v_and_b32_e32 v2, 7, v2
	v_cndmask_b32_e32 v0, v5, v3, vcc
	v_mov_b32_e32 v3, 0x2000
	v_cndmask_b32_e32 v1, v1, v2, vcc
	v_lshlrev_b32_e32 v2, 8, v38
	v_lshl_add_u32 v0, v0, 10, v3
	v_and_or_b32 v0, v2, s41, v0
	v_lshl_or_b32 v0, v1, 7, v0
	v_cvt_f32_f16_e32 v0, v0
	buffer_store_dword v0, off, s[0:3], s32 offset:372 ; 4-byte Folded Spill
.LBB308_290:                            ;   in Loop: Header=BB308_13 Depth=1
	s_or_b64 exec, exec, s[36:37]
.LBB308_291:                            ;   in Loop: Header=BB308_13 Depth=1
	s_or_b64 exec, exec, s[34:35]
.LBB308_292:                            ;   in Loop: Header=BB308_13 Depth=1
	s_or_b64 exec, exec, s[30:31]
	v_lshrrev_b32_e32 v38, 16, v36
	v_cmp_ne_u16_sdwa vcc, v38, v41 src0_sel:BYTE_0 src1_sel:DWORD
	v_mov_b32_e32 v58, 0
	v_mov_b32_e32 v60, 0
	s_and_saveexec_b64 s[30:31], vcc
	s_cbranch_execz .LBB308_298
; %bb.293:                              ;   in Loop: Header=BB308_13 Depth=1
	v_cmp_ne_u16_sdwa vcc, v38, s39 src0_sel:BYTE_0 src1_sel:DWORD
	v_bfrev_b32_e32 v60, 1
	s_and_saveexec_b64 s[34:35], vcc
	s_cbranch_execz .LBB308_297
; %bb.294:                              ;   in Loop: Header=BB308_13 Depth=1
	v_bfe_u32 v0, v36, 16, 7
	v_cmp_ne_u32_e32 vcc, s40, v0
	v_mov_b32_e32 v60, 0x7fc02000
	s_and_saveexec_b64 s[36:37], vcc
	s_cbranch_execz .LBB308_296
; %bb.295:                              ;   in Loop: Header=BB308_13 Depth=1
	v_and_b32_e32 v1, 7, v38
	v_ffbh_u32_e32 v2, v1
	v_min_u32_e32 v6, 32, v2
	v_subrev_u32_e32 v2, 28, v6
	v_lshlrev_b64 v[2:3], v2, v[38:39]
	v_lshrrev_b32_e32 v5, 3, v0
	v_sub_u32_e32 v3, 29, v6
	v_cmp_gt_u32_e32 vcc, 8, v0
	v_and_b32_e32 v2, 7, v2
	v_cndmask_b32_e32 v0, v5, v3, vcc
	v_mov_b32_e32 v3, 0x2000
	v_cndmask_b32_e32 v1, v1, v2, vcc
	v_lshlrev_b32_e32 v2, 8, v38
	v_lshl_add_u32 v0, v0, 10, v3
	v_and_or_b32 v0, v2, s41, v0
	v_lshl_or_b32 v0, v1, 7, v0
	v_cvt_f32_f16_e32 v60, v0
.LBB308_296:                            ;   in Loop: Header=BB308_13 Depth=1
	s_or_b64 exec, exec, s[36:37]
.LBB308_297:                            ;   in Loop: Header=BB308_13 Depth=1
	s_or_b64 exec, exec, s[34:35]
.LBB308_298:                            ;   in Loop: Header=BB308_13 Depth=1
	s_or_b64 exec, exec, s[30:31]
	v_cmp_lt_u32_e32 vcc, s42, v36
	s_and_saveexec_b64 s[30:31], vcc
	s_cbranch_execz .LBB308_304
; %bb.299:                              ;   in Loop: Header=BB308_13 Depth=1
	v_lshrrev_b32_e32 v36, 24, v36
	v_cmp_ne_u32_e32 vcc, s39, v36
	v_bfrev_b32_e32 v58, 1
	s_and_saveexec_b64 s[34:35], vcc
	s_cbranch_execz .LBB308_303
; %bb.300:                              ;   in Loop: Header=BB308_13 Depth=1
	v_and_b32_e32 v0, 0x7f, v36
	v_cmp_ne_u32_e32 vcc, s40, v0
	v_mov_b32_e32 v58, 0x7fc02000
	s_and_saveexec_b64 s[36:37], vcc
	s_cbranch_execz .LBB308_302
; %bb.301:                              ;   in Loop: Header=BB308_13 Depth=1
	v_and_b32_e32 v1, 7, v36
	v_ffbh_u32_e32 v2, v1
	v_min_u32_e32 v6, 32, v2
	v_subrev_u32_e32 v2, 28, v6
	v_lshlrev_b64 v[2:3], v2, v[36:37]
	v_lshrrev_b32_e32 v5, 3, v0
	v_sub_u32_e32 v3, 29, v6
	v_cmp_gt_u32_e32 vcc, 8, v0
	v_and_b32_e32 v2, 7, v2
	v_cndmask_b32_e32 v0, v5, v3, vcc
	v_mov_b32_e32 v3, 0x2000
	v_cndmask_b32_e32 v1, v1, v2, vcc
	v_lshlrev_b32_e32 v2, 8, v36
	v_lshl_add_u32 v0, v0, 10, v3
	v_and_or_b32 v0, v2, s41, v0
	v_lshl_or_b32 v0, v1, 7, v0
	v_cvt_f32_f16_e32 v58, v0
.LBB308_302:                            ;   in Loop: Header=BB308_13 Depth=1
	s_or_b64 exec, exec, s[36:37]
.LBB308_303:                            ;   in Loop: Header=BB308_13 Depth=1
	s_or_b64 exec, exec, s[34:35]
.LBB308_304:                            ;   in Loop: Header=BB308_13 Depth=1
	s_or_b64 exec, exec, s[30:31]
	flat_load_dword v36, v[34:35] offset:3072
	v_mov_b32_e32 v61, 0
	v_mov_b32_e32 v62, 0
	s_waitcnt vmcnt(0) lgkmcnt(0)
	v_cmp_ne_u16_sdwa vcc, v36, v41 src0_sel:BYTE_0 src1_sel:DWORD
	s_and_saveexec_b64 s[30:31], vcc
	s_cbranch_execz .LBB308_310
; %bb.305:                              ;   in Loop: Header=BB308_13 Depth=1
	v_cmp_ne_u16_sdwa vcc, v36, s39 src0_sel:BYTE_0 src1_sel:DWORD
	v_bfrev_b32_e32 v62, 1
	s_and_saveexec_b64 s[34:35], vcc
	s_cbranch_execz .LBB308_309
; %bb.306:                              ;   in Loop: Header=BB308_13 Depth=1
	v_and_b32_e32 v0, 0x7f, v36
	v_cmp_ne_u32_e32 vcc, s40, v0
	v_mov_b32_e32 v62, 0x7fc02000
	s_and_saveexec_b64 s[36:37], vcc
	s_cbranch_execz .LBB308_308
; %bb.307:                              ;   in Loop: Header=BB308_13 Depth=1
	v_and_b32_e32 v1, 7, v36
	v_ffbh_u32_e32 v2, v1
	v_min_u32_e32 v6, 32, v2
	v_subrev_u32_e32 v2, 28, v6
	v_lshlrev_b64 v[2:3], v2, v[36:37]
	v_lshrrev_b32_e32 v5, 3, v0
	v_sub_u32_e32 v3, 29, v6
	v_cmp_gt_u32_e32 vcc, 8, v0
	v_and_b32_e32 v2, 7, v2
	v_cndmask_b32_e32 v0, v5, v3, vcc
	v_mov_b32_e32 v3, 0x2000
	v_cndmask_b32_e32 v1, v1, v2, vcc
	v_lshlrev_b32_e32 v2, 8, v36
	v_lshl_add_u32 v0, v0, 10, v3
	v_and_or_b32 v0, v2, s41, v0
	v_lshl_or_b32 v0, v1, 7, v0
	v_cvt_f32_f16_e32 v62, v0
.LBB308_308:                            ;   in Loop: Header=BB308_13 Depth=1
	s_or_b64 exec, exec, s[36:37]
.LBB308_309:                            ;   in Loop: Header=BB308_13 Depth=1
	s_or_b64 exec, exec, s[34:35]
.LBB308_310:                            ;   in Loop: Header=BB308_13 Depth=1
	s_or_b64 exec, exec, s[30:31]
	v_lshrrev_b16_e32 v38, 8, v36
	v_cmp_ne_u16_e32 vcc, 0, v38
	s_and_saveexec_b64 s[30:31], vcc
	s_cbranch_execz .LBB308_316
; %bb.311:                              ;   in Loop: Header=BB308_13 Depth=1
	v_cmp_ne_u16_e32 vcc, s39, v38
	v_bfrev_b32_e32 v61, 1
	s_and_saveexec_b64 s[34:35], vcc
	s_cbranch_execz .LBB308_315
; %bb.312:                              ;   in Loop: Header=BB308_13 Depth=1
	v_and_b32_e32 v0, 0x7f, v38
	v_cmp_ne_u32_e32 vcc, s40, v0
	v_mov_b32_e32 v61, 0x7fc02000
	s_and_saveexec_b64 s[36:37], vcc
	s_cbranch_execz .LBB308_314
; %bb.313:                              ;   in Loop: Header=BB308_13 Depth=1
	v_and_b32_e32 v1, 7, v38
	v_ffbh_u32_e32 v2, v1
	v_min_u32_e32 v6, 32, v2
	v_subrev_u32_e32 v2, 28, v6
	v_lshlrev_b64 v[2:3], v2, v[38:39]
	v_lshrrev_b32_e32 v5, 3, v0
	v_sub_u32_e32 v3, 29, v6
	v_cmp_gt_u32_e32 vcc, 8, v0
	v_and_b32_e32 v2, 7, v2
	v_cndmask_b32_e32 v0, v5, v3, vcc
	v_mov_b32_e32 v3, 0x2000
	v_cndmask_b32_e32 v1, v1, v2, vcc
	v_lshlrev_b32_e32 v2, 8, v38
	v_lshl_add_u32 v0, v0, 10, v3
	v_and_or_b32 v0, v2, s41, v0
	v_lshl_or_b32 v0, v1, 7, v0
	v_cvt_f32_f16_e32 v61, v0
.LBB308_314:                            ;   in Loop: Header=BB308_13 Depth=1
	s_or_b64 exec, exec, s[36:37]
.LBB308_315:                            ;   in Loop: Header=BB308_13 Depth=1
	s_or_b64 exec, exec, s[34:35]
.LBB308_316:                            ;   in Loop: Header=BB308_13 Depth=1
	s_or_b64 exec, exec, s[30:31]
	v_lshrrev_b32_e32 v38, 16, v36
	v_cmp_ne_u16_sdwa vcc, v38, v41 src0_sel:BYTE_0 src1_sel:DWORD
	v_mov_b32_e32 v7, 0
	v_mov_b32_e32 v16, 0
	s_and_saveexec_b64 s[30:31], vcc
	s_cbranch_execz .LBB308_322
; %bb.317:                              ;   in Loop: Header=BB308_13 Depth=1
	v_cmp_ne_u16_sdwa vcc, v38, s39 src0_sel:BYTE_0 src1_sel:DWORD
	v_bfrev_b32_e32 v16, 1
	s_and_saveexec_b64 s[34:35], vcc
	s_cbranch_execz .LBB308_321
; %bb.318:                              ;   in Loop: Header=BB308_13 Depth=1
	v_bfe_u32 v0, v36, 16, 7
	v_cmp_ne_u32_e32 vcc, s40, v0
	v_mov_b32_e32 v16, 0x7fc02000
	s_and_saveexec_b64 s[36:37], vcc
	s_cbranch_execz .LBB308_320
; %bb.319:                              ;   in Loop: Header=BB308_13 Depth=1
	v_and_b32_e32 v1, 7, v38
	v_ffbh_u32_e32 v2, v1
	v_min_u32_e32 v6, 32, v2
	v_subrev_u32_e32 v2, 28, v6
	v_lshlrev_b64 v[2:3], v2, v[38:39]
	v_lshrrev_b32_e32 v5, 3, v0
	v_sub_u32_e32 v3, 29, v6
	v_cmp_gt_u32_e32 vcc, 8, v0
	v_and_b32_e32 v2, 7, v2
	v_cndmask_b32_e32 v0, v5, v3, vcc
	v_mov_b32_e32 v3, 0x2000
	v_cndmask_b32_e32 v1, v1, v2, vcc
	v_lshlrev_b32_e32 v2, 8, v38
	v_lshl_add_u32 v0, v0, 10, v3
	v_and_or_b32 v0, v2, s41, v0
	v_lshl_or_b32 v0, v1, 7, v0
	v_cvt_f32_f16_e32 v16, v0
.LBB308_320:                            ;   in Loop: Header=BB308_13 Depth=1
	s_or_b64 exec, exec, s[36:37]
.LBB308_321:                            ;   in Loop: Header=BB308_13 Depth=1
	s_or_b64 exec, exec, s[34:35]
.LBB308_322:                            ;   in Loop: Header=BB308_13 Depth=1
	s_or_b64 exec, exec, s[30:31]
	v_cmp_lt_u32_e32 vcc, s42, v36
	s_and_saveexec_b64 s[30:31], vcc
	s_cbranch_execz .LBB308_328
; %bb.323:                              ;   in Loop: Header=BB308_13 Depth=1
	v_lshrrev_b32_e32 v36, 24, v36
	v_cmp_ne_u32_e32 vcc, s39, v36
	v_bfrev_b32_e32 v7, 1
	s_and_saveexec_b64 s[34:35], vcc
	s_cbranch_execz .LBB308_327
; %bb.324:                              ;   in Loop: Header=BB308_13 Depth=1
	v_and_b32_e32 v0, 0x7f, v36
	v_cmp_ne_u32_e32 vcc, s40, v0
	v_mov_b32_e32 v7, 0x7fc02000
	s_and_saveexec_b64 s[36:37], vcc
	s_cbranch_execz .LBB308_326
; %bb.325:                              ;   in Loop: Header=BB308_13 Depth=1
	v_and_b32_e32 v1, 7, v36
	v_ffbh_u32_e32 v2, v1
	v_min_u32_e32 v6, 32, v2
	v_subrev_u32_e32 v2, 28, v6
	v_lshlrev_b64 v[2:3], v2, v[36:37]
	v_lshrrev_b32_e32 v5, 3, v0
	v_sub_u32_e32 v3, 29, v6
	v_cmp_gt_u32_e32 vcc, 8, v0
	v_and_b32_e32 v2, 7, v2
	v_cndmask_b32_e32 v0, v5, v3, vcc
	v_mov_b32_e32 v3, 0x2000
	v_cndmask_b32_e32 v1, v1, v2, vcc
	v_lshlrev_b32_e32 v2, 8, v36
	v_lshl_add_u32 v0, v0, 10, v3
	v_and_or_b32 v0, v2, s41, v0
	v_lshl_or_b32 v0, v1, 7, v0
	v_cvt_f32_f16_e32 v7, v0
.LBB308_326:                            ;   in Loop: Header=BB308_13 Depth=1
	s_or_b64 exec, exec, s[36:37]
.LBB308_327:                            ;   in Loop: Header=BB308_13 Depth=1
	s_or_b64 exec, exec, s[34:35]
.LBB308_328:                            ;   in Loop: Header=BB308_13 Depth=1
	s_or_b64 exec, exec, s[30:31]
	flat_load_dword v36, v[34:35] offset:3080
	v_mov_b32_e32 v3, 0
	v_mov_b32_e32 v20, 0
	s_waitcnt vmcnt(0) lgkmcnt(0)
	v_cmp_ne_u16_sdwa vcc, v36, v41 src0_sel:BYTE_0 src1_sel:DWORD
	s_and_saveexec_b64 s[30:31], vcc
	s_cbranch_execz .LBB308_334
; %bb.329:                              ;   in Loop: Header=BB308_13 Depth=1
	v_cmp_ne_u16_sdwa vcc, v36, s39 src0_sel:BYTE_0 src1_sel:DWORD
	v_bfrev_b32_e32 v20, 1
	s_and_saveexec_b64 s[34:35], vcc
	s_cbranch_execz .LBB308_333
; %bb.330:                              ;   in Loop: Header=BB308_13 Depth=1
	v_and_b32_e32 v0, 0x7f, v36
	v_cmp_ne_u32_e32 vcc, s40, v0
	v_mov_b32_e32 v20, 0x7fc02000
	s_and_saveexec_b64 s[36:37], vcc
	s_cbranch_execz .LBB308_332
; %bb.331:                              ;   in Loop: Header=BB308_13 Depth=1
	v_and_b32_e32 v1, 7, v36
	v_ffbh_u32_e32 v5, v1
	v_min_u32_e32 v5, 32, v5
	v_lshrrev_b32_e32 v2, 3, v0
	v_subrev_u32_e32 v6, 28, v5
	v_sub_u32_e32 v5, 29, v5
	v_cmp_gt_u32_e32 vcc, 8, v0
	v_lshlrev_b64 v[8:9], v6, v[36:37]
	v_cndmask_b32_e32 v0, v2, v5, vcc
	v_mov_b32_e32 v5, 0x2000
	v_and_b32_e32 v6, 7, v8
	v_lshlrev_b32_e32 v2, 8, v36
	v_lshl_add_u32 v0, v0, 10, v5
	v_cndmask_b32_e32 v1, v1, v6, vcc
	v_and_or_b32 v0, v2, s41, v0
	v_lshl_or_b32 v0, v1, 7, v0
	v_cvt_f32_f16_e32 v20, v0
.LBB308_332:                            ;   in Loop: Header=BB308_13 Depth=1
	s_or_b64 exec, exec, s[36:37]
.LBB308_333:                            ;   in Loop: Header=BB308_13 Depth=1
	s_or_b64 exec, exec, s[34:35]
.LBB308_334:                            ;   in Loop: Header=BB308_13 Depth=1
	s_or_b64 exec, exec, s[30:31]
	v_lshrrev_b16_e32 v38, 8, v36
	v_cmp_ne_u16_e32 vcc, 0, v38
	s_and_saveexec_b64 s[30:31], vcc
	s_cbranch_execz .LBB308_340
; %bb.335:                              ;   in Loop: Header=BB308_13 Depth=1
	v_cmp_ne_u16_e32 vcc, s39, v38
	v_bfrev_b32_e32 v3, 1
	s_and_saveexec_b64 s[34:35], vcc
	s_cbranch_execz .LBB308_339
; %bb.336:                              ;   in Loop: Header=BB308_13 Depth=1
	v_and_b32_e32 v0, 0x7f, v38
	v_cmp_ne_u32_e32 vcc, s40, v0
	v_mov_b32_e32 v3, 0x7fc02000
	s_and_saveexec_b64 s[36:37], vcc
	s_cbranch_execz .LBB308_338
; %bb.337:                              ;   in Loop: Header=BB308_13 Depth=1
	v_and_b32_e32 v1, 7, v38
	v_ffbh_u32_e32 v2, v1
	v_min_u32_e32 v6, 32, v2
	v_subrev_u32_e32 v2, 28, v6
	v_lshlrev_b64 v[2:3], v2, v[38:39]
	v_lshrrev_b32_e32 v5, 3, v0
	v_sub_u32_e32 v3, 29, v6
	v_cmp_gt_u32_e32 vcc, 8, v0
	v_and_b32_e32 v2, 7, v2
	v_cndmask_b32_e32 v0, v5, v3, vcc
	v_mov_b32_e32 v3, 0x2000
	v_cndmask_b32_e32 v1, v1, v2, vcc
	v_lshlrev_b32_e32 v2, 8, v38
	v_lshl_add_u32 v0, v0, 10, v3
	v_and_or_b32 v0, v2, s41, v0
	v_lshl_or_b32 v0, v1, 7, v0
	v_cvt_f32_f16_e32 v3, v0
.LBB308_338:                            ;   in Loop: Header=BB308_13 Depth=1
	s_or_b64 exec, exec, s[36:37]
.LBB308_339:                            ;   in Loop: Header=BB308_13 Depth=1
	s_or_b64 exec, exec, s[34:35]
.LBB308_340:                            ;   in Loop: Header=BB308_13 Depth=1
	s_or_b64 exec, exec, s[30:31]
	v_lshrrev_b32_e32 v38, 16, v36
	v_cmp_ne_u16_sdwa vcc, v38, v41 src0_sel:BYTE_0 src1_sel:DWORD
	v_mov_b32_e32 v21, 0
	v_mov_b32_e32 v29, 0
	s_and_saveexec_b64 s[30:31], vcc
	s_cbranch_execz .LBB308_346
; %bb.341:                              ;   in Loop: Header=BB308_13 Depth=1
	v_cmp_ne_u16_sdwa vcc, v38, s39 src0_sel:BYTE_0 src1_sel:DWORD
	v_bfrev_b32_e32 v29, 1
	s_and_saveexec_b64 s[34:35], vcc
	s_cbranch_execz .LBB308_345
; %bb.342:                              ;   in Loop: Header=BB308_13 Depth=1
	v_bfe_u32 v0, v36, 16, 7
	v_cmp_ne_u32_e32 vcc, s40, v0
	v_mov_b32_e32 v29, 0x7fc02000
	s_and_saveexec_b64 s[36:37], vcc
	s_cbranch_execz .LBB308_344
; %bb.343:                              ;   in Loop: Header=BB308_13 Depth=1
	v_and_b32_e32 v1, 7, v38
	v_ffbh_u32_e32 v5, v1
	v_min_u32_e32 v5, 32, v5
	v_lshrrev_b32_e32 v2, 3, v0
	v_subrev_u32_e32 v6, 28, v5
	v_sub_u32_e32 v5, 29, v5
	v_cmp_gt_u32_e32 vcc, 8, v0
	v_lshlrev_b64 v[8:9], v6, v[38:39]
	v_cndmask_b32_e32 v0, v2, v5, vcc
	v_mov_b32_e32 v5, 0x2000
	v_and_b32_e32 v6, 7, v8
	v_lshlrev_b32_e32 v2, 8, v38
	v_lshl_add_u32 v0, v0, 10, v5
	v_cndmask_b32_e32 v1, v1, v6, vcc
	v_and_or_b32 v0, v2, s41, v0
	v_lshl_or_b32 v0, v1, 7, v0
	v_cvt_f32_f16_e32 v29, v0
.LBB308_344:                            ;   in Loop: Header=BB308_13 Depth=1
	s_or_b64 exec, exec, s[36:37]
.LBB308_345:                            ;   in Loop: Header=BB308_13 Depth=1
	s_or_b64 exec, exec, s[34:35]
.LBB308_346:                            ;   in Loop: Header=BB308_13 Depth=1
	s_or_b64 exec, exec, s[30:31]
	v_cmp_lt_u32_e32 vcc, s42, v36
	s_and_saveexec_b64 s[30:31], vcc
	s_cbranch_execz .LBB308_352
; %bb.347:                              ;   in Loop: Header=BB308_13 Depth=1
	v_lshrrev_b32_e32 v36, 24, v36
	v_cmp_ne_u32_e32 vcc, s39, v36
	v_bfrev_b32_e32 v21, 1
	s_and_saveexec_b64 s[34:35], vcc
	s_cbranch_execz .LBB308_351
; %bb.348:                              ;   in Loop: Header=BB308_13 Depth=1
	v_and_b32_e32 v0, 0x7f, v36
	v_cmp_ne_u32_e32 vcc, s40, v0
	v_mov_b32_e32 v21, 0x7fc02000
	s_and_saveexec_b64 s[36:37], vcc
	s_cbranch_execz .LBB308_350
; %bb.349:                              ;   in Loop: Header=BB308_13 Depth=1
	v_and_b32_e32 v1, 7, v36
	v_ffbh_u32_e32 v5, v1
	v_min_u32_e32 v5, 32, v5
	v_lshrrev_b32_e32 v2, 3, v0
	v_subrev_u32_e32 v6, 28, v5
	v_sub_u32_e32 v5, 29, v5
	v_cmp_gt_u32_e32 vcc, 8, v0
	v_lshlrev_b64 v[8:9], v6, v[36:37]
	v_cndmask_b32_e32 v0, v2, v5, vcc
	v_mov_b32_e32 v5, 0x2000
	v_and_b32_e32 v6, 7, v8
	v_lshlrev_b32_e32 v2, 8, v36
	v_lshl_add_u32 v0, v0, 10, v5
	v_cndmask_b32_e32 v1, v1, v6, vcc
	v_and_or_b32 v0, v2, s41, v0
	v_lshl_or_b32 v0, v1, 7, v0
	v_cvt_f32_f16_e32 v21, v0
.LBB308_350:                            ;   in Loop: Header=BB308_13 Depth=1
	s_or_b64 exec, exec, s[36:37]
.LBB308_351:                            ;   in Loop: Header=BB308_13 Depth=1
	s_or_b64 exec, exec, s[34:35]
.LBB308_352:                            ;   in Loop: Header=BB308_13 Depth=1
	s_or_b64 exec, exec, s[30:31]
	flat_load_dword v36, v[34:35] offset:3584
	v_mov_b32_e32 v25, 0
	v_mov_b32_e32 v15, 0
	s_waitcnt vmcnt(0) lgkmcnt(0)
	v_cmp_ne_u16_sdwa vcc, v36, v41 src0_sel:BYTE_0 src1_sel:DWORD
	s_and_saveexec_b64 s[30:31], vcc
	s_cbranch_execz .LBB308_358
; %bb.353:                              ;   in Loop: Header=BB308_13 Depth=1
	v_cmp_ne_u16_sdwa vcc, v36, s39 src0_sel:BYTE_0 src1_sel:DWORD
	v_bfrev_b32_e32 v15, 1
	s_and_saveexec_b64 s[34:35], vcc
	s_cbranch_execz .LBB308_357
; %bb.354:                              ;   in Loop: Header=BB308_13 Depth=1
	v_and_b32_e32 v0, 0x7f, v36
	v_cmp_ne_u32_e32 vcc, s40, v0
	v_mov_b32_e32 v15, 0x7fc02000
	s_and_saveexec_b64 s[36:37], vcc
	s_cbranch_execz .LBB308_356
; %bb.355:                              ;   in Loop: Header=BB308_13 Depth=1
	v_and_b32_e32 v1, 7, v36
	v_ffbh_u32_e32 v5, v1
	v_min_u32_e32 v5, 32, v5
	v_lshrrev_b32_e32 v2, 3, v0
	v_subrev_u32_e32 v6, 28, v5
	v_sub_u32_e32 v5, 29, v5
	v_cmp_gt_u32_e32 vcc, 8, v0
	v_lshlrev_b64 v[8:9], v6, v[36:37]
	v_cndmask_b32_e32 v0, v2, v5, vcc
	v_mov_b32_e32 v5, 0x2000
	v_and_b32_e32 v6, 7, v8
	v_lshlrev_b32_e32 v2, 8, v36
	v_lshl_add_u32 v0, v0, 10, v5
	v_cndmask_b32_e32 v1, v1, v6, vcc
	v_and_or_b32 v0, v2, s41, v0
	v_lshl_or_b32 v0, v1, 7, v0
	v_cvt_f32_f16_e32 v15, v0
.LBB308_356:                            ;   in Loop: Header=BB308_13 Depth=1
	s_or_b64 exec, exec, s[36:37]
.LBB308_357:                            ;   in Loop: Header=BB308_13 Depth=1
	s_or_b64 exec, exec, s[34:35]
.LBB308_358:                            ;   in Loop: Header=BB308_13 Depth=1
	s_or_b64 exec, exec, s[30:31]
	v_lshrrev_b16_e32 v38, 8, v36
	v_cmp_ne_u16_e32 vcc, 0, v38
	s_and_saveexec_b64 s[30:31], vcc
	s_cbranch_execz .LBB308_364
; %bb.359:                              ;   in Loop: Header=BB308_13 Depth=1
	v_cmp_ne_u16_e32 vcc, s39, v38
	v_bfrev_b32_e32 v25, 1
	s_and_saveexec_b64 s[34:35], vcc
	s_cbranch_execz .LBB308_363
; %bb.360:                              ;   in Loop: Header=BB308_13 Depth=1
	v_and_b32_e32 v0, 0x7f, v38
	v_cmp_ne_u32_e32 vcc, s40, v0
	v_mov_b32_e32 v25, 0x7fc02000
	s_and_saveexec_b64 s[36:37], vcc
	s_cbranch_execz .LBB308_362
; %bb.361:                              ;   in Loop: Header=BB308_13 Depth=1
	v_and_b32_e32 v1, 7, v38
	v_ffbh_u32_e32 v5, v1
	v_min_u32_e32 v5, 32, v5
	v_lshrrev_b32_e32 v2, 3, v0
	v_subrev_u32_e32 v6, 28, v5
	v_sub_u32_e32 v5, 29, v5
	v_cmp_gt_u32_e32 vcc, 8, v0
	v_lshlrev_b64 v[8:9], v6, v[38:39]
	v_cndmask_b32_e32 v0, v2, v5, vcc
	v_mov_b32_e32 v5, 0x2000
	v_and_b32_e32 v6, 7, v8
	v_lshlrev_b32_e32 v2, 8, v38
	v_lshl_add_u32 v0, v0, 10, v5
	v_cndmask_b32_e32 v1, v1, v6, vcc
	v_and_or_b32 v0, v2, s41, v0
	v_lshl_or_b32 v0, v1, 7, v0
	v_cvt_f32_f16_e32 v25, v0
.LBB308_362:                            ;   in Loop: Header=BB308_13 Depth=1
	s_or_b64 exec, exec, s[36:37]
.LBB308_363:                            ;   in Loop: Header=BB308_13 Depth=1
	s_or_b64 exec, exec, s[34:35]
.LBB308_364:                            ;   in Loop: Header=BB308_13 Depth=1
	s_or_b64 exec, exec, s[30:31]
	v_lshrrev_b32_e32 v38, 16, v36
	v_cmp_ne_u16_sdwa vcc, v38, v41 src0_sel:BYTE_0 src1_sel:DWORD
	v_mov_b32_e32 v31, 0
	v_mov_b32_e32 v37, 0
	s_and_saveexec_b64 s[30:31], vcc
	s_cbranch_execz .LBB308_370
; %bb.365:                              ;   in Loop: Header=BB308_13 Depth=1
	v_cmp_ne_u16_sdwa vcc, v38, s39 src0_sel:BYTE_0 src1_sel:DWORD
	v_bfrev_b32_e32 v37, 1
	s_and_saveexec_b64 s[34:35], vcc
	s_cbranch_execz .LBB308_369
; %bb.366:                              ;   in Loop: Header=BB308_13 Depth=1
	v_bfe_u32 v0, v36, 16, 7
	v_cmp_ne_u32_e32 vcc, s40, v0
	v_mov_b32_e32 v37, 0x7fc02000
	s_and_saveexec_b64 s[36:37], vcc
	s_cbranch_execz .LBB308_368
; %bb.367:                              ;   in Loop: Header=BB308_13 Depth=1
	v_and_b32_e32 v1, 7, v38
	v_ffbh_u32_e32 v5, v1
	v_min_u32_e32 v5, 32, v5
	v_lshrrev_b32_e32 v2, 3, v0
	v_subrev_u32_e32 v6, 28, v5
	v_sub_u32_e32 v5, 29, v5
	v_cmp_gt_u32_e32 vcc, 8, v0
	v_lshlrev_b64 v[8:9], v6, v[38:39]
	v_cndmask_b32_e32 v0, v2, v5, vcc
	v_mov_b32_e32 v5, 0x2000
	v_and_b32_e32 v6, 7, v8
	v_lshlrev_b32_e32 v2, 8, v38
	v_lshl_add_u32 v0, v0, 10, v5
	v_cndmask_b32_e32 v1, v1, v6, vcc
	v_and_or_b32 v0, v2, s41, v0
	v_lshl_or_b32 v0, v1, 7, v0
	v_cvt_f32_f16_e32 v37, v0
.LBB308_368:                            ;   in Loop: Header=BB308_13 Depth=1
	s_or_b64 exec, exec, s[36:37]
.LBB308_369:                            ;   in Loop: Header=BB308_13 Depth=1
	s_or_b64 exec, exec, s[34:35]
.LBB308_370:                            ;   in Loop: Header=BB308_13 Depth=1
	s_or_b64 exec, exec, s[30:31]
	v_cmp_lt_u32_e32 vcc, s42, v36
	s_and_saveexec_b64 s[30:31], vcc
	s_cbranch_execz .LBB308_376
; %bb.371:                              ;   in Loop: Header=BB308_13 Depth=1
	v_lshrrev_b32_e32 v36, 24, v36
	v_cmp_ne_u32_e32 vcc, s39, v36
	v_bfrev_b32_e32 v31, 1
	s_and_saveexec_b64 s[34:35], vcc
	s_cbranch_execz .LBB308_375
; %bb.372:                              ;   in Loop: Header=BB308_13 Depth=1
	v_and_b32_e32 v0, 0x7f, v36
	v_cmp_ne_u32_e32 vcc, s40, v0
	v_mov_b32_e32 v31, 0x7fc02000
	s_and_saveexec_b64 s[36:37], vcc
	s_cbranch_execz .LBB308_374
; %bb.373:                              ;   in Loop: Header=BB308_13 Depth=1
	v_and_b32_e32 v1, 7, v36
	v_ffbh_u32_e32 v5, v1
	v_min_u32_e32 v5, 32, v5
	v_lshrrev_b32_e32 v2, 3, v0
	v_subrev_u32_e32 v6, 28, v5
	v_sub_u32_e32 v5, 29, v5
	v_cmp_gt_u32_e32 vcc, 8, v0
	v_lshlrev_b64 v[8:9], v6, v[36:37]
	v_cndmask_b32_e32 v0, v2, v5, vcc
	v_mov_b32_e32 v5, 0x2000
	v_and_b32_e32 v6, 7, v8
	v_lshlrev_b32_e32 v2, 8, v36
	v_lshl_add_u32 v0, v0, 10, v5
	v_cndmask_b32_e32 v1, v1, v6, vcc
	v_and_or_b32 v0, v2, s41, v0
	v_lshl_or_b32 v0, v1, 7, v0
	v_cvt_f32_f16_e32 v31, v0
.LBB308_374:                            ;   in Loop: Header=BB308_13 Depth=1
	s_or_b64 exec, exec, s[36:37]
.LBB308_375:                            ;   in Loop: Header=BB308_13 Depth=1
	s_or_b64 exec, exec, s[34:35]
.LBB308_376:                            ;   in Loop: Header=BB308_13 Depth=1
	s_or_b64 exec, exec, s[30:31]
	flat_load_dword v36, v[34:35] offset:3592
	v_mov_b32_e32 v10, 0
	v_mov_b32_e32 v11, 0
	s_waitcnt vmcnt(0) lgkmcnt(0)
	v_cmp_ne_u16_sdwa vcc, v36, v41 src0_sel:BYTE_0 src1_sel:DWORD
	s_and_saveexec_b64 s[30:31], vcc
	s_cbranch_execz .LBB308_382
; %bb.377:                              ;   in Loop: Header=BB308_13 Depth=1
	v_cmp_ne_u16_sdwa vcc, v36, s39 src0_sel:BYTE_0 src1_sel:DWORD
	v_bfrev_b32_e32 v11, 1
	s_and_saveexec_b64 s[34:35], vcc
	s_cbranch_execz .LBB308_381
; %bb.378:                              ;   in Loop: Header=BB308_13 Depth=1
	v_and_b32_e32 v0, 0x7f, v36
	v_cmp_ne_u32_e32 vcc, s40, v0
	v_mov_b32_e32 v11, 0x7fc02000
	s_and_saveexec_b64 s[36:37], vcc
	s_cbranch_execz .LBB308_380
; %bb.379:                              ;   in Loop: Header=BB308_13 Depth=1
	v_and_b32_e32 v1, 7, v36
	v_ffbh_u32_e32 v5, v1
	v_min_u32_e32 v5, 32, v5
	v_lshrrev_b32_e32 v2, 3, v0
	v_subrev_u32_e32 v6, 28, v5
	v_sub_u32_e32 v5, 29, v5
	v_cmp_gt_u32_e32 vcc, 8, v0
	v_lshlrev_b64 v[8:9], v6, v[36:37]
	v_cndmask_b32_e32 v0, v2, v5, vcc
	v_mov_b32_e32 v5, 0x2000
	v_and_b32_e32 v6, 7, v8
	v_lshlrev_b32_e32 v2, 8, v36
	v_lshl_add_u32 v0, v0, 10, v5
	v_cndmask_b32_e32 v1, v1, v6, vcc
	v_and_or_b32 v0, v2, s41, v0
	v_lshl_or_b32 v0, v1, 7, v0
	v_cvt_f32_f16_e32 v11, v0
.LBB308_380:                            ;   in Loop: Header=BB308_13 Depth=1
	s_or_b64 exec, exec, s[36:37]
.LBB308_381:                            ;   in Loop: Header=BB308_13 Depth=1
	s_or_b64 exec, exec, s[34:35]
.LBB308_382:                            ;   in Loop: Header=BB308_13 Depth=1
	s_or_b64 exec, exec, s[30:31]
	v_lshrrev_b16_e32 v38, 8, v36
	v_cmp_ne_u16_e32 vcc, 0, v38
	s_and_saveexec_b64 s[30:31], vcc
	s_cbranch_execz .LBB308_388
; %bb.383:                              ;   in Loop: Header=BB308_13 Depth=1
	v_cmp_ne_u16_e32 vcc, s39, v38
	v_bfrev_b32_e32 v10, 1
	s_and_saveexec_b64 s[34:35], vcc
	s_cbranch_execz .LBB308_387
; %bb.384:                              ;   in Loop: Header=BB308_13 Depth=1
	v_and_b32_e32 v0, 0x7f, v38
	v_cmp_ne_u32_e32 vcc, s40, v0
	v_mov_b32_e32 v10, 0x7fc02000
	s_and_saveexec_b64 s[36:37], vcc
	s_cbranch_execz .LBB308_386
; %bb.385:                              ;   in Loop: Header=BB308_13 Depth=1
	v_and_b32_e32 v2, 7, v38
	v_lshrrev_b32_e32 v5, 3, v0
	v_cmp_gt_u32_e32 vcc, 8, v0
	v_ffbh_u32_e32 v0, v2
	v_min_u32_e32 v6, 32, v0
	v_subrev_u32_e32 v0, 28, v6
	v_lshlrev_b64 v[0:1], v0, v[38:39]
	v_sub_u32_e32 v1, 29, v6
	v_and_b32_e32 v0, 7, v0
	v_cndmask_b32_e32 v1, v5, v1, vcc
	v_mov_b32_e32 v5, 0x2000
	v_cndmask_b32_e32 v0, v2, v0, vcc
	v_lshlrev_b32_e32 v2, 8, v38
	v_lshl_add_u32 v1, v1, 10, v5
	v_and_or_b32 v1, v2, s41, v1
	v_lshl_or_b32 v0, v0, 7, v1
	v_cvt_f32_f16_e32 v10, v0
.LBB308_386:                            ;   in Loop: Header=BB308_13 Depth=1
	s_or_b64 exec, exec, s[36:37]
.LBB308_387:                            ;   in Loop: Header=BB308_13 Depth=1
	s_or_b64 exec, exec, s[34:35]
.LBB308_388:                            ;   in Loop: Header=BB308_13 Depth=1
	s_or_b64 exec, exec, s[30:31]
	v_lshrrev_b32_e32 v38, 16, v36
	v_cmp_ne_u16_sdwa vcc, v38, v41 src0_sel:BYTE_0 src1_sel:DWORD
	v_mov_b32_e32 v1, 0
	v_mov_b32_e32 v14, 0
	s_and_saveexec_b64 s[30:31], vcc
	s_cbranch_execz .LBB308_394
; %bb.389:                              ;   in Loop: Header=BB308_13 Depth=1
	v_cmp_ne_u16_sdwa vcc, v38, s39 src0_sel:BYTE_0 src1_sel:DWORD
	v_bfrev_b32_e32 v14, 1
	s_and_saveexec_b64 s[34:35], vcc
	s_cbranch_execz .LBB308_393
; %bb.390:                              ;   in Loop: Header=BB308_13 Depth=1
	v_bfe_u32 v0, v36, 16, 7
	v_cmp_ne_u32_e32 vcc, s40, v0
	v_mov_b32_e32 v14, 0x7fc02000
	s_and_saveexec_b64 s[36:37], vcc
	s_cbranch_execz .LBB308_392
; %bb.391:                              ;   in Loop: Header=BB308_13 Depth=1
	v_and_b32_e32 v2, 7, v38
	v_lshrrev_b32_e32 v5, 3, v0
	v_cmp_gt_u32_e32 vcc, 8, v0
	v_ffbh_u32_e32 v0, v2
	v_min_u32_e32 v0, 32, v0
	v_subrev_u32_e32 v6, 28, v0
	v_lshlrev_b64 v[8:9], v6, v[38:39]
	v_sub_u32_e32 v0, 29, v0
	v_and_b32_e32 v6, 7, v8
	v_cndmask_b32_e32 v0, v5, v0, vcc
	v_cndmask_b32_e32 v2, v2, v6, vcc
	v_mov_b32_e32 v6, 0x2000
	v_lshlrev_b32_e32 v5, 8, v38
	v_lshl_add_u32 v0, v0, 10, v6
	v_and_or_b32 v0, v5, s41, v0
	v_lshl_or_b32 v0, v2, 7, v0
	v_cvt_f32_f16_e32 v14, v0
.LBB308_392:                            ;   in Loop: Header=BB308_13 Depth=1
	s_or_b64 exec, exec, s[36:37]
.LBB308_393:                            ;   in Loop: Header=BB308_13 Depth=1
	s_or_b64 exec, exec, s[34:35]
.LBB308_394:                            ;   in Loop: Header=BB308_13 Depth=1
	s_or_b64 exec, exec, s[30:31]
	v_cmp_lt_u32_e32 vcc, s42, v36
	s_and_saveexec_b64 s[30:31], vcc
	s_cbranch_execz .LBB308_400
; %bb.395:                              ;   in Loop: Header=BB308_13 Depth=1
	v_lshrrev_b32_e32 v36, 24, v36
	v_cmp_ne_u32_e32 vcc, s39, v36
	v_bfrev_b32_e32 v1, 1
	s_and_saveexec_b64 s[34:35], vcc
	s_cbranch_execz .LBB308_399
; %bb.396:                              ;   in Loop: Header=BB308_13 Depth=1
	v_and_b32_e32 v0, 0x7f, v36
	v_cmp_ne_u32_e32 vcc, s40, v0
	v_mov_b32_e32 v1, 0x7fc02000
	s_and_saveexec_b64 s[36:37], vcc
	s_cbranch_execz .LBB308_398
; %bb.397:                              ;   in Loop: Header=BB308_13 Depth=1
	v_and_b32_e32 v2, 7, v36
	v_lshrrev_b32_e32 v5, 3, v0
	v_cmp_gt_u32_e32 vcc, 8, v0
	v_ffbh_u32_e32 v0, v2
	v_min_u32_e32 v6, 32, v0
	v_subrev_u32_e32 v0, 28, v6
	v_lshlrev_b64 v[0:1], v0, v[36:37]
	v_sub_u32_e32 v1, 29, v6
	v_and_b32_e32 v0, 7, v0
	v_cndmask_b32_e32 v1, v5, v1, vcc
	v_mov_b32_e32 v5, 0x2000
	v_cndmask_b32_e32 v0, v2, v0, vcc
	v_lshlrev_b32_e32 v2, 8, v36
	v_lshl_add_u32 v1, v1, 10, v5
	v_and_or_b32 v1, v2, s41, v1
	v_lshl_or_b32 v0, v0, 7, v1
	v_cvt_f32_f16_e32 v1, v0
.LBB308_398:                            ;   in Loop: Header=BB308_13 Depth=1
	s_or_b64 exec, exec, s[36:37]
.LBB308_399:                            ;   in Loop: Header=BB308_13 Depth=1
	s_or_b64 exec, exec, s[34:35]
.LBB308_400:                            ;   in Loop: Header=BB308_13 Depth=1
	s_or_b64 exec, exec, s[30:31]
	v_add_co_u32_e32 v8, vcc, 0x1000, v34
	v_addc_co_u32_e32 v9, vcc, 0, v35, vcc
	flat_load_dword v36, v[8:9]
	v_mov_b32_e32 v0, 0
	v_mov_b32_e32 v52, 0
	s_waitcnt vmcnt(0) lgkmcnt(0)
	v_cmp_ne_u16_sdwa vcc, v36, v41 src0_sel:BYTE_0 src1_sel:DWORD
	s_and_saveexec_b64 s[30:31], vcc
	s_cbranch_execz .LBB308_406
; %bb.401:                              ;   in Loop: Header=BB308_13 Depth=1
	v_cmp_ne_u16_sdwa vcc, v36, s39 src0_sel:BYTE_0 src1_sel:DWORD
	v_bfrev_b32_e32 v52, 1
	s_and_saveexec_b64 s[34:35], vcc
	s_cbranch_execz .LBB308_405
; %bb.402:                              ;   in Loop: Header=BB308_13 Depth=1
	v_and_b32_e32 v2, 0x7f, v36
	v_cmp_ne_u32_e32 vcc, s40, v2
	v_mov_b32_e32 v52, 0x7fc02000
	s_and_saveexec_b64 s[36:37], vcc
	s_cbranch_execz .LBB308_404
; %bb.403:                              ;   in Loop: Header=BB308_13 Depth=1
	v_and_b32_e32 v5, 7, v36
	v_lshrrev_b32_e32 v6, 3, v2
	v_cmp_gt_u32_e32 vcc, 8, v2
	v_ffbh_u32_e32 v2, v5
	v_min_u32_e32 v2, 32, v2
	v_subrev_u32_e32 v8, 28, v2
	v_lshlrev_b64 v[8:9], v8, v[36:37]
	v_sub_u32_e32 v2, 29, v2
	v_and_b32_e32 v8, 7, v8
	v_cndmask_b32_e32 v2, v6, v2, vcc
	v_cndmask_b32_e32 v5, v5, v8, vcc
	v_mov_b32_e32 v8, 0x2000
	v_lshlrev_b32_e32 v6, 8, v36
	v_lshl_add_u32 v2, v2, 10, v8
	v_and_or_b32 v2, v6, s41, v2
	v_lshl_or_b32 v2, v5, 7, v2
	v_cvt_f32_f16_e32 v52, v2
.LBB308_404:                            ;   in Loop: Header=BB308_13 Depth=1
	s_or_b64 exec, exec, s[36:37]
.LBB308_405:                            ;   in Loop: Header=BB308_13 Depth=1
	s_or_b64 exec, exec, s[34:35]
.LBB308_406:                            ;   in Loop: Header=BB308_13 Depth=1
	s_or_b64 exec, exec, s[30:31]
	v_lshrrev_b16_e32 v38, 8, v36
	v_cmp_ne_u16_e32 vcc, 0, v38
	s_and_saveexec_b64 s[30:31], vcc
	s_cbranch_execz .LBB308_412
; %bb.407:                              ;   in Loop: Header=BB308_13 Depth=1
	v_cmp_ne_u16_e32 vcc, s39, v38
	v_bfrev_b32_e32 v0, 1
	s_and_saveexec_b64 s[34:35], vcc
	s_cbranch_execz .LBB308_411
; %bb.408:                              ;   in Loop: Header=BB308_13 Depth=1
	v_and_b32_e32 v2, 0x7f, v38
	v_cmp_ne_u32_e32 vcc, s40, v2
	v_mov_b32_e32 v0, 0x7fc02000
	s_and_saveexec_b64 s[36:37], vcc
	s_cbranch_execz .LBB308_410
; %bb.409:                              ;   in Loop: Header=BB308_13 Depth=1
	v_and_b32_e32 v0, 7, v38
	v_lshrrev_b32_e32 v5, 3, v2
	v_cmp_gt_u32_e32 vcc, 8, v2
	v_ffbh_u32_e32 v2, v0
	v_min_u32_e32 v2, 32, v2
	v_subrev_u32_e32 v6, 28, v2
	v_lshlrev_b64 v[8:9], v6, v[38:39]
	v_sub_u32_e32 v2, 29, v2
	v_and_b32_e32 v6, 7, v8
	v_cndmask_b32_e32 v2, v5, v2, vcc
	v_cndmask_b32_e32 v0, v0, v6, vcc
	v_mov_b32_e32 v6, 0x2000
	v_lshlrev_b32_e32 v5, 8, v38
	v_lshl_add_u32 v2, v2, 10, v6
	v_and_or_b32 v2, v5, s41, v2
	v_lshl_or_b32 v0, v0, 7, v2
	v_cvt_f32_f16_e32 v0, v0
.LBB308_410:                            ;   in Loop: Header=BB308_13 Depth=1
	s_or_b64 exec, exec, s[36:37]
.LBB308_411:                            ;   in Loop: Header=BB308_13 Depth=1
	s_or_b64 exec, exec, s[34:35]
.LBB308_412:                            ;   in Loop: Header=BB308_13 Depth=1
	s_or_b64 exec, exec, s[30:31]
	v_lshrrev_b32_e32 v38, 16, v36
	v_cmp_ne_u16_sdwa vcc, v38, v41 src0_sel:BYTE_0 src1_sel:DWORD
	v_mov_b32_e32 v51, 0
	v_mov_b32_e32 v2, 0
	s_and_saveexec_b64 s[30:31], vcc
	s_cbranch_execz .LBB308_418
; %bb.413:                              ;   in Loop: Header=BB308_13 Depth=1
	v_cmp_ne_u16_sdwa vcc, v38, s39 src0_sel:BYTE_0 src1_sel:DWORD
	v_bfrev_b32_e32 v2, 1
	s_and_saveexec_b64 s[34:35], vcc
	s_cbranch_execz .LBB308_417
; %bb.414:                              ;   in Loop: Header=BB308_13 Depth=1
	v_bfe_u32 v5, v36, 16, 7
	v_cmp_ne_u32_e32 vcc, s40, v5
	v_mov_b32_e32 v2, 0x7fc02000
	s_and_saveexec_b64 s[36:37], vcc
	s_cbranch_execz .LBB308_416
; %bb.415:                              ;   in Loop: Header=BB308_13 Depth=1
	v_and_b32_e32 v2, 7, v38
	v_lshrrev_b32_e32 v6, 3, v5
	v_cmp_gt_u32_e32 vcc, 8, v5
	v_ffbh_u32_e32 v5, v2
	v_min_u32_e32 v5, 32, v5
	v_subrev_u32_e32 v8, 28, v5
	v_lshlrev_b64 v[8:9], v8, v[38:39]
	v_sub_u32_e32 v5, 29, v5
	v_and_b32_e32 v8, 7, v8
	v_cndmask_b32_e32 v5, v6, v5, vcc
	v_cndmask_b32_e32 v2, v2, v8, vcc
	v_mov_b32_e32 v8, 0x2000
	v_lshlrev_b32_e32 v6, 8, v38
	v_lshl_add_u32 v5, v5, 10, v8
	v_and_or_b32 v5, v6, s41, v5
	v_lshl_or_b32 v2, v2, 7, v5
	v_cvt_f32_f16_e32 v2, v2
.LBB308_416:                            ;   in Loop: Header=BB308_13 Depth=1
	s_or_b64 exec, exec, s[36:37]
.LBB308_417:                            ;   in Loop: Header=BB308_13 Depth=1
	s_or_b64 exec, exec, s[34:35]
.LBB308_418:                            ;   in Loop: Header=BB308_13 Depth=1
	s_or_b64 exec, exec, s[30:31]
	v_cmp_lt_u32_e32 vcc, s42, v36
	s_and_saveexec_b64 s[30:31], vcc
	s_cbranch_execz .LBB308_424
; %bb.419:                              ;   in Loop: Header=BB308_13 Depth=1
	v_lshrrev_b32_e32 v36, 24, v36
	v_cmp_ne_u32_e32 vcc, s39, v36
	v_bfrev_b32_e32 v51, 1
	s_and_saveexec_b64 s[34:35], vcc
	s_cbranch_execz .LBB308_423
; %bb.420:                              ;   in Loop: Header=BB308_13 Depth=1
	v_and_b32_e32 v5, 0x7f, v36
	v_cmp_ne_u32_e32 vcc, s40, v5
	v_mov_b32_e32 v51, 0x7fc02000
	s_and_saveexec_b64 s[36:37], vcc
	s_cbranch_execz .LBB308_422
; %bb.421:                              ;   in Loop: Header=BB308_13 Depth=1
	v_and_b32_e32 v6, 7, v36
	v_lshrrev_b32_e32 v12, 3, v5
	v_cmp_gt_u32_e32 vcc, 8, v5
	v_ffbh_u32_e32 v5, v6
	v_min_u32_e32 v5, 32, v5
	v_subrev_u32_e32 v8, 28, v5
	v_lshlrev_b64 v[8:9], v8, v[36:37]
	v_sub_u32_e32 v5, 29, v5
	v_and_b32_e32 v8, 7, v8
	v_cndmask_b32_e32 v5, v12, v5, vcc
	v_mov_b32_e32 v9, 0x2000
	v_cndmask_b32_e32 v6, v6, v8, vcc
	v_lshlrev_b32_e32 v8, 8, v36
	v_lshl_add_u32 v5, v5, 10, v9
	v_and_or_b32 v5, v8, s41, v5
	v_lshl_or_b32 v5, v6, 7, v5
	v_cvt_f32_f16_e32 v51, v5
.LBB308_422:                            ;   in Loop: Header=BB308_13 Depth=1
	s_or_b64 exec, exec, s[36:37]
.LBB308_423:                            ;   in Loop: Header=BB308_13 Depth=1
	s_or_b64 exec, exec, s[34:35]
.LBB308_424:                            ;   in Loop: Header=BB308_13 Depth=1
	s_or_b64 exec, exec, s[30:31]
	v_add_co_u32_e32 v8, vcc, 0x1000, v34
	v_addc_co_u32_e32 v9, vcc, 0, v35, vcc
	flat_load_dword v36, v[8:9] offset:8
	v_mov_b32_e32 v53, 0
	v_mov_b32_e32 v30, 0
	s_waitcnt vmcnt(0) lgkmcnt(0)
	v_cmp_ne_u16_sdwa vcc, v36, v41 src0_sel:BYTE_0 src1_sel:DWORD
	s_and_saveexec_b64 s[30:31], vcc
	s_cbranch_execz .LBB308_430
; %bb.425:                              ;   in Loop: Header=BB308_13 Depth=1
	v_cmp_ne_u16_sdwa vcc, v36, s39 src0_sel:BYTE_0 src1_sel:DWORD
	v_bfrev_b32_e32 v30, 1
	s_and_saveexec_b64 s[34:35], vcc
	s_cbranch_execz .LBB308_429
; %bb.426:                              ;   in Loop: Header=BB308_13 Depth=1
	v_and_b32_e32 v5, 0x7f, v36
	v_cmp_ne_u32_e32 vcc, s40, v5
	v_mov_b32_e32 v30, 0x7fc02000
	s_and_saveexec_b64 s[36:37], vcc
	s_cbranch_execz .LBB308_428
; %bb.427:                              ;   in Loop: Header=BB308_13 Depth=1
	v_and_b32_e32 v6, 7, v36
	v_lshrrev_b32_e32 v12, 3, v5
	v_cmp_gt_u32_e32 vcc, 8, v5
	v_ffbh_u32_e32 v5, v6
	v_min_u32_e32 v5, 32, v5
	v_subrev_u32_e32 v8, 28, v5
	v_lshlrev_b64 v[8:9], v8, v[36:37]
	v_sub_u32_e32 v5, 29, v5
	v_and_b32_e32 v8, 7, v8
	v_cndmask_b32_e32 v5, v12, v5, vcc
	v_mov_b32_e32 v9, 0x2000
	v_cndmask_b32_e32 v6, v6, v8, vcc
	v_lshlrev_b32_e32 v8, 8, v36
	v_lshl_add_u32 v5, v5, 10, v9
	v_and_or_b32 v5, v8, s41, v5
	v_lshl_or_b32 v5, v6, 7, v5
	v_cvt_f32_f16_e32 v30, v5
.LBB308_428:                            ;   in Loop: Header=BB308_13 Depth=1
	s_or_b64 exec, exec, s[36:37]
.LBB308_429:                            ;   in Loop: Header=BB308_13 Depth=1
	s_or_b64 exec, exec, s[34:35]
.LBB308_430:                            ;   in Loop: Header=BB308_13 Depth=1
	s_or_b64 exec, exec, s[30:31]
	v_lshrrev_b16_e32 v38, 8, v36
	v_cmp_ne_u16_e32 vcc, 0, v38
	s_and_saveexec_b64 s[30:31], vcc
	s_cbranch_execz .LBB308_436
; %bb.431:                              ;   in Loop: Header=BB308_13 Depth=1
	v_cmp_ne_u16_e32 vcc, s39, v38
	v_bfrev_b32_e32 v53, 1
	s_and_saveexec_b64 s[34:35], vcc
	s_cbranch_execz .LBB308_435
; %bb.432:                              ;   in Loop: Header=BB308_13 Depth=1
	v_and_b32_e32 v5, 0x7f, v38
	v_cmp_ne_u32_e32 vcc, s40, v5
	v_mov_b32_e32 v53, 0x7fc02000
	s_and_saveexec_b64 s[36:37], vcc
	s_cbranch_execz .LBB308_434
; %bb.433:                              ;   in Loop: Header=BB308_13 Depth=1
	v_and_b32_e32 v6, 7, v38
	v_lshrrev_b32_e32 v12, 3, v5
	v_cmp_gt_u32_e32 vcc, 8, v5
	v_ffbh_u32_e32 v5, v6
	v_min_u32_e32 v5, 32, v5
	v_subrev_u32_e32 v8, 28, v5
	v_lshlrev_b64 v[8:9], v8, v[38:39]
	v_sub_u32_e32 v5, 29, v5
	v_and_b32_e32 v8, 7, v8
	v_cndmask_b32_e32 v5, v12, v5, vcc
	v_mov_b32_e32 v9, 0x2000
	v_cndmask_b32_e32 v6, v6, v8, vcc
	v_lshlrev_b32_e32 v8, 8, v38
	v_lshl_add_u32 v5, v5, 10, v9
	v_and_or_b32 v5, v8, s41, v5
	v_lshl_or_b32 v5, v6, 7, v5
	v_cvt_f32_f16_e32 v53, v5
.LBB308_434:                            ;   in Loop: Header=BB308_13 Depth=1
	s_or_b64 exec, exec, s[36:37]
.LBB308_435:                            ;   in Loop: Header=BB308_13 Depth=1
	s_or_b64 exec, exec, s[34:35]
.LBB308_436:                            ;   in Loop: Header=BB308_13 Depth=1
	s_or_b64 exec, exec, s[30:31]
	v_lshrrev_b32_e32 v38, 16, v36
	v_cmp_ne_u16_sdwa vcc, v38, v41 src0_sel:BYTE_0 src1_sel:DWORD
	v_mov_b32_e32 v55, 0
	v_mov_b32_e32 v43, 0
	s_and_saveexec_b64 s[30:31], vcc
	s_cbranch_execz .LBB308_442
; %bb.437:                              ;   in Loop: Header=BB308_13 Depth=1
	v_cmp_ne_u16_sdwa vcc, v38, s39 src0_sel:BYTE_0 src1_sel:DWORD
	v_bfrev_b32_e32 v43, 1
	s_and_saveexec_b64 s[34:35], vcc
	s_cbranch_execz .LBB308_441
; %bb.438:                              ;   in Loop: Header=BB308_13 Depth=1
	v_bfe_u32 v5, v36, 16, 7
	v_cmp_ne_u32_e32 vcc, s40, v5
	v_mov_b32_e32 v43, 0x7fc02000
	s_and_saveexec_b64 s[36:37], vcc
	s_cbranch_execz .LBB308_440
; %bb.439:                              ;   in Loop: Header=BB308_13 Depth=1
	v_and_b32_e32 v6, 7, v38
	v_lshrrev_b32_e32 v12, 3, v5
	v_cmp_gt_u32_e32 vcc, 8, v5
	v_ffbh_u32_e32 v5, v6
	v_min_u32_e32 v5, 32, v5
	v_subrev_u32_e32 v8, 28, v5
	v_lshlrev_b64 v[8:9], v8, v[38:39]
	v_sub_u32_e32 v5, 29, v5
	v_and_b32_e32 v8, 7, v8
	v_cndmask_b32_e32 v5, v12, v5, vcc
	v_mov_b32_e32 v9, 0x2000
	v_cndmask_b32_e32 v6, v6, v8, vcc
	v_lshlrev_b32_e32 v8, 8, v38
	v_lshl_add_u32 v5, v5, 10, v9
	v_and_or_b32 v5, v8, s41, v5
	v_lshl_or_b32 v5, v6, 7, v5
	v_cvt_f32_f16_e32 v43, v5
.LBB308_440:                            ;   in Loop: Header=BB308_13 Depth=1
	s_or_b64 exec, exec, s[36:37]
.LBB308_441:                            ;   in Loop: Header=BB308_13 Depth=1
	s_or_b64 exec, exec, s[34:35]
.LBB308_442:                            ;   in Loop: Header=BB308_13 Depth=1
	s_or_b64 exec, exec, s[30:31]
	v_cmp_lt_u32_e32 vcc, s42, v36
	s_and_saveexec_b64 s[30:31], vcc
	s_cbranch_execz .LBB308_448
; %bb.443:                              ;   in Loop: Header=BB308_13 Depth=1
	v_lshrrev_b32_e32 v36, 24, v36
	v_cmp_ne_u32_e32 vcc, s39, v36
	v_bfrev_b32_e32 v55, 1
	s_and_saveexec_b64 s[34:35], vcc
	s_cbranch_execz .LBB308_447
; %bb.444:                              ;   in Loop: Header=BB308_13 Depth=1
	v_and_b32_e32 v5, 0x7f, v36
	v_cmp_ne_u32_e32 vcc, s40, v5
	v_mov_b32_e32 v55, 0x7fc02000
	s_and_saveexec_b64 s[36:37], vcc
	s_cbranch_execz .LBB308_446
; %bb.445:                              ;   in Loop: Header=BB308_13 Depth=1
	v_and_b32_e32 v6, 7, v36
	v_lshrrev_b32_e32 v12, 3, v5
	v_cmp_gt_u32_e32 vcc, 8, v5
	v_ffbh_u32_e32 v5, v6
	v_min_u32_e32 v5, 32, v5
	v_subrev_u32_e32 v8, 28, v5
	v_lshlrev_b64 v[8:9], v8, v[36:37]
	v_sub_u32_e32 v5, 29, v5
	v_and_b32_e32 v8, 7, v8
	v_cndmask_b32_e32 v5, v12, v5, vcc
	v_mov_b32_e32 v9, 0x2000
	v_cndmask_b32_e32 v6, v6, v8, vcc
	v_lshlrev_b32_e32 v8, 8, v36
	v_lshl_add_u32 v5, v5, 10, v9
	v_and_or_b32 v5, v8, s41, v5
	v_lshl_or_b32 v5, v6, 7, v5
	v_cvt_f32_f16_e32 v55, v5
.LBB308_446:                            ;   in Loop: Header=BB308_13 Depth=1
	s_or_b64 exec, exec, s[36:37]
.LBB308_447:                            ;   in Loop: Header=BB308_13 Depth=1
	s_or_b64 exec, exec, s[34:35]
.LBB308_448:                            ;   in Loop: Header=BB308_13 Depth=1
	s_or_b64 exec, exec, s[30:31]
	v_add_co_u32_e32 v8, vcc, 0x1000, v34
	v_addc_co_u32_e32 v9, vcc, 0, v35, vcc
	flat_load_dword v36, v[8:9] offset:512
	v_mov_b32_e32 v44, 0
	v_mov_b32_e32 v39, 0
	s_waitcnt vmcnt(0) lgkmcnt(0)
	v_cmp_ne_u16_sdwa vcc, v36, v41 src0_sel:BYTE_0 src1_sel:DWORD
	s_and_saveexec_b64 s[30:31], vcc
	s_cbranch_execz .LBB308_454
; %bb.449:                              ;   in Loop: Header=BB308_13 Depth=1
	v_cmp_ne_u16_sdwa vcc, v36, s39 src0_sel:BYTE_0 src1_sel:DWORD
	v_bfrev_b32_e32 v39, 1
	s_and_saveexec_b64 s[34:35], vcc
	s_cbranch_execz .LBB308_453
; %bb.450:                              ;   in Loop: Header=BB308_13 Depth=1
	v_and_b32_e32 v5, 0x7f, v36
	v_cmp_ne_u32_e32 vcc, s40, v5
	v_mov_b32_e32 v39, 0x7fc02000
	s_and_saveexec_b64 s[36:37], vcc
	s_cbranch_execz .LBB308_452
; %bb.451:                              ;   in Loop: Header=BB308_13 Depth=1
	v_and_b32_e32 v6, 7, v36
	v_lshrrev_b32_e32 v12, 3, v5
	v_cmp_gt_u32_e32 vcc, 8, v5
	v_ffbh_u32_e32 v5, v6
	v_min_u32_e32 v5, 32, v5
	v_subrev_u32_e32 v8, 28, v5
	v_lshlrev_b64 v[8:9], v8, v[36:37]
	v_sub_u32_e32 v5, 29, v5
	v_and_b32_e32 v8, 7, v8
	v_cndmask_b32_e32 v5, v12, v5, vcc
	v_mov_b32_e32 v9, 0x2000
	v_cndmask_b32_e32 v6, v6, v8, vcc
	v_lshlrev_b32_e32 v8, 8, v36
	v_lshl_add_u32 v5, v5, 10, v9
	v_and_or_b32 v5, v8, s41, v5
	v_lshl_or_b32 v5, v6, 7, v5
	v_cvt_f32_f16_e32 v39, v5
.LBB308_452:                            ;   in Loop: Header=BB308_13 Depth=1
	s_or_b64 exec, exec, s[36:37]
.LBB308_453:                            ;   in Loop: Header=BB308_13 Depth=1
	s_or_b64 exec, exec, s[34:35]
.LBB308_454:                            ;   in Loop: Header=BB308_13 Depth=1
	s_or_b64 exec, exec, s[30:31]
	v_lshrrev_b16_e32 v38, 8, v36
	v_cmp_ne_u16_e32 vcc, 0, v38
	s_and_saveexec_b64 s[30:31], vcc
	s_cbranch_execz .LBB308_460
; %bb.455:                              ;   in Loop: Header=BB308_13 Depth=1
	v_cmp_ne_u16_e32 vcc, s39, v38
	v_bfrev_b32_e32 v44, 1
	s_and_saveexec_b64 s[34:35], vcc
	s_cbranch_execz .LBB308_459
; %bb.456:                              ;   in Loop: Header=BB308_13 Depth=1
	v_and_b32_e32 v5, 0x7f, v38
	v_cmp_ne_u32_e32 vcc, s40, v5
	v_mov_b32_e32 v44, 0x7fc02000
	s_and_saveexec_b64 s[36:37], vcc
	s_cbranch_execz .LBB308_458
; %bb.457:                              ;   in Loop: Header=BB308_13 Depth=1
	v_and_b32_e32 v6, 7, v38
	v_lshrrev_b32_e32 v12, 3, v5
	v_cmp_gt_u32_e32 vcc, 8, v5
	v_ffbh_u32_e32 v5, v6
	v_min_u32_e32 v5, 32, v5
	v_subrev_u32_e32 v8, 28, v5
	v_lshlrev_b64 v[8:9], v8, v[38:39]
	v_sub_u32_e32 v5, 29, v5
	v_and_b32_e32 v8, 7, v8
	v_cndmask_b32_e32 v5, v12, v5, vcc
	v_mov_b32_e32 v9, 0x2000
	v_cndmask_b32_e32 v6, v6, v8, vcc
	v_lshlrev_b32_e32 v8, 8, v38
	v_lshl_add_u32 v5, v5, 10, v9
	v_and_or_b32 v5, v8, s41, v5
	v_lshl_or_b32 v5, v6, 7, v5
	v_cvt_f32_f16_e32 v44, v5
.LBB308_458:                            ;   in Loop: Header=BB308_13 Depth=1
	s_or_b64 exec, exec, s[36:37]
.LBB308_459:                            ;   in Loop: Header=BB308_13 Depth=1
	s_or_b64 exec, exec, s[34:35]
.LBB308_460:                            ;   in Loop: Header=BB308_13 Depth=1
	s_or_b64 exec, exec, s[30:31]
	v_lshrrev_b32_e32 v38, 16, v36
	v_cmp_ne_u16_sdwa vcc, v38, v41 src0_sel:BYTE_0 src1_sel:DWORD
	v_mov_b32_e32 v17, 0
	v_mov_b32_e32 v26, 0
	s_and_saveexec_b64 s[30:31], vcc
	s_cbranch_execz .LBB308_466
; %bb.461:                              ;   in Loop: Header=BB308_13 Depth=1
	v_cmp_ne_u16_sdwa vcc, v38, s39 src0_sel:BYTE_0 src1_sel:DWORD
	v_bfrev_b32_e32 v26, 1
	s_and_saveexec_b64 s[34:35], vcc
	s_cbranch_execz .LBB308_465
; %bb.462:                              ;   in Loop: Header=BB308_13 Depth=1
	v_bfe_u32 v5, v36, 16, 7
	v_cmp_ne_u32_e32 vcc, s40, v5
	v_mov_b32_e32 v26, 0x7fc02000
	s_and_saveexec_b64 s[36:37], vcc
	s_cbranch_execz .LBB308_464
; %bb.463:                              ;   in Loop: Header=BB308_13 Depth=1
	v_and_b32_e32 v6, 7, v38
	v_lshrrev_b32_e32 v12, 3, v5
	v_cmp_gt_u32_e32 vcc, 8, v5
	v_ffbh_u32_e32 v5, v6
	v_min_u32_e32 v5, 32, v5
	v_subrev_u32_e32 v8, 28, v5
	v_lshlrev_b64 v[8:9], v8, v[38:39]
	v_sub_u32_e32 v5, 29, v5
	v_and_b32_e32 v8, 7, v8
	v_cndmask_b32_e32 v5, v12, v5, vcc
	v_mov_b32_e32 v9, 0x2000
	v_cndmask_b32_e32 v6, v6, v8, vcc
	v_lshlrev_b32_e32 v8, 8, v38
	v_lshl_add_u32 v5, v5, 10, v9
	v_and_or_b32 v5, v8, s41, v5
	v_lshl_or_b32 v5, v6, 7, v5
	v_cvt_f32_f16_e32 v26, v5
.LBB308_464:                            ;   in Loop: Header=BB308_13 Depth=1
	s_or_b64 exec, exec, s[36:37]
.LBB308_465:                            ;   in Loop: Header=BB308_13 Depth=1
	s_or_b64 exec, exec, s[34:35]
.LBB308_466:                            ;   in Loop: Header=BB308_13 Depth=1
	s_or_b64 exec, exec, s[30:31]
	v_cmp_lt_u32_e32 vcc, s42, v36
	s_and_saveexec_b64 s[30:31], vcc
	s_cbranch_execz .LBB308_472
; %bb.467:                              ;   in Loop: Header=BB308_13 Depth=1
	v_lshrrev_b32_e32 v36, 24, v36
	v_cmp_ne_u32_e32 vcc, s39, v36
	v_bfrev_b32_e32 v17, 1
	s_and_saveexec_b64 s[34:35], vcc
	s_cbranch_execz .LBB308_471
; %bb.468:                              ;   in Loop: Header=BB308_13 Depth=1
	v_and_b32_e32 v5, 0x7f, v36
	v_cmp_ne_u32_e32 vcc, s40, v5
	v_mov_b32_e32 v17, 0x7fc02000
	s_and_saveexec_b64 s[36:37], vcc
	s_cbranch_execz .LBB308_470
; %bb.469:                              ;   in Loop: Header=BB308_13 Depth=1
	v_and_b32_e32 v6, 7, v36
	v_lshrrev_b32_e32 v12, 3, v5
	v_cmp_gt_u32_e32 vcc, 8, v5
	v_ffbh_u32_e32 v5, v6
	v_min_u32_e32 v5, 32, v5
	v_subrev_u32_e32 v8, 28, v5
	v_lshlrev_b64 v[8:9], v8, v[36:37]
	v_sub_u32_e32 v5, 29, v5
	v_and_b32_e32 v8, 7, v8
	v_cndmask_b32_e32 v5, v12, v5, vcc
	v_mov_b32_e32 v9, 0x2000
	v_cndmask_b32_e32 v6, v6, v8, vcc
	v_lshlrev_b32_e32 v8, 8, v36
	v_lshl_add_u32 v5, v5, 10, v9
	v_and_or_b32 v5, v8, s41, v5
	v_lshl_or_b32 v5, v6, 7, v5
	v_cvt_f32_f16_e32 v17, v5
.LBB308_470:                            ;   in Loop: Header=BB308_13 Depth=1
	s_or_b64 exec, exec, s[36:37]
.LBB308_471:                            ;   in Loop: Header=BB308_13 Depth=1
	s_or_b64 exec, exec, s[34:35]
.LBB308_472:                            ;   in Loop: Header=BB308_13 Depth=1
	s_or_b64 exec, exec, s[30:31]
	v_add_co_u32_e32 v8, vcc, 0x1200, v34
	v_addc_co_u32_e32 v9, vcc, 0, v35, vcc
	flat_load_dword v36, v[8:9] offset:8
	v_mov_b32_e32 v6, 0
	v_mov_b32_e32 v18, 0
	s_waitcnt vmcnt(0) lgkmcnt(0)
	v_cmp_ne_u16_sdwa vcc, v36, v41 src0_sel:BYTE_0 src1_sel:DWORD
	s_and_saveexec_b64 s[30:31], vcc
	s_cbranch_execz .LBB308_478
; %bb.473:                              ;   in Loop: Header=BB308_13 Depth=1
	v_cmp_ne_u16_sdwa vcc, v36, s39 src0_sel:BYTE_0 src1_sel:DWORD
	v_bfrev_b32_e32 v18, 1
	s_and_saveexec_b64 s[34:35], vcc
	s_cbranch_execz .LBB308_477
; %bb.474:                              ;   in Loop: Header=BB308_13 Depth=1
	v_and_b32_e32 v5, 0x7f, v36
	v_cmp_ne_u32_e32 vcc, s40, v5
	v_mov_b32_e32 v18, 0x7fc02000
	s_and_saveexec_b64 s[36:37], vcc
	s_cbranch_execz .LBB308_476
; %bb.475:                              ;   in Loop: Header=BB308_13 Depth=1
	v_and_b32_e32 v12, 7, v36
	v_lshrrev_b32_e32 v13, 3, v5
	v_cmp_gt_u32_e32 vcc, 8, v5
	v_ffbh_u32_e32 v5, v12
	v_min_u32_e32 v5, 32, v5
	v_subrev_u32_e32 v8, 28, v5
	v_lshlrev_b64 v[8:9], v8, v[36:37]
	v_sub_u32_e32 v5, 29, v5
	v_and_b32_e32 v8, 7, v8
	v_cndmask_b32_e32 v5, v13, v5, vcc
	v_cndmask_b32_e32 v8, v12, v8, vcc
	v_mov_b32_e32 v12, 0x2000
	v_lshlrev_b32_e32 v9, 8, v36
	v_lshl_add_u32 v5, v5, 10, v12
	v_and_or_b32 v5, v9, s41, v5
	v_lshl_or_b32 v5, v8, 7, v5
	v_cvt_f32_f16_e32 v18, v5
.LBB308_476:                            ;   in Loop: Header=BB308_13 Depth=1
	s_or_b64 exec, exec, s[36:37]
.LBB308_477:                            ;   in Loop: Header=BB308_13 Depth=1
	s_or_b64 exec, exec, s[34:35]
.LBB308_478:                            ;   in Loop: Header=BB308_13 Depth=1
	s_or_b64 exec, exec, s[30:31]
	v_lshrrev_b16_e32 v38, 8, v36
	v_cmp_ne_u16_e32 vcc, 0, v38
	s_and_saveexec_b64 s[30:31], vcc
	s_cbranch_execz .LBB308_484
; %bb.479:                              ;   in Loop: Header=BB308_13 Depth=1
	v_cmp_ne_u16_e32 vcc, s39, v38
	v_bfrev_b32_e32 v6, 1
	s_and_saveexec_b64 s[34:35], vcc
	s_cbranch_execz .LBB308_483
; %bb.480:                              ;   in Loop: Header=BB308_13 Depth=1
	v_and_b32_e32 v5, 0x7f, v38
	v_cmp_ne_u32_e32 vcc, s40, v5
	v_mov_b32_e32 v6, 0x7fc02000
	s_and_saveexec_b64 s[36:37], vcc
	s_cbranch_execz .LBB308_482
; %bb.481:                              ;   in Loop: Header=BB308_13 Depth=1
	v_and_b32_e32 v6, 7, v38
	v_lshrrev_b32_e32 v12, 3, v5
	v_cmp_gt_u32_e32 vcc, 8, v5
	v_ffbh_u32_e32 v5, v6
	v_min_u32_e32 v5, 32, v5
	v_subrev_u32_e32 v8, 28, v5
	v_lshlrev_b64 v[8:9], v8, v[38:39]
	v_sub_u32_e32 v5, 29, v5
	v_and_b32_e32 v8, 7, v8
	v_cndmask_b32_e32 v5, v12, v5, vcc
	v_mov_b32_e32 v9, 0x2000
	v_cndmask_b32_e32 v6, v6, v8, vcc
	v_lshlrev_b32_e32 v8, 8, v38
	v_lshl_add_u32 v5, v5, 10, v9
	v_and_or_b32 v5, v8, s41, v5
	v_lshl_or_b32 v5, v6, 7, v5
	v_cvt_f32_f16_e32 v6, v5
.LBB308_482:                            ;   in Loop: Header=BB308_13 Depth=1
	s_or_b64 exec, exec, s[36:37]
.LBB308_483:                            ;   in Loop: Header=BB308_13 Depth=1
	s_or_b64 exec, exec, s[34:35]
.LBB308_484:                            ;   in Loop: Header=BB308_13 Depth=1
	s_or_b64 exec, exec, s[30:31]
	v_lshrrev_b32_e32 v38, 16, v36
	v_cmp_ne_u16_sdwa vcc, v38, v41 src0_sel:BYTE_0 src1_sel:DWORD
	v_mov_b32_e32 v19, 0
	v_mov_b32_e32 v23, 0
	s_and_saveexec_b64 s[30:31], vcc
	s_cbranch_execz .LBB308_490
; %bb.485:                              ;   in Loop: Header=BB308_13 Depth=1
	v_cmp_ne_u16_sdwa vcc, v38, s39 src0_sel:BYTE_0 src1_sel:DWORD
	v_bfrev_b32_e32 v23, 1
	s_and_saveexec_b64 s[34:35], vcc
	s_cbranch_execz .LBB308_489
; %bb.486:                              ;   in Loop: Header=BB308_13 Depth=1
	v_bfe_u32 v5, v36, 16, 7
	v_cmp_ne_u32_e32 vcc, s40, v5
	v_mov_b32_e32 v23, 0x7fc02000
	s_and_saveexec_b64 s[36:37], vcc
	s_cbranch_execz .LBB308_488
; %bb.487:                              ;   in Loop: Header=BB308_13 Depth=1
	v_and_b32_e32 v12, 7, v38
	v_lshrrev_b32_e32 v13, 3, v5
	v_cmp_gt_u32_e32 vcc, 8, v5
	v_ffbh_u32_e32 v5, v12
	v_min_u32_e32 v5, 32, v5
	v_subrev_u32_e32 v8, 28, v5
	v_lshlrev_b64 v[8:9], v8, v[38:39]
	v_sub_u32_e32 v5, 29, v5
	v_and_b32_e32 v8, 7, v8
	v_cndmask_b32_e32 v5, v13, v5, vcc
	v_cndmask_b32_e32 v8, v12, v8, vcc
	v_mov_b32_e32 v12, 0x2000
	v_lshlrev_b32_e32 v9, 8, v38
	v_lshl_add_u32 v5, v5, 10, v12
	v_and_or_b32 v5, v9, s41, v5
	v_lshl_or_b32 v5, v8, 7, v5
	v_cvt_f32_f16_e32 v23, v5
.LBB308_488:                            ;   in Loop: Header=BB308_13 Depth=1
	s_or_b64 exec, exec, s[36:37]
.LBB308_489:                            ;   in Loop: Header=BB308_13 Depth=1
	s_or_b64 exec, exec, s[34:35]
.LBB308_490:                            ;   in Loop: Header=BB308_13 Depth=1
	s_or_b64 exec, exec, s[30:31]
	v_cmp_lt_u32_e32 vcc, s42, v36
	s_and_saveexec_b64 s[30:31], vcc
	s_cbranch_execz .LBB308_496
; %bb.491:                              ;   in Loop: Header=BB308_13 Depth=1
	v_lshrrev_b32_e32 v36, 24, v36
	v_cmp_ne_u32_e32 vcc, s39, v36
	v_bfrev_b32_e32 v19, 1
	s_and_saveexec_b64 s[34:35], vcc
	s_cbranch_execz .LBB308_495
; %bb.492:                              ;   in Loop: Header=BB308_13 Depth=1
	v_and_b32_e32 v5, 0x7f, v36
	v_cmp_ne_u32_e32 vcc, s40, v5
	v_mov_b32_e32 v19, 0x7fc02000
	s_and_saveexec_b64 s[36:37], vcc
	s_cbranch_execz .LBB308_494
; %bb.493:                              ;   in Loop: Header=BB308_13 Depth=1
	v_and_b32_e32 v12, 7, v36
	v_lshrrev_b32_e32 v13, 3, v5
	v_cmp_gt_u32_e32 vcc, 8, v5
	v_ffbh_u32_e32 v5, v12
	v_min_u32_e32 v5, 32, v5
	v_subrev_u32_e32 v8, 28, v5
	v_lshlrev_b64 v[8:9], v8, v[36:37]
	v_sub_u32_e32 v5, 29, v5
	v_and_b32_e32 v8, 7, v8
	v_cndmask_b32_e32 v5, v13, v5, vcc
	v_cndmask_b32_e32 v8, v12, v8, vcc
	v_mov_b32_e32 v12, 0x2000
	v_lshlrev_b32_e32 v9, 8, v36
	v_lshl_add_u32 v5, v5, 10, v12
	v_and_or_b32 v5, v9, s41, v5
	v_lshl_or_b32 v5, v8, 7, v5
	v_cvt_f32_f16_e32 v19, v5
.LBB308_494:                            ;   in Loop: Header=BB308_13 Depth=1
	s_or_b64 exec, exec, s[36:37]
.LBB308_495:                            ;   in Loop: Header=BB308_13 Depth=1
	s_or_b64 exec, exec, s[34:35]
.LBB308_496:                            ;   in Loop: Header=BB308_13 Depth=1
	s_or_b64 exec, exec, s[30:31]
	v_add_co_u32_e32 v8, vcc, 0x1000, v34
	v_addc_co_u32_e32 v9, vcc, 0, v35, vcc
	flat_load_dword v36, v[8:9] offset:1024
	v_mov_b32_e32 v8, 0
	v_mov_b32_e32 v9, 0
	s_waitcnt vmcnt(0) lgkmcnt(0)
	v_cmp_ne_u16_sdwa vcc, v36, v41 src0_sel:BYTE_0 src1_sel:DWORD
	s_and_saveexec_b64 s[30:31], vcc
	s_cbranch_execz .LBB308_502
; %bb.497:                              ;   in Loop: Header=BB308_13 Depth=1
	v_cmp_ne_u16_sdwa vcc, v36, s39 src0_sel:BYTE_0 src1_sel:DWORD
	v_bfrev_b32_e32 v9, 1
	s_and_saveexec_b64 s[34:35], vcc
	s_cbranch_execz .LBB308_501
; %bb.498:                              ;   in Loop: Header=BB308_13 Depth=1
	v_and_b32_e32 v5, 0x7f, v36
	v_cmp_ne_u32_e32 vcc, s40, v5
	v_mov_b32_e32 v9, 0x7fc02000
	s_and_saveexec_b64 s[36:37], vcc
	s_cbranch_execz .LBB308_500
; %bb.499:                              ;   in Loop: Header=BB308_13 Depth=1
	v_and_b32_e32 v9, 7, v36
	v_lshrrev_b32_e32 v22, 3, v5
	v_cmp_gt_u32_e32 vcc, 8, v5
	v_ffbh_u32_e32 v5, v9
	v_min_u32_e32 v5, 32, v5
	v_subrev_u32_e32 v12, 28, v5
	v_lshlrev_b64 v[12:13], v12, v[36:37]
	v_sub_u32_e32 v5, 29, v5
	v_and_b32_e32 v12, 7, v12
	v_cndmask_b32_e32 v5, v22, v5, vcc
	v_mov_b32_e32 v13, 0x2000
	v_cndmask_b32_e32 v9, v9, v12, vcc
	v_lshlrev_b32_e32 v12, 8, v36
	v_lshl_add_u32 v5, v5, 10, v13
	v_and_or_b32 v5, v12, s41, v5
	v_lshl_or_b32 v5, v9, 7, v5
	v_cvt_f32_f16_e32 v9, v5
.LBB308_500:                            ;   in Loop: Header=BB308_13 Depth=1
	s_or_b64 exec, exec, s[36:37]
.LBB308_501:                            ;   in Loop: Header=BB308_13 Depth=1
	s_or_b64 exec, exec, s[34:35]
.LBB308_502:                            ;   in Loop: Header=BB308_13 Depth=1
	s_or_b64 exec, exec, s[30:31]
	v_lshrrev_b16_e32 v38, 8, v36
	v_cmp_ne_u16_e32 vcc, 0, v38
	s_and_saveexec_b64 s[30:31], vcc
	s_cbranch_execz .LBB308_508
; %bb.503:                              ;   in Loop: Header=BB308_13 Depth=1
	v_cmp_ne_u16_e32 vcc, s39, v38
	v_bfrev_b32_e32 v8, 1
	s_and_saveexec_b64 s[34:35], vcc
	s_cbranch_execz .LBB308_507
; %bb.504:                              ;   in Loop: Header=BB308_13 Depth=1
	v_and_b32_e32 v5, 0x7f, v38
	v_cmp_ne_u32_e32 vcc, s40, v5
	v_mov_b32_e32 v8, 0x7fc02000
	s_and_saveexec_b64 s[36:37], vcc
	s_cbranch_execz .LBB308_506
; %bb.505:                              ;   in Loop: Header=BB308_13 Depth=1
	v_and_b32_e32 v8, 7, v38
	v_lshrrev_b32_e32 v22, 3, v5
	v_cmp_gt_u32_e32 vcc, 8, v5
	v_ffbh_u32_e32 v5, v8
	v_min_u32_e32 v5, 32, v5
	v_subrev_u32_e32 v12, 28, v5
	v_lshlrev_b64 v[12:13], v12, v[38:39]
	v_sub_u32_e32 v5, 29, v5
	v_and_b32_e32 v12, 7, v12
	v_cndmask_b32_e32 v5, v22, v5, vcc
	v_mov_b32_e32 v13, 0x2000
	v_cndmask_b32_e32 v8, v8, v12, vcc
	v_lshlrev_b32_e32 v12, 8, v38
	v_lshl_add_u32 v5, v5, 10, v13
	v_and_or_b32 v5, v12, s41, v5
	v_lshl_or_b32 v5, v8, 7, v5
	v_cvt_f32_f16_e32 v8, v5
.LBB308_506:                            ;   in Loop: Header=BB308_13 Depth=1
	s_or_b64 exec, exec, s[36:37]
.LBB308_507:                            ;   in Loop: Header=BB308_13 Depth=1
	s_or_b64 exec, exec, s[34:35]
.LBB308_508:                            ;   in Loop: Header=BB308_13 Depth=1
	s_or_b64 exec, exec, s[30:31]
	v_lshrrev_b32_e32 v38, 16, v36
	v_cmp_ne_u16_sdwa vcc, v38, v41 src0_sel:BYTE_0 src1_sel:DWORD
	v_mov_b32_e32 v12, 0
	v_mov_b32_e32 v13, 0
	s_and_saveexec_b64 s[30:31], vcc
	s_cbranch_execz .LBB308_514
; %bb.509:                              ;   in Loop: Header=BB308_13 Depth=1
	v_cmp_ne_u16_sdwa vcc, v38, s39 src0_sel:BYTE_0 src1_sel:DWORD
	v_bfrev_b32_e32 v13, 1
	s_and_saveexec_b64 s[34:35], vcc
	s_cbranch_execz .LBB308_513
; %bb.510:                              ;   in Loop: Header=BB308_13 Depth=1
	v_bfe_u32 v5, v36, 16, 7
	v_cmp_ne_u32_e32 vcc, s40, v5
	v_mov_b32_e32 v13, 0x7fc02000
	s_and_saveexec_b64 s[36:37], vcc
	s_cbranch_execz .LBB308_512
; %bb.511:                              ;   in Loop: Header=BB308_13 Depth=1
	v_and_b32_e32 v13, 7, v38
	v_lshrrev_b32_e32 v22, 3, v5
	v_cmp_gt_u32_e32 vcc, 8, v5
	v_ffbh_u32_e32 v5, v13
	v_min_u32_e32 v5, 32, v5
	v_subrev_u32_e32 v24, 28, v5
	v_lshlrev_b64 v[48:49], v24, v[38:39]
	v_sub_u32_e32 v5, 29, v5
	v_and_b32_e32 v24, 7, v48
	v_cndmask_b32_e32 v5, v22, v5, vcc
	v_cndmask_b32_e32 v13, v13, v24, vcc
	v_mov_b32_e32 v24, 0x2000
	v_lshlrev_b32_e32 v22, 8, v38
	v_lshl_add_u32 v5, v5, 10, v24
	v_and_or_b32 v5, v22, s41, v5
	v_lshl_or_b32 v5, v13, 7, v5
	v_cvt_f32_f16_e32 v13, v5
.LBB308_512:                            ;   in Loop: Header=BB308_13 Depth=1
	s_or_b64 exec, exec, s[36:37]
.LBB308_513:                            ;   in Loop: Header=BB308_13 Depth=1
	s_or_b64 exec, exec, s[34:35]
.LBB308_514:                            ;   in Loop: Header=BB308_13 Depth=1
	s_or_b64 exec, exec, s[30:31]
	v_cmp_lt_u32_e32 vcc, s42, v36
	s_and_saveexec_b64 s[30:31], vcc
	s_cbranch_execz .LBB308_520
; %bb.515:                              ;   in Loop: Header=BB308_13 Depth=1
	v_lshrrev_b32_e32 v36, 24, v36
	v_cmp_ne_u32_e32 vcc, s39, v36
	v_bfrev_b32_e32 v12, 1
	s_and_saveexec_b64 s[34:35], vcc
	s_cbranch_execz .LBB308_519
; %bb.516:                              ;   in Loop: Header=BB308_13 Depth=1
	v_and_b32_e32 v5, 0x7f, v36
	v_cmp_ne_u32_e32 vcc, s40, v5
	v_mov_b32_e32 v12, 0x7fc02000
	s_and_saveexec_b64 s[36:37], vcc
	s_cbranch_execz .LBB308_518
; %bb.517:                              ;   in Loop: Header=BB308_13 Depth=1
	v_and_b32_e32 v12, 7, v36
	v_lshrrev_b32_e32 v22, 3, v5
	v_cmp_gt_u32_e32 vcc, 8, v5
	v_ffbh_u32_e32 v5, v12
	v_min_u32_e32 v5, 32, v5
	v_subrev_u32_e32 v24, 28, v5
	v_lshlrev_b64 v[48:49], v24, v[36:37]
	v_sub_u32_e32 v5, 29, v5
	v_and_b32_e32 v24, 7, v48
	v_cndmask_b32_e32 v5, v22, v5, vcc
	v_cndmask_b32_e32 v12, v12, v24, vcc
	v_mov_b32_e32 v24, 0x2000
	v_lshlrev_b32_e32 v22, 8, v36
	v_lshl_add_u32 v5, v5, 10, v24
	v_and_or_b32 v5, v22, s41, v5
	v_lshl_or_b32 v5, v12, 7, v5
	v_cvt_f32_f16_e32 v12, v5
.LBB308_518:                            ;   in Loop: Header=BB308_13 Depth=1
	s_or_b64 exec, exec, s[36:37]
.LBB308_519:                            ;   in Loop: Header=BB308_13 Depth=1
	s_or_b64 exec, exec, s[34:35]
.LBB308_520:                            ;   in Loop: Header=BB308_13 Depth=1
	s_or_b64 exec, exec, s[30:31]
	v_add_co_u32_e32 v48, vcc, 0x1400, v34
	v_addc_co_u32_e32 v49, vcc, 0, v35, vcc
	flat_load_dword v36, v[48:49] offset:8
	v_mov_b32_e32 v22, 0
	v_mov_b32_e32 v28, 0
	s_waitcnt vmcnt(0) lgkmcnt(0)
	v_cmp_ne_u16_sdwa vcc, v36, v41 src0_sel:BYTE_0 src1_sel:DWORD
	s_and_saveexec_b64 s[30:31], vcc
	s_cbranch_execz .LBB308_526
; %bb.521:                              ;   in Loop: Header=BB308_13 Depth=1
	v_cmp_ne_u16_sdwa vcc, v36, s39 src0_sel:BYTE_0 src1_sel:DWORD
	v_bfrev_b32_e32 v28, 1
	s_and_saveexec_b64 s[34:35], vcc
	s_cbranch_execz .LBB308_525
; %bb.522:                              ;   in Loop: Header=BB308_13 Depth=1
	v_and_b32_e32 v5, 0x7f, v36
	v_cmp_ne_u32_e32 vcc, s40, v5
	v_mov_b32_e32 v28, 0x7fc02000
	s_and_saveexec_b64 s[36:37], vcc
	s_cbranch_execz .LBB308_524
; %bb.523:                              ;   in Loop: Header=BB308_13 Depth=1
	v_and_b32_e32 v24, 7, v36
	v_lshrrev_b32_e32 v28, 3, v5
	v_cmp_gt_u32_e32 vcc, 8, v5
	v_ffbh_u32_e32 v5, v24
	v_min_u32_e32 v5, 32, v5
	v_subrev_u32_e32 v38, 28, v5
	v_lshlrev_b64 v[48:49], v38, v[36:37]
	v_sub_u32_e32 v5, 29, v5
	v_and_b32_e32 v38, 7, v48
	v_cndmask_b32_e32 v5, v28, v5, vcc
	v_cndmask_b32_e32 v24, v24, v38, vcc
	v_mov_b32_e32 v38, 0x2000
	v_lshlrev_b32_e32 v28, 8, v36
	v_lshl_add_u32 v5, v5, 10, v38
	v_and_or_b32 v5, v28, s41, v5
	v_lshl_or_b32 v5, v24, 7, v5
	v_cvt_f32_f16_e32 v28, v5
.LBB308_524:                            ;   in Loop: Header=BB308_13 Depth=1
	s_or_b64 exec, exec, s[36:37]
.LBB308_525:                            ;   in Loop: Header=BB308_13 Depth=1
	s_or_b64 exec, exec, s[34:35]
.LBB308_526:                            ;   in Loop: Header=BB308_13 Depth=1
	s_or_b64 exec, exec, s[30:31]
	v_lshrrev_b16_e32 v38, 8, v36
	v_cmp_ne_u16_e32 vcc, 0, v38
	s_and_saveexec_b64 s[30:31], vcc
	s_cbranch_execz .LBB308_532
; %bb.527:                              ;   in Loop: Header=BB308_13 Depth=1
	v_cmp_ne_u16_e32 vcc, s39, v38
	v_bfrev_b32_e32 v22, 1
	s_and_saveexec_b64 s[34:35], vcc
	s_cbranch_execz .LBB308_531
; %bb.528:                              ;   in Loop: Header=BB308_13 Depth=1
	v_and_b32_e32 v5, 0x7f, v38
	v_cmp_ne_u32_e32 vcc, s40, v5
	v_mov_b32_e32 v22, 0x7fc02000
	s_and_saveexec_b64 s[36:37], vcc
	s_cbranch_execz .LBB308_530
; %bb.529:                              ;   in Loop: Header=BB308_13 Depth=1
	v_and_b32_e32 v22, 7, v38
	v_lshrrev_b32_e32 v24, 3, v5
	v_cmp_gt_u32_e32 vcc, 8, v5
	v_ffbh_u32_e32 v5, v22
	v_min_u32_e32 v5, 32, v5
	v_subrev_u32_e32 v48, 28, v5
	v_sub_u32_e32 v5, 29, v5
	v_lshlrev_b64 v[48:49], v48, v[38:39]
	v_cndmask_b32_e32 v5, v24, v5, vcc
	v_lshlrev_b32_e32 v24, 8, v38
	v_mov_b32_e32 v38, 0x2000
	v_and_b32_e32 v48, 7, v48
	v_lshl_add_u32 v5, v5, 10, v38
	v_cndmask_b32_e32 v22, v22, v48, vcc
	v_and_or_b32 v5, v24, s41, v5
	v_lshl_or_b32 v5, v22, 7, v5
	v_cvt_f32_f16_e32 v22, v5
.LBB308_530:                            ;   in Loop: Header=BB308_13 Depth=1
	s_or_b64 exec, exec, s[36:37]
.LBB308_531:                            ;   in Loop: Header=BB308_13 Depth=1
	s_or_b64 exec, exec, s[34:35]
.LBB308_532:                            ;   in Loop: Header=BB308_13 Depth=1
	s_or_b64 exec, exec, s[30:31]
	v_lshrrev_b32_e32 v38, 16, v36
	v_cmp_ne_u16_sdwa vcc, v38, v41 src0_sel:BYTE_0 src1_sel:DWORD
	v_mov_b32_e32 v49, 0
	v_mov_b32_e32 v50, 0
	s_and_saveexec_b64 s[30:31], vcc
	s_cbranch_execz .LBB308_538
; %bb.533:                              ;   in Loop: Header=BB308_13 Depth=1
	v_cmp_ne_u16_sdwa vcc, v38, s39 src0_sel:BYTE_0 src1_sel:DWORD
	v_bfrev_b32_e32 v50, 1
	s_and_saveexec_b64 s[34:35], vcc
	s_cbranch_execz .LBB308_537
; %bb.534:                              ;   in Loop: Header=BB308_13 Depth=1
	v_bfe_u32 v5, v36, 16, 7
	v_cmp_ne_u32_e32 vcc, s40, v5
	v_mov_b32_e32 v50, 0x7fc02000
	s_and_saveexec_b64 s[36:37], vcc
	s_cbranch_execz .LBB308_536
; %bb.535:                              ;   in Loop: Header=BB308_13 Depth=1
	v_and_b32_e32 v24, 7, v38
	v_lshrrev_b32_e32 v48, 3, v5
	v_cmp_gt_u32_e32 vcc, 8, v5
	v_ffbh_u32_e32 v5, v24
	v_min_u32_e32 v5, 32, v5
	v_subrev_u32_e32 v50, 28, v5
	v_sub_u32_e32 v5, 29, v5
	v_lshlrev_b64 v[46:47], v50, v[38:39]
	v_cndmask_b32_e32 v5, v48, v5, vcc
	v_mov_b32_e32 v48, 0x2000
	v_and_b32_e32 v50, 7, v46
	v_lshlrev_b32_e32 v38, 8, v38
	v_lshl_add_u32 v5, v5, 10, v48
	v_cndmask_b32_e32 v24, v24, v50, vcc
	v_and_or_b32 v5, v38, s41, v5
	v_lshl_or_b32 v5, v24, 7, v5
	v_cvt_f32_f16_e32 v50, v5
.LBB308_536:                            ;   in Loop: Header=BB308_13 Depth=1
	s_or_b64 exec, exec, s[36:37]
.LBB308_537:                            ;   in Loop: Header=BB308_13 Depth=1
	s_or_b64 exec, exec, s[34:35]
.LBB308_538:                            ;   in Loop: Header=BB308_13 Depth=1
	s_or_b64 exec, exec, s[30:31]
	v_cmp_lt_u32_e32 vcc, s42, v36
	s_and_saveexec_b64 s[30:31], vcc
	s_cbranch_execz .LBB308_544
; %bb.539:                              ;   in Loop: Header=BB308_13 Depth=1
	v_lshrrev_b32_e32 v36, 24, v36
	v_cmp_ne_u32_e32 vcc, s39, v36
	v_bfrev_b32_e32 v49, 1
	s_and_saveexec_b64 s[34:35], vcc
	s_cbranch_execz .LBB308_543
; %bb.540:                              ;   in Loop: Header=BB308_13 Depth=1
	v_and_b32_e32 v5, 0x7f, v36
	v_cmp_ne_u32_e32 vcc, s40, v5
	v_mov_b32_e32 v49, 0x7fc02000
	s_and_saveexec_b64 s[36:37], vcc
	s_cbranch_execz .LBB308_542
; %bb.541:                              ;   in Loop: Header=BB308_13 Depth=1
	v_and_b32_e32 v24, 7, v36
	v_lshrrev_b32_e32 v38, 3, v5
	v_cmp_gt_u32_e32 vcc, 8, v5
	v_ffbh_u32_e32 v5, v24
	v_min_u32_e32 v5, 32, v5
	v_subrev_u32_e32 v48, 28, v5
	v_sub_u32_e32 v5, 29, v5
	v_lshlrev_b64 v[48:49], v48, v[36:37]
	v_cndmask_b32_e32 v5, v38, v5, vcc
	v_mov_b32_e32 v38, 0x2000
	v_and_b32_e32 v48, 7, v48
	v_lshlrev_b32_e32 v36, 8, v36
	v_lshl_add_u32 v5, v5, 10, v38
	v_cndmask_b32_e32 v24, v24, v48, vcc
	v_and_or_b32 v5, v36, s41, v5
	v_lshl_or_b32 v5, v24, 7, v5
	v_cvt_f32_f16_e32 v49, v5
.LBB308_542:                            ;   in Loop: Header=BB308_13 Depth=1
	s_or_b64 exec, exec, s[36:37]
.LBB308_543:                            ;   in Loop: Header=BB308_13 Depth=1
	s_or_b64 exec, exec, s[34:35]
.LBB308_544:                            ;   in Loop: Header=BB308_13 Depth=1
	s_or_b64 exec, exec, s[30:31]
	v_add_co_u32_e32 v46, vcc, 0x1000, v34
	v_addc_co_u32_e32 v47, vcc, 0, v35, vcc
	flat_load_dword v36, v[46:47] offset:1536
	v_mov_b32_e32 v48, 0
	v_mov_b32_e32 v54, 0
	s_waitcnt vmcnt(0) lgkmcnt(0)
	v_cmp_ne_u16_sdwa vcc, v36, v41 src0_sel:BYTE_0 src1_sel:DWORD
	s_and_saveexec_b64 s[30:31], vcc
	s_cbranch_execz .LBB308_550
; %bb.545:                              ;   in Loop: Header=BB308_13 Depth=1
	v_cmp_ne_u16_sdwa vcc, v36, s39 src0_sel:BYTE_0 src1_sel:DWORD
	v_bfrev_b32_e32 v54, 1
	s_and_saveexec_b64 s[34:35], vcc
	s_cbranch_execz .LBB308_549
; %bb.546:                              ;   in Loop: Header=BB308_13 Depth=1
	v_and_b32_e32 v5, 0x7f, v36
	v_cmp_ne_u32_e32 vcc, s40, v5
	v_mov_b32_e32 v54, 0x7fc02000
	s_and_saveexec_b64 s[36:37], vcc
	s_cbranch_execz .LBB308_548
; %bb.547:                              ;   in Loop: Header=BB308_13 Depth=1
	v_and_b32_e32 v24, 7, v36
	v_lshrrev_b32_e32 v38, 3, v5
	v_cmp_gt_u32_e32 vcc, 8, v5
	v_ffbh_u32_e32 v5, v24
	v_min_u32_e32 v5, 32, v5
	v_subrev_u32_e32 v54, 28, v5
	v_lshlrev_b64 v[46:47], v54, v[36:37]
	v_sub_u32_e32 v5, 29, v5
	v_and_b32_e32 v54, 7, v46
	v_cndmask_b32_e32 v5, v38, v5, vcc
	v_cndmask_b32_e32 v24, v24, v54, vcc
	v_mov_b32_e32 v54, 0x2000
	v_lshlrev_b32_e32 v38, 8, v36
	v_lshl_add_u32 v5, v5, 10, v54
	v_and_or_b32 v5, v38, s41, v5
	v_lshl_or_b32 v5, v24, 7, v5
	v_cvt_f32_f16_e32 v54, v5
.LBB308_548:                            ;   in Loop: Header=BB308_13 Depth=1
	s_or_b64 exec, exec, s[36:37]
.LBB308_549:                            ;   in Loop: Header=BB308_13 Depth=1
	s_or_b64 exec, exec, s[34:35]
.LBB308_550:                            ;   in Loop: Header=BB308_13 Depth=1
	s_or_b64 exec, exec, s[30:31]
	v_lshrrev_b16_e32 v38, 8, v36
	v_cmp_ne_u16_e32 vcc, 0, v38
	s_and_saveexec_b64 s[30:31], vcc
	s_cbranch_execz .LBB308_556
; %bb.551:                              ;   in Loop: Header=BB308_13 Depth=1
	v_cmp_ne_u16_e32 vcc, s39, v38
	v_bfrev_b32_e32 v48, 1
	s_and_saveexec_b64 s[34:35], vcc
	s_cbranch_execz .LBB308_555
; %bb.552:                              ;   in Loop: Header=BB308_13 Depth=1
	v_and_b32_e32 v5, 0x7f, v38
	v_cmp_ne_u32_e32 vcc, s40, v5
	v_mov_b32_e32 v48, 0x7fc02000
	s_and_saveexec_b64 s[36:37], vcc
	s_cbranch_execz .LBB308_554
; %bb.553:                              ;   in Loop: Header=BB308_13 Depth=1
	v_and_b32_e32 v24, 7, v38
	v_lshrrev_b32_e32 v48, 3, v5
	v_cmp_gt_u32_e32 vcc, 8, v5
	v_ffbh_u32_e32 v5, v24
	v_min_u32_e32 v5, 32, v5
	v_subrev_u32_e32 v40, 28, v5
	v_sub_u32_e32 v5, 29, v5
	v_lshlrev_b64 v[46:47], v40, v[38:39]
	v_cndmask_b32_e32 v5, v48, v5, vcc
	v_mov_b32_e32 v48, 0x2000
	v_and_b32_e32 v40, 7, v46
	v_lshlrev_b32_e32 v38, 8, v38
	v_lshl_add_u32 v5, v5, 10, v48
	v_cndmask_b32_e32 v24, v24, v40, vcc
	v_and_or_b32 v5, v38, s41, v5
	v_lshl_or_b32 v5, v24, 7, v5
	v_cvt_f32_f16_e32 v48, v5
.LBB308_554:                            ;   in Loop: Header=BB308_13 Depth=1
	s_or_b64 exec, exec, s[36:37]
.LBB308_555:                            ;   in Loop: Header=BB308_13 Depth=1
	s_or_b64 exec, exec, s[34:35]
.LBB308_556:                            ;   in Loop: Header=BB308_13 Depth=1
	s_or_b64 exec, exec, s[30:31]
	v_lshrrev_b32_e32 v38, 16, v36
	v_mov_b32_e32 v40, 0
	v_mov_b32_e32 v42, 0
	v_cmp_ne_u16_sdwa vcc, v38, v41 src0_sel:BYTE_0 src1_sel:DWORD
	s_mov_b64 s[30:31], exec
	s_and_b64 vcc, s[30:31], vcc
	v_accvgpr_write_b32 a52, v56
	s_mov_b64 exec, vcc
	s_cbranch_execz .LBB308_562
; %bb.557:                              ;   in Loop: Header=BB308_13 Depth=1
	v_cmp_ne_u16_sdwa vcc, v38, s39 src0_sel:BYTE_0 src1_sel:DWORD
	v_bfrev_b32_e32 v42, 1
	s_and_saveexec_b64 s[34:35], vcc
	s_cbranch_execz .LBB308_561
; %bb.558:                              ;   in Loop: Header=BB308_13 Depth=1
	v_bfe_u32 v5, v36, 16, 7
	v_cmp_ne_u32_e32 vcc, s40, v5
	v_mov_b32_e32 v42, 0x7fc02000
	s_and_saveexec_b64 s[36:37], vcc
	s_cbranch_execz .LBB308_560
; %bb.559:                              ;   in Loop: Header=BB308_13 Depth=1
	v_and_b32_e32 v24, 7, v38
	v_lshrrev_b32_e32 v42, 3, v5
	v_cmp_gt_u32_e32 vcc, 8, v5
	v_ffbh_u32_e32 v5, v24
	v_min_u32_e32 v5, 32, v5
	v_mov_b32_e32 v56, v45
	v_subrev_u32_e32 v45, 28, v5
	v_sub_u32_e32 v5, 29, v5
	v_lshlrev_b64 v[46:47], v45, v[38:39]
	v_cndmask_b32_e32 v5, v42, v5, vcc
	v_mov_b32_e32 v42, 0x2000
	v_and_b32_e32 v45, 7, v46
	v_lshlrev_b32_e32 v38, 8, v38
	v_lshl_add_u32 v5, v5, 10, v42
	v_cndmask_b32_e32 v24, v24, v45, vcc
	v_and_or_b32 v5, v38, s41, v5
	v_lshl_or_b32 v5, v24, 7, v5
	v_cvt_f32_f16_e32 v42, v5
	v_mov_b32_e32 v45, v56
.LBB308_560:                            ;   in Loop: Header=BB308_13 Depth=1
	s_or_b64 exec, exec, s[36:37]
.LBB308_561:                            ;   in Loop: Header=BB308_13 Depth=1
	s_or_b64 exec, exec, s[34:35]
.LBB308_562:                            ;   in Loop: Header=BB308_13 Depth=1
	s_or_b64 exec, exec, s[30:31]
	v_cmp_lt_u32_e32 vcc, s42, v36
	s_and_saveexec_b64 s[30:31], vcc
	s_cbranch_execz .LBB308_568
; %bb.563:                              ;   in Loop: Header=BB308_13 Depth=1
	v_lshrrev_b32_e32 v36, 24, v36
	v_cmp_ne_u32_e32 vcc, s39, v36
	v_bfrev_b32_e32 v40, 1
	s_and_saveexec_b64 s[34:35], vcc
	s_cbranch_execz .LBB308_567
; %bb.564:                              ;   in Loop: Header=BB308_13 Depth=1
	v_and_b32_e32 v5, 0x7f, v36
	v_cmp_ne_u32_e32 vcc, s40, v5
	v_mov_b32_e32 v40, 0x7fc02000
	s_and_saveexec_b64 s[36:37], vcc
	s_cbranch_execz .LBB308_566
; %bb.565:                              ;   in Loop: Header=BB308_13 Depth=1
	v_and_b32_e32 v24, 7, v36
	v_lshrrev_b32_e32 v38, 3, v5
	v_cmp_gt_u32_e32 vcc, 8, v5
	v_ffbh_u32_e32 v5, v24
	v_min_u32_e32 v5, 32, v5
	v_subrev_u32_e32 v40, 28, v5
	v_sub_u32_e32 v5, 29, v5
	v_lshlrev_b64 v[46:47], v40, v[36:37]
	v_cndmask_b32_e32 v5, v38, v5, vcc
	v_mov_b32_e32 v38, 0x2000
	v_and_b32_e32 v40, 7, v46
	v_lshlrev_b32_e32 v36, 8, v36
	v_lshl_add_u32 v5, v5, 10, v38
	v_cndmask_b32_e32 v24, v24, v40, vcc
	v_and_or_b32 v5, v36, s41, v5
	v_lshl_or_b32 v5, v24, 7, v5
	v_cvt_f32_f16_e32 v40, v5
.LBB308_566:                            ;   in Loop: Header=BB308_13 Depth=1
	s_or_b64 exec, exec, s[36:37]
.LBB308_567:                            ;   in Loop: Header=BB308_13 Depth=1
	s_or_b64 exec, exec, s[34:35]
.LBB308_568:                            ;   in Loop: Header=BB308_13 Depth=1
	s_or_b64 exec, exec, s[30:31]
	v_add_co_u32_e32 v34, vcc, 0x1600, v34
	v_addc_co_u32_e32 v35, vcc, 0, v35, vcc
	flat_load_dword v34, v[34:35] offset:8
	v_mov_b32_e32 v38, 0
	v_mov_b32_e32 v24, 0
	s_waitcnt vmcnt(0) lgkmcnt(0)
	v_cmp_ne_u16_sdwa vcc, v34, v41 src0_sel:BYTE_0 src1_sel:DWORD
	s_and_saveexec_b64 s[30:31], vcc
	s_cbranch_execz .LBB308_574
; %bb.569:                              ;   in Loop: Header=BB308_13 Depth=1
	v_cmp_ne_u16_sdwa vcc, v34, s39 src0_sel:BYTE_0 src1_sel:DWORD
	v_bfrev_b32_e32 v24, 1
	s_and_saveexec_b64 s[34:35], vcc
	s_cbranch_execz .LBB308_573
; %bb.570:                              ;   in Loop: Header=BB308_13 Depth=1
	v_and_b32_e32 v5, 0x7f, v34
	v_cmp_ne_u32_e32 vcc, s40, v5
	v_mov_b32_e32 v24, 0x7fc02000
	s_and_saveexec_b64 s[36:37], vcc
	s_cbranch_execz .LBB308_572
; %bb.571:                              ;   in Loop: Header=BB308_13 Depth=1
	v_and_b32_e32 v24, 7, v34
	v_lshrrev_b32_e32 v35, 3, v5
	v_cmp_gt_u32_e32 vcc, 8, v5
	v_ffbh_u32_e32 v5, v24
	v_min_u32_e32 v5, 32, v5
	v_subrev_u32_e32 v36, 28, v5
	v_lshlrev_b64 v[46:47], v36, v[34:35]
	v_sub_u32_e32 v5, 29, v5
	v_and_b32_e32 v36, 7, v46
	v_cndmask_b32_e32 v5, v35, v5, vcc
	v_cndmask_b32_e32 v24, v24, v36, vcc
	v_mov_b32_e32 v36, 0x2000
	v_lshlrev_b32_e32 v35, 8, v34
	v_lshl_add_u32 v5, v5, 10, v36
	v_and_or_b32 v5, v35, s41, v5
	v_lshl_or_b32 v5, v24, 7, v5
	v_cvt_f32_f16_e32 v24, v5
.LBB308_572:                            ;   in Loop: Header=BB308_13 Depth=1
	s_or_b64 exec, exec, s[36:37]
.LBB308_573:                            ;   in Loop: Header=BB308_13 Depth=1
	s_or_b64 exec, exec, s[34:35]
.LBB308_574:                            ;   in Loop: Header=BB308_13 Depth=1
	s_or_b64 exec, exec, s[30:31]
	v_lshrrev_b16_e32 v36, 8, v34
	v_cmp_ne_u16_e32 vcc, 0, v36
	s_and_saveexec_b64 s[30:31], vcc
	s_cbranch_execz .LBB308_580
; %bb.575:                              ;   in Loop: Header=BB308_13 Depth=1
	v_cmp_ne_u16_e32 vcc, s39, v36
	v_bfrev_b32_e32 v38, 1
	s_and_saveexec_b64 s[34:35], vcc
	s_cbranch_execz .LBB308_579
; %bb.576:                              ;   in Loop: Header=BB308_13 Depth=1
	v_and_b32_e32 v5, 0x7f, v36
	v_cmp_ne_u32_e32 vcc, s40, v5
	v_mov_b32_e32 v38, 0x7fc02000
	s_and_saveexec_b64 s[36:37], vcc
	s_cbranch_execz .LBB308_578
; %bb.577:                              ;   in Loop: Header=BB308_13 Depth=1
	v_and_b32_e32 v35, 7, v36
	v_lshrrev_b32_e32 v38, 3, v5
	v_cmp_gt_u32_e32 vcc, 8, v5
	v_ffbh_u32_e32 v5, v35
	v_min_u32_e32 v5, 32, v5
	v_mov_b32_e32 v56, v45
	v_subrev_u32_e32 v45, 28, v5
	v_sub_u32_e32 v5, 29, v5
	v_lshlrev_b64 v[46:47], v45, v[36:37]
	v_cndmask_b32_e32 v5, v38, v5, vcc
	v_mov_b32_e32 v38, 0x2000
	v_and_b32_e32 v45, 7, v46
	v_lshlrev_b32_e32 v36, 8, v36
	v_lshl_add_u32 v5, v5, 10, v38
	v_cndmask_b32_e32 v35, v35, v45, vcc
	v_and_or_b32 v5, v36, s41, v5
	v_lshl_or_b32 v5, v35, 7, v5
	v_cvt_f32_f16_e32 v38, v5
	v_mov_b32_e32 v45, v56
.LBB308_578:                            ;   in Loop: Header=BB308_13 Depth=1
	s_or_b64 exec, exec, s[36:37]
.LBB308_579:                            ;   in Loop: Header=BB308_13 Depth=1
	s_or_b64 exec, exec, s[34:35]
.LBB308_580:                            ;   in Loop: Header=BB308_13 Depth=1
	s_or_b64 exec, exec, s[30:31]
	v_lshrrev_b32_e32 v36, 16, v34
	v_cmp_ne_u16_sdwa vcc, v36, v41 src0_sel:BYTE_0 src1_sel:DWORD
	v_mov_b32_e32 v35, 0
	v_mov_b32_e32 v5, 0
	s_and_saveexec_b64 s[30:31], vcc
	s_cbranch_execz .LBB308_586
; %bb.581:                              ;   in Loop: Header=BB308_13 Depth=1
	v_cmp_ne_u16_sdwa vcc, v36, s39 src0_sel:BYTE_0 src1_sel:DWORD
	v_bfrev_b32_e32 v5, 1
	s_and_saveexec_b64 s[34:35], vcc
	s_cbranch_execz .LBB308_585
; %bb.582:                              ;   in Loop: Header=BB308_13 Depth=1
	v_mov_b32_e32 v57, v45
	v_bfe_u32 v45, v34, 16, 7
	v_cmp_ne_u32_e32 vcc, s40, v45
	v_mov_b32_e32 v5, 0x7fc02000
	s_and_saveexec_b64 s[36:37], vcc
	s_cbranch_execz .LBB308_584
; %bb.583:                              ;   in Loop: Header=BB308_13 Depth=1
	v_and_b32_e32 v5, 7, v36
	v_lshrrev_b32_e32 v56, 3, v45
	v_cmp_gt_u32_e32 vcc, 8, v45
	v_ffbh_u32_e32 v45, v5
	v_min_u32_e32 v45, 32, v45
	v_subrev_u32_e32 v46, 28, v45
	v_lshlrev_b64 v[46:47], v46, v[36:37]
	v_sub_u32_e32 v45, 29, v45
	v_and_b32_e32 v46, 7, v46
	v_cndmask_b32_e32 v45, v56, v45, vcc
	v_cndmask_b32_e32 v5, v5, v46, vcc
	v_mov_b32_e32 v46, 0x2000
	v_lshlrev_b32_e32 v36, 8, v36
	v_lshl_add_u32 v45, v45, 10, v46
	v_and_or_b32 v36, v36, s41, v45
	v_lshl_or_b32 v5, v5, 7, v36
	v_cvt_f32_f16_e32 v5, v5
.LBB308_584:                            ;   in Loop: Header=BB308_13 Depth=1
	s_or_b64 exec, exec, s[36:37]
	v_mov_b32_e32 v45, v57
.LBB308_585:                            ;   in Loop: Header=BB308_13 Depth=1
	s_or_b64 exec, exec, s[34:35]
.LBB308_586:                            ;   in Loop: Header=BB308_13 Depth=1
	s_or_b64 exec, exec, s[30:31]
	buffer_load_dword v36, off, s[0:3], s32 offset:320 ; 4-byte Folded Reload
	v_cmp_lt_u32_e32 vcc, s42, v34
	s_waitcnt vmcnt(0)
	v_accvgpr_write_b32 a51, v36
	buffer_load_dword v36, off, s[0:3], s32 offset:292 ; 4-byte Folded Reload
	s_waitcnt vmcnt(0)
	v_accvgpr_write_b32 a50, v36
	buffer_load_dword v36, off, s[0:3], s32 offset:288 ; 4-byte Folded Reload
	;; [unrolled: 3-line block ×3, first 2 shown]
	s_waitcnt vmcnt(0)
	v_accvgpr_write_b32 a48, v36
	s_and_saveexec_b64 s[30:31], vcc
	s_cbranch_execz .LBB308_592
; %bb.587:                              ;   in Loop: Header=BB308_13 Depth=1
	v_lshrrev_b32_e32 v34, 24, v34
	v_cmp_ne_u32_e32 vcc, s39, v34
	v_bfrev_b32_e32 v35, 1
	s_and_saveexec_b64 s[34:35], vcc
	s_cbranch_execz .LBB308_591
; %bb.588:                              ;   in Loop: Header=BB308_13 Depth=1
	v_and_b32_e32 v36, 0x7f, v34
	v_cmp_ne_u32_e32 vcc, s40, v36
	v_mov_b32_e32 v35, 0x7fc02000
	s_and_saveexec_b64 s[36:37], vcc
	s_cbranch_execz .LBB308_590
; %bb.589:                              ;   in Loop: Header=BB308_13 Depth=1
	v_and_b32_e32 v35, 7, v34
	v_mov_b32_e32 v56, v45
	v_lshrrev_b32_e32 v45, 3, v36
	v_cmp_gt_u32_e32 vcc, 8, v36
	v_ffbh_u32_e32 v36, v35
	v_min_u32_e32 v36, 32, v36
	v_subrev_u32_e32 v46, 28, v36
	v_sub_u32_e32 v36, 29, v36
	v_lshlrev_b64 v[46:47], v46, v[34:35]
	v_cndmask_b32_e32 v36, v45, v36, vcc
	v_mov_b32_e32 v45, 0x2000
	v_and_b32_e32 v46, 7, v46
	v_lshlrev_b32_e32 v34, 8, v34
	v_lshl_add_u32 v36, v36, 10, v45
	v_cndmask_b32_e32 v35, v35, v46, vcc
	v_and_or_b32 v34, v34, s41, v36
	v_lshl_or_b32 v34, v35, 7, v34
	v_cvt_f32_f16_e32 v35, v34
	v_mov_b32_e32 v45, v56
.LBB308_590:                            ;   in Loop: Header=BB308_13 Depth=1
	s_or_b64 exec, exec, s[36:37]
.LBB308_591:                            ;   in Loop: Header=BB308_13 Depth=1
	s_or_b64 exec, exec, s[34:35]
.LBB308_592:                            ;   in Loop: Header=BB308_13 Depth=1
	s_or_b64 exec, exec, s[30:31]
	v_fma_mixlo_f16 v0, v4, v0, 0
	v_accvgpr_write_b32 a20, v0
	v_fma_mixlo_f16 v0, v4, v52, 0
	v_accvgpr_write_b32 a18, v0
	;; [unrolled: 2-line block ×17, first 2 shown]
	buffer_load_dword v0, off, s[0:3], s32 offset:372 ; 4-byte Folded Reload
	v_fma_mixlo_f16 v8, v4, v8, 0
	v_accvgpr_write_b32 a63, v8
	v_fma_mixlo_f16 v8, v4, v9, 0
	v_accvgpr_write_b32 a27, v8
	;; [unrolled: 2-line block ×9, first 2 shown]
	v_fma_mixlo_f16 v6, v4, v18, 0
	v_fma_mixlo_f16 v18, v4, v58, 0
	;; [unrolled: 1-line block ×3, first 2 shown]
	v_accvgpr_write_b32 a59, v22
	v_fma_mixlo_f16 v22, v4, v28, 0
	v_accvgpr_write_b32 a32, v6
	v_fma_mixlo_f16 v6, v4, v23, 0
	;; [unrolled: 2-line block ×13, first 2 shown]
	v_fma_mixlo_f16 v23, v4, v60, 0
	v_accvgpr_write_b32 a23, v6
	v_fma_mixlo_f16 v6, v4, v55, 0
	v_accvgpr_write_b32 a29, v6
	v_fma_mixlo_f16 v19, v4, v62, 0
	v_fma_mixlo_f16 v36, v4, v16, 0
	;; [unrolled: 1-line block ×5, first 2 shown]
	buffer_load_dword v6, off, s[0:3], s32 offset:236 ; 4-byte Folded Reload
	s_waitcnt vmcnt(1)
	v_fma_mixlo_f16 v9, v4, v0, 0
	buffer_load_dword v0, off, s[0:3], s32 offset:356 ; 4-byte Folded Reload
	s_waitcnt vmcnt(1)
	v_fma_mixlo_f16 v54, v4, v6, 0
	;; [unrolled: 3-line block ×6, first 2 shown]
	buffer_load_dword v6, off, s[0:3], s32 offset:212 ; 4-byte Folded Reload
	v_and_b32_e32 v29, 0xffff, v29
	s_waitcnt vmcnt(1)
	v_fma_mixlo_f16 v8, v4, v0, 0
	buffer_load_dword v0, off, s[0:3], s32 offset:364 ; 4-byte Folded Reload
	s_waitcnt vmcnt(1)
	v_fma_mixlo_f16 v53, v4, v6, 0
	buffer_load_dword v6, off, s[0:3], s32 offset:220 ; 4-byte Folded Reload
	;; [unrolled: 3-line block ×5, first 2 shown]
	s_waitcnt vmcnt(1)
	v_fma_mixlo_f16 v16, v4, v6, 0
	v_accvgpr_read_b32 v6, a51
	v_fma_mixlo_f16 v7, v4, v6, 0
	v_accvgpr_read_b32 v6, a50
	v_and_b32_e32 v16, 0xffff, v16
	v_fma_mixlo_f16 v30, v4, v6, 0
	buffer_load_dword v6, off, s[0:3], s32 offset:208 ; 4-byte Folded Reload
	v_and_b32_e32 v7, 0xffff, v7
	v_and_b32_e32 v30, 0xffff, v30
	s_waitcnt vmcnt(1)
	v_fma_mixlo_f16 v58, v4, v0, 0
	buffer_load_dword v0, off, s[0:3], s32 offset:352 ; 4-byte Folded Reload
	s_waitcnt vmcnt(1)
	v_fma_mixlo_f16 v21, v4, v6, 0
	v_accvgpr_read_b32 v6, a52
	v_fma_mixlo_f16 v20, v4, v6, 0
	v_and_b32_e32 v21, 0xffff, v21
	v_and_b32_e32 v20, 0xffff, v20
	buffer_load_dword v6, off, s[0:3], s32 offset:204 ; 4-byte Folded Reload
	s_waitcnt vmcnt(1)
	v_fma_mixlo_f16 v28, v4, v0, 0
	buffer_load_dword v0, off, s[0:3], s32 offset:348 ; 4-byte Folded Reload
	s_waitcnt vmcnt(1)
	v_fma_mixlo_f16 v25, v4, v6, 0
	v_accvgpr_read_b32 v6, a49
	v_accvgpr_write_b32 a49, v5
	v_fma_mixlo_f16 v59, v4, v6, 0
	v_accvgpr_read_b32 v6, a48
	v_fma_mixlo_f16 v55, v4, v6, 0
	v_fma_mixlo_f16 v6, v4, v38, 0
	v_accvgpr_write_b32 a50, v6
	v_fma_mixlo_f16 v6, v4, v24, 0
	v_accvgpr_write_b32 a51, v6
	buffer_load_dword v6, off, s[0:3], s32 offset:388 ; 4-byte Folded Reload
	s_waitcnt vmcnt(1)
	v_fma_mixlo_f16 v13, v4, v0, 0
	buffer_load_dword v0, off, s[0:3], s32 offset:324 ; 4-byte Folded Reload
	s_waitcnt vmcnt(0)
	v_fma_mixlo_f16 v15, v4, v0, 0
	;; [unrolled: 3-line block ×7, first 2 shown]
	buffer_load_dword v0, off, s[0:3], s32 offset:316 ; 4-byte Folded Reload
	v_and_b32_e32 v1, 0xffff, v1
	s_waitcnt vmcnt(0)
	v_fma_mixlo_f16 v60, v4, v0, 0
	buffer_load_dword v0, off, s[0:3], s32 offset:312 ; 4-byte Folded Reload
	s_waitcnt vmcnt(0)
	v_fma_mixlo_f16 v44, v4, v0, 0
	buffer_load_dword v0, off, s[0:3], s32 offset:296 ; 4-byte Folded Reload
	s_waitcnt vmcnt(0)
	v_fma_mixlo_f16 v50, v4, v0, 0
	buffer_load_dword v0, off, s[0:3], s32 offset:300 ; 4-byte Folded Reload
	s_waitcnt vmcnt(0)
	v_fma_mixlo_f16 v40, v4, v0, 0
	buffer_load_dword v0, off, s[0:3], s32 offset:284 ; 4-byte Folded Reload
	s_waitcnt vmcnt(0)
	v_fma_mixlo_f16 v11, v4, v0, 0
	buffer_load_dword v0, off, s[0:3], s32 offset:280 ; 4-byte Folded Reload
	s_waitcnt vmcnt(0)
	v_fma_mixlo_f16 v10, v4, v0, 0
	buffer_load_dword v0, off, s[0:3], s32 offset:272 ; 4-byte Folded Reload
	s_waitcnt vmcnt(0)
	v_fma_mixlo_f16 v47, v4, v0, 0
	buffer_load_dword v0, off, s[0:3], s32 offset:276 ; 4-byte Folded Reload
	s_waitcnt vmcnt(0)
	v_fma_mixlo_f16 v62, v4, v0, 0
	buffer_load_dword v0, off, s[0:3], s32 offset:268 ; 4-byte Folded Reload
	s_waitcnt vmcnt(0)
	v_fma_mixlo_f16 v52, v4, v0, 0
	buffer_load_dword v0, off, s[0:3], s32 offset:264 ; 4-byte Folded Reload
	s_waitcnt vmcnt(0)
	v_fma_mixlo_f16 v37, v4, v0, 0
	buffer_load_dword v0, off, s[0:3], s32 offset:260 ; 4-byte Folded Reload
	s_waitcnt vmcnt(0)
	v_fma_mixlo_f16 v51, v4, v0, 0
	buffer_load_dword v0, off, s[0:3], s32 offset:244 ; 4-byte Folded Reload
	s_waitcnt vmcnt(0)
	v_fma_mixlo_f16 v2, v4, v0, 0
	buffer_load_dword v0, off, s[0:3], s32 offset:252 ; 4-byte Folded Reload
	v_and_b32_e32 v2, 0xffff, v2
	s_waitcnt vmcnt(0)
	v_fma_mixlo_f16 v31, v4, v0, 0
	buffer_load_dword v0, off, s[0:3], s32 offset:248 ; 4-byte Folded Reload
	s_waitcnt vmcnt(0)
	v_fma_mixlo_f16 v3, v4, v0, 0
	buffer_load_dword v0, off, s[0:3], s32 offset:228 ; 4-byte Folded Reload
	v_and_b32_e32 v3, 0xffff, v3
	s_waitcnt vmcnt(0)
	v_fma_mixlo_f16 v48, v4, v0, 0
	buffer_load_dword v0, off, s[0:3], s32 offset:240 ; 4-byte Folded Reload
	s_waitcnt vmcnt(0)
	v_fma_mixlo_f16 v0, v4, v0, 0
	v_fma_mixlo_f16 v4, v4, v35, 0
	v_accvgpr_write_b32 a48, v4
	v_and_b32_e32 v0, 0xffff, v0
	ds_read_b64 v[4:5], v6
	s_waitcnt lgkmcnt(0)
	v_lshrrev_b32_e32 v24, 16, v4
	v_and_b32_e32 v4, 0xffff, v4
	;;#ASMSTART
	v_cvt_f32_f16 v35, v4;
	;;#ASMEND
	v_and_b32_e32 v4, 0xffff, v45
	;;#ASMSTART
	v_cvt_f32_f16 v24, v24;
	;;#ASMEND
	;;#ASMSTART
	v_cvt_f32_f16 v38, v4;
	;;#ASMEND
	v_and_b32_e32 v4, 0xffff, v25
	;;#ASMSTART
	v_cvt_f32_f16 v25, v4;
	;;#ASMEND
	v_lshrrev_b32_e32 v4, 16, v5
	v_and_b32_e32 v5, 0xffff, v5
	;;#ASMSTART
	v_cvt_f32_f16 v45, v5;
	;;#ASMEND
	;;#ASMSTART
	v_cvt_f32_f16 v39, v4;
	;;#ASMEND
	v_and_b32_e32 v4, 0xffff, v59
	;;#ASMSTART
	v_cvt_f32_f16 v59, v4;
	;;#ASMEND
	v_and_b32_e32 v4, 0xffff, v55
	;;#ASMSTART
	v_cvt_f32_f16 v55, v4;
	;;#ASMEND
	ds_read_b64 v[4:5], v6 offset:8
	s_waitcnt lgkmcnt(0)
	v_lshrrev_b32_e32 v17, 16, v4
	v_and_b32_e32 v4, 0xffff, v4
	;;#ASMSTART
	v_cvt_f32_f16 v4, v4;
	;;#ASMEND
	;;#ASMSTART
	v_cvt_f32_f16 v17, v17;
	;;#ASMEND
	;; [unrolled: 3-line block ×4, first 2 shown]
	v_mul_f32_e32 v7, v17, v7
	v_lshrrev_b32_e32 v17, 16, v5
	v_and_b32_e32 v5, 0xffff, v5
	v_mul_f32_e32 v4, v4, v30
	v_fmac_f32_e32 v7, v24, v25
	;;#ASMSTART
	v_cvt_f32_f16 v5, v5;
	;;#ASMEND
	;;#ASMSTART
	v_cvt_f32_f16 v17, v17;
	;;#ASMEND
	;; [unrolled: 3-line block ×4, first 2 shown]
	v_mul_f32_e32 v20, v5, v21
	v_fmac_f32_e32 v4, v35, v38
	v_mul_f32_e32 v21, v17, v24
	ds_read_b64 v[24:25], v6 offset:16
	v_fmac_f32_e32 v20, v45, v59
	v_fmac_f32_e32 v21, v39, v55
	s_waitcnt lgkmcnt(0)
	v_lshrrev_b32_e32 v5, 16, v24
	v_and_b32_e32 v17, 0xffff, v24
	v_and_b32_e32 v24, 0xffff, v53
	;;#ASMSTART
	v_cvt_f32_f16 v17, v17;
	;;#ASMEND
	;;#ASMSTART
	v_cvt_f32_f16 v5, v5;
	;;#ASMEND
	;; [unrolled: 3-line block ×4, first 2 shown]
	v_fmac_f32_e32 v4, v17, v24
	v_fmac_f32_e32 v7, v5, v29
	v_lshrrev_b32_e32 v5, 16, v25
	v_and_b32_e32 v17, 0xffff, v25
	v_and_b32_e32 v24, 0xffff, v46
	;;#ASMSTART
	v_cvt_f32_f16 v17, v17;
	;;#ASMEND
	;;#ASMSTART
	v_cvt_f32_f16 v5, v5;
	;;#ASMEND
	;; [unrolled: 3-line block ×4, first 2 shown]
	v_fmac_f32_e32 v20, v17, v24
	ds_read_b64 v[24:25], v6 offset:24
	v_fmac_f32_e32 v21, v5, v16
	v_and_b32_e32 v17, 0xffff, v48
	s_waitcnt lgkmcnt(0)
	v_lshrrev_b32_e32 v5, 16, v24
	v_and_b32_e32 v16, 0xffff, v24
	;;#ASMSTART
	v_cvt_f32_f16 v16, v16;
	;;#ASMEND
	;;#ASMSTART
	v_cvt_f32_f16 v5, v5;
	;;#ASMEND
	;; [unrolled: 3-line block ×4, first 2 shown]
	v_fmac_f32_e32 v4, v16, v0
	v_fmac_f32_e32 v7, v5, v17
	v_lshrrev_b32_e32 v0, 16, v25
	v_and_b32_e32 v5, 0xffff, v25
	v_and_b32_e32 v16, 0xffff, v54
	v_and_b32_e32 v17, 0xffff, v42
	;;#ASMSTART
	v_cvt_f32_f16 v5, v5;
	;;#ASMEND
	;;#ASMSTART
	v_cvt_f32_f16 v0, v0;
	;;#ASMEND
	;; [unrolled: 3-line block ×4, first 2 shown]
	ds_read_b64 v[24:25], v6 offset:32
	v_fmac_f32_e32 v20, v5, v16
	v_fmac_f32_e32 v21, v0, v17
	v_and_b32_e32 v16, 0xffff, v51
	s_waitcnt lgkmcnt(0)
	v_lshrrev_b32_e32 v0, 16, v24
	v_and_b32_e32 v5, 0xffff, v24
	;;#ASMSTART
	v_cvt_f32_f16 v5, v5;
	;;#ASMEND
	;;#ASMSTART
	v_cvt_f32_f16 v0, v0;
	;;#ASMEND
	;; [unrolled: 3-line block ×4, first 2 shown]
	v_fmac_f32_e32 v4, v5, v2
	v_fmac_f32_e32 v7, v0, v16
	v_lshrrev_b32_e32 v0, 16, v25
	v_and_b32_e32 v2, 0xffff, v25
	v_and_b32_e32 v5, 0xffff, v31
	;;#ASMSTART
	v_cvt_f32_f16 v2, v2;
	;;#ASMEND
	;;#ASMSTART
	v_cvt_f32_f16 v0, v0;
	;;#ASMEND
	;; [unrolled: 3-line block ×4, first 2 shown]
	v_fmac_f32_e32 v20, v2, v5
	v_fmac_f32_e32 v21, v0, v3
	ds_read_b64 v[2:3], v6 offset:40
	v_and_b32_e32 v5, 0xffff, v62
	v_and_b32_e32 v16, 0xffff, v47
	s_waitcnt lgkmcnt(0)
	v_lshrrev_b32_e32 v0, 16, v2
	v_and_b32_e32 v2, 0xffff, v2
	;;#ASMSTART
	v_cvt_f32_f16 v2, v2;
	;;#ASMEND
	;;#ASMSTART
	v_cvt_f32_f16 v0, v0;
	;;#ASMEND
	;; [unrolled: 3-line block ×4, first 2 shown]
	v_fmac_f32_e32 v4, v2, v5
	v_fmac_f32_e32 v7, v0, v16
	v_lshrrev_b32_e32 v0, 16, v3
	v_and_b32_e32 v2, 0xffff, v3
	v_and_b32_e32 v3, 0xffff, v52
	;;#ASMSTART
	v_cvt_f32_f16 v2, v2;
	;;#ASMEND
	;;#ASMSTART
	v_cvt_f32_f16 v0, v0;
	;;#ASMEND
	;; [unrolled: 3-line block ×3, first 2 shown]
	v_and_b32_e32 v5, 0xffff, v37
	;;#ASMSTART
	v_cvt_f32_f16 v5, v5;
	;;#ASMEND
	v_fmac_f32_e32 v20, v2, v3
	ds_read_b64 v[2:3], v6 offset:48
	v_fmac_f32_e32 v21, v0, v5
	v_and_b32_e32 v5, 0xffff, v40
	v_and_b32_e32 v16, 0xffff, v50
	s_waitcnt lgkmcnt(0)
	v_lshrrev_b32_e32 v0, 16, v2
	v_and_b32_e32 v2, 0xffff, v2
	;;#ASMSTART
	v_cvt_f32_f16 v2, v2;
	;;#ASMEND
	;;#ASMSTART
	v_cvt_f32_f16 v0, v0;
	;;#ASMEND
	;;#ASMSTART
	v_cvt_f32_f16 v5, v5;
	;;#ASMEND
	;;#ASMSTART
	v_cvt_f32_f16 v16, v16;
	;;#ASMEND
	v_fmac_f32_e32 v4, v2, v5
	v_fmac_f32_e32 v7, v0, v16
	v_lshrrev_b32_e32 v0, 16, v3
	v_and_b32_e32 v2, 0xffff, v3
	v_and_b32_e32 v3, 0xffff, v11
	;;#ASMSTART
	v_cvt_f32_f16 v2, v2;
	;;#ASMEND
	;;#ASMSTART
	v_cvt_f32_f16 v0, v0;
	;;#ASMEND
	;; [unrolled: 3-line block ×3, first 2 shown]
	v_and_b32_e32 v5, 0xffff, v10
	;;#ASMSTART
	v_cvt_f32_f16 v5, v5;
	;;#ASMEND
	v_fmac_f32_e32 v20, v2, v3
	ds_read_b64 v[2:3], v6 offset:56
	v_fmac_f32_e32 v21, v0, v5
	v_and_b32_e32 v5, 0xffff, v61
	s_waitcnt lgkmcnt(0)
	v_lshrrev_b32_e32 v0, 16, v2
	v_and_b32_e32 v2, 0xffff, v2
	;;#ASMSTART
	v_cvt_f32_f16 v2, v2;
	;;#ASMEND
	;;#ASMSTART
	v_cvt_f32_f16 v0, v0;
	;;#ASMEND
	;; [unrolled: 3-line block ×4, first 2 shown]
	v_fmac_f32_e32 v4, v2, v1
	v_fmac_f32_e32 v7, v0, v5
	v_lshrrev_b32_e32 v0, 16, v3
	v_and_b32_e32 v1, 0xffff, v3
	;;#ASMSTART
	v_cvt_f32_f16 v1, v1;
	;;#ASMEND
	;;#ASMSTART
	v_cvt_f32_f16 v0, v0;
	;;#ASMEND
	v_and_b32_e32 v2, 0xffff, v60
	v_and_b32_e32 v3, 0xffff, v44
	;;#ASMSTART
	v_cvt_f32_f16 v2, v2;
	;;#ASMEND
	;;#ASMSTART
	v_cvt_f32_f16 v3, v3;
	;;#ASMEND
	v_fmac_f32_e32 v20, v1, v2
	v_fmac_f32_e32 v21, v0, v3
	ds_read_b64 v[0:1], v6 offset:64
	v_and_b32_e32 v3, 0xffff, v14
	v_and_b32_e32 v5, 0xffff, v15
	s_waitcnt lgkmcnt(0)
	v_lshrrev_b32_e32 v2, 16, v0
	v_and_b32_e32 v0, 0xffff, v0
	;;#ASMSTART
	v_cvt_f32_f16 v0, v0;
	;;#ASMEND
	;;#ASMSTART
	v_cvt_f32_f16 v2, v2;
	;;#ASMEND
	;; [unrolled: 3-line block ×3, first 2 shown]
	v_fmac_f32_e32 v4, v0, v3
	v_lshrrev_b32_e32 v0, 16, v1
	v_and_b32_e32 v1, 0xffff, v1
	;;#ASMSTART
	v_cvt_f32_f16 v5, v5;
	;;#ASMEND
	v_fmac_f32_e32 v7, v2, v5
	;;#ASMSTART
	v_cvt_f32_f16 v1, v1;
	;;#ASMEND
	;;#ASMSTART
	v_cvt_f32_f16 v0, v0;
	;;#ASMEND
	v_and_b32_e32 v2, 0xffff, v43
	v_and_b32_e32 v3, 0xffff, v22
	;;#ASMSTART
	v_cvt_f32_f16 v2, v2;
	;;#ASMEND
	;;#ASMSTART
	v_cvt_f32_f16 v3, v3;
	;;#ASMEND
	v_fmac_f32_e32 v20, v1, v2
	v_fmac_f32_e32 v21, v0, v3
	ds_read_b64 v[0:1], v6 offset:72
	v_and_b32_e32 v3, 0xffff, v58
	v_and_b32_e32 v5, 0xffff, v57
	s_waitcnt lgkmcnt(0)
	v_lshrrev_b32_e32 v2, 16, v0
	v_and_b32_e32 v0, 0xffff, v0
	;;#ASMSTART
	v_cvt_f32_f16 v0, v0;
	;;#ASMEND
	;;#ASMSTART
	v_cvt_f32_f16 v2, v2;
	;;#ASMEND
	;;#ASMSTART
	v_cvt_f32_f16 v3, v3;
	;;#ASMEND
	v_fmac_f32_e32 v4, v0, v3
	v_lshrrev_b32_e32 v0, 16, v1
	v_and_b32_e32 v1, 0xffff, v1
	;;#ASMSTART
	v_cvt_f32_f16 v5, v5;
	;;#ASMEND
	v_fmac_f32_e32 v7, v2, v5
	;;#ASMSTART
	v_cvt_f32_f16 v1, v1;
	;;#ASMEND
	;;#ASMSTART
	v_cvt_f32_f16 v0, v0;
	;;#ASMEND
	v_and_b32_e32 v2, 0xffff, v28
	v_and_b32_e32 v3, 0xffff, v13
	;;#ASMSTART
	v_cvt_f32_f16 v2, v2;
	;;#ASMEND
	;;#ASMSTART
	v_cvt_f32_f16 v3, v3;
	;;#ASMEND
	v_fmac_f32_e32 v20, v1, v2
	v_fmac_f32_e32 v21, v0, v3
	ds_read_b64 v[0:1], v6 offset:80
	v_and_b32_e32 v3, 0xffff, v56
	v_and_b32_e32 v5, 0xffff, v12
	s_waitcnt lgkmcnt(0)
	v_lshrrev_b32_e32 v2, 16, v0
	v_and_b32_e32 v0, 0xffff, v0
	;;#ASMSTART
	v_cvt_f32_f16 v0, v0;
	;;#ASMEND
	;;#ASMSTART
	v_cvt_f32_f16 v2, v2;
	;;#ASMEND
	;; [unrolled: 3-line block ×4, first 2 shown]
	v_fmac_f32_e32 v4, v0, v3
	v_fmac_f32_e32 v7, v2, v5
	v_lshrrev_b32_e32 v0, 16, v1
	v_and_b32_e32 v1, 0xffff, v1
	v_and_b32_e32 v2, 0xffff, v8
	;; [unrolled: 1-line block ×3, first 2 shown]
	;;#ASMSTART
	v_cvt_f32_f16 v1, v1;
	;;#ASMEND
	;;#ASMSTART
	v_cvt_f32_f16 v0, v0;
	;;#ASMEND
	;; [unrolled: 3-line block ×4, first 2 shown]
	ds_read_b64 v[34:35], v6 offset:88
	v_fmac_f32_e32 v20, v1, v2
	v_fmac_f32_e32 v21, v0, v3
	v_and_b32_e32 v2, 0xffff, v49
	v_and_b32_e32 v3, 0xffff, v9
	s_waitcnt lgkmcnt(0)
	v_lshrrev_b32_e32 v0, 16, v34
	v_and_b32_e32 v1, 0xffff, v34
	;;#ASMSTART
	v_cvt_f32_f16 v1, v1;
	;;#ASMEND
	;;#ASMSTART
	v_cvt_f32_f16 v0, v0;
	;;#ASMEND
	;; [unrolled: 3-line block ×4, first 2 shown]
	v_fmac_f32_e32 v4, v1, v2
	v_fmac_f32_e32 v7, v0, v3
	v_lshrrev_b32_e32 v0, 16, v35
	v_and_b32_e32 v1, 0xffff, v35
	;;#ASMSTART
	v_cvt_f32_f16 v1, v1;
	;;#ASMEND
	;;#ASMSTART
	v_cvt_f32_f16 v0, v0;
	;;#ASMEND
	v_and_b32_e32 v2, 0xffff, v23
	v_and_b32_e32 v3, 0xffff, v18
	;;#ASMSTART
	v_cvt_f32_f16 v2, v2;
	;;#ASMEND
	;;#ASMSTART
	v_cvt_f32_f16 v3, v3;
	;;#ASMEND
	v_fmac_f32_e32 v20, v1, v2
	v_fmac_f32_e32 v21, v0, v3
	ds_read_b64 v[0:1], v6 offset:96
	v_and_b32_e32 v3, 0xffff, v19
	v_and_b32_e32 v5, 0xffff, v26
	s_waitcnt lgkmcnt(0)
	v_lshrrev_b32_e32 v2, 16, v0
	v_and_b32_e32 v0, 0xffff, v0
	;;#ASMSTART
	v_cvt_f32_f16 v0, v0;
	;;#ASMEND
	;;#ASMSTART
	v_cvt_f32_f16 v2, v2;
	;;#ASMEND
	;; [unrolled: 3-line block ×3, first 2 shown]
	v_fmac_f32_e32 v4, v0, v3
	v_accvgpr_read_b32 v3, a14
	;;#ASMSTART
	v_cvt_f32_f16 v5, v5;
	;;#ASMEND
	v_fmac_f32_e32 v7, v2, v5
	v_lshrrev_b32_e32 v0, 16, v1
	v_and_b32_e32 v1, 0xffff, v1
	v_and_b32_e32 v2, 0xffff, v36
	;; [unrolled: 1-line block ×3, first 2 shown]
	;;#ASMSTART
	v_cvt_f32_f16 v1, v1;
	;;#ASMEND
	;;#ASMSTART
	v_cvt_f32_f16 v0, v0;
	;;#ASMEND
	;;#ASMSTART
	v_cvt_f32_f16 v2, v2;
	;;#ASMEND
	;;#ASMSTART
	v_cvt_f32_f16 v3, v3;
	;;#ASMEND
	ds_read_b64 v[34:35], v6 offset:104
	v_fmac_f32_e32 v20, v1, v2
	v_fmac_f32_e32 v21, v0, v3
	v_accvgpr_read_b32 v2, a7
	v_accvgpr_read_b32 v3, a41
	s_waitcnt lgkmcnt(0)
	v_lshrrev_b32_e32 v0, 16, v34
	v_and_b32_e32 v1, 0xffff, v34
	v_and_b32_e32 v2, 0xffff, v2
	;; [unrolled: 1-line block ×3, first 2 shown]
	;;#ASMSTART
	v_cvt_f32_f16 v1, v1;
	;;#ASMEND
	;;#ASMSTART
	v_cvt_f32_f16 v0, v0;
	;;#ASMEND
	;;#ASMSTART
	v_cvt_f32_f16 v2, v2;
	;;#ASMEND
	;;#ASMSTART
	v_cvt_f32_f16 v3, v3;
	;;#ASMEND
	v_fmac_f32_e32 v4, v1, v2
	v_fmac_f32_e32 v7, v0, v3
	v_lshrrev_b32_e32 v0, 16, v35
	v_and_b32_e32 v1, 0xffff, v35
	v_accvgpr_read_b32 v2, a33
	v_accvgpr_read_b32 v3, a46
	;;#ASMSTART
	v_cvt_f32_f16 v1, v1;
	;;#ASMEND
	;;#ASMSTART
	v_cvt_f32_f16 v0, v0;
	;;#ASMEND
	v_and_b32_e32 v2, 0xffff, v2
	v_and_b32_e32 v3, 0xffff, v3
	;;#ASMSTART
	v_cvt_f32_f16 v2, v2;
	;;#ASMEND
	;;#ASMSTART
	v_cvt_f32_f16 v3, v3;
	;;#ASMEND
	v_fmac_f32_e32 v20, v1, v2
	v_fmac_f32_e32 v21, v0, v3
	ds_read_b64 v[0:1], v6 offset:112
	v_accvgpr_read_b32 v3, a42
	v_and_b32_e32 v3, 0xffff, v3
	v_accvgpr_read_b32 v5, a2
	v_and_b32_e32 v5, 0xffff, v5
	s_waitcnt lgkmcnt(0)
	v_lshrrev_b32_e32 v2, 16, v0
	v_and_b32_e32 v0, 0xffff, v0
	;;#ASMSTART
	v_cvt_f32_f16 v0, v0;
	;;#ASMEND
	;;#ASMSTART
	v_cvt_f32_f16 v2, v2;
	;;#ASMEND
	;;#ASMSTART
	v_cvt_f32_f16 v3, v3;
	;;#ASMEND
	;;#ASMSTART
	v_cvt_f32_f16 v5, v5;
	;;#ASMEND
	v_fmac_f32_e32 v4, v0, v3
	v_fmac_f32_e32 v7, v2, v5
	v_lshrrev_b32_e32 v0, 16, v1
	v_and_b32_e32 v1, 0xffff, v1
	v_accvgpr_read_b32 v2, a45
	v_accvgpr_read_b32 v3, a37
	;;#ASMSTART
	v_cvt_f32_f16 v1, v1;
	;;#ASMEND
	;;#ASMSTART
	v_cvt_f32_f16 v0, v0;
	;;#ASMEND
	v_and_b32_e32 v2, 0xffff, v2
	v_and_b32_e32 v3, 0xffff, v3
	;;#ASMSTART
	v_cvt_f32_f16 v2, v2;
	;;#ASMEND
	;;#ASMSTART
	v_cvt_f32_f16 v3, v3;
	;;#ASMEND
	v_fmac_f32_e32 v20, v1, v2
	v_fmac_f32_e32 v21, v0, v3
	ds_read_b64 v[0:1], v6 offset:120
	v_accvgpr_read_b32 v3, a1
	v_and_b32_e32 v3, 0xffff, v3
	v_accvgpr_read_b32 v5, a0
	v_and_b32_e32 v5, 0xffff, v5
	s_waitcnt lgkmcnt(0)
	v_lshrrev_b32_e32 v2, 16, v0
	v_and_b32_e32 v0, 0xffff, v0
	;; [unrolled: 42-line block ×10, first 2 shown]
	;;#ASMSTART
	v_cvt_f32_f16 v0, v0;
	;;#ASMEND
	;;#ASMSTART
	v_cvt_f32_f16 v2, v2;
	;;#ASMEND
	;; [unrolled: 3-line block ×4, first 2 shown]
	v_fmac_f32_e32 v4, v0, v3
	v_fmac_f32_e32 v7, v2, v5
	v_accvgpr_read_b32 v2, a49
	v_accvgpr_read_b32 v3, a48
	v_lshrrev_b32_e32 v0, 16, v1
	v_and_b32_e32 v1, 0xffff, v1
	v_and_b32_e32 v2, 0xffff, v2
	;; [unrolled: 1-line block ×3, first 2 shown]
	;;#ASMSTART
	v_cvt_f32_f16 v1, v1;
	;;#ASMEND
	;;#ASMSTART
	v_cvt_f32_f16 v0, v0;
	;;#ASMEND
	;; [unrolled: 3-line block ×4, first 2 shown]
	v_fmac_f32_e32 v21, v0, v3
	buffer_load_dword v3, off, s[0:3], s32 offset:392 ; 4-byte Folded Reload
	v_fmac_f32_e32 v20, v1, v2
	v_add_f32_e32 v0, v4, v7
	v_add_f32_e32 v0, v0, v20
	;; [unrolled: 1-line block ×3, first 2 shown]
	s_waitcnt vmcnt(0)
	v_and_b32_e32 v2, 64, v3
	v_xor_b32_e32 v1, 1, v3
	v_add_u32_e32 v2, 64, v2
	v_cmp_lt_i32_e32 vcc, v1, v2
	v_cndmask_b32_e32 v1, v3, v1, vcc
	v_lshlrev_b32_e32 v1, 2, v1
	ds_bpermute_b32 v1, v1, v0
	s_and_saveexec_b64 s[30:31], s[6:7]
	s_cbranch_execz .LBB308_11
; %bb.593:                              ;   in Loop: Header=BB308_13 Depth=1
	buffer_load_dword v2, off, s[0:3], s32 offset:408 ; 4-byte Folded Reload
	buffer_load_dword v4, off, s[0:3], s32 offset:396 ; 4-byte Folded Reload
	s_waitcnt lgkmcnt(0)
	v_add_f32_e32 v0, v0, v1
	buffer_load_dword v1, off, s[0:3], s32 offset:400 ; 4-byte Folded Reload
	buffer_load_dword v3, off, s[0:3], s32 offset:404 ; 4-byte Folded Reload
	s_load_dword vcc_lo, s[26:27], 0x0
	s_waitcnt vmcnt(3)
	v_add_u32_e32 v2, v2, v27
	v_cvt_f32_i32_e32 v2, v2
	s_waitcnt vmcnt(2)
	v_mul_f32_e32 v2, v4, v2
	v_cndmask_b32_e64 v2, 0, v2, s[8:9]
	s_waitcnt vmcnt(1)
	v_fmac_f32_e32 v2, v0, v1
	buffer_load_dword v1, off, s[0:3], s32 offset:384 ; 4-byte Folded Reload
	s_waitcnt vmcnt(1)
	v_add_u32_e32 v3, v3, v27
	v_accvgpr_read_b32 v4, a43
	v_accvgpr_read_b32 v0, a8
	s_waitcnt lgkmcnt(0)
	v_add_u32_e32 v4, vcc_lo, v4
	v_cmp_lt_i32_e32 vcc, v3, v0
	v_cndmask_b32_e32 v0, 0, v2, vcc
	ds_write_b32 v4, v0
	s_waitcnt vmcnt(0)
	v_max_f32_e32 v0, v1, v1
	v_max_f32_e32 v0, v0, v2
	v_cndmask_b32_e32 v1, v1, v0, vcc
	buffer_store_dword v1, off, s[0:3], s32 offset:384 ; 4-byte Folded Spill
	s_branch .LBB308_11
.LBB308_594:
	s_or_b64 exec, exec, s[28:29]
	buffer_load_dword v18, off, s[0:3], s32 offset:436 ; 4-byte Folded Reload
	buffer_load_dword v15, off, s[0:3], s32 offset:488 ; 4-byte Folded Reload
	;; [unrolled: 1-line block ×17, first 2 shown]
	v_mbcnt_lo_u32_b32 v4, -1, 0
.LBB308_595:
	s_or_b64 exec, exec, s[24:25]
	v_mbcnt_hi_u32_b32 v10, -1, v4
	v_and_b32_e32 v1, 64, v10
	v_add_u32_e32 v1, 64, v1
	v_xor_b32_e32 v2, 32, v10
	v_cmp_lt_i32_e32 vcc, v2, v1
	v_cndmask_b32_e32 v2, v10, v2, vcc
	v_lshlrev_b32_e32 v2, 2, v2
	s_waitcnt vmcnt(0)
	ds_bpermute_b32 v3, v2, v6
	v_xor_b32_e32 v5, 16, v10
	v_max_f32_e32 v4, v6, v6
	v_cmp_lt_i32_e32 vcc, v5, v1
	v_xor_b32_e32 v6, 8, v10
	s_waitcnt lgkmcnt(0)
	v_max_f32_e32 v3, v3, v3
	v_max_f32_e32 v4, v4, v3
	v_cndmask_b32_e32 v3, v10, v5, vcc
	v_lshlrev_b32_e32 v3, 2, v3
	ds_bpermute_b32 v5, v3, v4
	v_cmp_lt_i32_e32 vcc, v6, v1
	v_xor_b32_e32 v7, 4, v10
	v_xor_b32_e32 v8, 2, v10
	s_lshr_b32 s28, s38, 16
	s_waitcnt lgkmcnt(0)
	v_max_f32_e32 v5, v5, v5
	v_max_f32_e32 v5, v4, v5
	v_cndmask_b32_e32 v4, v10, v6, vcc
	v_lshlrev_b32_e32 v4, 2, v4
	ds_bpermute_b32 v6, v4, v5
	v_cmp_lt_i32_e32 vcc, v7, v1
	s_waitcnt lgkmcnt(0)
	v_max_f32_e32 v6, v6, v6
	v_max_f32_e32 v6, v5, v6
	v_cndmask_b32_e32 v5, v10, v7, vcc
	v_lshlrev_b32_e32 v5, 2, v5
	ds_bpermute_b32 v7, v5, v6
	v_cmp_lt_i32_e32 vcc, v8, v1
	s_waitcnt lgkmcnt(0)
	v_max_f32_e32 v7, v7, v7
	v_max_f32_e32 v7, v6, v7
	v_cndmask_b32_e32 v6, v10, v8, vcc
	v_lshlrev_b32_e32 v35, 2, v6
	buffer_load_dword v6, off, s[0:3], s32 offset:380 ; 4-byte Folded Reload
	ds_bpermute_b32 v8, v35, v7
	s_waitcnt vmcnt(0)
	v_and_b32_e32 v34, 63, v6
	v_cmp_eq_u32_e32 vcc, 0, v34
	v_lshlrev_b32_e32 v6, 2, v28
	s_and_saveexec_b64 s[6:7], vcc
	s_cbranch_execz .LBB308_597
; %bb.596:
	s_waitcnt lgkmcnt(0)
	v_max_f32_e32 v8, v8, v8
	v_max_f32_e32 v7, v7, v7
	;; [unrolled: 1-line block ×3, first 2 shown]
	ds_write_b32 v6, v7 offset:384
.LBB308_597:
	s_or_b64 exec, exec, s[6:7]
	v_cmp_gt_u32_e64 s[6:7], 2, v34
	s_waitcnt lgkmcnt(0)
	v_mov_b32_e32 v8, 0xff7fffff
	v_lshlrev_b32_e32 v7, 2, v34
	s_barrier
	s_and_saveexec_b64 s[8:9], s[6:7]
	s_cbranch_execz .LBB308_599
; %bb.598:
	ds_read_b32 v8, v7 offset:384
.LBB308_599:
	s_or_b64 exec, exec, s[8:9]
	v_xor_b32_e32 v9, 1, v10
	v_cmp_lt_i32_e64 s[8:9], v9, v1
	v_cndmask_b32_e64 v1, v10, v9, s[8:9]
	v_lshlrev_b32_e32 v36, 2, v1
	s_waitcnt lgkmcnt(0)
	ds_bpermute_b32 v1, v36, v8
	v_accvgpr_read_b32 v9, a11
	v_subrev_u32_e32 v9, s19, v9
	v_max_f32_e32 v8, v8, v8
	v_lshl_add_u32 v9, v9, 5, s23
	s_waitcnt lgkmcnt(0)
	v_max_f32_e32 v1, v1, v1
	v_max_f32_e32 v1, v8, v1
	v_lshlrev_b32_e32 v8, 2, v10
	v_accvgpr_read_b32 v10, a8
	v_min_i32_e32 v9, v9, v10
	buffer_load_dword v10, off, s[0:3], s32 offset:380 ; 4-byte Folded Reload
	v_and_b32_e32 v8, 0x100, v8
	ds_bpermute_b32 v23, v8, v1
	v_subrev_u32_e32 v1, s23, v9
	s_waitcnt vmcnt(0)
	v_cmp_lt_i32_e64 s[8:9], v10, v1
	v_mov_b32_e32 v10, 0
	s_and_saveexec_b64 s[24:25], s[8:9]
	s_cbranch_execz .LBB308_603
; %bb.600:
	buffer_load_dword v12, off, s[0:3], s32 offset:380 ; 4-byte Folded Reload
	s_ashr_i32 s21, s20, 31
	s_lshl_b64 s[10:11], s[20:21], 2
	s_getpc_b64 s[26:27]
	s_add_u32 s26, s26, llvm.amdgcn.dynlds.offset.table@rel32@lo+4
	s_addc_u32 s27, s27, llvm.amdgcn.dynlds.offset.table@rel32@hi+12
	s_add_u32 s10, s10, s26
	s_addc_u32 s11, s11, s27
	s_load_dword s10, s[10:11], 0x0
	s_mov_b64 s[26:27], 0
	v_mov_b32_e32 v10, 0
	s_waitcnt vmcnt(0) lgkmcnt(0)
	v_lshl_add_u32 v11, v12, 2, s10
.LBB308_601:                            ; =>This Inner Loop Header: Depth=1
	ds_read_b32 v13, v11
	v_add_u32_e32 v12, 0x80, v12
	v_cmp_ge_i32_e64 s[10:11], v12, v1
	s_or_b64 s[26:27], s[10:11], s[26:27]
	s_waitcnt lgkmcnt(0)
	v_sub_f32_e32 v13, v13, v23
	v_mul_f32_e32 v13, 0x3fb8aa3b, v13
	v_exp_f32_e32 v13, v13
	ds_write_b32 v11, v13
	v_add_f32_e32 v10, v10, v13
	v_add_u32_e32 v11, 0x200, v11
	s_andn2_b64 exec, exec, s[26:27]
	s_cbranch_execnz .LBB308_601
; %bb.602:
	s_or_b64 exec, exec, s[26:27]
.LBB308_603:
	s_or_b64 exec, exec, s[24:25]
	ds_bpermute_b32 v2, v2, v10
	s_waitcnt lgkmcnt(0)
	v_add_f32_e32 v2, v10, v2
	ds_bpermute_b32 v3, v3, v2
	s_waitcnt lgkmcnt(0)
	v_add_f32_e32 v2, v2, v3
	;; [unrolled: 3-line block ×6, first 2 shown]
	s_and_saveexec_b64 s[10:11], vcc
	s_cbranch_execz .LBB308_605
; %bb.604:
	ds_write_b32 v6, v2 offset:392
.LBB308_605:
	s_or_b64 exec, exec, s[10:11]
	s_waitcnt lgkmcnt(0)
	s_barrier
	s_and_saveexec_b64 s[10:11], s[6:7]
	s_cbranch_execz .LBB308_607
; %bb.606:
	ds_read_b32 v2, v7 offset:392
.LBB308_607:
	s_or_b64 exec, exec, s[10:11]
	s_waitcnt lgkmcnt(0)
	ds_bpermute_b32 v3, v36, v2
	s_waitcnt lgkmcnt(0)
	v_add_f32_e32 v2, v2, v3
	ds_bpermute_b32 v2, v8, v2
	s_and_saveexec_b64 s[6:7], s[8:9]
	s_cbranch_execz .LBB308_620
; %bb.608:
	s_waitcnt lgkmcnt(0)
	v_add_f32_e32 v3, 0x358637bd, v2
	v_div_scale_f32 v4, s[8:9], v3, v3, 1.0
	v_rcp_f32_e32 v5, v4
	v_div_scale_f32 v6, vcc, 1.0, v3, 1.0
	s_movk_i32 s8, 0x7f
	v_fma_f32 v7, -v4, v5, 1.0
	v_fmac_f32_e32 v5, v7, v5
	v_mul_f32_e32 v7, v6, v5
	v_fma_f32 v8, -v4, v7, v6
	v_fmac_f32_e32 v7, v8, v5
	v_fma_f32 v4, -v4, v7, v6
	v_div_fmas_f32 v4, v4, v5, v7
	buffer_load_dword v5, off, s[0:3], s32 offset:380 ; 4-byte Folded Reload
	v_div_fixup_f32 v8, v4, v3, 1.0
	s_mov_b64 s[10:11], -1
	s_waitcnt vmcnt(0)
	v_xad_u32 v3, v5, -1, v9
	v_subrev_u32_e32 v4, s23, v3
	v_cmp_lt_u32_e32 vcc, s8, v4
	v_mov_b32_e32 v3, v5
	s_and_saveexec_b64 s[8:9], vcc
	s_cbranch_execz .LBB308_617
; %bb.609:
	v_lshrrev_b32_e32 v3, 7, v4
	v_add_u32_e32 v5, -1, v3
	v_lshrrev_b32_e32 v4, 1, v5
	v_mov_b32_e32 v9, v8
	v_add_u32_e32 v4, 1, v4
	v_cmp_lt_u32_e32 vcc, 13, v5
	v_mov_b32_e32 v7, 0
	s_and_saveexec_b64 s[10:11], vcc
	s_cbranch_execz .LBB308_613
; %bb.610:
	buffer_load_dword v6, off, s[0:3], s32 offset:380 ; 4-byte Folded Reload
	s_ashr_i32 s21, s20, 31
	s_lshl_b64 s[24:25], s[20:21], 2
	s_getpc_b64 s[26:27]
	s_add_u32 s26, s26, llvm.amdgcn.dynlds.offset.table@rel32@lo+4
	s_addc_u32 s27, s27, llvm.amdgcn.dynlds.offset.table@rel32@hi+12
	s_add_u32 s24, s24, s26
	s_addc_u32 s25, s25, s27
	s_load_dword s21, s[24:25], 0x0
	v_and_b32_e32 v5, -8, v4
	s_mov_b32 s19, 0
	s_mov_b64 s[24:25], 0
	s_waitcnt vmcnt(0) lgkmcnt(0)
	v_lshl_add_u32 v6, v6, 2, s21
.LBB308_611:                            ; =>This Inner Loop Header: Depth=1
	ds_read2st64_b32 v[10:11], v6 offset1:2
	ds_read2st64_b32 v[12:13], v6 offset0:4 offset1:6
	ds_read2st64_b32 v[20:21], v6 offset0:8 offset1:10
	;; [unrolled: 1-line block ×3, first 2 shown]
	v_add_u32_e32 v5, -8, v5
	s_waitcnt lgkmcnt(3)
	v_pk_mul_f32 v[10:11], v[8:9], v[10:11]
	s_waitcnt lgkmcnt(2)
	v_pk_mul_f32 v[12:13], v[8:9], v[12:13]
	ds_write2st64_b32 v6, v10, v11 offset1:2
	ds_write2st64_b32 v6, v12, v13 offset0:4 offset1:6
	ds_read2st64_b32 v[12:13], v6 offset0:16 offset1:18
	s_waitcnt lgkmcnt(4)
	v_pk_mul_f32 v[10:11], v[8:9], v[20:21]
	ds_write2st64_b32 v6, v10, v11 offset0:8 offset1:10
	s_waitcnt lgkmcnt(4)
	v_pk_mul_f32 v[10:11], v[8:9], v[16:17]
	ds_write2st64_b32 v6, v10, v11 offset0:12 offset1:14
	ds_read2st64_b32 v[10:11], v6 offset0:20 offset1:22
	s_waitcnt lgkmcnt(3)
	v_pk_mul_f32 v[12:13], v[8:9], v[12:13]
	ds_read2st64_b32 v[16:17], v6 offset0:24 offset1:26
	ds_write2st64_b32 v6, v12, v13 offset0:16 offset1:18
	ds_read2st64_b32 v[12:13], v6 offset0:28 offset1:30
	s_waitcnt lgkmcnt(3)
	v_pk_mul_f32 v[10:11], v[8:9], v[10:11]
	ds_write2st64_b32 v6, v10, v11 offset0:20 offset1:22
	s_waitcnt lgkmcnt(3)
	v_pk_mul_f32 v[10:11], v[8:9], v[16:17]
	ds_write2st64_b32 v6, v10, v11 offset0:24 offset1:26
	s_waitcnt lgkmcnt(2)
	v_pk_mul_f32 v[10:11], v[8:9], v[12:13]
	s_add_i32 s19, s19, 16
	v_cmp_eq_u32_e32 vcc, 0, v5
	ds_write2st64_b32 v6, v10, v11 offset0:28 offset1:30
	v_add_u32_e32 v6, 0x2000, v6
	s_or_b64 s[24:25], vcc, s[24:25]
	v_mov_b32_e32 v7, s19
	s_andn2_b64 exec, exec, s[24:25]
	s_cbranch_execnz .LBB308_611
; %bb.612:
	s_or_b64 exec, exec, s[24:25]
.LBB308_613:
	s_or_b64 exec, exec, s[10:11]
	v_and_b32_e32 v4, 7, v4
	v_cmp_ne_u32_e32 vcc, 0, v4
	s_and_saveexec_b64 s[10:11], vcc
	s_cbranch_execz .LBB308_616
; %bb.614:
	buffer_load_dword v6, off, s[0:3], s32 offset:380 ; 4-byte Folded Reload
	s_ashr_i32 s21, s20, 31
	s_lshl_b64 s[24:25], s[20:21], 2
	s_getpc_b64 s[26:27]
	s_add_u32 s26, s26, llvm.amdgcn.dynlds.offset.table@rel32@lo+4
	s_addc_u32 s27, s27, llvm.amdgcn.dynlds.offset.table@rel32@hi+12
	s_add_u32 s24, s24, s26
	s_addc_u32 s25, s25, s27
	s_load_dword s19, s[24:25], 0x0
	v_lshlrev_b32_e32 v5, 9, v7
	s_mov_b64 s[24:25], 0
	s_waitcnt vmcnt(0)
	v_lshlrev_b32_e32 v6, 2, v6
	s_waitcnt lgkmcnt(0)
	v_add3_u32 v5, v5, v6, s19
.LBB308_615:                            ; =>This Inner Loop Header: Depth=1
	ds_read2st64_b32 v[6:7], v5 offset1:2
	v_add_u32_e32 v4, -1, v4
	v_cmp_eq_u32_e32 vcc, 0, v4
	s_or_b64 s[24:25], vcc, s[24:25]
	s_waitcnt lgkmcnt(0)
	v_pk_mul_f32 v[6:7], v[8:9], v[6:7]
	ds_write2st64_b32 v5, v6, v7 offset1:2
	v_add_u32_e32 v5, 0x400, v5
	s_andn2_b64 exec, exec, s[24:25]
	s_cbranch_execnz .LBB308_615
.LBB308_616:
	s_or_b64 exec, exec, s[10:11]
	v_add_u32_e32 v4, 1, v3
	buffer_load_dword v3, off, s[0:3], s32 offset:380 ; 4-byte Folded Reload
	v_and_b32_e32 v5, 0x3fffffe, v4
	v_cmp_ne_u32_e32 vcc, v4, v5
	s_orn2_b64 s[10:11], vcc, exec
	s_waitcnt vmcnt(0)
	v_lshl_add_u32 v3, v5, 7, v3
.LBB308_617:
	s_or_b64 exec, exec, s[8:9]
	s_and_b64 exec, exec, s[10:11]
	s_cbranch_execz .LBB308_620
; %bb.618:
	s_ashr_i32 s21, s20, 31
	s_lshl_b64 s[8:9], s[20:21], 2
	s_getpc_b64 s[10:11]
	s_add_u32 s10, s10, llvm.amdgcn.dynlds.offset.table@rel32@lo+4
	s_addc_u32 s11, s11, llvm.amdgcn.dynlds.offset.table@rel32@hi+12
	s_add_u32 s8, s8, s10
	s_addc_u32 s9, s9, s11
	s_load_dword s8, s[8:9], 0x0
	s_waitcnt lgkmcnt(0)
	v_lshl_add_u32 v4, v3, 2, s8
	s_mov_b64 s[8:9], 0
.LBB308_619:                            ; =>This Inner Loop Header: Depth=1
	ds_read_b32 v5, v4
	v_add_u32_e32 v3, 0x80, v3
	v_cmp_ge_i32_e32 vcc, v3, v1
	s_or_b64 s[8:9], vcc, s[8:9]
	s_waitcnt lgkmcnt(0)
	v_mul_f32_e32 v5, v8, v5
	ds_write_b32 v4, v5
	v_add_u32_e32 v4, 0x200, v4
	s_andn2_b64 exec, exec, s[8:9]
	s_cbranch_execnz .LBB308_619
.LBB308_620:
	s_or_b64 exec, exec, s[6:7]
	s_waitcnt lgkmcnt(0)
	s_barrier
	buffer_load_dword v1, off, s[0:3], s32 offset:380 ; 4-byte Folded Reload
	v_cmp_ne_u16_e64 s[6:7], s28, 0
	s_cmp_lg_u64 s[6:7], 0
	s_addc_u32 s19, s13, 0
	s_mul_i32 s6, s19, s22
	s_mul_i32 s6, s6, s15
	s_waitcnt vmcnt(0)
	v_cmp_eq_u32_e32 vcc, 0, v1
	s_and_saveexec_b64 s[8:9], vcc
	s_cbranch_execz .LBB308_622
; %bb.621:
	s_mul_i32 s12, s19, s12
	s_ashr_i32 s7, s6, 31
	s_ashr_i32 s13, s12, 31
	;; [unrolled: 1-line block ×3, first 2 shown]
	s_lshl_b64 s[10:11], s[6:7], 2
	s_lshl_b64 s[12:13], s[12:13], 2
	;; [unrolled: 1-line block ×3, first 2 shown]
	s_add_u32 s7, s22, s12
	s_addc_u32 s12, s23, s13
	s_add_u32 s7, s7, s10
	s_addc_u32 s10, s12, s11
	v_mov_b32_e32 v1, s10
	v_add_co_u32_e32 v4, vcc, s7, v26
	v_addc_co_u32_e32 v5, vcc, v1, v25, vcc
	v_add_co_u32_e32 v0, vcc, s7, v0
	v_addc_co_u32_e32 v1, vcc, v1, v24, vcc
	flat_store_dword v[4:5], v23
	flat_store_dword v[0:1], v2
.LBB308_622:
	s_or_b64 exec, exec, s[8:9]
	buffer_load_dword v0, off, s[0:3], s32 offset:380 ; 4-byte Folded Reload
	s_ashr_i32 s21, s20, 31
	s_lshl_b64 s[8:9], s[20:21], 2
	s_getpc_b64 s[10:11]
	s_add_u32 s10, s10, llvm.amdgcn.dynlds.offset.table@rel32@lo+4
	s_addc_u32 s11, s11, llvm.amdgcn.dynlds.offset.table@rel32@hi+12
	s_add_u32 s8, s8, s10
	s_addc_u32 s9, s9, s11
	v_mov_b32_e32 v50, 0
	v_mov_b32_e32 v51, 0
	;; [unrolled: 1-line block ×11, first 2 shown]
	s_waitcnt vmcnt(0)
	v_and_b32_e32 v26, 3, v0
	v_mov_b32_e32 v0, 0
	s_and_saveexec_b64 s[10:11], s[4:5]
	s_cbranch_execz .LBB308_1228
; %bb.623:
	v_and_b32_e32 v2, 0x1f8, v27
	v_or_b32_e32 v4, 0x1000, v2
	v_accvgpr_write_b32 a26, v4
	v_or_b32_e32 v4, 0x1200, v2
	v_accvgpr_write_b32 a30, v4
	v_or_b32_e32 v4, 0x1400, v2
	v_accvgpr_write_b32 a24, v2
	v_or_b32_e32 v2, 0x1600, v2
	s_load_dword s4, s[8:9], 0x0
	v_accvgpr_write_b32 a34, v2
	buffer_load_dword v2, off, s[0:3], s32 offset:420 ; 4-byte Folded Reload
	buffer_load_dword v3, off, s[0:3], s32 offset:424 ; 4-byte Folded Reload
	v_and_b32_e32 v0, 24, v27
	v_accvgpr_write_b32 a19, v0
	v_add_co_u32_e32 v0, vcc, v22, v32
	v_addc_co_u32_e32 v1, vcc, v19, v33, vcc
	v_accvgpr_write_b32 a21, v1
	v_max_i32_e32 v56, v30, v29
	v_accvgpr_write_b32 a20, v0
	v_cvt_f32_u32_e32 v0, v56
	v_add_u32_e32 v1, -1, v31
	v_accvgpr_write_b32 a22, v1
	v_sub_u32_e32 v1, 0, v56
	v_rcp_iflag_f32_e32 v0, v0
	s_mov_b32 s12, -1
	v_accvgpr_write_b32 a17, v36
	v_accvgpr_write_b32 a16, v35
	v_mul_f32_e32 v0, 0x4f7ffffe, v0
	v_cvt_u32_f32_e32 v0, v0
	v_accvgpr_write_b32 a15, v34
	s_mov_b32 s13, 0xffffff
	v_mov_b32_e32 v33, 0
	v_mul_lo_u32 v1, v1, v0
	v_mul_hi_u32 v1, v0, v1
	v_add_u32_e32 v0, v0, v1
	v_accvgpr_write_b32 a36, v0
	v_accvgpr_read_b32 v0, a12
	v_accvgpr_read_b32 v1, a13
	v_lshlrev_b64 v[0:1], 2, v[0:1]
	v_accvgpr_write_b32 a32, v4
	v_accvgpr_read_b32 v7, a8
	v_accvgpr_write_b32 a18, v26
	s_mov_b64 s[20:21], 0
	s_movk_i32 s7, 0x80
	s_movk_i32 s15, 0x7f
	s_mov_b32 s30, 0x8000
	s_movk_i32 s31, 0x380
	s_mov_b32 s34, 0x3020706
	s_mov_b32 s35, 0x1000504
	;; [unrolled: 1-line block ×3, first 2 shown]
	v_mov_b32_e32 v60, 0x2000
	v_mov_b32_e32 v9, 0
	;; [unrolled: 1-line block ×9, first 2 shown]
	s_waitcnt vmcnt(0)
	v_add_co_u32_e32 v0, vcc, v2, v0
	v_addc_co_u32_e32 v1, vcc, v3, v1, vcc
	v_add_co_u32_e32 v14, vcc, v14, v0
	v_lshlrev_b32_e32 v0, 5, v26
	v_lshl_or_b32 v0, v28, 7, v0
	v_addc_co_u32_e32 v15, vcc, v15, v1, vcc
	s_waitcnt lgkmcnt(0)
	v_add_u32_e32 v19, s4, v0
	v_mov_b32_e32 v1, 0
	v_mov_b32_e32 v0, 0
	;; [unrolled: 1-line block ×4, first 2 shown]
	s_branch .LBB308_626
.LBB308_624:                            ;   in Loop: Header=BB308_626 Depth=1
	s_or_b64 exec, exec, s[4:5]
	v_add_f32_e32 v4, v22, v42
	v_add_f32_e32 v0, v0, v4
	;; [unrolled: 1-line block ×14, first 2 shown]
	v_accvgpr_read_b32 v4, a33
	v_add_f32_e32 v4, v4, v18
	v_add_f32_e32 v25, v25, v4
	v_accvgpr_read_b32 v4, a29
	v_accvgpr_read_b32 v5, a31
	v_add_f32_e32 v4, v4, v5
	v_add_f32_e32 v24, v24, v4
	v_accvgpr_read_b32 v4, a27
	;; [unrolled: 4-line block ×3, first 2 shown]
	v_accvgpr_read_b32 v5, a25
	v_add_f32_e32 v4, v4, v5
	v_add_f32_e32 v50, v50, v4
	;;#ASMSTART
	v_pk_mul_f16 v4, v36, v52;

	;;#ASMEND
	;;#ASMSTART
	v_pk_mul_f16 v5, v34, v32;

	;;#ASMEND
	;; [unrolled: 4-line block ×4, first 2 shown]
	;;#ASMSTART
	v_pk_add_f16 v4, v4, v5;

	;;#ASMEND
	;;#ASMSTART
	v_pk_add_f16 v4, v4, v6;

	;;#ASMEND
	;; [unrolled: 4-line block ×3, first 2 shown]
	v_lshrrev_b32_e32 v5, 16, v4
	v_and_b32_e32 v4, 0xffff, v4
	;;#ASMSTART
	v_cvt_f32_f16 v4, v4;
	;;#ASMEND
	;;#ASMSTART
	v_cvt_f32_f16 v5, v5;
	;;#ASMEND
	v_add_f32_e32 v4, v4, v5
	v_add_f32_e32 v1, v1, v4
.LBB308_625:                            ;   in Loop: Header=BB308_626 Depth=1
	s_or_b64 exec, exec, s[22:23]
	v_accvgpr_read_b32 v6, a12
	v_add_co_u32_e32 v14, vcc, 8, v14
	v_add_u32_e32 v6, 2, v6
	v_addc_co_u32_e32 v15, vcc, 0, v15, vcc
	v_accvgpr_read_b32 v4, a11
	v_accvgpr_read_b32 v18, a13
	v_cmp_ge_i32_e32 vcc, v6, v4
	v_add_u32_e32 v18, 64, v18
	v_accvgpr_write_b32 a12, v6
	s_or_b64 s[20:21], vcc, s[20:21]
	v_add_u32_e32 v19, 0x100, v19
	s_andn2_b64 exec, exec, s[20:21]
	s_cbranch_execz .LBB308_1227
.LBB308_626:                            ; =>This Inner Loop Header: Depth=1
	buffer_load_dword v6, off, s[0:3], s32 offset:196 ; 4-byte Folded Reload
	v_ashrrev_i32_e32 v4, 31, v18
	v_accvgpr_read_b32 v5, a9
	v_xor_b32_e32 v4, v4, v5
	v_sub_u32_e32 v5, 0, v18
	v_max_i32_e32 v5, v18, v5
	v_accvgpr_read_b32 v11, a3
	v_accvgpr_write_b32 a13, v18
	s_waitcnt vmcnt(0)
	v_mul_hi_u32 v6, v5, v6
	v_mul_lo_u32 v10, v6, v11
	v_sub_u32_e32 v5, v5, v10
	v_add_u32_e32 v10, 1, v6
	v_cmp_ge_u32_e32 vcc, v5, v11
	v_cndmask_b32_e32 v6, v6, v10, vcc
	v_sub_u32_e32 v10, v5, v11
	v_cndmask_b32_e32 v5, v5, v10, vcc
	v_add_u32_e32 v10, 1, v6
	v_cmp_ge_u32_e32 vcc, v5, v11
	v_cndmask_b32_e32 v5, v6, v10, vcc
	v_xor_b32_e32 v5, v5, v4
	v_sub_u32_e32 v4, v5, v4
	v_accvgpr_read_b32 v6, a10
	v_add_u32_e32 v5, v4, v6
	v_sub_u32_e32 v10, 0, v5
	v_ashrrev_i32_e32 v6, 31, v5
	v_max_i32_e32 v5, v5, v10
	v_accvgpr_read_b32 v10, a36
	v_mul_hi_u32 v10, v5, v10
	v_mul_lo_u32 v10, v10, v56
	v_sub_u32_e32 v5, v5, v10
	v_sub_u32_e32 v10, v5, v56
	v_cmp_ge_u32_e32 vcc, v5, v56
	v_cndmask_b32_e32 v5, v5, v10, vcc
	v_sub_u32_e32 v10, v5, v56
	v_cmp_ge_u32_e32 vcc, v5, v56
	v_cndmask_b32_e32 v5, v5, v10, vcc
	v_xor_b32_e32 v5, v5, v6
	v_sub_u32_e32 v5, v5, v6
	v_cmp_eq_u32_e32 vcc, 0, v5
	buffer_load_dword v5, off, s[0:3], s32 offset:200 ; 4-byte Folded Reload
	s_waitcnt vmcnt(0)
	v_cmp_gt_i32_e64 s[4:5], v4, v5
	s_or_b64 s[4:5], vcc, s[4:5]
	s_and_saveexec_b64 s[22:23], s[4:5]
	s_cbranch_execz .LBB308_625
; %bb.627:                              ;   in Loop: Header=BB308_626 Depth=1
	flat_load_dword v4, v[14:15]
	ds_read2_b64 v[10:13], v19 offset1:1
	ds_read2_b64 v[26:29], v19 offset0:2 offset1:3
	v_accvgpr_read_b32 v16, a20
	v_accvgpr_read_b32 v17, a21
	s_waitcnt lgkmcnt(0)
	;;#ASMSTART
	v_cvt_f16_f32 v6, v10;

	;;#ASMEND
	;;#ASMSTART
	v_cvt_f16_f32 v10, v11;

	;;#ASMEND
	;; [unrolled: 4-line block ×3, first 2 shown]
	v_accvgpr_read_b32 v12, a6
	;;#ASMSTART
	v_cvt_f16_f32 v13, v13;

	;;#ASMEND
	;;#ASMSTART
	v_cvt_f16_f32 v18, v26;

	;;#ASMEND
	;; [unrolled: 4-line block ×5, first 2 shown]
	v_mov_b32_e32 v42, 0
	v_mov_b32_e32 v40, 0
	s_waitcnt vmcnt(0)
	v_mad_i64_i32 v[20:21], s[4:5], v4, v12, v[16:17]
	v_accvgpr_read_b32 v4, a24
	v_add_co_u32_e32 v52, vcc, v20, v4
	v_addc_co_u32_e32 v53, vcc, 0, v21, vcc
	v_accvgpr_read_b32 v4, a4
	flat_load_dwordx2 v[44:45], v[52:53]
	v_accvgpr_read_b32 v5, a5
	flat_load_dword v54, v[4:5]
	s_waitcnt vmcnt(0) lgkmcnt(0)
	v_cmp_ne_u16_sdwa s[24:25], v44, v33 src0_sel:BYTE_0 src1_sel:DWORD
	s_and_saveexec_b64 s[4:5], s[24:25]
	s_cbranch_execz .LBB308_633
; %bb.628:                              ;   in Loop: Header=BB308_626 Depth=1
	v_cmp_ne_u16_sdwa s[26:27], v44, s7 src0_sel:BYTE_0 src1_sel:DWORD
	v_bfrev_b32_e32 v40, 1
	s_and_saveexec_b64 s[24:25], s[26:27]
	s_cbranch_execz .LBB308_632
; %bb.629:                              ;   in Loop: Header=BB308_626 Depth=1
	v_and_b32_e32 v4, 0x7f, v44
	v_cmp_ne_u32_e32 vcc, s15, v4
	v_mov_b32_e32 v40, 0x7fc02000
	s_and_saveexec_b64 s[26:27], vcc
	s_cbranch_execz .LBB308_631
; %bb.630:                              ;   in Loop: Header=BB308_626 Depth=1
	v_and_b32_e32 v5, 7, v44
	v_ffbh_u32_e32 v5, v5
	v_min_u32_e32 v5, 32, v5
	v_subrev_u32_e32 v16, 28, v5
	v_cmp_gt_u32_e32 vcc, 8, v4
	v_lshrrev_b32_e32 v12, 3, v4
	v_cndmask_b32_e32 v4, 0, v16, vcc
	v_sub_u32_e32 v17, 29, v5
	v_lshlrev_b64 v[4:5], v4, v[44:45]
	v_cndmask_b32_e32 v5, v12, v17, vcc
	v_lshlrev_b32_e32 v12, 8, v44
	v_lshl_add_u32 v5, v5, 10, v60
	v_lshlrev_b32_e32 v4, 7, v4
	v_and_or_b32 v5, v12, s30, v5
	v_and_or_b32 v4, v4, s31, v5
	v_cvt_f32_f16_e32 v40, v4
.LBB308_631:                            ;   in Loop: Header=BB308_626 Depth=1
	s_or_b64 exec, exec, s[26:27]
.LBB308_632:                            ;   in Loop: Header=BB308_626 Depth=1
	s_or_b64 exec, exec, s[24:25]
.LBB308_633:                            ;   in Loop: Header=BB308_626 Depth=1
	s_or_b64 exec, exec, s[4:5]
	v_lshrrev_b16_e32 v32, 8, v44
	v_cmp_ne_u16_e32 vcc, 0, v32
	s_and_saveexec_b64 s[4:5], vcc
	s_cbranch_execz .LBB308_639
; %bb.634:                              ;   in Loop: Header=BB308_626 Depth=1
	v_cmp_ne_u16_e32 vcc, s7, v32
	v_bfrev_b32_e32 v42, 1
	s_and_saveexec_b64 s[24:25], vcc
	s_cbranch_execz .LBB308_638
; %bb.635:                              ;   in Loop: Header=BB308_626 Depth=1
	v_and_b32_e32 v4, 0x7f, v32
	v_cmp_ne_u32_e32 vcc, s15, v4
	v_mov_b32_e32 v42, 0x7fc02000
	s_and_saveexec_b64 s[26:27], vcc
	s_cbranch_execz .LBB308_637
; %bb.636:                              ;   in Loop: Header=BB308_626 Depth=1
	v_and_b32_e32 v5, 7, v32
	v_ffbh_u32_e32 v16, v5
	v_min_u32_e32 v27, 32, v16
	v_subrev_u32_e32 v16, 28, v27
	v_lshlrev_b64 v[16:17], v16, v[32:33]
	v_lshrrev_b32_e32 v12, 3, v4
	v_sub_u32_e32 v17, 29, v27
	v_cmp_gt_u32_e32 vcc, 8, v4
	v_cndmask_b32_e32 v4, v12, v17, vcc
	v_and_b32_e32 v16, 7, v16
	v_lshlrev_b32_e32 v12, 8, v32
	v_lshl_add_u32 v4, v4, 10, v60
	v_cndmask_b32_e32 v5, v5, v16, vcc
	v_and_or_b32 v4, v12, s30, v4
	v_lshl_or_b32 v4, v5, 7, v4
	v_cvt_f32_f16_e32 v42, v4
.LBB308_637:                            ;   in Loop: Header=BB308_626 Depth=1
	s_or_b64 exec, exec, s[26:27]
.LBB308_638:                            ;   in Loop: Header=BB308_626 Depth=1
	s_or_b64 exec, exec, s[24:25]
.LBB308_639:                            ;   in Loop: Header=BB308_626 Depth=1
	s_or_b64 exec, exec, s[4:5]
	v_lshrrev_b32_e32 v32, 16, v44
	v_cmp_ne_u16_sdwa s[24:25], v32, v33 src0_sel:BYTE_0 src1_sel:DWORD
	v_mov_b32_e32 v43, 0
	v_mov_b32_e32 v41, 0
	s_and_saveexec_b64 s[4:5], s[24:25]
	s_cbranch_execz .LBB308_645
; %bb.640:                              ;   in Loop: Header=BB308_626 Depth=1
	v_cmp_ne_u16_sdwa s[26:27], v32, s7 src0_sel:BYTE_0 src1_sel:DWORD
	v_bfrev_b32_e32 v41, 1
	s_and_saveexec_b64 s[24:25], s[26:27]
	s_cbranch_execz .LBB308_644
; %bb.641:                              ;   in Loop: Header=BB308_626 Depth=1
	v_bfe_u32 v4, v44, 16, 7
	v_cmp_ne_u32_e32 vcc, s15, v4
	v_mov_b32_e32 v41, 0x7fc02000
	s_and_saveexec_b64 s[26:27], vcc
	s_cbranch_execz .LBB308_643
; %bb.642:                              ;   in Loop: Header=BB308_626 Depth=1
	v_and_b32_e32 v5, 7, v32
	v_ffbh_u32_e32 v16, v5
	v_min_u32_e32 v27, 32, v16
	v_subrev_u32_e32 v16, 28, v27
	v_lshlrev_b64 v[16:17], v16, v[32:33]
	v_lshrrev_b32_e32 v12, 3, v4
	v_sub_u32_e32 v17, 29, v27
	v_cmp_gt_u32_e32 vcc, 8, v4
	v_cndmask_b32_e32 v4, v12, v17, vcc
	v_and_b32_e32 v16, 7, v16
	v_lshlrev_b32_e32 v12, 8, v32
	v_lshl_add_u32 v4, v4, 10, v60
	v_cndmask_b32_e32 v5, v5, v16, vcc
	v_and_or_b32 v4, v12, s30, v4
	v_lshl_or_b32 v4, v5, 7, v4
	v_cvt_f32_f16_e32 v41, v4
.LBB308_643:                            ;   in Loop: Header=BB308_626 Depth=1
	s_or_b64 exec, exec, s[26:27]
.LBB308_644:                            ;   in Loop: Header=BB308_626 Depth=1
	s_or_b64 exec, exec, s[24:25]
.LBB308_645:                            ;   in Loop: Header=BB308_626 Depth=1
	s_or_b64 exec, exec, s[4:5]
	v_cmp_lt_u32_e32 vcc, s13, v44
	s_and_saveexec_b64 s[4:5], vcc
	s_cbranch_execz .LBB308_651
; %bb.646:                              ;   in Loop: Header=BB308_626 Depth=1
	v_lshrrev_b32_e32 v32, 24, v44
	v_cmp_ne_u32_e32 vcc, s7, v32
	v_bfrev_b32_e32 v43, 1
	s_and_saveexec_b64 s[24:25], vcc
	s_cbranch_execz .LBB308_650
; %bb.647:                              ;   in Loop: Header=BB308_626 Depth=1
	v_and_b32_e32 v4, 0x7f, v32
	v_cmp_ne_u32_e32 vcc, s15, v4
	v_mov_b32_e32 v43, 0x7fc02000
	s_and_saveexec_b64 s[26:27], vcc
	s_cbranch_execz .LBB308_649
; %bb.648:                              ;   in Loop: Header=BB308_626 Depth=1
	v_and_b32_e32 v5, 7, v32
	v_ffbh_u32_e32 v16, v5
	v_min_u32_e32 v27, 32, v16
	v_subrev_u32_e32 v16, 28, v27
	v_lshlrev_b64 v[16:17], v16, v[32:33]
	v_lshrrev_b32_e32 v12, 3, v4
	v_sub_u32_e32 v17, 29, v27
	v_cmp_gt_u32_e32 vcc, 8, v4
	v_cndmask_b32_e32 v4, v12, v17, vcc
	v_and_b32_e32 v16, 7, v16
	v_lshlrev_b32_e32 v12, 8, v32
	v_lshl_add_u32 v4, v4, 10, v60
	v_cndmask_b32_e32 v5, v5, v16, vcc
	v_and_or_b32 v4, v12, s30, v4
	v_lshl_or_b32 v4, v5, 7, v4
	v_cvt_f32_f16_e32 v43, v4
.LBB308_649:                            ;   in Loop: Header=BB308_626 Depth=1
	s_or_b64 exec, exec, s[26:27]
.LBB308_650:                            ;   in Loop: Header=BB308_626 Depth=1
	s_or_b64 exec, exec, s[24:25]
.LBB308_651:                            ;   in Loop: Header=BB308_626 Depth=1
	s_or_b64 exec, exec, s[4:5]
	v_mov_b32_e32 v32, v45
	v_cmp_ne_u16_sdwa s[24:25], v45, v33 src0_sel:BYTE_0 src1_sel:DWORD
	v_mov_b32_e32 v5, 0
	v_mov_b32_e32 v4, 0
	s_and_saveexec_b64 s[4:5], s[24:25]
	s_cbranch_execz .LBB308_657
; %bb.652:                              ;   in Loop: Header=BB308_626 Depth=1
	v_cmp_ne_u16_sdwa s[26:27], v45, s7 src0_sel:BYTE_0 src1_sel:DWORD
	v_bfrev_b32_e32 v4, 1
	s_and_saveexec_b64 s[24:25], s[26:27]
	s_cbranch_execz .LBB308_656
; %bb.653:                              ;   in Loop: Header=BB308_626 Depth=1
	v_and_b32_e32 v12, 0x7f, v45
	v_cmp_ne_u32_e32 vcc, s15, v12
	v_mov_b32_e32 v4, 0x7fc02000
	s_and_saveexec_b64 s[26:27], vcc
	s_cbranch_execz .LBB308_655
; %bb.654:                              ;   in Loop: Header=BB308_626 Depth=1
	v_and_b32_e32 v4, 7, v45
	v_ffbh_u32_e32 v4, v4
	v_min_u32_e32 v4, 32, v4
	v_subrev_u32_e32 v16, 28, v4
	v_cmp_gt_u32_e32 vcc, 8, v12
	v_lshrrev_b32_e32 v27, 3, v12
	v_sub_u32_e32 v4, 29, v4
	v_cndmask_b32_e32 v12, 0, v16, vcc
	v_lshlrev_b64 v[16:17], v12, v[32:33]
	v_cndmask_b32_e32 v4, v27, v4, vcc
	v_lshlrev_b32_e32 v12, 7, v16
	v_lshlrev_b32_e32 v16, 8, v45
	v_lshl_add_u32 v4, v4, 10, v60
	v_and_or_b32 v4, v16, s30, v4
	v_and_or_b32 v4, v12, s31, v4
	v_cvt_f32_f16_e32 v4, v4
.LBB308_655:                            ;   in Loop: Header=BB308_626 Depth=1
	s_or_b64 exec, exec, s[26:27]
.LBB308_656:                            ;   in Loop: Header=BB308_626 Depth=1
	s_or_b64 exec, exec, s[24:25]
.LBB308_657:                            ;   in Loop: Header=BB308_626 Depth=1
	s_or_b64 exec, exec, s[4:5]
	v_lshrrev_b16_e32 v32, 8, v32
	v_cmp_ne_u16_e32 vcc, 0, v32
	s_and_saveexec_b64 s[4:5], vcc
	s_cbranch_execz .LBB308_663
; %bb.658:                              ;   in Loop: Header=BB308_626 Depth=1
	v_cmp_ne_u16_e32 vcc, s7, v32
	v_bfrev_b32_e32 v5, 1
	s_and_saveexec_b64 s[24:25], vcc
	s_cbranch_execz .LBB308_662
; %bb.659:                              ;   in Loop: Header=BB308_626 Depth=1
	v_and_b32_e32 v12, 0x7f, v32
	v_cmp_ne_u32_e32 vcc, s15, v12
	v_mov_b32_e32 v5, 0x7fc02000
	s_and_saveexec_b64 s[26:27], vcc
	s_cbranch_execz .LBB308_661
; %bb.660:                              ;   in Loop: Header=BB308_626 Depth=1
	v_and_b32_e32 v5, 7, v32
	v_ffbh_u32_e32 v16, v5
	v_min_u32_e32 v28, 32, v16
	v_subrev_u32_e32 v16, 28, v28
	v_lshlrev_b64 v[16:17], v16, v[32:33]
	v_lshrrev_b32_e32 v27, 3, v12
	v_sub_u32_e32 v17, 29, v28
	v_cmp_gt_u32_e32 vcc, 8, v12
	v_and_b32_e32 v16, 7, v16
	v_cndmask_b32_e32 v12, v27, v17, vcc
	v_cndmask_b32_e32 v5, v5, v16, vcc
	v_lshlrev_b32_e32 v16, 8, v32
	v_lshl_add_u32 v12, v12, 10, v60
	v_and_or_b32 v12, v16, s30, v12
	v_lshl_or_b32 v5, v5, 7, v12
	v_cvt_f32_f16_e32 v5, v5
.LBB308_661:                            ;   in Loop: Header=BB308_626 Depth=1
	s_or_b64 exec, exec, s[26:27]
.LBB308_662:                            ;   in Loop: Header=BB308_626 Depth=1
	s_or_b64 exec, exec, s[24:25]
.LBB308_663:                            ;   in Loop: Header=BB308_626 Depth=1
	s_or_b64 exec, exec, s[4:5]
	v_lshrrev_b32_e32 v32, 16, v45
	v_cmp_ne_u16_sdwa s[24:25], v32, v33 src0_sel:BYTE_0 src1_sel:DWORD
	v_mov_b32_e32 v16, 0
	v_mov_b32_e32 v17, 0
	s_and_saveexec_b64 s[4:5], s[24:25]
	s_cbranch_execz .LBB308_669
; %bb.664:                              ;   in Loop: Header=BB308_626 Depth=1
	v_cmp_ne_u16_sdwa s[26:27], v32, s7 src0_sel:BYTE_0 src1_sel:DWORD
	v_bfrev_b32_e32 v17, 1
	s_and_saveexec_b64 s[24:25], s[26:27]
	s_cbranch_execz .LBB308_668
; %bb.665:                              ;   in Loop: Header=BB308_626 Depth=1
	v_bfe_u32 v12, v45, 16, 7
	v_cmp_ne_u32_e32 vcc, s15, v12
	v_mov_b32_e32 v17, 0x7fc02000
	s_and_saveexec_b64 s[26:27], vcc
	s_cbranch_execz .LBB308_667
; %bb.666:                              ;   in Loop: Header=BB308_626 Depth=1
	v_and_b32_e32 v17, 7, v32
	v_ffbh_u32_e32 v28, v17
	v_min_u32_e32 v30, 32, v28
	v_subrev_u32_e32 v28, 28, v30
	v_lshlrev_b64 v[28:29], v28, v[32:33]
	v_lshrrev_b32_e32 v27, 3, v12
	v_sub_u32_e32 v29, 29, v30
	v_cmp_gt_u32_e32 vcc, 8, v12
	v_cndmask_b32_e32 v12, v27, v29, vcc
	v_and_b32_e32 v28, 7, v28
	v_lshlrev_b32_e32 v27, 8, v32
	v_lshl_add_u32 v12, v12, 10, v60
	v_cndmask_b32_e32 v17, v17, v28, vcc
	v_and_or_b32 v12, v27, s30, v12
	v_lshl_or_b32 v12, v17, 7, v12
	v_cvt_f32_f16_e32 v17, v12
.LBB308_667:                            ;   in Loop: Header=BB308_626 Depth=1
	s_or_b64 exec, exec, s[26:27]
.LBB308_668:                            ;   in Loop: Header=BB308_626 Depth=1
	s_or_b64 exec, exec, s[24:25]
.LBB308_669:                            ;   in Loop: Header=BB308_626 Depth=1
	s_or_b64 exec, exec, s[4:5]
	v_cmp_lt_u64_e32 vcc, s[12:13], v[44:45]
	s_and_saveexec_b64 s[4:5], vcc
	s_cbranch_execz .LBB308_675
; %bb.670:                              ;   in Loop: Header=BB308_626 Depth=1
	v_lshrrev_b32_e32 v32, 24, v45
	v_cmp_ne_u32_e32 vcc, s7, v32
	v_bfrev_b32_e32 v16, 1
	s_and_saveexec_b64 s[24:25], vcc
	s_cbranch_execz .LBB308_674
; %bb.671:                              ;   in Loop: Header=BB308_626 Depth=1
	v_and_b32_e32 v12, 0x7f, v32
	v_cmp_ne_u32_e32 vcc, s15, v12
	v_mov_b32_e32 v16, 0x7fc02000
	s_and_saveexec_b64 s[26:27], vcc
	s_cbranch_execz .LBB308_673
; %bb.672:                              ;   in Loop: Header=BB308_626 Depth=1
	v_and_b32_e32 v16, 7, v32
	v_ffbh_u32_e32 v28, v16
	v_min_u32_e32 v30, 32, v28
	v_subrev_u32_e32 v28, 28, v30
	v_lshlrev_b64 v[28:29], v28, v[32:33]
	v_lshrrev_b32_e32 v27, 3, v12
	v_sub_u32_e32 v29, 29, v30
	v_cmp_gt_u32_e32 vcc, 8, v12
	v_cndmask_b32_e32 v12, v27, v29, vcc
	v_and_b32_e32 v28, 7, v28
	v_lshlrev_b32_e32 v27, 8, v32
	v_lshl_add_u32 v12, v12, 10, v60
	v_cndmask_b32_e32 v16, v16, v28, vcc
	v_and_or_b32 v12, v27, s30, v12
	v_lshl_or_b32 v12, v16, 7, v12
	v_cvt_f32_f16_e32 v16, v12
.LBB308_673:                            ;   in Loop: Header=BB308_626 Depth=1
	s_or_b64 exec, exec, s[26:27]
.LBB308_674:                            ;   in Loop: Header=BB308_626 Depth=1
	s_or_b64 exec, exec, s[24:25]
.LBB308_675:                            ;   in Loop: Header=BB308_626 Depth=1
	s_or_b64 exec, exec, s[4:5]
	v_pk_mul_f32 v[28:29], v[54:55], v[42:43] op_sel_hi:[0,1]
	v_pk_mul_f32 v[30:31], v[54:55], v[40:41] op_sel_hi:[0,1]
	v_cvt_f16_f32_e32 v27, v29
	v_cvt_f16_f32_e32 v28, v28
	;; [unrolled: 1-line block ×4, first 2 shown]
	v_fma_mixlo_f16 v5, v54, v5, 0
	v_lshlrev_b32_e32 v5, 16, v5
	v_fma_mixlo_f16 v4, v54, v4, 0
	v_accvgpr_read_b32 v12, a13
	v_accvgpr_read_b32 v31, a19
	v_pack_b32_f16 v28, v28, v27
	v_pack_b32_f16 v29, v30, v29
	v_or_b32_sdwa v30, v5, v4 dst_sel:DWORD dst_unused:UNUSED_PAD src0_sel:DWORD src1_sel:WORD_0
	v_fma_mixlo_f16 v4, v54, v16, 0
	v_add_u32_e32 v12, v31, v12
	v_accvgpr_read_b32 v32, a12
	v_accvgpr_read_b32 v31, a22
	v_perm_b32 v27, v29, v28, s34
	v_perm_b32 v29, v29, v28, s35
	v_fma_mixlo_f16 v28, v54, v17, 0
	v_lshlrev_b32_e32 v4, 16, v4
	v_cmp_eq_u32_e32 vcc, v31, v32
	v_or_b32_sdwa v16, v4, v28 dst_sel:DWORD dst_unused:UNUSED_PAD src0_sel:DWORD src1_sel:WORD_0
	v_add_u32_e32 v38, 1, v12
	v_or_b32_e32 v35, 3, v12
	v_or_b32_e32 v39, 2, v12
	;; [unrolled: 1-line block ×6, first 2 shown]
	s_and_saveexec_b64 s[24:25], vcc
	s_cbranch_execz .LBB308_677
; %bb.676:                              ;   in Loop: Header=BB308_626 Depth=1
	v_lshrrev_b32_e32 v4, 16, v29
	v_cmp_lt_i32_e64 s[4:5], v38, v7
	v_accvgpr_read_b32 v32, a8
	v_cndmask_b32_e64 v4, 0, v4, s[4:5]
	v_cmp_lt_i32_e64 s[4:5], v12, v32
	v_cndmask_b32_e64 v5, 0, v29, s[4:5]
	v_perm_b32 v29, v4, v5, s36
	v_lshrrev_b32_e32 v4, 16, v27
	v_cmp_lt_i32_e64 s[4:5], v35, v7
	v_cndmask_b32_e64 v4, 0, v4, s[4:5]
	v_cmp_lt_i32_e64 s[4:5], v39, v32
	v_cndmask_b32_e64 v5, 0, v27, s[4:5]
	v_perm_b32 v27, v4, v5, s36
	v_lshrrev_b32_e32 v4, 16, v30
	v_cmp_lt_i32_e64 s[4:5], v37, v7
	;; [unrolled: 6-line block ×3, first 2 shown]
	v_cndmask_b32_e64 v4, 0, v4, s[4:5]
	v_cmp_lt_i32_e64 s[4:5], v61, v32
	v_cndmask_b32_e64 v5, 0, v28, s[4:5]
	v_perm_b32 v16, v4, v5, s36
.LBB308_677:                            ;   in Loop: Header=BB308_626 Depth=1
	s_or_b64 exec, exec, s[24:25]
	v_and_b32_e32 v4, 0xffff, v6
	v_lshl_or_b32 v36, v10, 16, v4
	v_and_b32_e32 v4, 0xffff, v11
	v_lshl_or_b32 v34, v13, 16, v4
	;; [unrolled: 2-line block ×4, first 2 shown]
	;;#ASMSTART
	v_pk_mul_f16 v4, v36, v29;

	;;#ASMEND
	;;#ASMSTART
	v_pk_mul_f16 v5, v34, v27;

	;;#ASMEND
	;; [unrolled: 4-line block ×4, first 2 shown]
	;;#ASMSTART
	v_pk_add_f16 v4, v4, v5;

	;;#ASMEND
	;;#ASMSTART
	v_pk_add_f16 v4, v4, v6;

	;;#ASMEND
	;; [unrolled: 4-line block ×3, first 2 shown]
	v_lshrrev_b32_e32 v5, 16, v4
	v_and_b32_e32 v4, 0xffff, v4
	;;#ASMSTART
	v_cvt_f32_f16 v4, v4;
	;;#ASMEND
	v_accvgpr_write_b32 a23, v4
	;;#ASMSTART
	v_cvt_f32_f16 v4, v5;
	;;#ASMEND
	v_accvgpr_write_b32 a25, v4
	v_accvgpr_read_b32 v4, a4
	flat_load_dwordx2 v[44:45], v[52:53] offset:512
	v_accvgpr_read_b32 v5, a5
	flat_load_dword v54, v[4:5]
	v_mov_b32_e32 v42, 0
	v_mov_b32_e32 v40, 0
	s_waitcnt vmcnt(0) lgkmcnt(0)
	v_cmp_ne_u16_sdwa s[4:5], v44, v33 src0_sel:BYTE_0 src1_sel:DWORD
	s_and_saveexec_b64 s[24:25], s[4:5]
	s_cbranch_execz .LBB308_683
; %bb.678:                              ;   in Loop: Header=BB308_626 Depth=1
	v_cmp_ne_u16_sdwa s[4:5], v44, s7 src0_sel:BYTE_0 src1_sel:DWORD
	v_bfrev_b32_e32 v40, 1
	s_and_saveexec_b64 s[26:27], s[4:5]
	s_cbranch_execz .LBB308_682
; %bb.679:                              ;   in Loop: Header=BB308_626 Depth=1
	v_and_b32_e32 v6, 0x7f, v44
	v_cmp_ne_u32_e64 s[4:5], s15, v6
	v_mov_b32_e32 v40, 0x7fc02000
	s_and_saveexec_b64 s[28:29], s[4:5]
	s_cbranch_execz .LBB308_681
; %bb.680:                              ;   in Loop: Header=BB308_626 Depth=1
	v_and_b32_e32 v4, 7, v44
	v_ffbh_u32_e32 v4, v4
	v_min_u32_e32 v4, 32, v4
	v_lshrrev_b32_e32 v5, 3, v6
	v_subrev_u32_e32 v10, 28, v4
	v_sub_u32_e32 v4, 29, v4
	v_cmp_gt_u32_e64 s[4:5], 8, v6
	v_cndmask_b32_e64 v6, 0, v10, s[4:5]
	v_cndmask_b32_e64 v4, v5, v4, s[4:5]
	v_lshlrev_b64 v[10:11], v6, v[44:45]
	v_lshlrev_b32_e32 v6, 8, v44
	v_lshl_add_u32 v4, v4, 10, v60
	v_lshlrev_b32_e32 v5, 7, v10
	v_and_or_b32 v4, v6, s30, v4
	v_and_or_b32 v4, v5, s31, v4
	v_cvt_f32_f16_e32 v40, v4
.LBB308_681:                            ;   in Loop: Header=BB308_626 Depth=1
	s_or_b64 exec, exec, s[28:29]
.LBB308_682:                            ;   in Loop: Header=BB308_626 Depth=1
	s_or_b64 exec, exec, s[26:27]
.LBB308_683:                            ;   in Loop: Header=BB308_626 Depth=1
	s_or_b64 exec, exec, s[24:25]
	v_lshrrev_b16_e32 v32, 8, v44
	v_cmp_ne_u16_e64 s[4:5], 0, v32
	s_and_saveexec_b64 s[24:25], s[4:5]
	s_cbranch_execz .LBB308_689
; %bb.684:                              ;   in Loop: Header=BB308_626 Depth=1
	v_cmp_ne_u16_e64 s[4:5], s7, v32
	v_bfrev_b32_e32 v42, 1
	s_and_saveexec_b64 s[26:27], s[4:5]
	s_cbranch_execz .LBB308_688
; %bb.685:                              ;   in Loop: Header=BB308_626 Depth=1
	v_and_b32_e32 v6, 0x7f, v32
	v_cmp_ne_u32_e64 s[4:5], s15, v6
	v_mov_b32_e32 v42, 0x7fc02000
	s_and_saveexec_b64 s[28:29], s[4:5]
	s_cbranch_execz .LBB308_687
; %bb.686:                              ;   in Loop: Header=BB308_626 Depth=1
	v_and_b32_e32 v4, 7, v32
	v_ffbh_u32_e32 v10, v4
	v_min_u32_e32 v13, 32, v10
	v_subrev_u32_e32 v10, 28, v13
	v_lshlrev_b64 v[10:11], v10, v[32:33]
	v_lshrrev_b32_e32 v5, 3, v6
	v_sub_u32_e32 v11, 29, v13
	v_cmp_gt_u32_e64 s[4:5], 8, v6
	v_cndmask_b32_e64 v5, v5, v11, s[4:5]
	v_and_b32_e32 v10, 7, v10
	v_lshlrev_b32_e32 v6, 8, v32
	v_lshl_add_u32 v5, v5, 10, v60
	v_cndmask_b32_e64 v4, v4, v10, s[4:5]
	v_and_or_b32 v5, v6, s30, v5
	v_lshl_or_b32 v4, v4, 7, v5
	v_cvt_f32_f16_e32 v42, v4
.LBB308_687:                            ;   in Loop: Header=BB308_626 Depth=1
	s_or_b64 exec, exec, s[28:29]
.LBB308_688:                            ;   in Loop: Header=BB308_626 Depth=1
	s_or_b64 exec, exec, s[26:27]
.LBB308_689:                            ;   in Loop: Header=BB308_626 Depth=1
	s_or_b64 exec, exec, s[24:25]
	v_lshrrev_b32_e32 v32, 16, v44
	v_cmp_ne_u16_sdwa s[4:5], v32, v33 src0_sel:BYTE_0 src1_sel:DWORD
	v_mov_b32_e32 v43, 0
	v_mov_b32_e32 v41, 0
	s_and_saveexec_b64 s[24:25], s[4:5]
	s_cbranch_execz .LBB308_695
; %bb.690:                              ;   in Loop: Header=BB308_626 Depth=1
	v_cmp_ne_u16_sdwa s[4:5], v32, s7 src0_sel:BYTE_0 src1_sel:DWORD
	v_bfrev_b32_e32 v41, 1
	s_and_saveexec_b64 s[26:27], s[4:5]
	s_cbranch_execz .LBB308_694
; %bb.691:                              ;   in Loop: Header=BB308_626 Depth=1
	v_bfe_u32 v6, v44, 16, 7
	v_cmp_ne_u32_e64 s[4:5], s15, v6
	v_mov_b32_e32 v41, 0x7fc02000
	s_and_saveexec_b64 s[28:29], s[4:5]
	s_cbranch_execz .LBB308_693
; %bb.692:                              ;   in Loop: Header=BB308_626 Depth=1
	v_and_b32_e32 v4, 7, v32
	v_ffbh_u32_e32 v10, v4
	v_min_u32_e32 v13, 32, v10
	v_subrev_u32_e32 v10, 28, v13
	v_lshlrev_b64 v[10:11], v10, v[32:33]
	v_lshrrev_b32_e32 v5, 3, v6
	v_sub_u32_e32 v11, 29, v13
	v_cmp_gt_u32_e64 s[4:5], 8, v6
	v_cndmask_b32_e64 v5, v5, v11, s[4:5]
	v_and_b32_e32 v10, 7, v10
	v_lshlrev_b32_e32 v6, 8, v32
	v_lshl_add_u32 v5, v5, 10, v60
	v_cndmask_b32_e64 v4, v4, v10, s[4:5]
	v_and_or_b32 v5, v6, s30, v5
	v_lshl_or_b32 v4, v4, 7, v5
	v_cvt_f32_f16_e32 v41, v4
.LBB308_693:                            ;   in Loop: Header=BB308_626 Depth=1
	s_or_b64 exec, exec, s[28:29]
.LBB308_694:                            ;   in Loop: Header=BB308_626 Depth=1
	s_or_b64 exec, exec, s[26:27]
.LBB308_695:                            ;   in Loop: Header=BB308_626 Depth=1
	s_or_b64 exec, exec, s[24:25]
	v_cmp_lt_u32_e64 s[4:5], s13, v44
	s_and_saveexec_b64 s[24:25], s[4:5]
	s_cbranch_execz .LBB308_701
; %bb.696:                              ;   in Loop: Header=BB308_626 Depth=1
	v_lshrrev_b32_e32 v32, 24, v44
	v_cmp_ne_u32_e64 s[4:5], s7, v32
	v_bfrev_b32_e32 v43, 1
	s_and_saveexec_b64 s[26:27], s[4:5]
	s_cbranch_execz .LBB308_700
; %bb.697:                              ;   in Loop: Header=BB308_626 Depth=1
	v_and_b32_e32 v6, 0x7f, v32
	v_cmp_ne_u32_e64 s[4:5], s15, v6
	v_mov_b32_e32 v43, 0x7fc02000
	s_and_saveexec_b64 s[28:29], s[4:5]
	s_cbranch_execz .LBB308_699
; %bb.698:                              ;   in Loop: Header=BB308_626 Depth=1
	v_and_b32_e32 v4, 7, v32
	v_ffbh_u32_e32 v10, v4
	v_min_u32_e32 v13, 32, v10
	v_subrev_u32_e32 v10, 28, v13
	v_lshlrev_b64 v[10:11], v10, v[32:33]
	v_lshrrev_b32_e32 v5, 3, v6
	v_sub_u32_e32 v11, 29, v13
	v_cmp_gt_u32_e64 s[4:5], 8, v6
	v_cndmask_b32_e64 v5, v5, v11, s[4:5]
	v_and_b32_e32 v10, 7, v10
	v_lshlrev_b32_e32 v6, 8, v32
	v_lshl_add_u32 v5, v5, 10, v60
	v_cndmask_b32_e64 v4, v4, v10, s[4:5]
	v_and_or_b32 v5, v6, s30, v5
	v_lshl_or_b32 v4, v4, 7, v5
	v_cvt_f32_f16_e32 v43, v4
.LBB308_699:                            ;   in Loop: Header=BB308_626 Depth=1
	s_or_b64 exec, exec, s[28:29]
.LBB308_700:                            ;   in Loop: Header=BB308_626 Depth=1
	s_or_b64 exec, exec, s[26:27]
.LBB308_701:                            ;   in Loop: Header=BB308_626 Depth=1
	s_or_b64 exec, exec, s[24:25]
	v_mov_b32_e32 v32, v45
	v_cmp_ne_u16_sdwa s[4:5], v45, v33 src0_sel:BYTE_0 src1_sel:DWORD
	v_mov_b32_e32 v10, 0
	v_mov_b32_e32 v6, 0
	s_and_saveexec_b64 s[24:25], s[4:5]
	s_cbranch_execz .LBB308_707
; %bb.702:                              ;   in Loop: Header=BB308_626 Depth=1
	v_cmp_ne_u16_sdwa s[4:5], v45, s7 src0_sel:BYTE_0 src1_sel:DWORD
	v_bfrev_b32_e32 v6, 1
	s_and_saveexec_b64 s[26:27], s[4:5]
	s_cbranch_execz .LBB308_706
; %bb.703:                              ;   in Loop: Header=BB308_626 Depth=1
	v_and_b32_e32 v11, 0x7f, v45
	v_cmp_ne_u32_e64 s[4:5], s15, v11
	v_mov_b32_e32 v6, 0x7fc02000
	s_and_saveexec_b64 s[28:29], s[4:5]
	s_cbranch_execz .LBB308_705
; %bb.704:                              ;   in Loop: Header=BB308_626 Depth=1
	v_and_b32_e32 v4, 7, v45
	v_ffbh_u32_e32 v4, v4
	v_min_u32_e32 v4, 32, v4
	v_lshrrev_b32_e32 v5, 3, v11
	v_subrev_u32_e32 v6, 28, v4
	v_sub_u32_e32 v4, 29, v4
	v_cmp_gt_u32_e64 s[4:5], 8, v11
	v_cndmask_b32_e64 v6, 0, v6, s[4:5]
	v_cndmask_b32_e64 v4, v5, v4, s[4:5]
	v_lshlrev_b64 v[22:23], v6, v[32:33]
	v_lshlrev_b32_e32 v6, 8, v45
	v_lshl_add_u32 v4, v4, 10, v60
	v_lshlrev_b32_e32 v5, 7, v22
	v_and_or_b32 v4, v6, s30, v4
	v_and_or_b32 v4, v5, s31, v4
	v_cvt_f32_f16_e32 v6, v4
.LBB308_705:                            ;   in Loop: Header=BB308_626 Depth=1
	s_or_b64 exec, exec, s[28:29]
.LBB308_706:                            ;   in Loop: Header=BB308_626 Depth=1
	s_or_b64 exec, exec, s[26:27]
.LBB308_707:                            ;   in Loop: Header=BB308_626 Depth=1
	s_or_b64 exec, exec, s[24:25]
	v_lshrrev_b16_e32 v32, 8, v32
	v_cmp_ne_u16_e64 s[4:5], 0, v32
	s_and_saveexec_b64 s[24:25], s[4:5]
	s_cbranch_execz .LBB308_713
; %bb.708:                              ;   in Loop: Header=BB308_626 Depth=1
	v_cmp_ne_u16_e64 s[4:5], s7, v32
	v_bfrev_b32_e32 v10, 1
	s_and_saveexec_b64 s[26:27], s[4:5]
	s_cbranch_execz .LBB308_712
; %bb.709:                              ;   in Loop: Header=BB308_626 Depth=1
	v_and_b32_e32 v11, 0x7f, v32
	v_cmp_ne_u32_e64 s[4:5], s15, v11
	v_mov_b32_e32 v10, 0x7fc02000
	s_and_saveexec_b64 s[28:29], s[4:5]
	s_cbranch_execz .LBB308_711
; %bb.710:                              ;   in Loop: Header=BB308_626 Depth=1
	v_and_b32_e32 v4, 7, v32
	v_ffbh_u32_e32 v10, v4
	v_min_u32_e32 v10, 32, v10
	v_lshrrev_b32_e32 v5, 3, v11
	v_subrev_u32_e32 v13, 28, v10
	v_sub_u32_e32 v10, 29, v10
	v_cmp_gt_u32_e64 s[4:5], 8, v11
	v_lshlrev_b64 v[22:23], v13, v[32:33]
	v_cndmask_b32_e64 v5, v5, v10, s[4:5]
	v_and_b32_e32 v13, 7, v22
	v_lshlrev_b32_e32 v10, 8, v32
	v_lshl_add_u32 v5, v5, 10, v60
	v_cndmask_b32_e64 v4, v4, v13, s[4:5]
	v_and_or_b32 v5, v10, s30, v5
	v_lshl_or_b32 v4, v4, 7, v5
	v_cvt_f32_f16_e32 v10, v4
.LBB308_711:                            ;   in Loop: Header=BB308_626 Depth=1
	s_or_b64 exec, exec, s[28:29]
.LBB308_712:                            ;   in Loop: Header=BB308_626 Depth=1
	s_or_b64 exec, exec, s[26:27]
.LBB308_713:                            ;   in Loop: Header=BB308_626 Depth=1
	s_or_b64 exec, exec, s[24:25]
	v_lshrrev_b32_e32 v32, 16, v45
	v_cmp_ne_u16_sdwa s[4:5], v32, v33 src0_sel:BYTE_0 src1_sel:DWORD
	v_mov_b32_e32 v11, 0
	v_mov_b32_e32 v13, 0
	s_and_saveexec_b64 s[24:25], s[4:5]
	s_cbranch_execz .LBB308_719
; %bb.714:                              ;   in Loop: Header=BB308_626 Depth=1
	v_cmp_ne_u16_sdwa s[4:5], v32, s7 src0_sel:BYTE_0 src1_sel:DWORD
	v_bfrev_b32_e32 v13, 1
	s_and_saveexec_b64 s[26:27], s[4:5]
	s_cbranch_execz .LBB308_718
; %bb.715:                              ;   in Loop: Header=BB308_626 Depth=1
	v_bfe_u32 v16, v45, 16, 7
	v_cmp_ne_u32_e64 s[4:5], s15, v16
	v_mov_b32_e32 v13, 0x7fc02000
	s_and_saveexec_b64 s[28:29], s[4:5]
	s_cbranch_execz .LBB308_717
; %bb.716:                              ;   in Loop: Header=BB308_626 Depth=1
	v_and_b32_e32 v4, 7, v32
	v_ffbh_u32_e32 v13, v4
	v_min_u32_e32 v13, 32, v13
	v_lshrrev_b32_e32 v5, 3, v16
	v_subrev_u32_e32 v18, 28, v13
	v_sub_u32_e32 v13, 29, v13
	v_cmp_gt_u32_e64 s[4:5], 8, v16
	v_lshlrev_b64 v[22:23], v18, v[32:33]
	v_cndmask_b32_e64 v5, v5, v13, s[4:5]
	v_and_b32_e32 v18, 7, v22
	v_lshlrev_b32_e32 v13, 8, v32
	v_lshl_add_u32 v5, v5, 10, v60
	v_cndmask_b32_e64 v4, v4, v18, s[4:5]
	v_and_or_b32 v5, v13, s30, v5
	v_lshl_or_b32 v4, v4, 7, v5
	v_cvt_f32_f16_e32 v13, v4
.LBB308_717:                            ;   in Loop: Header=BB308_626 Depth=1
	s_or_b64 exec, exec, s[28:29]
.LBB308_718:                            ;   in Loop: Header=BB308_626 Depth=1
	s_or_b64 exec, exec, s[26:27]
.LBB308_719:                            ;   in Loop: Header=BB308_626 Depth=1
	s_or_b64 exec, exec, s[24:25]
	v_cmp_lt_u64_e64 s[4:5], s[12:13], v[44:45]
	s_and_saveexec_b64 s[24:25], s[4:5]
	s_cbranch_execz .LBB308_725
; %bb.720:                              ;   in Loop: Header=BB308_626 Depth=1
	v_lshrrev_b32_e32 v32, 24, v45
	v_cmp_ne_u32_e64 s[4:5], s7, v32
	v_bfrev_b32_e32 v11, 1
	s_and_saveexec_b64 s[26:27], s[4:5]
	s_cbranch_execz .LBB308_724
; %bb.721:                              ;   in Loop: Header=BB308_626 Depth=1
	v_and_b32_e32 v16, 0x7f, v32
	v_cmp_ne_u32_e64 s[4:5], s15, v16
	v_mov_b32_e32 v11, 0x7fc02000
	s_and_saveexec_b64 s[28:29], s[4:5]
	s_cbranch_execz .LBB308_723
; %bb.722:                              ;   in Loop: Header=BB308_626 Depth=1
	v_and_b32_e32 v4, 7, v32
	v_ffbh_u32_e32 v11, v4
	v_min_u32_e32 v11, 32, v11
	v_lshrrev_b32_e32 v5, 3, v16
	v_subrev_u32_e32 v18, 28, v11
	v_sub_u32_e32 v11, 29, v11
	v_cmp_gt_u32_e64 s[4:5], 8, v16
	v_lshlrev_b64 v[22:23], v18, v[32:33]
	v_cndmask_b32_e64 v5, v5, v11, s[4:5]
	v_and_b32_e32 v18, 7, v22
	v_lshlrev_b32_e32 v11, 8, v32
	v_lshl_add_u32 v5, v5, 10, v60
	v_cndmask_b32_e64 v4, v4, v18, s[4:5]
	v_and_or_b32 v5, v11, s30, v5
	v_lshl_or_b32 v4, v4, 7, v5
	v_cvt_f32_f16_e32 v11, v4
.LBB308_723:                            ;   in Loop: Header=BB308_626 Depth=1
	s_or_b64 exec, exec, s[28:29]
.LBB308_724:                            ;   in Loop: Header=BB308_626 Depth=1
	s_or_b64 exec, exec, s[26:27]
.LBB308_725:                            ;   in Loop: Header=BB308_626 Depth=1
	s_or_b64 exec, exec, s[24:25]
	v_pk_mul_f32 v[22:23], v[54:55], v[42:43] op_sel_hi:[0,1]
	v_pk_mul_f32 v[26:27], v[54:55], v[40:41] op_sel_hi:[0,1]
	v_cvt_f16_f32_e32 v4, v23
	v_cvt_f16_f32_e32 v5, v22
	;; [unrolled: 1-line block ×4, first 2 shown]
	v_fma_mixlo_f16 v13, v54, v13, 0
	v_pack_b32_f16 v4, v5, v4
	v_pack_b32_f16 v5, v18, v16
	v_perm_b32 v16, v5, v4, s34
	v_perm_b32 v18, v5, v4, s35
	v_fma_mixlo_f16 v4, v54, v10, 0
	v_lshlrev_b32_e32 v4, 16, v4
	v_fma_mixlo_f16 v5, v54, v6, 0
	v_or_b32_sdwa v6, v4, v5 dst_sel:DWORD dst_unused:UNUSED_PAD src0_sel:DWORD src1_sel:WORD_0
	v_fma_mixlo_f16 v4, v54, v11, 0
	v_lshlrev_b32_e32 v4, 16, v4
	v_or_b32_sdwa v10, v4, v13 dst_sel:DWORD dst_unused:UNUSED_PAD src0_sel:DWORD src1_sel:WORD_0
	s_and_saveexec_b64 s[24:25], vcc
	s_cbranch_execz .LBB308_727
; %bb.726:                              ;   in Loop: Header=BB308_626 Depth=1
	v_lshrrev_b32_e32 v4, 16, v18
	v_cmp_lt_i32_e64 s[4:5], v38, v7
	v_accvgpr_read_b32 v22, a8
	v_cndmask_b32_e64 v4, 0, v4, s[4:5]
	v_cmp_lt_i32_e64 s[4:5], v12, v22
	v_cndmask_b32_e64 v5, 0, v18, s[4:5]
	v_perm_b32 v18, v4, v5, s36
	v_lshrrev_b32_e32 v4, 16, v16
	v_cmp_lt_i32_e64 s[4:5], v35, v7
	v_cndmask_b32_e64 v4, 0, v4, s[4:5]
	v_cmp_lt_i32_e64 s[4:5], v39, v22
	v_cndmask_b32_e64 v5, 0, v16, s[4:5]
	v_perm_b32 v16, v4, v5, s36
	v_lshrrev_b32_e32 v4, 16, v6
	v_cmp_lt_i32_e64 s[4:5], v37, v7
	;; [unrolled: 6-line block ×3, first 2 shown]
	v_cndmask_b32_e64 v4, 0, v4, s[4:5]
	v_cmp_lt_i32_e64 s[4:5], v61, v22
	v_cndmask_b32_e64 v5, 0, v13, s[4:5]
	v_perm_b32 v10, v4, v5, s36
.LBB308_727:                            ;   in Loop: Header=BB308_626 Depth=1
	s_or_b64 exec, exec, s[24:25]
	;;#ASMSTART
	v_pk_mul_f16 v4, v36, v18;

	;;#ASMEND
	;;#ASMSTART
	v_pk_mul_f16 v5, v34, v16;

	;;#ASMEND
	;; [unrolled: 4-line block ×4, first 2 shown]
	;;#ASMSTART
	v_pk_add_f16 v4, v4, v5;

	;;#ASMEND
	;;#ASMSTART
	v_pk_add_f16 v4, v4, v6;

	;;#ASMEND
	;; [unrolled: 4-line block ×3, first 2 shown]
	v_lshrrev_b32_e32 v5, 16, v4
	v_and_b32_e32 v4, 0xffff, v4
	;;#ASMSTART
	v_cvt_f32_f16 v4, v4;
	;;#ASMEND
	v_accvgpr_write_b32 a27, v4
	;;#ASMSTART
	v_cvt_f32_f16 v4, v5;
	;;#ASMEND
	v_accvgpr_write_b32 a28, v4
	v_accvgpr_read_b32 v4, a4
	flat_load_dwordx2 v[44:45], v[52:53] offset:1024
	v_accvgpr_read_b32 v5, a5
	flat_load_dword v54, v[4:5]
	v_mov_b32_e32 v42, 0
	v_mov_b32_e32 v40, 0
	s_waitcnt vmcnt(0) lgkmcnt(0)
	v_cmp_ne_u16_sdwa s[4:5], v44, v33 src0_sel:BYTE_0 src1_sel:DWORD
	s_and_saveexec_b64 s[24:25], s[4:5]
	s_cbranch_execz .LBB308_733
; %bb.728:                              ;   in Loop: Header=BB308_626 Depth=1
	v_cmp_ne_u16_sdwa s[4:5], v44, s7 src0_sel:BYTE_0 src1_sel:DWORD
	v_bfrev_b32_e32 v40, 1
	s_and_saveexec_b64 s[26:27], s[4:5]
	s_cbranch_execz .LBB308_732
; %bb.729:                              ;   in Loop: Header=BB308_626 Depth=1
	v_and_b32_e32 v6, 0x7f, v44
	v_cmp_ne_u32_e64 s[4:5], s15, v6
	v_mov_b32_e32 v40, 0x7fc02000
	s_and_saveexec_b64 s[28:29], s[4:5]
	s_cbranch_execz .LBB308_731
; %bb.730:                              ;   in Loop: Header=BB308_626 Depth=1
	v_and_b32_e32 v4, 7, v44
	v_ffbh_u32_e32 v4, v4
	v_min_u32_e32 v4, 32, v4
	v_lshrrev_b32_e32 v5, 3, v6
	v_subrev_u32_e32 v10, 28, v4
	v_sub_u32_e32 v4, 29, v4
	v_cmp_gt_u32_e64 s[4:5], 8, v6
	v_cndmask_b32_e64 v6, 0, v10, s[4:5]
	v_cndmask_b32_e64 v4, v5, v4, s[4:5]
	v_lshlrev_b64 v[10:11], v6, v[44:45]
	v_lshlrev_b32_e32 v6, 8, v44
	v_lshl_add_u32 v4, v4, 10, v60
	v_lshlrev_b32_e32 v5, 7, v10
	v_and_or_b32 v4, v6, s30, v4
	v_and_or_b32 v4, v5, s31, v4
	v_cvt_f32_f16_e32 v40, v4
.LBB308_731:                            ;   in Loop: Header=BB308_626 Depth=1
	s_or_b64 exec, exec, s[28:29]
.LBB308_732:                            ;   in Loop: Header=BB308_626 Depth=1
	s_or_b64 exec, exec, s[26:27]
.LBB308_733:                            ;   in Loop: Header=BB308_626 Depth=1
	s_or_b64 exec, exec, s[24:25]
	v_lshrrev_b16_e32 v32, 8, v44
	v_cmp_ne_u16_e64 s[4:5], 0, v32
	s_and_saveexec_b64 s[24:25], s[4:5]
	s_cbranch_execz .LBB308_739
; %bb.734:                              ;   in Loop: Header=BB308_626 Depth=1
	v_cmp_ne_u16_e64 s[4:5], s7, v32
	v_bfrev_b32_e32 v42, 1
	s_and_saveexec_b64 s[26:27], s[4:5]
	s_cbranch_execz .LBB308_738
; %bb.735:                              ;   in Loop: Header=BB308_626 Depth=1
	v_and_b32_e32 v6, 0x7f, v32
	v_cmp_ne_u32_e64 s[4:5], s15, v6
	v_mov_b32_e32 v42, 0x7fc02000
	s_and_saveexec_b64 s[28:29], s[4:5]
	s_cbranch_execz .LBB308_737
; %bb.736:                              ;   in Loop: Header=BB308_626 Depth=1
	v_and_b32_e32 v4, 7, v32
	v_ffbh_u32_e32 v10, v4
	v_min_u32_e32 v13, 32, v10
	v_subrev_u32_e32 v10, 28, v13
	v_lshlrev_b64 v[10:11], v10, v[32:33]
	v_lshrrev_b32_e32 v5, 3, v6
	v_sub_u32_e32 v11, 29, v13
	v_cmp_gt_u32_e64 s[4:5], 8, v6
	v_cndmask_b32_e64 v5, v5, v11, s[4:5]
	v_and_b32_e32 v10, 7, v10
	v_lshlrev_b32_e32 v6, 8, v32
	v_lshl_add_u32 v5, v5, 10, v60
	v_cndmask_b32_e64 v4, v4, v10, s[4:5]
	v_and_or_b32 v5, v6, s30, v5
	v_lshl_or_b32 v4, v4, 7, v5
	v_cvt_f32_f16_e32 v42, v4
.LBB308_737:                            ;   in Loop: Header=BB308_626 Depth=1
	s_or_b64 exec, exec, s[28:29]
.LBB308_738:                            ;   in Loop: Header=BB308_626 Depth=1
	s_or_b64 exec, exec, s[26:27]
.LBB308_739:                            ;   in Loop: Header=BB308_626 Depth=1
	s_or_b64 exec, exec, s[24:25]
	v_lshrrev_b32_e32 v32, 16, v44
	v_cmp_ne_u16_sdwa s[4:5], v32, v33 src0_sel:BYTE_0 src1_sel:DWORD
	v_mov_b32_e32 v43, 0
	v_mov_b32_e32 v41, 0
	s_and_saveexec_b64 s[24:25], s[4:5]
	s_cbranch_execz .LBB308_745
; %bb.740:                              ;   in Loop: Header=BB308_626 Depth=1
	v_cmp_ne_u16_sdwa s[4:5], v32, s7 src0_sel:BYTE_0 src1_sel:DWORD
	v_bfrev_b32_e32 v41, 1
	s_and_saveexec_b64 s[26:27], s[4:5]
	s_cbranch_execz .LBB308_744
; %bb.741:                              ;   in Loop: Header=BB308_626 Depth=1
	v_bfe_u32 v6, v44, 16, 7
	v_cmp_ne_u32_e64 s[4:5], s15, v6
	v_mov_b32_e32 v41, 0x7fc02000
	s_and_saveexec_b64 s[28:29], s[4:5]
	s_cbranch_execz .LBB308_743
; %bb.742:                              ;   in Loop: Header=BB308_626 Depth=1
	v_and_b32_e32 v4, 7, v32
	v_ffbh_u32_e32 v10, v4
	v_min_u32_e32 v13, 32, v10
	v_subrev_u32_e32 v10, 28, v13
	v_lshlrev_b64 v[10:11], v10, v[32:33]
	v_lshrrev_b32_e32 v5, 3, v6
	v_sub_u32_e32 v11, 29, v13
	v_cmp_gt_u32_e64 s[4:5], 8, v6
	v_cndmask_b32_e64 v5, v5, v11, s[4:5]
	v_and_b32_e32 v10, 7, v10
	v_lshlrev_b32_e32 v6, 8, v32
	v_lshl_add_u32 v5, v5, 10, v60
	v_cndmask_b32_e64 v4, v4, v10, s[4:5]
	v_and_or_b32 v5, v6, s30, v5
	v_lshl_or_b32 v4, v4, 7, v5
	v_cvt_f32_f16_e32 v41, v4
.LBB308_743:                            ;   in Loop: Header=BB308_626 Depth=1
	s_or_b64 exec, exec, s[28:29]
.LBB308_744:                            ;   in Loop: Header=BB308_626 Depth=1
	s_or_b64 exec, exec, s[26:27]
.LBB308_745:                            ;   in Loop: Header=BB308_626 Depth=1
	s_or_b64 exec, exec, s[24:25]
	v_cmp_lt_u32_e64 s[4:5], s13, v44
	s_and_saveexec_b64 s[24:25], s[4:5]
	s_cbranch_execz .LBB308_751
; %bb.746:                              ;   in Loop: Header=BB308_626 Depth=1
	v_lshrrev_b32_e32 v32, 24, v44
	v_cmp_ne_u32_e64 s[4:5], s7, v32
	v_bfrev_b32_e32 v43, 1
	s_and_saveexec_b64 s[26:27], s[4:5]
	s_cbranch_execz .LBB308_750
; %bb.747:                              ;   in Loop: Header=BB308_626 Depth=1
	v_and_b32_e32 v6, 0x7f, v32
	v_cmp_ne_u32_e64 s[4:5], s15, v6
	v_mov_b32_e32 v43, 0x7fc02000
	s_and_saveexec_b64 s[28:29], s[4:5]
	s_cbranch_execz .LBB308_749
; %bb.748:                              ;   in Loop: Header=BB308_626 Depth=1
	v_and_b32_e32 v4, 7, v32
	v_ffbh_u32_e32 v10, v4
	v_min_u32_e32 v13, 32, v10
	v_subrev_u32_e32 v10, 28, v13
	v_lshlrev_b64 v[10:11], v10, v[32:33]
	v_lshrrev_b32_e32 v5, 3, v6
	v_sub_u32_e32 v11, 29, v13
	v_cmp_gt_u32_e64 s[4:5], 8, v6
	v_cndmask_b32_e64 v5, v5, v11, s[4:5]
	v_and_b32_e32 v10, 7, v10
	v_lshlrev_b32_e32 v6, 8, v32
	v_lshl_add_u32 v5, v5, 10, v60
	v_cndmask_b32_e64 v4, v4, v10, s[4:5]
	v_and_or_b32 v5, v6, s30, v5
	v_lshl_or_b32 v4, v4, 7, v5
	v_cvt_f32_f16_e32 v43, v4
.LBB308_749:                            ;   in Loop: Header=BB308_626 Depth=1
	s_or_b64 exec, exec, s[28:29]
.LBB308_750:                            ;   in Loop: Header=BB308_626 Depth=1
	s_or_b64 exec, exec, s[26:27]
.LBB308_751:                            ;   in Loop: Header=BB308_626 Depth=1
	s_or_b64 exec, exec, s[24:25]
	v_mov_b32_e32 v32, v45
	v_cmp_ne_u16_sdwa s[4:5], v45, v33 src0_sel:BYTE_0 src1_sel:DWORD
	v_mov_b32_e32 v10, 0
	v_mov_b32_e32 v6, 0
	s_and_saveexec_b64 s[24:25], s[4:5]
	s_cbranch_execz .LBB308_757
; %bb.752:                              ;   in Loop: Header=BB308_626 Depth=1
	v_cmp_ne_u16_sdwa s[4:5], v45, s7 src0_sel:BYTE_0 src1_sel:DWORD
	v_bfrev_b32_e32 v6, 1
	s_and_saveexec_b64 s[26:27], s[4:5]
	s_cbranch_execz .LBB308_756
; %bb.753:                              ;   in Loop: Header=BB308_626 Depth=1
	v_and_b32_e32 v11, 0x7f, v45
	v_cmp_ne_u32_e64 s[4:5], s15, v11
	v_mov_b32_e32 v6, 0x7fc02000
	s_and_saveexec_b64 s[28:29], s[4:5]
	s_cbranch_execz .LBB308_755
; %bb.754:                              ;   in Loop: Header=BB308_626 Depth=1
	v_and_b32_e32 v4, 7, v45
	v_ffbh_u32_e32 v4, v4
	v_min_u32_e32 v4, 32, v4
	v_lshrrev_b32_e32 v5, 3, v11
	v_subrev_u32_e32 v6, 28, v4
	v_sub_u32_e32 v4, 29, v4
	v_cmp_gt_u32_e64 s[4:5], 8, v11
	v_cndmask_b32_e64 v6, 0, v6, s[4:5]
	v_cndmask_b32_e64 v4, v5, v4, s[4:5]
	v_lshlrev_b64 v[22:23], v6, v[32:33]
	v_lshlrev_b32_e32 v6, 8, v45
	v_lshl_add_u32 v4, v4, 10, v60
	v_lshlrev_b32_e32 v5, 7, v22
	v_and_or_b32 v4, v6, s30, v4
	v_and_or_b32 v4, v5, s31, v4
	v_cvt_f32_f16_e32 v6, v4
.LBB308_755:                            ;   in Loop: Header=BB308_626 Depth=1
	s_or_b64 exec, exec, s[28:29]
.LBB308_756:                            ;   in Loop: Header=BB308_626 Depth=1
	s_or_b64 exec, exec, s[26:27]
.LBB308_757:                            ;   in Loop: Header=BB308_626 Depth=1
	s_or_b64 exec, exec, s[24:25]
	v_lshrrev_b16_e32 v32, 8, v32
	v_cmp_ne_u16_e64 s[4:5], 0, v32
	s_and_saveexec_b64 s[24:25], s[4:5]
	s_cbranch_execz .LBB308_763
; %bb.758:                              ;   in Loop: Header=BB308_626 Depth=1
	v_cmp_ne_u16_e64 s[4:5], s7, v32
	v_bfrev_b32_e32 v10, 1
	s_and_saveexec_b64 s[26:27], s[4:5]
	s_cbranch_execz .LBB308_762
; %bb.759:                              ;   in Loop: Header=BB308_626 Depth=1
	v_and_b32_e32 v11, 0x7f, v32
	v_cmp_ne_u32_e64 s[4:5], s15, v11
	v_mov_b32_e32 v10, 0x7fc02000
	s_and_saveexec_b64 s[28:29], s[4:5]
	s_cbranch_execz .LBB308_761
; %bb.760:                              ;   in Loop: Header=BB308_626 Depth=1
	v_and_b32_e32 v4, 7, v32
	v_ffbh_u32_e32 v10, v4
	v_min_u32_e32 v10, 32, v10
	v_lshrrev_b32_e32 v5, 3, v11
	v_subrev_u32_e32 v13, 28, v10
	v_sub_u32_e32 v10, 29, v10
	v_cmp_gt_u32_e64 s[4:5], 8, v11
	v_lshlrev_b64 v[22:23], v13, v[32:33]
	v_cndmask_b32_e64 v5, v5, v10, s[4:5]
	v_and_b32_e32 v13, 7, v22
	v_lshlrev_b32_e32 v10, 8, v32
	v_lshl_add_u32 v5, v5, 10, v60
	v_cndmask_b32_e64 v4, v4, v13, s[4:5]
	v_and_or_b32 v5, v10, s30, v5
	v_lshl_or_b32 v4, v4, 7, v5
	v_cvt_f32_f16_e32 v10, v4
.LBB308_761:                            ;   in Loop: Header=BB308_626 Depth=1
	s_or_b64 exec, exec, s[28:29]
.LBB308_762:                            ;   in Loop: Header=BB308_626 Depth=1
	s_or_b64 exec, exec, s[26:27]
.LBB308_763:                            ;   in Loop: Header=BB308_626 Depth=1
	s_or_b64 exec, exec, s[24:25]
	v_lshrrev_b32_e32 v32, 16, v45
	v_cmp_ne_u16_sdwa s[4:5], v32, v33 src0_sel:BYTE_0 src1_sel:DWORD
	v_mov_b32_e32 v11, 0
	v_mov_b32_e32 v13, 0
	s_and_saveexec_b64 s[24:25], s[4:5]
	s_cbranch_execz .LBB308_769
; %bb.764:                              ;   in Loop: Header=BB308_626 Depth=1
	v_cmp_ne_u16_sdwa s[4:5], v32, s7 src0_sel:BYTE_0 src1_sel:DWORD
	v_bfrev_b32_e32 v13, 1
	s_and_saveexec_b64 s[26:27], s[4:5]
	s_cbranch_execz .LBB308_768
; %bb.765:                              ;   in Loop: Header=BB308_626 Depth=1
	v_bfe_u32 v16, v45, 16, 7
	v_cmp_ne_u32_e64 s[4:5], s15, v16
	v_mov_b32_e32 v13, 0x7fc02000
	s_and_saveexec_b64 s[28:29], s[4:5]
	s_cbranch_execz .LBB308_767
; %bb.766:                              ;   in Loop: Header=BB308_626 Depth=1
	v_and_b32_e32 v4, 7, v32
	v_ffbh_u32_e32 v13, v4
	v_min_u32_e32 v13, 32, v13
	v_lshrrev_b32_e32 v5, 3, v16
	v_subrev_u32_e32 v18, 28, v13
	v_sub_u32_e32 v13, 29, v13
	v_cmp_gt_u32_e64 s[4:5], 8, v16
	v_lshlrev_b64 v[22:23], v18, v[32:33]
	v_cndmask_b32_e64 v5, v5, v13, s[4:5]
	v_and_b32_e32 v18, 7, v22
	v_lshlrev_b32_e32 v13, 8, v32
	v_lshl_add_u32 v5, v5, 10, v60
	v_cndmask_b32_e64 v4, v4, v18, s[4:5]
	v_and_or_b32 v5, v13, s30, v5
	v_lshl_or_b32 v4, v4, 7, v5
	v_cvt_f32_f16_e32 v13, v4
.LBB308_767:                            ;   in Loop: Header=BB308_626 Depth=1
	s_or_b64 exec, exec, s[28:29]
.LBB308_768:                            ;   in Loop: Header=BB308_626 Depth=1
	s_or_b64 exec, exec, s[26:27]
.LBB308_769:                            ;   in Loop: Header=BB308_626 Depth=1
	s_or_b64 exec, exec, s[24:25]
	v_cmp_lt_u64_e64 s[4:5], s[12:13], v[44:45]
	s_and_saveexec_b64 s[24:25], s[4:5]
	s_cbranch_execz .LBB308_775
; %bb.770:                              ;   in Loop: Header=BB308_626 Depth=1
	v_lshrrev_b32_e32 v32, 24, v45
	v_cmp_ne_u32_e64 s[4:5], s7, v32
	v_bfrev_b32_e32 v11, 1
	s_and_saveexec_b64 s[26:27], s[4:5]
	s_cbranch_execz .LBB308_774
; %bb.771:                              ;   in Loop: Header=BB308_626 Depth=1
	v_and_b32_e32 v16, 0x7f, v32
	v_cmp_ne_u32_e64 s[4:5], s15, v16
	v_mov_b32_e32 v11, 0x7fc02000
	s_and_saveexec_b64 s[28:29], s[4:5]
	s_cbranch_execz .LBB308_773
; %bb.772:                              ;   in Loop: Header=BB308_626 Depth=1
	v_and_b32_e32 v4, 7, v32
	v_ffbh_u32_e32 v11, v4
	v_min_u32_e32 v11, 32, v11
	v_lshrrev_b32_e32 v5, 3, v16
	v_subrev_u32_e32 v18, 28, v11
	v_sub_u32_e32 v11, 29, v11
	v_cmp_gt_u32_e64 s[4:5], 8, v16
	v_lshlrev_b64 v[22:23], v18, v[32:33]
	v_cndmask_b32_e64 v5, v5, v11, s[4:5]
	v_and_b32_e32 v18, 7, v22
	v_lshlrev_b32_e32 v11, 8, v32
	v_lshl_add_u32 v5, v5, 10, v60
	v_cndmask_b32_e64 v4, v4, v18, s[4:5]
	v_and_or_b32 v5, v11, s30, v5
	v_lshl_or_b32 v4, v4, 7, v5
	v_cvt_f32_f16_e32 v11, v4
.LBB308_773:                            ;   in Loop: Header=BB308_626 Depth=1
	s_or_b64 exec, exec, s[28:29]
.LBB308_774:                            ;   in Loop: Header=BB308_626 Depth=1
	s_or_b64 exec, exec, s[26:27]
.LBB308_775:                            ;   in Loop: Header=BB308_626 Depth=1
	s_or_b64 exec, exec, s[24:25]
	v_pk_mul_f32 v[22:23], v[54:55], v[42:43] op_sel_hi:[0,1]
	v_pk_mul_f32 v[26:27], v[54:55], v[40:41] op_sel_hi:[0,1]
	v_cvt_f16_f32_e32 v4, v23
	v_cvt_f16_f32_e32 v5, v22
	v_cvt_f16_f32_e32 v16, v27
	v_cvt_f16_f32_e32 v18, v26
	v_fma_mixlo_f16 v13, v54, v13, 0
	v_pack_b32_f16 v4, v5, v4
	v_pack_b32_f16 v5, v18, v16
	v_perm_b32 v16, v5, v4, s34
	v_perm_b32 v18, v5, v4, s35
	v_fma_mixlo_f16 v4, v54, v10, 0
	v_lshlrev_b32_e32 v4, 16, v4
	v_fma_mixlo_f16 v5, v54, v6, 0
	v_or_b32_sdwa v6, v4, v5 dst_sel:DWORD dst_unused:UNUSED_PAD src0_sel:DWORD src1_sel:WORD_0
	v_fma_mixlo_f16 v4, v54, v11, 0
	v_lshlrev_b32_e32 v4, 16, v4
	v_or_b32_sdwa v10, v4, v13 dst_sel:DWORD dst_unused:UNUSED_PAD src0_sel:DWORD src1_sel:WORD_0
	s_and_saveexec_b64 s[24:25], vcc
	s_cbranch_execz .LBB308_777
; %bb.776:                              ;   in Loop: Header=BB308_626 Depth=1
	v_lshrrev_b32_e32 v4, 16, v18
	v_cmp_lt_i32_e64 s[4:5], v38, v7
	v_accvgpr_read_b32 v22, a8
	v_cndmask_b32_e64 v4, 0, v4, s[4:5]
	v_cmp_lt_i32_e64 s[4:5], v12, v22
	v_cndmask_b32_e64 v5, 0, v18, s[4:5]
	v_perm_b32 v18, v4, v5, s36
	v_lshrrev_b32_e32 v4, 16, v16
	v_cmp_lt_i32_e64 s[4:5], v35, v7
	v_cndmask_b32_e64 v4, 0, v4, s[4:5]
	v_cmp_lt_i32_e64 s[4:5], v39, v22
	v_cndmask_b32_e64 v5, 0, v16, s[4:5]
	v_perm_b32 v16, v4, v5, s36
	v_lshrrev_b32_e32 v4, 16, v6
	v_cmp_lt_i32_e64 s[4:5], v37, v7
	;; [unrolled: 6-line block ×3, first 2 shown]
	v_cndmask_b32_e64 v4, 0, v4, s[4:5]
	v_cmp_lt_i32_e64 s[4:5], v61, v22
	v_cndmask_b32_e64 v5, 0, v13, s[4:5]
	v_perm_b32 v10, v4, v5, s36
.LBB308_777:                            ;   in Loop: Header=BB308_626 Depth=1
	s_or_b64 exec, exec, s[24:25]
	;;#ASMSTART
	v_pk_mul_f16 v4, v36, v18;

	;;#ASMEND
	;;#ASMSTART
	v_pk_mul_f16 v5, v34, v16;

	;;#ASMEND
	;; [unrolled: 4-line block ×4, first 2 shown]
	;;#ASMSTART
	v_pk_add_f16 v4, v4, v5;

	;;#ASMEND
	;;#ASMSTART
	v_pk_add_f16 v4, v4, v6;

	;;#ASMEND
	;; [unrolled: 4-line block ×3, first 2 shown]
	v_lshrrev_b32_e32 v5, 16, v4
	v_and_b32_e32 v4, 0xffff, v4
	;;#ASMSTART
	v_cvt_f32_f16 v4, v4;
	;;#ASMEND
	v_accvgpr_write_b32 a29, v4
	;;#ASMSTART
	v_cvt_f32_f16 v4, v5;
	;;#ASMEND
	v_accvgpr_write_b32 a31, v4
	v_accvgpr_read_b32 v4, a4
	flat_load_dwordx2 v[44:45], v[52:53] offset:1536
	v_accvgpr_read_b32 v5, a5
	flat_load_dword v54, v[4:5]
	v_mov_b32_e32 v42, 0
	v_mov_b32_e32 v40, 0
	s_waitcnt vmcnt(0) lgkmcnt(0)
	v_cmp_ne_u16_sdwa s[4:5], v44, v33 src0_sel:BYTE_0 src1_sel:DWORD
	s_and_saveexec_b64 s[24:25], s[4:5]
	s_cbranch_execz .LBB308_783
; %bb.778:                              ;   in Loop: Header=BB308_626 Depth=1
	v_cmp_ne_u16_sdwa s[4:5], v44, s7 src0_sel:BYTE_0 src1_sel:DWORD
	v_bfrev_b32_e32 v40, 1
	s_and_saveexec_b64 s[26:27], s[4:5]
	s_cbranch_execz .LBB308_782
; %bb.779:                              ;   in Loop: Header=BB308_626 Depth=1
	v_and_b32_e32 v6, 0x7f, v44
	v_cmp_ne_u32_e64 s[4:5], s15, v6
	v_mov_b32_e32 v40, 0x7fc02000
	s_and_saveexec_b64 s[28:29], s[4:5]
	s_cbranch_execz .LBB308_781
; %bb.780:                              ;   in Loop: Header=BB308_626 Depth=1
	v_and_b32_e32 v4, 7, v44
	v_ffbh_u32_e32 v4, v4
	v_min_u32_e32 v4, 32, v4
	v_lshrrev_b32_e32 v5, 3, v6
	v_subrev_u32_e32 v10, 28, v4
	v_sub_u32_e32 v4, 29, v4
	v_cmp_gt_u32_e64 s[4:5], 8, v6
	v_cndmask_b32_e64 v6, 0, v10, s[4:5]
	v_cndmask_b32_e64 v4, v5, v4, s[4:5]
	v_lshlrev_b64 v[10:11], v6, v[44:45]
	v_lshlrev_b32_e32 v6, 8, v44
	v_lshl_add_u32 v4, v4, 10, v60
	v_lshlrev_b32_e32 v5, 7, v10
	v_and_or_b32 v4, v6, s30, v4
	v_and_or_b32 v4, v5, s31, v4
	v_cvt_f32_f16_e32 v40, v4
.LBB308_781:                            ;   in Loop: Header=BB308_626 Depth=1
	s_or_b64 exec, exec, s[28:29]
.LBB308_782:                            ;   in Loop: Header=BB308_626 Depth=1
	s_or_b64 exec, exec, s[26:27]
.LBB308_783:                            ;   in Loop: Header=BB308_626 Depth=1
	s_or_b64 exec, exec, s[24:25]
	v_lshrrev_b16_e32 v32, 8, v44
	v_cmp_ne_u16_e64 s[4:5], 0, v32
	s_and_saveexec_b64 s[24:25], s[4:5]
	s_cbranch_execz .LBB308_789
; %bb.784:                              ;   in Loop: Header=BB308_626 Depth=1
	v_cmp_ne_u16_e64 s[4:5], s7, v32
	v_bfrev_b32_e32 v42, 1
	s_and_saveexec_b64 s[26:27], s[4:5]
	s_cbranch_execz .LBB308_788
; %bb.785:                              ;   in Loop: Header=BB308_626 Depth=1
	v_and_b32_e32 v6, 0x7f, v32
	v_cmp_ne_u32_e64 s[4:5], s15, v6
	v_mov_b32_e32 v42, 0x7fc02000
	s_and_saveexec_b64 s[28:29], s[4:5]
	s_cbranch_execz .LBB308_787
; %bb.786:                              ;   in Loop: Header=BB308_626 Depth=1
	v_and_b32_e32 v4, 7, v32
	v_ffbh_u32_e32 v10, v4
	v_min_u32_e32 v16, 32, v10
	v_subrev_u32_e32 v10, 28, v16
	v_lshlrev_b64 v[10:11], v10, v[32:33]
	v_lshrrev_b32_e32 v5, 3, v6
	v_sub_u32_e32 v11, 29, v16
	v_cmp_gt_u32_e64 s[4:5], 8, v6
	v_cndmask_b32_e64 v5, v5, v11, s[4:5]
	v_and_b32_e32 v10, 7, v10
	v_lshlrev_b32_e32 v6, 8, v32
	v_lshl_add_u32 v5, v5, 10, v60
	v_cndmask_b32_e64 v4, v4, v10, s[4:5]
	v_and_or_b32 v5, v6, s30, v5
	v_lshl_or_b32 v4, v4, 7, v5
	v_cvt_f32_f16_e32 v42, v4
.LBB308_787:                            ;   in Loop: Header=BB308_626 Depth=1
	s_or_b64 exec, exec, s[28:29]
.LBB308_788:                            ;   in Loop: Header=BB308_626 Depth=1
	s_or_b64 exec, exec, s[26:27]
.LBB308_789:                            ;   in Loop: Header=BB308_626 Depth=1
	s_or_b64 exec, exec, s[24:25]
	v_lshrrev_b32_e32 v32, 16, v44
	v_cmp_ne_u16_sdwa s[4:5], v32, v33 src0_sel:BYTE_0 src1_sel:DWORD
	v_mov_b32_e32 v43, 0
	v_mov_b32_e32 v41, 0
	s_and_saveexec_b64 s[24:25], s[4:5]
	s_cbranch_execz .LBB308_795
; %bb.790:                              ;   in Loop: Header=BB308_626 Depth=1
	v_cmp_ne_u16_sdwa s[4:5], v32, s7 src0_sel:BYTE_0 src1_sel:DWORD
	v_bfrev_b32_e32 v41, 1
	s_and_saveexec_b64 s[26:27], s[4:5]
	s_cbranch_execz .LBB308_794
; %bb.791:                              ;   in Loop: Header=BB308_626 Depth=1
	v_bfe_u32 v6, v44, 16, 7
	v_cmp_ne_u32_e64 s[4:5], s15, v6
	v_mov_b32_e32 v41, 0x7fc02000
	s_and_saveexec_b64 s[28:29], s[4:5]
	s_cbranch_execz .LBB308_793
; %bb.792:                              ;   in Loop: Header=BB308_626 Depth=1
	v_and_b32_e32 v4, 7, v32
	v_ffbh_u32_e32 v10, v4
	v_min_u32_e32 v16, 32, v10
	v_subrev_u32_e32 v10, 28, v16
	v_lshlrev_b64 v[10:11], v10, v[32:33]
	v_lshrrev_b32_e32 v5, 3, v6
	v_sub_u32_e32 v11, 29, v16
	v_cmp_gt_u32_e64 s[4:5], 8, v6
	v_cndmask_b32_e64 v5, v5, v11, s[4:5]
	v_and_b32_e32 v10, 7, v10
	v_lshlrev_b32_e32 v6, 8, v32
	v_lshl_add_u32 v5, v5, 10, v60
	v_cndmask_b32_e64 v4, v4, v10, s[4:5]
	v_and_or_b32 v5, v6, s30, v5
	v_lshl_or_b32 v4, v4, 7, v5
	v_cvt_f32_f16_e32 v41, v4
.LBB308_793:                            ;   in Loop: Header=BB308_626 Depth=1
	s_or_b64 exec, exec, s[28:29]
.LBB308_794:                            ;   in Loop: Header=BB308_626 Depth=1
	s_or_b64 exec, exec, s[26:27]
.LBB308_795:                            ;   in Loop: Header=BB308_626 Depth=1
	s_or_b64 exec, exec, s[24:25]
	v_cmp_lt_u32_e64 s[4:5], s13, v44
	s_and_saveexec_b64 s[24:25], s[4:5]
	s_cbranch_execz .LBB308_801
; %bb.796:                              ;   in Loop: Header=BB308_626 Depth=1
	v_lshrrev_b32_e32 v32, 24, v44
	v_cmp_ne_u32_e64 s[4:5], s7, v32
	v_bfrev_b32_e32 v43, 1
	s_and_saveexec_b64 s[26:27], s[4:5]
	s_cbranch_execz .LBB308_800
; %bb.797:                              ;   in Loop: Header=BB308_626 Depth=1
	v_and_b32_e32 v6, 0x7f, v32
	v_cmp_ne_u32_e64 s[4:5], s15, v6
	v_mov_b32_e32 v43, 0x7fc02000
	s_and_saveexec_b64 s[28:29], s[4:5]
	s_cbranch_execz .LBB308_799
; %bb.798:                              ;   in Loop: Header=BB308_626 Depth=1
	v_and_b32_e32 v4, 7, v32
	v_ffbh_u32_e32 v10, v4
	v_min_u32_e32 v16, 32, v10
	v_subrev_u32_e32 v10, 28, v16
	v_lshlrev_b64 v[10:11], v10, v[32:33]
	v_lshrrev_b32_e32 v5, 3, v6
	v_sub_u32_e32 v11, 29, v16
	v_cmp_gt_u32_e64 s[4:5], 8, v6
	v_cndmask_b32_e64 v5, v5, v11, s[4:5]
	v_and_b32_e32 v10, 7, v10
	v_lshlrev_b32_e32 v6, 8, v32
	v_lshl_add_u32 v5, v5, 10, v60
	v_cndmask_b32_e64 v4, v4, v10, s[4:5]
	v_and_or_b32 v5, v6, s30, v5
	v_lshl_or_b32 v4, v4, 7, v5
	v_cvt_f32_f16_e32 v43, v4
.LBB308_799:                            ;   in Loop: Header=BB308_626 Depth=1
	s_or_b64 exec, exec, s[28:29]
.LBB308_800:                            ;   in Loop: Header=BB308_626 Depth=1
	s_or_b64 exec, exec, s[26:27]
.LBB308_801:                            ;   in Loop: Header=BB308_626 Depth=1
	s_or_b64 exec, exec, s[24:25]
	v_mov_b32_e32 v32, v45
	v_cmp_ne_u16_sdwa s[4:5], v45, v33 src0_sel:BYTE_0 src1_sel:DWORD
	v_mov_b32_e32 v10, 0
	v_mov_b32_e32 v6, 0
	s_and_saveexec_b64 s[24:25], s[4:5]
	s_cbranch_execz .LBB308_807
; %bb.802:                              ;   in Loop: Header=BB308_626 Depth=1
	v_cmp_ne_u16_sdwa s[4:5], v45, s7 src0_sel:BYTE_0 src1_sel:DWORD
	v_bfrev_b32_e32 v6, 1
	s_and_saveexec_b64 s[26:27], s[4:5]
	s_cbranch_execz .LBB308_806
; %bb.803:                              ;   in Loop: Header=BB308_626 Depth=1
	v_and_b32_e32 v11, 0x7f, v45
	v_cmp_ne_u32_e64 s[4:5], s15, v11
	v_mov_b32_e32 v6, 0x7fc02000
	s_and_saveexec_b64 s[28:29], s[4:5]
	s_cbranch_execz .LBB308_805
; %bb.804:                              ;   in Loop: Header=BB308_626 Depth=1
	v_and_b32_e32 v4, 7, v45
	v_ffbh_u32_e32 v4, v4
	v_min_u32_e32 v4, 32, v4
	v_lshrrev_b32_e32 v5, 3, v11
	v_subrev_u32_e32 v6, 28, v4
	v_sub_u32_e32 v4, 29, v4
	v_cmp_gt_u32_e64 s[4:5], 8, v11
	v_cndmask_b32_e64 v6, 0, v6, s[4:5]
	v_cndmask_b32_e64 v4, v5, v4, s[4:5]
	v_lshlrev_b64 v[22:23], v6, v[32:33]
	v_lshlrev_b32_e32 v6, 8, v45
	v_lshl_add_u32 v4, v4, 10, v60
	v_lshlrev_b32_e32 v5, 7, v22
	v_and_or_b32 v4, v6, s30, v4
	v_and_or_b32 v4, v5, s31, v4
	v_cvt_f32_f16_e32 v6, v4
.LBB308_805:                            ;   in Loop: Header=BB308_626 Depth=1
	s_or_b64 exec, exec, s[28:29]
.LBB308_806:                            ;   in Loop: Header=BB308_626 Depth=1
	s_or_b64 exec, exec, s[26:27]
.LBB308_807:                            ;   in Loop: Header=BB308_626 Depth=1
	s_or_b64 exec, exec, s[24:25]
	v_lshrrev_b16_e32 v32, 8, v32
	v_cmp_ne_u16_e64 s[4:5], 0, v32
	s_and_saveexec_b64 s[24:25], s[4:5]
	s_cbranch_execz .LBB308_813
; %bb.808:                              ;   in Loop: Header=BB308_626 Depth=1
	v_cmp_ne_u16_e64 s[4:5], s7, v32
	v_bfrev_b32_e32 v10, 1
	s_and_saveexec_b64 s[26:27], s[4:5]
	s_cbranch_execz .LBB308_812
; %bb.809:                              ;   in Loop: Header=BB308_626 Depth=1
	v_and_b32_e32 v11, 0x7f, v32
	v_cmp_ne_u32_e64 s[4:5], s15, v11
	v_mov_b32_e32 v10, 0x7fc02000
	s_and_saveexec_b64 s[28:29], s[4:5]
	s_cbranch_execz .LBB308_811
; %bb.810:                              ;   in Loop: Header=BB308_626 Depth=1
	v_and_b32_e32 v4, 7, v32
	v_ffbh_u32_e32 v10, v4
	v_min_u32_e32 v10, 32, v10
	v_lshrrev_b32_e32 v5, 3, v11
	v_subrev_u32_e32 v16, 28, v10
	v_sub_u32_e32 v10, 29, v10
	v_cmp_gt_u32_e64 s[4:5], 8, v11
	v_lshlrev_b64 v[22:23], v16, v[32:33]
	v_cndmask_b32_e64 v5, v5, v10, s[4:5]
	v_and_b32_e32 v16, 7, v22
	v_lshlrev_b32_e32 v10, 8, v32
	v_lshl_add_u32 v5, v5, 10, v60
	v_cndmask_b32_e64 v4, v4, v16, s[4:5]
	v_and_or_b32 v5, v10, s30, v5
	v_lshl_or_b32 v4, v4, 7, v5
	v_cvt_f32_f16_e32 v10, v4
.LBB308_811:                            ;   in Loop: Header=BB308_626 Depth=1
	s_or_b64 exec, exec, s[28:29]
.LBB308_812:                            ;   in Loop: Header=BB308_626 Depth=1
	s_or_b64 exec, exec, s[26:27]
.LBB308_813:                            ;   in Loop: Header=BB308_626 Depth=1
	s_or_b64 exec, exec, s[24:25]
	v_lshrrev_b32_e32 v32, 16, v45
	v_cmp_ne_u16_sdwa s[4:5], v32, v33 src0_sel:BYTE_0 src1_sel:DWORD
	v_mov_b32_e32 v11, 0
	v_mov_b32_e32 v16, 0
	s_and_saveexec_b64 s[24:25], s[4:5]
	s_cbranch_execz .LBB308_819
; %bb.814:                              ;   in Loop: Header=BB308_626 Depth=1
	v_cmp_ne_u16_sdwa s[4:5], v32, s7 src0_sel:BYTE_0 src1_sel:DWORD
	v_bfrev_b32_e32 v16, 1
	s_and_saveexec_b64 s[26:27], s[4:5]
	s_cbranch_execz .LBB308_818
; %bb.815:                              ;   in Loop: Header=BB308_626 Depth=1
	v_bfe_u32 v18, v45, 16, 7
	v_cmp_ne_u32_e64 s[4:5], s15, v18
	v_mov_b32_e32 v16, 0x7fc02000
	s_and_saveexec_b64 s[28:29], s[4:5]
	s_cbranch_execz .LBB308_817
; %bb.816:                              ;   in Loop: Header=BB308_626 Depth=1
	v_and_b32_e32 v4, 7, v32
	v_ffbh_u32_e32 v16, v4
	v_min_u32_e32 v16, 32, v16
	v_lshrrev_b32_e32 v5, 3, v18
	v_subrev_u32_e32 v22, 28, v16
	v_sub_u32_e32 v16, 29, v16
	v_cmp_gt_u32_e64 s[4:5], 8, v18
	v_lshlrev_b64 v[22:23], v22, v[32:33]
	v_cndmask_b32_e64 v5, v5, v16, s[4:5]
	v_and_b32_e32 v22, 7, v22
	v_lshlrev_b32_e32 v16, 8, v32
	v_lshl_add_u32 v5, v5, 10, v60
	v_cndmask_b32_e64 v4, v4, v22, s[4:5]
	v_and_or_b32 v5, v16, s30, v5
	v_lshl_or_b32 v4, v4, 7, v5
	v_cvt_f32_f16_e32 v16, v4
.LBB308_817:                            ;   in Loop: Header=BB308_626 Depth=1
	s_or_b64 exec, exec, s[28:29]
.LBB308_818:                            ;   in Loop: Header=BB308_626 Depth=1
	s_or_b64 exec, exec, s[26:27]
.LBB308_819:                            ;   in Loop: Header=BB308_626 Depth=1
	s_or_b64 exec, exec, s[24:25]
	v_cmp_lt_u64_e64 s[4:5], s[12:13], v[44:45]
	s_and_saveexec_b64 s[24:25], s[4:5]
	s_cbranch_execz .LBB308_825
; %bb.820:                              ;   in Loop: Header=BB308_626 Depth=1
	v_lshrrev_b32_e32 v32, 24, v45
	v_cmp_ne_u32_e64 s[4:5], s7, v32
	v_bfrev_b32_e32 v11, 1
	s_and_saveexec_b64 s[26:27], s[4:5]
	s_cbranch_execz .LBB308_824
; %bb.821:                              ;   in Loop: Header=BB308_626 Depth=1
	v_and_b32_e32 v18, 0x7f, v32
	v_cmp_ne_u32_e64 s[4:5], s15, v18
	v_mov_b32_e32 v11, 0x7fc02000
	s_and_saveexec_b64 s[28:29], s[4:5]
	s_cbranch_execz .LBB308_823
; %bb.822:                              ;   in Loop: Header=BB308_626 Depth=1
	v_and_b32_e32 v4, 7, v32
	v_ffbh_u32_e32 v11, v4
	v_min_u32_e32 v11, 32, v11
	v_lshrrev_b32_e32 v5, 3, v18
	v_subrev_u32_e32 v22, 28, v11
	v_sub_u32_e32 v11, 29, v11
	v_cmp_gt_u32_e64 s[4:5], 8, v18
	v_lshlrev_b64 v[22:23], v22, v[32:33]
	v_cndmask_b32_e64 v5, v5, v11, s[4:5]
	v_and_b32_e32 v22, 7, v22
	v_lshlrev_b32_e32 v11, 8, v32
	v_lshl_add_u32 v5, v5, 10, v60
	v_cndmask_b32_e64 v4, v4, v22, s[4:5]
	v_and_or_b32 v5, v11, s30, v5
	v_lshl_or_b32 v4, v4, 7, v5
	v_cvt_f32_f16_e32 v11, v4
.LBB308_823:                            ;   in Loop: Header=BB308_626 Depth=1
	s_or_b64 exec, exec, s[28:29]
.LBB308_824:                            ;   in Loop: Header=BB308_626 Depth=1
	s_or_b64 exec, exec, s[26:27]
.LBB308_825:                            ;   in Loop: Header=BB308_626 Depth=1
	s_or_b64 exec, exec, s[24:25]
	v_pk_mul_f32 v[22:23], v[54:55], v[42:43] op_sel_hi:[0,1]
	v_pk_mul_f32 v[26:27], v[54:55], v[40:41] op_sel_hi:[0,1]
	v_cvt_f16_f32_e32 v4, v23
	v_cvt_f16_f32_e32 v5, v22
	;; [unrolled: 1-line block ×4, first 2 shown]
	v_fma_mixlo_f16 v16, v54, v16, 0
	v_pack_b32_f16 v4, v5, v4
	v_pack_b32_f16 v5, v22, v18
	v_perm_b32 v18, v5, v4, s34
	v_perm_b32 v22, v5, v4, s35
	v_fma_mixlo_f16 v4, v54, v10, 0
	v_lshlrev_b32_e32 v4, 16, v4
	v_fma_mixlo_f16 v5, v54, v6, 0
	v_or_b32_sdwa v6, v4, v5 dst_sel:DWORD dst_unused:UNUSED_PAD src0_sel:DWORD src1_sel:WORD_0
	v_fma_mixlo_f16 v4, v54, v11, 0
	v_lshlrev_b32_e32 v4, 16, v4
	v_or_b32_sdwa v10, v4, v16 dst_sel:DWORD dst_unused:UNUSED_PAD src0_sel:DWORD src1_sel:WORD_0
	s_and_saveexec_b64 s[24:25], vcc
	s_cbranch_execz .LBB308_827
; %bb.826:                              ;   in Loop: Header=BB308_626 Depth=1
	v_lshrrev_b32_e32 v4, 16, v22
	v_cmp_lt_i32_e64 s[4:5], v38, v7
	v_accvgpr_read_b32 v26, a8
	v_cndmask_b32_e64 v4, 0, v4, s[4:5]
	v_cmp_lt_i32_e64 s[4:5], v12, v26
	v_cndmask_b32_e64 v5, 0, v22, s[4:5]
	v_perm_b32 v22, v4, v5, s36
	v_lshrrev_b32_e32 v4, 16, v18
	v_cmp_lt_i32_e64 s[4:5], v35, v7
	v_cndmask_b32_e64 v4, 0, v4, s[4:5]
	v_cmp_lt_i32_e64 s[4:5], v39, v26
	v_cndmask_b32_e64 v5, 0, v18, s[4:5]
	v_perm_b32 v18, v4, v5, s36
	v_lshrrev_b32_e32 v4, 16, v6
	v_cmp_lt_i32_e64 s[4:5], v37, v7
	;; [unrolled: 6-line block ×3, first 2 shown]
	v_cndmask_b32_e64 v4, 0, v4, s[4:5]
	v_cmp_lt_i32_e64 s[4:5], v61, v26
	v_cndmask_b32_e64 v5, 0, v16, s[4:5]
	v_perm_b32 v10, v4, v5, s36
.LBB308_827:                            ;   in Loop: Header=BB308_626 Depth=1
	s_or_b64 exec, exec, s[24:25]
	;;#ASMSTART
	v_pk_mul_f16 v4, v36, v22;

	;;#ASMEND
	;;#ASMSTART
	v_pk_mul_f16 v5, v34, v18;

	;;#ASMEND
	;; [unrolled: 4-line block ×4, first 2 shown]
	;;#ASMSTART
	v_pk_add_f16 v4, v4, v5;

	;;#ASMEND
	;;#ASMSTART
	v_pk_add_f16 v4, v4, v6;

	;;#ASMEND
	;; [unrolled: 4-line block ×3, first 2 shown]
	v_lshrrev_b32_e32 v5, 16, v4
	v_and_b32_e32 v4, 0xffff, v4
	;;#ASMSTART
	v_cvt_f32_f16 v4, v4;
	;;#ASMEND
	v_accvgpr_write_b32 a33, v4
	;;#ASMSTART
	v_cvt_f32_f16 v18, v5;
	;;#ASMEND
	v_accvgpr_read_b32 v4, a4
	flat_load_dwordx2 v[44:45], v[52:53] offset:2048
	v_accvgpr_read_b32 v5, a5
	flat_load_dword v54, v[4:5]
	v_mov_b32_e32 v42, 0
	v_mov_b32_e32 v40, 0
	s_waitcnt vmcnt(0) lgkmcnt(0)
	v_cmp_ne_u16_sdwa s[4:5], v44, v33 src0_sel:BYTE_0 src1_sel:DWORD
	s_and_saveexec_b64 s[24:25], s[4:5]
	s_cbranch_execz .LBB308_833
; %bb.828:                              ;   in Loop: Header=BB308_626 Depth=1
	v_cmp_ne_u16_sdwa s[4:5], v44, s7 src0_sel:BYTE_0 src1_sel:DWORD
	v_bfrev_b32_e32 v40, 1
	s_and_saveexec_b64 s[26:27], s[4:5]
	s_cbranch_execz .LBB308_832
; %bb.829:                              ;   in Loop: Header=BB308_626 Depth=1
	v_and_b32_e32 v6, 0x7f, v44
	v_cmp_ne_u32_e64 s[4:5], s15, v6
	v_mov_b32_e32 v40, 0x7fc02000
	s_and_saveexec_b64 s[28:29], s[4:5]
	s_cbranch_execz .LBB308_831
; %bb.830:                              ;   in Loop: Header=BB308_626 Depth=1
	v_and_b32_e32 v4, 7, v44
	v_ffbh_u32_e32 v4, v4
	v_min_u32_e32 v4, 32, v4
	v_lshrrev_b32_e32 v5, 3, v6
	v_subrev_u32_e32 v10, 28, v4
	v_sub_u32_e32 v4, 29, v4
	v_cmp_gt_u32_e64 s[4:5], 8, v6
	v_cndmask_b32_e64 v6, 0, v10, s[4:5]
	v_cndmask_b32_e64 v4, v5, v4, s[4:5]
	v_lshlrev_b64 v[10:11], v6, v[44:45]
	v_lshlrev_b32_e32 v6, 8, v44
	v_lshl_add_u32 v4, v4, 10, v60
	v_lshlrev_b32_e32 v5, 7, v10
	v_and_or_b32 v4, v6, s30, v4
	v_and_or_b32 v4, v5, s31, v4
	v_cvt_f32_f16_e32 v40, v4
.LBB308_831:                            ;   in Loop: Header=BB308_626 Depth=1
	s_or_b64 exec, exec, s[28:29]
.LBB308_832:                            ;   in Loop: Header=BB308_626 Depth=1
	s_or_b64 exec, exec, s[26:27]
.LBB308_833:                            ;   in Loop: Header=BB308_626 Depth=1
	s_or_b64 exec, exec, s[24:25]
	v_lshrrev_b16_e32 v32, 8, v44
	v_cmp_ne_u16_e64 s[4:5], 0, v32
	s_and_saveexec_b64 s[24:25], s[4:5]
	s_cbranch_execz .LBB308_839
; %bb.834:                              ;   in Loop: Header=BB308_626 Depth=1
	v_cmp_ne_u16_e64 s[4:5], s7, v32
	v_bfrev_b32_e32 v42, 1
	s_and_saveexec_b64 s[26:27], s[4:5]
	s_cbranch_execz .LBB308_838
; %bb.835:                              ;   in Loop: Header=BB308_626 Depth=1
	v_and_b32_e32 v6, 0x7f, v32
	v_cmp_ne_u32_e64 s[4:5], s15, v6
	v_mov_b32_e32 v42, 0x7fc02000
	s_and_saveexec_b64 s[28:29], s[4:5]
	s_cbranch_execz .LBB308_837
; %bb.836:                              ;   in Loop: Header=BB308_626 Depth=1
	v_and_b32_e32 v4, 7, v32
	v_ffbh_u32_e32 v10, v4
	v_min_u32_e32 v16, 32, v10
	v_subrev_u32_e32 v10, 28, v16
	v_lshlrev_b64 v[10:11], v10, v[32:33]
	v_lshrrev_b32_e32 v5, 3, v6
	v_sub_u32_e32 v11, 29, v16
	v_cmp_gt_u32_e64 s[4:5], 8, v6
	v_cndmask_b32_e64 v5, v5, v11, s[4:5]
	v_and_b32_e32 v10, 7, v10
	v_lshlrev_b32_e32 v6, 8, v32
	v_lshl_add_u32 v5, v5, 10, v60
	v_cndmask_b32_e64 v4, v4, v10, s[4:5]
	v_and_or_b32 v5, v6, s30, v5
	v_lshl_or_b32 v4, v4, 7, v5
	v_cvt_f32_f16_e32 v42, v4
.LBB308_837:                            ;   in Loop: Header=BB308_626 Depth=1
	s_or_b64 exec, exec, s[28:29]
.LBB308_838:                            ;   in Loop: Header=BB308_626 Depth=1
	s_or_b64 exec, exec, s[26:27]
.LBB308_839:                            ;   in Loop: Header=BB308_626 Depth=1
	s_or_b64 exec, exec, s[24:25]
	v_lshrrev_b32_e32 v32, 16, v44
	v_cmp_ne_u16_sdwa s[4:5], v32, v33 src0_sel:BYTE_0 src1_sel:DWORD
	v_mov_b32_e32 v43, 0
	v_mov_b32_e32 v41, 0
	s_and_saveexec_b64 s[24:25], s[4:5]
	s_cbranch_execz .LBB308_845
; %bb.840:                              ;   in Loop: Header=BB308_626 Depth=1
	v_cmp_ne_u16_sdwa s[4:5], v32, s7 src0_sel:BYTE_0 src1_sel:DWORD
	v_bfrev_b32_e32 v41, 1
	s_and_saveexec_b64 s[26:27], s[4:5]
	s_cbranch_execz .LBB308_844
; %bb.841:                              ;   in Loop: Header=BB308_626 Depth=1
	v_bfe_u32 v6, v44, 16, 7
	v_cmp_ne_u32_e64 s[4:5], s15, v6
	v_mov_b32_e32 v41, 0x7fc02000
	s_and_saveexec_b64 s[28:29], s[4:5]
	s_cbranch_execz .LBB308_843
; %bb.842:                              ;   in Loop: Header=BB308_626 Depth=1
	v_and_b32_e32 v4, 7, v32
	v_ffbh_u32_e32 v10, v4
	v_min_u32_e32 v16, 32, v10
	v_subrev_u32_e32 v10, 28, v16
	v_lshlrev_b64 v[10:11], v10, v[32:33]
	v_lshrrev_b32_e32 v5, 3, v6
	v_sub_u32_e32 v11, 29, v16
	v_cmp_gt_u32_e64 s[4:5], 8, v6
	v_cndmask_b32_e64 v5, v5, v11, s[4:5]
	v_and_b32_e32 v10, 7, v10
	v_lshlrev_b32_e32 v6, 8, v32
	v_lshl_add_u32 v5, v5, 10, v60
	v_cndmask_b32_e64 v4, v4, v10, s[4:5]
	v_and_or_b32 v5, v6, s30, v5
	v_lshl_or_b32 v4, v4, 7, v5
	v_cvt_f32_f16_e32 v41, v4
.LBB308_843:                            ;   in Loop: Header=BB308_626 Depth=1
	s_or_b64 exec, exec, s[28:29]
.LBB308_844:                            ;   in Loop: Header=BB308_626 Depth=1
	s_or_b64 exec, exec, s[26:27]
.LBB308_845:                            ;   in Loop: Header=BB308_626 Depth=1
	s_or_b64 exec, exec, s[24:25]
	v_cmp_lt_u32_e64 s[4:5], s13, v44
	s_and_saveexec_b64 s[24:25], s[4:5]
	s_cbranch_execz .LBB308_851
; %bb.846:                              ;   in Loop: Header=BB308_626 Depth=1
	v_lshrrev_b32_e32 v32, 24, v44
	v_cmp_ne_u32_e64 s[4:5], s7, v32
	v_bfrev_b32_e32 v43, 1
	s_and_saveexec_b64 s[26:27], s[4:5]
	s_cbranch_execz .LBB308_850
; %bb.847:                              ;   in Loop: Header=BB308_626 Depth=1
	v_and_b32_e32 v6, 0x7f, v32
	v_cmp_ne_u32_e64 s[4:5], s15, v6
	v_mov_b32_e32 v43, 0x7fc02000
	s_and_saveexec_b64 s[28:29], s[4:5]
	s_cbranch_execz .LBB308_849
; %bb.848:                              ;   in Loop: Header=BB308_626 Depth=1
	v_and_b32_e32 v4, 7, v32
	v_ffbh_u32_e32 v10, v4
	v_min_u32_e32 v16, 32, v10
	v_subrev_u32_e32 v10, 28, v16
	v_lshlrev_b64 v[10:11], v10, v[32:33]
	v_lshrrev_b32_e32 v5, 3, v6
	v_sub_u32_e32 v11, 29, v16
	v_cmp_gt_u32_e64 s[4:5], 8, v6
	v_cndmask_b32_e64 v5, v5, v11, s[4:5]
	v_and_b32_e32 v10, 7, v10
	v_lshlrev_b32_e32 v6, 8, v32
	v_lshl_add_u32 v5, v5, 10, v60
	v_cndmask_b32_e64 v4, v4, v10, s[4:5]
	v_and_or_b32 v5, v6, s30, v5
	v_lshl_or_b32 v4, v4, 7, v5
	v_cvt_f32_f16_e32 v43, v4
.LBB308_849:                            ;   in Loop: Header=BB308_626 Depth=1
	s_or_b64 exec, exec, s[28:29]
.LBB308_850:                            ;   in Loop: Header=BB308_626 Depth=1
	s_or_b64 exec, exec, s[26:27]
.LBB308_851:                            ;   in Loop: Header=BB308_626 Depth=1
	s_or_b64 exec, exec, s[24:25]
	v_mov_b32_e32 v32, v45
	v_cmp_ne_u16_sdwa s[4:5], v45, v33 src0_sel:BYTE_0 src1_sel:DWORD
	v_mov_b32_e32 v10, 0
	v_mov_b32_e32 v6, 0
	s_and_saveexec_b64 s[24:25], s[4:5]
	s_cbranch_execz .LBB308_857
; %bb.852:                              ;   in Loop: Header=BB308_626 Depth=1
	v_cmp_ne_u16_sdwa s[4:5], v45, s7 src0_sel:BYTE_0 src1_sel:DWORD
	v_bfrev_b32_e32 v6, 1
	s_and_saveexec_b64 s[26:27], s[4:5]
	s_cbranch_execz .LBB308_856
; %bb.853:                              ;   in Loop: Header=BB308_626 Depth=1
	v_and_b32_e32 v11, 0x7f, v45
	v_cmp_ne_u32_e64 s[4:5], s15, v11
	v_mov_b32_e32 v6, 0x7fc02000
	s_and_saveexec_b64 s[28:29], s[4:5]
	s_cbranch_execz .LBB308_855
; %bb.854:                              ;   in Loop: Header=BB308_626 Depth=1
	v_and_b32_e32 v4, 7, v45
	v_ffbh_u32_e32 v4, v4
	v_min_u32_e32 v4, 32, v4
	v_lshrrev_b32_e32 v5, 3, v11
	v_subrev_u32_e32 v6, 28, v4
	v_sub_u32_e32 v4, 29, v4
	v_cmp_gt_u32_e64 s[4:5], 8, v11
	v_cndmask_b32_e64 v6, 0, v6, s[4:5]
	v_cndmask_b32_e64 v4, v5, v4, s[4:5]
	v_lshlrev_b64 v[22:23], v6, v[32:33]
	v_lshlrev_b32_e32 v6, 8, v45
	v_lshl_add_u32 v4, v4, 10, v60
	v_lshlrev_b32_e32 v5, 7, v22
	v_and_or_b32 v4, v6, s30, v4
	v_and_or_b32 v4, v5, s31, v4
	v_cvt_f32_f16_e32 v6, v4
.LBB308_855:                            ;   in Loop: Header=BB308_626 Depth=1
	s_or_b64 exec, exec, s[28:29]
.LBB308_856:                            ;   in Loop: Header=BB308_626 Depth=1
	s_or_b64 exec, exec, s[26:27]
.LBB308_857:                            ;   in Loop: Header=BB308_626 Depth=1
	s_or_b64 exec, exec, s[24:25]
	v_lshrrev_b16_e32 v32, 8, v32
	v_cmp_ne_u16_e64 s[4:5], 0, v32
	s_and_saveexec_b64 s[24:25], s[4:5]
	s_cbranch_execz .LBB308_863
; %bb.858:                              ;   in Loop: Header=BB308_626 Depth=1
	v_cmp_ne_u16_e64 s[4:5], s7, v32
	v_bfrev_b32_e32 v10, 1
	s_and_saveexec_b64 s[26:27], s[4:5]
	s_cbranch_execz .LBB308_862
; %bb.859:                              ;   in Loop: Header=BB308_626 Depth=1
	v_and_b32_e32 v11, 0x7f, v32
	v_cmp_ne_u32_e64 s[4:5], s15, v11
	v_mov_b32_e32 v10, 0x7fc02000
	s_and_saveexec_b64 s[28:29], s[4:5]
	s_cbranch_execz .LBB308_861
; %bb.860:                              ;   in Loop: Header=BB308_626 Depth=1
	v_and_b32_e32 v4, 7, v32
	v_ffbh_u32_e32 v10, v4
	v_min_u32_e32 v10, 32, v10
	v_lshrrev_b32_e32 v5, 3, v11
	v_subrev_u32_e32 v16, 28, v10
	v_sub_u32_e32 v10, 29, v10
	v_cmp_gt_u32_e64 s[4:5], 8, v11
	v_lshlrev_b64 v[22:23], v16, v[32:33]
	v_cndmask_b32_e64 v5, v5, v10, s[4:5]
	v_and_b32_e32 v16, 7, v22
	v_lshlrev_b32_e32 v10, 8, v32
	v_lshl_add_u32 v5, v5, 10, v60
	v_cndmask_b32_e64 v4, v4, v16, s[4:5]
	v_and_or_b32 v5, v10, s30, v5
	v_lshl_or_b32 v4, v4, 7, v5
	v_cvt_f32_f16_e32 v10, v4
.LBB308_861:                            ;   in Loop: Header=BB308_626 Depth=1
	s_or_b64 exec, exec, s[28:29]
.LBB308_862:                            ;   in Loop: Header=BB308_626 Depth=1
	s_or_b64 exec, exec, s[26:27]
.LBB308_863:                            ;   in Loop: Header=BB308_626 Depth=1
	s_or_b64 exec, exec, s[24:25]
	v_lshrrev_b32_e32 v32, 16, v45
	v_cmp_ne_u16_sdwa s[4:5], v32, v33 src0_sel:BYTE_0 src1_sel:DWORD
	v_mov_b32_e32 v11, 0
	v_mov_b32_e32 v16, 0
	s_and_saveexec_b64 s[24:25], s[4:5]
	s_cbranch_execz .LBB308_869
; %bb.864:                              ;   in Loop: Header=BB308_626 Depth=1
	v_cmp_ne_u16_sdwa s[4:5], v32, s7 src0_sel:BYTE_0 src1_sel:DWORD
	v_bfrev_b32_e32 v16, 1
	s_and_saveexec_b64 s[26:27], s[4:5]
	s_cbranch_execz .LBB308_868
; %bb.865:                              ;   in Loop: Header=BB308_626 Depth=1
	v_bfe_u32 v22, v45, 16, 7
	v_cmp_ne_u32_e64 s[4:5], s15, v22
	v_mov_b32_e32 v16, 0x7fc02000
	s_and_saveexec_b64 s[28:29], s[4:5]
	s_cbranch_execz .LBB308_867
; %bb.866:                              ;   in Loop: Header=BB308_626 Depth=1
	v_and_b32_e32 v4, 7, v32
	v_ffbh_u32_e32 v16, v4
	v_min_u32_e32 v16, 32, v16
	v_lshrrev_b32_e32 v5, 3, v22
	v_subrev_u32_e32 v23, 28, v16
	v_sub_u32_e32 v16, 29, v16
	v_cmp_gt_u32_e64 s[4:5], 8, v22
	v_lshlrev_b64 v[30:31], v23, v[32:33]
	v_cndmask_b32_e64 v5, v5, v16, s[4:5]
	v_and_b32_e32 v23, 7, v30
	v_lshlrev_b32_e32 v16, 8, v32
	v_lshl_add_u32 v5, v5, 10, v60
	v_cndmask_b32_e64 v4, v4, v23, s[4:5]
	v_and_or_b32 v5, v16, s30, v5
	v_lshl_or_b32 v4, v4, 7, v5
	v_cvt_f32_f16_e32 v16, v4
.LBB308_867:                            ;   in Loop: Header=BB308_626 Depth=1
	s_or_b64 exec, exec, s[28:29]
.LBB308_868:                            ;   in Loop: Header=BB308_626 Depth=1
	s_or_b64 exec, exec, s[26:27]
.LBB308_869:                            ;   in Loop: Header=BB308_626 Depth=1
	s_or_b64 exec, exec, s[24:25]
	v_cmp_lt_u64_e64 s[4:5], s[12:13], v[44:45]
	s_and_saveexec_b64 s[24:25], s[4:5]
	s_cbranch_execz .LBB308_875
; %bb.870:                              ;   in Loop: Header=BB308_626 Depth=1
	v_lshrrev_b32_e32 v32, 24, v45
	v_cmp_ne_u32_e64 s[4:5], s7, v32
	v_bfrev_b32_e32 v11, 1
	s_and_saveexec_b64 s[26:27], s[4:5]
	s_cbranch_execz .LBB308_874
; %bb.871:                              ;   in Loop: Header=BB308_626 Depth=1
	v_and_b32_e32 v22, 0x7f, v32
	v_cmp_ne_u32_e64 s[4:5], s15, v22
	v_mov_b32_e32 v11, 0x7fc02000
	s_and_saveexec_b64 s[28:29], s[4:5]
	s_cbranch_execz .LBB308_873
; %bb.872:                              ;   in Loop: Header=BB308_626 Depth=1
	v_and_b32_e32 v4, 7, v32
	v_ffbh_u32_e32 v11, v4
	v_min_u32_e32 v11, 32, v11
	v_lshrrev_b32_e32 v5, 3, v22
	v_subrev_u32_e32 v23, 28, v11
	v_sub_u32_e32 v11, 29, v11
	v_cmp_gt_u32_e64 s[4:5], 8, v22
	v_lshlrev_b64 v[30:31], v23, v[32:33]
	v_cndmask_b32_e64 v5, v5, v11, s[4:5]
	v_and_b32_e32 v23, 7, v30
	v_lshlrev_b32_e32 v11, 8, v32
	v_lshl_add_u32 v5, v5, 10, v60
	v_cndmask_b32_e64 v4, v4, v23, s[4:5]
	v_and_or_b32 v5, v11, s30, v5
	v_lshl_or_b32 v4, v4, 7, v5
	v_cvt_f32_f16_e32 v11, v4
.LBB308_873:                            ;   in Loop: Header=BB308_626 Depth=1
	s_or_b64 exec, exec, s[28:29]
.LBB308_874:                            ;   in Loop: Header=BB308_626 Depth=1
	s_or_b64 exec, exec, s[26:27]
.LBB308_875:                            ;   in Loop: Header=BB308_626 Depth=1
	s_or_b64 exec, exec, s[24:25]
	v_pk_mul_f32 v[22:23], v[54:55], v[42:43] op_sel_hi:[0,1]
	v_pk_mul_f32 v[30:31], v[54:55], v[40:41] op_sel_hi:[0,1]
	v_cvt_f16_f32_e32 v4, v23
	v_cvt_f16_f32_e32 v5, v22
	;; [unrolled: 1-line block ×4, first 2 shown]
	v_fma_mixlo_f16 v16, v54, v16, 0
	v_pack_b32_f16 v4, v5, v4
	v_pack_b32_f16 v5, v23, v22
	v_perm_b32 v22, v5, v4, s34
	v_perm_b32 v23, v5, v4, s35
	v_fma_mixlo_f16 v4, v54, v10, 0
	v_lshlrev_b32_e32 v4, 16, v4
	v_fma_mixlo_f16 v5, v54, v6, 0
	v_or_b32_sdwa v6, v4, v5 dst_sel:DWORD dst_unused:UNUSED_PAD src0_sel:DWORD src1_sel:WORD_0
	v_fma_mixlo_f16 v4, v54, v11, 0
	v_lshlrev_b32_e32 v4, 16, v4
	v_or_b32_sdwa v10, v4, v16 dst_sel:DWORD dst_unused:UNUSED_PAD src0_sel:DWORD src1_sel:WORD_0
	s_and_saveexec_b64 s[24:25], vcc
	s_cbranch_execz .LBB308_877
; %bb.876:                              ;   in Loop: Header=BB308_626 Depth=1
	v_lshrrev_b32_e32 v4, 16, v23
	v_cmp_lt_i32_e64 s[4:5], v38, v7
	v_accvgpr_read_b32 v26, a8
	v_cndmask_b32_e64 v4, 0, v4, s[4:5]
	v_cmp_lt_i32_e64 s[4:5], v12, v26
	v_cndmask_b32_e64 v5, 0, v23, s[4:5]
	v_perm_b32 v23, v4, v5, s36
	v_lshrrev_b32_e32 v4, 16, v22
	v_cmp_lt_i32_e64 s[4:5], v35, v7
	v_cndmask_b32_e64 v4, 0, v4, s[4:5]
	v_cmp_lt_i32_e64 s[4:5], v39, v26
	v_cndmask_b32_e64 v5, 0, v22, s[4:5]
	v_perm_b32 v22, v4, v5, s36
	v_lshrrev_b32_e32 v4, 16, v6
	v_cmp_lt_i32_e64 s[4:5], v37, v7
	;; [unrolled: 6-line block ×3, first 2 shown]
	v_cndmask_b32_e64 v4, 0, v4, s[4:5]
	v_cmp_lt_i32_e64 s[4:5], v61, v26
	v_cndmask_b32_e64 v5, 0, v16, s[4:5]
	v_perm_b32 v10, v4, v5, s36
.LBB308_877:                            ;   in Loop: Header=BB308_626 Depth=1
	s_or_b64 exec, exec, s[24:25]
	;;#ASMSTART
	v_pk_mul_f16 v4, v36, v23;

	;;#ASMEND
	;;#ASMSTART
	v_pk_mul_f16 v5, v34, v22;

	;;#ASMEND
	;; [unrolled: 4-line block ×4, first 2 shown]
	;;#ASMSTART
	v_pk_add_f16 v4, v4, v5;

	;;#ASMEND
	;;#ASMSTART
	v_pk_add_f16 v4, v4, v6;

	;;#ASMEND
	;; [unrolled: 4-line block ×3, first 2 shown]
	v_lshrrev_b32_e32 v5, 16, v4
	v_and_b32_e32 v4, 0xffff, v4
	;;#ASMSTART
	v_cvt_f32_f16 v29, v4;
	;;#ASMEND
	;;#ASMSTART
	v_cvt_f32_f16 v10, v5;
	;;#ASMEND
	v_accvgpr_read_b32 v4, a4
	flat_load_dwordx2 v[44:45], v[52:53] offset:2560
	v_accvgpr_read_b32 v5, a5
	flat_load_dword v54, v[4:5]
	v_mov_b32_e32 v42, 0
	v_mov_b32_e32 v40, 0
	s_waitcnt vmcnt(0) lgkmcnt(0)
	v_cmp_ne_u16_sdwa s[4:5], v44, v33 src0_sel:BYTE_0 src1_sel:DWORD
	s_and_saveexec_b64 s[24:25], s[4:5]
	s_cbranch_execz .LBB308_883
; %bb.878:                              ;   in Loop: Header=BB308_626 Depth=1
	v_cmp_ne_u16_sdwa s[4:5], v44, s7 src0_sel:BYTE_0 src1_sel:DWORD
	v_bfrev_b32_e32 v40, 1
	s_and_saveexec_b64 s[26:27], s[4:5]
	s_cbranch_execz .LBB308_882
; %bb.879:                              ;   in Loop: Header=BB308_626 Depth=1
	v_and_b32_e32 v6, 0x7f, v44
	v_cmp_ne_u32_e64 s[4:5], s15, v6
	v_mov_b32_e32 v40, 0x7fc02000
	s_and_saveexec_b64 s[28:29], s[4:5]
	s_cbranch_execz .LBB308_881
; %bb.880:                              ;   in Loop: Header=BB308_626 Depth=1
	v_and_b32_e32 v4, 7, v44
	v_ffbh_u32_e32 v4, v4
	v_min_u32_e32 v4, 32, v4
	v_lshrrev_b32_e32 v5, 3, v6
	v_subrev_u32_e32 v11, 28, v4
	v_sub_u32_e32 v4, 29, v4
	v_cmp_gt_u32_e64 s[4:5], 8, v6
	v_cndmask_b32_e64 v6, 0, v11, s[4:5]
	v_cndmask_b32_e64 v4, v5, v4, s[4:5]
	v_lshlrev_b64 v[22:23], v6, v[44:45]
	v_lshlrev_b32_e32 v6, 8, v44
	v_lshl_add_u32 v4, v4, 10, v60
	v_lshlrev_b32_e32 v5, 7, v22
	v_and_or_b32 v4, v6, s30, v4
	v_and_or_b32 v4, v5, s31, v4
	v_cvt_f32_f16_e32 v40, v4
.LBB308_881:                            ;   in Loop: Header=BB308_626 Depth=1
	s_or_b64 exec, exec, s[28:29]
.LBB308_882:                            ;   in Loop: Header=BB308_626 Depth=1
	s_or_b64 exec, exec, s[26:27]
.LBB308_883:                            ;   in Loop: Header=BB308_626 Depth=1
	s_or_b64 exec, exec, s[24:25]
	v_lshrrev_b16_e32 v32, 8, v44
	v_cmp_ne_u16_e64 s[4:5], 0, v32
	s_and_saveexec_b64 s[24:25], s[4:5]
	s_cbranch_execz .LBB308_889
; %bb.884:                              ;   in Loop: Header=BB308_626 Depth=1
	v_cmp_ne_u16_e64 s[4:5], s7, v32
	v_bfrev_b32_e32 v42, 1
	s_and_saveexec_b64 s[26:27], s[4:5]
	s_cbranch_execz .LBB308_888
; %bb.885:                              ;   in Loop: Header=BB308_626 Depth=1
	v_and_b32_e32 v6, 0x7f, v32
	v_cmp_ne_u32_e64 s[4:5], s15, v6
	v_mov_b32_e32 v42, 0x7fc02000
	s_and_saveexec_b64 s[28:29], s[4:5]
	s_cbranch_execz .LBB308_887
; %bb.886:                              ;   in Loop: Header=BB308_626 Depth=1
	v_and_b32_e32 v4, 7, v32
	v_ffbh_u32_e32 v11, v4
	v_min_u32_e32 v11, 32, v11
	v_lshrrev_b32_e32 v5, 3, v6
	v_subrev_u32_e32 v16, 28, v11
	v_sub_u32_e32 v11, 29, v11
	v_cmp_gt_u32_e64 s[4:5], 8, v6
	v_lshlrev_b64 v[22:23], v16, v[32:33]
	v_cndmask_b32_e64 v5, v5, v11, s[4:5]
	v_and_b32_e32 v16, 7, v22
	v_lshlrev_b32_e32 v6, 8, v32
	v_lshl_add_u32 v5, v5, 10, v60
	v_cndmask_b32_e64 v4, v4, v16, s[4:5]
	v_and_or_b32 v5, v6, s30, v5
	v_lshl_or_b32 v4, v4, 7, v5
	v_cvt_f32_f16_e32 v42, v4
.LBB308_887:                            ;   in Loop: Header=BB308_626 Depth=1
	s_or_b64 exec, exec, s[28:29]
.LBB308_888:                            ;   in Loop: Header=BB308_626 Depth=1
	s_or_b64 exec, exec, s[26:27]
.LBB308_889:                            ;   in Loop: Header=BB308_626 Depth=1
	s_or_b64 exec, exec, s[24:25]
	v_lshrrev_b32_e32 v32, 16, v44
	v_cmp_ne_u16_sdwa s[4:5], v32, v33 src0_sel:BYTE_0 src1_sel:DWORD
	v_mov_b32_e32 v43, 0
	v_mov_b32_e32 v41, 0
	s_and_saveexec_b64 s[24:25], s[4:5]
	s_cbranch_execz .LBB308_895
; %bb.890:                              ;   in Loop: Header=BB308_626 Depth=1
	v_cmp_ne_u16_sdwa s[4:5], v32, s7 src0_sel:BYTE_0 src1_sel:DWORD
	v_bfrev_b32_e32 v41, 1
	s_and_saveexec_b64 s[26:27], s[4:5]
	s_cbranch_execz .LBB308_894
; %bb.891:                              ;   in Loop: Header=BB308_626 Depth=1
	v_bfe_u32 v6, v44, 16, 7
	v_cmp_ne_u32_e64 s[4:5], s15, v6
	v_mov_b32_e32 v41, 0x7fc02000
	s_and_saveexec_b64 s[28:29], s[4:5]
	s_cbranch_execz .LBB308_893
; %bb.892:                              ;   in Loop: Header=BB308_626 Depth=1
	v_and_b32_e32 v4, 7, v32
	v_ffbh_u32_e32 v11, v4
	v_min_u32_e32 v11, 32, v11
	v_lshrrev_b32_e32 v5, 3, v6
	v_subrev_u32_e32 v16, 28, v11
	v_sub_u32_e32 v11, 29, v11
	v_cmp_gt_u32_e64 s[4:5], 8, v6
	v_lshlrev_b64 v[22:23], v16, v[32:33]
	v_cndmask_b32_e64 v5, v5, v11, s[4:5]
	v_and_b32_e32 v16, 7, v22
	v_lshlrev_b32_e32 v6, 8, v32
	v_lshl_add_u32 v5, v5, 10, v60
	v_cndmask_b32_e64 v4, v4, v16, s[4:5]
	v_and_or_b32 v5, v6, s30, v5
	v_lshl_or_b32 v4, v4, 7, v5
	v_cvt_f32_f16_e32 v41, v4
.LBB308_893:                            ;   in Loop: Header=BB308_626 Depth=1
	s_or_b64 exec, exec, s[28:29]
.LBB308_894:                            ;   in Loop: Header=BB308_626 Depth=1
	s_or_b64 exec, exec, s[26:27]
.LBB308_895:                            ;   in Loop: Header=BB308_626 Depth=1
	s_or_b64 exec, exec, s[24:25]
	v_cmp_lt_u32_e64 s[4:5], s13, v44
	s_and_saveexec_b64 s[24:25], s[4:5]
	s_cbranch_execz .LBB308_901
; %bb.896:                              ;   in Loop: Header=BB308_626 Depth=1
	v_lshrrev_b32_e32 v32, 24, v44
	v_cmp_ne_u32_e64 s[4:5], s7, v32
	v_bfrev_b32_e32 v43, 1
	s_and_saveexec_b64 s[26:27], s[4:5]
	s_cbranch_execz .LBB308_900
; %bb.897:                              ;   in Loop: Header=BB308_626 Depth=1
	v_and_b32_e32 v6, 0x7f, v32
	v_cmp_ne_u32_e64 s[4:5], s15, v6
	v_mov_b32_e32 v43, 0x7fc02000
	s_and_saveexec_b64 s[28:29], s[4:5]
	s_cbranch_execz .LBB308_899
; %bb.898:                              ;   in Loop: Header=BB308_626 Depth=1
	v_and_b32_e32 v4, 7, v32
	v_ffbh_u32_e32 v11, v4
	v_min_u32_e32 v11, 32, v11
	v_lshrrev_b32_e32 v5, 3, v6
	v_subrev_u32_e32 v16, 28, v11
	v_sub_u32_e32 v11, 29, v11
	v_cmp_gt_u32_e64 s[4:5], 8, v6
	v_lshlrev_b64 v[22:23], v16, v[32:33]
	v_cndmask_b32_e64 v5, v5, v11, s[4:5]
	v_and_b32_e32 v16, 7, v22
	v_lshlrev_b32_e32 v6, 8, v32
	v_lshl_add_u32 v5, v5, 10, v60
	v_cndmask_b32_e64 v4, v4, v16, s[4:5]
	v_and_or_b32 v5, v6, s30, v5
	v_lshl_or_b32 v4, v4, 7, v5
	v_cvt_f32_f16_e32 v43, v4
.LBB308_899:                            ;   in Loop: Header=BB308_626 Depth=1
	s_or_b64 exec, exec, s[28:29]
.LBB308_900:                            ;   in Loop: Header=BB308_626 Depth=1
	s_or_b64 exec, exec, s[26:27]
.LBB308_901:                            ;   in Loop: Header=BB308_626 Depth=1
	s_or_b64 exec, exec, s[24:25]
	v_mov_b32_e32 v32, v45
	v_cmp_ne_u16_sdwa s[4:5], v45, v33 src0_sel:BYTE_0 src1_sel:DWORD
	v_mov_b32_e32 v11, 0
	v_mov_b32_e32 v6, 0
	s_and_saveexec_b64 s[24:25], s[4:5]
	s_cbranch_execz .LBB308_907
; %bb.902:                              ;   in Loop: Header=BB308_626 Depth=1
	v_cmp_ne_u16_sdwa s[4:5], v45, s7 src0_sel:BYTE_0 src1_sel:DWORD
	v_bfrev_b32_e32 v6, 1
	s_and_saveexec_b64 s[26:27], s[4:5]
	s_cbranch_execz .LBB308_906
; %bb.903:                              ;   in Loop: Header=BB308_626 Depth=1
	v_and_b32_e32 v16, 0x7f, v45
	v_cmp_ne_u32_e64 s[4:5], s15, v16
	v_mov_b32_e32 v6, 0x7fc02000
	s_and_saveexec_b64 s[28:29], s[4:5]
	s_cbranch_execz .LBB308_905
; %bb.904:                              ;   in Loop: Header=BB308_626 Depth=1
	v_and_b32_e32 v4, 7, v45
	v_ffbh_u32_e32 v4, v4
	v_min_u32_e32 v4, 32, v4
	v_lshrrev_b32_e32 v5, 3, v16
	v_subrev_u32_e32 v6, 28, v4
	v_sub_u32_e32 v4, 29, v4
	v_cmp_gt_u32_e64 s[4:5], 8, v16
	v_cndmask_b32_e64 v6, 0, v6, s[4:5]
	v_cndmask_b32_e64 v4, v5, v4, s[4:5]
	v_lshlrev_b64 v[22:23], v6, v[32:33]
	v_lshlrev_b32_e32 v6, 8, v45
	v_lshl_add_u32 v4, v4, 10, v60
	v_lshlrev_b32_e32 v5, 7, v22
	v_and_or_b32 v4, v6, s30, v4
	v_and_or_b32 v4, v5, s31, v4
	v_cvt_f32_f16_e32 v6, v4
.LBB308_905:                            ;   in Loop: Header=BB308_626 Depth=1
	s_or_b64 exec, exec, s[28:29]
.LBB308_906:                            ;   in Loop: Header=BB308_626 Depth=1
	s_or_b64 exec, exec, s[26:27]
.LBB308_907:                            ;   in Loop: Header=BB308_626 Depth=1
	s_or_b64 exec, exec, s[24:25]
	v_lshrrev_b16_e32 v32, 8, v32
	v_cmp_ne_u16_e64 s[4:5], 0, v32
	s_and_saveexec_b64 s[24:25], s[4:5]
	s_cbranch_execz .LBB308_913
; %bb.908:                              ;   in Loop: Header=BB308_626 Depth=1
	v_cmp_ne_u16_e64 s[4:5], s7, v32
	v_bfrev_b32_e32 v11, 1
	s_and_saveexec_b64 s[26:27], s[4:5]
	s_cbranch_execz .LBB308_912
; %bb.909:                              ;   in Loop: Header=BB308_626 Depth=1
	v_and_b32_e32 v16, 0x7f, v32
	v_cmp_ne_u32_e64 s[4:5], s15, v16
	v_mov_b32_e32 v11, 0x7fc02000
	s_and_saveexec_b64 s[28:29], s[4:5]
	s_cbranch_execz .LBB308_911
; %bb.910:                              ;   in Loop: Header=BB308_626 Depth=1
	v_and_b32_e32 v4, 7, v32
	v_ffbh_u32_e32 v11, v4
	v_min_u32_e32 v11, 32, v11
	v_lshrrev_b32_e32 v5, 3, v16
	v_subrev_u32_e32 v22, 28, v11
	v_sub_u32_e32 v11, 29, v11
	v_cmp_gt_u32_e64 s[4:5], 8, v16
	v_lshlrev_b64 v[22:23], v22, v[32:33]
	v_cndmask_b32_e64 v5, v5, v11, s[4:5]
	v_and_b32_e32 v22, 7, v22
	v_lshlrev_b32_e32 v11, 8, v32
	v_lshl_add_u32 v5, v5, 10, v60
	v_cndmask_b32_e64 v4, v4, v22, s[4:5]
	v_and_or_b32 v5, v11, s30, v5
	v_lshl_or_b32 v4, v4, 7, v5
	v_cvt_f32_f16_e32 v11, v4
.LBB308_911:                            ;   in Loop: Header=BB308_626 Depth=1
	s_or_b64 exec, exec, s[28:29]
.LBB308_912:                            ;   in Loop: Header=BB308_626 Depth=1
	s_or_b64 exec, exec, s[26:27]
.LBB308_913:                            ;   in Loop: Header=BB308_626 Depth=1
	s_or_b64 exec, exec, s[24:25]
	v_lshrrev_b32_e32 v32, 16, v45
	v_cmp_ne_u16_sdwa s[4:5], v32, v33 src0_sel:BYTE_0 src1_sel:DWORD
	v_mov_b32_e32 v16, 0
	v_mov_b32_e32 v22, 0
	s_and_saveexec_b64 s[24:25], s[4:5]
	s_cbranch_execz .LBB308_919
; %bb.914:                              ;   in Loop: Header=BB308_626 Depth=1
	v_cmp_ne_u16_sdwa s[4:5], v32, s7 src0_sel:BYTE_0 src1_sel:DWORD
	v_bfrev_b32_e32 v22, 1
	s_and_saveexec_b64 s[26:27], s[4:5]
	s_cbranch_execz .LBB308_918
; %bb.915:                              ;   in Loop: Header=BB308_626 Depth=1
	v_bfe_u32 v23, v45, 16, 7
	v_cmp_ne_u32_e64 s[4:5], s15, v23
	v_mov_b32_e32 v22, 0x7fc02000
	s_and_saveexec_b64 s[28:29], s[4:5]
	s_cbranch_execz .LBB308_917
; %bb.916:                              ;   in Loop: Header=BB308_626 Depth=1
	v_and_b32_e32 v4, 7, v32
	v_ffbh_u32_e32 v22, v4
	v_min_u32_e32 v22, 32, v22
	v_lshrrev_b32_e32 v5, 3, v23
	v_subrev_u32_e32 v26, 28, v22
	v_sub_u32_e32 v22, 29, v22
	v_cmp_gt_u32_e64 s[4:5], 8, v23
	v_lshlrev_b64 v[30:31], v26, v[32:33]
	v_cndmask_b32_e64 v5, v5, v22, s[4:5]
	v_and_b32_e32 v26, 7, v30
	v_lshlrev_b32_e32 v22, 8, v32
	v_lshl_add_u32 v5, v5, 10, v60
	v_cndmask_b32_e64 v4, v4, v26, s[4:5]
	v_and_or_b32 v5, v22, s30, v5
	v_lshl_or_b32 v4, v4, 7, v5
	v_cvt_f32_f16_e32 v22, v4
.LBB308_917:                            ;   in Loop: Header=BB308_626 Depth=1
	s_or_b64 exec, exec, s[28:29]
.LBB308_918:                            ;   in Loop: Header=BB308_626 Depth=1
	s_or_b64 exec, exec, s[26:27]
.LBB308_919:                            ;   in Loop: Header=BB308_626 Depth=1
	s_or_b64 exec, exec, s[24:25]
	v_cmp_lt_u64_e64 s[4:5], s[12:13], v[44:45]
	s_and_saveexec_b64 s[24:25], s[4:5]
	s_cbranch_execz .LBB308_925
; %bb.920:                              ;   in Loop: Header=BB308_626 Depth=1
	v_lshrrev_b32_e32 v32, 24, v45
	v_cmp_ne_u32_e64 s[4:5], s7, v32
	v_bfrev_b32_e32 v16, 1
	s_and_saveexec_b64 s[26:27], s[4:5]
	s_cbranch_execz .LBB308_924
; %bb.921:                              ;   in Loop: Header=BB308_626 Depth=1
	v_and_b32_e32 v23, 0x7f, v32
	v_cmp_ne_u32_e64 s[4:5], s15, v23
	v_mov_b32_e32 v16, 0x7fc02000
	s_and_saveexec_b64 s[28:29], s[4:5]
	s_cbranch_execz .LBB308_923
; %bb.922:                              ;   in Loop: Header=BB308_626 Depth=1
	v_and_b32_e32 v4, 7, v32
	v_ffbh_u32_e32 v16, v4
	v_min_u32_e32 v16, 32, v16
	v_lshrrev_b32_e32 v5, 3, v23
	v_subrev_u32_e32 v26, 28, v16
	v_sub_u32_e32 v16, 29, v16
	v_cmp_gt_u32_e64 s[4:5], 8, v23
	v_lshlrev_b64 v[30:31], v26, v[32:33]
	v_cndmask_b32_e64 v5, v5, v16, s[4:5]
	v_and_b32_e32 v26, 7, v30
	v_lshlrev_b32_e32 v16, 8, v32
	v_lshl_add_u32 v5, v5, 10, v60
	v_cndmask_b32_e64 v4, v4, v26, s[4:5]
	v_and_or_b32 v5, v16, s30, v5
	v_lshl_or_b32 v4, v4, 7, v5
	v_cvt_f32_f16_e32 v16, v4
.LBB308_923:                            ;   in Loop: Header=BB308_626 Depth=1
	s_or_b64 exec, exec, s[28:29]
.LBB308_924:                            ;   in Loop: Header=BB308_626 Depth=1
	s_or_b64 exec, exec, s[26:27]
.LBB308_925:                            ;   in Loop: Header=BB308_626 Depth=1
	s_or_b64 exec, exec, s[24:25]
	v_pk_mul_f32 v[30:31], v[54:55], v[42:43] op_sel_hi:[0,1]
	v_pk_mul_f32 v[48:49], v[54:55], v[40:41] op_sel_hi:[0,1]
	v_cvt_f16_f32_e32 v4, v31
	v_cvt_f16_f32_e32 v5, v30
	;; [unrolled: 1-line block ×4, first 2 shown]
	v_fma_mixlo_f16 v22, v54, v22, 0
	v_pack_b32_f16 v4, v5, v4
	v_pack_b32_f16 v5, v26, v23
	v_perm_b32 v23, v5, v4, s34
	v_perm_b32 v26, v5, v4, s35
	v_fma_mixlo_f16 v4, v54, v11, 0
	v_lshlrev_b32_e32 v4, 16, v4
	v_fma_mixlo_f16 v5, v54, v6, 0
	v_or_b32_sdwa v6, v4, v5 dst_sel:DWORD dst_unused:UNUSED_PAD src0_sel:DWORD src1_sel:WORD_0
	v_fma_mixlo_f16 v4, v54, v16, 0
	v_lshlrev_b32_e32 v4, 16, v4
	v_or_b32_sdwa v11, v4, v22 dst_sel:DWORD dst_unused:UNUSED_PAD src0_sel:DWORD src1_sel:WORD_0
	s_and_saveexec_b64 s[24:25], vcc
	s_cbranch_execz .LBB308_927
; %bb.926:                              ;   in Loop: Header=BB308_626 Depth=1
	v_lshrrev_b32_e32 v4, 16, v26
	v_cmp_lt_i32_e64 s[4:5], v38, v7
	v_accvgpr_read_b32 v16, a8
	v_cndmask_b32_e64 v4, 0, v4, s[4:5]
	v_cmp_lt_i32_e64 s[4:5], v12, v16
	v_cndmask_b32_e64 v5, 0, v26, s[4:5]
	v_perm_b32 v26, v4, v5, s36
	v_lshrrev_b32_e32 v4, 16, v23
	v_cmp_lt_i32_e64 s[4:5], v35, v7
	v_cndmask_b32_e64 v4, 0, v4, s[4:5]
	v_cmp_lt_i32_e64 s[4:5], v39, v16
	v_cndmask_b32_e64 v5, 0, v23, s[4:5]
	v_perm_b32 v23, v4, v5, s36
	v_lshrrev_b32_e32 v4, 16, v6
	v_cmp_lt_i32_e64 s[4:5], v37, v7
	v_cndmask_b32_e64 v4, 0, v4, s[4:5]
	v_cmp_lt_i32_e64 s[4:5], v17, v16
	v_cndmask_b32_e64 v5, 0, v6, s[4:5]
	v_perm_b32 v6, v4, v5, s36
	v_lshrrev_b32_e32 v4, 16, v11
	v_cmp_lt_i32_e64 s[4:5], v62, v7
	v_cndmask_b32_e64 v4, 0, v4, s[4:5]
	v_cmp_lt_i32_e64 s[4:5], v61, v16
	v_cndmask_b32_e64 v5, 0, v22, s[4:5]
	v_perm_b32 v11, v4, v5, s36
.LBB308_927:                            ;   in Loop: Header=BB308_626 Depth=1
	s_or_b64 exec, exec, s[24:25]
	;;#ASMSTART
	v_pk_mul_f16 v4, v36, v26;

	;;#ASMEND
	;;#ASMSTART
	v_pk_mul_f16 v5, v34, v23;

	;;#ASMEND
	;; [unrolled: 4-line block ×4, first 2 shown]
	;;#ASMSTART
	v_pk_add_f16 v4, v4, v5;

	;;#ASMEND
	;;#ASMSTART
	v_pk_add_f16 v4, v4, v6;

	;;#ASMEND
	;; [unrolled: 4-line block ×3, first 2 shown]
	v_lshrrev_b32_e32 v5, 16, v4
	v_and_b32_e32 v4, 0xffff, v4
	;;#ASMSTART
	v_cvt_f32_f16 v6, v4;
	;;#ASMEND
	;;#ASMSTART
	v_cvt_f32_f16 v11, v5;
	;;#ASMEND
	v_accvgpr_read_b32 v4, a4
	flat_load_dwordx2 v[44:45], v[52:53] offset:3072
	v_accvgpr_read_b32 v5, a5
	flat_load_dword v54, v[4:5]
	v_mov_b32_e32 v42, 0
	v_mov_b32_e32 v40, 0
	s_waitcnt vmcnt(0) lgkmcnt(0)
	v_cmp_ne_u16_sdwa s[4:5], v44, v33 src0_sel:BYTE_0 src1_sel:DWORD
	s_and_saveexec_b64 s[24:25], s[4:5]
	s_cbranch_execz .LBB308_933
; %bb.928:                              ;   in Loop: Header=BB308_626 Depth=1
	v_cmp_ne_u16_sdwa s[4:5], v44, s7 src0_sel:BYTE_0 src1_sel:DWORD
	v_bfrev_b32_e32 v40, 1
	s_and_saveexec_b64 s[26:27], s[4:5]
	s_cbranch_execz .LBB308_932
; %bb.929:                              ;   in Loop: Header=BB308_626 Depth=1
	v_and_b32_e32 v16, 0x7f, v44
	v_cmp_ne_u32_e64 s[4:5], s15, v16
	v_mov_b32_e32 v40, 0x7fc02000
	s_and_saveexec_b64 s[28:29], s[4:5]
	s_cbranch_execz .LBB308_931
; %bb.930:                              ;   in Loop: Header=BB308_626 Depth=1
	v_and_b32_e32 v4, 7, v44
	v_ffbh_u32_e32 v4, v4
	v_min_u32_e32 v4, 32, v4
	v_lshrrev_b32_e32 v5, 3, v16
	v_subrev_u32_e32 v22, 28, v4
	v_sub_u32_e32 v4, 29, v4
	v_cmp_gt_u32_e64 s[4:5], 8, v16
	v_cndmask_b32_e64 v16, 0, v22, s[4:5]
	v_cndmask_b32_e64 v4, v5, v4, s[4:5]
	v_lshlrev_b64 v[22:23], v16, v[44:45]
	v_lshlrev_b32_e32 v16, 8, v44
	v_lshl_add_u32 v4, v4, 10, v60
	v_lshlrev_b32_e32 v5, 7, v22
	v_and_or_b32 v4, v16, s30, v4
	v_and_or_b32 v4, v5, s31, v4
	v_cvt_f32_f16_e32 v40, v4
.LBB308_931:                            ;   in Loop: Header=BB308_626 Depth=1
	s_or_b64 exec, exec, s[28:29]
.LBB308_932:                            ;   in Loop: Header=BB308_626 Depth=1
	s_or_b64 exec, exec, s[26:27]
.LBB308_933:                            ;   in Loop: Header=BB308_626 Depth=1
	s_or_b64 exec, exec, s[24:25]
	v_lshrrev_b16_e32 v32, 8, v44
	v_cmp_ne_u16_e64 s[4:5], 0, v32
	s_and_saveexec_b64 s[24:25], s[4:5]
	s_cbranch_execz .LBB308_939
; %bb.934:                              ;   in Loop: Header=BB308_626 Depth=1
	v_cmp_ne_u16_e64 s[4:5], s7, v32
	v_bfrev_b32_e32 v42, 1
	s_and_saveexec_b64 s[26:27], s[4:5]
	s_cbranch_execz .LBB308_938
; %bb.935:                              ;   in Loop: Header=BB308_626 Depth=1
	v_and_b32_e32 v16, 0x7f, v32
	v_cmp_ne_u32_e64 s[4:5], s15, v16
	v_mov_b32_e32 v42, 0x7fc02000
	s_and_saveexec_b64 s[28:29], s[4:5]
	s_cbranch_execz .LBB308_937
; %bb.936:                              ;   in Loop: Header=BB308_626 Depth=1
	v_and_b32_e32 v4, 7, v32
	v_ffbh_u32_e32 v22, v4
	v_min_u32_e32 v26, 32, v22
	v_subrev_u32_e32 v22, 28, v26
	v_lshlrev_b64 v[22:23], v22, v[32:33]
	v_lshrrev_b32_e32 v5, 3, v16
	v_sub_u32_e32 v23, 29, v26
	v_cmp_gt_u32_e64 s[4:5], 8, v16
	v_cndmask_b32_e64 v5, v5, v23, s[4:5]
	v_and_b32_e32 v22, 7, v22
	v_lshlrev_b32_e32 v16, 8, v32
	v_lshl_add_u32 v5, v5, 10, v60
	v_cndmask_b32_e64 v4, v4, v22, s[4:5]
	v_and_or_b32 v5, v16, s30, v5
	v_lshl_or_b32 v4, v4, 7, v5
	v_cvt_f32_f16_e32 v42, v4
.LBB308_937:                            ;   in Loop: Header=BB308_626 Depth=1
	s_or_b64 exec, exec, s[28:29]
.LBB308_938:                            ;   in Loop: Header=BB308_626 Depth=1
	s_or_b64 exec, exec, s[26:27]
.LBB308_939:                            ;   in Loop: Header=BB308_626 Depth=1
	s_or_b64 exec, exec, s[24:25]
	v_lshrrev_b32_e32 v32, 16, v44
	v_cmp_ne_u16_sdwa s[4:5], v32, v33 src0_sel:BYTE_0 src1_sel:DWORD
	v_mov_b32_e32 v43, 0
	v_mov_b32_e32 v41, 0
	s_and_saveexec_b64 s[24:25], s[4:5]
	s_cbranch_execz .LBB308_945
; %bb.940:                              ;   in Loop: Header=BB308_626 Depth=1
	v_cmp_ne_u16_sdwa s[4:5], v32, s7 src0_sel:BYTE_0 src1_sel:DWORD
	v_bfrev_b32_e32 v41, 1
	s_and_saveexec_b64 s[26:27], s[4:5]
	s_cbranch_execz .LBB308_944
; %bb.941:                              ;   in Loop: Header=BB308_626 Depth=1
	v_bfe_u32 v16, v44, 16, 7
	v_cmp_ne_u32_e64 s[4:5], s15, v16
	v_mov_b32_e32 v41, 0x7fc02000
	s_and_saveexec_b64 s[28:29], s[4:5]
	s_cbranch_execz .LBB308_943
; %bb.942:                              ;   in Loop: Header=BB308_626 Depth=1
	v_and_b32_e32 v4, 7, v32
	v_ffbh_u32_e32 v22, v4
	v_min_u32_e32 v26, 32, v22
	v_subrev_u32_e32 v22, 28, v26
	v_lshlrev_b64 v[22:23], v22, v[32:33]
	v_lshrrev_b32_e32 v5, 3, v16
	v_sub_u32_e32 v23, 29, v26
	v_cmp_gt_u32_e64 s[4:5], 8, v16
	v_cndmask_b32_e64 v5, v5, v23, s[4:5]
	v_and_b32_e32 v22, 7, v22
	v_lshlrev_b32_e32 v16, 8, v32
	v_lshl_add_u32 v5, v5, 10, v60
	v_cndmask_b32_e64 v4, v4, v22, s[4:5]
	v_and_or_b32 v5, v16, s30, v5
	v_lshl_or_b32 v4, v4, 7, v5
	v_cvt_f32_f16_e32 v41, v4
.LBB308_943:                            ;   in Loop: Header=BB308_626 Depth=1
	s_or_b64 exec, exec, s[28:29]
.LBB308_944:                            ;   in Loop: Header=BB308_626 Depth=1
	s_or_b64 exec, exec, s[26:27]
.LBB308_945:                            ;   in Loop: Header=BB308_626 Depth=1
	s_or_b64 exec, exec, s[24:25]
	v_cmp_lt_u32_e64 s[4:5], s13, v44
	s_and_saveexec_b64 s[24:25], s[4:5]
	s_cbranch_execz .LBB308_951
; %bb.946:                              ;   in Loop: Header=BB308_626 Depth=1
	v_lshrrev_b32_e32 v32, 24, v44
	v_cmp_ne_u32_e64 s[4:5], s7, v32
	v_bfrev_b32_e32 v43, 1
	s_and_saveexec_b64 s[26:27], s[4:5]
	s_cbranch_execz .LBB308_950
; %bb.947:                              ;   in Loop: Header=BB308_626 Depth=1
	v_and_b32_e32 v16, 0x7f, v32
	v_cmp_ne_u32_e64 s[4:5], s15, v16
	v_mov_b32_e32 v43, 0x7fc02000
	s_and_saveexec_b64 s[28:29], s[4:5]
	s_cbranch_execz .LBB308_949
; %bb.948:                              ;   in Loop: Header=BB308_626 Depth=1
	v_and_b32_e32 v4, 7, v32
	v_ffbh_u32_e32 v22, v4
	v_min_u32_e32 v26, 32, v22
	v_subrev_u32_e32 v22, 28, v26
	v_lshlrev_b64 v[22:23], v22, v[32:33]
	v_lshrrev_b32_e32 v5, 3, v16
	v_sub_u32_e32 v23, 29, v26
	v_cmp_gt_u32_e64 s[4:5], 8, v16
	v_cndmask_b32_e64 v5, v5, v23, s[4:5]
	v_and_b32_e32 v22, 7, v22
	v_lshlrev_b32_e32 v16, 8, v32
	v_lshl_add_u32 v5, v5, 10, v60
	v_cndmask_b32_e64 v4, v4, v22, s[4:5]
	v_and_or_b32 v5, v16, s30, v5
	v_lshl_or_b32 v4, v4, 7, v5
	v_cvt_f32_f16_e32 v43, v4
.LBB308_949:                            ;   in Loop: Header=BB308_626 Depth=1
	s_or_b64 exec, exec, s[28:29]
.LBB308_950:                            ;   in Loop: Header=BB308_626 Depth=1
	s_or_b64 exec, exec, s[26:27]
.LBB308_951:                            ;   in Loop: Header=BB308_626 Depth=1
	s_or_b64 exec, exec, s[24:25]
	v_mov_b32_e32 v32, v45
	v_cmp_ne_u16_sdwa s[4:5], v45, v33 src0_sel:BYTE_0 src1_sel:DWORD
	v_mov_b32_e32 v22, 0
	v_mov_b32_e32 v16, 0
	s_and_saveexec_b64 s[24:25], s[4:5]
	s_cbranch_execz .LBB308_957
; %bb.952:                              ;   in Loop: Header=BB308_626 Depth=1
	v_cmp_ne_u16_sdwa s[4:5], v45, s7 src0_sel:BYTE_0 src1_sel:DWORD
	v_bfrev_b32_e32 v16, 1
	s_and_saveexec_b64 s[26:27], s[4:5]
	s_cbranch_execz .LBB308_956
; %bb.953:                              ;   in Loop: Header=BB308_626 Depth=1
	v_and_b32_e32 v23, 0x7f, v45
	v_cmp_ne_u32_e64 s[4:5], s15, v23
	v_mov_b32_e32 v16, 0x7fc02000
	s_and_saveexec_b64 s[28:29], s[4:5]
	s_cbranch_execz .LBB308_955
; %bb.954:                              ;   in Loop: Header=BB308_626 Depth=1
	v_and_b32_e32 v4, 7, v45
	v_ffbh_u32_e32 v4, v4
	v_min_u32_e32 v4, 32, v4
	v_lshrrev_b32_e32 v5, 3, v23
	v_subrev_u32_e32 v16, 28, v4
	v_sub_u32_e32 v4, 29, v4
	v_cmp_gt_u32_e64 s[4:5], 8, v23
	v_cndmask_b32_e64 v16, 0, v16, s[4:5]
	v_cndmask_b32_e64 v4, v5, v4, s[4:5]
	v_lshlrev_b64 v[30:31], v16, v[32:33]
	v_lshlrev_b32_e32 v16, 8, v45
	v_lshl_add_u32 v4, v4, 10, v60
	v_lshlrev_b32_e32 v5, 7, v30
	v_and_or_b32 v4, v16, s30, v4
	v_and_or_b32 v4, v5, s31, v4
	v_cvt_f32_f16_e32 v16, v4
.LBB308_955:                            ;   in Loop: Header=BB308_626 Depth=1
	s_or_b64 exec, exec, s[28:29]
.LBB308_956:                            ;   in Loop: Header=BB308_626 Depth=1
	s_or_b64 exec, exec, s[26:27]
.LBB308_957:                            ;   in Loop: Header=BB308_626 Depth=1
	s_or_b64 exec, exec, s[24:25]
	v_lshrrev_b16_e32 v32, 8, v32
	v_cmp_ne_u16_e64 s[4:5], 0, v32
	s_and_saveexec_b64 s[24:25], s[4:5]
	s_cbranch_execz .LBB308_963
; %bb.958:                              ;   in Loop: Header=BB308_626 Depth=1
	v_cmp_ne_u16_e64 s[4:5], s7, v32
	v_bfrev_b32_e32 v22, 1
	s_and_saveexec_b64 s[26:27], s[4:5]
	s_cbranch_execz .LBB308_962
; %bb.959:                              ;   in Loop: Header=BB308_626 Depth=1
	v_and_b32_e32 v23, 0x7f, v32
	v_cmp_ne_u32_e64 s[4:5], s15, v23
	v_mov_b32_e32 v22, 0x7fc02000
	s_and_saveexec_b64 s[28:29], s[4:5]
	s_cbranch_execz .LBB308_961
; %bb.960:                              ;   in Loop: Header=BB308_626 Depth=1
	v_and_b32_e32 v4, 7, v32
	v_ffbh_u32_e32 v22, v4
	v_min_u32_e32 v22, 32, v22
	v_lshrrev_b32_e32 v5, 3, v23
	v_subrev_u32_e32 v26, 28, v22
	v_sub_u32_e32 v22, 29, v22
	v_cmp_gt_u32_e64 s[4:5], 8, v23
	v_lshlrev_b64 v[30:31], v26, v[32:33]
	v_cndmask_b32_e64 v5, v5, v22, s[4:5]
	v_and_b32_e32 v26, 7, v30
	v_lshlrev_b32_e32 v22, 8, v32
	v_lshl_add_u32 v5, v5, 10, v60
	v_cndmask_b32_e64 v4, v4, v26, s[4:5]
	v_and_or_b32 v5, v22, s30, v5
	v_lshl_or_b32 v4, v4, 7, v5
	v_cvt_f32_f16_e32 v22, v4
.LBB308_961:                            ;   in Loop: Header=BB308_626 Depth=1
	s_or_b64 exec, exec, s[28:29]
.LBB308_962:                            ;   in Loop: Header=BB308_626 Depth=1
	s_or_b64 exec, exec, s[26:27]
.LBB308_963:                            ;   in Loop: Header=BB308_626 Depth=1
	s_or_b64 exec, exec, s[24:25]
	v_lshrrev_b32_e32 v32, 16, v45
	v_cmp_ne_u16_sdwa s[4:5], v32, v33 src0_sel:BYTE_0 src1_sel:DWORD
	v_mov_b32_e32 v23, 0
	v_mov_b32_e32 v26, 0
	s_and_saveexec_b64 s[24:25], s[4:5]
	s_cbranch_execz .LBB308_969
; %bb.964:                              ;   in Loop: Header=BB308_626 Depth=1
	v_cmp_ne_u16_sdwa s[4:5], v32, s7 src0_sel:BYTE_0 src1_sel:DWORD
	v_bfrev_b32_e32 v26, 1
	s_and_saveexec_b64 s[26:27], s[4:5]
	s_cbranch_execz .LBB308_968
; %bb.965:                              ;   in Loop: Header=BB308_626 Depth=1
	v_bfe_u32 v30, v45, 16, 7
	v_cmp_ne_u32_e64 s[4:5], s15, v30
	v_mov_b32_e32 v26, 0x7fc02000
	s_and_saveexec_b64 s[28:29], s[4:5]
	s_cbranch_execz .LBB308_967
; %bb.966:                              ;   in Loop: Header=BB308_626 Depth=1
	v_and_b32_e32 v4, 7, v32
	v_ffbh_u32_e32 v26, v4
	v_min_u32_e32 v26, 32, v26
	v_lshrrev_b32_e32 v5, 3, v30
	v_subrev_u32_e32 v27, 28, v26
	v_sub_u32_e32 v26, 29, v26
	v_cmp_gt_u32_e64 s[4:5], 8, v30
	v_lshlrev_b64 v[48:49], v27, v[32:33]
	v_cndmask_b32_e64 v5, v5, v26, s[4:5]
	v_and_b32_e32 v27, 7, v48
	v_lshlrev_b32_e32 v26, 8, v32
	v_lshl_add_u32 v5, v5, 10, v60
	v_cndmask_b32_e64 v4, v4, v27, s[4:5]
	v_and_or_b32 v5, v26, s30, v5
	v_lshl_or_b32 v4, v4, 7, v5
	v_cvt_f32_f16_e32 v26, v4
.LBB308_967:                            ;   in Loop: Header=BB308_626 Depth=1
	s_or_b64 exec, exec, s[28:29]
.LBB308_968:                            ;   in Loop: Header=BB308_626 Depth=1
	s_or_b64 exec, exec, s[26:27]
.LBB308_969:                            ;   in Loop: Header=BB308_626 Depth=1
	s_or_b64 exec, exec, s[24:25]
	v_cmp_lt_u64_e64 s[4:5], s[12:13], v[44:45]
	s_and_saveexec_b64 s[24:25], s[4:5]
	s_cbranch_execz .LBB308_975
; %bb.970:                              ;   in Loop: Header=BB308_626 Depth=1
	v_lshrrev_b32_e32 v32, 24, v45
	v_cmp_ne_u32_e64 s[4:5], s7, v32
	v_bfrev_b32_e32 v23, 1
	s_and_saveexec_b64 s[26:27], s[4:5]
	s_cbranch_execz .LBB308_974
; %bb.971:                              ;   in Loop: Header=BB308_626 Depth=1
	v_and_b32_e32 v30, 0x7f, v32
	v_cmp_ne_u32_e64 s[4:5], s15, v30
	v_mov_b32_e32 v23, 0x7fc02000
	s_and_saveexec_b64 s[28:29], s[4:5]
	s_cbranch_execz .LBB308_973
; %bb.972:                              ;   in Loop: Header=BB308_626 Depth=1
	v_and_b32_e32 v4, 7, v32
	v_ffbh_u32_e32 v23, v4
	v_min_u32_e32 v23, 32, v23
	v_lshrrev_b32_e32 v5, 3, v30
	v_subrev_u32_e32 v27, 28, v23
	v_sub_u32_e32 v23, 29, v23
	v_cmp_gt_u32_e64 s[4:5], 8, v30
	v_lshlrev_b64 v[48:49], v27, v[32:33]
	v_cndmask_b32_e64 v5, v5, v23, s[4:5]
	v_and_b32_e32 v27, 7, v48
	v_lshlrev_b32_e32 v23, 8, v32
	v_lshl_add_u32 v5, v5, 10, v60
	v_cndmask_b32_e64 v4, v4, v27, s[4:5]
	v_and_or_b32 v5, v23, s30, v5
	v_lshl_or_b32 v4, v4, 7, v5
	v_cvt_f32_f16_e32 v23, v4
.LBB308_973:                            ;   in Loop: Header=BB308_626 Depth=1
	s_or_b64 exec, exec, s[28:29]
.LBB308_974:                            ;   in Loop: Header=BB308_626 Depth=1
	s_or_b64 exec, exec, s[26:27]
.LBB308_975:                            ;   in Loop: Header=BB308_626 Depth=1
	s_or_b64 exec, exec, s[24:25]
	v_pk_mul_f32 v[30:31], v[54:55], v[42:43] op_sel_hi:[0,1]
	v_pk_mul_f32 v[48:49], v[54:55], v[40:41] op_sel_hi:[0,1]
	v_cvt_f16_f32_e32 v4, v31
	v_cvt_f16_f32_e32 v5, v30
	;; [unrolled: 1-line block ×4, first 2 shown]
	v_fma_mixlo_f16 v26, v54, v26, 0
	v_pack_b32_f16 v4, v5, v4
	v_pack_b32_f16 v5, v30, v27
	v_perm_b32 v30, v5, v4, s34
	v_perm_b32 v31, v5, v4, s35
	v_fma_mixlo_f16 v4, v54, v22, 0
	v_lshlrev_b32_e32 v4, 16, v4
	v_fma_mixlo_f16 v5, v54, v16, 0
	v_or_b32_sdwa v16, v4, v5 dst_sel:DWORD dst_unused:UNUSED_PAD src0_sel:DWORD src1_sel:WORD_0
	v_fma_mixlo_f16 v4, v54, v23, 0
	v_lshlrev_b32_e32 v4, 16, v4
	v_or_b32_sdwa v22, v4, v26 dst_sel:DWORD dst_unused:UNUSED_PAD src0_sel:DWORD src1_sel:WORD_0
	s_and_saveexec_b64 s[24:25], vcc
	s_cbranch_execz .LBB308_977
; %bb.976:                              ;   in Loop: Header=BB308_626 Depth=1
	v_lshrrev_b32_e32 v4, 16, v31
	v_cmp_lt_i32_e64 s[4:5], v38, v7
	v_accvgpr_read_b32 v32, a8
	v_cndmask_b32_e64 v4, 0, v4, s[4:5]
	v_cmp_lt_i32_e64 s[4:5], v12, v32
	v_cndmask_b32_e64 v5, 0, v31, s[4:5]
	v_perm_b32 v31, v4, v5, s36
	v_lshrrev_b32_e32 v4, 16, v30
	v_cmp_lt_i32_e64 s[4:5], v35, v7
	v_cndmask_b32_e64 v4, 0, v4, s[4:5]
	v_cmp_lt_i32_e64 s[4:5], v39, v32
	v_cndmask_b32_e64 v5, 0, v30, s[4:5]
	v_perm_b32 v30, v4, v5, s36
	v_lshrrev_b32_e32 v4, 16, v16
	v_cmp_lt_i32_e64 s[4:5], v37, v7
	v_cndmask_b32_e64 v4, 0, v4, s[4:5]
	v_cmp_lt_i32_e64 s[4:5], v17, v32
	v_cndmask_b32_e64 v5, 0, v16, s[4:5]
	v_perm_b32 v16, v4, v5, s36
	v_lshrrev_b32_e32 v4, 16, v22
	v_cmp_lt_i32_e64 s[4:5], v62, v7
	v_cndmask_b32_e64 v4, 0, v4, s[4:5]
	v_cmp_lt_i32_e64 s[4:5], v61, v32
	v_cndmask_b32_e64 v5, 0, v26, s[4:5]
	v_perm_b32 v22, v4, v5, s36
.LBB308_977:                            ;   in Loop: Header=BB308_626 Depth=1
	s_or_b64 exec, exec, s[24:25]
	;;#ASMSTART
	v_pk_mul_f16 v4, v36, v31;

	;;#ASMEND
	;;#ASMSTART
	v_pk_mul_f16 v5, v34, v30;

	;;#ASMEND
	;; [unrolled: 4-line block ×4, first 2 shown]
	;;#ASMSTART
	v_pk_add_f16 v4, v4, v5;

	;;#ASMEND
	;;#ASMSTART
	v_pk_add_f16 v4, v4, v16;

	;;#ASMEND
	;;#ASMSTART
	v_pk_add_f16 v4, v4, v22;

	;;#ASMEND
	v_lshrrev_b32_e32 v5, 16, v4
	v_and_b32_e32 v4, 0xffff, v4
	;;#ASMSTART
	v_cvt_f32_f16 v57, v4;
	;;#ASMEND
	;;#ASMSTART
	v_cvt_f32_f16 v44, v5;
	;;#ASMEND
	v_accvgpr_read_b32 v4, a4
	flat_load_dwordx2 v[42:43], v[52:53] offset:3584
	v_accvgpr_read_b32 v5, a5
	flat_load_dword v52, v[4:5]
	v_mov_b32_e32 v40, 0
	v_mov_b32_e32 v54, 0
	s_waitcnt vmcnt(0) lgkmcnt(0)
	v_cmp_ne_u16_sdwa s[4:5], v42, v33 src0_sel:BYTE_0 src1_sel:DWORD
	s_and_saveexec_b64 s[24:25], s[4:5]
	s_cbranch_execz .LBB308_983
; %bb.978:                              ;   in Loop: Header=BB308_626 Depth=1
	v_cmp_ne_u16_sdwa s[4:5], v42, s7 src0_sel:BYTE_0 src1_sel:DWORD
	v_bfrev_b32_e32 v54, 1
	s_and_saveexec_b64 s[26:27], s[4:5]
	s_cbranch_execz .LBB308_982
; %bb.979:                              ;   in Loop: Header=BB308_626 Depth=1
	v_and_b32_e32 v16, 0x7f, v42
	v_cmp_ne_u32_e64 s[4:5], s15, v16
	v_mov_b32_e32 v54, 0x7fc02000
	s_and_saveexec_b64 s[28:29], s[4:5]
	s_cbranch_execz .LBB308_981
; %bb.980:                              ;   in Loop: Header=BB308_626 Depth=1
	v_and_b32_e32 v4, 7, v42
	v_ffbh_u32_e32 v4, v4
	v_min_u32_e32 v4, 32, v4
	v_lshrrev_b32_e32 v5, 3, v16
	v_subrev_u32_e32 v22, 28, v4
	v_sub_u32_e32 v4, 29, v4
	v_cmp_gt_u32_e64 s[4:5], 8, v16
	v_cndmask_b32_e64 v16, 0, v22, s[4:5]
	v_cndmask_b32_e64 v4, v5, v4, s[4:5]
	v_lshlrev_b64 v[22:23], v16, v[42:43]
	v_lshlrev_b32_e32 v16, 8, v42
	v_lshl_add_u32 v4, v4, 10, v60
	v_lshlrev_b32_e32 v5, 7, v22
	v_and_or_b32 v4, v16, s30, v4
	v_and_or_b32 v4, v5, s31, v4
	v_cvt_f32_f16_e32 v54, v4
.LBB308_981:                            ;   in Loop: Header=BB308_626 Depth=1
	s_or_b64 exec, exec, s[28:29]
.LBB308_982:                            ;   in Loop: Header=BB308_626 Depth=1
	s_or_b64 exec, exec, s[26:27]
.LBB308_983:                            ;   in Loop: Header=BB308_626 Depth=1
	s_or_b64 exec, exec, s[24:25]
	v_lshrrev_b16_e32 v32, 8, v42
	v_cmp_ne_u16_e64 s[4:5], 0, v32
	s_and_saveexec_b64 s[24:25], s[4:5]
	s_cbranch_execz .LBB308_989
; %bb.984:                              ;   in Loop: Header=BB308_626 Depth=1
	v_cmp_ne_u16_e64 s[4:5], s7, v32
	v_bfrev_b32_e32 v40, 1
	s_and_saveexec_b64 s[26:27], s[4:5]
	s_cbranch_execz .LBB308_988
; %bb.985:                              ;   in Loop: Header=BB308_626 Depth=1
	v_and_b32_e32 v16, 0x7f, v32
	v_cmp_ne_u32_e64 s[4:5], s15, v16
	v_mov_b32_e32 v40, 0x7fc02000
	s_and_saveexec_b64 s[28:29], s[4:5]
	s_cbranch_execz .LBB308_987
; %bb.986:                              ;   in Loop: Header=BB308_626 Depth=1
	v_and_b32_e32 v4, 7, v32
	v_ffbh_u32_e32 v22, v4
	v_min_u32_e32 v26, 32, v22
	v_subrev_u32_e32 v22, 28, v26
	v_lshlrev_b64 v[22:23], v22, v[32:33]
	v_lshrrev_b32_e32 v5, 3, v16
	v_sub_u32_e32 v23, 29, v26
	v_cmp_gt_u32_e64 s[4:5], 8, v16
	v_cndmask_b32_e64 v5, v5, v23, s[4:5]
	v_and_b32_e32 v22, 7, v22
	v_lshlrev_b32_e32 v16, 8, v32
	v_lshl_add_u32 v5, v5, 10, v60
	v_cndmask_b32_e64 v4, v4, v22, s[4:5]
	v_and_or_b32 v5, v16, s30, v5
	v_lshl_or_b32 v4, v4, 7, v5
	v_cvt_f32_f16_e32 v40, v4
.LBB308_987:                            ;   in Loop: Header=BB308_626 Depth=1
	s_or_b64 exec, exec, s[28:29]
.LBB308_988:                            ;   in Loop: Header=BB308_626 Depth=1
	s_or_b64 exec, exec, s[26:27]
.LBB308_989:                            ;   in Loop: Header=BB308_626 Depth=1
	s_or_b64 exec, exec, s[24:25]
	v_lshrrev_b32_e32 v32, 16, v42
	v_cmp_ne_u16_sdwa s[4:5], v32, v33 src0_sel:BYTE_0 src1_sel:DWORD
	v_mov_b32_e32 v41, 0
	v_mov_b32_e32 v55, 0
	s_and_saveexec_b64 s[24:25], s[4:5]
	s_cbranch_execz .LBB308_995
; %bb.990:                              ;   in Loop: Header=BB308_626 Depth=1
	v_cmp_ne_u16_sdwa s[4:5], v32, s7 src0_sel:BYTE_0 src1_sel:DWORD
	v_bfrev_b32_e32 v55, 1
	s_and_saveexec_b64 s[26:27], s[4:5]
	s_cbranch_execz .LBB308_994
; %bb.991:                              ;   in Loop: Header=BB308_626 Depth=1
	v_bfe_u32 v16, v42, 16, 7
	v_cmp_ne_u32_e64 s[4:5], s15, v16
	v_mov_b32_e32 v55, 0x7fc02000
	s_and_saveexec_b64 s[28:29], s[4:5]
	s_cbranch_execz .LBB308_993
; %bb.992:                              ;   in Loop: Header=BB308_626 Depth=1
	v_and_b32_e32 v4, 7, v32
	v_ffbh_u32_e32 v22, v4
	v_min_u32_e32 v26, 32, v22
	v_subrev_u32_e32 v22, 28, v26
	v_lshlrev_b64 v[22:23], v22, v[32:33]
	v_lshrrev_b32_e32 v5, 3, v16
	v_sub_u32_e32 v23, 29, v26
	v_cmp_gt_u32_e64 s[4:5], 8, v16
	v_cndmask_b32_e64 v5, v5, v23, s[4:5]
	v_and_b32_e32 v22, 7, v22
	v_lshlrev_b32_e32 v16, 8, v32
	v_lshl_add_u32 v5, v5, 10, v60
	v_cndmask_b32_e64 v4, v4, v22, s[4:5]
	v_and_or_b32 v5, v16, s30, v5
	v_lshl_or_b32 v4, v4, 7, v5
	v_cvt_f32_f16_e32 v55, v4
.LBB308_993:                            ;   in Loop: Header=BB308_626 Depth=1
	s_or_b64 exec, exec, s[28:29]
.LBB308_994:                            ;   in Loop: Header=BB308_626 Depth=1
	s_or_b64 exec, exec, s[26:27]
.LBB308_995:                            ;   in Loop: Header=BB308_626 Depth=1
	s_or_b64 exec, exec, s[24:25]
	v_cmp_lt_u32_e64 s[4:5], s13, v42
	s_and_saveexec_b64 s[24:25], s[4:5]
	s_cbranch_execz .LBB308_1001
; %bb.996:                              ;   in Loop: Header=BB308_626 Depth=1
	v_lshrrev_b32_e32 v32, 24, v42
	v_cmp_ne_u32_e64 s[4:5], s7, v32
	v_bfrev_b32_e32 v41, 1
	s_and_saveexec_b64 s[26:27], s[4:5]
	s_cbranch_execz .LBB308_1000
; %bb.997:                              ;   in Loop: Header=BB308_626 Depth=1
	v_and_b32_e32 v16, 0x7f, v32
	v_cmp_ne_u32_e64 s[4:5], s15, v16
	v_mov_b32_e32 v41, 0x7fc02000
	s_and_saveexec_b64 s[28:29], s[4:5]
	s_cbranch_execz .LBB308_999
; %bb.998:                              ;   in Loop: Header=BB308_626 Depth=1
	v_and_b32_e32 v4, 7, v32
	v_ffbh_u32_e32 v22, v4
	v_min_u32_e32 v26, 32, v22
	v_subrev_u32_e32 v22, 28, v26
	v_lshlrev_b64 v[22:23], v22, v[32:33]
	v_lshrrev_b32_e32 v5, 3, v16
	v_sub_u32_e32 v23, 29, v26
	v_cmp_gt_u32_e64 s[4:5], 8, v16
	v_cndmask_b32_e64 v5, v5, v23, s[4:5]
	v_and_b32_e32 v22, 7, v22
	v_lshlrev_b32_e32 v16, 8, v32
	v_lshl_add_u32 v5, v5, 10, v60
	v_cndmask_b32_e64 v4, v4, v22, s[4:5]
	v_and_or_b32 v5, v16, s30, v5
	v_lshl_or_b32 v4, v4, 7, v5
	v_cvt_f32_f16_e32 v41, v4
.LBB308_999:                            ;   in Loop: Header=BB308_626 Depth=1
	s_or_b64 exec, exec, s[28:29]
.LBB308_1000:                           ;   in Loop: Header=BB308_626 Depth=1
	s_or_b64 exec, exec, s[26:27]
.LBB308_1001:                           ;   in Loop: Header=BB308_626 Depth=1
	s_or_b64 exec, exec, s[24:25]
	v_mov_b32_e32 v32, v43
	v_cmp_ne_u16_sdwa s[4:5], v43, v33 src0_sel:BYTE_0 src1_sel:DWORD
	v_mov_b32_e32 v22, 0
	v_mov_b32_e32 v16, 0
	s_and_saveexec_b64 s[24:25], s[4:5]
	s_cbranch_execz .LBB308_1007
; %bb.1002:                             ;   in Loop: Header=BB308_626 Depth=1
	v_cmp_ne_u16_sdwa s[4:5], v43, s7 src0_sel:BYTE_0 src1_sel:DWORD
	v_bfrev_b32_e32 v16, 1
	s_and_saveexec_b64 s[26:27], s[4:5]
	s_cbranch_execz .LBB308_1006
; %bb.1003:                             ;   in Loop: Header=BB308_626 Depth=1
	v_and_b32_e32 v23, 0x7f, v43
	v_cmp_ne_u32_e64 s[4:5], s15, v23
	v_mov_b32_e32 v16, 0x7fc02000
	s_and_saveexec_b64 s[28:29], s[4:5]
	s_cbranch_execz .LBB308_1005
; %bb.1004:                             ;   in Loop: Header=BB308_626 Depth=1
	v_and_b32_e32 v4, 7, v43
	v_ffbh_u32_e32 v4, v4
	v_min_u32_e32 v4, 32, v4
	v_lshrrev_b32_e32 v5, 3, v23
	v_subrev_u32_e32 v16, 28, v4
	v_sub_u32_e32 v4, 29, v4
	v_cmp_gt_u32_e64 s[4:5], 8, v23
	v_cndmask_b32_e64 v16, 0, v16, s[4:5]
	v_cndmask_b32_e64 v4, v5, v4, s[4:5]
	v_lshlrev_b64 v[30:31], v16, v[32:33]
	v_lshlrev_b32_e32 v16, 8, v43
	v_lshl_add_u32 v4, v4, 10, v60
	v_lshlrev_b32_e32 v5, 7, v30
	v_and_or_b32 v4, v16, s30, v4
	v_and_or_b32 v4, v5, s31, v4
	v_cvt_f32_f16_e32 v16, v4
.LBB308_1005:                           ;   in Loop: Header=BB308_626 Depth=1
	s_or_b64 exec, exec, s[28:29]
.LBB308_1006:                           ;   in Loop: Header=BB308_626 Depth=1
	s_or_b64 exec, exec, s[26:27]
.LBB308_1007:                           ;   in Loop: Header=BB308_626 Depth=1
	s_or_b64 exec, exec, s[24:25]
	v_lshrrev_b16_e32 v32, 8, v32
	v_cmp_ne_u16_e64 s[4:5], 0, v32
	s_and_saveexec_b64 s[24:25], s[4:5]
	s_cbranch_execz .LBB308_1013
; %bb.1008:                             ;   in Loop: Header=BB308_626 Depth=1
	v_cmp_ne_u16_e64 s[4:5], s7, v32
	v_bfrev_b32_e32 v22, 1
	s_and_saveexec_b64 s[26:27], s[4:5]
	s_cbranch_execz .LBB308_1012
; %bb.1009:                             ;   in Loop: Header=BB308_626 Depth=1
	v_and_b32_e32 v23, 0x7f, v32
	v_cmp_ne_u32_e64 s[4:5], s15, v23
	v_mov_b32_e32 v22, 0x7fc02000
	s_and_saveexec_b64 s[28:29], s[4:5]
	s_cbranch_execz .LBB308_1011
; %bb.1010:                             ;   in Loop: Header=BB308_626 Depth=1
	v_and_b32_e32 v4, 7, v32
	v_ffbh_u32_e32 v22, v4
	v_min_u32_e32 v22, 32, v22
	v_lshrrev_b32_e32 v5, 3, v23
	v_subrev_u32_e32 v26, 28, v22
	v_sub_u32_e32 v22, 29, v22
	v_cmp_gt_u32_e64 s[4:5], 8, v23
	v_lshlrev_b64 v[30:31], v26, v[32:33]
	v_cndmask_b32_e64 v5, v5, v22, s[4:5]
	v_and_b32_e32 v26, 7, v30
	v_lshlrev_b32_e32 v22, 8, v32
	v_lshl_add_u32 v5, v5, 10, v60
	v_cndmask_b32_e64 v4, v4, v26, s[4:5]
	v_and_or_b32 v5, v22, s30, v5
	v_lshl_or_b32 v4, v4, 7, v5
	v_cvt_f32_f16_e32 v22, v4
.LBB308_1011:                           ;   in Loop: Header=BB308_626 Depth=1
	s_or_b64 exec, exec, s[28:29]
.LBB308_1012:                           ;   in Loop: Header=BB308_626 Depth=1
	s_or_b64 exec, exec, s[26:27]
.LBB308_1013:                           ;   in Loop: Header=BB308_626 Depth=1
	s_or_b64 exec, exec, s[24:25]
	v_lshrrev_b32_e32 v32, 16, v43
	v_cmp_ne_u16_sdwa s[4:5], v32, v33 src0_sel:BYTE_0 src1_sel:DWORD
	v_mov_b32_e32 v23, 0
	v_mov_b32_e32 v26, 0
	s_and_saveexec_b64 s[24:25], s[4:5]
	s_cbranch_execz .LBB308_1019
; %bb.1014:                             ;   in Loop: Header=BB308_626 Depth=1
	v_cmp_ne_u16_sdwa s[4:5], v32, s7 src0_sel:BYTE_0 src1_sel:DWORD
	v_bfrev_b32_e32 v26, 1
	s_and_saveexec_b64 s[26:27], s[4:5]
	s_cbranch_execz .LBB308_1018
; %bb.1015:                             ;   in Loop: Header=BB308_626 Depth=1
	v_bfe_u32 v30, v43, 16, 7
	v_cmp_ne_u32_e64 s[4:5], s15, v30
	v_mov_b32_e32 v26, 0x7fc02000
	s_and_saveexec_b64 s[28:29], s[4:5]
	s_cbranch_execz .LBB308_1017
; %bb.1016:                             ;   in Loop: Header=BB308_626 Depth=1
	v_and_b32_e32 v4, 7, v32
	v_ffbh_u32_e32 v26, v4
	v_min_u32_e32 v26, 32, v26
	v_lshrrev_b32_e32 v5, 3, v30
	v_subrev_u32_e32 v27, 28, v26
	v_sub_u32_e32 v26, 29, v26
	v_cmp_gt_u32_e64 s[4:5], 8, v30
	v_lshlrev_b64 v[48:49], v27, v[32:33]
	v_cndmask_b32_e64 v5, v5, v26, s[4:5]
	v_and_b32_e32 v27, 7, v48
	v_lshlrev_b32_e32 v26, 8, v32
	v_lshl_add_u32 v5, v5, 10, v60
	v_cndmask_b32_e64 v4, v4, v27, s[4:5]
	v_and_or_b32 v5, v26, s30, v5
	v_lshl_or_b32 v4, v4, 7, v5
	v_cvt_f32_f16_e32 v26, v4
.LBB308_1017:                           ;   in Loop: Header=BB308_626 Depth=1
	s_or_b64 exec, exec, s[28:29]
.LBB308_1018:                           ;   in Loop: Header=BB308_626 Depth=1
	s_or_b64 exec, exec, s[26:27]
.LBB308_1019:                           ;   in Loop: Header=BB308_626 Depth=1
	s_or_b64 exec, exec, s[24:25]
	v_cmp_lt_u64_e64 s[4:5], s[12:13], v[42:43]
	s_and_saveexec_b64 s[24:25], s[4:5]
	s_cbranch_execz .LBB308_1025
; %bb.1020:                             ;   in Loop: Header=BB308_626 Depth=1
	v_lshrrev_b32_e32 v32, 24, v43
	v_cmp_ne_u32_e64 s[4:5], s7, v32
	v_bfrev_b32_e32 v23, 1
	s_and_saveexec_b64 s[26:27], s[4:5]
	s_cbranch_execz .LBB308_1024
; %bb.1021:                             ;   in Loop: Header=BB308_626 Depth=1
	v_and_b32_e32 v30, 0x7f, v32
	v_cmp_ne_u32_e64 s[4:5], s15, v30
	v_mov_b32_e32 v23, 0x7fc02000
	s_and_saveexec_b64 s[28:29], s[4:5]
	s_cbranch_execz .LBB308_1023
; %bb.1022:                             ;   in Loop: Header=BB308_626 Depth=1
	v_and_b32_e32 v4, 7, v32
	v_ffbh_u32_e32 v23, v4
	v_min_u32_e32 v23, 32, v23
	v_lshrrev_b32_e32 v5, 3, v30
	v_subrev_u32_e32 v27, 28, v23
	v_sub_u32_e32 v23, 29, v23
	v_cmp_gt_u32_e64 s[4:5], 8, v30
	v_lshlrev_b64 v[48:49], v27, v[32:33]
	v_cndmask_b32_e64 v5, v5, v23, s[4:5]
	v_and_b32_e32 v27, 7, v48
	v_lshlrev_b32_e32 v23, 8, v32
	v_lshl_add_u32 v5, v5, 10, v60
	v_cndmask_b32_e64 v4, v4, v27, s[4:5]
	v_and_or_b32 v5, v23, s30, v5
	v_lshl_or_b32 v4, v4, 7, v5
	v_cvt_f32_f16_e32 v23, v4
.LBB308_1023:                           ;   in Loop: Header=BB308_626 Depth=1
	s_or_b64 exec, exec, s[28:29]
.LBB308_1024:                           ;   in Loop: Header=BB308_626 Depth=1
	s_or_b64 exec, exec, s[26:27]
.LBB308_1025:                           ;   in Loop: Header=BB308_626 Depth=1
	s_or_b64 exec, exec, s[24:25]
	v_pk_mul_f32 v[30:31], v[52:53], v[40:41] op_sel_hi:[0,1]
	v_pk_mul_f32 v[48:49], v[52:53], v[54:55] op_sel_hi:[0,1]
	v_cvt_f16_f32_e32 v4, v31
	v_cvt_f16_f32_e32 v5, v30
	;; [unrolled: 1-line block ×4, first 2 shown]
	v_fma_mixlo_f16 v26, v52, v26, 0
	v_pack_b32_f16 v4, v5, v4
	v_pack_b32_f16 v5, v30, v27
	v_perm_b32 v30, v5, v4, s34
	v_perm_b32 v31, v5, v4, s35
	v_fma_mixlo_f16 v4, v52, v22, 0
	v_lshlrev_b32_e32 v4, 16, v4
	v_fma_mixlo_f16 v5, v52, v16, 0
	v_or_b32_sdwa v16, v4, v5 dst_sel:DWORD dst_unused:UNUSED_PAD src0_sel:DWORD src1_sel:WORD_0
	v_fma_mixlo_f16 v4, v52, v23, 0
	v_lshlrev_b32_e32 v4, 16, v4
	v_or_b32_sdwa v22, v4, v26 dst_sel:DWORD dst_unused:UNUSED_PAD src0_sel:DWORD src1_sel:WORD_0
	s_and_saveexec_b64 s[24:25], vcc
	s_cbranch_execz .LBB308_1027
; %bb.1026:                             ;   in Loop: Header=BB308_626 Depth=1
	v_lshrrev_b32_e32 v4, 16, v31
	v_cmp_lt_i32_e64 s[4:5], v38, v7
	v_accvgpr_read_b32 v32, a8
	v_cndmask_b32_e64 v4, 0, v4, s[4:5]
	v_cmp_lt_i32_e64 s[4:5], v12, v32
	v_cndmask_b32_e64 v5, 0, v31, s[4:5]
	v_perm_b32 v31, v4, v5, s36
	v_lshrrev_b32_e32 v4, 16, v30
	v_cmp_lt_i32_e64 s[4:5], v35, v7
	v_cndmask_b32_e64 v4, 0, v4, s[4:5]
	v_cmp_lt_i32_e64 s[4:5], v39, v32
	v_cndmask_b32_e64 v5, 0, v30, s[4:5]
	v_perm_b32 v30, v4, v5, s36
	v_lshrrev_b32_e32 v4, 16, v16
	v_cmp_lt_i32_e64 s[4:5], v37, v7
	;; [unrolled: 6-line block ×3, first 2 shown]
	v_cndmask_b32_e64 v4, 0, v4, s[4:5]
	v_cmp_lt_i32_e64 s[4:5], v61, v32
	v_cndmask_b32_e64 v5, 0, v26, s[4:5]
	v_perm_b32 v22, v4, v5, s36
.LBB308_1027:                           ;   in Loop: Header=BB308_626 Depth=1
	s_or_b64 exec, exec, s[24:25]
	;;#ASMSTART
	v_pk_mul_f16 v4, v36, v31;

	;;#ASMEND
	;;#ASMSTART
	v_pk_mul_f16 v5, v34, v30;

	;;#ASMEND
	;; [unrolled: 4-line block ×4, first 2 shown]
	;;#ASMSTART
	v_pk_add_f16 v4, v4, v5;

	;;#ASMEND
	;;#ASMSTART
	v_pk_add_f16 v4, v4, v16;

	;;#ASMEND
	;; [unrolled: 4-line block ×3, first 2 shown]
	v_lshrrev_b32_e32 v5, 16, v4
	v_and_b32_e32 v4, 0xffff, v4
	;;#ASMSTART
	v_cvt_f32_f16 v31, v4;
	;;#ASMEND
	v_accvgpr_read_b32 v4, a26
	v_add_co_u32_e64 v22, s[4:5], v20, v4
	;;#ASMSTART
	v_cvt_f32_f16 v45, v5;
	;;#ASMEND
	v_addc_co_u32_e64 v23, s[4:5], 0, v21, s[4:5]
	v_accvgpr_read_b32 v4, a4
	flat_load_dwordx2 v[42:43], v[22:23]
	v_accvgpr_read_b32 v5, a5
	flat_load_dword v52, v[4:5]
	v_mov_b32_e32 v40, 0
	v_mov_b32_e32 v54, 0
	s_waitcnt vmcnt(0) lgkmcnt(0)
	v_cmp_ne_u16_sdwa s[4:5], v42, v33 src0_sel:BYTE_0 src1_sel:DWORD
	s_and_saveexec_b64 s[24:25], s[4:5]
	s_cbranch_execz .LBB308_1033
; %bb.1028:                             ;   in Loop: Header=BB308_626 Depth=1
	v_cmp_ne_u16_sdwa s[4:5], v42, s7 src0_sel:BYTE_0 src1_sel:DWORD
	v_bfrev_b32_e32 v54, 1
	s_and_saveexec_b64 s[26:27], s[4:5]
	s_cbranch_execz .LBB308_1032
; %bb.1029:                             ;   in Loop: Header=BB308_626 Depth=1
	v_and_b32_e32 v16, 0x7f, v42
	v_cmp_ne_u32_e64 s[4:5], s15, v16
	v_mov_b32_e32 v54, 0x7fc02000
	s_and_saveexec_b64 s[28:29], s[4:5]
	s_cbranch_execz .LBB308_1031
; %bb.1030:                             ;   in Loop: Header=BB308_626 Depth=1
	v_and_b32_e32 v4, 7, v42
	v_ffbh_u32_e32 v4, v4
	v_min_u32_e32 v4, 32, v4
	v_lshrrev_b32_e32 v5, 3, v16
	v_subrev_u32_e32 v22, 28, v4
	v_sub_u32_e32 v4, 29, v4
	v_cmp_gt_u32_e64 s[4:5], 8, v16
	v_cndmask_b32_e64 v16, 0, v22, s[4:5]
	v_cndmask_b32_e64 v4, v5, v4, s[4:5]
	v_lshlrev_b64 v[22:23], v16, v[42:43]
	v_lshlrev_b32_e32 v16, 8, v42
	v_lshl_add_u32 v4, v4, 10, v60
	v_lshlrev_b32_e32 v5, 7, v22
	v_and_or_b32 v4, v16, s30, v4
	v_and_or_b32 v4, v5, s31, v4
	v_cvt_f32_f16_e32 v54, v4
.LBB308_1031:                           ;   in Loop: Header=BB308_626 Depth=1
	s_or_b64 exec, exec, s[28:29]
.LBB308_1032:                           ;   in Loop: Header=BB308_626 Depth=1
	s_or_b64 exec, exec, s[26:27]
.LBB308_1033:                           ;   in Loop: Header=BB308_626 Depth=1
	s_or_b64 exec, exec, s[24:25]
	v_lshrrev_b16_e32 v32, 8, v42
	v_cmp_ne_u16_e64 s[4:5], 0, v32
	s_and_saveexec_b64 s[24:25], s[4:5]
	s_cbranch_execz .LBB308_1039
; %bb.1034:                             ;   in Loop: Header=BB308_626 Depth=1
	v_cmp_ne_u16_e64 s[4:5], s7, v32
	v_bfrev_b32_e32 v40, 1
	s_and_saveexec_b64 s[26:27], s[4:5]
	s_cbranch_execz .LBB308_1038
; %bb.1035:                             ;   in Loop: Header=BB308_626 Depth=1
	v_and_b32_e32 v16, 0x7f, v32
	v_cmp_ne_u32_e64 s[4:5], s15, v16
	v_mov_b32_e32 v40, 0x7fc02000
	s_and_saveexec_b64 s[28:29], s[4:5]
	s_cbranch_execz .LBB308_1037
; %bb.1036:                             ;   in Loop: Header=BB308_626 Depth=1
	v_and_b32_e32 v4, 7, v32
	v_ffbh_u32_e32 v22, v4
	v_min_u32_e32 v26, 32, v22
	v_subrev_u32_e32 v22, 28, v26
	v_lshlrev_b64 v[22:23], v22, v[32:33]
	v_lshrrev_b32_e32 v5, 3, v16
	v_sub_u32_e32 v23, 29, v26
	v_cmp_gt_u32_e64 s[4:5], 8, v16
	v_cndmask_b32_e64 v5, v5, v23, s[4:5]
	v_and_b32_e32 v22, 7, v22
	v_lshlrev_b32_e32 v16, 8, v32
	v_lshl_add_u32 v5, v5, 10, v60
	v_cndmask_b32_e64 v4, v4, v22, s[4:5]
	v_and_or_b32 v5, v16, s30, v5
	v_lshl_or_b32 v4, v4, 7, v5
	v_cvt_f32_f16_e32 v40, v4
.LBB308_1037:                           ;   in Loop: Header=BB308_626 Depth=1
	s_or_b64 exec, exec, s[28:29]
.LBB308_1038:                           ;   in Loop: Header=BB308_626 Depth=1
	s_or_b64 exec, exec, s[26:27]
.LBB308_1039:                           ;   in Loop: Header=BB308_626 Depth=1
	s_or_b64 exec, exec, s[24:25]
	v_lshrrev_b32_e32 v32, 16, v42
	v_cmp_ne_u16_sdwa s[4:5], v32, v33 src0_sel:BYTE_0 src1_sel:DWORD
	v_mov_b32_e32 v41, 0
	v_mov_b32_e32 v55, 0
	s_and_saveexec_b64 s[24:25], s[4:5]
	s_cbranch_execz .LBB308_1045
; %bb.1040:                             ;   in Loop: Header=BB308_626 Depth=1
	v_cmp_ne_u16_sdwa s[4:5], v32, s7 src0_sel:BYTE_0 src1_sel:DWORD
	v_bfrev_b32_e32 v55, 1
	s_and_saveexec_b64 s[26:27], s[4:5]
	s_cbranch_execz .LBB308_1044
; %bb.1041:                             ;   in Loop: Header=BB308_626 Depth=1
	v_bfe_u32 v16, v42, 16, 7
	v_cmp_ne_u32_e64 s[4:5], s15, v16
	v_mov_b32_e32 v55, 0x7fc02000
	s_and_saveexec_b64 s[28:29], s[4:5]
	s_cbranch_execz .LBB308_1043
; %bb.1042:                             ;   in Loop: Header=BB308_626 Depth=1
	v_and_b32_e32 v4, 7, v32
	v_ffbh_u32_e32 v22, v4
	v_min_u32_e32 v26, 32, v22
	v_subrev_u32_e32 v22, 28, v26
	v_lshlrev_b64 v[22:23], v22, v[32:33]
	v_lshrrev_b32_e32 v5, 3, v16
	v_sub_u32_e32 v23, 29, v26
	v_cmp_gt_u32_e64 s[4:5], 8, v16
	v_cndmask_b32_e64 v5, v5, v23, s[4:5]
	v_and_b32_e32 v22, 7, v22
	v_lshlrev_b32_e32 v16, 8, v32
	v_lshl_add_u32 v5, v5, 10, v60
	v_cndmask_b32_e64 v4, v4, v22, s[4:5]
	v_and_or_b32 v5, v16, s30, v5
	v_lshl_or_b32 v4, v4, 7, v5
	v_cvt_f32_f16_e32 v55, v4
.LBB308_1043:                           ;   in Loop: Header=BB308_626 Depth=1
	s_or_b64 exec, exec, s[28:29]
.LBB308_1044:                           ;   in Loop: Header=BB308_626 Depth=1
	s_or_b64 exec, exec, s[26:27]
.LBB308_1045:                           ;   in Loop: Header=BB308_626 Depth=1
	s_or_b64 exec, exec, s[24:25]
	v_cmp_lt_u32_e64 s[4:5], s13, v42
	s_and_saveexec_b64 s[24:25], s[4:5]
	s_cbranch_execz .LBB308_1051
; %bb.1046:                             ;   in Loop: Header=BB308_626 Depth=1
	v_lshrrev_b32_e32 v32, 24, v42
	v_cmp_ne_u32_e64 s[4:5], s7, v32
	v_bfrev_b32_e32 v41, 1
	s_and_saveexec_b64 s[26:27], s[4:5]
	s_cbranch_execz .LBB308_1050
; %bb.1047:                             ;   in Loop: Header=BB308_626 Depth=1
	v_and_b32_e32 v16, 0x7f, v32
	v_cmp_ne_u32_e64 s[4:5], s15, v16
	v_mov_b32_e32 v41, 0x7fc02000
	s_and_saveexec_b64 s[28:29], s[4:5]
	s_cbranch_execz .LBB308_1049
; %bb.1048:                             ;   in Loop: Header=BB308_626 Depth=1
	v_and_b32_e32 v4, 7, v32
	v_ffbh_u32_e32 v22, v4
	v_min_u32_e32 v26, 32, v22
	v_subrev_u32_e32 v22, 28, v26
	v_lshlrev_b64 v[22:23], v22, v[32:33]
	v_lshrrev_b32_e32 v5, 3, v16
	v_sub_u32_e32 v23, 29, v26
	v_cmp_gt_u32_e64 s[4:5], 8, v16
	v_cndmask_b32_e64 v5, v5, v23, s[4:5]
	v_and_b32_e32 v22, 7, v22
	v_lshlrev_b32_e32 v16, 8, v32
	v_lshl_add_u32 v5, v5, 10, v60
	v_cndmask_b32_e64 v4, v4, v22, s[4:5]
	v_and_or_b32 v5, v16, s30, v5
	v_lshl_or_b32 v4, v4, 7, v5
	v_cvt_f32_f16_e32 v41, v4
.LBB308_1049:                           ;   in Loop: Header=BB308_626 Depth=1
	s_or_b64 exec, exec, s[28:29]
.LBB308_1050:                           ;   in Loop: Header=BB308_626 Depth=1
	s_or_b64 exec, exec, s[26:27]
.LBB308_1051:                           ;   in Loop: Header=BB308_626 Depth=1
	s_or_b64 exec, exec, s[24:25]
	v_mov_b32_e32 v32, v43
	v_cmp_ne_u16_sdwa s[4:5], v43, v33 src0_sel:BYTE_0 src1_sel:DWORD
	v_mov_b32_e32 v22, 0
	v_mov_b32_e32 v16, 0
	s_and_saveexec_b64 s[24:25], s[4:5]
	s_cbranch_execz .LBB308_1057
; %bb.1052:                             ;   in Loop: Header=BB308_626 Depth=1
	v_cmp_ne_u16_sdwa s[4:5], v43, s7 src0_sel:BYTE_0 src1_sel:DWORD
	v_bfrev_b32_e32 v16, 1
	s_and_saveexec_b64 s[26:27], s[4:5]
	s_cbranch_execz .LBB308_1056
; %bb.1053:                             ;   in Loop: Header=BB308_626 Depth=1
	v_and_b32_e32 v23, 0x7f, v43
	v_cmp_ne_u32_e64 s[4:5], s15, v23
	v_mov_b32_e32 v16, 0x7fc02000
	s_and_saveexec_b64 s[28:29], s[4:5]
	s_cbranch_execz .LBB308_1055
; %bb.1054:                             ;   in Loop: Header=BB308_626 Depth=1
	v_and_b32_e32 v4, 7, v43
	v_ffbh_u32_e32 v4, v4
	v_min_u32_e32 v4, 32, v4
	v_lshrrev_b32_e32 v5, 3, v23
	v_subrev_u32_e32 v16, 28, v4
	v_sub_u32_e32 v4, 29, v4
	v_cmp_gt_u32_e64 s[4:5], 8, v23
	v_cndmask_b32_e64 v16, 0, v16, s[4:5]
	v_cndmask_b32_e64 v4, v5, v4, s[4:5]
	v_lshlrev_b64 v[48:49], v16, v[32:33]
	v_lshlrev_b32_e32 v16, 8, v43
	v_lshl_add_u32 v4, v4, 10, v60
	v_lshlrev_b32_e32 v5, 7, v48
	v_and_or_b32 v4, v16, s30, v4
	v_and_or_b32 v4, v5, s31, v4
	v_cvt_f32_f16_e32 v16, v4
.LBB308_1055:                           ;   in Loop: Header=BB308_626 Depth=1
	s_or_b64 exec, exec, s[28:29]
.LBB308_1056:                           ;   in Loop: Header=BB308_626 Depth=1
	s_or_b64 exec, exec, s[26:27]
.LBB308_1057:                           ;   in Loop: Header=BB308_626 Depth=1
	s_or_b64 exec, exec, s[24:25]
	v_lshrrev_b16_e32 v32, 8, v32
	v_cmp_ne_u16_e64 s[4:5], 0, v32
	s_and_saveexec_b64 s[24:25], s[4:5]
	s_cbranch_execz .LBB308_1063
; %bb.1058:                             ;   in Loop: Header=BB308_626 Depth=1
	v_cmp_ne_u16_e64 s[4:5], s7, v32
	v_bfrev_b32_e32 v22, 1
	s_and_saveexec_b64 s[26:27], s[4:5]
	s_cbranch_execz .LBB308_1062
; %bb.1059:                             ;   in Loop: Header=BB308_626 Depth=1
	v_and_b32_e32 v23, 0x7f, v32
	v_cmp_ne_u32_e64 s[4:5], s15, v23
	v_mov_b32_e32 v22, 0x7fc02000
	s_and_saveexec_b64 s[28:29], s[4:5]
	s_cbranch_execz .LBB308_1061
; %bb.1060:                             ;   in Loop: Header=BB308_626 Depth=1
	v_and_b32_e32 v4, 7, v32
	v_ffbh_u32_e32 v22, v4
	v_min_u32_e32 v22, 32, v22
	v_lshrrev_b32_e32 v5, 3, v23
	v_subrev_u32_e32 v26, 28, v22
	v_sub_u32_e32 v22, 29, v22
	v_cmp_gt_u32_e64 s[4:5], 8, v23
	v_lshlrev_b64 v[48:49], v26, v[32:33]
	v_cndmask_b32_e64 v5, v5, v22, s[4:5]
	v_and_b32_e32 v26, 7, v48
	v_lshlrev_b32_e32 v22, 8, v32
	v_lshl_add_u32 v5, v5, 10, v60
	v_cndmask_b32_e64 v4, v4, v26, s[4:5]
	v_and_or_b32 v5, v22, s30, v5
	v_lshl_or_b32 v4, v4, 7, v5
	v_cvt_f32_f16_e32 v22, v4
.LBB308_1061:                           ;   in Loop: Header=BB308_626 Depth=1
	s_or_b64 exec, exec, s[28:29]
.LBB308_1062:                           ;   in Loop: Header=BB308_626 Depth=1
	s_or_b64 exec, exec, s[26:27]
.LBB308_1063:                           ;   in Loop: Header=BB308_626 Depth=1
	s_or_b64 exec, exec, s[24:25]
	v_lshrrev_b32_e32 v32, 16, v43
	v_cmp_ne_u16_sdwa s[4:5], v32, v33 src0_sel:BYTE_0 src1_sel:DWORD
	v_mov_b32_e32 v23, 0
	v_mov_b32_e32 v26, 0
	s_and_saveexec_b64 s[24:25], s[4:5]
	s_cbranch_execz .LBB308_1069
; %bb.1064:                             ;   in Loop: Header=BB308_626 Depth=1
	v_cmp_ne_u16_sdwa s[4:5], v32, s7 src0_sel:BYTE_0 src1_sel:DWORD
	v_bfrev_b32_e32 v26, 1
	s_and_saveexec_b64 s[26:27], s[4:5]
	s_cbranch_execz .LBB308_1068
; %bb.1065:                             ;   in Loop: Header=BB308_626 Depth=1
	v_bfe_u32 v30, v43, 16, 7
	v_cmp_ne_u32_e64 s[4:5], s15, v30
	v_mov_b32_e32 v26, 0x7fc02000
	s_and_saveexec_b64 s[28:29], s[4:5]
	s_cbranch_execz .LBB308_1067
; %bb.1066:                             ;   in Loop: Header=BB308_626 Depth=1
	v_and_b32_e32 v4, 7, v32
	v_ffbh_u32_e32 v26, v4
	v_min_u32_e32 v26, 32, v26
	v_lshrrev_b32_e32 v5, 3, v30
	v_subrev_u32_e32 v27, 28, v26
	v_sub_u32_e32 v26, 29, v26
	v_cmp_gt_u32_e64 s[4:5], 8, v30
	v_lshlrev_b64 v[48:49], v27, v[32:33]
	v_cndmask_b32_e64 v5, v5, v26, s[4:5]
	v_and_b32_e32 v27, 7, v48
	v_lshlrev_b32_e32 v26, 8, v32
	v_lshl_add_u32 v5, v5, 10, v60
	v_cndmask_b32_e64 v4, v4, v27, s[4:5]
	v_and_or_b32 v5, v26, s30, v5
	v_lshl_or_b32 v4, v4, 7, v5
	v_cvt_f32_f16_e32 v26, v4
.LBB308_1067:                           ;   in Loop: Header=BB308_626 Depth=1
	s_or_b64 exec, exec, s[28:29]
.LBB308_1068:                           ;   in Loop: Header=BB308_626 Depth=1
	s_or_b64 exec, exec, s[26:27]
.LBB308_1069:                           ;   in Loop: Header=BB308_626 Depth=1
	s_or_b64 exec, exec, s[24:25]
	v_cmp_lt_u64_e64 s[4:5], s[12:13], v[42:43]
	s_and_saveexec_b64 s[24:25], s[4:5]
	s_cbranch_execz .LBB308_1075
; %bb.1070:                             ;   in Loop: Header=BB308_626 Depth=1
	v_lshrrev_b32_e32 v32, 24, v43
	v_cmp_ne_u32_e64 s[4:5], s7, v32
	v_bfrev_b32_e32 v23, 1
	s_and_saveexec_b64 s[26:27], s[4:5]
	s_cbranch_execz .LBB308_1074
; %bb.1071:                             ;   in Loop: Header=BB308_626 Depth=1
	v_and_b32_e32 v30, 0x7f, v32
	v_cmp_ne_u32_e64 s[4:5], s15, v30
	v_mov_b32_e32 v23, 0x7fc02000
	s_and_saveexec_b64 s[28:29], s[4:5]
	s_cbranch_execz .LBB308_1073
; %bb.1072:                             ;   in Loop: Header=BB308_626 Depth=1
	v_and_b32_e32 v4, 7, v32
	v_ffbh_u32_e32 v23, v4
	v_min_u32_e32 v23, 32, v23
	v_lshrrev_b32_e32 v5, 3, v30
	v_subrev_u32_e32 v27, 28, v23
	v_sub_u32_e32 v23, 29, v23
	v_cmp_gt_u32_e64 s[4:5], 8, v30
	v_lshlrev_b64 v[48:49], v27, v[32:33]
	v_cndmask_b32_e64 v5, v5, v23, s[4:5]
	v_and_b32_e32 v27, 7, v48
	v_lshlrev_b32_e32 v23, 8, v32
	v_lshl_add_u32 v5, v5, 10, v60
	v_cndmask_b32_e64 v4, v4, v27, s[4:5]
	v_and_or_b32 v5, v23, s30, v5
	v_lshl_or_b32 v4, v4, 7, v5
	v_cvt_f32_f16_e32 v23, v4
.LBB308_1073:                           ;   in Loop: Header=BB308_626 Depth=1
	s_or_b64 exec, exec, s[28:29]
.LBB308_1074:                           ;   in Loop: Header=BB308_626 Depth=1
	s_or_b64 exec, exec, s[26:27]
.LBB308_1075:                           ;   in Loop: Header=BB308_626 Depth=1
	s_or_b64 exec, exec, s[24:25]
	v_pk_mul_f32 v[48:49], v[52:53], v[40:41] op_sel_hi:[0,1]
	v_pk_mul_f32 v[54:55], v[52:53], v[54:55] op_sel_hi:[0,1]
	v_cvt_f16_f32_e32 v4, v49
	v_cvt_f16_f32_e32 v5, v48
	;; [unrolled: 1-line block ×4, first 2 shown]
	v_fma_mixlo_f16 v26, v52, v26, 0
	v_pack_b32_f16 v4, v5, v4
	v_pack_b32_f16 v5, v30, v27
	v_perm_b32 v30, v5, v4, s34
	v_perm_b32 v32, v5, v4, s35
	v_fma_mixlo_f16 v4, v52, v22, 0
	v_lshlrev_b32_e32 v4, 16, v4
	v_fma_mixlo_f16 v5, v52, v16, 0
	v_or_b32_sdwa v16, v4, v5 dst_sel:DWORD dst_unused:UNUSED_PAD src0_sel:DWORD src1_sel:WORD_0
	v_fma_mixlo_f16 v4, v52, v23, 0
	v_lshlrev_b32_e32 v4, 16, v4
	v_or_b32_sdwa v22, v4, v26 dst_sel:DWORD dst_unused:UNUSED_PAD src0_sel:DWORD src1_sel:WORD_0
	s_and_saveexec_b64 s[24:25], vcc
	s_cbranch_execz .LBB308_1077
; %bb.1076:                             ;   in Loop: Header=BB308_626 Depth=1
	v_lshrrev_b32_e32 v4, 16, v32
	v_cmp_lt_i32_e64 s[4:5], v38, v7
	v_accvgpr_read_b32 v48, a8
	v_cndmask_b32_e64 v4, 0, v4, s[4:5]
	v_cmp_lt_i32_e64 s[4:5], v12, v48
	v_cndmask_b32_e64 v5, 0, v32, s[4:5]
	v_perm_b32 v32, v4, v5, s36
	v_lshrrev_b32_e32 v4, 16, v30
	v_cmp_lt_i32_e64 s[4:5], v35, v7
	v_cndmask_b32_e64 v4, 0, v4, s[4:5]
	v_cmp_lt_i32_e64 s[4:5], v39, v48
	v_cndmask_b32_e64 v5, 0, v30, s[4:5]
	v_perm_b32 v30, v4, v5, s36
	v_lshrrev_b32_e32 v4, 16, v16
	v_cmp_lt_i32_e64 s[4:5], v37, v7
	;; [unrolled: 6-line block ×3, first 2 shown]
	v_cndmask_b32_e64 v4, 0, v4, s[4:5]
	v_cmp_lt_i32_e64 s[4:5], v61, v48
	v_cndmask_b32_e64 v5, 0, v26, s[4:5]
	v_perm_b32 v22, v4, v5, s36
.LBB308_1077:                           ;   in Loop: Header=BB308_626 Depth=1
	s_or_b64 exec, exec, s[24:25]
	;;#ASMSTART
	v_pk_mul_f16 v4, v36, v32;

	;;#ASMEND
	;;#ASMSTART
	v_pk_mul_f16 v5, v34, v30;

	;;#ASMEND
	;; [unrolled: 4-line block ×4, first 2 shown]
	;;#ASMSTART
	v_pk_add_f16 v4, v4, v5;

	;;#ASMEND
	;;#ASMSTART
	v_pk_add_f16 v4, v4, v16;

	;;#ASMEND
	;; [unrolled: 4-line block ×3, first 2 shown]
	v_lshrrev_b32_e32 v5, 16, v4
	v_and_b32_e32 v4, 0xffff, v4
	;;#ASMSTART
	v_cvt_f32_f16 v48, v4;
	;;#ASMEND
	v_accvgpr_read_b32 v4, a30
	v_add_co_u32_e64 v22, s[4:5], v20, v4
	;;#ASMSTART
	v_cvt_f32_f16 v30, v5;
	;;#ASMEND
	v_addc_co_u32_e64 v23, s[4:5], 0, v21, s[4:5]
	v_accvgpr_read_b32 v4, a4
	flat_load_dwordx2 v[42:43], v[22:23]
	v_accvgpr_read_b32 v5, a5
	flat_load_dword v52, v[4:5]
	v_mov_b32_e32 v40, 0
	v_mov_b32_e32 v54, 0
	s_waitcnt vmcnt(0) lgkmcnt(0)
	v_cmp_ne_u16_sdwa s[4:5], v42, v33 src0_sel:BYTE_0 src1_sel:DWORD
	s_and_saveexec_b64 s[24:25], s[4:5]
	s_cbranch_execz .LBB308_1083
; %bb.1078:                             ;   in Loop: Header=BB308_626 Depth=1
	v_cmp_ne_u16_sdwa s[4:5], v42, s7 src0_sel:BYTE_0 src1_sel:DWORD
	v_bfrev_b32_e32 v54, 1
	s_and_saveexec_b64 s[26:27], s[4:5]
	s_cbranch_execz .LBB308_1082
; %bb.1079:                             ;   in Loop: Header=BB308_626 Depth=1
	v_and_b32_e32 v16, 0x7f, v42
	v_cmp_ne_u32_e64 s[4:5], s15, v16
	v_mov_b32_e32 v54, 0x7fc02000
	s_and_saveexec_b64 s[28:29], s[4:5]
	s_cbranch_execz .LBB308_1081
; %bb.1080:                             ;   in Loop: Header=BB308_626 Depth=1
	v_and_b32_e32 v4, 7, v42
	v_ffbh_u32_e32 v4, v4
	v_min_u32_e32 v4, 32, v4
	v_lshrrev_b32_e32 v5, 3, v16
	v_subrev_u32_e32 v22, 28, v4
	v_sub_u32_e32 v4, 29, v4
	v_cmp_gt_u32_e64 s[4:5], 8, v16
	v_cndmask_b32_e64 v16, 0, v22, s[4:5]
	v_cndmask_b32_e64 v4, v5, v4, s[4:5]
	v_lshlrev_b64 v[22:23], v16, v[42:43]
	v_lshlrev_b32_e32 v16, 8, v42
	v_lshl_add_u32 v4, v4, 10, v60
	v_lshlrev_b32_e32 v5, 7, v22
	v_and_or_b32 v4, v16, s30, v4
	v_and_or_b32 v4, v5, s31, v4
	v_cvt_f32_f16_e32 v54, v4
.LBB308_1081:                           ;   in Loop: Header=BB308_626 Depth=1
	s_or_b64 exec, exec, s[28:29]
.LBB308_1082:                           ;   in Loop: Header=BB308_626 Depth=1
	s_or_b64 exec, exec, s[26:27]
.LBB308_1083:                           ;   in Loop: Header=BB308_626 Depth=1
	s_or_b64 exec, exec, s[24:25]
	v_lshrrev_b16_e32 v32, 8, v42
	v_cmp_ne_u16_e64 s[4:5], 0, v32
	s_and_saveexec_b64 s[24:25], s[4:5]
	s_cbranch_execz .LBB308_1089
; %bb.1084:                             ;   in Loop: Header=BB308_626 Depth=1
	v_cmp_ne_u16_e64 s[4:5], s7, v32
	v_bfrev_b32_e32 v40, 1
	s_and_saveexec_b64 s[26:27], s[4:5]
	s_cbranch_execz .LBB308_1088
; %bb.1085:                             ;   in Loop: Header=BB308_626 Depth=1
	v_and_b32_e32 v16, 0x7f, v32
	v_cmp_ne_u32_e64 s[4:5], s15, v16
	v_mov_b32_e32 v40, 0x7fc02000
	s_and_saveexec_b64 s[28:29], s[4:5]
	s_cbranch_execz .LBB308_1087
; %bb.1086:                             ;   in Loop: Header=BB308_626 Depth=1
	v_and_b32_e32 v4, 7, v32
	v_ffbh_u32_e32 v22, v4
	v_min_u32_e32 v26, 32, v22
	v_subrev_u32_e32 v22, 28, v26
	v_lshlrev_b64 v[22:23], v22, v[32:33]
	v_lshrrev_b32_e32 v5, 3, v16
	v_sub_u32_e32 v23, 29, v26
	v_cmp_gt_u32_e64 s[4:5], 8, v16
	v_cndmask_b32_e64 v5, v5, v23, s[4:5]
	v_and_b32_e32 v22, 7, v22
	v_lshlrev_b32_e32 v16, 8, v32
	v_lshl_add_u32 v5, v5, 10, v60
	v_cndmask_b32_e64 v4, v4, v22, s[4:5]
	v_and_or_b32 v5, v16, s30, v5
	v_lshl_or_b32 v4, v4, 7, v5
	v_cvt_f32_f16_e32 v40, v4
.LBB308_1087:                           ;   in Loop: Header=BB308_626 Depth=1
	s_or_b64 exec, exec, s[28:29]
.LBB308_1088:                           ;   in Loop: Header=BB308_626 Depth=1
	s_or_b64 exec, exec, s[26:27]
.LBB308_1089:                           ;   in Loop: Header=BB308_626 Depth=1
	s_or_b64 exec, exec, s[24:25]
	v_lshrrev_b32_e32 v32, 16, v42
	v_cmp_ne_u16_sdwa s[4:5], v32, v33 src0_sel:BYTE_0 src1_sel:DWORD
	v_mov_b32_e32 v41, 0
	v_mov_b32_e32 v55, 0
	s_and_saveexec_b64 s[24:25], s[4:5]
	s_cbranch_execz .LBB308_1095
; %bb.1090:                             ;   in Loop: Header=BB308_626 Depth=1
	v_cmp_ne_u16_sdwa s[4:5], v32, s7 src0_sel:BYTE_0 src1_sel:DWORD
	v_bfrev_b32_e32 v55, 1
	s_and_saveexec_b64 s[26:27], s[4:5]
	s_cbranch_execz .LBB308_1094
; %bb.1091:                             ;   in Loop: Header=BB308_626 Depth=1
	v_bfe_u32 v16, v42, 16, 7
	v_cmp_ne_u32_e64 s[4:5], s15, v16
	v_mov_b32_e32 v55, 0x7fc02000
	s_and_saveexec_b64 s[28:29], s[4:5]
	s_cbranch_execz .LBB308_1093
; %bb.1092:                             ;   in Loop: Header=BB308_626 Depth=1
	v_and_b32_e32 v4, 7, v32
	v_ffbh_u32_e32 v22, v4
	v_min_u32_e32 v26, 32, v22
	v_subrev_u32_e32 v22, 28, v26
	v_lshlrev_b64 v[22:23], v22, v[32:33]
	v_lshrrev_b32_e32 v5, 3, v16
	v_sub_u32_e32 v23, 29, v26
	v_cmp_gt_u32_e64 s[4:5], 8, v16
	v_cndmask_b32_e64 v5, v5, v23, s[4:5]
	v_and_b32_e32 v22, 7, v22
	v_lshlrev_b32_e32 v16, 8, v32
	v_lshl_add_u32 v5, v5, 10, v60
	v_cndmask_b32_e64 v4, v4, v22, s[4:5]
	v_and_or_b32 v5, v16, s30, v5
	v_lshl_or_b32 v4, v4, 7, v5
	v_cvt_f32_f16_e32 v55, v4
.LBB308_1093:                           ;   in Loop: Header=BB308_626 Depth=1
	s_or_b64 exec, exec, s[28:29]
.LBB308_1094:                           ;   in Loop: Header=BB308_626 Depth=1
	s_or_b64 exec, exec, s[26:27]
.LBB308_1095:                           ;   in Loop: Header=BB308_626 Depth=1
	s_or_b64 exec, exec, s[24:25]
	v_cmp_lt_u32_e64 s[4:5], s13, v42
	s_and_saveexec_b64 s[24:25], s[4:5]
	s_cbranch_execz .LBB308_1101
; %bb.1096:                             ;   in Loop: Header=BB308_626 Depth=1
	v_lshrrev_b32_e32 v32, 24, v42
	v_cmp_ne_u32_e64 s[4:5], s7, v32
	v_bfrev_b32_e32 v41, 1
	s_and_saveexec_b64 s[26:27], s[4:5]
	s_cbranch_execz .LBB308_1100
; %bb.1097:                             ;   in Loop: Header=BB308_626 Depth=1
	v_and_b32_e32 v16, 0x7f, v32
	v_cmp_ne_u32_e64 s[4:5], s15, v16
	v_mov_b32_e32 v41, 0x7fc02000
	s_and_saveexec_b64 s[28:29], s[4:5]
	s_cbranch_execz .LBB308_1099
; %bb.1098:                             ;   in Loop: Header=BB308_626 Depth=1
	v_and_b32_e32 v4, 7, v32
	v_ffbh_u32_e32 v22, v4
	v_min_u32_e32 v26, 32, v22
	v_subrev_u32_e32 v22, 28, v26
	v_lshlrev_b64 v[22:23], v22, v[32:33]
	v_lshrrev_b32_e32 v5, 3, v16
	v_sub_u32_e32 v23, 29, v26
	v_cmp_gt_u32_e64 s[4:5], 8, v16
	v_cndmask_b32_e64 v5, v5, v23, s[4:5]
	v_and_b32_e32 v22, 7, v22
	v_lshlrev_b32_e32 v16, 8, v32
	v_lshl_add_u32 v5, v5, 10, v60
	v_cndmask_b32_e64 v4, v4, v22, s[4:5]
	v_and_or_b32 v5, v16, s30, v5
	v_lshl_or_b32 v4, v4, 7, v5
	v_cvt_f32_f16_e32 v41, v4
.LBB308_1099:                           ;   in Loop: Header=BB308_626 Depth=1
	s_or_b64 exec, exec, s[28:29]
.LBB308_1100:                           ;   in Loop: Header=BB308_626 Depth=1
	s_or_b64 exec, exec, s[26:27]
.LBB308_1101:                           ;   in Loop: Header=BB308_626 Depth=1
	s_or_b64 exec, exec, s[24:25]
	v_mov_b32_e32 v32, v43
	v_cmp_ne_u16_sdwa s[4:5], v43, v33 src0_sel:BYTE_0 src1_sel:DWORD
	v_mov_b32_e32 v22, 0
	v_mov_b32_e32 v16, 0
	s_and_saveexec_b64 s[24:25], s[4:5]
	s_cbranch_execz .LBB308_1107
; %bb.1102:                             ;   in Loop: Header=BB308_626 Depth=1
	v_cmp_ne_u16_sdwa s[4:5], v43, s7 src0_sel:BYTE_0 src1_sel:DWORD
	v_bfrev_b32_e32 v16, 1
	s_and_saveexec_b64 s[26:27], s[4:5]
	s_cbranch_execz .LBB308_1106
; %bb.1103:                             ;   in Loop: Header=BB308_626 Depth=1
	v_and_b32_e32 v23, 0x7f, v43
	v_cmp_ne_u32_e64 s[4:5], s15, v23
	v_mov_b32_e32 v16, 0x7fc02000
	s_and_saveexec_b64 s[28:29], s[4:5]
	s_cbranch_execz .LBB308_1105
; %bb.1104:                             ;   in Loop: Header=BB308_626 Depth=1
	v_and_b32_e32 v4, 7, v43
	v_ffbh_u32_e32 v4, v4
	v_min_u32_e32 v4, 32, v4
	v_lshrrev_b32_e32 v5, 3, v23
	v_subrev_u32_e32 v16, 28, v4
	v_sub_u32_e32 v4, 29, v4
	v_cmp_gt_u32_e64 s[4:5], 8, v23
	v_cndmask_b32_e64 v16, 0, v16, s[4:5]
	v_cndmask_b32_e64 v4, v5, v4, s[4:5]
	v_lshlrev_b64 v[26:27], v16, v[32:33]
	v_lshlrev_b32_e32 v16, 8, v43
	v_lshl_add_u32 v4, v4, 10, v60
	v_lshlrev_b32_e32 v5, 7, v26
	v_and_or_b32 v4, v16, s30, v4
	v_and_or_b32 v4, v5, s31, v4
	v_cvt_f32_f16_e32 v16, v4
.LBB308_1105:                           ;   in Loop: Header=BB308_626 Depth=1
	s_or_b64 exec, exec, s[28:29]
.LBB308_1106:                           ;   in Loop: Header=BB308_626 Depth=1
	s_or_b64 exec, exec, s[26:27]
.LBB308_1107:                           ;   in Loop: Header=BB308_626 Depth=1
	s_or_b64 exec, exec, s[24:25]
	v_lshrrev_b16_e32 v32, 8, v32
	v_cmp_ne_u16_e64 s[4:5], 0, v32
	s_and_saveexec_b64 s[24:25], s[4:5]
	s_cbranch_execz .LBB308_1113
; %bb.1108:                             ;   in Loop: Header=BB308_626 Depth=1
	v_cmp_ne_u16_e64 s[4:5], s7, v32
	v_bfrev_b32_e32 v22, 1
	s_and_saveexec_b64 s[26:27], s[4:5]
	s_cbranch_execz .LBB308_1112
; %bb.1109:                             ;   in Loop: Header=BB308_626 Depth=1
	v_and_b32_e32 v23, 0x7f, v32
	v_cmp_ne_u32_e64 s[4:5], s15, v23
	v_mov_b32_e32 v22, 0x7fc02000
	s_and_saveexec_b64 s[28:29], s[4:5]
	s_cbranch_execz .LBB308_1111
; %bb.1110:                             ;   in Loop: Header=BB308_626 Depth=1
	v_and_b32_e32 v4, 7, v32
	v_ffbh_u32_e32 v22, v4
	v_min_u32_e32 v22, 32, v22
	v_lshrrev_b32_e32 v5, 3, v23
	v_subrev_u32_e32 v26, 28, v22
	v_sub_u32_e32 v22, 29, v22
	v_cmp_gt_u32_e64 s[4:5], 8, v23
	v_lshlrev_b64 v[26:27], v26, v[32:33]
	v_cndmask_b32_e64 v5, v5, v22, s[4:5]
	v_and_b32_e32 v26, 7, v26
	v_lshlrev_b32_e32 v22, 8, v32
	v_lshl_add_u32 v5, v5, 10, v60
	v_cndmask_b32_e64 v4, v4, v26, s[4:5]
	v_and_or_b32 v5, v22, s30, v5
	v_lshl_or_b32 v4, v4, 7, v5
	v_cvt_f32_f16_e32 v22, v4
.LBB308_1111:                           ;   in Loop: Header=BB308_626 Depth=1
	s_or_b64 exec, exec, s[28:29]
.LBB308_1112:                           ;   in Loop: Header=BB308_626 Depth=1
	s_or_b64 exec, exec, s[26:27]
.LBB308_1113:                           ;   in Loop: Header=BB308_626 Depth=1
	s_or_b64 exec, exec, s[24:25]
	v_lshrrev_b32_e32 v32, 16, v43
	v_cmp_ne_u16_sdwa s[4:5], v32, v33 src0_sel:BYTE_0 src1_sel:DWORD
	v_mov_b32_e32 v23, 0
	v_mov_b32_e32 v26, 0
	s_and_saveexec_b64 s[24:25], s[4:5]
	s_cbranch_execz .LBB308_1119
; %bb.1114:                             ;   in Loop: Header=BB308_626 Depth=1
	v_cmp_ne_u16_sdwa s[4:5], v32, s7 src0_sel:BYTE_0 src1_sel:DWORD
	v_bfrev_b32_e32 v26, 1
	s_and_saveexec_b64 s[26:27], s[4:5]
	s_cbranch_execz .LBB308_1118
; %bb.1115:                             ;   in Loop: Header=BB308_626 Depth=1
	v_bfe_u32 v53, v43, 16, 7
	v_cmp_ne_u32_e64 s[4:5], s15, v53
	v_mov_b32_e32 v26, 0x7fc02000
	s_and_saveexec_b64 s[28:29], s[4:5]
	s_cbranch_execz .LBB308_1117
; %bb.1116:                             ;   in Loop: Header=BB308_626 Depth=1
	v_and_b32_e32 v4, 7, v32
	v_ffbh_u32_e32 v26, v4
	v_min_u32_e32 v49, 32, v26
	v_subrev_u32_e32 v26, 28, v49
	v_lshlrev_b64 v[26:27], v26, v[32:33]
	v_lshrrev_b32_e32 v5, 3, v53
	v_sub_u32_e32 v27, 29, v49
	v_cmp_gt_u32_e64 s[4:5], 8, v53
	v_and_b32_e32 v26, 7, v26
	v_cndmask_b32_e64 v5, v5, v27, s[4:5]
	v_cndmask_b32_e64 v4, v4, v26, s[4:5]
	v_lshlrev_b32_e32 v26, 8, v32
	v_lshl_add_u32 v5, v5, 10, v60
	v_and_or_b32 v5, v26, s30, v5
	v_lshl_or_b32 v4, v4, 7, v5
	v_cvt_f32_f16_e32 v26, v4
.LBB308_1117:                           ;   in Loop: Header=BB308_626 Depth=1
	s_or_b64 exec, exec, s[28:29]
.LBB308_1118:                           ;   in Loop: Header=BB308_626 Depth=1
	s_or_b64 exec, exec, s[26:27]
.LBB308_1119:                           ;   in Loop: Header=BB308_626 Depth=1
	s_or_b64 exec, exec, s[24:25]
	v_cmp_lt_u64_e64 s[4:5], s[12:13], v[42:43]
	s_and_saveexec_b64 s[24:25], s[4:5]
	s_cbranch_execz .LBB308_1125
; %bb.1120:                             ;   in Loop: Header=BB308_626 Depth=1
	v_lshrrev_b32_e32 v32, 24, v43
	v_cmp_ne_u32_e64 s[4:5], s7, v32
	v_bfrev_b32_e32 v23, 1
	s_and_saveexec_b64 s[26:27], s[4:5]
	s_cbranch_execz .LBB308_1124
; %bb.1121:                             ;   in Loop: Header=BB308_626 Depth=1
	v_and_b32_e32 v53, 0x7f, v32
	v_cmp_ne_u32_e64 s[4:5], s15, v53
	v_mov_b32_e32 v23, 0x7fc02000
	s_and_saveexec_b64 s[28:29], s[4:5]
	s_cbranch_execz .LBB308_1123
; %bb.1122:                             ;   in Loop: Header=BB308_626 Depth=1
	v_and_b32_e32 v4, 7, v32
	v_ffbh_u32_e32 v23, v4
	v_min_u32_e32 v23, 32, v23
	v_lshrrev_b32_e32 v5, 3, v53
	v_subrev_u32_e32 v27, 28, v23
	v_sub_u32_e32 v23, 29, v23
	v_cmp_gt_u32_e64 s[4:5], 8, v53
	v_lshlrev_b64 v[42:43], v27, v[32:33]
	v_cndmask_b32_e64 v5, v5, v23, s[4:5]
	v_and_b32_e32 v27, 7, v42
	v_lshlrev_b32_e32 v23, 8, v32
	v_lshl_add_u32 v5, v5, 10, v60
	v_cndmask_b32_e64 v4, v4, v27, s[4:5]
	v_and_or_b32 v5, v23, s30, v5
	v_lshl_or_b32 v4, v4, 7, v5
	v_cvt_f32_f16_e32 v23, v4
.LBB308_1123:                           ;   in Loop: Header=BB308_626 Depth=1
	s_or_b64 exec, exec, s[28:29]
.LBB308_1124:                           ;   in Loop: Header=BB308_626 Depth=1
	s_or_b64 exec, exec, s[26:27]
.LBB308_1125:                           ;   in Loop: Header=BB308_626 Depth=1
	s_or_b64 exec, exec, s[24:25]
	v_pk_mul_f32 v[40:41], v[52:53], v[40:41] op_sel_hi:[0,1]
	v_pk_mul_f32 v[54:55], v[52:53], v[54:55] op_sel_hi:[0,1]
	v_cvt_f16_f32_e32 v4, v41
	v_cvt_f16_f32_e32 v5, v40
	;; [unrolled: 1-line block ×4, first 2 shown]
	v_fma_mixlo_f16 v26, v52, v26, 0
	v_pack_b32_f16 v4, v5, v4
	v_pack_b32_f16 v5, v32, v27
	v_perm_b32 v32, v5, v4, s34
	v_perm_b32 v53, v5, v4, s35
	v_fma_mixlo_f16 v4, v52, v22, 0
	v_lshlrev_b32_e32 v4, 16, v4
	v_fma_mixlo_f16 v5, v52, v16, 0
	v_or_b32_sdwa v16, v4, v5 dst_sel:DWORD dst_unused:UNUSED_PAD src0_sel:DWORD src1_sel:WORD_0
	v_fma_mixlo_f16 v4, v52, v23, 0
	v_lshlrev_b32_e32 v4, 16, v4
	v_or_b32_sdwa v22, v4, v26 dst_sel:DWORD dst_unused:UNUSED_PAD src0_sel:DWORD src1_sel:WORD_0
	s_and_saveexec_b64 s[24:25], vcc
	s_cbranch_execz .LBB308_1127
; %bb.1126:                             ;   in Loop: Header=BB308_626 Depth=1
	v_lshrrev_b32_e32 v4, 16, v53
	v_cmp_lt_i32_e64 s[4:5], v38, v7
	v_accvgpr_read_b32 v52, a8
	v_cndmask_b32_e64 v4, 0, v4, s[4:5]
	v_cmp_lt_i32_e64 s[4:5], v12, v52
	v_cndmask_b32_e64 v5, 0, v53, s[4:5]
	v_perm_b32 v53, v4, v5, s36
	v_lshrrev_b32_e32 v4, 16, v32
	v_cmp_lt_i32_e64 s[4:5], v35, v7
	v_cndmask_b32_e64 v4, 0, v4, s[4:5]
	v_cmp_lt_i32_e64 s[4:5], v39, v52
	v_cndmask_b32_e64 v5, 0, v32, s[4:5]
	v_perm_b32 v32, v4, v5, s36
	v_lshrrev_b32_e32 v4, 16, v16
	v_cmp_lt_i32_e64 s[4:5], v37, v7
	;; [unrolled: 6-line block ×3, first 2 shown]
	v_cndmask_b32_e64 v4, 0, v4, s[4:5]
	v_cmp_lt_i32_e64 s[4:5], v61, v52
	v_cndmask_b32_e64 v5, 0, v26, s[4:5]
	v_perm_b32 v22, v4, v5, s36
.LBB308_1127:                           ;   in Loop: Header=BB308_626 Depth=1
	s_or_b64 exec, exec, s[24:25]
	;;#ASMSTART
	v_pk_mul_f16 v4, v36, v53;

	;;#ASMEND
	;;#ASMSTART
	v_pk_mul_f16 v5, v34, v32;

	;;#ASMEND
	;; [unrolled: 4-line block ×4, first 2 shown]
	;;#ASMSTART
	v_pk_add_f16 v4, v4, v5;

	;;#ASMEND
	;;#ASMSTART
	v_pk_add_f16 v4, v4, v16;

	;;#ASMEND
	;; [unrolled: 4-line block ×3, first 2 shown]
	v_lshrrev_b32_e32 v5, 16, v4
	v_and_b32_e32 v4, 0xffff, v4
	;;#ASMSTART
	v_cvt_f32_f16 v23, v4;
	;;#ASMEND
	v_accvgpr_read_b32 v4, a32
	v_add_co_u32_e64 v52, s[4:5], v20, v4
	;;#ASMSTART
	v_cvt_f32_f16 v26, v5;
	;;#ASMEND
	v_addc_co_u32_e64 v53, s[4:5], 0, v21, s[4:5]
	v_accvgpr_read_b32 v4, a4
	flat_load_dwordx2 v[42:43], v[52:53]
	v_accvgpr_read_b32 v5, a5
	flat_load_dword v52, v[4:5]
	v_mov_b32_e32 v40, 0
	v_mov_b32_e32 v54, 0
	s_waitcnt vmcnt(0) lgkmcnt(0)
	v_cmp_ne_u16_sdwa s[4:5], v42, v33 src0_sel:BYTE_0 src1_sel:DWORD
	s_and_saveexec_b64 s[24:25], s[4:5]
	s_cbranch_execz .LBB308_1133
; %bb.1128:                             ;   in Loop: Header=BB308_626 Depth=1
	v_cmp_ne_u16_sdwa s[4:5], v42, s7 src0_sel:BYTE_0 src1_sel:DWORD
	v_bfrev_b32_e32 v54, 1
	s_and_saveexec_b64 s[26:27], s[4:5]
	s_cbranch_execz .LBB308_1132
; %bb.1129:                             ;   in Loop: Header=BB308_626 Depth=1
	v_and_b32_e32 v16, 0x7f, v42
	v_cmp_ne_u32_e64 s[4:5], s15, v16
	v_mov_b32_e32 v54, 0x7fc02000
	s_and_saveexec_b64 s[28:29], s[4:5]
	s_cbranch_execz .LBB308_1131
; %bb.1130:                             ;   in Loop: Header=BB308_626 Depth=1
	v_and_b32_e32 v4, 7, v42
	v_ffbh_u32_e32 v4, v4
	v_min_u32_e32 v4, 32, v4
	v_lshrrev_b32_e32 v5, 3, v16
	v_subrev_u32_e32 v22, 28, v4
	v_sub_u32_e32 v4, 29, v4
	v_cmp_gt_u32_e64 s[4:5], 8, v16
	v_cndmask_b32_e64 v16, 0, v22, s[4:5]
	v_cndmask_b32_e64 v4, v5, v4, s[4:5]
	v_lshlrev_b64 v[54:55], v16, v[42:43]
	v_lshlrev_b32_e32 v16, 8, v42
	v_lshl_add_u32 v4, v4, 10, v60
	v_lshlrev_b32_e32 v5, 7, v54
	v_and_or_b32 v4, v16, s30, v4
	v_and_or_b32 v4, v5, s31, v4
	v_cvt_f32_f16_e32 v54, v4
.LBB308_1131:                           ;   in Loop: Header=BB308_626 Depth=1
	s_or_b64 exec, exec, s[28:29]
.LBB308_1132:                           ;   in Loop: Header=BB308_626 Depth=1
	s_or_b64 exec, exec, s[26:27]
.LBB308_1133:                           ;   in Loop: Header=BB308_626 Depth=1
	s_or_b64 exec, exec, s[24:25]
	v_lshrrev_b16_e32 v32, 8, v42
	v_cmp_ne_u16_e64 s[4:5], 0, v32
	s_and_saveexec_b64 s[24:25], s[4:5]
	s_cbranch_execz .LBB308_1139
; %bb.1134:                             ;   in Loop: Header=BB308_626 Depth=1
	v_cmp_ne_u16_e64 s[4:5], s7, v32
	v_bfrev_b32_e32 v40, 1
	s_and_saveexec_b64 s[26:27], s[4:5]
	s_cbranch_execz .LBB308_1138
; %bb.1135:                             ;   in Loop: Header=BB308_626 Depth=1
	v_and_b32_e32 v16, 0x7f, v32
	v_cmp_ne_u32_e64 s[4:5], s15, v16
	v_mov_b32_e32 v40, 0x7fc02000
	s_and_saveexec_b64 s[28:29], s[4:5]
	s_cbranch_execz .LBB308_1137
; %bb.1136:                             ;   in Loop: Header=BB308_626 Depth=1
	v_and_b32_e32 v4, 7, v32
	v_ffbh_u32_e32 v22, v4
	v_min_u32_e32 v22, 32, v22
	v_lshrrev_b32_e32 v5, 3, v16
	v_subrev_u32_e32 v27, 28, v22
	v_sub_u32_e32 v22, 29, v22
	v_cmp_gt_u32_e64 s[4:5], 8, v16
	v_lshlrev_b64 v[40:41], v27, v[32:33]
	v_cndmask_b32_e64 v5, v5, v22, s[4:5]
	v_and_b32_e32 v27, 7, v40
	v_lshlrev_b32_e32 v16, 8, v32
	v_lshl_add_u32 v5, v5, 10, v60
	v_cndmask_b32_e64 v4, v4, v27, s[4:5]
	v_and_or_b32 v5, v16, s30, v5
	v_lshl_or_b32 v4, v4, 7, v5
	v_cvt_f32_f16_e32 v40, v4
.LBB308_1137:                           ;   in Loop: Header=BB308_626 Depth=1
	s_or_b64 exec, exec, s[28:29]
.LBB308_1138:                           ;   in Loop: Header=BB308_626 Depth=1
	s_or_b64 exec, exec, s[26:27]
.LBB308_1139:                           ;   in Loop: Header=BB308_626 Depth=1
	s_or_b64 exec, exec, s[24:25]
	v_lshrrev_b32_e32 v32, 16, v42
	v_cmp_ne_u16_sdwa s[4:5], v32, v33 src0_sel:BYTE_0 src1_sel:DWORD
	v_mov_b32_e32 v41, 0
	v_mov_b32_e32 v55, 0
	s_and_saveexec_b64 s[24:25], s[4:5]
	s_cbranch_execz .LBB308_1145
; %bb.1140:                             ;   in Loop: Header=BB308_626 Depth=1
	v_cmp_ne_u16_sdwa s[4:5], v32, s7 src0_sel:BYTE_0 src1_sel:DWORD
	v_bfrev_b32_e32 v55, 1
	s_and_saveexec_b64 s[26:27], s[4:5]
	s_cbranch_execz .LBB308_1144
; %bb.1141:                             ;   in Loop: Header=BB308_626 Depth=1
	v_bfe_u32 v16, v42, 16, 7
	v_cmp_ne_u32_e64 s[4:5], s15, v16
	v_mov_b32_e32 v55, 0x7fc02000
	s_and_saveexec_b64 s[28:29], s[4:5]
	s_cbranch_execz .LBB308_1143
; %bb.1142:                             ;   in Loop: Header=BB308_626 Depth=1
	v_and_b32_e32 v22, 7, v32
	v_ffbh_u32_e32 v4, v22
	v_min_u32_e32 v49, 32, v4
	v_subrev_u32_e32 v4, 28, v49
	v_lshlrev_b64 v[4:5], v4, v[32:33]
	v_lshrrev_b32_e32 v27, 3, v16
	v_sub_u32_e32 v5, 29, v49
	v_cmp_gt_u32_e64 s[4:5], 8, v16
	v_cndmask_b32_e64 v5, v27, v5, s[4:5]
	v_and_b32_e32 v4, 7, v4
	v_lshlrev_b32_e32 v16, 8, v32
	v_lshl_add_u32 v5, v5, 10, v60
	v_cndmask_b32_e64 v4, v22, v4, s[4:5]
	v_and_or_b32 v5, v16, s30, v5
	v_lshl_or_b32 v4, v4, 7, v5
	v_cvt_f32_f16_e32 v55, v4
.LBB308_1143:                           ;   in Loop: Header=BB308_626 Depth=1
	s_or_b64 exec, exec, s[28:29]
.LBB308_1144:                           ;   in Loop: Header=BB308_626 Depth=1
	s_or_b64 exec, exec, s[26:27]
.LBB308_1145:                           ;   in Loop: Header=BB308_626 Depth=1
	s_or_b64 exec, exec, s[24:25]
	v_cmp_lt_u32_e64 s[4:5], s13, v42
	s_and_saveexec_b64 s[24:25], s[4:5]
	s_cbranch_execz .LBB308_1151
; %bb.1146:                             ;   in Loop: Header=BB308_626 Depth=1
	v_lshrrev_b32_e32 v32, 24, v42
	v_cmp_ne_u32_e64 s[4:5], s7, v32
	v_bfrev_b32_e32 v41, 1
	s_and_saveexec_b64 s[26:27], s[4:5]
	s_cbranch_execz .LBB308_1150
; %bb.1147:                             ;   in Loop: Header=BB308_626 Depth=1
	v_and_b32_e32 v16, 0x7f, v32
	v_cmp_ne_u32_e64 s[4:5], s15, v16
	v_mov_b32_e32 v41, 0x7fc02000
	s_and_saveexec_b64 s[28:29], s[4:5]
	s_cbranch_execz .LBB308_1149
; %bb.1148:                             ;   in Loop: Header=BB308_626 Depth=1
	v_and_b32_e32 v22, 7, v32
	v_ffbh_u32_e32 v4, v22
	v_min_u32_e32 v49, 32, v4
	v_subrev_u32_e32 v4, 28, v49
	v_lshlrev_b64 v[4:5], v4, v[32:33]
	v_lshrrev_b32_e32 v27, 3, v16
	v_sub_u32_e32 v5, 29, v49
	v_cmp_gt_u32_e64 s[4:5], 8, v16
	v_cndmask_b32_e64 v5, v27, v5, s[4:5]
	v_and_b32_e32 v4, 7, v4
	v_lshlrev_b32_e32 v16, 8, v32
	v_lshl_add_u32 v5, v5, 10, v60
	v_cndmask_b32_e64 v4, v22, v4, s[4:5]
	v_and_or_b32 v5, v16, s30, v5
	v_lshl_or_b32 v4, v4, 7, v5
	v_cvt_f32_f16_e32 v41, v4
.LBB308_1149:                           ;   in Loop: Header=BB308_626 Depth=1
	s_or_b64 exec, exec, s[28:29]
.LBB308_1150:                           ;   in Loop: Header=BB308_626 Depth=1
	s_or_b64 exec, exec, s[26:27]
.LBB308_1151:                           ;   in Loop: Header=BB308_626 Depth=1
	s_or_b64 exec, exec, s[24:25]
	v_mov_b32_e32 v32, v43
	v_cmp_ne_u16_sdwa s[4:5], v43, v33 src0_sel:BYTE_0 src1_sel:DWORD
	v_mov_b32_e32 v22, 0
	v_mov_b32_e32 v16, 0
	s_and_saveexec_b64 s[24:25], s[4:5]
	s_cbranch_execz .LBB308_1157
; %bb.1152:                             ;   in Loop: Header=BB308_626 Depth=1
	v_cmp_ne_u16_sdwa s[4:5], v43, s7 src0_sel:BYTE_0 src1_sel:DWORD
	v_bfrev_b32_e32 v16, 1
	s_and_saveexec_b64 s[26:27], s[4:5]
	s_cbranch_execz .LBB308_1156
; %bb.1153:                             ;   in Loop: Header=BB308_626 Depth=1
	v_and_b32_e32 v49, 0x7f, v43
	v_cmp_ne_u32_e64 s[4:5], s15, v49
	v_mov_b32_e32 v16, 0x7fc02000
	s_and_saveexec_b64 s[28:29], s[4:5]
	s_cbranch_execz .LBB308_1155
; %bb.1154:                             ;   in Loop: Header=BB308_626 Depth=1
	v_and_b32_e32 v4, 7, v43
	v_ffbh_u32_e32 v4, v4
	v_min_u32_e32 v4, 32, v4
	v_subrev_u32_e32 v5, 28, v4
	v_cmp_gt_u32_e64 s[4:5], 8, v49
	v_sub_u32_e32 v27, 29, v4
	v_cndmask_b32_e64 v4, 0, v5, s[4:5]
	v_lshrrev_b32_e32 v16, 3, v49
	v_lshlrev_b64 v[4:5], v4, v[32:33]
	v_cndmask_b32_e64 v5, v16, v27, s[4:5]
	v_lshlrev_b32_e32 v16, 8, v43
	v_lshl_add_u32 v5, v5, 10, v60
	v_lshlrev_b32_e32 v4, 7, v4
	v_and_or_b32 v5, v16, s30, v5
	v_and_or_b32 v4, v4, s31, v5
	v_cvt_f32_f16_e32 v16, v4
.LBB308_1155:                           ;   in Loop: Header=BB308_626 Depth=1
	s_or_b64 exec, exec, s[28:29]
.LBB308_1156:                           ;   in Loop: Header=BB308_626 Depth=1
	s_or_b64 exec, exec, s[26:27]
.LBB308_1157:                           ;   in Loop: Header=BB308_626 Depth=1
	s_or_b64 exec, exec, s[24:25]
	v_lshrrev_b16_e32 v32, 8, v32
	v_cmp_ne_u16_e64 s[4:5], 0, v32
	s_and_saveexec_b64 s[24:25], s[4:5]
	s_cbranch_execz .LBB308_1163
; %bb.1158:                             ;   in Loop: Header=BB308_626 Depth=1
	v_cmp_ne_u16_e64 s[4:5], s7, v32
	v_bfrev_b32_e32 v22, 1
	s_and_saveexec_b64 s[26:27], s[4:5]
	s_cbranch_execz .LBB308_1162
; %bb.1159:                             ;   in Loop: Header=BB308_626 Depth=1
	v_and_b32_e32 v53, 0x7f, v32
	v_cmp_ne_u32_e64 s[4:5], s15, v53
	v_mov_b32_e32 v22, 0x7fc02000
	s_and_saveexec_b64 s[28:29], s[4:5]
	s_cbranch_execz .LBB308_1161
; %bb.1160:                             ;   in Loop: Header=BB308_626 Depth=1
	v_and_b32_e32 v22, 7, v32
	v_ffbh_u32_e32 v4, v22
	v_min_u32_e32 v49, 32, v4
	v_subrev_u32_e32 v4, 28, v49
	v_lshlrev_b64 v[4:5], v4, v[32:33]
	v_lshrrev_b32_e32 v27, 3, v53
	v_sub_u32_e32 v5, 29, v49
	v_cmp_gt_u32_e64 s[4:5], 8, v53
	v_and_b32_e32 v4, 7, v4
	v_cndmask_b32_e64 v5, v27, v5, s[4:5]
	v_cndmask_b32_e64 v4, v22, v4, s[4:5]
	v_lshlrev_b32_e32 v22, 8, v32
	v_lshl_add_u32 v5, v5, 10, v60
	v_and_or_b32 v5, v22, s30, v5
	v_lshl_or_b32 v4, v4, 7, v5
	v_cvt_f32_f16_e32 v22, v4
.LBB308_1161:                           ;   in Loop: Header=BB308_626 Depth=1
	s_or_b64 exec, exec, s[28:29]
.LBB308_1162:                           ;   in Loop: Header=BB308_626 Depth=1
	s_or_b64 exec, exec, s[26:27]
.LBB308_1163:                           ;   in Loop: Header=BB308_626 Depth=1
	s_or_b64 exec, exec, s[24:25]
	v_lshrrev_b32_e32 v32, 16, v43
	v_cmp_ne_u16_sdwa s[4:5], v32, v33 src0_sel:BYTE_0 src1_sel:DWORD
	v_mov_b32_e32 v53, 0
	v_mov_b32_e32 v58, 0
	s_and_saveexec_b64 s[24:25], s[4:5]
	s_cbranch_execz .LBB308_1169
; %bb.1164:                             ;   in Loop: Header=BB308_626 Depth=1
	v_cmp_ne_u16_sdwa s[4:5], v32, s7 src0_sel:BYTE_0 src1_sel:DWORD
	v_bfrev_b32_e32 v58, 1
	s_and_saveexec_b64 s[26:27], s[4:5]
	s_cbranch_execz .LBB308_1168
; %bb.1165:                             ;   in Loop: Header=BB308_626 Depth=1
	v_bfe_u32 v49, v43, 16, 7
	v_cmp_ne_u32_e64 s[4:5], s15, v49
	v_mov_b32_e32 v58, 0x7fc02000
	s_and_saveexec_b64 s[28:29], s[4:5]
	s_cbranch_execz .LBB308_1167
; %bb.1166:                             ;   in Loop: Header=BB308_626 Depth=1
	v_and_b32_e32 v27, 7, v32
	v_ffbh_u32_e32 v4, v27
	v_min_u32_e32 v13, 32, v4
	v_subrev_u32_e32 v4, 28, v13
	v_lshlrev_b64 v[4:5], v4, v[32:33]
	v_lshrrev_b32_e32 v58, 3, v49
	v_sub_u32_e32 v5, 29, v13
	v_cmp_gt_u32_e64 s[4:5], 8, v49
	v_cndmask_b32_e64 v5, v58, v5, s[4:5]
	v_and_b32_e32 v4, 7, v4
	v_lshlrev_b32_e32 v13, 8, v32
	v_lshl_add_u32 v5, v5, 10, v60
	v_cndmask_b32_e64 v4, v27, v4, s[4:5]
	v_and_or_b32 v5, v13, s30, v5
	v_lshl_or_b32 v4, v4, 7, v5
	v_cvt_f32_f16_e32 v58, v4
.LBB308_1167:                           ;   in Loop: Header=BB308_626 Depth=1
	s_or_b64 exec, exec, s[28:29]
.LBB308_1168:                           ;   in Loop: Header=BB308_626 Depth=1
	s_or_b64 exec, exec, s[26:27]
.LBB308_1169:                           ;   in Loop: Header=BB308_626 Depth=1
	s_or_b64 exec, exec, s[24:25]
	v_cmp_lt_u64_e64 s[4:5], s[12:13], v[42:43]
	s_and_saveexec_b64 s[24:25], s[4:5]
	s_cbranch_execz .LBB308_1175
; %bb.1170:                             ;   in Loop: Header=BB308_626 Depth=1
	v_lshrrev_b32_e32 v32, 24, v43
	v_cmp_ne_u32_e64 s[4:5], s7, v32
	v_bfrev_b32_e32 v53, 1
	s_and_saveexec_b64 s[26:27], s[4:5]
	s_cbranch_execz .LBB308_1174
; %bb.1171:                             ;   in Loop: Header=BB308_626 Depth=1
	v_and_b32_e32 v49, 0x7f, v32
	v_cmp_ne_u32_e64 s[4:5], s15, v49
	v_mov_b32_e32 v53, 0x7fc02000
	s_and_saveexec_b64 s[28:29], s[4:5]
	s_cbranch_execz .LBB308_1173
; %bb.1172:                             ;   in Loop: Header=BB308_626 Depth=1
	v_and_b32_e32 v13, 7, v32
	v_ffbh_u32_e32 v4, v13
	v_min_u32_e32 v53, 32, v4
	v_subrev_u32_e32 v4, 28, v53
	v_lshlrev_b64 v[4:5], v4, v[32:33]
	v_lshrrev_b32_e32 v27, 3, v49
	v_sub_u32_e32 v5, 29, v53
	v_cmp_gt_u32_e64 s[4:5], 8, v49
	v_and_b32_e32 v4, 7, v4
	v_cndmask_b32_e64 v5, v27, v5, s[4:5]
	v_cndmask_b32_e64 v4, v13, v4, s[4:5]
	v_lshlrev_b32_e32 v13, 8, v32
	v_lshl_add_u32 v5, v5, 10, v60
	v_and_or_b32 v5, v13, s30, v5
	v_lshl_or_b32 v4, v4, 7, v5
	v_cvt_f32_f16_e32 v53, v4
.LBB308_1173:                           ;   in Loop: Header=BB308_626 Depth=1
	s_or_b64 exec, exec, s[28:29]
.LBB308_1174:                           ;   in Loop: Header=BB308_626 Depth=1
	s_or_b64 exec, exec, s[26:27]
.LBB308_1175:                           ;   in Loop: Header=BB308_626 Depth=1
	s_or_b64 exec, exec, s[24:25]
	v_pk_mul_f32 v[4:5], v[52:53], v[40:41] op_sel_hi:[0,1]
	v_pk_mul_f32 v[54:55], v[52:53], v[54:55] op_sel_hi:[0,1]
	v_cvt_f16_f32_e32 v5, v5
	v_cvt_f16_f32_e32 v4, v4
	;; [unrolled: 1-line block ×4, first 2 shown]
	v_fma_mixlo_f16 v55, v52, v58, 0
	v_pack_b32_f16 v4, v4, v5
	v_pack_b32_f16 v5, v27, v13
	v_perm_b32 v32, v5, v4, s34
	v_perm_b32 v54, v5, v4, s35
	v_fma_mixlo_f16 v4, v52, v22, 0
	v_lshlrev_b32_e32 v4, 16, v4
	v_fma_mixlo_f16 v5, v52, v16, 0
	v_or_b32_sdwa v16, v4, v5 dst_sel:DWORD dst_unused:UNUSED_PAD src0_sel:DWORD src1_sel:WORD_0
	v_fma_mixlo_f16 v4, v52, v53, 0
	v_lshlrev_b32_e32 v4, 16, v4
	v_or_b32_sdwa v22, v4, v55 dst_sel:DWORD dst_unused:UNUSED_PAD src0_sel:DWORD src1_sel:WORD_0
	s_and_saveexec_b64 s[24:25], vcc
	s_cbranch_execz .LBB308_1177
; %bb.1176:                             ;   in Loop: Header=BB308_626 Depth=1
	v_lshrrev_b32_e32 v4, 16, v54
	v_cmp_lt_i32_e64 s[4:5], v38, v7
	v_accvgpr_read_b32 v52, a8
	v_cndmask_b32_e64 v4, 0, v4, s[4:5]
	v_cmp_lt_i32_e64 s[4:5], v12, v52
	v_cndmask_b32_e64 v5, 0, v54, s[4:5]
	v_perm_b32 v54, v4, v5, s36
	v_lshrrev_b32_e32 v4, 16, v32
	v_cmp_lt_i32_e64 s[4:5], v35, v7
	v_cndmask_b32_e64 v4, 0, v4, s[4:5]
	v_cmp_lt_i32_e64 s[4:5], v39, v52
	v_cndmask_b32_e64 v5, 0, v32, s[4:5]
	v_perm_b32 v32, v4, v5, s36
	v_lshrrev_b32_e32 v4, 16, v16
	v_cmp_lt_i32_e64 s[4:5], v37, v7
	;; [unrolled: 6-line block ×3, first 2 shown]
	v_cndmask_b32_e64 v4, 0, v4, s[4:5]
	v_cmp_lt_i32_e64 s[4:5], v61, v52
	v_cndmask_b32_e64 v5, 0, v55, s[4:5]
	v_perm_b32 v22, v4, v5, s36
.LBB308_1177:                           ;   in Loop: Header=BB308_626 Depth=1
	s_or_b64 exec, exec, s[24:25]
	;;#ASMSTART
	v_pk_mul_f16 v4, v36, v54;

	;;#ASMEND
	;;#ASMSTART
	v_pk_mul_f16 v5, v34, v32;

	;;#ASMEND
	;; [unrolled: 4-line block ×4, first 2 shown]
	;;#ASMSTART
	v_pk_add_f16 v4, v4, v5;

	;;#ASMEND
	;;#ASMSTART
	v_pk_add_f16 v4, v4, v13;

	;;#ASMEND
	;; [unrolled: 4-line block ×3, first 2 shown]
	v_lshrrev_b32_e32 v5, 16, v4
	v_and_b32_e32 v4, 0xffff, v4
	;;#ASMSTART
	v_cvt_f32_f16 v22, v4;
	;;#ASMEND
	v_accvgpr_read_b32 v4, a34
	v_add_co_u32_e64 v4, s[4:5], v20, v4
	;;#ASMSTART
	v_cvt_f32_f16 v42, v5;
	;;#ASMEND
	v_addc_co_u32_e64 v5, s[4:5], 0, v21, s[4:5]
	flat_load_dwordx2 v[40:41], v[4:5]
	v_accvgpr_read_b32 v4, a4
	v_accvgpr_read_b32 v5, a5
	flat_load_dword v20, v[4:5]
	v_mov_b32_e32 v54, 0
	v_mov_b32_e32 v52, 0
	s_waitcnt vmcnt(0) lgkmcnt(0)
	v_cmp_ne_u16_sdwa s[4:5], v40, v33 src0_sel:BYTE_0 src1_sel:DWORD
	s_and_saveexec_b64 s[24:25], s[4:5]
	s_cbranch_execz .LBB308_1183
; %bb.1178:                             ;   in Loop: Header=BB308_626 Depth=1
	v_cmp_ne_u16_sdwa s[4:5], v40, s7 src0_sel:BYTE_0 src1_sel:DWORD
	v_bfrev_b32_e32 v52, 1
	s_and_saveexec_b64 s[26:27], s[4:5]
	s_cbranch_execz .LBB308_1182
; %bb.1179:                             ;   in Loop: Header=BB308_626 Depth=1
	v_and_b32_e32 v16, 0x7f, v40
	v_cmp_ne_u32_e64 s[4:5], s15, v16
	v_mov_b32_e32 v52, 0x7fc02000
	s_and_saveexec_b64 s[28:29], s[4:5]
	s_cbranch_execz .LBB308_1181
; %bb.1180:                             ;   in Loop: Header=BB308_626 Depth=1
	v_and_b32_e32 v4, 7, v40
	v_ffbh_u32_e32 v4, v4
	v_min_u32_e32 v4, 32, v4
	v_subrev_u32_e32 v5, 28, v4
	v_cmp_gt_u32_e64 s[4:5], 8, v16
	v_sub_u32_e32 v21, 29, v4
	v_cndmask_b32_e64 v4, 0, v5, s[4:5]
	v_lshrrev_b32_e32 v13, 3, v16
	v_lshlrev_b64 v[4:5], v4, v[40:41]
	v_cndmask_b32_e64 v5, v13, v21, s[4:5]
	v_lshlrev_b32_e32 v13, 8, v40
	v_lshl_add_u32 v5, v5, 10, v60
	v_lshlrev_b32_e32 v4, 7, v4
	v_and_or_b32 v5, v13, s30, v5
	v_and_or_b32 v4, v4, s31, v5
	v_cvt_f32_f16_e32 v52, v4
.LBB308_1181:                           ;   in Loop: Header=BB308_626 Depth=1
	s_or_b64 exec, exec, s[28:29]
.LBB308_1182:                           ;   in Loop: Header=BB308_626 Depth=1
	s_or_b64 exec, exec, s[26:27]
.LBB308_1183:                           ;   in Loop: Header=BB308_626 Depth=1
	s_or_b64 exec, exec, s[24:25]
	v_lshrrev_b16_e32 v32, 8, v40
	v_cmp_ne_u16_e64 s[4:5], 0, v32
	s_and_saveexec_b64 s[24:25], s[4:5]
	s_cbranch_execz .LBB308_1189
; %bb.1184:                             ;   in Loop: Header=BB308_626 Depth=1
	v_cmp_ne_u16_e64 s[4:5], s7, v32
	v_bfrev_b32_e32 v54, 1
	s_and_saveexec_b64 s[26:27], s[4:5]
	s_cbranch_execz .LBB308_1188
; %bb.1185:                             ;   in Loop: Header=BB308_626 Depth=1
	v_and_b32_e32 v16, 0x7f, v32
	v_cmp_ne_u32_e64 s[4:5], s15, v16
	v_mov_b32_e32 v54, 0x7fc02000
	s_and_saveexec_b64 s[28:29], s[4:5]
	s_cbranch_execz .LBB308_1187
; %bb.1186:                             ;   in Loop: Header=BB308_626 Depth=1
	v_and_b32_e32 v13, 7, v32
	v_ffbh_u32_e32 v4, v13
	v_min_u32_e32 v27, 32, v4
	v_subrev_u32_e32 v4, 28, v27
	v_lshlrev_b64 v[4:5], v4, v[32:33]
	v_lshrrev_b32_e32 v21, 3, v16
	v_sub_u32_e32 v5, 29, v27
	v_cmp_gt_u32_e64 s[4:5], 8, v16
	v_and_b32_e32 v4, 7, v4
	v_cndmask_b32_e64 v5, v21, v5, s[4:5]
	v_cndmask_b32_e64 v4, v13, v4, s[4:5]
	v_lshlrev_b32_e32 v13, 8, v32
	v_lshl_add_u32 v5, v5, 10, v60
	v_and_or_b32 v5, v13, s30, v5
	v_lshl_or_b32 v4, v4, 7, v5
	v_cvt_f32_f16_e32 v54, v4
.LBB308_1187:                           ;   in Loop: Header=BB308_626 Depth=1
	s_or_b64 exec, exec, s[28:29]
.LBB308_1188:                           ;   in Loop: Header=BB308_626 Depth=1
	s_or_b64 exec, exec, s[26:27]
.LBB308_1189:                           ;   in Loop: Header=BB308_626 Depth=1
	s_or_b64 exec, exec, s[24:25]
	v_lshrrev_b32_e32 v32, 16, v40
	v_cmp_ne_u16_sdwa s[4:5], v32, v33 src0_sel:BYTE_0 src1_sel:DWORD
	v_mov_b32_e32 v55, 0
	v_mov_b32_e32 v53, 0
	s_and_saveexec_b64 s[24:25], s[4:5]
	s_cbranch_execz .LBB308_1195
; %bb.1190:                             ;   in Loop: Header=BB308_626 Depth=1
	v_cmp_ne_u16_sdwa s[4:5], v32, s7 src0_sel:BYTE_0 src1_sel:DWORD
	v_bfrev_b32_e32 v53, 1
	s_and_saveexec_b64 s[26:27], s[4:5]
	s_cbranch_execz .LBB308_1194
; %bb.1191:                             ;   in Loop: Header=BB308_626 Depth=1
	v_bfe_u32 v16, v40, 16, 7
	v_cmp_ne_u32_e64 s[4:5], s15, v16
	v_mov_b32_e32 v53, 0x7fc02000
	s_and_saveexec_b64 s[28:29], s[4:5]
	s_cbranch_execz .LBB308_1193
; %bb.1192:                             ;   in Loop: Header=BB308_626 Depth=1
	v_and_b32_e32 v13, 7, v32
	v_ffbh_u32_e32 v4, v13
	v_min_u32_e32 v27, 32, v4
	v_subrev_u32_e32 v4, 28, v27
	v_lshlrev_b64 v[4:5], v4, v[32:33]
	v_lshrrev_b32_e32 v21, 3, v16
	v_sub_u32_e32 v5, 29, v27
	v_cmp_gt_u32_e64 s[4:5], 8, v16
	v_and_b32_e32 v4, 7, v4
	v_cndmask_b32_e64 v5, v21, v5, s[4:5]
	v_cndmask_b32_e64 v4, v13, v4, s[4:5]
	v_lshlrev_b32_e32 v13, 8, v32
	v_lshl_add_u32 v5, v5, 10, v60
	v_and_or_b32 v5, v13, s30, v5
	v_lshl_or_b32 v4, v4, 7, v5
	v_cvt_f32_f16_e32 v53, v4
.LBB308_1193:                           ;   in Loop: Header=BB308_626 Depth=1
	s_or_b64 exec, exec, s[28:29]
.LBB308_1194:                           ;   in Loop: Header=BB308_626 Depth=1
	s_or_b64 exec, exec, s[26:27]
.LBB308_1195:                           ;   in Loop: Header=BB308_626 Depth=1
	s_or_b64 exec, exec, s[24:25]
	v_cmp_lt_u32_e64 s[4:5], s13, v40
	s_and_saveexec_b64 s[24:25], s[4:5]
	s_cbranch_execz .LBB308_1201
; %bb.1196:                             ;   in Loop: Header=BB308_626 Depth=1
	v_lshrrev_b32_e32 v32, 24, v40
	v_cmp_ne_u32_e64 s[4:5], s7, v32
	v_bfrev_b32_e32 v55, 1
	s_and_saveexec_b64 s[26:27], s[4:5]
	s_cbranch_execz .LBB308_1200
; %bb.1197:                             ;   in Loop: Header=BB308_626 Depth=1
	v_and_b32_e32 v16, 0x7f, v32
	v_cmp_ne_u32_e64 s[4:5], s15, v16
	v_mov_b32_e32 v55, 0x7fc02000
	s_and_saveexec_b64 s[28:29], s[4:5]
	s_cbranch_execz .LBB308_1199
; %bb.1198:                             ;   in Loop: Header=BB308_626 Depth=1
	v_and_b32_e32 v13, 7, v32
	v_ffbh_u32_e32 v4, v13
	v_min_u32_e32 v27, 32, v4
	v_subrev_u32_e32 v4, 28, v27
	v_lshlrev_b64 v[4:5], v4, v[32:33]
	v_lshrrev_b32_e32 v21, 3, v16
	v_sub_u32_e32 v5, 29, v27
	v_cmp_gt_u32_e64 s[4:5], 8, v16
	v_and_b32_e32 v4, 7, v4
	v_cndmask_b32_e64 v5, v21, v5, s[4:5]
	v_cndmask_b32_e64 v4, v13, v4, s[4:5]
	v_lshlrev_b32_e32 v13, 8, v32
	v_lshl_add_u32 v5, v5, 10, v60
	v_and_or_b32 v5, v13, s30, v5
	v_lshl_or_b32 v4, v4, 7, v5
	v_cvt_f32_f16_e32 v55, v4
.LBB308_1199:                           ;   in Loop: Header=BB308_626 Depth=1
	s_or_b64 exec, exec, s[28:29]
.LBB308_1200:                           ;   in Loop: Header=BB308_626 Depth=1
	s_or_b64 exec, exec, s[26:27]
.LBB308_1201:                           ;   in Loop: Header=BB308_626 Depth=1
	s_or_b64 exec, exec, s[24:25]
	v_mov_b32_e32 v32, v41
	v_cmp_ne_u16_sdwa s[4:5], v41, v33 src0_sel:BYTE_0 src1_sel:DWORD
	v_mov_b32_e32 v21, 0
	v_mov_b32_e32 v16, 0
	s_and_saveexec_b64 s[24:25], s[4:5]
	s_cbranch_execz .LBB308_1207
; %bb.1202:                             ;   in Loop: Header=BB308_626 Depth=1
	v_cmp_ne_u16_sdwa s[4:5], v41, s7 src0_sel:BYTE_0 src1_sel:DWORD
	v_bfrev_b32_e32 v16, 1
	s_and_saveexec_b64 s[26:27], s[4:5]
	s_cbranch_execz .LBB308_1206
; %bb.1203:                             ;   in Loop: Header=BB308_626 Depth=1
	v_and_b32_e32 v49, 0x7f, v41
	v_cmp_ne_u32_e64 s[4:5], s15, v49
	v_mov_b32_e32 v16, 0x7fc02000
	s_and_saveexec_b64 s[28:29], s[4:5]
	s_cbranch_execz .LBB308_1205
; %bb.1204:                             ;   in Loop: Header=BB308_626 Depth=1
	v_and_b32_e32 v4, 7, v41
	v_ffbh_u32_e32 v4, v4
	v_min_u32_e32 v4, 32, v4
	v_subrev_u32_e32 v5, 28, v4
	v_cmp_gt_u32_e64 s[4:5], 8, v49
	v_sub_u32_e32 v16, 29, v4
	v_cndmask_b32_e64 v4, 0, v5, s[4:5]
	v_lshrrev_b32_e32 v13, 3, v49
	v_lshlrev_b64 v[4:5], v4, v[32:33]
	v_cndmask_b32_e64 v5, v13, v16, s[4:5]
	v_lshlrev_b32_e32 v13, 8, v41
	v_lshl_add_u32 v5, v5, 10, v60
	v_lshlrev_b32_e32 v4, 7, v4
	v_and_or_b32 v5, v13, s30, v5
	v_and_or_b32 v4, v4, s31, v5
	v_cvt_f32_f16_e32 v16, v4
.LBB308_1205:                           ;   in Loop: Header=BB308_626 Depth=1
	s_or_b64 exec, exec, s[28:29]
.LBB308_1206:                           ;   in Loop: Header=BB308_626 Depth=1
	s_or_b64 exec, exec, s[26:27]
.LBB308_1207:                           ;   in Loop: Header=BB308_626 Depth=1
	s_or_b64 exec, exec, s[24:25]
	v_lshrrev_b16_e32 v32, 8, v32
	v_cmp_ne_u16_e64 s[4:5], 0, v32
	s_and_saveexec_b64 s[24:25], s[4:5]
	s_cbranch_execz .LBB308_1213
; %bb.1208:                             ;   in Loop: Header=BB308_626 Depth=1
	v_cmp_ne_u16_e64 s[4:5], s7, v32
	v_bfrev_b32_e32 v21, 1
	s_and_saveexec_b64 s[26:27], s[4:5]
	s_cbranch_execz .LBB308_1212
; %bb.1209:                             ;   in Loop: Header=BB308_626 Depth=1
	v_and_b32_e32 v49, 0x7f, v32
	v_cmp_ne_u32_e64 s[4:5], s15, v49
	v_mov_b32_e32 v21, 0x7fc02000
	s_and_saveexec_b64 s[28:29], s[4:5]
	s_cbranch_execz .LBB308_1211
; %bb.1210:                             ;   in Loop: Header=BB308_626 Depth=1
	v_and_b32_e32 v13, 7, v32
	v_ffbh_u32_e32 v4, v13
	v_min_u32_e32 v27, 32, v4
	v_subrev_u32_e32 v4, 28, v27
	v_lshlrev_b64 v[4:5], v4, v[32:33]
	v_lshrrev_b32_e32 v21, 3, v49
	v_sub_u32_e32 v5, 29, v27
	v_cmp_gt_u32_e64 s[4:5], 8, v49
	v_and_b32_e32 v4, 7, v4
	v_cndmask_b32_e64 v5, v21, v5, s[4:5]
	v_cndmask_b32_e64 v4, v13, v4, s[4:5]
	v_lshlrev_b32_e32 v13, 8, v32
	v_lshl_add_u32 v5, v5, 10, v60
	v_and_or_b32 v5, v13, s30, v5
	v_lshl_or_b32 v4, v4, 7, v5
	v_cvt_f32_f16_e32 v21, v4
.LBB308_1211:                           ;   in Loop: Header=BB308_626 Depth=1
	s_or_b64 exec, exec, s[28:29]
.LBB308_1212:                           ;   in Loop: Header=BB308_626 Depth=1
	s_or_b64 exec, exec, s[26:27]
.LBB308_1213:                           ;   in Loop: Header=BB308_626 Depth=1
	s_or_b64 exec, exec, s[24:25]
	v_lshrrev_b32_e32 v32, 16, v41
	v_cmp_ne_u16_sdwa s[4:5], v32, v33 src0_sel:BYTE_0 src1_sel:DWORD
	v_mov_b32_e32 v43, 0
	v_mov_b32_e32 v58, 0
	s_and_saveexec_b64 s[24:25], s[4:5]
	s_cbranch_execz .LBB308_1219
; %bb.1214:                             ;   in Loop: Header=BB308_626 Depth=1
	v_cmp_ne_u16_sdwa s[4:5], v32, s7 src0_sel:BYTE_0 src1_sel:DWORD
	v_bfrev_b32_e32 v58, 1
	s_and_saveexec_b64 s[26:27], s[4:5]
	s_cbranch_execz .LBB308_1218
; %bb.1215:                             ;   in Loop: Header=BB308_626 Depth=1
	v_bfe_u32 v49, v41, 16, 7
	v_cmp_ne_u32_e64 s[4:5], s15, v49
	v_mov_b32_e32 v58, 0x7fc02000
	s_and_saveexec_b64 s[28:29], s[4:5]
	s_cbranch_execz .LBB308_1217
; %bb.1216:                             ;   in Loop: Header=BB308_626 Depth=1
	v_and_b32_e32 v13, 7, v32
	v_ffbh_u32_e32 v4, v13
	v_min_u32_e32 v58, 32, v4
	v_subrev_u32_e32 v4, 28, v58
	v_lshlrev_b64 v[4:5], v4, v[32:33]
	v_lshrrev_b32_e32 v27, 3, v49
	v_sub_u32_e32 v5, 29, v58
	v_cmp_gt_u32_e64 s[4:5], 8, v49
	v_and_b32_e32 v4, 7, v4
	v_cndmask_b32_e64 v5, v27, v5, s[4:5]
	v_cndmask_b32_e64 v4, v13, v4, s[4:5]
	v_lshlrev_b32_e32 v13, 8, v32
	v_lshl_add_u32 v5, v5, 10, v60
	v_and_or_b32 v5, v13, s30, v5
	v_lshl_or_b32 v4, v4, 7, v5
	v_cvt_f32_f16_e32 v58, v4
.LBB308_1217:                           ;   in Loop: Header=BB308_626 Depth=1
	s_or_b64 exec, exec, s[28:29]
.LBB308_1218:                           ;   in Loop: Header=BB308_626 Depth=1
	s_or_b64 exec, exec, s[26:27]
.LBB308_1219:                           ;   in Loop: Header=BB308_626 Depth=1
	s_or_b64 exec, exec, s[24:25]
	v_cmp_lt_u64_e64 s[4:5], s[12:13], v[40:41]
	s_and_saveexec_b64 s[24:25], s[4:5]
	s_cbranch_execz .LBB308_1225
; %bb.1220:                             ;   in Loop: Header=BB308_626 Depth=1
	v_lshrrev_b32_e32 v32, 24, v41
	v_cmp_ne_u32_e64 s[4:5], s7, v32
	v_bfrev_b32_e32 v43, 1
	s_and_saveexec_b64 s[26:27], s[4:5]
	s_cbranch_execz .LBB308_1224
; %bb.1221:                             ;   in Loop: Header=BB308_626 Depth=1
	v_and_b32_e32 v49, 0x7f, v32
	v_cmp_ne_u32_e64 s[4:5], s15, v49
	v_mov_b32_e32 v43, 0x7fc02000
	s_and_saveexec_b64 s[28:29], s[4:5]
	s_cbranch_execz .LBB308_1223
; %bb.1222:                             ;   in Loop: Header=BB308_626 Depth=1
	v_and_b32_e32 v13, 7, v32
	v_ffbh_u32_e32 v4, v13
	v_min_u32_e32 v40, 32, v4
	v_subrev_u32_e32 v4, 28, v40
	v_lshlrev_b64 v[4:5], v4, v[32:33]
	v_lshrrev_b32_e32 v27, 3, v49
	v_sub_u32_e32 v5, 29, v40
	v_cmp_gt_u32_e64 s[4:5], 8, v49
	v_and_b32_e32 v4, 7, v4
	v_cndmask_b32_e64 v5, v27, v5, s[4:5]
	v_cndmask_b32_e64 v4, v13, v4, s[4:5]
	v_lshlrev_b32_e32 v13, 8, v32
	v_lshl_add_u32 v5, v5, 10, v60
	v_and_or_b32 v5, v13, s30, v5
	v_lshl_or_b32 v4, v4, 7, v5
	v_cvt_f32_f16_e32 v43, v4
.LBB308_1223:                           ;   in Loop: Header=BB308_626 Depth=1
	s_or_b64 exec, exec, s[28:29]
.LBB308_1224:                           ;   in Loop: Header=BB308_626 Depth=1
	s_or_b64 exec, exec, s[26:27]
.LBB308_1225:                           ;   in Loop: Header=BB308_626 Depth=1
	s_or_b64 exec, exec, s[24:25]
	v_pk_mul_f32 v[4:5], v[20:21], v[54:55] op_sel_hi:[0,1]
	v_pk_mul_f32 v[52:53], v[20:21], v[52:53] op_sel_hi:[0,1]
	v_cvt_f16_f32_e32 v5, v5
	v_cvt_f16_f32_e32 v4, v4
	v_cvt_f16_f32_e32 v13, v53
	v_cvt_f16_f32_e32 v27, v52
	v_pack_b32_f16 v4, v4, v5
	v_pack_b32_f16 v5, v27, v13
	v_perm_b32 v32, v5, v4, s34
	v_perm_b32 v52, v5, v4, s35
	v_fma_mixlo_f16 v4, v20, v21, 0
	v_lshlrev_b32_e32 v4, 16, v4
	v_fma_mixlo_f16 v5, v20, v16, 0
	v_or_b32_sdwa v16, v4, v5 dst_sel:DWORD dst_unused:UNUSED_PAD src0_sel:DWORD src1_sel:WORD_0
	v_fma_mixlo_f16 v4, v20, v43, 0
	v_fma_mixlo_f16 v21, v20, v58, 0
	v_lshlrev_b32_e32 v4, 16, v4
	v_or_b32_sdwa v20, v4, v21 dst_sel:DWORD dst_unused:UNUSED_PAD src0_sel:DWORD src1_sel:WORD_0
	s_and_saveexec_b64 s[4:5], vcc
	s_cbranch_execz .LBB308_624
; %bb.1226:                             ;   in Loop: Header=BB308_626 Depth=1
	v_lshrrev_b32_e32 v4, 16, v52
	v_cmp_lt_i32_e32 vcc, v38, v7
	v_accvgpr_read_b32 v38, a8
	v_cndmask_b32_e32 v4, 0, v4, vcc
	v_cmp_lt_i32_e32 vcc, v12, v38
	v_cndmask_b32_e32 v5, 0, v52, vcc
	v_perm_b32 v52, v4, v5, s36
	v_lshrrev_b32_e32 v4, 16, v32
	v_cmp_lt_i32_e32 vcc, v35, v7
	v_cndmask_b32_e32 v4, 0, v4, vcc
	v_cmp_lt_i32_e32 vcc, v39, v38
	v_cndmask_b32_e32 v5, 0, v32, vcc
	v_perm_b32 v32, v4, v5, s36
	v_lshrrev_b32_e32 v4, 16, v16
	v_cmp_lt_i32_e32 vcc, v37, v7
	;; [unrolled: 6-line block ×3, first 2 shown]
	v_cndmask_b32_e32 v4, 0, v4, vcc
	v_cmp_lt_i32_e32 vcc, v61, v38
	v_cndmask_b32_e32 v5, 0, v21, vcc
	v_perm_b32 v20, v4, v5, s36
	s_branch .LBB308_624
.LBB308_1227:
	s_or_b64 exec, exec, s[20:21]
	v_accvgpr_read_b32 v34, a15
	v_accvgpr_read_b32 v35, a16
	;; [unrolled: 1-line block ×4, first 2 shown]
.LBB308_1228:
	s_or_b64 exec, exec, s[10:11]
	ds_bpermute_b32 v4, v35, v50
	ds_bpermute_b32 v5, v35, v51
	;; [unrolled: 1-line block ×6, first 2 shown]
	s_waitcnt lgkmcnt(0)
	v_pk_add_f32 v[4:5], v[50:51], v[4:5]
	ds_bpermute_b32 v10, v36, v4
	ds_bpermute_b32 v11, v36, v5
	v_pk_add_f32 v[14:15], v[24:25], v[6:7]
	s_waitcnt lgkmcnt(0)
	s_barrier
	v_pk_add_f32 v[6:7], v[4:5], v[10:11]
	v_pk_add_f32 v[4:5], v[46:47], v[12:13]
	ds_bpermute_b32 v10, v35, v8
	ds_bpermute_b32 v11, v35, v9
	;; [unrolled: 1-line block ×6, first 2 shown]
	s_waitcnt lgkmcnt(4)
	v_pk_add_f32 v[8:9], v[8:9], v[10:11]
	ds_bpermute_b32 v24, v35, v0
	s_waitcnt lgkmcnt(3)
	v_pk_add_f32 v[10:11], v[4:5], v[18:19]
	buffer_load_dword v4, off, s[0:3], s32 offset:380 ; 4-byte Folded Reload
	ds_bpermute_b32 v25, v35, v1
	ds_bpermute_b32 v16, v36, v14
	;; [unrolled: 1-line block ×3, first 2 shown]
	s_waitcnt lgkmcnt(4)
	v_pk_add_f32 v[2:3], v[2:3], v[12:13]
	ds_bpermute_b32 v20, v36, v8
	ds_bpermute_b32 v21, v36, v9
	;; [unrolled: 1-line block ×4, first 2 shown]
	s_waitcnt lgkmcnt(6)
	v_pk_add_f32 v[0:1], v[0:1], v[24:25]
	s_waitcnt lgkmcnt(4)
	v_pk_add_f32 v[12:13], v[14:15], v[16:17]
	ds_bpermute_b32 v14, v36, v0
	ds_bpermute_b32 v15, v36, v1
	s_waitcnt lgkmcnt(4)
	v_pk_add_f32 v[8:9], v[8:9], v[20:21]
	s_waitcnt lgkmcnt(2)
	v_pk_add_f32 v[2:3], v[2:3], v[22:23]
	s_waitcnt vmcnt(0)
	v_and_b32_e32 v4, 0x3c3, v4
	v_cmp_ne_u32_e32 vcc, 64, v4
	s_and_saveexec_b64 s[4:5], vcc
	s_xor_b64 s[4:5], exec, s[4:5]
; %bb.1229:
                                        ; implicit-def: $vgpr34
; %bb.1230:
	s_or_saveexec_b64 s[4:5], s[4:5]
	s_waitcnt lgkmcnt(0)
	v_pk_add_f32 v[0:1], v[0:1], v[14:15]
	s_xor_b64 exec, exec, s[4:5]
	s_cbranch_execz .LBB308_1232
; %bb.1231:
	s_load_dword s7, s[8:9], 0x0
	s_waitcnt lgkmcnt(0)
	v_add_u32_e32 v5, s7, v34
	ds_write2_b32 v5, v6, v7 offset1:16
	ds_write2_b32 v5, v12, v13 offset0:32 offset1:48
	ds_write2_b32 v5, v10, v11 offset0:64 offset1:80
	;; [unrolled: 1-line block ×5, first 2 shown]
.LBB308_1232:
	s_or_b64 exec, exec, s[4:5]
	s_waitcnt lgkmcnt(0)
	s_barrier
	buffer_load_dword v5, off, s[0:3], s32 offset:380 ; 4-byte Folded Reload
	s_waitcnt vmcnt(0)
	v_cmp_gt_u32_e32 vcc, 64, v5
	s_and_saveexec_b64 s[4:5], vcc
	s_cbranch_execz .LBB308_1247
; %bb.1233:
	buffer_load_dword v5, off, s[0:3], s32 offset:380 ; 4-byte Folded Reload
	v_cmp_eq_u32_e32 vcc, 0, v26
	s_waitcnt vmcnt(0)
	v_lshrrev_b32_e32 v5, 2, v5
	s_and_saveexec_b64 s[10:11], vcc
	s_cbranch_execnz .LBB308_1250
; %bb.1234:
	s_or_b64 exec, exec, s[10:11]
	s_and_saveexec_b64 s[10:11], vcc
	s_cbranch_execnz .LBB308_1251
.LBB308_1235:
	s_or_b64 exec, exec, s[10:11]
	s_and_saveexec_b64 s[10:11], vcc
	s_cbranch_execnz .LBB308_1252
.LBB308_1236:
	s_or_b64 exec, exec, s[10:11]
	s_and_saveexec_b64 s[10:11], vcc
	s_cbranch_execnz .LBB308_1253
.LBB308_1237:
	s_or_b64 exec, exec, s[10:11]
	s_and_saveexec_b64 s[10:11], vcc
	s_cbranch_execnz .LBB308_1254
.LBB308_1238:
	s_or_b64 exec, exec, s[10:11]
	s_and_saveexec_b64 s[10:11], vcc
	s_cbranch_execnz .LBB308_1255
.LBB308_1239:
	s_or_b64 exec, exec, s[10:11]
	s_and_saveexec_b64 s[10:11], vcc
	s_cbranch_execnz .LBB308_1256
.LBB308_1240:
	s_or_b64 exec, exec, s[10:11]
	s_and_saveexec_b64 s[10:11], vcc
	s_cbranch_execnz .LBB308_1257
.LBB308_1241:
	s_or_b64 exec, exec, s[10:11]
	s_and_saveexec_b64 s[10:11], vcc
	s_cbranch_execnz .LBB308_1258
.LBB308_1242:
	s_or_b64 exec, exec, s[10:11]
	s_and_saveexec_b64 s[10:11], vcc
	s_cbranch_execnz .LBB308_1259
.LBB308_1243:
	s_or_b64 exec, exec, s[10:11]
	s_and_saveexec_b64 s[10:11], vcc
	s_cbranch_execnz .LBB308_1260
.LBB308_1244:
	s_or_b64 exec, exec, s[10:11]
	s_and_saveexec_b64 s[10:11], vcc
	s_cbranch_execz .LBB308_1246
.LBB308_1245:
	s_load_dword s7, s[8:9], 0x0
	s_waitcnt lgkmcnt(0)
	v_lshl_add_u32 v5, v5, 2, s7
	ds_read_b32 v5, v5 offset:704
	s_waitcnt lgkmcnt(0)
	v_add_f32_e32 v1, v5, v1
.LBB308_1246:
	s_or_b64 exec, exec, s[10:11]
.LBB308_1247:
	s_or_b64 exec, exec, s[4:5]
	v_cmp_eq_u32_e32 vcc, 0, v4
	s_barrier
	s_and_b64 exec, exec, vcc
	s_cbranch_execz .LBB308_1249
; %bb.1248:
	buffer_load_dword v5, off, s[0:3], s32 offset:416 ; 4-byte Folded Reload
	buffer_load_dword v14, off, s[0:3], s32 offset:412 ; 4-byte Folded Reload
	s_mul_i32 s4, s6, 0xc0
	s_mul_i32 s6, s18, s19
	;; [unrolled: 1-line block ×3, first 2 shown]
	s_ashr_i32 s5, s4, 31
	s_ashr_i32 s7, s6, 31
	;; [unrolled: 1-line block ×3, first 2 shown]
	s_lshl_b64 s[4:5], s[4:5], 1
	s_lshl_b64 s[6:7], s[6:7], 1
	;; [unrolled: 1-line block ×3, first 2 shown]
	s_add_u32 s6, s8, s6
	s_addc_u32 s7, s9, s7
	s_add_u32 s4, s6, s4
	s_addc_u32 s5, s7, s5
	v_mov_b32_e32 v4, s5
	s_waitcnt vmcnt(1)
	v_add_co_u32_e32 v5, vcc, s4, v5
	s_waitcnt vmcnt(0)
	v_addc_co_u32_e32 v14, vcc, v4, v14, vcc
	buffer_load_dword v4, off, s[0:3], s32 offset:380 ; 4-byte Folded Reload
	;;#ASMSTART
	v_cvt_f16_f32 v6, v6;

	;;#ASMEND
	s_waitcnt vmcnt(0)
	v_lshrrev_b32_e32 v4, 1, v4
	v_add_co_u32_e32 v4, vcc, v5, v4
	v_addc_co_u32_e32 v5, vcc, 0, v14, vcc
	flat_store_short v[4:5], v6
	;;#ASMSTART
	v_cvt_f16_f32 v6, v7;

	;;#ASMEND
	flat_store_short v[4:5], v6 offset:32
	;;#ASMSTART
	v_cvt_f16_f32 v6, v12;

	;;#ASMEND
	flat_store_short v[4:5], v6 offset:64
	;;#ASMSTART
	v_cvt_f16_f32 v6, v13;

	;;#ASMEND
	flat_store_short v[4:5], v6 offset:96
	;;#ASMSTART
	v_cvt_f16_f32 v6, v10;

	;;#ASMEND
	flat_store_short v[4:5], v6 offset:128
	;;#ASMSTART
	v_cvt_f16_f32 v6, v11;

	;;#ASMEND
	flat_store_short v[4:5], v6 offset:160
	;;#ASMSTART
	v_cvt_f16_f32 v6, v8;

	;;#ASMEND
	flat_store_short v[4:5], v6 offset:192
	;;#ASMSTART
	v_cvt_f16_f32 v6, v9;

	;;#ASMEND
	flat_store_short v[4:5], v6 offset:224
	;;#ASMSTART
	v_cvt_f16_f32 v2, v2;

	;;#ASMEND
	flat_store_short v[4:5], v2 offset:256
	;;#ASMSTART
	v_cvt_f16_f32 v2, v3;

	;;#ASMEND
	flat_store_short v[4:5], v2 offset:288
	;;#ASMSTART
	v_cvt_f16_f32 v0, v0;

	;;#ASMEND
	flat_store_short v[4:5], v0 offset:320
	;;#ASMSTART
	v_cvt_f16_f32 v0, v1;

	;;#ASMEND
	flat_store_short v[4:5], v0 offset:352
.LBB308_1249:
	s_or_b64 exec, exec, s[16:17]
	buffer_load_dword a63, off, s[0:3], s32 offset:8 ; 4-byte Folded Reload
	buffer_load_dword a62, off, s[0:3], s32 offset:12 ; 4-byte Folded Reload
	;; [unrolled: 1-line block ×47, first 2 shown]
	v_readlane_b32 s30, v63, 9
	v_readlane_b32 s31, v63, 10
	;; [unrolled: 1-line block ×11, first 2 shown]
	s_or_saveexec_b64 s[4:5], -1
	buffer_load_dword v63, off, s[0:3], s32 offset:492 ; 4-byte Folded Reload
	s_mov_b64 exec, s[4:5]
	s_waitcnt vmcnt(0) lgkmcnt(0)
	s_setpc_b64 s[30:31]
.LBB308_1250:
	s_load_dword s7, s[8:9], 0x0
	s_waitcnt lgkmcnt(0)
	v_lshl_add_u32 v14, v5, 2, s7
	ds_read_b32 v14, v14
	s_waitcnt lgkmcnt(0)
	v_add_f32_e32 v6, v14, v6
	s_or_b64 exec, exec, s[10:11]
	s_and_saveexec_b64 s[10:11], vcc
	s_cbranch_execz .LBB308_1235
.LBB308_1251:
	s_load_dword s7, s[8:9], 0x0
	s_waitcnt lgkmcnt(0)
	v_lshl_add_u32 v14, v5, 2, s7
	ds_read_b32 v14, v14 offset:64
	s_waitcnt lgkmcnt(0)
	v_add_f32_e32 v7, v14, v7
	s_or_b64 exec, exec, s[10:11]
	s_and_saveexec_b64 s[10:11], vcc
	s_cbranch_execz .LBB308_1236
.LBB308_1252:
	s_load_dword s7, s[8:9], 0x0
	s_waitcnt lgkmcnt(0)
	v_lshl_add_u32 v14, v5, 2, s7
	ds_read_b32 v14, v14 offset:128
	s_waitcnt lgkmcnt(0)
	v_add_f32_e32 v12, v14, v12
	s_or_b64 exec, exec, s[10:11]
	s_and_saveexec_b64 s[10:11], vcc
	s_cbranch_execz .LBB308_1237
.LBB308_1253:
	s_load_dword s7, s[8:9], 0x0
	s_waitcnt lgkmcnt(0)
	v_lshl_add_u32 v14, v5, 2, s7
	ds_read_b32 v14, v14 offset:192
	s_waitcnt lgkmcnt(0)
	v_add_f32_e32 v13, v14, v13
	s_or_b64 exec, exec, s[10:11]
	s_and_saveexec_b64 s[10:11], vcc
	s_cbranch_execz .LBB308_1238
.LBB308_1254:
	s_load_dword s7, s[8:9], 0x0
	s_waitcnt lgkmcnt(0)
	v_lshl_add_u32 v14, v5, 2, s7
	ds_read_b32 v14, v14 offset:256
	s_waitcnt lgkmcnt(0)
	v_add_f32_e32 v10, v14, v10
	s_or_b64 exec, exec, s[10:11]
	s_and_saveexec_b64 s[10:11], vcc
	s_cbranch_execz .LBB308_1239
.LBB308_1255:
	s_load_dword s7, s[8:9], 0x0
	s_waitcnt lgkmcnt(0)
	v_lshl_add_u32 v14, v5, 2, s7
	ds_read_b32 v14, v14 offset:320
	s_waitcnt lgkmcnt(0)
	v_add_f32_e32 v11, v14, v11
	s_or_b64 exec, exec, s[10:11]
	s_and_saveexec_b64 s[10:11], vcc
	s_cbranch_execz .LBB308_1240
.LBB308_1256:
	s_load_dword s7, s[8:9], 0x0
	s_waitcnt lgkmcnt(0)
	v_lshl_add_u32 v14, v5, 2, s7
	ds_read_b32 v14, v14 offset:384
	s_waitcnt lgkmcnt(0)
	v_add_f32_e32 v8, v14, v8
	s_or_b64 exec, exec, s[10:11]
	s_and_saveexec_b64 s[10:11], vcc
	s_cbranch_execz .LBB308_1241
.LBB308_1257:
	s_load_dword s7, s[8:9], 0x0
	s_waitcnt lgkmcnt(0)
	v_lshl_add_u32 v14, v5, 2, s7
	ds_read_b32 v14, v14 offset:448
	s_waitcnt lgkmcnt(0)
	v_add_f32_e32 v9, v14, v9
	s_or_b64 exec, exec, s[10:11]
	s_and_saveexec_b64 s[10:11], vcc
	s_cbranch_execz .LBB308_1242
.LBB308_1258:
	s_load_dword s7, s[8:9], 0x0
	s_waitcnt lgkmcnt(0)
	v_lshl_add_u32 v14, v5, 2, s7
	ds_read_b32 v14, v14 offset:512
	s_waitcnt lgkmcnt(0)
	v_add_f32_e32 v2, v14, v2
	s_or_b64 exec, exec, s[10:11]
	s_and_saveexec_b64 s[10:11], vcc
	s_cbranch_execz .LBB308_1243
.LBB308_1259:
	s_load_dword s7, s[8:9], 0x0
	s_waitcnt lgkmcnt(0)
	v_lshl_add_u32 v14, v5, 2, s7
	ds_read_b32 v14, v14 offset:576
	s_waitcnt lgkmcnt(0)
	v_add_f32_e32 v3, v14, v3
	s_or_b64 exec, exec, s[10:11]
	s_and_saveexec_b64 s[10:11], vcc
	s_cbranch_execz .LBB308_1244
.LBB308_1260:
	s_load_dword s7, s[8:9], 0x0
	s_waitcnt lgkmcnt(0)
	v_lshl_add_u32 v14, v5, 2, s7
	ds_read_b32 v14, v14 offset:640
	s_waitcnt lgkmcnt(0)
	v_add_f32_e32 v0, v14, v0
	s_or_b64 exec, exec, s[10:11]
	s_and_saveexec_b64 s[10:11], vcc
	s_cbranch_execnz .LBB308_1245
	s_branch .LBB308_1246
.Lfunc_end308:
	.size	_ZN4vllm22paged_attention_kernelIthLi192ELi32ELi128ELNS_18Fp8KVCacheDataTypeE1ELb1ELi512EEEvPfS2_PT_PKS3_PKT0_S9_ifPKiSB_iPKfiiiSD_SD_iiiii, .Lfunc_end308-_ZN4vllm22paged_attention_kernelIthLi192ELi32ELi128ELNS_18Fp8KVCacheDataTypeE1ELb1ELi512EEEvPfS2_PT_PKS3_PKT0_S9_ifPKiSB_iPKfiiiSD_SD_iiiii
                                        ; -- End function
	.section	.AMDGPU.csdata,"",@progbits
; Function info:
; codeLenInByte = 54044
; NumSgprs: 47
; NumVgprs: 64
; NumAgprs: 64
; TotalNumVgprs: 128
; ScratchSize: 500
; MemoryBound: 0
	.section	.text._ZN4vllm25paged_attention_v2_kernelIthLi192ELi32ELi128ELNS_18Fp8KVCacheDataTypeE1ELb1ELi512EEEvPfS2_PT_PKS3_PKT0_S9_ifPKiSB_iPKfiiiSD_SD_iiiii,"axG",@progbits,_ZN4vllm25paged_attention_v2_kernelIthLi192ELi32ELi128ELNS_18Fp8KVCacheDataTypeE1ELb1ELi512EEEvPfS2_PT_PKS3_PKT0_S9_ifPKiSB_iPKfiiiSD_SD_iiiii,comdat
	.protected	_ZN4vllm25paged_attention_v2_kernelIthLi192ELi32ELi128ELNS_18Fp8KVCacheDataTypeE1ELb1ELi512EEEvPfS2_PT_PKS3_PKT0_S9_ifPKiSB_iPKfiiiSD_SD_iiiii ; -- Begin function _ZN4vllm25paged_attention_v2_kernelIthLi192ELi32ELi128ELNS_18Fp8KVCacheDataTypeE1ELb1ELi512EEEvPfS2_PT_PKS3_PKT0_S9_ifPKiSB_iPKfiiiSD_SD_iiiii
	.globl	_ZN4vllm25paged_attention_v2_kernelIthLi192ELi32ELi128ELNS_18Fp8KVCacheDataTypeE1ELb1ELi512EEEvPfS2_PT_PKS3_PKT0_S9_ifPKiSB_iPKfiiiSD_SD_iiiii
	.p2align	8
	.type	_ZN4vllm25paged_attention_v2_kernelIthLi192ELi32ELi128ELNS_18Fp8KVCacheDataTypeE1ELb1ELi512EEEvPfS2_PT_PKS3_PKT0_S9_ifPKiSB_iPKfiiiSD_SD_iiiii,@function
_ZN4vllm25paged_attention_v2_kernelIthLi192ELi32ELi128ELNS_18Fp8KVCacheDataTypeE1ELb1ELi512EEEvPfS2_PT_PKS3_PKT0_S9_ifPKiSB_iPKfiiiSD_SD_iiiii: ; @_ZN4vllm25paged_attention_v2_kernelIthLi192ELi32ELi128ELNS_18Fp8KVCacheDataTypeE1ELb1ELi512EEEvPfS2_PT_PKS3_PKT0_S9_ifPKiSB_iPKfiiiSD_SD_iiiii
; %bb.0:
	s_add_u32 flat_scratch_lo, s6, s11
	s_addc_u32 flat_scratch_hi, s7, 0
	s_add_u32 s0, s0, s11
	s_mov_b32 s12, s8
	s_load_dwordx8 s[24:31], s[4:5], 0x0
	s_load_dwordx8 s[16:23], s[4:5], 0x20
	s_load_dwordx2 s[6:7], s[4:5], 0x40
	s_load_dwordx4 s[44:47], s[4:5], 0x78
	s_load_dwordx2 s[34:35], s[4:5], 0x50
	s_load_dword s11, s[4:5], 0x48
	s_load_dword s8, s[4:5], 0x88
	s_load_dwordx8 s[36:43], s[4:5], 0x58
	s_mov_b32 s32, 0
	s_addc_u32 s1, s1, 0
	s_waitcnt lgkmcnt(0)
	v_mov_b32_e32 v1, s47
	buffer_store_dword v1, off, s[0:3], s32
	v_mov_b32_e32 v1, s8
	s_add_u32 s8, s4, 0x90
	s_mov_b32 s13, s9
	buffer_store_dword v1, off, s[0:3], s32 offset:4
	s_addc_u32 s9, s5, 0
	s_mov_b32 s14, s10
	s_mov_b32 s15, 49
	v_mov_b32_e32 v31, v0
	v_mov_b32_e32 v0, s24
	;; [unrolled: 1-line block ×32, first 2 shown]
	s_getpc_b64 s[4:5]
	s_add_u32 s4, s4, _ZN4vllm22paged_attention_kernelIthLi192ELi32ELi128ELNS_18Fp8KVCacheDataTypeE1ELb1ELi512EEEvPfS2_PT_PKS3_PKT0_S9_ifPKiSB_iPKfiiiSD_SD_iiiii@rel32@lo+4
	s_addc_u32 s5, s5, _ZN4vllm22paged_attention_kernelIthLi192ELi32ELi128ELNS_18Fp8KVCacheDataTypeE1ELb1ELi512EEEvPfS2_PT_PKS3_PKT0_S9_ifPKiSB_iPKfiiiSD_SD_iiiii@rel32@hi+12
	s_swappc_b64 s[30:31], s[4:5]
	s_endpgm
	.section	.rodata,"a",@progbits
	.p2align	6, 0x0
	.amdhsa_kernel _ZN4vllm25paged_attention_v2_kernelIthLi192ELi32ELi128ELNS_18Fp8KVCacheDataTypeE1ELb1ELi512EEEvPfS2_PT_PKS3_PKT0_S9_ifPKiSB_iPKfiiiSD_SD_iiiii
		.amdhsa_group_segment_fixed_size 400
		.amdhsa_private_segment_fixed_size 500
		.amdhsa_kernarg_size 400
		.amdhsa_user_sgpr_count 8
		.amdhsa_user_sgpr_private_segment_buffer 1
		.amdhsa_user_sgpr_dispatch_ptr 0
		.amdhsa_user_sgpr_queue_ptr 0
		.amdhsa_user_sgpr_kernarg_segment_ptr 1
		.amdhsa_user_sgpr_dispatch_id 0
		.amdhsa_user_sgpr_flat_scratch_init 1
		.amdhsa_user_sgpr_kernarg_preload_length 0
		.amdhsa_user_sgpr_kernarg_preload_offset 0
		.amdhsa_user_sgpr_private_segment_size 0
		.amdhsa_uses_dynamic_stack 0
		.amdhsa_system_sgpr_private_segment_wavefront_offset 1
		.amdhsa_system_sgpr_workgroup_id_x 1
		.amdhsa_system_sgpr_workgroup_id_y 1
		.amdhsa_system_sgpr_workgroup_id_z 1
		.amdhsa_system_sgpr_workgroup_info 0
		.amdhsa_system_vgpr_workitem_id 0
		.amdhsa_next_free_vgpr 128
		.amdhsa_next_free_sgpr 48
		.amdhsa_accum_offset 64
		.amdhsa_reserve_vcc 1
		.amdhsa_reserve_flat_scratch 1
		.amdhsa_float_round_mode_32 0
		.amdhsa_float_round_mode_16_64 0
		.amdhsa_float_denorm_mode_32 3
		.amdhsa_float_denorm_mode_16_64 3
		.amdhsa_dx10_clamp 1
		.amdhsa_ieee_mode 1
		.amdhsa_fp16_overflow 0
		.amdhsa_tg_split 0
		.amdhsa_exception_fp_ieee_invalid_op 0
		.amdhsa_exception_fp_denorm_src 0
		.amdhsa_exception_fp_ieee_div_zero 0
		.amdhsa_exception_fp_ieee_overflow 0
		.amdhsa_exception_fp_ieee_underflow 0
		.amdhsa_exception_fp_ieee_inexact 0
		.amdhsa_exception_int_div_zero 0
	.end_amdhsa_kernel
	.section	.text._ZN4vllm25paged_attention_v2_kernelIthLi192ELi32ELi128ELNS_18Fp8KVCacheDataTypeE1ELb1ELi512EEEvPfS2_PT_PKS3_PKT0_S9_ifPKiSB_iPKfiiiSD_SD_iiiii,"axG",@progbits,_ZN4vllm25paged_attention_v2_kernelIthLi192ELi32ELi128ELNS_18Fp8KVCacheDataTypeE1ELb1ELi512EEEvPfS2_PT_PKS3_PKT0_S9_ifPKiSB_iPKfiiiSD_SD_iiiii,comdat
.Lfunc_end309:
	.size	_ZN4vllm25paged_attention_v2_kernelIthLi192ELi32ELi128ELNS_18Fp8KVCacheDataTypeE1ELb1ELi512EEEvPfS2_PT_PKS3_PKT0_S9_ifPKiSB_iPKfiiiSD_SD_iiiii, .Lfunc_end309-_ZN4vllm25paged_attention_v2_kernelIthLi192ELi32ELi128ELNS_18Fp8KVCacheDataTypeE1ELb1ELi512EEEvPfS2_PT_PKS3_PKT0_S9_ifPKiSB_iPKfiiiSD_SD_iiiii
                                        ; -- End function
	.section	.AMDGPU.csdata,"",@progbits
; Kernel info:
; codeLenInByte = 296
; NumSgprs: 54
; NumVgprs: 64
; NumAgprs: 64
; TotalNumVgprs: 128
; ScratchSize: 500
; MemoryBound: 0
; FloatMode: 240
; IeeeMode: 1
; LDSByteSize: 400 bytes/workgroup (compile time only)
; SGPRBlocks: 6
; VGPRBlocks: 15
; NumSGPRsForWavesPerEU: 54
; NumVGPRsForWavesPerEU: 128
; AccumOffset: 64
; Occupancy: 4
; WaveLimiterHint : 1
; COMPUTE_PGM_RSRC2:SCRATCH_EN: 1
; COMPUTE_PGM_RSRC2:USER_SGPR: 8
; COMPUTE_PGM_RSRC2:TRAP_HANDLER: 0
; COMPUTE_PGM_RSRC2:TGID_X_EN: 1
; COMPUTE_PGM_RSRC2:TGID_Y_EN: 1
; COMPUTE_PGM_RSRC2:TGID_Z_EN: 1
; COMPUTE_PGM_RSRC2:TIDIG_COMP_CNT: 0
; COMPUTE_PGM_RSRC3_GFX90A:ACCUM_OFFSET: 15
; COMPUTE_PGM_RSRC3_GFX90A:TG_SPLIT: 0
	.text
	.p2align	2                               ; -- Begin function _ZN4vllm22paged_attention_kernelIthLi256ELi32ELi128ELNS_18Fp8KVCacheDataTypeE1ELb1ELi512EEEvPfS2_PT_PKS3_PKT0_S9_ifPKiSB_iPKfiiiSD_SD_iiiii
	.type	_ZN4vllm22paged_attention_kernelIthLi256ELi32ELi128ELNS_18Fp8KVCacheDataTypeE1ELb1ELi512EEEvPfS2_PT_PKS3_PKT0_S9_ifPKiSB_iPKfiiiSD_SD_iiiii,@function
_ZN4vllm22paged_attention_kernelIthLi256ELi32ELi128ELNS_18Fp8KVCacheDataTypeE1ELb1ELi512EEEvPfS2_PT_PKS3_PKT0_S9_ifPKiSB_iPKfiiiSD_SD_iiiii: ; @_ZN4vllm22paged_attention_kernelIthLi256ELi32ELi128ELNS_18Fp8KVCacheDataTypeE1ELb1ELi512EEEvPfS2_PT_PKS3_PKT0_S9_ifPKiSB_iPKfiiiSD_SD_iiiii
; %bb.0:
	s_waitcnt vmcnt(0) expcnt(0) lgkmcnt(0)
	s_or_saveexec_b64 s[4:5], -1
	buffer_store_dword v63, off, s[0:3], s32 offset:752 ; 4-byte Folded Spill
	s_mov_b64 exec, s[4:5]
	buffer_store_dword v40, off, s[0:3], s32 offset:192 ; 4-byte Folded Spill
	buffer_store_dword v41, off, s[0:3], s32 offset:188 ; 4-byte Folded Spill
	;; [unrolled: 1-line block ×47, first 2 shown]
	v_writelane_b32 v63, s34, 0
	v_writelane_b32 v63, s35, 1
	;; [unrolled: 1-line block ×13, first 2 shown]
	s_mov_b32 s24, s13
	s_ashr_i32 s25, s13, 31
	buffer_store_dword v26, off, s[0:3], s32 offset:196 ; 4-byte Folded Spill
	s_nop 0
	buffer_store_dword v27, off, s[0:3], s32 offset:200 ; 4-byte Folded Spill
	buffer_store_dword v24, off, s[0:3], s32 offset:620 ; 4-byte Folded Spill
	s_nop 0
	buffer_store_dword v25, off, s[0:3], s32 offset:624 ; 4-byte Folded Spill
	;; [unrolled: 3-line block ×3, first 2 shown]
	s_lshl_b64 s[4:5], s[24:25], 2
	v_mov_b32_e32 v24, v1
	v_mov_b32_e32 v25, v0
	;; [unrolled: 1-line block ×3, first 2 shown]
	v_add_co_u32_e32 v0, vcc, s4, v16
	v_addc_co_u32_e32 v1, vcc, v17, v1, vcc
	buffer_store_dword v13, off, s[0:3], s32 offset:660 ; 4-byte Folded Spill
	buffer_store_dword v5, off, s[0:3], s32 offset:672 ; 4-byte Folded Spill
	v_mov_b32_e32 v36, v2
	flat_load_dword v2, v[0:1]
	s_nop 0
	buffer_load_dword v0, off, s[0:3], s32 offset:4
	buffer_load_dword v1, off, s[0:3], s32
	s_lshl_b32 s25, s14, 9
	v_mov_b32_e32 v33, v20
	v_mov_b32_e32 v32, v19
	;; [unrolled: 1-line block ×6, first 2 shown]
	s_waitcnt vmcnt(0) lgkmcnt(0)
	v_mov_b32_e32 v4, v2
	v_cmp_lt_i32_e32 vcc, s25, v2
	buffer_store_dword v4, off, s[0:3], s32 offset:204 ; 4-byte Folded Spill
	s_nop 0
	buffer_store_dword v5, off, s[0:3], s32 offset:208 ; 4-byte Folded Spill
	s_and_saveexec_b64 s[18:19], vcc
	s_cbranch_execz .LBB310_1645
; %bb.1:
	v_sub_u32_e32 v2, 0, v12
	v_max_i32_e32 v2, v12, v2
	v_cvt_f32_u32_e32 v3, v2
	s_load_dword s4, s[8:9], 0x10
	s_load_dword s6, s[8:9], 0x0
	v_sub_u32_e32 v5, 0, v2
	s_mov_b32 s22, s15
	v_rcp_iflag_f32_e32 v3, v3
	s_waitcnt lgkmcnt(0)
	s_lshr_b32 s4, s4, 16
	s_cmp_lg_u32 s4, 0
	s_cselect_b64 s[4:5], -1, 0
	v_mul_f32_e32 v3, 0x4f7ffffe, v3
	v_cvt_u32_f32_e32 v3, v3
	s_cmp_lg_u64 s[4:5], 0
	s_addc_u32 s15, s6, 0
	s_abs_i32 s4, s15
	v_mul_lo_u32 v5, v5, v3
	v_mul_hi_u32 v5, v3, v5
	v_add_u32_e32 v3, v3, v5
	v_mul_hi_u32 v3, s4, v3
	v_mul_lo_u32 v5, v3, v2
	v_sub_u32_e32 v5, s4, v5
	v_add_u32_e32 v10, 1, v3
	v_cmp_ge_u32_e32 vcc, v5, v2
	v_cndmask_b32_e32 v3, v3, v10, vcc
	v_sub_u32_e32 v10, v5, v2
	v_cndmask_b32_e32 v5, v5, v10, vcc
	v_xor_b32_e32 v4, s15, v12
	v_add_u32_e32 v10, 1, v3
	v_cmp_ge_u32_e32 vcc, v5, v2
	v_ashrrev_i32_e32 v4, 31, v4
	v_cndmask_b32_e32 v2, v3, v10, vcc
	v_xor_b32_e32 v2, v2, v4
	v_sub_u32_e32 v2, v2, v4
	v_sub_u32_e32 v3, 0, v2
	v_max_i32_e32 v3, v2, v3
	v_cvt_f32_u32_e32 v4, v3
	v_sub_u32_e32 v5, 0, v3
	s_abs_i32 s10, s12
	v_cmp_ne_u64_e32 vcc, 0, v[32:33]
	v_rcp_iflag_f32_e32 v4, v4
	v_mul_f32_e32 v4, 0x4f7ffffe, v4
	v_cvt_u32_f32_e32 v4, v4
	v_mul_lo_u32 v5, v5, v4
	v_mul_hi_u32 v5, v4, v5
	v_add_u32_e32 v4, v4, v5
	v_mad_u64_u32 v[34:35], s[4:5], s10, v4, 0
	v_mov_b32_e32 v4, 0
	buffer_store_dword v4, off, s[0:3], s32 offset:656 ; 4-byte Folded Spill
	s_and_saveexec_b64 s[4:5], vcc
	s_cbranch_execz .LBB310_3
; %bb.2:
	s_ashr_i32 s13, s12, 31
	s_lshl_b64 s[6:7], s[12:13], 2
	v_mov_b32_e32 v5, s7
	v_add_co_u32_e32 v4, vcc, s6, v32
	v_addc_co_u32_e32 v5, vcc, v33, v5, vcc
	flat_load_dword v4, v[4:5]
	s_waitcnt vmcnt(0) lgkmcnt(0)
	buffer_store_dword v4, off, s[0:3], s32 offset:656 ; 4-byte Folded Spill
.LBB310_3:
	s_or_b64 exec, exec, s[4:5]
	v_and_b32_e32 v5, 0x3ff, v31
	s_ashr_i32 s11, s12, 31
	v_ashrrev_i32_e32 v4, 31, v2
	v_and_b32_e32 v2, 1, v5
	s_lshl_b32 s20, s12, 8
	v_cmp_gt_u32_e64 s[4:5], 64, v5
	v_lshlrev_b32_e32 v34, 3, v5
	buffer_store_dword v5, off, s[0:3], s32 offset:616 ; 4-byte Folded Spill
	s_and_saveexec_b64 s[6:7], s[4:5]
	s_cbranch_execz .LBB310_5
; %bb.4:
	v_mul_lo_u32 v10, s24, v21
	v_ashrrev_i32_e32 v11, 31, v10
	v_lshlrev_b64 v[10:11], 1, v[10:11]
	v_add_co_u32_e32 v5, vcc, v6, v10
	s_ashr_i32 s21, s20, 31
	v_addc_co_u32_e32 v6, vcc, v7, v11, vcc
	s_lshl_b64 s[16:17], s[20:21], 1
	v_mov_b32_e32 v7, s17
	v_add_co_u32_e32 v5, vcc, s16, v5
	v_addc_co_u32_e32 v7, vcc, v6, v7, vcc
	v_add_co_u32_e32 v6, vcc, v5, v34
	buffer_load_dword v5, off, s[0:3], s32 offset:616 ; 4-byte Folded Reload
	v_addc_co_u32_e32 v7, vcc, 0, v7, vcc
	flat_load_dwordx2 v[6:7], v[6:7]
	s_waitcnt vmcnt(0)
	v_lshlrev_b32_e32 v5, 2, v5
	v_and_b32_e32 v5, 0xff8, v5
	v_lshl_add_u32 v5, v2, 8, v5
	s_waitcnt lgkmcnt(0)
	ds_write_b64 v5, v[6:7]
.LBB310_5:
	s_or_b64 exec, exec, s[6:7]
	v_mul_lo_u32 v5, v35, v3
	v_sub_u32_e32 v5, s10, v5
	v_add_u32_e32 v6, 1, v35
	v_cmp_ge_u32_e32 vcc, v5, v3
	v_sub_u32_e32 v7, v5, v3
	v_cndmask_b32_e32 v6, v35, v6, vcc
	v_cndmask_b32_e32 v5, v5, v7, vcc
	v_add_u32_e32 v7, 1, v6
	v_cmp_ge_u32_e32 vcc, v5, v3
	v_sub_u32_e32 v5, 0, v1
	v_cndmask_b32_e32 v3, v6, v7, vcc
	v_max_i32_e32 v6, v1, v5
	v_cvt_f32_u32_e32 v5, v6
	v_xor_b32_e32 v4, s11, v4
	v_xor_b32_e32 v3, v3, v4
	v_sub_u32_e32 v20, v3, v4
	s_waitcnt lgkmcnt(0)
	v_rcp_iflag_f32_e32 v3, v5
	s_barrier
	buffer_load_dword v4, off, s[0:3], s32 offset:204 ; 4-byte Folded Reload
	buffer_load_dword v5, off, s[0:3], s32 offset:208 ; 4-byte Folded Reload
	v_mul_f32_e32 v3, 0x4f7ffffe, v3
	s_waitcnt vmcnt(0)
	v_cvt_u32_f32_e32 v5, v3
	buffer_store_dword v6, off, s[0:3], s32 offset:220 ; 4-byte Folded Spill
	v_sub_u32_e32 v6, 0, v6
	v_cmp_gt_i32_e32 vcc, 0, v0
	v_mul_lo_u32 v6, v6, v5
	v_mul_hi_u32 v6, v5, v6
	v_add_u32_e32 v5, v5, v6
                                        ; implicit-def: $vgpr6
	buffer_store_dword v5, off, s[0:3], s32 offset:240 ; 4-byte Folded Spill
	buffer_store_dword v6, off, s[0:3], s32 offset:232 ; 4-byte Folded Spill
	s_nop 0
	buffer_store_dword v7, off, s[0:3], s32 offset:236 ; 4-byte Folded Spill
	v_add_u32_e32 v4, -1, v4
	v_sub_u32_e32 v3, 0, v4
	v_max_i32_e32 v3, v4, v3
	v_mad_u64_u32 v[32:33], s[6:7], v3, v5, 0
	s_and_saveexec_b64 s[6:7], vcc
	s_xor_b64 s[6:7], exec, s[6:7]
	s_cbranch_execz .LBB310_7
; %bb.6:
	v_mad_u64_u32 v[6:7], s[10:11], v28, v12, v[20:21]
	v_mul_lo_u32 v0, v6, v0
	v_sub_u32_e32 v0, 1, v0
	buffer_store_dword v0, off, s[0:3], s32 offset:232 ; 4-byte Folded Spill
	s_nop 0
	buffer_store_dword v1, off, s[0:3], s32 offset:236 ; 4-byte Folded Spill
                                        ; implicit-def: $vgpr28
                                        ; implicit-def: $vgpr0
.LBB310_7:
	s_or_saveexec_b64 s[6:7], s[6:7]
	v_ashrrev_i32_e32 v4, 31, v4
	v_ashrrev_i32_e32 v1, 31, v1
	buffer_store_dword v1, off, s[0:3], s32 offset:224 ; 4-byte Folded Spill
	s_xor_b64 exec, exec, s[6:7]
	s_cbranch_execz .LBB310_9
; %bb.8:
	v_mul_lo_u32 v1, s15, v28
	v_add_u32_e32 v1, s12, v1
	v_mad_u64_u32 v[0:1], s[10:11], v1, v0, 1
	buffer_store_dword v0, off, s[0:3], s32 offset:232 ; 4-byte Folded Spill
	s_nop 0
	buffer_store_dword v1, off, s[0:3], s32 offset:236 ; 4-byte Folded Spill
.LBB310_9:
	s_or_b64 exec, exec, s[6:7]
	s_load_dword s40, s[8:9], 0x14
	s_load_dword s13, s[8:9], 0x8
	buffer_load_dword v5, off, s[0:3], s32 offset:224 ; 4-byte Folded Reload
	buffer_load_dword v7, off, s[0:3], s32 offset:220 ; 4-byte Folded Reload
	s_lshl_b32 s21, s14, 4
	v_mul_lo_u32 v0, s24, v18
	s_add_i32 s6, s21, 16
	v_ashrrev_i32_e32 v1, 31, v0
	v_lshlrev_b64 v[0:1], 2, v[0:1]
	v_mul_lo_u32 v20, v20, v23
	v_ashrrev_i32_e32 v23, 31, v20
	s_waitcnt vmcnt(1)
	v_xor_b32_e32 v4, v4, v5
	s_waitcnt vmcnt(0)
	v_mul_lo_u32 v5, v33, v7
	v_sub_u32_e32 v3, v3, v5
	v_add_u32_e32 v5, 1, v33
	v_cmp_ge_u32_e32 vcc, v3, v7
	v_sub_u32_e32 v6, v3, v7
	v_cndmask_b32_e32 v5, v33, v5, vcc
	v_cndmask_b32_e32 v3, v3, v6, vcc
	v_add_u32_e32 v6, 1, v5
	v_cmp_ge_u32_e32 vcc, v3, v7
	v_cndmask_b32_e32 v3, v5, v6, vcc
	v_xor_b32_e32 v3, v3, v4
	v_sub_u32_e32 v3, v3, v4
	buffer_load_dword v4, off, s[0:3], s32 offset:204 ; 4-byte Folded Reload
	buffer_load_dword v5, off, s[0:3], s32 offset:208 ; 4-byte Folded Reload
	v_sub_u32_e32 v3, v3, v29
	buffer_store_dword v3, off, s[0:3], s32 offset:244 ; 4-byte Folded Spill
	v_sub_u32_e32 v3, 0, v30
	v_mov_b32_e32 v7, 0xff7fffff
	v_mbcnt_lo_u32_b32 v6, -1, 0
	s_waitcnt vmcnt(2)
	v_add_u32_e32 v4, 31, v4
	s_waitcnt vmcnt(1)
	v_ashrrev_i32_e32 v5, 31, v4
	v_lshrrev_b32_e32 v5, 27, v5
	v_add_u32_e32 v4, v4, v5
	v_ashrrev_i32_e32 v28, 5, v4
	buffer_load_dword v4, off, s[0:3], s32 offset:616 ; 4-byte Folded Reload
	v_min_i32_e32 v5, s6, v28
	buffer_store_dword v5, off, s[0:3], s32 offset:228 ; 4-byte Folded Spill
	s_waitcnt vmcnt(1)
	v_lshrrev_b32_e32 v21, 6, v4
	v_or_b32_e32 v4, s21, v21
	v_cmp_lt_i32_e64 s[6:7], v4, v5
	v_ashrrev_i32_e32 v5, 31, v4
	buffer_store_dword v4, off, s[0:3], s32 offset:212 ; 4-byte Folded Spill
	s_nop 0
	buffer_store_dword v5, off, s[0:3], s32 offset:216 ; 4-byte Folded Spill
	buffer_store_dword v3, off, s[0:3], s32 offset:684 ; 4-byte Folded Spill
	;; [unrolled: 1-line block ×3, first 2 shown]
	s_nop 0
	buffer_store_dword v1, off, s[0:3], s32 offset:680 ; 4-byte Folded Spill
	v_lshl_add_u32 v0, v21, 5, s25
	buffer_store_dword v0, off, s[0:3], s32 offset:688 ; 4-byte Folded Spill
	s_and_saveexec_b64 s[26:27], s[6:7]
	s_cbranch_execz .LBB310_787
; %bb.10:
	buffer_store_dword v28, off, s[0:3], s32 offset:692 ; 4-byte Folded Spill
	buffer_store_dword v34, off, s[0:3], s32 offset:696 ; 4-byte Folded Spill
	;; [unrolled: 1-line block ×9, first 2 shown]
	buffer_load_dword v0, off, s[0:3], s32 offset:616 ; 4-byte Folded Reload
	s_ashr_i32 s23, s22, 31
	buffer_store_dword v20, off, s[0:3], s32 offset:700 ; 4-byte Folded Spill
	buffer_store_dword v23, off, s[0:3], s32 offset:704 ; 4-byte Folded Spill
	s_lshl_b64 s[16:17], s[22:23], 2
	s_getpc_b64 s[28:29]
	s_add_u32 s28, s28, llvm.amdgcn.dynlds.offset.table@rel32@lo+4
	s_addc_u32 s29, s29, llvm.amdgcn.dynlds.offset.table@rel32@hi+12
	s_add_u32 s28, s16, s28
	s_addc_u32 s29, s17, s29
	v_cmp_eq_u32_e64 s[8:9], 0, v2
	v_mov_b32_e32 v54, 0
	s_mov_b64 s[30:31], 0
	s_movk_i32 s41, 0x80
	s_movk_i32 s42, 0x7f
	s_mov_b32 s43, 0x8000
	s_mov_b32 s44, 0xffffff
	s_waitcnt vmcnt(2)
	v_bfe_u32 v7, v0, 1, 5
	v_add_co_u32_e32 v0, vcc, v8, v20
	v_addc_co_u32_e32 v1, vcc, v9, v23, vcc
	v_lshlrev_b32_e32 v3, 4, v7
	v_add_co_u32_e32 v0, vcc, v0, v3
	v_addc_co_u32_e32 v1, vcc, 0, v1, vcc
	buffer_store_dword v0, off, s[0:3], s32 offset:640 ; 4-byte Folded Spill
	s_nop 0
	buffer_store_dword v1, off, s[0:3], s32 offset:644 ; 4-byte Folded Spill
	v_lshlrev_b32_e32 v0, 2, v2
	buffer_store_dword v0, off, s[0:3], s32 offset:648 ; 4-byte Folded Spill
	s_nop 0
	buffer_store_dword v1, off, s[0:3], s32 offset:652 ; 4-byte Folded Spill
	buffer_store_dword v30, off, s[0:3], s32 offset:740 ; 4-byte Folded Spill
	buffer_load_dword v0, off, s[0:3], s32 offset:684 ; 4-byte Folded Reload
	v_lshlrev_b32_e32 v1, 8, v2
	buffer_store_dword v1, off, s[0:3], s32 offset:632 ; 4-byte Folded Spill
	buffer_load_dword v1, off, s[0:3], s32 offset:656 ; 4-byte Folded Reload
	s_load_dword s23, s[28:29], 0x0
	s_waitcnt vmcnt(2)
	v_max_i32_e32 v3, v30, v0
	v_cvt_f32_u32_e32 v0, v3
	buffer_store_dword v3, off, s[0:3], s32 offset:556 ; 4-byte Folded Spill
	s_waitcnt vmcnt(1)
	v_cmp_neq_f32_e64 s[10:11], 0, v1
	v_sub_u32_e32 v1, 0, v3
	v_rcp_iflag_f32_e32 v0, v0
	v_mul_f32_e32 v0, 0x4f7ffffe, v0
	v_cvt_u32_f32_e32 v0, v0
	v_mul_lo_u32 v1, v1, v0
	v_mul_hi_u32 v1, v0, v1
	v_add_u32_e32 v0, v0, v1
	buffer_store_dword v0, off, s[0:3], s32 offset:560 ; 4-byte Folded Spill
	s_nop 0
	buffer_store_dword v1, off, s[0:3], s32 offset:564 ; 4-byte Folded Spill
	buffer_load_dword v2, off, s[0:3], s32 offset:212 ; 4-byte Folded Reload
	buffer_load_dword v3, off, s[0:3], s32 offset:216 ; 4-byte Folded Reload
	;; [unrolled: 1-line block ×4, first 2 shown]
	s_waitcnt vmcnt(2)
	v_lshlrev_b64 v[0:1], 2, v[2:3]
	s_waitcnt vmcnt(1)
	v_add_co_u32_e32 v0, vcc, v4, v0
	s_waitcnt vmcnt(0)
	v_addc_co_u32_e32 v1, vcc, v5, v1, vcc
	v_add_co_u32_e32 v32, vcc, v14, v0
	v_lshl_add_u32 v0, v21, 5, s25
	v_accvgpr_write_b32 a1, v0
	v_lshlrev_b32_e32 v0, 2, v7
	buffer_store_dword v14, off, s[0:3], s32 offset:744 ; 4-byte Folded Spill
	buffer_store_dword v15, off, s[0:3], s32 offset:748 ; 4-byte Folded Spill
	;; [unrolled: 1-line block ×3, first 2 shown]
	v_lshl_or_b32 v0, v21, 7, v0
	buffer_store_dword v7, off, s[0:3], s32 offset:664 ; 4-byte Folded Spill
	v_addc_co_u32_e32 v33, vcc, v15, v1, vcc
	v_accvgpr_write_b32 a32, v0
	buffer_load_dword v0, off, s[0:3], s32 offset:204 ; 4-byte Folded Reload
	buffer_load_dword v1, off, s[0:3], s32 offset:208 ; 4-byte Folded Reload
	s_waitcnt vmcnt(0)
	v_mov_b32_e32 v1, v2
	v_sub_u32_e32 v0, v7, v0
	v_add_u32_e32 v0, 1, v0
	buffer_store_dword v0, off, s[0:3], s32 offset:668 ; 4-byte Folded Spill
	v_mbcnt_hi_u32_b32 v0, -1, v6
	buffer_store_dword v0, off, s[0:3], s32 offset:636 ; 4-byte Folded Spill
	v_mov_b32_e32 v0, 0xff7fffff
	buffer_store_dword v0, off, s[0:3], s32 offset:628 ; 4-byte Folded Spill
	s_branch .LBB310_13
.LBB310_11:                             ;   in Loop: Header=BB310_13 Depth=1
	s_or_b64 exec, exec, s[34:35]
.LBB310_12:                             ;   in Loop: Header=BB310_13 Depth=1
	s_or_b64 exec, exec, s[16:17]
	v_accvgpr_read_b32 v0, a1
	s_waitcnt lgkmcnt(0)
	buffer_load_dword v1, off, s[0:3], s32 offset:248 ; 4-byte Folded Reload
	v_add_u32_e32 v0, 64, v0
	v_accvgpr_write_b32 a1, v0
	buffer_load_dword v0, off, s[0:3], s32 offset:228 ; 4-byte Folded Reload
	v_add_co_u32_e32 v32, vcc, 8, v32
	v_addc_co_u32_e32 v33, vcc, 0, v33, vcc
	s_waitcnt vmcnt(1)
	v_add_u32_e32 v1, 2, v1
	s_waitcnt vmcnt(0)
	v_cmp_ge_i32_e32 vcc, v1, v0
	v_accvgpr_read_b32 v0, a32
	v_add_u32_e32 v0, 0x100, v0
	s_or_b64 s[30:31], vcc, s[30:31]
	v_accvgpr_write_b32 a32, v0
	s_andn2_b64 exec, exec, s[30:31]
	s_cbranch_execz .LBB310_786
.LBB310_13:                             ; =>This Inner Loop Header: Depth=1
	buffer_store_dword v1, off, s[0:3], s32 offset:248 ; 4-byte Folded Spill
	buffer_load_dword v1, off, s[0:3], s32 offset:224 ; 4-byte Folded Reload
	v_accvgpr_read_b32 v2, a1
	buffer_load_dword v4, off, s[0:3], s32 offset:220 ; 4-byte Folded Reload
	v_ashrrev_i32_e32 v0, 31, v2
	s_waitcnt vmcnt(1)
	v_xor_b32_e32 v0, v0, v1
	v_sub_u32_e32 v1, 0, v2
	v_max_i32_e32 v1, v2, v1
	buffer_load_dword v2, off, s[0:3], s32 offset:240 ; 4-byte Folded Reload
	s_waitcnt vmcnt(0)
	v_mul_hi_u32 v2, v1, v2
	v_mul_lo_u32 v3, v2, v4
	v_sub_u32_e32 v1, v1, v3
	v_add_u32_e32 v3, 1, v2
	v_cmp_ge_u32_e32 vcc, v1, v4
	v_cndmask_b32_e32 v2, v2, v3, vcc
	v_sub_u32_e32 v3, v1, v4
	v_cndmask_b32_e32 v1, v1, v3, vcc
	v_add_u32_e32 v3, 1, v2
	v_cmp_ge_u32_e32 vcc, v1, v4
	v_cndmask_b32_e32 v1, v2, v3, vcc
	buffer_load_dword v2, off, s[0:3], s32 offset:232 ; 4-byte Folded Reload
	buffer_load_dword v3, off, s[0:3], s32 offset:236 ; 4-byte Folded Reload
	;; [unrolled: 1-line block ×4, first 2 shown]
	v_xor_b32_e32 v1, v1, v0
	v_sub_u32_e32 v0, v1, v0
	s_waitcnt vmcnt(3)
	v_add_u32_e32 v1, v0, v2
	s_waitcnt vmcnt(2)
	v_sub_u32_e32 v3, 0, v1
	v_ashrrev_i32_e32 v2, 31, v1
	v_max_i32_e32 v1, v1, v3
	s_waitcnt vmcnt(1)
	v_mul_hi_u32 v3, v1, v4
	buffer_load_dword v4, off, s[0:3], s32 offset:556 ; 4-byte Folded Reload
	s_waitcnt vmcnt(0)
	v_mul_lo_u32 v3, v3, v4
	v_sub_u32_e32 v1, v1, v3
	v_sub_u32_e32 v3, v1, v4
	v_cmp_ge_u32_e32 vcc, v1, v4
	v_cndmask_b32_e32 v1, v1, v3, vcc
	v_sub_u32_e32 v3, v1, v4
	v_cmp_ge_u32_e32 vcc, v1, v4
	v_cndmask_b32_e32 v1, v1, v3, vcc
	v_xor_b32_e32 v1, v1, v2
	v_sub_u32_e32 v1, v1, v2
	v_cmp_ne_u32_e32 vcc, 0, v1
	buffer_load_dword v1, off, s[0:3], s32 offset:244 ; 4-byte Folded Reload
	s_waitcnt vmcnt(0)
	v_cmp_le_i32_e64 s[16:17], v0, v1
	s_and_b64 s[16:17], vcc, s[16:17]
	s_and_b64 s[34:35], s[8:9], s[16:17]
	s_and_saveexec_b64 vcc, s[34:35]
	s_cbranch_execz .LBB310_15
; %bb.14:                               ;   in Loop: Header=BB310_13 Depth=1
	v_accvgpr_read_b32 v0, a32
	s_waitcnt lgkmcnt(0)
	v_add_u32_e32 v0, s23, v0
	v_mov_b32_e32 v1, 0xff7fffff
	ds_write_b32 v0, v1
.LBB310_15:                             ;   in Loop: Header=BB310_13 Depth=1
	s_or_b64 exec, exec, vcc
	s_xor_b64 vcc, s[16:17], -1
	s_and_saveexec_b64 s[16:17], vcc
	s_cbranch_execz .LBB310_12
; %bb.16:                               ;   in Loop: Header=BB310_13 Depth=1
	flat_load_dword v0, v[32:33]
	buffer_load_dword v4, off, s[0:3], s32 offset:640 ; 4-byte Folded Reload
	buffer_load_dword v5, off, s[0:3], s32 offset:644 ; 4-byte Folded Reload
	;; [unrolled: 1-line block ×4, first 2 shown]
	v_mov_b32_e32 v61, 0
	s_waitcnt vmcnt(0) lgkmcnt(0)
	v_mad_i64_i32 v[0:1], vcc, v0, v2, v[4:5]
	buffer_load_dword v2, off, s[0:3], s32 offset:648 ; 4-byte Folded Reload
	buffer_load_dword v3, off, s[0:3], s32 offset:652 ; 4-byte Folded Reload
	s_waitcnt vmcnt(1)
	v_add_co_u32_e32 v34, vcc, v0, v2
	v_addc_co_u32_e32 v35, vcc, 0, v1, vcc
	flat_load_dword v36, v[34:35]
	buffer_load_dword v0, off, s[0:3], s32 offset:620 ; 4-byte Folded Reload
	buffer_load_dword v1, off, s[0:3], s32 offset:624 ; 4-byte Folded Reload
	s_waitcnt vmcnt(0) lgkmcnt(0)
	v_cmp_ne_u16_sdwa vcc, v36, v54 src0_sel:BYTE_0 src1_sel:DWORD
	flat_load_dword v5, v[0:1]
	v_mov_b32_e32 v0, 0
	buffer_store_dword v0, off, s[0:3], s32 offset:252 ; 4-byte Folded Spill
	s_and_saveexec_b64 s[34:35], vcc
	s_cbranch_execz .LBB310_22
; %bb.17:                               ;   in Loop: Header=BB310_13 Depth=1
	v_cmp_ne_u16_sdwa vcc, v36, s41 src0_sel:BYTE_0 src1_sel:DWORD
	v_bfrev_b32_e32 v61, 1
	s_and_saveexec_b64 s[36:37], vcc
	s_cbranch_execz .LBB310_21
; %bb.18:                               ;   in Loop: Header=BB310_13 Depth=1
	v_and_b32_e32 v0, 0x7f, v36
	v_cmp_ne_u32_e32 vcc, s42, v0
	v_mov_b32_e32 v61, 0x7fc02000
	s_and_saveexec_b64 s[38:39], vcc
	s_cbranch_execz .LBB310_20
; %bb.19:                               ;   in Loop: Header=BB310_13 Depth=1
	v_and_b32_e32 v1, 7, v36
	v_ffbh_u32_e32 v2, v1
	v_min_u32_e32 v6, 32, v2
	v_subrev_u32_e32 v2, 28, v6
	v_lshlrev_b64 v[2:3], v2, v[36:37]
	v_lshrrev_b32_e32 v4, 3, v0
	v_sub_u32_e32 v3, 29, v6
	v_cmp_gt_u32_e32 vcc, 8, v0
	v_and_b32_e32 v2, 7, v2
	v_cndmask_b32_e32 v0, v4, v3, vcc
	v_mov_b32_e32 v3, 0x2000
	v_cndmask_b32_e32 v1, v1, v2, vcc
	v_lshlrev_b32_e32 v2, 8, v36
	v_lshl_add_u32 v0, v0, 10, v3
	v_and_or_b32 v0, v2, s43, v0
	v_lshl_or_b32 v0, v1, 7, v0
	v_cvt_f32_f16_e32 v61, v0
.LBB310_20:                             ;   in Loop: Header=BB310_13 Depth=1
	s_or_b64 exec, exec, s[38:39]
.LBB310_21:                             ;   in Loop: Header=BB310_13 Depth=1
	s_or_b64 exec, exec, s[36:37]
.LBB310_22:                             ;   in Loop: Header=BB310_13 Depth=1
	s_or_b64 exec, exec, s[34:35]
	v_lshrrev_b16_e32 v38, 8, v36
	v_cmp_ne_u16_e32 vcc, 0, v38
	s_and_saveexec_b64 s[34:35], vcc
	s_cbranch_execz .LBB310_28
; %bb.23:                               ;   in Loop: Header=BB310_13 Depth=1
	v_cmp_ne_u16_e32 vcc, s41, v38
	v_bfrev_b32_e32 v0, 1
	buffer_store_dword v0, off, s[0:3], s32 offset:252 ; 4-byte Folded Spill
	s_and_saveexec_b64 s[36:37], vcc
	s_cbranch_execz .LBB310_27
; %bb.24:                               ;   in Loop: Header=BB310_13 Depth=1
	v_and_b32_e32 v0, 0x7f, v38
	v_cmp_ne_u32_e32 vcc, s42, v0
	v_mov_b32_e32 v1, 0x7fc02000
	buffer_store_dword v1, off, s[0:3], s32 offset:252 ; 4-byte Folded Spill
	s_and_saveexec_b64 s[38:39], vcc
	s_cbranch_execz .LBB310_26
; %bb.25:                               ;   in Loop: Header=BB310_13 Depth=1
	v_and_b32_e32 v1, 7, v38
	v_ffbh_u32_e32 v2, v1
	v_min_u32_e32 v6, 32, v2
	v_subrev_u32_e32 v2, 28, v6
	v_lshlrev_b64 v[2:3], v2, v[38:39]
	v_lshrrev_b32_e32 v4, 3, v0
	v_sub_u32_e32 v3, 29, v6
	v_cmp_gt_u32_e32 vcc, 8, v0
	v_and_b32_e32 v2, 7, v2
	v_cndmask_b32_e32 v0, v4, v3, vcc
	v_mov_b32_e32 v3, 0x2000
	v_cndmask_b32_e32 v1, v1, v2, vcc
	v_lshlrev_b32_e32 v2, 8, v38
	v_lshl_add_u32 v0, v0, 10, v3
	v_and_or_b32 v0, v2, s43, v0
	v_lshl_or_b32 v0, v1, 7, v0
	v_cvt_f32_f16_e32 v0, v0
	buffer_store_dword v0, off, s[0:3], s32 offset:252 ; 4-byte Folded Spill
.LBB310_26:                             ;   in Loop: Header=BB310_13 Depth=1
	s_or_b64 exec, exec, s[38:39]
.LBB310_27:                             ;   in Loop: Header=BB310_13 Depth=1
	s_or_b64 exec, exec, s[36:37]
.LBB310_28:                             ;   in Loop: Header=BB310_13 Depth=1
	s_or_b64 exec, exec, s[34:35]
	v_lshrrev_b32_e32 v38, 16, v36
	v_mov_b32_e32 v0, 0
	v_cmp_ne_u16_sdwa vcc, v38, v54 src0_sel:BYTE_0 src1_sel:DWORD
	buffer_store_dword v0, off, s[0:3], s32 offset:260 ; 4-byte Folded Spill
	v_mov_b32_e32 v0, 0
	buffer_store_dword v0, off, s[0:3], s32 offset:256 ; 4-byte Folded Spill
	s_and_saveexec_b64 s[34:35], vcc
	s_cbranch_execz .LBB310_34
; %bb.29:                               ;   in Loop: Header=BB310_13 Depth=1
	v_cmp_ne_u16_sdwa vcc, v38, s41 src0_sel:BYTE_0 src1_sel:DWORD
	v_bfrev_b32_e32 v0, 1
	buffer_store_dword v0, off, s[0:3], s32 offset:256 ; 4-byte Folded Spill
	s_and_saveexec_b64 s[36:37], vcc
	s_cbranch_execz .LBB310_33
; %bb.30:                               ;   in Loop: Header=BB310_13 Depth=1
	v_bfe_u32 v0, v36, 16, 7
	v_cmp_ne_u32_e32 vcc, s42, v0
	v_mov_b32_e32 v1, 0x7fc02000
	buffer_store_dword v1, off, s[0:3], s32 offset:256 ; 4-byte Folded Spill
	s_and_saveexec_b64 s[38:39], vcc
	s_cbranch_execz .LBB310_32
; %bb.31:                               ;   in Loop: Header=BB310_13 Depth=1
	v_and_b32_e32 v1, 7, v38
	v_ffbh_u32_e32 v2, v1
	v_min_u32_e32 v6, 32, v2
	v_subrev_u32_e32 v2, 28, v6
	v_lshlrev_b64 v[2:3], v2, v[38:39]
	v_lshrrev_b32_e32 v4, 3, v0
	v_sub_u32_e32 v3, 29, v6
	v_cmp_gt_u32_e32 vcc, 8, v0
	v_and_b32_e32 v2, 7, v2
	v_cndmask_b32_e32 v0, v4, v3, vcc
	v_mov_b32_e32 v3, 0x2000
	v_cndmask_b32_e32 v1, v1, v2, vcc
	v_lshlrev_b32_e32 v2, 8, v38
	v_lshl_add_u32 v0, v0, 10, v3
	v_and_or_b32 v0, v2, s43, v0
	v_lshl_or_b32 v0, v1, 7, v0
	v_cvt_f32_f16_e32 v0, v0
	buffer_store_dword v0, off, s[0:3], s32 offset:256 ; 4-byte Folded Spill
.LBB310_32:                             ;   in Loop: Header=BB310_13 Depth=1
	s_or_b64 exec, exec, s[38:39]
.LBB310_33:                             ;   in Loop: Header=BB310_13 Depth=1
	s_or_b64 exec, exec, s[36:37]
.LBB310_34:                             ;   in Loop: Header=BB310_13 Depth=1
	s_or_b64 exec, exec, s[34:35]
	v_cmp_lt_u32_e32 vcc, s44, v36
	s_and_saveexec_b64 s[34:35], vcc
	s_cbranch_execz .LBB310_40
; %bb.35:                               ;   in Loop: Header=BB310_13 Depth=1
	v_lshrrev_b32_e32 v36, 24, v36
	v_cmp_ne_u32_e32 vcc, s41, v36
	v_bfrev_b32_e32 v0, 1
	buffer_store_dword v0, off, s[0:3], s32 offset:260 ; 4-byte Folded Spill
	s_and_saveexec_b64 s[36:37], vcc
	s_cbranch_execz .LBB310_39
; %bb.36:                               ;   in Loop: Header=BB310_13 Depth=1
	v_and_b32_e32 v0, 0x7f, v36
	v_cmp_ne_u32_e32 vcc, s42, v0
	v_mov_b32_e32 v1, 0x7fc02000
	buffer_store_dword v1, off, s[0:3], s32 offset:260 ; 4-byte Folded Spill
	s_and_saveexec_b64 s[38:39], vcc
	s_cbranch_execz .LBB310_38
; %bb.37:                               ;   in Loop: Header=BB310_13 Depth=1
	v_and_b32_e32 v1, 7, v36
	v_ffbh_u32_e32 v2, v1
	v_min_u32_e32 v6, 32, v2
	v_subrev_u32_e32 v2, 28, v6
	v_lshlrev_b64 v[2:3], v2, v[36:37]
	v_lshrrev_b32_e32 v4, 3, v0
	v_sub_u32_e32 v3, 29, v6
	v_cmp_gt_u32_e32 vcc, 8, v0
	v_and_b32_e32 v2, 7, v2
	v_cndmask_b32_e32 v0, v4, v3, vcc
	v_mov_b32_e32 v3, 0x2000
	v_cndmask_b32_e32 v1, v1, v2, vcc
	v_lshlrev_b32_e32 v2, 8, v36
	v_lshl_add_u32 v0, v0, 10, v3
	v_and_or_b32 v0, v2, s43, v0
	v_lshl_or_b32 v0, v1, 7, v0
	v_cvt_f32_f16_e32 v0, v0
	buffer_store_dword v0, off, s[0:3], s32 offset:260 ; 4-byte Folded Spill
.LBB310_38:                             ;   in Loop: Header=BB310_13 Depth=1
	s_or_b64 exec, exec, s[38:39]
.LBB310_39:                             ;   in Loop: Header=BB310_13 Depth=1
	s_or_b64 exec, exec, s[36:37]
.LBB310_40:                             ;   in Loop: Header=BB310_13 Depth=1
	s_or_b64 exec, exec, s[34:35]
	flat_load_dword v36, v[34:35] offset:8
	v_mov_b32_e32 v0, 0
	buffer_store_dword v0, off, s[0:3], s32 offset:264 ; 4-byte Folded Spill
	v_mov_b32_e32 v0, 0
	buffer_store_dword v0, off, s[0:3], s32 offset:276 ; 4-byte Folded Spill
	s_waitcnt vmcnt(0) lgkmcnt(0)
	v_cmp_ne_u16_sdwa vcc, v36, v54 src0_sel:BYTE_0 src1_sel:DWORD
	s_and_saveexec_b64 s[34:35], vcc
	s_cbranch_execz .LBB310_46
; %bb.41:                               ;   in Loop: Header=BB310_13 Depth=1
	v_cmp_ne_u16_sdwa vcc, v36, s41 src0_sel:BYTE_0 src1_sel:DWORD
	v_bfrev_b32_e32 v0, 1
	buffer_store_dword v0, off, s[0:3], s32 offset:276 ; 4-byte Folded Spill
	s_and_saveexec_b64 s[36:37], vcc
	s_cbranch_execz .LBB310_45
; %bb.42:                               ;   in Loop: Header=BB310_13 Depth=1
	v_and_b32_e32 v0, 0x7f, v36
	v_cmp_ne_u32_e32 vcc, s42, v0
	v_mov_b32_e32 v1, 0x7fc02000
	buffer_store_dword v1, off, s[0:3], s32 offset:276 ; 4-byte Folded Spill
	s_and_saveexec_b64 s[38:39], vcc
	s_cbranch_execz .LBB310_44
; %bb.43:                               ;   in Loop: Header=BB310_13 Depth=1
	v_and_b32_e32 v1, 7, v36
	v_ffbh_u32_e32 v2, v1
	v_min_u32_e32 v6, 32, v2
	v_subrev_u32_e32 v2, 28, v6
	v_lshlrev_b64 v[2:3], v2, v[36:37]
	v_lshrrev_b32_e32 v4, 3, v0
	v_sub_u32_e32 v3, 29, v6
	v_cmp_gt_u32_e32 vcc, 8, v0
	v_and_b32_e32 v2, 7, v2
	v_cndmask_b32_e32 v0, v4, v3, vcc
	v_mov_b32_e32 v3, 0x2000
	v_cndmask_b32_e32 v1, v1, v2, vcc
	v_lshlrev_b32_e32 v2, 8, v36
	v_lshl_add_u32 v0, v0, 10, v3
	v_and_or_b32 v0, v2, s43, v0
	v_lshl_or_b32 v0, v1, 7, v0
	v_cvt_f32_f16_e32 v0, v0
	buffer_store_dword v0, off, s[0:3], s32 offset:276 ; 4-byte Folded Spill
.LBB310_44:                             ;   in Loop: Header=BB310_13 Depth=1
	s_or_b64 exec, exec, s[38:39]
.LBB310_45:                             ;   in Loop: Header=BB310_13 Depth=1
	s_or_b64 exec, exec, s[36:37]
.LBB310_46:                             ;   in Loop: Header=BB310_13 Depth=1
	s_or_b64 exec, exec, s[34:35]
	v_lshrrev_b16_e32 v38, 8, v36
	v_cmp_ne_u16_e32 vcc, 0, v38
	s_and_saveexec_b64 s[34:35], vcc
	s_cbranch_execz .LBB310_52
; %bb.47:                               ;   in Loop: Header=BB310_13 Depth=1
	v_cmp_ne_u16_e32 vcc, s41, v38
	v_bfrev_b32_e32 v0, 1
	buffer_store_dword v0, off, s[0:3], s32 offset:264 ; 4-byte Folded Spill
	s_and_saveexec_b64 s[36:37], vcc
	s_cbranch_execz .LBB310_51
; %bb.48:                               ;   in Loop: Header=BB310_13 Depth=1
	v_and_b32_e32 v0, 0x7f, v38
	v_cmp_ne_u32_e32 vcc, s42, v0
	v_mov_b32_e32 v1, 0x7fc02000
	buffer_store_dword v1, off, s[0:3], s32 offset:264 ; 4-byte Folded Spill
	s_and_saveexec_b64 s[38:39], vcc
	s_cbranch_execz .LBB310_50
; %bb.49:                               ;   in Loop: Header=BB310_13 Depth=1
	v_and_b32_e32 v2, 7, v38
	v_lshrrev_b32_e32 v3, 3, v0
	v_cmp_gt_u32_e32 vcc, 8, v0
	v_ffbh_u32_e32 v0, v2
	v_min_u32_e32 v4, 32, v0
	v_subrev_u32_e32 v0, 28, v4
	v_lshlrev_b64 v[0:1], v0, v[38:39]
	v_sub_u32_e32 v1, 29, v4
	v_and_b32_e32 v0, 7, v0
	v_cndmask_b32_e32 v1, v3, v1, vcc
	v_mov_b32_e32 v3, 0x2000
	v_cndmask_b32_e32 v0, v2, v0, vcc
	v_lshlrev_b32_e32 v2, 8, v38
	v_lshl_add_u32 v1, v1, 10, v3
	v_and_or_b32 v1, v2, s43, v1
	v_lshl_or_b32 v0, v0, 7, v1
	v_cvt_f32_f16_e32 v0, v0
	buffer_store_dword v0, off, s[0:3], s32 offset:264 ; 4-byte Folded Spill
.LBB310_50:                             ;   in Loop: Header=BB310_13 Depth=1
	s_or_b64 exec, exec, s[38:39]
.LBB310_51:                             ;   in Loop: Header=BB310_13 Depth=1
	s_or_b64 exec, exec, s[36:37]
.LBB310_52:                             ;   in Loop: Header=BB310_13 Depth=1
	s_or_b64 exec, exec, s[34:35]
	v_lshrrev_b32_e32 v38, 16, v36
	v_mov_b32_e32 v0, 0
	v_cmp_ne_u16_sdwa vcc, v38, v54 src0_sel:BYTE_0 src1_sel:DWORD
	buffer_store_dword v0, off, s[0:3], s32 offset:268 ; 4-byte Folded Spill
	v_mov_b32_e32 v0, 0
	buffer_store_dword v0, off, s[0:3], s32 offset:272 ; 4-byte Folded Spill
	s_and_saveexec_b64 s[34:35], vcc
	s_cbranch_execz .LBB310_58
; %bb.53:                               ;   in Loop: Header=BB310_13 Depth=1
	v_cmp_ne_u16_sdwa vcc, v38, s41 src0_sel:BYTE_0 src1_sel:DWORD
	v_bfrev_b32_e32 v0, 1
	buffer_store_dword v0, off, s[0:3], s32 offset:272 ; 4-byte Folded Spill
	s_and_saveexec_b64 s[36:37], vcc
	s_cbranch_execz .LBB310_57
; %bb.54:                               ;   in Loop: Header=BB310_13 Depth=1
	v_bfe_u32 v0, v36, 16, 7
	v_cmp_ne_u32_e32 vcc, s42, v0
	v_mov_b32_e32 v1, 0x7fc02000
	buffer_store_dword v1, off, s[0:3], s32 offset:272 ; 4-byte Folded Spill
	s_and_saveexec_b64 s[38:39], vcc
	s_cbranch_execz .LBB310_56
; %bb.55:                               ;   in Loop: Header=BB310_13 Depth=1
	v_and_b32_e32 v1, 7, v38
	v_ffbh_u32_e32 v2, v1
	v_min_u32_e32 v6, 32, v2
	v_subrev_u32_e32 v2, 28, v6
	v_lshlrev_b64 v[2:3], v2, v[38:39]
	v_lshrrev_b32_e32 v4, 3, v0
	v_sub_u32_e32 v3, 29, v6
	v_cmp_gt_u32_e32 vcc, 8, v0
	v_and_b32_e32 v2, 7, v2
	v_cndmask_b32_e32 v0, v4, v3, vcc
	v_mov_b32_e32 v3, 0x2000
	v_cndmask_b32_e32 v1, v1, v2, vcc
	v_lshlrev_b32_e32 v2, 8, v38
	v_lshl_add_u32 v0, v0, 10, v3
	v_and_or_b32 v0, v2, s43, v0
	v_lshl_or_b32 v0, v1, 7, v0
	v_cvt_f32_f16_e32 v0, v0
	buffer_store_dword v0, off, s[0:3], s32 offset:272 ; 4-byte Folded Spill
.LBB310_56:                             ;   in Loop: Header=BB310_13 Depth=1
	s_or_b64 exec, exec, s[38:39]
.LBB310_57:                             ;   in Loop: Header=BB310_13 Depth=1
	s_or_b64 exec, exec, s[36:37]
.LBB310_58:                             ;   in Loop: Header=BB310_13 Depth=1
	s_or_b64 exec, exec, s[34:35]
	v_cmp_lt_u32_e32 vcc, s44, v36
	s_and_saveexec_b64 s[34:35], vcc
	s_cbranch_execz .LBB310_64
; %bb.59:                               ;   in Loop: Header=BB310_13 Depth=1
	v_lshrrev_b32_e32 v36, 24, v36
	v_cmp_ne_u32_e32 vcc, s41, v36
	v_bfrev_b32_e32 v0, 1
	buffer_store_dword v0, off, s[0:3], s32 offset:268 ; 4-byte Folded Spill
	s_and_saveexec_b64 s[36:37], vcc
	s_cbranch_execz .LBB310_63
; %bb.60:                               ;   in Loop: Header=BB310_13 Depth=1
	v_and_b32_e32 v0, 0x7f, v36
	v_cmp_ne_u32_e32 vcc, s42, v0
	v_mov_b32_e32 v1, 0x7fc02000
	buffer_store_dword v1, off, s[0:3], s32 offset:268 ; 4-byte Folded Spill
	s_and_saveexec_b64 s[38:39], vcc
	s_cbranch_execz .LBB310_62
; %bb.61:                               ;   in Loop: Header=BB310_13 Depth=1
	v_and_b32_e32 v1, 7, v36
	v_ffbh_u32_e32 v2, v1
	v_min_u32_e32 v6, 32, v2
	v_subrev_u32_e32 v2, 28, v6
	v_lshlrev_b64 v[2:3], v2, v[36:37]
	v_lshrrev_b32_e32 v4, 3, v0
	v_sub_u32_e32 v3, 29, v6
	v_cmp_gt_u32_e32 vcc, 8, v0
	v_and_b32_e32 v2, 7, v2
	v_cndmask_b32_e32 v0, v4, v3, vcc
	v_mov_b32_e32 v3, 0x2000
	v_cndmask_b32_e32 v1, v1, v2, vcc
	v_lshlrev_b32_e32 v2, 8, v36
	v_lshl_add_u32 v0, v0, 10, v3
	v_and_or_b32 v0, v2, s43, v0
	v_lshl_or_b32 v0, v1, 7, v0
	v_cvt_f32_f16_e32 v0, v0
	buffer_store_dword v0, off, s[0:3], s32 offset:268 ; 4-byte Folded Spill
.LBB310_62:                             ;   in Loop: Header=BB310_13 Depth=1
	s_or_b64 exec, exec, s[38:39]
.LBB310_63:                             ;   in Loop: Header=BB310_13 Depth=1
	s_or_b64 exec, exec, s[36:37]
.LBB310_64:                             ;   in Loop: Header=BB310_13 Depth=1
	s_or_b64 exec, exec, s[34:35]
	flat_load_dword v36, v[34:35] offset:512
	v_mov_b32_e32 v0, 0
	buffer_store_dword v0, off, s[0:3], s32 offset:292 ; 4-byte Folded Spill
	v_mov_b32_e32 v0, 0
	buffer_store_dword v0, off, s[0:3], s32 offset:280 ; 4-byte Folded Spill
	s_waitcnt vmcnt(0) lgkmcnt(0)
	v_cmp_ne_u16_sdwa vcc, v36, v54 src0_sel:BYTE_0 src1_sel:DWORD
	s_and_saveexec_b64 s[34:35], vcc
	s_cbranch_execz .LBB310_70
; %bb.65:                               ;   in Loop: Header=BB310_13 Depth=1
	v_cmp_ne_u16_sdwa vcc, v36, s41 src0_sel:BYTE_0 src1_sel:DWORD
	v_bfrev_b32_e32 v0, 1
	buffer_store_dword v0, off, s[0:3], s32 offset:280 ; 4-byte Folded Spill
	s_and_saveexec_b64 s[36:37], vcc
	s_cbranch_execz .LBB310_69
; %bb.66:                               ;   in Loop: Header=BB310_13 Depth=1
	v_and_b32_e32 v0, 0x7f, v36
	v_cmp_ne_u32_e32 vcc, s42, v0
	v_mov_b32_e32 v1, 0x7fc02000
	buffer_store_dword v1, off, s[0:3], s32 offset:280 ; 4-byte Folded Spill
	s_and_saveexec_b64 s[38:39], vcc
	s_cbranch_execz .LBB310_68
; %bb.67:                               ;   in Loop: Header=BB310_13 Depth=1
	v_and_b32_e32 v1, 7, v36
	v_ffbh_u32_e32 v2, v1
	v_min_u32_e32 v6, 32, v2
	v_subrev_u32_e32 v2, 28, v6
	v_lshlrev_b64 v[2:3], v2, v[36:37]
	v_lshrrev_b32_e32 v4, 3, v0
	v_sub_u32_e32 v3, 29, v6
	v_cmp_gt_u32_e32 vcc, 8, v0
	v_and_b32_e32 v2, 7, v2
	v_cndmask_b32_e32 v0, v4, v3, vcc
	v_mov_b32_e32 v3, 0x2000
	v_cndmask_b32_e32 v1, v1, v2, vcc
	v_lshlrev_b32_e32 v2, 8, v36
	v_lshl_add_u32 v0, v0, 10, v3
	v_and_or_b32 v0, v2, s43, v0
	v_lshl_or_b32 v0, v1, 7, v0
	v_cvt_f32_f16_e32 v0, v0
	buffer_store_dword v0, off, s[0:3], s32 offset:280 ; 4-byte Folded Spill
.LBB310_68:                             ;   in Loop: Header=BB310_13 Depth=1
	s_or_b64 exec, exec, s[38:39]
.LBB310_69:                             ;   in Loop: Header=BB310_13 Depth=1
	s_or_b64 exec, exec, s[36:37]
.LBB310_70:                             ;   in Loop: Header=BB310_13 Depth=1
	s_or_b64 exec, exec, s[34:35]
	v_lshrrev_b16_e32 v38, 8, v36
	v_cmp_ne_u16_e32 vcc, 0, v38
	s_and_saveexec_b64 s[34:35], vcc
	s_cbranch_execz .LBB310_76
; %bb.71:                               ;   in Loop: Header=BB310_13 Depth=1
	v_cmp_ne_u16_e32 vcc, s41, v38
	v_bfrev_b32_e32 v0, 1
	buffer_store_dword v0, off, s[0:3], s32 offset:292 ; 4-byte Folded Spill
	s_and_saveexec_b64 s[36:37], vcc
	s_cbranch_execz .LBB310_75
; %bb.72:                               ;   in Loop: Header=BB310_13 Depth=1
	v_and_b32_e32 v0, 0x7f, v38
	v_cmp_ne_u32_e32 vcc, s42, v0
	v_mov_b32_e32 v1, 0x7fc02000
	buffer_store_dword v1, off, s[0:3], s32 offset:292 ; 4-byte Folded Spill
	s_and_saveexec_b64 s[38:39], vcc
	s_cbranch_execz .LBB310_74
; %bb.73:                               ;   in Loop: Header=BB310_13 Depth=1
	v_and_b32_e32 v1, 7, v38
	v_ffbh_u32_e32 v2, v1
	v_min_u32_e32 v6, 32, v2
	v_subrev_u32_e32 v2, 28, v6
	v_lshlrev_b64 v[2:3], v2, v[38:39]
	v_lshrrev_b32_e32 v4, 3, v0
	v_sub_u32_e32 v3, 29, v6
	v_cmp_gt_u32_e32 vcc, 8, v0
	v_and_b32_e32 v2, 7, v2
	v_cndmask_b32_e32 v0, v4, v3, vcc
	v_mov_b32_e32 v3, 0x2000
	v_cndmask_b32_e32 v1, v1, v2, vcc
	v_lshlrev_b32_e32 v2, 8, v38
	v_lshl_add_u32 v0, v0, 10, v3
	v_and_or_b32 v0, v2, s43, v0
	v_lshl_or_b32 v0, v1, 7, v0
	v_cvt_f32_f16_e32 v0, v0
	buffer_store_dword v0, off, s[0:3], s32 offset:292 ; 4-byte Folded Spill
.LBB310_74:                             ;   in Loop: Header=BB310_13 Depth=1
	s_or_b64 exec, exec, s[38:39]
.LBB310_75:                             ;   in Loop: Header=BB310_13 Depth=1
	s_or_b64 exec, exec, s[36:37]
.LBB310_76:                             ;   in Loop: Header=BB310_13 Depth=1
	s_or_b64 exec, exec, s[34:35]
	v_lshrrev_b32_e32 v38, 16, v36
	v_mov_b32_e32 v0, 0
	v_cmp_ne_u16_sdwa vcc, v38, v54 src0_sel:BYTE_0 src1_sel:DWORD
	buffer_store_dword v0, off, s[0:3], s32 offset:284 ; 4-byte Folded Spill
	v_mov_b32_e32 v0, 0
	buffer_store_dword v0, off, s[0:3], s32 offset:288 ; 4-byte Folded Spill
	s_and_saveexec_b64 s[34:35], vcc
	s_cbranch_execz .LBB310_82
; %bb.77:                               ;   in Loop: Header=BB310_13 Depth=1
	v_cmp_ne_u16_sdwa vcc, v38, s41 src0_sel:BYTE_0 src1_sel:DWORD
	v_bfrev_b32_e32 v0, 1
	buffer_store_dword v0, off, s[0:3], s32 offset:288 ; 4-byte Folded Spill
	s_and_saveexec_b64 s[36:37], vcc
	s_cbranch_execz .LBB310_81
; %bb.78:                               ;   in Loop: Header=BB310_13 Depth=1
	v_bfe_u32 v0, v36, 16, 7
	v_cmp_ne_u32_e32 vcc, s42, v0
	v_mov_b32_e32 v1, 0x7fc02000
	buffer_store_dword v1, off, s[0:3], s32 offset:288 ; 4-byte Folded Spill
	s_and_saveexec_b64 s[38:39], vcc
	s_cbranch_execz .LBB310_80
; %bb.79:                               ;   in Loop: Header=BB310_13 Depth=1
	v_and_b32_e32 v1, 7, v38
	v_ffbh_u32_e32 v2, v1
	v_min_u32_e32 v6, 32, v2
	v_subrev_u32_e32 v2, 28, v6
	v_lshlrev_b64 v[2:3], v2, v[38:39]
	v_lshrrev_b32_e32 v4, 3, v0
	v_sub_u32_e32 v3, 29, v6
	v_cmp_gt_u32_e32 vcc, 8, v0
	v_and_b32_e32 v2, 7, v2
	v_cndmask_b32_e32 v0, v4, v3, vcc
	v_mov_b32_e32 v3, 0x2000
	v_cndmask_b32_e32 v1, v1, v2, vcc
	v_lshlrev_b32_e32 v2, 8, v38
	v_lshl_add_u32 v0, v0, 10, v3
	v_and_or_b32 v0, v2, s43, v0
	v_lshl_or_b32 v0, v1, 7, v0
	v_cvt_f32_f16_e32 v0, v0
	buffer_store_dword v0, off, s[0:3], s32 offset:288 ; 4-byte Folded Spill
.LBB310_80:                             ;   in Loop: Header=BB310_13 Depth=1
	s_or_b64 exec, exec, s[38:39]
.LBB310_81:                             ;   in Loop: Header=BB310_13 Depth=1
	s_or_b64 exec, exec, s[36:37]
.LBB310_82:                             ;   in Loop: Header=BB310_13 Depth=1
	s_or_b64 exec, exec, s[34:35]
	v_cmp_lt_u32_e32 vcc, s44, v36
	s_and_saveexec_b64 s[34:35], vcc
	s_cbranch_execz .LBB310_88
; %bb.83:                               ;   in Loop: Header=BB310_13 Depth=1
	v_lshrrev_b32_e32 v36, 24, v36
	v_cmp_ne_u32_e32 vcc, s41, v36
	v_bfrev_b32_e32 v0, 1
	buffer_store_dword v0, off, s[0:3], s32 offset:284 ; 4-byte Folded Spill
	s_and_saveexec_b64 s[36:37], vcc
	s_cbranch_execz .LBB310_87
; %bb.84:                               ;   in Loop: Header=BB310_13 Depth=1
	v_and_b32_e32 v0, 0x7f, v36
	v_cmp_ne_u32_e32 vcc, s42, v0
	v_mov_b32_e32 v1, 0x7fc02000
	buffer_store_dword v1, off, s[0:3], s32 offset:284 ; 4-byte Folded Spill
	s_and_saveexec_b64 s[38:39], vcc
	s_cbranch_execz .LBB310_86
; %bb.85:                               ;   in Loop: Header=BB310_13 Depth=1
	v_and_b32_e32 v1, 7, v36
	v_ffbh_u32_e32 v2, v1
	v_min_u32_e32 v6, 32, v2
	v_subrev_u32_e32 v2, 28, v6
	v_lshlrev_b64 v[2:3], v2, v[36:37]
	v_lshrrev_b32_e32 v4, 3, v0
	v_sub_u32_e32 v3, 29, v6
	v_cmp_gt_u32_e32 vcc, 8, v0
	v_and_b32_e32 v2, 7, v2
	v_cndmask_b32_e32 v0, v4, v3, vcc
	v_mov_b32_e32 v3, 0x2000
	v_cndmask_b32_e32 v1, v1, v2, vcc
	v_lshlrev_b32_e32 v2, 8, v36
	v_lshl_add_u32 v0, v0, 10, v3
	v_and_or_b32 v0, v2, s43, v0
	v_lshl_or_b32 v0, v1, 7, v0
	v_cvt_f32_f16_e32 v0, v0
	buffer_store_dword v0, off, s[0:3], s32 offset:284 ; 4-byte Folded Spill
.LBB310_86:                             ;   in Loop: Header=BB310_13 Depth=1
	s_or_b64 exec, exec, s[38:39]
.LBB310_87:                             ;   in Loop: Header=BB310_13 Depth=1
	s_or_b64 exec, exec, s[36:37]
.LBB310_88:                             ;   in Loop: Header=BB310_13 Depth=1
	s_or_b64 exec, exec, s[34:35]
	flat_load_dword v36, v[34:35] offset:520
	v_mov_b32_e32 v0, 0
	buffer_store_dword v0, off, s[0:3], s32 offset:296 ; 4-byte Folded Spill
	v_mov_b32_e32 v0, 0
	buffer_store_dword v0, off, s[0:3], s32 offset:308 ; 4-byte Folded Spill
	s_waitcnt vmcnt(0) lgkmcnt(0)
	v_cmp_ne_u16_sdwa vcc, v36, v54 src0_sel:BYTE_0 src1_sel:DWORD
	s_and_saveexec_b64 s[34:35], vcc
	s_cbranch_execz .LBB310_94
; %bb.89:                               ;   in Loop: Header=BB310_13 Depth=1
	v_cmp_ne_u16_sdwa vcc, v36, s41 src0_sel:BYTE_0 src1_sel:DWORD
	v_bfrev_b32_e32 v0, 1
	buffer_store_dword v0, off, s[0:3], s32 offset:308 ; 4-byte Folded Spill
	s_and_saveexec_b64 s[36:37], vcc
	s_cbranch_execz .LBB310_93
; %bb.90:                               ;   in Loop: Header=BB310_13 Depth=1
	v_and_b32_e32 v0, 0x7f, v36
	v_cmp_ne_u32_e32 vcc, s42, v0
	v_mov_b32_e32 v1, 0x7fc02000
	buffer_store_dword v1, off, s[0:3], s32 offset:308 ; 4-byte Folded Spill
	s_and_saveexec_b64 s[38:39], vcc
	s_cbranch_execz .LBB310_92
; %bb.91:                               ;   in Loop: Header=BB310_13 Depth=1
	v_and_b32_e32 v1, 7, v36
	v_ffbh_u32_e32 v2, v1
	v_min_u32_e32 v6, 32, v2
	v_subrev_u32_e32 v2, 28, v6
	v_lshlrev_b64 v[2:3], v2, v[36:37]
	v_lshrrev_b32_e32 v4, 3, v0
	v_sub_u32_e32 v3, 29, v6
	v_cmp_gt_u32_e32 vcc, 8, v0
	v_and_b32_e32 v2, 7, v2
	v_cndmask_b32_e32 v0, v4, v3, vcc
	v_mov_b32_e32 v3, 0x2000
	v_cndmask_b32_e32 v1, v1, v2, vcc
	v_lshlrev_b32_e32 v2, 8, v36
	v_lshl_add_u32 v0, v0, 10, v3
	v_and_or_b32 v0, v2, s43, v0
	v_lshl_or_b32 v0, v1, 7, v0
	v_cvt_f32_f16_e32 v0, v0
	buffer_store_dword v0, off, s[0:3], s32 offset:308 ; 4-byte Folded Spill
.LBB310_92:                             ;   in Loop: Header=BB310_13 Depth=1
	s_or_b64 exec, exec, s[38:39]
.LBB310_93:                             ;   in Loop: Header=BB310_13 Depth=1
	s_or_b64 exec, exec, s[36:37]
.LBB310_94:                             ;   in Loop: Header=BB310_13 Depth=1
	s_or_b64 exec, exec, s[34:35]
	v_lshrrev_b16_e32 v38, 8, v36
	v_cmp_ne_u16_e32 vcc, 0, v38
	s_and_saveexec_b64 s[34:35], vcc
	s_cbranch_execz .LBB310_100
; %bb.95:                               ;   in Loop: Header=BB310_13 Depth=1
	v_cmp_ne_u16_e32 vcc, s41, v38
	v_bfrev_b32_e32 v0, 1
	buffer_store_dword v0, off, s[0:3], s32 offset:296 ; 4-byte Folded Spill
	s_and_saveexec_b64 s[36:37], vcc
	s_cbranch_execz .LBB310_99
; %bb.96:                               ;   in Loop: Header=BB310_13 Depth=1
	v_and_b32_e32 v0, 0x7f, v38
	v_cmp_ne_u32_e32 vcc, s42, v0
	v_mov_b32_e32 v1, 0x7fc02000
	buffer_store_dword v1, off, s[0:3], s32 offset:296 ; 4-byte Folded Spill
	s_and_saveexec_b64 s[38:39], vcc
	s_cbranch_execz .LBB310_98
; %bb.97:                               ;   in Loop: Header=BB310_13 Depth=1
	v_and_b32_e32 v2, 7, v38
	v_lshrrev_b32_e32 v3, 3, v0
	v_cmp_gt_u32_e32 vcc, 8, v0
	v_ffbh_u32_e32 v0, v2
	v_min_u32_e32 v4, 32, v0
	v_subrev_u32_e32 v0, 28, v4
	v_lshlrev_b64 v[0:1], v0, v[38:39]
	v_sub_u32_e32 v1, 29, v4
	v_and_b32_e32 v0, 7, v0
	v_cndmask_b32_e32 v1, v3, v1, vcc
	v_mov_b32_e32 v3, 0x2000
	v_cndmask_b32_e32 v0, v2, v0, vcc
	v_lshlrev_b32_e32 v2, 8, v38
	v_lshl_add_u32 v1, v1, 10, v3
	v_and_or_b32 v1, v2, s43, v1
	v_lshl_or_b32 v0, v0, 7, v1
	v_cvt_f32_f16_e32 v0, v0
	buffer_store_dword v0, off, s[0:3], s32 offset:296 ; 4-byte Folded Spill
.LBB310_98:                             ;   in Loop: Header=BB310_13 Depth=1
	s_or_b64 exec, exec, s[38:39]
.LBB310_99:                             ;   in Loop: Header=BB310_13 Depth=1
	s_or_b64 exec, exec, s[36:37]
.LBB310_100:                            ;   in Loop: Header=BB310_13 Depth=1
	s_or_b64 exec, exec, s[34:35]
	v_lshrrev_b32_e32 v38, 16, v36
	v_mov_b32_e32 v0, 0
	v_cmp_ne_u16_sdwa vcc, v38, v54 src0_sel:BYTE_0 src1_sel:DWORD
	buffer_store_dword v0, off, s[0:3], s32 offset:300 ; 4-byte Folded Spill
	v_mov_b32_e32 v0, 0
	buffer_store_dword v0, off, s[0:3], s32 offset:304 ; 4-byte Folded Spill
	s_and_saveexec_b64 s[34:35], vcc
	s_cbranch_execz .LBB310_106
; %bb.101:                              ;   in Loop: Header=BB310_13 Depth=1
	v_cmp_ne_u16_sdwa vcc, v38, s41 src0_sel:BYTE_0 src1_sel:DWORD
	v_bfrev_b32_e32 v0, 1
	buffer_store_dword v0, off, s[0:3], s32 offset:304 ; 4-byte Folded Spill
	s_and_saveexec_b64 s[36:37], vcc
	s_cbranch_execz .LBB310_105
; %bb.102:                              ;   in Loop: Header=BB310_13 Depth=1
	v_bfe_u32 v0, v36, 16, 7
	v_cmp_ne_u32_e32 vcc, s42, v0
	v_mov_b32_e32 v1, 0x7fc02000
	buffer_store_dword v1, off, s[0:3], s32 offset:304 ; 4-byte Folded Spill
	s_and_saveexec_b64 s[38:39], vcc
	s_cbranch_execz .LBB310_104
; %bb.103:                              ;   in Loop: Header=BB310_13 Depth=1
	v_and_b32_e32 v1, 7, v38
	v_ffbh_u32_e32 v2, v1
	v_min_u32_e32 v6, 32, v2
	v_subrev_u32_e32 v2, 28, v6
	v_lshlrev_b64 v[2:3], v2, v[38:39]
	v_lshrrev_b32_e32 v4, 3, v0
	v_sub_u32_e32 v3, 29, v6
	v_cmp_gt_u32_e32 vcc, 8, v0
	v_and_b32_e32 v2, 7, v2
	v_cndmask_b32_e32 v0, v4, v3, vcc
	v_mov_b32_e32 v3, 0x2000
	v_cndmask_b32_e32 v1, v1, v2, vcc
	v_lshlrev_b32_e32 v2, 8, v38
	v_lshl_add_u32 v0, v0, 10, v3
	v_and_or_b32 v0, v2, s43, v0
	v_lshl_or_b32 v0, v1, 7, v0
	v_cvt_f32_f16_e32 v0, v0
	buffer_store_dword v0, off, s[0:3], s32 offset:304 ; 4-byte Folded Spill
.LBB310_104:                            ;   in Loop: Header=BB310_13 Depth=1
	s_or_b64 exec, exec, s[38:39]
.LBB310_105:                            ;   in Loop: Header=BB310_13 Depth=1
	s_or_b64 exec, exec, s[36:37]
.LBB310_106:                            ;   in Loop: Header=BB310_13 Depth=1
	s_or_b64 exec, exec, s[34:35]
	v_cmp_lt_u32_e32 vcc, s44, v36
	s_and_saveexec_b64 s[34:35], vcc
	s_cbranch_execz .LBB310_112
; %bb.107:                              ;   in Loop: Header=BB310_13 Depth=1
	v_lshrrev_b32_e32 v36, 24, v36
	v_cmp_ne_u32_e32 vcc, s41, v36
	v_bfrev_b32_e32 v0, 1
	buffer_store_dword v0, off, s[0:3], s32 offset:300 ; 4-byte Folded Spill
	s_and_saveexec_b64 s[36:37], vcc
	s_cbranch_execz .LBB310_111
; %bb.108:                              ;   in Loop: Header=BB310_13 Depth=1
	v_and_b32_e32 v0, 0x7f, v36
	v_cmp_ne_u32_e32 vcc, s42, v0
	v_mov_b32_e32 v1, 0x7fc02000
	buffer_store_dword v1, off, s[0:3], s32 offset:300 ; 4-byte Folded Spill
	s_and_saveexec_b64 s[38:39], vcc
	s_cbranch_execz .LBB310_110
; %bb.109:                              ;   in Loop: Header=BB310_13 Depth=1
	v_and_b32_e32 v1, 7, v36
	v_ffbh_u32_e32 v2, v1
	v_min_u32_e32 v6, 32, v2
	v_subrev_u32_e32 v2, 28, v6
	v_lshlrev_b64 v[2:3], v2, v[36:37]
	v_lshrrev_b32_e32 v4, 3, v0
	v_sub_u32_e32 v3, 29, v6
	v_cmp_gt_u32_e32 vcc, 8, v0
	v_and_b32_e32 v2, 7, v2
	v_cndmask_b32_e32 v0, v4, v3, vcc
	v_mov_b32_e32 v3, 0x2000
	v_cndmask_b32_e32 v1, v1, v2, vcc
	v_lshlrev_b32_e32 v2, 8, v36
	v_lshl_add_u32 v0, v0, 10, v3
	v_and_or_b32 v0, v2, s43, v0
	v_lshl_or_b32 v0, v1, 7, v0
	v_cvt_f32_f16_e32 v0, v0
	buffer_store_dword v0, off, s[0:3], s32 offset:300 ; 4-byte Folded Spill
.LBB310_110:                            ;   in Loop: Header=BB310_13 Depth=1
	s_or_b64 exec, exec, s[38:39]
.LBB310_111:                            ;   in Loop: Header=BB310_13 Depth=1
	s_or_b64 exec, exec, s[36:37]
.LBB310_112:                            ;   in Loop: Header=BB310_13 Depth=1
	s_or_b64 exec, exec, s[34:35]
	flat_load_dword v36, v[34:35] offset:1024
	v_mov_b32_e32 v0, 0
	buffer_store_dword v0, off, s[0:3], s32 offset:324 ; 4-byte Folded Spill
	v_mov_b32_e32 v0, 0
	buffer_store_dword v0, off, s[0:3], s32 offset:312 ; 4-byte Folded Spill
	s_waitcnt vmcnt(0) lgkmcnt(0)
	v_cmp_ne_u16_sdwa vcc, v36, v54 src0_sel:BYTE_0 src1_sel:DWORD
	s_and_saveexec_b64 s[34:35], vcc
	s_cbranch_execz .LBB310_118
; %bb.113:                              ;   in Loop: Header=BB310_13 Depth=1
	v_cmp_ne_u16_sdwa vcc, v36, s41 src0_sel:BYTE_0 src1_sel:DWORD
	v_bfrev_b32_e32 v0, 1
	buffer_store_dword v0, off, s[0:3], s32 offset:312 ; 4-byte Folded Spill
	s_and_saveexec_b64 s[36:37], vcc
	s_cbranch_execz .LBB310_117
; %bb.114:                              ;   in Loop: Header=BB310_13 Depth=1
	v_and_b32_e32 v0, 0x7f, v36
	v_cmp_ne_u32_e32 vcc, s42, v0
	v_mov_b32_e32 v1, 0x7fc02000
	buffer_store_dword v1, off, s[0:3], s32 offset:312 ; 4-byte Folded Spill
	s_and_saveexec_b64 s[38:39], vcc
	s_cbranch_execz .LBB310_116
; %bb.115:                              ;   in Loop: Header=BB310_13 Depth=1
	v_and_b32_e32 v1, 7, v36
	v_ffbh_u32_e32 v2, v1
	v_min_u32_e32 v6, 32, v2
	v_subrev_u32_e32 v2, 28, v6
	v_lshlrev_b64 v[2:3], v2, v[36:37]
	v_lshrrev_b32_e32 v4, 3, v0
	v_sub_u32_e32 v3, 29, v6
	v_cmp_gt_u32_e32 vcc, 8, v0
	v_and_b32_e32 v2, 7, v2
	v_cndmask_b32_e32 v0, v4, v3, vcc
	v_mov_b32_e32 v3, 0x2000
	v_cndmask_b32_e32 v1, v1, v2, vcc
	v_lshlrev_b32_e32 v2, 8, v36
	v_lshl_add_u32 v0, v0, 10, v3
	v_and_or_b32 v0, v2, s43, v0
	v_lshl_or_b32 v0, v1, 7, v0
	v_cvt_f32_f16_e32 v0, v0
	buffer_store_dword v0, off, s[0:3], s32 offset:312 ; 4-byte Folded Spill
.LBB310_116:                            ;   in Loop: Header=BB310_13 Depth=1
	s_or_b64 exec, exec, s[38:39]
.LBB310_117:                            ;   in Loop: Header=BB310_13 Depth=1
	s_or_b64 exec, exec, s[36:37]
.LBB310_118:                            ;   in Loop: Header=BB310_13 Depth=1
	s_or_b64 exec, exec, s[34:35]
	v_lshrrev_b16_e32 v38, 8, v36
	v_cmp_ne_u16_e32 vcc, 0, v38
	s_and_saveexec_b64 s[34:35], vcc
	s_cbranch_execz .LBB310_124
; %bb.119:                              ;   in Loop: Header=BB310_13 Depth=1
	v_cmp_ne_u16_e32 vcc, s41, v38
	v_bfrev_b32_e32 v0, 1
	buffer_store_dword v0, off, s[0:3], s32 offset:324 ; 4-byte Folded Spill
	s_and_saveexec_b64 s[36:37], vcc
	s_cbranch_execz .LBB310_123
; %bb.120:                              ;   in Loop: Header=BB310_13 Depth=1
	v_and_b32_e32 v0, 0x7f, v38
	v_cmp_ne_u32_e32 vcc, s42, v0
	v_mov_b32_e32 v1, 0x7fc02000
	buffer_store_dword v1, off, s[0:3], s32 offset:324 ; 4-byte Folded Spill
	s_and_saveexec_b64 s[38:39], vcc
	s_cbranch_execz .LBB310_122
; %bb.121:                              ;   in Loop: Header=BB310_13 Depth=1
	v_and_b32_e32 v1, 7, v38
	v_ffbh_u32_e32 v2, v1
	v_min_u32_e32 v6, 32, v2
	v_subrev_u32_e32 v2, 28, v6
	v_lshlrev_b64 v[2:3], v2, v[38:39]
	v_lshrrev_b32_e32 v4, 3, v0
	v_sub_u32_e32 v3, 29, v6
	v_cmp_gt_u32_e32 vcc, 8, v0
	v_and_b32_e32 v2, 7, v2
	v_cndmask_b32_e32 v0, v4, v3, vcc
	v_mov_b32_e32 v3, 0x2000
	v_cndmask_b32_e32 v1, v1, v2, vcc
	v_lshlrev_b32_e32 v2, 8, v38
	v_lshl_add_u32 v0, v0, 10, v3
	v_and_or_b32 v0, v2, s43, v0
	v_lshl_or_b32 v0, v1, 7, v0
	v_cvt_f32_f16_e32 v0, v0
	buffer_store_dword v0, off, s[0:3], s32 offset:324 ; 4-byte Folded Spill
.LBB310_122:                            ;   in Loop: Header=BB310_13 Depth=1
	s_or_b64 exec, exec, s[38:39]
.LBB310_123:                            ;   in Loop: Header=BB310_13 Depth=1
	s_or_b64 exec, exec, s[36:37]
.LBB310_124:                            ;   in Loop: Header=BB310_13 Depth=1
	s_or_b64 exec, exec, s[34:35]
	v_lshrrev_b32_e32 v38, 16, v36
	v_mov_b32_e32 v0, 0
	v_cmp_ne_u16_sdwa vcc, v38, v54 src0_sel:BYTE_0 src1_sel:DWORD
	buffer_store_dword v0, off, s[0:3], s32 offset:316 ; 4-byte Folded Spill
	v_mov_b32_e32 v0, 0
	buffer_store_dword v0, off, s[0:3], s32 offset:320 ; 4-byte Folded Spill
	s_and_saveexec_b64 s[34:35], vcc
	s_cbranch_execz .LBB310_130
; %bb.125:                              ;   in Loop: Header=BB310_13 Depth=1
	v_cmp_ne_u16_sdwa vcc, v38, s41 src0_sel:BYTE_0 src1_sel:DWORD
	v_bfrev_b32_e32 v0, 1
	buffer_store_dword v0, off, s[0:3], s32 offset:320 ; 4-byte Folded Spill
	s_and_saveexec_b64 s[36:37], vcc
	s_cbranch_execz .LBB310_129
; %bb.126:                              ;   in Loop: Header=BB310_13 Depth=1
	v_bfe_u32 v0, v36, 16, 7
	v_cmp_ne_u32_e32 vcc, s42, v0
	v_mov_b32_e32 v1, 0x7fc02000
	buffer_store_dword v1, off, s[0:3], s32 offset:320 ; 4-byte Folded Spill
	s_and_saveexec_b64 s[38:39], vcc
	s_cbranch_execz .LBB310_128
; %bb.127:                              ;   in Loop: Header=BB310_13 Depth=1
	v_and_b32_e32 v1, 7, v38
	v_ffbh_u32_e32 v2, v1
	v_min_u32_e32 v6, 32, v2
	v_subrev_u32_e32 v2, 28, v6
	v_lshlrev_b64 v[2:3], v2, v[38:39]
	v_lshrrev_b32_e32 v4, 3, v0
	v_sub_u32_e32 v3, 29, v6
	v_cmp_gt_u32_e32 vcc, 8, v0
	v_and_b32_e32 v2, 7, v2
	v_cndmask_b32_e32 v0, v4, v3, vcc
	v_mov_b32_e32 v3, 0x2000
	v_cndmask_b32_e32 v1, v1, v2, vcc
	v_lshlrev_b32_e32 v2, 8, v38
	v_lshl_add_u32 v0, v0, 10, v3
	v_and_or_b32 v0, v2, s43, v0
	v_lshl_or_b32 v0, v1, 7, v0
	v_cvt_f32_f16_e32 v0, v0
	buffer_store_dword v0, off, s[0:3], s32 offset:320 ; 4-byte Folded Spill
.LBB310_128:                            ;   in Loop: Header=BB310_13 Depth=1
	s_or_b64 exec, exec, s[38:39]
.LBB310_129:                            ;   in Loop: Header=BB310_13 Depth=1
	s_or_b64 exec, exec, s[36:37]
.LBB310_130:                            ;   in Loop: Header=BB310_13 Depth=1
	s_or_b64 exec, exec, s[34:35]
	v_cmp_lt_u32_e32 vcc, s44, v36
	s_and_saveexec_b64 s[34:35], vcc
	s_cbranch_execz .LBB310_136
; %bb.131:                              ;   in Loop: Header=BB310_13 Depth=1
	v_lshrrev_b32_e32 v36, 24, v36
	v_cmp_ne_u32_e32 vcc, s41, v36
	v_bfrev_b32_e32 v0, 1
	buffer_store_dword v0, off, s[0:3], s32 offset:316 ; 4-byte Folded Spill
	s_and_saveexec_b64 s[36:37], vcc
	s_cbranch_execz .LBB310_135
; %bb.132:                              ;   in Loop: Header=BB310_13 Depth=1
	v_and_b32_e32 v0, 0x7f, v36
	v_cmp_ne_u32_e32 vcc, s42, v0
	v_mov_b32_e32 v1, 0x7fc02000
	buffer_store_dword v1, off, s[0:3], s32 offset:316 ; 4-byte Folded Spill
	s_and_saveexec_b64 s[38:39], vcc
	s_cbranch_execz .LBB310_134
; %bb.133:                              ;   in Loop: Header=BB310_13 Depth=1
	v_and_b32_e32 v1, 7, v36
	v_ffbh_u32_e32 v2, v1
	v_min_u32_e32 v6, 32, v2
	v_subrev_u32_e32 v2, 28, v6
	v_lshlrev_b64 v[2:3], v2, v[36:37]
	v_lshrrev_b32_e32 v4, 3, v0
	v_sub_u32_e32 v3, 29, v6
	v_cmp_gt_u32_e32 vcc, 8, v0
	v_and_b32_e32 v2, 7, v2
	v_cndmask_b32_e32 v0, v4, v3, vcc
	v_mov_b32_e32 v3, 0x2000
	v_cndmask_b32_e32 v1, v1, v2, vcc
	v_lshlrev_b32_e32 v2, 8, v36
	v_lshl_add_u32 v0, v0, 10, v3
	v_and_or_b32 v0, v2, s43, v0
	v_lshl_or_b32 v0, v1, 7, v0
	v_cvt_f32_f16_e32 v0, v0
	buffer_store_dword v0, off, s[0:3], s32 offset:316 ; 4-byte Folded Spill
.LBB310_134:                            ;   in Loop: Header=BB310_13 Depth=1
	s_or_b64 exec, exec, s[38:39]
.LBB310_135:                            ;   in Loop: Header=BB310_13 Depth=1
	s_or_b64 exec, exec, s[36:37]
.LBB310_136:                            ;   in Loop: Header=BB310_13 Depth=1
	s_or_b64 exec, exec, s[34:35]
	flat_load_dword v36, v[34:35] offset:1032
	v_mov_b32_e32 v0, 0
	buffer_store_dword v0, off, s[0:3], s32 offset:340 ; 4-byte Folded Spill
	v_mov_b32_e32 v0, 0
	buffer_store_dword v0, off, s[0:3], s32 offset:328 ; 4-byte Folded Spill
	s_waitcnt vmcnt(0) lgkmcnt(0)
	v_cmp_ne_u16_sdwa vcc, v36, v54 src0_sel:BYTE_0 src1_sel:DWORD
	s_and_saveexec_b64 s[34:35], vcc
	s_cbranch_execz .LBB310_142
; %bb.137:                              ;   in Loop: Header=BB310_13 Depth=1
	v_cmp_ne_u16_sdwa vcc, v36, s41 src0_sel:BYTE_0 src1_sel:DWORD
	v_bfrev_b32_e32 v0, 1
	buffer_store_dword v0, off, s[0:3], s32 offset:328 ; 4-byte Folded Spill
	s_and_saveexec_b64 s[36:37], vcc
	s_cbranch_execz .LBB310_141
; %bb.138:                              ;   in Loop: Header=BB310_13 Depth=1
	v_and_b32_e32 v0, 0x7f, v36
	v_cmp_ne_u32_e32 vcc, s42, v0
	v_mov_b32_e32 v1, 0x7fc02000
	buffer_store_dword v1, off, s[0:3], s32 offset:328 ; 4-byte Folded Spill
	s_and_saveexec_b64 s[38:39], vcc
	s_cbranch_execz .LBB310_140
; %bb.139:                              ;   in Loop: Header=BB310_13 Depth=1
	v_and_b32_e32 v1, 7, v36
	v_ffbh_u32_e32 v2, v1
	v_min_u32_e32 v6, 32, v2
	v_subrev_u32_e32 v2, 28, v6
	v_lshlrev_b64 v[2:3], v2, v[36:37]
	v_lshrrev_b32_e32 v4, 3, v0
	v_sub_u32_e32 v3, 29, v6
	v_cmp_gt_u32_e32 vcc, 8, v0
	v_and_b32_e32 v2, 7, v2
	v_cndmask_b32_e32 v0, v4, v3, vcc
	v_mov_b32_e32 v3, 0x2000
	v_cndmask_b32_e32 v1, v1, v2, vcc
	v_lshlrev_b32_e32 v2, 8, v36
	v_lshl_add_u32 v0, v0, 10, v3
	v_and_or_b32 v0, v2, s43, v0
	v_lshl_or_b32 v0, v1, 7, v0
	v_cvt_f32_f16_e32 v0, v0
	buffer_store_dword v0, off, s[0:3], s32 offset:328 ; 4-byte Folded Spill
.LBB310_140:                            ;   in Loop: Header=BB310_13 Depth=1
	s_or_b64 exec, exec, s[38:39]
.LBB310_141:                            ;   in Loop: Header=BB310_13 Depth=1
	s_or_b64 exec, exec, s[36:37]
.LBB310_142:                            ;   in Loop: Header=BB310_13 Depth=1
	s_or_b64 exec, exec, s[34:35]
	v_lshrrev_b16_e32 v38, 8, v36
	v_cmp_ne_u16_e32 vcc, 0, v38
	s_and_saveexec_b64 s[34:35], vcc
	s_cbranch_execz .LBB310_148
; %bb.143:                              ;   in Loop: Header=BB310_13 Depth=1
	v_cmp_ne_u16_e32 vcc, s41, v38
	v_bfrev_b32_e32 v0, 1
	buffer_store_dword v0, off, s[0:3], s32 offset:340 ; 4-byte Folded Spill
	s_and_saveexec_b64 s[36:37], vcc
	s_cbranch_execz .LBB310_147
; %bb.144:                              ;   in Loop: Header=BB310_13 Depth=1
	v_and_b32_e32 v0, 0x7f, v38
	v_cmp_ne_u32_e32 vcc, s42, v0
	v_mov_b32_e32 v1, 0x7fc02000
	buffer_store_dword v1, off, s[0:3], s32 offset:340 ; 4-byte Folded Spill
	s_and_saveexec_b64 s[38:39], vcc
	s_cbranch_execz .LBB310_146
; %bb.145:                              ;   in Loop: Header=BB310_13 Depth=1
	v_and_b32_e32 v1, 7, v38
	v_ffbh_u32_e32 v2, v1
	v_min_u32_e32 v6, 32, v2
	v_subrev_u32_e32 v2, 28, v6
	v_lshlrev_b64 v[2:3], v2, v[38:39]
	v_lshrrev_b32_e32 v4, 3, v0
	v_sub_u32_e32 v3, 29, v6
	v_cmp_gt_u32_e32 vcc, 8, v0
	v_and_b32_e32 v2, 7, v2
	v_cndmask_b32_e32 v0, v4, v3, vcc
	v_mov_b32_e32 v3, 0x2000
	v_cndmask_b32_e32 v1, v1, v2, vcc
	v_lshlrev_b32_e32 v2, 8, v38
	v_lshl_add_u32 v0, v0, 10, v3
	v_and_or_b32 v0, v2, s43, v0
	v_lshl_or_b32 v0, v1, 7, v0
	v_cvt_f32_f16_e32 v0, v0
	buffer_store_dword v0, off, s[0:3], s32 offset:340 ; 4-byte Folded Spill
.LBB310_146:                            ;   in Loop: Header=BB310_13 Depth=1
	s_or_b64 exec, exec, s[38:39]
.LBB310_147:                            ;   in Loop: Header=BB310_13 Depth=1
	s_or_b64 exec, exec, s[36:37]
.LBB310_148:                            ;   in Loop: Header=BB310_13 Depth=1
	s_or_b64 exec, exec, s[34:35]
	v_lshrrev_b32_e32 v38, 16, v36
	v_mov_b32_e32 v0, 0
	v_cmp_ne_u16_sdwa vcc, v38, v54 src0_sel:BYTE_0 src1_sel:DWORD
	buffer_store_dword v0, off, s[0:3], s32 offset:332 ; 4-byte Folded Spill
	v_mov_b32_e32 v0, 0
	buffer_store_dword v0, off, s[0:3], s32 offset:336 ; 4-byte Folded Spill
	s_and_saveexec_b64 s[34:35], vcc
	s_cbranch_execz .LBB310_154
; %bb.149:                              ;   in Loop: Header=BB310_13 Depth=1
	v_cmp_ne_u16_sdwa vcc, v38, s41 src0_sel:BYTE_0 src1_sel:DWORD
	v_bfrev_b32_e32 v0, 1
	buffer_store_dword v0, off, s[0:3], s32 offset:336 ; 4-byte Folded Spill
	s_and_saveexec_b64 s[36:37], vcc
	s_cbranch_execz .LBB310_153
; %bb.150:                              ;   in Loop: Header=BB310_13 Depth=1
	v_bfe_u32 v0, v36, 16, 7
	v_cmp_ne_u32_e32 vcc, s42, v0
	v_mov_b32_e32 v1, 0x7fc02000
	buffer_store_dword v1, off, s[0:3], s32 offset:336 ; 4-byte Folded Spill
	s_and_saveexec_b64 s[38:39], vcc
	s_cbranch_execz .LBB310_152
; %bb.151:                              ;   in Loop: Header=BB310_13 Depth=1
	v_and_b32_e32 v1, 7, v38
	v_ffbh_u32_e32 v2, v1
	v_min_u32_e32 v6, 32, v2
	v_subrev_u32_e32 v2, 28, v6
	v_lshlrev_b64 v[2:3], v2, v[38:39]
	v_lshrrev_b32_e32 v4, 3, v0
	v_sub_u32_e32 v3, 29, v6
	v_cmp_gt_u32_e32 vcc, 8, v0
	v_and_b32_e32 v2, 7, v2
	v_cndmask_b32_e32 v0, v4, v3, vcc
	v_mov_b32_e32 v3, 0x2000
	v_cndmask_b32_e32 v1, v1, v2, vcc
	v_lshlrev_b32_e32 v2, 8, v38
	v_lshl_add_u32 v0, v0, 10, v3
	v_and_or_b32 v0, v2, s43, v0
	v_lshl_or_b32 v0, v1, 7, v0
	v_cvt_f32_f16_e32 v0, v0
	buffer_store_dword v0, off, s[0:3], s32 offset:336 ; 4-byte Folded Spill
.LBB310_152:                            ;   in Loop: Header=BB310_13 Depth=1
	s_or_b64 exec, exec, s[38:39]
.LBB310_153:                            ;   in Loop: Header=BB310_13 Depth=1
	s_or_b64 exec, exec, s[36:37]
.LBB310_154:                            ;   in Loop: Header=BB310_13 Depth=1
	s_or_b64 exec, exec, s[34:35]
	v_cmp_lt_u32_e32 vcc, s44, v36
	s_and_saveexec_b64 s[34:35], vcc
	s_cbranch_execz .LBB310_160
; %bb.155:                              ;   in Loop: Header=BB310_13 Depth=1
	v_lshrrev_b32_e32 v36, 24, v36
	v_cmp_ne_u32_e32 vcc, s41, v36
	v_bfrev_b32_e32 v0, 1
	buffer_store_dword v0, off, s[0:3], s32 offset:332 ; 4-byte Folded Spill
	s_and_saveexec_b64 s[36:37], vcc
	s_cbranch_execz .LBB310_159
; %bb.156:                              ;   in Loop: Header=BB310_13 Depth=1
	v_and_b32_e32 v0, 0x7f, v36
	v_cmp_ne_u32_e32 vcc, s42, v0
	v_mov_b32_e32 v1, 0x7fc02000
	buffer_store_dword v1, off, s[0:3], s32 offset:332 ; 4-byte Folded Spill
	s_and_saveexec_b64 s[38:39], vcc
	s_cbranch_execz .LBB310_158
; %bb.157:                              ;   in Loop: Header=BB310_13 Depth=1
	v_and_b32_e32 v1, 7, v36
	v_ffbh_u32_e32 v2, v1
	v_min_u32_e32 v6, 32, v2
	v_subrev_u32_e32 v2, 28, v6
	v_lshlrev_b64 v[2:3], v2, v[36:37]
	v_lshrrev_b32_e32 v4, 3, v0
	v_sub_u32_e32 v3, 29, v6
	v_cmp_gt_u32_e32 vcc, 8, v0
	v_and_b32_e32 v2, 7, v2
	v_cndmask_b32_e32 v0, v4, v3, vcc
	v_mov_b32_e32 v3, 0x2000
	v_cndmask_b32_e32 v1, v1, v2, vcc
	v_lshlrev_b32_e32 v2, 8, v36
	v_lshl_add_u32 v0, v0, 10, v3
	v_and_or_b32 v0, v2, s43, v0
	v_lshl_or_b32 v0, v1, 7, v0
	v_cvt_f32_f16_e32 v0, v0
	buffer_store_dword v0, off, s[0:3], s32 offset:332 ; 4-byte Folded Spill
.LBB310_158:                            ;   in Loop: Header=BB310_13 Depth=1
	s_or_b64 exec, exec, s[38:39]
.LBB310_159:                            ;   in Loop: Header=BB310_13 Depth=1
	s_or_b64 exec, exec, s[36:37]
.LBB310_160:                            ;   in Loop: Header=BB310_13 Depth=1
	s_or_b64 exec, exec, s[34:35]
	flat_load_dword v36, v[34:35] offset:1536
	v_mov_b32_e32 v0, 0
	buffer_store_dword v0, off, s[0:3], s32 offset:356 ; 4-byte Folded Spill
	v_mov_b32_e32 v0, 0
	buffer_store_dword v0, off, s[0:3], s32 offset:344 ; 4-byte Folded Spill
	s_waitcnt vmcnt(0) lgkmcnt(0)
	v_cmp_ne_u16_sdwa vcc, v36, v54 src0_sel:BYTE_0 src1_sel:DWORD
	s_and_saveexec_b64 s[34:35], vcc
	s_cbranch_execz .LBB310_166
; %bb.161:                              ;   in Loop: Header=BB310_13 Depth=1
	v_cmp_ne_u16_sdwa vcc, v36, s41 src0_sel:BYTE_0 src1_sel:DWORD
	v_bfrev_b32_e32 v0, 1
	buffer_store_dword v0, off, s[0:3], s32 offset:344 ; 4-byte Folded Spill
	s_and_saveexec_b64 s[36:37], vcc
	s_cbranch_execz .LBB310_165
; %bb.162:                              ;   in Loop: Header=BB310_13 Depth=1
	v_and_b32_e32 v0, 0x7f, v36
	v_cmp_ne_u32_e32 vcc, s42, v0
	v_mov_b32_e32 v1, 0x7fc02000
	buffer_store_dword v1, off, s[0:3], s32 offset:344 ; 4-byte Folded Spill
	s_and_saveexec_b64 s[38:39], vcc
	s_cbranch_execz .LBB310_164
; %bb.163:                              ;   in Loop: Header=BB310_13 Depth=1
	v_and_b32_e32 v1, 7, v36
	v_ffbh_u32_e32 v2, v1
	v_min_u32_e32 v6, 32, v2
	v_subrev_u32_e32 v2, 28, v6
	v_lshlrev_b64 v[2:3], v2, v[36:37]
	v_lshrrev_b32_e32 v4, 3, v0
	v_sub_u32_e32 v3, 29, v6
	v_cmp_gt_u32_e32 vcc, 8, v0
	v_and_b32_e32 v2, 7, v2
	v_cndmask_b32_e32 v0, v4, v3, vcc
	v_mov_b32_e32 v3, 0x2000
	v_cndmask_b32_e32 v1, v1, v2, vcc
	v_lshlrev_b32_e32 v2, 8, v36
	v_lshl_add_u32 v0, v0, 10, v3
	v_and_or_b32 v0, v2, s43, v0
	v_lshl_or_b32 v0, v1, 7, v0
	v_cvt_f32_f16_e32 v0, v0
	buffer_store_dword v0, off, s[0:3], s32 offset:344 ; 4-byte Folded Spill
.LBB310_164:                            ;   in Loop: Header=BB310_13 Depth=1
	s_or_b64 exec, exec, s[38:39]
.LBB310_165:                            ;   in Loop: Header=BB310_13 Depth=1
	s_or_b64 exec, exec, s[36:37]
.LBB310_166:                            ;   in Loop: Header=BB310_13 Depth=1
	s_or_b64 exec, exec, s[34:35]
	v_lshrrev_b16_e32 v38, 8, v36
	v_cmp_ne_u16_e32 vcc, 0, v38
	s_and_saveexec_b64 s[34:35], vcc
	s_cbranch_execz .LBB310_172
; %bb.167:                              ;   in Loop: Header=BB310_13 Depth=1
	v_cmp_ne_u16_e32 vcc, s41, v38
	v_bfrev_b32_e32 v0, 1
	buffer_store_dword v0, off, s[0:3], s32 offset:356 ; 4-byte Folded Spill
	s_and_saveexec_b64 s[36:37], vcc
	s_cbranch_execz .LBB310_171
; %bb.168:                              ;   in Loop: Header=BB310_13 Depth=1
	v_and_b32_e32 v0, 0x7f, v38
	v_cmp_ne_u32_e32 vcc, s42, v0
	v_mov_b32_e32 v1, 0x7fc02000
	buffer_store_dword v1, off, s[0:3], s32 offset:356 ; 4-byte Folded Spill
	s_and_saveexec_b64 s[38:39], vcc
	s_cbranch_execz .LBB310_170
; %bb.169:                              ;   in Loop: Header=BB310_13 Depth=1
	v_and_b32_e32 v1, 7, v38
	v_ffbh_u32_e32 v2, v1
	v_min_u32_e32 v6, 32, v2
	v_subrev_u32_e32 v2, 28, v6
	v_lshlrev_b64 v[2:3], v2, v[38:39]
	v_lshrrev_b32_e32 v4, 3, v0
	v_sub_u32_e32 v3, 29, v6
	v_cmp_gt_u32_e32 vcc, 8, v0
	v_and_b32_e32 v2, 7, v2
	v_cndmask_b32_e32 v0, v4, v3, vcc
	v_mov_b32_e32 v3, 0x2000
	v_cndmask_b32_e32 v1, v1, v2, vcc
	v_lshlrev_b32_e32 v2, 8, v38
	v_lshl_add_u32 v0, v0, 10, v3
	v_and_or_b32 v0, v2, s43, v0
	v_lshl_or_b32 v0, v1, 7, v0
	v_cvt_f32_f16_e32 v0, v0
	buffer_store_dword v0, off, s[0:3], s32 offset:356 ; 4-byte Folded Spill
.LBB310_170:                            ;   in Loop: Header=BB310_13 Depth=1
	s_or_b64 exec, exec, s[38:39]
.LBB310_171:                            ;   in Loop: Header=BB310_13 Depth=1
	s_or_b64 exec, exec, s[36:37]
.LBB310_172:                            ;   in Loop: Header=BB310_13 Depth=1
	s_or_b64 exec, exec, s[34:35]
	v_lshrrev_b32_e32 v38, 16, v36
	v_mov_b32_e32 v0, 0
	v_cmp_ne_u16_sdwa vcc, v38, v54 src0_sel:BYTE_0 src1_sel:DWORD
	buffer_store_dword v0, off, s[0:3], s32 offset:348 ; 4-byte Folded Spill
	v_mov_b32_e32 v0, 0
	buffer_store_dword v0, off, s[0:3], s32 offset:352 ; 4-byte Folded Spill
	s_and_saveexec_b64 s[34:35], vcc
	s_cbranch_execz .LBB310_178
; %bb.173:                              ;   in Loop: Header=BB310_13 Depth=1
	v_cmp_ne_u16_sdwa vcc, v38, s41 src0_sel:BYTE_0 src1_sel:DWORD
	v_bfrev_b32_e32 v0, 1
	buffer_store_dword v0, off, s[0:3], s32 offset:352 ; 4-byte Folded Spill
	s_and_saveexec_b64 s[36:37], vcc
	s_cbranch_execz .LBB310_177
; %bb.174:                              ;   in Loop: Header=BB310_13 Depth=1
	v_bfe_u32 v0, v36, 16, 7
	v_cmp_ne_u32_e32 vcc, s42, v0
	v_mov_b32_e32 v1, 0x7fc02000
	buffer_store_dword v1, off, s[0:3], s32 offset:352 ; 4-byte Folded Spill
	s_and_saveexec_b64 s[38:39], vcc
	s_cbranch_execz .LBB310_176
; %bb.175:                              ;   in Loop: Header=BB310_13 Depth=1
	v_and_b32_e32 v1, 7, v38
	v_ffbh_u32_e32 v2, v1
	v_min_u32_e32 v6, 32, v2
	v_subrev_u32_e32 v2, 28, v6
	v_lshlrev_b64 v[2:3], v2, v[38:39]
	v_lshrrev_b32_e32 v4, 3, v0
	v_sub_u32_e32 v3, 29, v6
	v_cmp_gt_u32_e32 vcc, 8, v0
	v_and_b32_e32 v2, 7, v2
	v_cndmask_b32_e32 v0, v4, v3, vcc
	v_mov_b32_e32 v3, 0x2000
	v_cndmask_b32_e32 v1, v1, v2, vcc
	v_lshlrev_b32_e32 v2, 8, v38
	v_lshl_add_u32 v0, v0, 10, v3
	v_and_or_b32 v0, v2, s43, v0
	v_lshl_or_b32 v0, v1, 7, v0
	v_cvt_f32_f16_e32 v0, v0
	buffer_store_dword v0, off, s[0:3], s32 offset:352 ; 4-byte Folded Spill
.LBB310_176:                            ;   in Loop: Header=BB310_13 Depth=1
	s_or_b64 exec, exec, s[38:39]
.LBB310_177:                            ;   in Loop: Header=BB310_13 Depth=1
	s_or_b64 exec, exec, s[36:37]
.LBB310_178:                            ;   in Loop: Header=BB310_13 Depth=1
	s_or_b64 exec, exec, s[34:35]
	v_cmp_lt_u32_e32 vcc, s44, v36
	s_and_saveexec_b64 s[34:35], vcc
	s_cbranch_execz .LBB310_184
; %bb.179:                              ;   in Loop: Header=BB310_13 Depth=1
	v_lshrrev_b32_e32 v36, 24, v36
	v_cmp_ne_u32_e32 vcc, s41, v36
	v_bfrev_b32_e32 v0, 1
	buffer_store_dword v0, off, s[0:3], s32 offset:348 ; 4-byte Folded Spill
	s_and_saveexec_b64 s[36:37], vcc
	s_cbranch_execz .LBB310_183
; %bb.180:                              ;   in Loop: Header=BB310_13 Depth=1
	v_and_b32_e32 v0, 0x7f, v36
	v_cmp_ne_u32_e32 vcc, s42, v0
	v_mov_b32_e32 v1, 0x7fc02000
	buffer_store_dword v1, off, s[0:3], s32 offset:348 ; 4-byte Folded Spill
	s_and_saveexec_b64 s[38:39], vcc
	s_cbranch_execz .LBB310_182
; %bb.181:                              ;   in Loop: Header=BB310_13 Depth=1
	v_and_b32_e32 v1, 7, v36
	v_ffbh_u32_e32 v2, v1
	v_min_u32_e32 v6, 32, v2
	v_subrev_u32_e32 v2, 28, v6
	v_lshlrev_b64 v[2:3], v2, v[36:37]
	v_lshrrev_b32_e32 v4, 3, v0
	v_sub_u32_e32 v3, 29, v6
	v_cmp_gt_u32_e32 vcc, 8, v0
	v_and_b32_e32 v2, 7, v2
	v_cndmask_b32_e32 v0, v4, v3, vcc
	v_mov_b32_e32 v3, 0x2000
	v_cndmask_b32_e32 v1, v1, v2, vcc
	v_lshlrev_b32_e32 v2, 8, v36
	v_lshl_add_u32 v0, v0, 10, v3
	v_and_or_b32 v0, v2, s43, v0
	v_lshl_or_b32 v0, v1, 7, v0
	v_cvt_f32_f16_e32 v0, v0
	buffer_store_dword v0, off, s[0:3], s32 offset:348 ; 4-byte Folded Spill
.LBB310_182:                            ;   in Loop: Header=BB310_13 Depth=1
	s_or_b64 exec, exec, s[38:39]
.LBB310_183:                            ;   in Loop: Header=BB310_13 Depth=1
	s_or_b64 exec, exec, s[36:37]
.LBB310_184:                            ;   in Loop: Header=BB310_13 Depth=1
	s_or_b64 exec, exec, s[34:35]
	flat_load_dword v36, v[34:35] offset:1544
	v_mov_b32_e32 v0, 0
	buffer_store_dword v0, off, s[0:3], s32 offset:360 ; 4-byte Folded Spill
	v_mov_b32_e32 v0, 0
	buffer_store_dword v0, off, s[0:3], s32 offset:372 ; 4-byte Folded Spill
	s_waitcnt vmcnt(0) lgkmcnt(0)
	v_cmp_ne_u16_sdwa vcc, v36, v54 src0_sel:BYTE_0 src1_sel:DWORD
	s_and_saveexec_b64 s[34:35], vcc
	s_cbranch_execz .LBB310_190
; %bb.185:                              ;   in Loop: Header=BB310_13 Depth=1
	v_cmp_ne_u16_sdwa vcc, v36, s41 src0_sel:BYTE_0 src1_sel:DWORD
	v_bfrev_b32_e32 v0, 1
	buffer_store_dword v0, off, s[0:3], s32 offset:372 ; 4-byte Folded Spill
	s_and_saveexec_b64 s[36:37], vcc
	s_cbranch_execz .LBB310_189
; %bb.186:                              ;   in Loop: Header=BB310_13 Depth=1
	v_and_b32_e32 v0, 0x7f, v36
	v_cmp_ne_u32_e32 vcc, s42, v0
	v_mov_b32_e32 v1, 0x7fc02000
	buffer_store_dword v1, off, s[0:3], s32 offset:372 ; 4-byte Folded Spill
	s_and_saveexec_b64 s[38:39], vcc
	s_cbranch_execz .LBB310_188
; %bb.187:                              ;   in Loop: Header=BB310_13 Depth=1
	v_and_b32_e32 v1, 7, v36
	v_ffbh_u32_e32 v2, v1
	v_min_u32_e32 v6, 32, v2
	v_subrev_u32_e32 v2, 28, v6
	v_lshlrev_b64 v[2:3], v2, v[36:37]
	v_lshrrev_b32_e32 v4, 3, v0
	v_sub_u32_e32 v3, 29, v6
	v_cmp_gt_u32_e32 vcc, 8, v0
	v_and_b32_e32 v2, 7, v2
	v_cndmask_b32_e32 v0, v4, v3, vcc
	v_mov_b32_e32 v3, 0x2000
	v_cndmask_b32_e32 v1, v1, v2, vcc
	v_lshlrev_b32_e32 v2, 8, v36
	v_lshl_add_u32 v0, v0, 10, v3
	v_and_or_b32 v0, v2, s43, v0
	v_lshl_or_b32 v0, v1, 7, v0
	v_cvt_f32_f16_e32 v0, v0
	buffer_store_dword v0, off, s[0:3], s32 offset:372 ; 4-byte Folded Spill
.LBB310_188:                            ;   in Loop: Header=BB310_13 Depth=1
	s_or_b64 exec, exec, s[38:39]
.LBB310_189:                            ;   in Loop: Header=BB310_13 Depth=1
	s_or_b64 exec, exec, s[36:37]
.LBB310_190:                            ;   in Loop: Header=BB310_13 Depth=1
	s_or_b64 exec, exec, s[34:35]
	v_lshrrev_b16_e32 v38, 8, v36
	v_cmp_ne_u16_e32 vcc, 0, v38
	s_and_saveexec_b64 s[34:35], vcc
	s_cbranch_execz .LBB310_196
; %bb.191:                              ;   in Loop: Header=BB310_13 Depth=1
	v_cmp_ne_u16_e32 vcc, s41, v38
	v_bfrev_b32_e32 v0, 1
	buffer_store_dword v0, off, s[0:3], s32 offset:360 ; 4-byte Folded Spill
	s_and_saveexec_b64 s[36:37], vcc
	s_cbranch_execz .LBB310_195
; %bb.192:                              ;   in Loop: Header=BB310_13 Depth=1
	v_and_b32_e32 v0, 0x7f, v38
	v_cmp_ne_u32_e32 vcc, s42, v0
	v_mov_b32_e32 v1, 0x7fc02000
	buffer_store_dword v1, off, s[0:3], s32 offset:360 ; 4-byte Folded Spill
	s_and_saveexec_b64 s[38:39], vcc
	s_cbranch_execz .LBB310_194
; %bb.193:                              ;   in Loop: Header=BB310_13 Depth=1
	v_and_b32_e32 v2, 7, v38
	v_lshrrev_b32_e32 v3, 3, v0
	v_cmp_gt_u32_e32 vcc, 8, v0
	v_ffbh_u32_e32 v0, v2
	v_min_u32_e32 v4, 32, v0
	v_subrev_u32_e32 v0, 28, v4
	v_lshlrev_b64 v[0:1], v0, v[38:39]
	v_sub_u32_e32 v1, 29, v4
	v_and_b32_e32 v0, 7, v0
	v_cndmask_b32_e32 v1, v3, v1, vcc
	v_mov_b32_e32 v3, 0x2000
	v_cndmask_b32_e32 v0, v2, v0, vcc
	v_lshlrev_b32_e32 v2, 8, v38
	v_lshl_add_u32 v1, v1, 10, v3
	v_and_or_b32 v1, v2, s43, v1
	v_lshl_or_b32 v0, v0, 7, v1
	v_cvt_f32_f16_e32 v0, v0
	buffer_store_dword v0, off, s[0:3], s32 offset:360 ; 4-byte Folded Spill
.LBB310_194:                            ;   in Loop: Header=BB310_13 Depth=1
	s_or_b64 exec, exec, s[38:39]
.LBB310_195:                            ;   in Loop: Header=BB310_13 Depth=1
	s_or_b64 exec, exec, s[36:37]
.LBB310_196:                            ;   in Loop: Header=BB310_13 Depth=1
	s_or_b64 exec, exec, s[34:35]
	v_lshrrev_b32_e32 v38, 16, v36
	v_mov_b32_e32 v0, 0
	v_cmp_ne_u16_sdwa vcc, v38, v54 src0_sel:BYTE_0 src1_sel:DWORD
	buffer_store_dword v0, off, s[0:3], s32 offset:364 ; 4-byte Folded Spill
	v_mov_b32_e32 v0, 0
	buffer_store_dword v0, off, s[0:3], s32 offset:368 ; 4-byte Folded Spill
	s_and_saveexec_b64 s[34:35], vcc
	s_cbranch_execz .LBB310_202
; %bb.197:                              ;   in Loop: Header=BB310_13 Depth=1
	v_cmp_ne_u16_sdwa vcc, v38, s41 src0_sel:BYTE_0 src1_sel:DWORD
	v_bfrev_b32_e32 v0, 1
	buffer_store_dword v0, off, s[0:3], s32 offset:368 ; 4-byte Folded Spill
	s_and_saveexec_b64 s[36:37], vcc
	s_cbranch_execz .LBB310_201
; %bb.198:                              ;   in Loop: Header=BB310_13 Depth=1
	v_bfe_u32 v0, v36, 16, 7
	v_cmp_ne_u32_e32 vcc, s42, v0
	v_mov_b32_e32 v1, 0x7fc02000
	buffer_store_dword v1, off, s[0:3], s32 offset:368 ; 4-byte Folded Spill
	s_and_saveexec_b64 s[38:39], vcc
	s_cbranch_execz .LBB310_200
; %bb.199:                              ;   in Loop: Header=BB310_13 Depth=1
	v_and_b32_e32 v1, 7, v38
	v_ffbh_u32_e32 v2, v1
	v_min_u32_e32 v6, 32, v2
	v_subrev_u32_e32 v2, 28, v6
	v_lshlrev_b64 v[2:3], v2, v[38:39]
	v_lshrrev_b32_e32 v4, 3, v0
	v_sub_u32_e32 v3, 29, v6
	v_cmp_gt_u32_e32 vcc, 8, v0
	v_and_b32_e32 v2, 7, v2
	v_cndmask_b32_e32 v0, v4, v3, vcc
	v_mov_b32_e32 v3, 0x2000
	v_cndmask_b32_e32 v1, v1, v2, vcc
	v_lshlrev_b32_e32 v2, 8, v38
	v_lshl_add_u32 v0, v0, 10, v3
	v_and_or_b32 v0, v2, s43, v0
	v_lshl_or_b32 v0, v1, 7, v0
	v_cvt_f32_f16_e32 v0, v0
	buffer_store_dword v0, off, s[0:3], s32 offset:368 ; 4-byte Folded Spill
.LBB310_200:                            ;   in Loop: Header=BB310_13 Depth=1
	s_or_b64 exec, exec, s[38:39]
.LBB310_201:                            ;   in Loop: Header=BB310_13 Depth=1
	s_or_b64 exec, exec, s[36:37]
.LBB310_202:                            ;   in Loop: Header=BB310_13 Depth=1
	s_or_b64 exec, exec, s[34:35]
	v_cmp_lt_u32_e32 vcc, s44, v36
	s_and_saveexec_b64 s[34:35], vcc
	s_cbranch_execz .LBB310_208
; %bb.203:                              ;   in Loop: Header=BB310_13 Depth=1
	v_lshrrev_b32_e32 v36, 24, v36
	v_cmp_ne_u32_e32 vcc, s41, v36
	v_bfrev_b32_e32 v0, 1
	buffer_store_dword v0, off, s[0:3], s32 offset:364 ; 4-byte Folded Spill
	s_and_saveexec_b64 s[36:37], vcc
	s_cbranch_execz .LBB310_207
; %bb.204:                              ;   in Loop: Header=BB310_13 Depth=1
	v_and_b32_e32 v0, 0x7f, v36
	v_cmp_ne_u32_e32 vcc, s42, v0
	v_mov_b32_e32 v1, 0x7fc02000
	buffer_store_dword v1, off, s[0:3], s32 offset:364 ; 4-byte Folded Spill
	s_and_saveexec_b64 s[38:39], vcc
	s_cbranch_execz .LBB310_206
; %bb.205:                              ;   in Loop: Header=BB310_13 Depth=1
	v_and_b32_e32 v1, 7, v36
	v_ffbh_u32_e32 v2, v1
	v_min_u32_e32 v6, 32, v2
	v_subrev_u32_e32 v2, 28, v6
	v_lshlrev_b64 v[2:3], v2, v[36:37]
	v_lshrrev_b32_e32 v4, 3, v0
	v_sub_u32_e32 v3, 29, v6
	v_cmp_gt_u32_e32 vcc, 8, v0
	v_and_b32_e32 v2, 7, v2
	v_cndmask_b32_e32 v0, v4, v3, vcc
	v_mov_b32_e32 v3, 0x2000
	v_cndmask_b32_e32 v1, v1, v2, vcc
	v_lshlrev_b32_e32 v2, 8, v36
	v_lshl_add_u32 v0, v0, 10, v3
	v_and_or_b32 v0, v2, s43, v0
	v_lshl_or_b32 v0, v1, 7, v0
	v_cvt_f32_f16_e32 v0, v0
	buffer_store_dword v0, off, s[0:3], s32 offset:364 ; 4-byte Folded Spill
.LBB310_206:                            ;   in Loop: Header=BB310_13 Depth=1
	s_or_b64 exec, exec, s[38:39]
.LBB310_207:                            ;   in Loop: Header=BB310_13 Depth=1
	s_or_b64 exec, exec, s[36:37]
.LBB310_208:                            ;   in Loop: Header=BB310_13 Depth=1
	s_or_b64 exec, exec, s[34:35]
	flat_load_dword v36, v[34:35] offset:2048
	v_mov_b32_e32 v0, 0
	buffer_store_dword v0, off, s[0:3], s32 offset:388 ; 4-byte Folded Spill
	v_mov_b32_e32 v0, 0
	buffer_store_dword v0, off, s[0:3], s32 offset:376 ; 4-byte Folded Spill
	s_waitcnt vmcnt(0) lgkmcnt(0)
	v_cmp_ne_u16_sdwa vcc, v36, v54 src0_sel:BYTE_0 src1_sel:DWORD
	s_and_saveexec_b64 s[34:35], vcc
	s_cbranch_execz .LBB310_214
; %bb.209:                              ;   in Loop: Header=BB310_13 Depth=1
	v_cmp_ne_u16_sdwa vcc, v36, s41 src0_sel:BYTE_0 src1_sel:DWORD
	v_bfrev_b32_e32 v0, 1
	buffer_store_dword v0, off, s[0:3], s32 offset:376 ; 4-byte Folded Spill
	s_and_saveexec_b64 s[36:37], vcc
	s_cbranch_execz .LBB310_213
; %bb.210:                              ;   in Loop: Header=BB310_13 Depth=1
	v_and_b32_e32 v0, 0x7f, v36
	v_cmp_ne_u32_e32 vcc, s42, v0
	v_mov_b32_e32 v1, 0x7fc02000
	buffer_store_dword v1, off, s[0:3], s32 offset:376 ; 4-byte Folded Spill
	s_and_saveexec_b64 s[38:39], vcc
	s_cbranch_execz .LBB310_212
; %bb.211:                              ;   in Loop: Header=BB310_13 Depth=1
	v_and_b32_e32 v1, 7, v36
	v_ffbh_u32_e32 v2, v1
	v_min_u32_e32 v6, 32, v2
	v_subrev_u32_e32 v2, 28, v6
	v_lshlrev_b64 v[2:3], v2, v[36:37]
	v_lshrrev_b32_e32 v4, 3, v0
	v_sub_u32_e32 v3, 29, v6
	v_cmp_gt_u32_e32 vcc, 8, v0
	v_and_b32_e32 v2, 7, v2
	v_cndmask_b32_e32 v0, v4, v3, vcc
	v_mov_b32_e32 v3, 0x2000
	v_cndmask_b32_e32 v1, v1, v2, vcc
	v_lshlrev_b32_e32 v2, 8, v36
	v_lshl_add_u32 v0, v0, 10, v3
	v_and_or_b32 v0, v2, s43, v0
	v_lshl_or_b32 v0, v1, 7, v0
	v_cvt_f32_f16_e32 v0, v0
	buffer_store_dword v0, off, s[0:3], s32 offset:376 ; 4-byte Folded Spill
.LBB310_212:                            ;   in Loop: Header=BB310_13 Depth=1
	s_or_b64 exec, exec, s[38:39]
.LBB310_213:                            ;   in Loop: Header=BB310_13 Depth=1
	s_or_b64 exec, exec, s[36:37]
.LBB310_214:                            ;   in Loop: Header=BB310_13 Depth=1
	s_or_b64 exec, exec, s[34:35]
	v_lshrrev_b16_e32 v38, 8, v36
	v_cmp_ne_u16_e32 vcc, 0, v38
	s_and_saveexec_b64 s[34:35], vcc
	s_cbranch_execz .LBB310_220
; %bb.215:                              ;   in Loop: Header=BB310_13 Depth=1
	v_cmp_ne_u16_e32 vcc, s41, v38
	v_bfrev_b32_e32 v0, 1
	buffer_store_dword v0, off, s[0:3], s32 offset:388 ; 4-byte Folded Spill
	s_and_saveexec_b64 s[36:37], vcc
	s_cbranch_execz .LBB310_219
; %bb.216:                              ;   in Loop: Header=BB310_13 Depth=1
	v_and_b32_e32 v0, 0x7f, v38
	v_cmp_ne_u32_e32 vcc, s42, v0
	v_mov_b32_e32 v1, 0x7fc02000
	buffer_store_dword v1, off, s[0:3], s32 offset:388 ; 4-byte Folded Spill
	s_and_saveexec_b64 s[38:39], vcc
	s_cbranch_execz .LBB310_218
; %bb.217:                              ;   in Loop: Header=BB310_13 Depth=1
	v_and_b32_e32 v1, 7, v38
	v_ffbh_u32_e32 v2, v1
	v_min_u32_e32 v6, 32, v2
	v_subrev_u32_e32 v2, 28, v6
	v_lshlrev_b64 v[2:3], v2, v[38:39]
	v_lshrrev_b32_e32 v4, 3, v0
	v_sub_u32_e32 v3, 29, v6
	v_cmp_gt_u32_e32 vcc, 8, v0
	v_and_b32_e32 v2, 7, v2
	v_cndmask_b32_e32 v0, v4, v3, vcc
	v_mov_b32_e32 v3, 0x2000
	v_cndmask_b32_e32 v1, v1, v2, vcc
	v_lshlrev_b32_e32 v2, 8, v38
	v_lshl_add_u32 v0, v0, 10, v3
	v_and_or_b32 v0, v2, s43, v0
	v_lshl_or_b32 v0, v1, 7, v0
	v_cvt_f32_f16_e32 v0, v0
	buffer_store_dword v0, off, s[0:3], s32 offset:388 ; 4-byte Folded Spill
.LBB310_218:                            ;   in Loop: Header=BB310_13 Depth=1
	s_or_b64 exec, exec, s[38:39]
.LBB310_219:                            ;   in Loop: Header=BB310_13 Depth=1
	s_or_b64 exec, exec, s[36:37]
.LBB310_220:                            ;   in Loop: Header=BB310_13 Depth=1
	s_or_b64 exec, exec, s[34:35]
	v_lshrrev_b32_e32 v38, 16, v36
	v_mov_b32_e32 v0, 0
	v_cmp_ne_u16_sdwa vcc, v38, v54 src0_sel:BYTE_0 src1_sel:DWORD
	buffer_store_dword v0, off, s[0:3], s32 offset:380 ; 4-byte Folded Spill
	v_mov_b32_e32 v0, 0
	buffer_store_dword v0, off, s[0:3], s32 offset:384 ; 4-byte Folded Spill
	s_and_saveexec_b64 s[34:35], vcc
	s_cbranch_execz .LBB310_226
; %bb.221:                              ;   in Loop: Header=BB310_13 Depth=1
	v_cmp_ne_u16_sdwa vcc, v38, s41 src0_sel:BYTE_0 src1_sel:DWORD
	v_bfrev_b32_e32 v0, 1
	buffer_store_dword v0, off, s[0:3], s32 offset:384 ; 4-byte Folded Spill
	s_and_saveexec_b64 s[36:37], vcc
	s_cbranch_execz .LBB310_225
; %bb.222:                              ;   in Loop: Header=BB310_13 Depth=1
	v_bfe_u32 v0, v36, 16, 7
	v_cmp_ne_u32_e32 vcc, s42, v0
	v_mov_b32_e32 v1, 0x7fc02000
	buffer_store_dword v1, off, s[0:3], s32 offset:384 ; 4-byte Folded Spill
	s_and_saveexec_b64 s[38:39], vcc
	s_cbranch_execz .LBB310_224
; %bb.223:                              ;   in Loop: Header=BB310_13 Depth=1
	v_and_b32_e32 v1, 7, v38
	v_ffbh_u32_e32 v2, v1
	v_min_u32_e32 v6, 32, v2
	v_subrev_u32_e32 v2, 28, v6
	v_lshlrev_b64 v[2:3], v2, v[38:39]
	v_lshrrev_b32_e32 v4, 3, v0
	v_sub_u32_e32 v3, 29, v6
	v_cmp_gt_u32_e32 vcc, 8, v0
	v_and_b32_e32 v2, 7, v2
	v_cndmask_b32_e32 v0, v4, v3, vcc
	v_mov_b32_e32 v3, 0x2000
	v_cndmask_b32_e32 v1, v1, v2, vcc
	v_lshlrev_b32_e32 v2, 8, v38
	v_lshl_add_u32 v0, v0, 10, v3
	v_and_or_b32 v0, v2, s43, v0
	v_lshl_or_b32 v0, v1, 7, v0
	v_cvt_f32_f16_e32 v0, v0
	buffer_store_dword v0, off, s[0:3], s32 offset:384 ; 4-byte Folded Spill
.LBB310_224:                            ;   in Loop: Header=BB310_13 Depth=1
	s_or_b64 exec, exec, s[38:39]
.LBB310_225:                            ;   in Loop: Header=BB310_13 Depth=1
	s_or_b64 exec, exec, s[36:37]
.LBB310_226:                            ;   in Loop: Header=BB310_13 Depth=1
	s_or_b64 exec, exec, s[34:35]
	v_cmp_lt_u32_e32 vcc, s44, v36
	s_and_saveexec_b64 s[34:35], vcc
	s_cbranch_execz .LBB310_232
; %bb.227:                              ;   in Loop: Header=BB310_13 Depth=1
	v_lshrrev_b32_e32 v36, 24, v36
	v_cmp_ne_u32_e32 vcc, s41, v36
	v_bfrev_b32_e32 v0, 1
	buffer_store_dword v0, off, s[0:3], s32 offset:380 ; 4-byte Folded Spill
	s_and_saveexec_b64 s[36:37], vcc
	s_cbranch_execz .LBB310_231
; %bb.228:                              ;   in Loop: Header=BB310_13 Depth=1
	v_and_b32_e32 v0, 0x7f, v36
	v_cmp_ne_u32_e32 vcc, s42, v0
	v_mov_b32_e32 v1, 0x7fc02000
	buffer_store_dword v1, off, s[0:3], s32 offset:380 ; 4-byte Folded Spill
	s_and_saveexec_b64 s[38:39], vcc
	s_cbranch_execz .LBB310_230
; %bb.229:                              ;   in Loop: Header=BB310_13 Depth=1
	v_and_b32_e32 v1, 7, v36
	v_ffbh_u32_e32 v2, v1
	v_min_u32_e32 v6, 32, v2
	v_subrev_u32_e32 v2, 28, v6
	v_lshlrev_b64 v[2:3], v2, v[36:37]
	v_lshrrev_b32_e32 v4, 3, v0
	v_sub_u32_e32 v3, 29, v6
	v_cmp_gt_u32_e32 vcc, 8, v0
	v_and_b32_e32 v2, 7, v2
	v_cndmask_b32_e32 v0, v4, v3, vcc
	v_mov_b32_e32 v3, 0x2000
	v_cndmask_b32_e32 v1, v1, v2, vcc
	v_lshlrev_b32_e32 v2, 8, v36
	v_lshl_add_u32 v0, v0, 10, v3
	v_and_or_b32 v0, v2, s43, v0
	v_lshl_or_b32 v0, v1, 7, v0
	v_cvt_f32_f16_e32 v0, v0
	buffer_store_dword v0, off, s[0:3], s32 offset:380 ; 4-byte Folded Spill
.LBB310_230:                            ;   in Loop: Header=BB310_13 Depth=1
	s_or_b64 exec, exec, s[38:39]
.LBB310_231:                            ;   in Loop: Header=BB310_13 Depth=1
	s_or_b64 exec, exec, s[36:37]
.LBB310_232:                            ;   in Loop: Header=BB310_13 Depth=1
	s_or_b64 exec, exec, s[34:35]
	flat_load_dword v36, v[34:35] offset:2056
	v_mov_b32_e32 v0, 0
	buffer_store_dword v0, off, s[0:3], s32 offset:404 ; 4-byte Folded Spill
	v_mov_b32_e32 v0, 0
	buffer_store_dword v0, off, s[0:3], s32 offset:392 ; 4-byte Folded Spill
	s_waitcnt vmcnt(0) lgkmcnt(0)
	v_cmp_ne_u16_sdwa vcc, v36, v54 src0_sel:BYTE_0 src1_sel:DWORD
	s_and_saveexec_b64 s[34:35], vcc
	s_cbranch_execz .LBB310_238
; %bb.233:                              ;   in Loop: Header=BB310_13 Depth=1
	v_cmp_ne_u16_sdwa vcc, v36, s41 src0_sel:BYTE_0 src1_sel:DWORD
	v_bfrev_b32_e32 v0, 1
	buffer_store_dword v0, off, s[0:3], s32 offset:392 ; 4-byte Folded Spill
	s_and_saveexec_b64 s[36:37], vcc
	s_cbranch_execz .LBB310_237
; %bb.234:                              ;   in Loop: Header=BB310_13 Depth=1
	v_and_b32_e32 v0, 0x7f, v36
	v_cmp_ne_u32_e32 vcc, s42, v0
	v_mov_b32_e32 v1, 0x7fc02000
	buffer_store_dword v1, off, s[0:3], s32 offset:392 ; 4-byte Folded Spill
	s_and_saveexec_b64 s[38:39], vcc
	s_cbranch_execz .LBB310_236
; %bb.235:                              ;   in Loop: Header=BB310_13 Depth=1
	v_and_b32_e32 v1, 7, v36
	v_ffbh_u32_e32 v2, v1
	v_min_u32_e32 v6, 32, v2
	v_subrev_u32_e32 v2, 28, v6
	v_lshlrev_b64 v[2:3], v2, v[36:37]
	v_lshrrev_b32_e32 v4, 3, v0
	v_sub_u32_e32 v3, 29, v6
	v_cmp_gt_u32_e32 vcc, 8, v0
	v_and_b32_e32 v2, 7, v2
	v_cndmask_b32_e32 v0, v4, v3, vcc
	v_mov_b32_e32 v3, 0x2000
	v_cndmask_b32_e32 v1, v1, v2, vcc
	v_lshlrev_b32_e32 v2, 8, v36
	v_lshl_add_u32 v0, v0, 10, v3
	v_and_or_b32 v0, v2, s43, v0
	v_lshl_or_b32 v0, v1, 7, v0
	v_cvt_f32_f16_e32 v0, v0
	buffer_store_dword v0, off, s[0:3], s32 offset:392 ; 4-byte Folded Spill
.LBB310_236:                            ;   in Loop: Header=BB310_13 Depth=1
	s_or_b64 exec, exec, s[38:39]
.LBB310_237:                            ;   in Loop: Header=BB310_13 Depth=1
	s_or_b64 exec, exec, s[36:37]
.LBB310_238:                            ;   in Loop: Header=BB310_13 Depth=1
	s_or_b64 exec, exec, s[34:35]
	v_lshrrev_b16_e32 v38, 8, v36
	v_cmp_ne_u16_e32 vcc, 0, v38
	s_and_saveexec_b64 s[34:35], vcc
	s_cbranch_execz .LBB310_244
; %bb.239:                              ;   in Loop: Header=BB310_13 Depth=1
	v_cmp_ne_u16_e32 vcc, s41, v38
	v_bfrev_b32_e32 v0, 1
	buffer_store_dword v0, off, s[0:3], s32 offset:404 ; 4-byte Folded Spill
	s_and_saveexec_b64 s[36:37], vcc
	s_cbranch_execz .LBB310_243
; %bb.240:                              ;   in Loop: Header=BB310_13 Depth=1
	v_and_b32_e32 v0, 0x7f, v38
	v_cmp_ne_u32_e32 vcc, s42, v0
	v_mov_b32_e32 v1, 0x7fc02000
	buffer_store_dword v1, off, s[0:3], s32 offset:404 ; 4-byte Folded Spill
	s_and_saveexec_b64 s[38:39], vcc
	s_cbranch_execz .LBB310_242
; %bb.241:                              ;   in Loop: Header=BB310_13 Depth=1
	v_and_b32_e32 v1, 7, v38
	v_ffbh_u32_e32 v2, v1
	v_min_u32_e32 v6, 32, v2
	v_subrev_u32_e32 v2, 28, v6
	v_lshlrev_b64 v[2:3], v2, v[38:39]
	v_lshrrev_b32_e32 v4, 3, v0
	v_sub_u32_e32 v3, 29, v6
	v_cmp_gt_u32_e32 vcc, 8, v0
	v_and_b32_e32 v2, 7, v2
	v_cndmask_b32_e32 v0, v4, v3, vcc
	v_mov_b32_e32 v3, 0x2000
	v_cndmask_b32_e32 v1, v1, v2, vcc
	v_lshlrev_b32_e32 v2, 8, v38
	v_lshl_add_u32 v0, v0, 10, v3
	v_and_or_b32 v0, v2, s43, v0
	v_lshl_or_b32 v0, v1, 7, v0
	v_cvt_f32_f16_e32 v0, v0
	buffer_store_dword v0, off, s[0:3], s32 offset:404 ; 4-byte Folded Spill
.LBB310_242:                            ;   in Loop: Header=BB310_13 Depth=1
	s_or_b64 exec, exec, s[38:39]
.LBB310_243:                            ;   in Loop: Header=BB310_13 Depth=1
	s_or_b64 exec, exec, s[36:37]
.LBB310_244:                            ;   in Loop: Header=BB310_13 Depth=1
	s_or_b64 exec, exec, s[34:35]
	v_lshrrev_b32_e32 v38, 16, v36
	v_mov_b32_e32 v0, 0
	v_cmp_ne_u16_sdwa vcc, v38, v54 src0_sel:BYTE_0 src1_sel:DWORD
	buffer_store_dword v0, off, s[0:3], s32 offset:396 ; 4-byte Folded Spill
	v_mov_b32_e32 v0, 0
	buffer_store_dword v0, off, s[0:3], s32 offset:400 ; 4-byte Folded Spill
	s_and_saveexec_b64 s[34:35], vcc
	s_cbranch_execz .LBB310_250
; %bb.245:                              ;   in Loop: Header=BB310_13 Depth=1
	v_cmp_ne_u16_sdwa vcc, v38, s41 src0_sel:BYTE_0 src1_sel:DWORD
	v_bfrev_b32_e32 v0, 1
	buffer_store_dword v0, off, s[0:3], s32 offset:400 ; 4-byte Folded Spill
	s_and_saveexec_b64 s[36:37], vcc
	s_cbranch_execz .LBB310_249
; %bb.246:                              ;   in Loop: Header=BB310_13 Depth=1
	v_bfe_u32 v0, v36, 16, 7
	v_cmp_ne_u32_e32 vcc, s42, v0
	v_mov_b32_e32 v1, 0x7fc02000
	buffer_store_dword v1, off, s[0:3], s32 offset:400 ; 4-byte Folded Spill
	s_and_saveexec_b64 s[38:39], vcc
	s_cbranch_execz .LBB310_248
; %bb.247:                              ;   in Loop: Header=BB310_13 Depth=1
	v_and_b32_e32 v1, 7, v38
	v_ffbh_u32_e32 v2, v1
	v_min_u32_e32 v6, 32, v2
	v_subrev_u32_e32 v2, 28, v6
	v_lshlrev_b64 v[2:3], v2, v[38:39]
	v_lshrrev_b32_e32 v4, 3, v0
	v_sub_u32_e32 v3, 29, v6
	v_cmp_gt_u32_e32 vcc, 8, v0
	v_and_b32_e32 v2, 7, v2
	v_cndmask_b32_e32 v0, v4, v3, vcc
	v_mov_b32_e32 v3, 0x2000
	v_cndmask_b32_e32 v1, v1, v2, vcc
	v_lshlrev_b32_e32 v2, 8, v38
	v_lshl_add_u32 v0, v0, 10, v3
	v_and_or_b32 v0, v2, s43, v0
	v_lshl_or_b32 v0, v1, 7, v0
	v_cvt_f32_f16_e32 v0, v0
	buffer_store_dword v0, off, s[0:3], s32 offset:400 ; 4-byte Folded Spill
.LBB310_248:                            ;   in Loop: Header=BB310_13 Depth=1
	s_or_b64 exec, exec, s[38:39]
.LBB310_249:                            ;   in Loop: Header=BB310_13 Depth=1
	s_or_b64 exec, exec, s[36:37]
.LBB310_250:                            ;   in Loop: Header=BB310_13 Depth=1
	s_or_b64 exec, exec, s[34:35]
	v_cmp_lt_u32_e32 vcc, s44, v36
	s_and_saveexec_b64 s[34:35], vcc
	s_cbranch_execz .LBB310_256
; %bb.251:                              ;   in Loop: Header=BB310_13 Depth=1
	v_lshrrev_b32_e32 v36, 24, v36
	v_cmp_ne_u32_e32 vcc, s41, v36
	v_bfrev_b32_e32 v0, 1
	buffer_store_dword v0, off, s[0:3], s32 offset:396 ; 4-byte Folded Spill
	s_and_saveexec_b64 s[36:37], vcc
	s_cbranch_execz .LBB310_255
; %bb.252:                              ;   in Loop: Header=BB310_13 Depth=1
	v_and_b32_e32 v0, 0x7f, v36
	v_cmp_ne_u32_e32 vcc, s42, v0
	v_mov_b32_e32 v1, 0x7fc02000
	buffer_store_dword v1, off, s[0:3], s32 offset:396 ; 4-byte Folded Spill
	s_and_saveexec_b64 s[38:39], vcc
	s_cbranch_execz .LBB310_254
; %bb.253:                              ;   in Loop: Header=BB310_13 Depth=1
	v_and_b32_e32 v1, 7, v36
	v_ffbh_u32_e32 v2, v1
	v_min_u32_e32 v6, 32, v2
	v_subrev_u32_e32 v2, 28, v6
	v_lshlrev_b64 v[2:3], v2, v[36:37]
	v_lshrrev_b32_e32 v4, 3, v0
	v_sub_u32_e32 v3, 29, v6
	v_cmp_gt_u32_e32 vcc, 8, v0
	v_and_b32_e32 v2, 7, v2
	v_cndmask_b32_e32 v0, v4, v3, vcc
	v_mov_b32_e32 v3, 0x2000
	v_cndmask_b32_e32 v1, v1, v2, vcc
	v_lshlrev_b32_e32 v2, 8, v36
	v_lshl_add_u32 v0, v0, 10, v3
	v_and_or_b32 v0, v2, s43, v0
	v_lshl_or_b32 v0, v1, 7, v0
	v_cvt_f32_f16_e32 v0, v0
	buffer_store_dword v0, off, s[0:3], s32 offset:396 ; 4-byte Folded Spill
.LBB310_254:                            ;   in Loop: Header=BB310_13 Depth=1
	s_or_b64 exec, exec, s[38:39]
.LBB310_255:                            ;   in Loop: Header=BB310_13 Depth=1
	s_or_b64 exec, exec, s[36:37]
.LBB310_256:                            ;   in Loop: Header=BB310_13 Depth=1
	s_or_b64 exec, exec, s[34:35]
	flat_load_dword v36, v[34:35] offset:2560
	v_mov_b32_e32 v0, 0
	buffer_store_dword v0, off, s[0:3], s32 offset:420 ; 4-byte Folded Spill
	v_mov_b32_e32 v0, 0
	buffer_store_dword v0, off, s[0:3], s32 offset:408 ; 4-byte Folded Spill
	s_waitcnt vmcnt(0) lgkmcnt(0)
	v_cmp_ne_u16_sdwa vcc, v36, v54 src0_sel:BYTE_0 src1_sel:DWORD
	s_and_saveexec_b64 s[34:35], vcc
	s_cbranch_execz .LBB310_262
; %bb.257:                              ;   in Loop: Header=BB310_13 Depth=1
	v_cmp_ne_u16_sdwa vcc, v36, s41 src0_sel:BYTE_0 src1_sel:DWORD
	v_bfrev_b32_e32 v0, 1
	buffer_store_dword v0, off, s[0:3], s32 offset:408 ; 4-byte Folded Spill
	s_and_saveexec_b64 s[36:37], vcc
	s_cbranch_execz .LBB310_261
; %bb.258:                              ;   in Loop: Header=BB310_13 Depth=1
	v_and_b32_e32 v0, 0x7f, v36
	v_cmp_ne_u32_e32 vcc, s42, v0
	v_mov_b32_e32 v1, 0x7fc02000
	buffer_store_dword v1, off, s[0:3], s32 offset:408 ; 4-byte Folded Spill
	s_and_saveexec_b64 s[38:39], vcc
	s_cbranch_execz .LBB310_260
; %bb.259:                              ;   in Loop: Header=BB310_13 Depth=1
	v_and_b32_e32 v1, 7, v36
	v_ffbh_u32_e32 v2, v1
	v_min_u32_e32 v6, 32, v2
	v_subrev_u32_e32 v2, 28, v6
	v_lshlrev_b64 v[2:3], v2, v[36:37]
	v_lshrrev_b32_e32 v4, 3, v0
	v_sub_u32_e32 v3, 29, v6
	v_cmp_gt_u32_e32 vcc, 8, v0
	v_and_b32_e32 v2, 7, v2
	v_cndmask_b32_e32 v0, v4, v3, vcc
	v_mov_b32_e32 v3, 0x2000
	v_cndmask_b32_e32 v1, v1, v2, vcc
	v_lshlrev_b32_e32 v2, 8, v36
	v_lshl_add_u32 v0, v0, 10, v3
	v_and_or_b32 v0, v2, s43, v0
	v_lshl_or_b32 v0, v1, 7, v0
	v_cvt_f32_f16_e32 v0, v0
	buffer_store_dword v0, off, s[0:3], s32 offset:408 ; 4-byte Folded Spill
.LBB310_260:                            ;   in Loop: Header=BB310_13 Depth=1
	s_or_b64 exec, exec, s[38:39]
.LBB310_261:                            ;   in Loop: Header=BB310_13 Depth=1
	s_or_b64 exec, exec, s[36:37]
.LBB310_262:                            ;   in Loop: Header=BB310_13 Depth=1
	s_or_b64 exec, exec, s[34:35]
	v_lshrrev_b16_e32 v38, 8, v36
	v_cmp_ne_u16_e32 vcc, 0, v38
	s_and_saveexec_b64 s[34:35], vcc
	s_cbranch_execz .LBB310_268
; %bb.263:                              ;   in Loop: Header=BB310_13 Depth=1
	v_cmp_ne_u16_e32 vcc, s41, v38
	v_bfrev_b32_e32 v0, 1
	buffer_store_dword v0, off, s[0:3], s32 offset:420 ; 4-byte Folded Spill
	s_and_saveexec_b64 s[36:37], vcc
	s_cbranch_execz .LBB310_267
; %bb.264:                              ;   in Loop: Header=BB310_13 Depth=1
	v_and_b32_e32 v0, 0x7f, v38
	v_cmp_ne_u32_e32 vcc, s42, v0
	v_mov_b32_e32 v1, 0x7fc02000
	buffer_store_dword v1, off, s[0:3], s32 offset:420 ; 4-byte Folded Spill
	s_and_saveexec_b64 s[38:39], vcc
	s_cbranch_execz .LBB310_266
; %bb.265:                              ;   in Loop: Header=BB310_13 Depth=1
	v_and_b32_e32 v1, 7, v38
	v_ffbh_u32_e32 v2, v1
	v_min_u32_e32 v6, 32, v2
	v_subrev_u32_e32 v2, 28, v6
	v_lshlrev_b64 v[2:3], v2, v[38:39]
	v_lshrrev_b32_e32 v4, 3, v0
	v_sub_u32_e32 v3, 29, v6
	v_cmp_gt_u32_e32 vcc, 8, v0
	v_and_b32_e32 v2, 7, v2
	v_cndmask_b32_e32 v0, v4, v3, vcc
	v_mov_b32_e32 v3, 0x2000
	v_cndmask_b32_e32 v1, v1, v2, vcc
	v_lshlrev_b32_e32 v2, 8, v38
	v_lshl_add_u32 v0, v0, 10, v3
	v_and_or_b32 v0, v2, s43, v0
	v_lshl_or_b32 v0, v1, 7, v0
	v_cvt_f32_f16_e32 v0, v0
	buffer_store_dword v0, off, s[0:3], s32 offset:420 ; 4-byte Folded Spill
.LBB310_266:                            ;   in Loop: Header=BB310_13 Depth=1
	s_or_b64 exec, exec, s[38:39]
.LBB310_267:                            ;   in Loop: Header=BB310_13 Depth=1
	s_or_b64 exec, exec, s[36:37]
.LBB310_268:                            ;   in Loop: Header=BB310_13 Depth=1
	s_or_b64 exec, exec, s[34:35]
	v_lshrrev_b32_e32 v38, 16, v36
	v_mov_b32_e32 v0, 0
	v_cmp_ne_u16_sdwa vcc, v38, v54 src0_sel:BYTE_0 src1_sel:DWORD
	buffer_store_dword v0, off, s[0:3], s32 offset:412 ; 4-byte Folded Spill
	v_mov_b32_e32 v0, 0
	buffer_store_dword v0, off, s[0:3], s32 offset:416 ; 4-byte Folded Spill
	s_and_saveexec_b64 s[34:35], vcc
	s_cbranch_execz .LBB310_274
; %bb.269:                              ;   in Loop: Header=BB310_13 Depth=1
	v_cmp_ne_u16_sdwa vcc, v38, s41 src0_sel:BYTE_0 src1_sel:DWORD
	v_bfrev_b32_e32 v0, 1
	buffer_store_dword v0, off, s[0:3], s32 offset:416 ; 4-byte Folded Spill
	s_and_saveexec_b64 s[36:37], vcc
	s_cbranch_execz .LBB310_273
; %bb.270:                              ;   in Loop: Header=BB310_13 Depth=1
	v_bfe_u32 v0, v36, 16, 7
	v_cmp_ne_u32_e32 vcc, s42, v0
	v_mov_b32_e32 v1, 0x7fc02000
	buffer_store_dword v1, off, s[0:3], s32 offset:416 ; 4-byte Folded Spill
	s_and_saveexec_b64 s[38:39], vcc
	s_cbranch_execz .LBB310_272
; %bb.271:                              ;   in Loop: Header=BB310_13 Depth=1
	v_and_b32_e32 v1, 7, v38
	v_ffbh_u32_e32 v2, v1
	v_min_u32_e32 v6, 32, v2
	v_subrev_u32_e32 v2, 28, v6
	v_lshlrev_b64 v[2:3], v2, v[38:39]
	v_lshrrev_b32_e32 v4, 3, v0
	v_sub_u32_e32 v3, 29, v6
	v_cmp_gt_u32_e32 vcc, 8, v0
	v_and_b32_e32 v2, 7, v2
	v_cndmask_b32_e32 v0, v4, v3, vcc
	v_mov_b32_e32 v3, 0x2000
	v_cndmask_b32_e32 v1, v1, v2, vcc
	v_lshlrev_b32_e32 v2, 8, v38
	v_lshl_add_u32 v0, v0, 10, v3
	v_and_or_b32 v0, v2, s43, v0
	v_lshl_or_b32 v0, v1, 7, v0
	v_cvt_f32_f16_e32 v0, v0
	buffer_store_dword v0, off, s[0:3], s32 offset:416 ; 4-byte Folded Spill
.LBB310_272:                            ;   in Loop: Header=BB310_13 Depth=1
	s_or_b64 exec, exec, s[38:39]
.LBB310_273:                            ;   in Loop: Header=BB310_13 Depth=1
	s_or_b64 exec, exec, s[36:37]
.LBB310_274:                            ;   in Loop: Header=BB310_13 Depth=1
	s_or_b64 exec, exec, s[34:35]
	v_cmp_lt_u32_e32 vcc, s44, v36
	s_and_saveexec_b64 s[34:35], vcc
	s_cbranch_execz .LBB310_280
; %bb.275:                              ;   in Loop: Header=BB310_13 Depth=1
	v_lshrrev_b32_e32 v36, 24, v36
	v_cmp_ne_u32_e32 vcc, s41, v36
	v_bfrev_b32_e32 v0, 1
	buffer_store_dword v0, off, s[0:3], s32 offset:412 ; 4-byte Folded Spill
	s_and_saveexec_b64 s[36:37], vcc
	s_cbranch_execz .LBB310_279
; %bb.276:                              ;   in Loop: Header=BB310_13 Depth=1
	v_and_b32_e32 v0, 0x7f, v36
	v_cmp_ne_u32_e32 vcc, s42, v0
	v_mov_b32_e32 v1, 0x7fc02000
	buffer_store_dword v1, off, s[0:3], s32 offset:412 ; 4-byte Folded Spill
	s_and_saveexec_b64 s[38:39], vcc
	s_cbranch_execz .LBB310_278
; %bb.277:                              ;   in Loop: Header=BB310_13 Depth=1
	v_and_b32_e32 v1, 7, v36
	v_ffbh_u32_e32 v2, v1
	v_min_u32_e32 v6, 32, v2
	v_subrev_u32_e32 v2, 28, v6
	v_lshlrev_b64 v[2:3], v2, v[36:37]
	v_lshrrev_b32_e32 v4, 3, v0
	v_sub_u32_e32 v3, 29, v6
	v_cmp_gt_u32_e32 vcc, 8, v0
	v_and_b32_e32 v2, 7, v2
	v_cndmask_b32_e32 v0, v4, v3, vcc
	v_mov_b32_e32 v3, 0x2000
	v_cndmask_b32_e32 v1, v1, v2, vcc
	v_lshlrev_b32_e32 v2, 8, v36
	v_lshl_add_u32 v0, v0, 10, v3
	v_and_or_b32 v0, v2, s43, v0
	v_lshl_or_b32 v0, v1, 7, v0
	v_cvt_f32_f16_e32 v0, v0
	buffer_store_dword v0, off, s[0:3], s32 offset:412 ; 4-byte Folded Spill
.LBB310_278:                            ;   in Loop: Header=BB310_13 Depth=1
	s_or_b64 exec, exec, s[38:39]
.LBB310_279:                            ;   in Loop: Header=BB310_13 Depth=1
	s_or_b64 exec, exec, s[36:37]
.LBB310_280:                            ;   in Loop: Header=BB310_13 Depth=1
	s_or_b64 exec, exec, s[34:35]
	flat_load_dword v36, v[34:35] offset:2568
	v_mov_b32_e32 v0, 0
	buffer_store_dword v0, off, s[0:3], s32 offset:436 ; 4-byte Folded Spill
	v_mov_b32_e32 v0, 0
	buffer_store_dword v0, off, s[0:3], s32 offset:424 ; 4-byte Folded Spill
	s_waitcnt vmcnt(0) lgkmcnt(0)
	v_cmp_ne_u16_sdwa vcc, v36, v54 src0_sel:BYTE_0 src1_sel:DWORD
	s_and_saveexec_b64 s[34:35], vcc
	s_cbranch_execz .LBB310_286
; %bb.281:                              ;   in Loop: Header=BB310_13 Depth=1
	v_cmp_ne_u16_sdwa vcc, v36, s41 src0_sel:BYTE_0 src1_sel:DWORD
	v_bfrev_b32_e32 v0, 1
	buffer_store_dword v0, off, s[0:3], s32 offset:424 ; 4-byte Folded Spill
	s_and_saveexec_b64 s[36:37], vcc
	s_cbranch_execz .LBB310_285
; %bb.282:                              ;   in Loop: Header=BB310_13 Depth=1
	v_and_b32_e32 v0, 0x7f, v36
	v_cmp_ne_u32_e32 vcc, s42, v0
	v_mov_b32_e32 v1, 0x7fc02000
	buffer_store_dword v1, off, s[0:3], s32 offset:424 ; 4-byte Folded Spill
	s_and_saveexec_b64 s[38:39], vcc
	s_cbranch_execz .LBB310_284
; %bb.283:                              ;   in Loop: Header=BB310_13 Depth=1
	v_and_b32_e32 v1, 7, v36
	v_ffbh_u32_e32 v2, v1
	v_min_u32_e32 v6, 32, v2
	v_subrev_u32_e32 v2, 28, v6
	v_lshlrev_b64 v[2:3], v2, v[36:37]
	v_lshrrev_b32_e32 v4, 3, v0
	v_sub_u32_e32 v3, 29, v6
	v_cmp_gt_u32_e32 vcc, 8, v0
	v_and_b32_e32 v2, 7, v2
	v_cndmask_b32_e32 v0, v4, v3, vcc
	v_mov_b32_e32 v3, 0x2000
	v_cndmask_b32_e32 v1, v1, v2, vcc
	v_lshlrev_b32_e32 v2, 8, v36
	v_lshl_add_u32 v0, v0, 10, v3
	v_and_or_b32 v0, v2, s43, v0
	v_lshl_or_b32 v0, v1, 7, v0
	v_cvt_f32_f16_e32 v0, v0
	buffer_store_dword v0, off, s[0:3], s32 offset:424 ; 4-byte Folded Spill
.LBB310_284:                            ;   in Loop: Header=BB310_13 Depth=1
	s_or_b64 exec, exec, s[38:39]
.LBB310_285:                            ;   in Loop: Header=BB310_13 Depth=1
	s_or_b64 exec, exec, s[36:37]
.LBB310_286:                            ;   in Loop: Header=BB310_13 Depth=1
	s_or_b64 exec, exec, s[34:35]
	v_lshrrev_b16_e32 v38, 8, v36
	v_cmp_ne_u16_e32 vcc, 0, v38
	s_and_saveexec_b64 s[34:35], vcc
	s_cbranch_execz .LBB310_292
; %bb.287:                              ;   in Loop: Header=BB310_13 Depth=1
	v_cmp_ne_u16_e32 vcc, s41, v38
	v_bfrev_b32_e32 v0, 1
	buffer_store_dword v0, off, s[0:3], s32 offset:436 ; 4-byte Folded Spill
	s_and_saveexec_b64 s[36:37], vcc
	s_cbranch_execz .LBB310_291
; %bb.288:                              ;   in Loop: Header=BB310_13 Depth=1
	v_and_b32_e32 v0, 0x7f, v38
	v_cmp_ne_u32_e32 vcc, s42, v0
	v_mov_b32_e32 v1, 0x7fc02000
	buffer_store_dword v1, off, s[0:3], s32 offset:436 ; 4-byte Folded Spill
	s_and_saveexec_b64 s[38:39], vcc
	s_cbranch_execz .LBB310_290
; %bb.289:                              ;   in Loop: Header=BB310_13 Depth=1
	v_and_b32_e32 v1, 7, v38
	v_ffbh_u32_e32 v2, v1
	v_min_u32_e32 v6, 32, v2
	v_subrev_u32_e32 v2, 28, v6
	v_lshlrev_b64 v[2:3], v2, v[38:39]
	v_lshrrev_b32_e32 v4, 3, v0
	v_sub_u32_e32 v3, 29, v6
	v_cmp_gt_u32_e32 vcc, 8, v0
	v_and_b32_e32 v2, 7, v2
	v_cndmask_b32_e32 v0, v4, v3, vcc
	v_mov_b32_e32 v3, 0x2000
	v_cndmask_b32_e32 v1, v1, v2, vcc
	v_lshlrev_b32_e32 v2, 8, v38
	v_lshl_add_u32 v0, v0, 10, v3
	v_and_or_b32 v0, v2, s43, v0
	v_lshl_or_b32 v0, v1, 7, v0
	v_cvt_f32_f16_e32 v0, v0
	buffer_store_dword v0, off, s[0:3], s32 offset:436 ; 4-byte Folded Spill
.LBB310_290:                            ;   in Loop: Header=BB310_13 Depth=1
	s_or_b64 exec, exec, s[38:39]
.LBB310_291:                            ;   in Loop: Header=BB310_13 Depth=1
	s_or_b64 exec, exec, s[36:37]
.LBB310_292:                            ;   in Loop: Header=BB310_13 Depth=1
	s_or_b64 exec, exec, s[34:35]
	v_lshrrev_b32_e32 v38, 16, v36
	v_mov_b32_e32 v0, 0
	v_cmp_ne_u16_sdwa vcc, v38, v54 src0_sel:BYTE_0 src1_sel:DWORD
	buffer_store_dword v0, off, s[0:3], s32 offset:428 ; 4-byte Folded Spill
	v_mov_b32_e32 v0, 0
	buffer_store_dword v0, off, s[0:3], s32 offset:432 ; 4-byte Folded Spill
	s_and_saveexec_b64 s[34:35], vcc
	s_cbranch_execz .LBB310_298
; %bb.293:                              ;   in Loop: Header=BB310_13 Depth=1
	v_cmp_ne_u16_sdwa vcc, v38, s41 src0_sel:BYTE_0 src1_sel:DWORD
	v_bfrev_b32_e32 v0, 1
	buffer_store_dword v0, off, s[0:3], s32 offset:432 ; 4-byte Folded Spill
	s_and_saveexec_b64 s[36:37], vcc
	s_cbranch_execz .LBB310_297
; %bb.294:                              ;   in Loop: Header=BB310_13 Depth=1
	v_bfe_u32 v0, v36, 16, 7
	v_cmp_ne_u32_e32 vcc, s42, v0
	v_mov_b32_e32 v1, 0x7fc02000
	buffer_store_dword v1, off, s[0:3], s32 offset:432 ; 4-byte Folded Spill
	s_and_saveexec_b64 s[38:39], vcc
	s_cbranch_execz .LBB310_296
; %bb.295:                              ;   in Loop: Header=BB310_13 Depth=1
	v_and_b32_e32 v1, 7, v38
	v_ffbh_u32_e32 v2, v1
	v_min_u32_e32 v6, 32, v2
	v_subrev_u32_e32 v2, 28, v6
	v_lshlrev_b64 v[2:3], v2, v[38:39]
	v_lshrrev_b32_e32 v4, 3, v0
	v_sub_u32_e32 v3, 29, v6
	v_cmp_gt_u32_e32 vcc, 8, v0
	v_and_b32_e32 v2, 7, v2
	v_cndmask_b32_e32 v0, v4, v3, vcc
	v_mov_b32_e32 v3, 0x2000
	v_cndmask_b32_e32 v1, v1, v2, vcc
	v_lshlrev_b32_e32 v2, 8, v38
	v_lshl_add_u32 v0, v0, 10, v3
	v_and_or_b32 v0, v2, s43, v0
	v_lshl_or_b32 v0, v1, 7, v0
	v_cvt_f32_f16_e32 v0, v0
	buffer_store_dword v0, off, s[0:3], s32 offset:432 ; 4-byte Folded Spill
.LBB310_296:                            ;   in Loop: Header=BB310_13 Depth=1
	s_or_b64 exec, exec, s[38:39]
.LBB310_297:                            ;   in Loop: Header=BB310_13 Depth=1
	s_or_b64 exec, exec, s[36:37]
.LBB310_298:                            ;   in Loop: Header=BB310_13 Depth=1
	s_or_b64 exec, exec, s[34:35]
	v_cmp_lt_u32_e32 vcc, s44, v36
	s_and_saveexec_b64 s[34:35], vcc
	s_cbranch_execz .LBB310_304
; %bb.299:                              ;   in Loop: Header=BB310_13 Depth=1
	v_lshrrev_b32_e32 v36, 24, v36
	v_cmp_ne_u32_e32 vcc, s41, v36
	v_bfrev_b32_e32 v0, 1
	buffer_store_dword v0, off, s[0:3], s32 offset:428 ; 4-byte Folded Spill
	s_and_saveexec_b64 s[36:37], vcc
	s_cbranch_execz .LBB310_303
; %bb.300:                              ;   in Loop: Header=BB310_13 Depth=1
	v_and_b32_e32 v0, 0x7f, v36
	v_cmp_ne_u32_e32 vcc, s42, v0
	v_mov_b32_e32 v1, 0x7fc02000
	buffer_store_dword v1, off, s[0:3], s32 offset:428 ; 4-byte Folded Spill
	s_and_saveexec_b64 s[38:39], vcc
	s_cbranch_execz .LBB310_302
; %bb.301:                              ;   in Loop: Header=BB310_13 Depth=1
	v_and_b32_e32 v1, 7, v36
	v_ffbh_u32_e32 v2, v1
	v_min_u32_e32 v6, 32, v2
	v_subrev_u32_e32 v2, 28, v6
	v_lshlrev_b64 v[2:3], v2, v[36:37]
	v_lshrrev_b32_e32 v4, 3, v0
	v_sub_u32_e32 v3, 29, v6
	v_cmp_gt_u32_e32 vcc, 8, v0
	v_and_b32_e32 v2, 7, v2
	v_cndmask_b32_e32 v0, v4, v3, vcc
	v_mov_b32_e32 v3, 0x2000
	v_cndmask_b32_e32 v1, v1, v2, vcc
	v_lshlrev_b32_e32 v2, 8, v36
	v_lshl_add_u32 v0, v0, 10, v3
	v_and_or_b32 v0, v2, s43, v0
	v_lshl_or_b32 v0, v1, 7, v0
	v_cvt_f32_f16_e32 v0, v0
	buffer_store_dword v0, off, s[0:3], s32 offset:428 ; 4-byte Folded Spill
.LBB310_302:                            ;   in Loop: Header=BB310_13 Depth=1
	s_or_b64 exec, exec, s[38:39]
.LBB310_303:                            ;   in Loop: Header=BB310_13 Depth=1
	s_or_b64 exec, exec, s[36:37]
.LBB310_304:                            ;   in Loop: Header=BB310_13 Depth=1
	s_or_b64 exec, exec, s[34:35]
	flat_load_dword v36, v[34:35] offset:3072
	v_mov_b32_e32 v0, 0
	buffer_store_dword v0, off, s[0:3], s32 offset:452 ; 4-byte Folded Spill
	v_mov_b32_e32 v0, 0
	buffer_store_dword v0, off, s[0:3], s32 offset:440 ; 4-byte Folded Spill
	s_waitcnt vmcnt(0) lgkmcnt(0)
	v_cmp_ne_u16_sdwa vcc, v36, v54 src0_sel:BYTE_0 src1_sel:DWORD
	s_and_saveexec_b64 s[34:35], vcc
	s_cbranch_execz .LBB310_310
; %bb.305:                              ;   in Loop: Header=BB310_13 Depth=1
	v_cmp_ne_u16_sdwa vcc, v36, s41 src0_sel:BYTE_0 src1_sel:DWORD
	v_bfrev_b32_e32 v0, 1
	buffer_store_dword v0, off, s[0:3], s32 offset:440 ; 4-byte Folded Spill
	s_and_saveexec_b64 s[36:37], vcc
	s_cbranch_execz .LBB310_309
; %bb.306:                              ;   in Loop: Header=BB310_13 Depth=1
	v_and_b32_e32 v0, 0x7f, v36
	v_cmp_ne_u32_e32 vcc, s42, v0
	v_mov_b32_e32 v1, 0x7fc02000
	buffer_store_dword v1, off, s[0:3], s32 offset:440 ; 4-byte Folded Spill
	s_and_saveexec_b64 s[38:39], vcc
	s_cbranch_execz .LBB310_308
; %bb.307:                              ;   in Loop: Header=BB310_13 Depth=1
	v_and_b32_e32 v1, 7, v36
	v_ffbh_u32_e32 v2, v1
	v_min_u32_e32 v6, 32, v2
	v_subrev_u32_e32 v2, 28, v6
	v_lshlrev_b64 v[2:3], v2, v[36:37]
	v_lshrrev_b32_e32 v4, 3, v0
	v_sub_u32_e32 v3, 29, v6
	v_cmp_gt_u32_e32 vcc, 8, v0
	v_and_b32_e32 v2, 7, v2
	v_cndmask_b32_e32 v0, v4, v3, vcc
	v_mov_b32_e32 v3, 0x2000
	v_cndmask_b32_e32 v1, v1, v2, vcc
	v_lshlrev_b32_e32 v2, 8, v36
	v_lshl_add_u32 v0, v0, 10, v3
	v_and_or_b32 v0, v2, s43, v0
	v_lshl_or_b32 v0, v1, 7, v0
	v_cvt_f32_f16_e32 v0, v0
	buffer_store_dword v0, off, s[0:3], s32 offset:440 ; 4-byte Folded Spill
.LBB310_308:                            ;   in Loop: Header=BB310_13 Depth=1
	s_or_b64 exec, exec, s[38:39]
.LBB310_309:                            ;   in Loop: Header=BB310_13 Depth=1
	s_or_b64 exec, exec, s[36:37]
.LBB310_310:                            ;   in Loop: Header=BB310_13 Depth=1
	s_or_b64 exec, exec, s[34:35]
	v_lshrrev_b16_e32 v38, 8, v36
	v_cmp_ne_u16_e32 vcc, 0, v38
	s_and_saveexec_b64 s[34:35], vcc
	s_cbranch_execz .LBB310_316
; %bb.311:                              ;   in Loop: Header=BB310_13 Depth=1
	v_cmp_ne_u16_e32 vcc, s41, v38
	v_bfrev_b32_e32 v0, 1
	buffer_store_dword v0, off, s[0:3], s32 offset:452 ; 4-byte Folded Spill
	s_and_saveexec_b64 s[36:37], vcc
	s_cbranch_execz .LBB310_315
; %bb.312:                              ;   in Loop: Header=BB310_13 Depth=1
	v_and_b32_e32 v0, 0x7f, v38
	v_cmp_ne_u32_e32 vcc, s42, v0
	v_mov_b32_e32 v1, 0x7fc02000
	buffer_store_dword v1, off, s[0:3], s32 offset:452 ; 4-byte Folded Spill
	s_and_saveexec_b64 s[38:39], vcc
	s_cbranch_execz .LBB310_314
; %bb.313:                              ;   in Loop: Header=BB310_13 Depth=1
	v_and_b32_e32 v1, 7, v38
	v_ffbh_u32_e32 v2, v1
	v_min_u32_e32 v6, 32, v2
	v_subrev_u32_e32 v2, 28, v6
	v_lshlrev_b64 v[2:3], v2, v[38:39]
	v_lshrrev_b32_e32 v4, 3, v0
	v_sub_u32_e32 v3, 29, v6
	v_cmp_gt_u32_e32 vcc, 8, v0
	v_and_b32_e32 v2, 7, v2
	v_cndmask_b32_e32 v0, v4, v3, vcc
	v_mov_b32_e32 v3, 0x2000
	v_cndmask_b32_e32 v1, v1, v2, vcc
	v_lshlrev_b32_e32 v2, 8, v38
	v_lshl_add_u32 v0, v0, 10, v3
	v_and_or_b32 v0, v2, s43, v0
	v_lshl_or_b32 v0, v1, 7, v0
	v_cvt_f32_f16_e32 v0, v0
	buffer_store_dword v0, off, s[0:3], s32 offset:452 ; 4-byte Folded Spill
.LBB310_314:                            ;   in Loop: Header=BB310_13 Depth=1
	s_or_b64 exec, exec, s[38:39]
.LBB310_315:                            ;   in Loop: Header=BB310_13 Depth=1
	s_or_b64 exec, exec, s[36:37]
.LBB310_316:                            ;   in Loop: Header=BB310_13 Depth=1
	s_or_b64 exec, exec, s[34:35]
	v_lshrrev_b32_e32 v38, 16, v36
	v_mov_b32_e32 v0, 0
	v_cmp_ne_u16_sdwa vcc, v38, v54 src0_sel:BYTE_0 src1_sel:DWORD
	buffer_store_dword v0, off, s[0:3], s32 offset:444 ; 4-byte Folded Spill
	v_mov_b32_e32 v0, 0
	buffer_store_dword v0, off, s[0:3], s32 offset:448 ; 4-byte Folded Spill
	s_and_saveexec_b64 s[34:35], vcc
	s_cbranch_execz .LBB310_322
; %bb.317:                              ;   in Loop: Header=BB310_13 Depth=1
	v_cmp_ne_u16_sdwa vcc, v38, s41 src0_sel:BYTE_0 src1_sel:DWORD
	v_bfrev_b32_e32 v0, 1
	buffer_store_dword v0, off, s[0:3], s32 offset:448 ; 4-byte Folded Spill
	s_and_saveexec_b64 s[36:37], vcc
	s_cbranch_execz .LBB310_321
; %bb.318:                              ;   in Loop: Header=BB310_13 Depth=1
	v_bfe_u32 v0, v36, 16, 7
	v_cmp_ne_u32_e32 vcc, s42, v0
	v_mov_b32_e32 v1, 0x7fc02000
	buffer_store_dword v1, off, s[0:3], s32 offset:448 ; 4-byte Folded Spill
	s_and_saveexec_b64 s[38:39], vcc
	s_cbranch_execz .LBB310_320
; %bb.319:                              ;   in Loop: Header=BB310_13 Depth=1
	v_and_b32_e32 v1, 7, v38
	v_ffbh_u32_e32 v2, v1
	v_min_u32_e32 v6, 32, v2
	v_subrev_u32_e32 v2, 28, v6
	v_lshlrev_b64 v[2:3], v2, v[38:39]
	v_lshrrev_b32_e32 v4, 3, v0
	v_sub_u32_e32 v3, 29, v6
	v_cmp_gt_u32_e32 vcc, 8, v0
	v_and_b32_e32 v2, 7, v2
	v_cndmask_b32_e32 v0, v4, v3, vcc
	v_mov_b32_e32 v3, 0x2000
	v_cndmask_b32_e32 v1, v1, v2, vcc
	v_lshlrev_b32_e32 v2, 8, v38
	v_lshl_add_u32 v0, v0, 10, v3
	v_and_or_b32 v0, v2, s43, v0
	v_lshl_or_b32 v0, v1, 7, v0
	v_cvt_f32_f16_e32 v0, v0
	buffer_store_dword v0, off, s[0:3], s32 offset:448 ; 4-byte Folded Spill
.LBB310_320:                            ;   in Loop: Header=BB310_13 Depth=1
	s_or_b64 exec, exec, s[38:39]
.LBB310_321:                            ;   in Loop: Header=BB310_13 Depth=1
	s_or_b64 exec, exec, s[36:37]
.LBB310_322:                            ;   in Loop: Header=BB310_13 Depth=1
	s_or_b64 exec, exec, s[34:35]
	v_cmp_lt_u32_e32 vcc, s44, v36
	s_and_saveexec_b64 s[34:35], vcc
	s_cbranch_execz .LBB310_328
; %bb.323:                              ;   in Loop: Header=BB310_13 Depth=1
	v_lshrrev_b32_e32 v36, 24, v36
	v_cmp_ne_u32_e32 vcc, s41, v36
	v_bfrev_b32_e32 v0, 1
	buffer_store_dword v0, off, s[0:3], s32 offset:444 ; 4-byte Folded Spill
	s_and_saveexec_b64 s[36:37], vcc
	s_cbranch_execz .LBB310_327
; %bb.324:                              ;   in Loop: Header=BB310_13 Depth=1
	v_and_b32_e32 v0, 0x7f, v36
	v_cmp_ne_u32_e32 vcc, s42, v0
	v_mov_b32_e32 v1, 0x7fc02000
	buffer_store_dword v1, off, s[0:3], s32 offset:444 ; 4-byte Folded Spill
	s_and_saveexec_b64 s[38:39], vcc
	s_cbranch_execz .LBB310_326
; %bb.325:                              ;   in Loop: Header=BB310_13 Depth=1
	v_and_b32_e32 v1, 7, v36
	v_ffbh_u32_e32 v2, v1
	v_min_u32_e32 v6, 32, v2
	v_subrev_u32_e32 v2, 28, v6
	v_lshlrev_b64 v[2:3], v2, v[36:37]
	v_lshrrev_b32_e32 v4, 3, v0
	v_sub_u32_e32 v3, 29, v6
	v_cmp_gt_u32_e32 vcc, 8, v0
	v_and_b32_e32 v2, 7, v2
	v_cndmask_b32_e32 v0, v4, v3, vcc
	v_mov_b32_e32 v3, 0x2000
	v_cndmask_b32_e32 v1, v1, v2, vcc
	v_lshlrev_b32_e32 v2, 8, v36
	v_lshl_add_u32 v0, v0, 10, v3
	v_and_or_b32 v0, v2, s43, v0
	v_lshl_or_b32 v0, v1, 7, v0
	v_cvt_f32_f16_e32 v0, v0
	buffer_store_dword v0, off, s[0:3], s32 offset:444 ; 4-byte Folded Spill
.LBB310_326:                            ;   in Loop: Header=BB310_13 Depth=1
	s_or_b64 exec, exec, s[38:39]
.LBB310_327:                            ;   in Loop: Header=BB310_13 Depth=1
	s_or_b64 exec, exec, s[36:37]
.LBB310_328:                            ;   in Loop: Header=BB310_13 Depth=1
	s_or_b64 exec, exec, s[34:35]
	flat_load_dword v36, v[34:35] offset:3080
	v_mov_b32_e32 v0, 0
	buffer_store_dword v0, off, s[0:3], s32 offset:468 ; 4-byte Folded Spill
	v_mov_b32_e32 v0, 0
	buffer_store_dword v0, off, s[0:3], s32 offset:456 ; 4-byte Folded Spill
	s_waitcnt vmcnt(0) lgkmcnt(0)
	v_cmp_ne_u16_sdwa vcc, v36, v54 src0_sel:BYTE_0 src1_sel:DWORD
	s_and_saveexec_b64 s[34:35], vcc
	s_cbranch_execz .LBB310_334
; %bb.329:                              ;   in Loop: Header=BB310_13 Depth=1
	v_cmp_ne_u16_sdwa vcc, v36, s41 src0_sel:BYTE_0 src1_sel:DWORD
	v_bfrev_b32_e32 v0, 1
	buffer_store_dword v0, off, s[0:3], s32 offset:456 ; 4-byte Folded Spill
	s_and_saveexec_b64 s[36:37], vcc
	s_cbranch_execz .LBB310_333
; %bb.330:                              ;   in Loop: Header=BB310_13 Depth=1
	v_and_b32_e32 v0, 0x7f, v36
	v_cmp_ne_u32_e32 vcc, s42, v0
	v_mov_b32_e32 v1, 0x7fc02000
	buffer_store_dword v1, off, s[0:3], s32 offset:456 ; 4-byte Folded Spill
	s_and_saveexec_b64 s[38:39], vcc
	s_cbranch_execz .LBB310_332
; %bb.331:                              ;   in Loop: Header=BB310_13 Depth=1
	v_and_b32_e32 v1, 7, v36
	v_ffbh_u32_e32 v2, v1
	v_min_u32_e32 v6, 32, v2
	v_subrev_u32_e32 v2, 28, v6
	v_lshlrev_b64 v[2:3], v2, v[36:37]
	v_lshrrev_b32_e32 v4, 3, v0
	v_sub_u32_e32 v3, 29, v6
	v_cmp_gt_u32_e32 vcc, 8, v0
	v_and_b32_e32 v2, 7, v2
	v_cndmask_b32_e32 v0, v4, v3, vcc
	v_mov_b32_e32 v3, 0x2000
	v_cndmask_b32_e32 v1, v1, v2, vcc
	v_lshlrev_b32_e32 v2, 8, v36
	v_lshl_add_u32 v0, v0, 10, v3
	v_and_or_b32 v0, v2, s43, v0
	v_lshl_or_b32 v0, v1, 7, v0
	v_cvt_f32_f16_e32 v0, v0
	buffer_store_dword v0, off, s[0:3], s32 offset:456 ; 4-byte Folded Spill
.LBB310_332:                            ;   in Loop: Header=BB310_13 Depth=1
	s_or_b64 exec, exec, s[38:39]
.LBB310_333:                            ;   in Loop: Header=BB310_13 Depth=1
	s_or_b64 exec, exec, s[36:37]
.LBB310_334:                            ;   in Loop: Header=BB310_13 Depth=1
	s_or_b64 exec, exec, s[34:35]
	v_lshrrev_b16_e32 v38, 8, v36
	v_cmp_ne_u16_e32 vcc, 0, v38
	s_and_saveexec_b64 s[34:35], vcc
	s_cbranch_execz .LBB310_340
; %bb.335:                              ;   in Loop: Header=BB310_13 Depth=1
	v_cmp_ne_u16_e32 vcc, s41, v38
	v_bfrev_b32_e32 v0, 1
	buffer_store_dword v0, off, s[0:3], s32 offset:468 ; 4-byte Folded Spill
	s_and_saveexec_b64 s[36:37], vcc
	s_cbranch_execz .LBB310_339
; %bb.336:                              ;   in Loop: Header=BB310_13 Depth=1
	v_and_b32_e32 v0, 0x7f, v38
	v_cmp_ne_u32_e32 vcc, s42, v0
	v_mov_b32_e32 v1, 0x7fc02000
	buffer_store_dword v1, off, s[0:3], s32 offset:468 ; 4-byte Folded Spill
	s_and_saveexec_b64 s[38:39], vcc
	s_cbranch_execz .LBB310_338
; %bb.337:                              ;   in Loop: Header=BB310_13 Depth=1
	v_and_b32_e32 v1, 7, v38
	v_ffbh_u32_e32 v2, v1
	v_min_u32_e32 v6, 32, v2
	v_subrev_u32_e32 v2, 28, v6
	v_lshlrev_b64 v[2:3], v2, v[38:39]
	v_lshrrev_b32_e32 v4, 3, v0
	v_sub_u32_e32 v3, 29, v6
	v_cmp_gt_u32_e32 vcc, 8, v0
	v_and_b32_e32 v2, 7, v2
	v_cndmask_b32_e32 v0, v4, v3, vcc
	v_mov_b32_e32 v3, 0x2000
	v_cndmask_b32_e32 v1, v1, v2, vcc
	v_lshlrev_b32_e32 v2, 8, v38
	v_lshl_add_u32 v0, v0, 10, v3
	v_and_or_b32 v0, v2, s43, v0
	v_lshl_or_b32 v0, v1, 7, v0
	v_cvt_f32_f16_e32 v0, v0
	buffer_store_dword v0, off, s[0:3], s32 offset:468 ; 4-byte Folded Spill
.LBB310_338:                            ;   in Loop: Header=BB310_13 Depth=1
	s_or_b64 exec, exec, s[38:39]
.LBB310_339:                            ;   in Loop: Header=BB310_13 Depth=1
	s_or_b64 exec, exec, s[36:37]
.LBB310_340:                            ;   in Loop: Header=BB310_13 Depth=1
	s_or_b64 exec, exec, s[34:35]
	v_lshrrev_b32_e32 v38, 16, v36
	v_mov_b32_e32 v0, 0
	v_cmp_ne_u16_sdwa vcc, v38, v54 src0_sel:BYTE_0 src1_sel:DWORD
	buffer_store_dword v0, off, s[0:3], s32 offset:460 ; 4-byte Folded Spill
	v_mov_b32_e32 v0, 0
	buffer_store_dword v0, off, s[0:3], s32 offset:464 ; 4-byte Folded Spill
	s_and_saveexec_b64 s[34:35], vcc
	s_cbranch_execz .LBB310_346
; %bb.341:                              ;   in Loop: Header=BB310_13 Depth=1
	v_cmp_ne_u16_sdwa vcc, v38, s41 src0_sel:BYTE_0 src1_sel:DWORD
	v_bfrev_b32_e32 v0, 1
	buffer_store_dword v0, off, s[0:3], s32 offset:464 ; 4-byte Folded Spill
	s_and_saveexec_b64 s[36:37], vcc
	s_cbranch_execz .LBB310_345
; %bb.342:                              ;   in Loop: Header=BB310_13 Depth=1
	v_bfe_u32 v0, v36, 16, 7
	v_cmp_ne_u32_e32 vcc, s42, v0
	v_mov_b32_e32 v1, 0x7fc02000
	buffer_store_dword v1, off, s[0:3], s32 offset:464 ; 4-byte Folded Spill
	s_and_saveexec_b64 s[38:39], vcc
	s_cbranch_execz .LBB310_344
; %bb.343:                              ;   in Loop: Header=BB310_13 Depth=1
	v_and_b32_e32 v1, 7, v38
	v_ffbh_u32_e32 v2, v1
	v_min_u32_e32 v6, 32, v2
	v_subrev_u32_e32 v2, 28, v6
	v_lshlrev_b64 v[2:3], v2, v[38:39]
	v_lshrrev_b32_e32 v4, 3, v0
	v_sub_u32_e32 v3, 29, v6
	v_cmp_gt_u32_e32 vcc, 8, v0
	v_and_b32_e32 v2, 7, v2
	v_cndmask_b32_e32 v0, v4, v3, vcc
	v_mov_b32_e32 v3, 0x2000
	v_cndmask_b32_e32 v1, v1, v2, vcc
	v_lshlrev_b32_e32 v2, 8, v38
	v_lshl_add_u32 v0, v0, 10, v3
	v_and_or_b32 v0, v2, s43, v0
	v_lshl_or_b32 v0, v1, 7, v0
	v_cvt_f32_f16_e32 v0, v0
	buffer_store_dword v0, off, s[0:3], s32 offset:464 ; 4-byte Folded Spill
.LBB310_344:                            ;   in Loop: Header=BB310_13 Depth=1
	s_or_b64 exec, exec, s[38:39]
.LBB310_345:                            ;   in Loop: Header=BB310_13 Depth=1
	s_or_b64 exec, exec, s[36:37]
.LBB310_346:                            ;   in Loop: Header=BB310_13 Depth=1
	s_or_b64 exec, exec, s[34:35]
	v_cmp_lt_u32_e32 vcc, s44, v36
	s_and_saveexec_b64 s[34:35], vcc
	s_cbranch_execz .LBB310_352
; %bb.347:                              ;   in Loop: Header=BB310_13 Depth=1
	v_lshrrev_b32_e32 v36, 24, v36
	v_cmp_ne_u32_e32 vcc, s41, v36
	v_bfrev_b32_e32 v0, 1
	buffer_store_dword v0, off, s[0:3], s32 offset:460 ; 4-byte Folded Spill
	s_and_saveexec_b64 s[36:37], vcc
	s_cbranch_execz .LBB310_351
; %bb.348:                              ;   in Loop: Header=BB310_13 Depth=1
	v_and_b32_e32 v0, 0x7f, v36
	v_cmp_ne_u32_e32 vcc, s42, v0
	v_mov_b32_e32 v1, 0x7fc02000
	buffer_store_dword v1, off, s[0:3], s32 offset:460 ; 4-byte Folded Spill
	s_and_saveexec_b64 s[38:39], vcc
	s_cbranch_execz .LBB310_350
; %bb.349:                              ;   in Loop: Header=BB310_13 Depth=1
	v_and_b32_e32 v1, 7, v36
	v_ffbh_u32_e32 v2, v1
	v_min_u32_e32 v6, 32, v2
	v_subrev_u32_e32 v2, 28, v6
	v_lshlrev_b64 v[2:3], v2, v[36:37]
	v_lshrrev_b32_e32 v4, 3, v0
	v_sub_u32_e32 v3, 29, v6
	v_cmp_gt_u32_e32 vcc, 8, v0
	v_and_b32_e32 v2, 7, v2
	v_cndmask_b32_e32 v0, v4, v3, vcc
	v_mov_b32_e32 v3, 0x2000
	v_cndmask_b32_e32 v1, v1, v2, vcc
	v_lshlrev_b32_e32 v2, 8, v36
	v_lshl_add_u32 v0, v0, 10, v3
	v_and_or_b32 v0, v2, s43, v0
	v_lshl_or_b32 v0, v1, 7, v0
	v_cvt_f32_f16_e32 v0, v0
	buffer_store_dword v0, off, s[0:3], s32 offset:460 ; 4-byte Folded Spill
.LBB310_350:                            ;   in Loop: Header=BB310_13 Depth=1
	s_or_b64 exec, exec, s[38:39]
.LBB310_351:                            ;   in Loop: Header=BB310_13 Depth=1
	s_or_b64 exec, exec, s[36:37]
.LBB310_352:                            ;   in Loop: Header=BB310_13 Depth=1
	s_or_b64 exec, exec, s[34:35]
	flat_load_dword v36, v[34:35] offset:3584
	v_mov_b32_e32 v0, 0
	buffer_store_dword v0, off, s[0:3], s32 offset:484 ; 4-byte Folded Spill
	v_mov_b32_e32 v0, 0
	buffer_store_dword v0, off, s[0:3], s32 offset:472 ; 4-byte Folded Spill
	s_waitcnt vmcnt(0) lgkmcnt(0)
	v_cmp_ne_u16_sdwa vcc, v36, v54 src0_sel:BYTE_0 src1_sel:DWORD
	s_and_saveexec_b64 s[34:35], vcc
	s_cbranch_execz .LBB310_358
; %bb.353:                              ;   in Loop: Header=BB310_13 Depth=1
	v_cmp_ne_u16_sdwa vcc, v36, s41 src0_sel:BYTE_0 src1_sel:DWORD
	v_bfrev_b32_e32 v0, 1
	buffer_store_dword v0, off, s[0:3], s32 offset:472 ; 4-byte Folded Spill
	s_and_saveexec_b64 s[36:37], vcc
	s_cbranch_execz .LBB310_357
; %bb.354:                              ;   in Loop: Header=BB310_13 Depth=1
	v_and_b32_e32 v0, 0x7f, v36
	v_cmp_ne_u32_e32 vcc, s42, v0
	v_mov_b32_e32 v1, 0x7fc02000
	buffer_store_dword v1, off, s[0:3], s32 offset:472 ; 4-byte Folded Spill
	s_and_saveexec_b64 s[38:39], vcc
	s_cbranch_execz .LBB310_356
; %bb.355:                              ;   in Loop: Header=BB310_13 Depth=1
	v_and_b32_e32 v1, 7, v36
	v_ffbh_u32_e32 v2, v1
	v_min_u32_e32 v6, 32, v2
	v_subrev_u32_e32 v2, 28, v6
	v_lshlrev_b64 v[2:3], v2, v[36:37]
	v_lshrrev_b32_e32 v4, 3, v0
	v_sub_u32_e32 v3, 29, v6
	v_cmp_gt_u32_e32 vcc, 8, v0
	v_and_b32_e32 v2, 7, v2
	v_cndmask_b32_e32 v0, v4, v3, vcc
	v_mov_b32_e32 v3, 0x2000
	v_cndmask_b32_e32 v1, v1, v2, vcc
	v_lshlrev_b32_e32 v2, 8, v36
	v_lshl_add_u32 v0, v0, 10, v3
	v_and_or_b32 v0, v2, s43, v0
	v_lshl_or_b32 v0, v1, 7, v0
	v_cvt_f32_f16_e32 v0, v0
	buffer_store_dword v0, off, s[0:3], s32 offset:472 ; 4-byte Folded Spill
.LBB310_356:                            ;   in Loop: Header=BB310_13 Depth=1
	s_or_b64 exec, exec, s[38:39]
.LBB310_357:                            ;   in Loop: Header=BB310_13 Depth=1
	s_or_b64 exec, exec, s[36:37]
.LBB310_358:                            ;   in Loop: Header=BB310_13 Depth=1
	s_or_b64 exec, exec, s[34:35]
	v_lshrrev_b16_e32 v38, 8, v36
	v_cmp_ne_u16_e32 vcc, 0, v38
	s_and_saveexec_b64 s[34:35], vcc
	s_cbranch_execz .LBB310_364
; %bb.359:                              ;   in Loop: Header=BB310_13 Depth=1
	v_cmp_ne_u16_e32 vcc, s41, v38
	v_bfrev_b32_e32 v0, 1
	buffer_store_dword v0, off, s[0:3], s32 offset:484 ; 4-byte Folded Spill
	s_and_saveexec_b64 s[36:37], vcc
	s_cbranch_execz .LBB310_363
; %bb.360:                              ;   in Loop: Header=BB310_13 Depth=1
	v_and_b32_e32 v0, 0x7f, v38
	v_cmp_ne_u32_e32 vcc, s42, v0
	v_mov_b32_e32 v1, 0x7fc02000
	buffer_store_dword v1, off, s[0:3], s32 offset:484 ; 4-byte Folded Spill
	s_and_saveexec_b64 s[38:39], vcc
	s_cbranch_execz .LBB310_362
; %bb.361:                              ;   in Loop: Header=BB310_13 Depth=1
	v_and_b32_e32 v1, 7, v38
	v_ffbh_u32_e32 v2, v1
	v_min_u32_e32 v6, 32, v2
	v_subrev_u32_e32 v2, 28, v6
	v_lshlrev_b64 v[2:3], v2, v[38:39]
	v_lshrrev_b32_e32 v4, 3, v0
	v_sub_u32_e32 v3, 29, v6
	v_cmp_gt_u32_e32 vcc, 8, v0
	v_and_b32_e32 v2, 7, v2
	v_cndmask_b32_e32 v0, v4, v3, vcc
	v_mov_b32_e32 v3, 0x2000
	v_cndmask_b32_e32 v1, v1, v2, vcc
	v_lshlrev_b32_e32 v2, 8, v38
	v_lshl_add_u32 v0, v0, 10, v3
	v_and_or_b32 v0, v2, s43, v0
	v_lshl_or_b32 v0, v1, 7, v0
	v_cvt_f32_f16_e32 v0, v0
	buffer_store_dword v0, off, s[0:3], s32 offset:484 ; 4-byte Folded Spill
.LBB310_362:                            ;   in Loop: Header=BB310_13 Depth=1
	s_or_b64 exec, exec, s[38:39]
.LBB310_363:                            ;   in Loop: Header=BB310_13 Depth=1
	s_or_b64 exec, exec, s[36:37]
.LBB310_364:                            ;   in Loop: Header=BB310_13 Depth=1
	s_or_b64 exec, exec, s[34:35]
	v_lshrrev_b32_e32 v38, 16, v36
	v_mov_b32_e32 v0, 0
	v_cmp_ne_u16_sdwa vcc, v38, v54 src0_sel:BYTE_0 src1_sel:DWORD
	buffer_store_dword v0, off, s[0:3], s32 offset:476 ; 4-byte Folded Spill
	v_mov_b32_e32 v0, 0
	buffer_store_dword v0, off, s[0:3], s32 offset:480 ; 4-byte Folded Spill
	s_and_saveexec_b64 s[34:35], vcc
	s_cbranch_execz .LBB310_370
; %bb.365:                              ;   in Loop: Header=BB310_13 Depth=1
	v_cmp_ne_u16_sdwa vcc, v38, s41 src0_sel:BYTE_0 src1_sel:DWORD
	v_bfrev_b32_e32 v0, 1
	buffer_store_dword v0, off, s[0:3], s32 offset:480 ; 4-byte Folded Spill
	s_and_saveexec_b64 s[36:37], vcc
	s_cbranch_execz .LBB310_369
; %bb.366:                              ;   in Loop: Header=BB310_13 Depth=1
	v_bfe_u32 v0, v36, 16, 7
	v_cmp_ne_u32_e32 vcc, s42, v0
	v_mov_b32_e32 v1, 0x7fc02000
	buffer_store_dword v1, off, s[0:3], s32 offset:480 ; 4-byte Folded Spill
	s_and_saveexec_b64 s[38:39], vcc
	s_cbranch_execz .LBB310_368
; %bb.367:                              ;   in Loop: Header=BB310_13 Depth=1
	v_and_b32_e32 v1, 7, v38
	v_ffbh_u32_e32 v2, v1
	v_min_u32_e32 v6, 32, v2
	v_subrev_u32_e32 v2, 28, v6
	v_lshlrev_b64 v[2:3], v2, v[38:39]
	v_lshrrev_b32_e32 v4, 3, v0
	v_sub_u32_e32 v3, 29, v6
	v_cmp_gt_u32_e32 vcc, 8, v0
	v_and_b32_e32 v2, 7, v2
	v_cndmask_b32_e32 v0, v4, v3, vcc
	v_mov_b32_e32 v3, 0x2000
	v_cndmask_b32_e32 v1, v1, v2, vcc
	v_lshlrev_b32_e32 v2, 8, v38
	v_lshl_add_u32 v0, v0, 10, v3
	v_and_or_b32 v0, v2, s43, v0
	v_lshl_or_b32 v0, v1, 7, v0
	v_cvt_f32_f16_e32 v0, v0
	buffer_store_dword v0, off, s[0:3], s32 offset:480 ; 4-byte Folded Spill
.LBB310_368:                            ;   in Loop: Header=BB310_13 Depth=1
	s_or_b64 exec, exec, s[38:39]
.LBB310_369:                            ;   in Loop: Header=BB310_13 Depth=1
	s_or_b64 exec, exec, s[36:37]
.LBB310_370:                            ;   in Loop: Header=BB310_13 Depth=1
	s_or_b64 exec, exec, s[34:35]
	v_cmp_lt_u32_e32 vcc, s44, v36
	s_and_saveexec_b64 s[34:35], vcc
	s_cbranch_execz .LBB310_376
; %bb.371:                              ;   in Loop: Header=BB310_13 Depth=1
	v_lshrrev_b32_e32 v36, 24, v36
	v_cmp_ne_u32_e32 vcc, s41, v36
	v_bfrev_b32_e32 v0, 1
	buffer_store_dword v0, off, s[0:3], s32 offset:476 ; 4-byte Folded Spill
	s_and_saveexec_b64 s[36:37], vcc
	s_cbranch_execz .LBB310_375
; %bb.372:                              ;   in Loop: Header=BB310_13 Depth=1
	v_and_b32_e32 v0, 0x7f, v36
	v_cmp_ne_u32_e32 vcc, s42, v0
	v_mov_b32_e32 v1, 0x7fc02000
	buffer_store_dword v1, off, s[0:3], s32 offset:476 ; 4-byte Folded Spill
	s_and_saveexec_b64 s[38:39], vcc
	s_cbranch_execz .LBB310_374
; %bb.373:                              ;   in Loop: Header=BB310_13 Depth=1
	v_and_b32_e32 v1, 7, v36
	v_ffbh_u32_e32 v2, v1
	v_min_u32_e32 v6, 32, v2
	v_subrev_u32_e32 v2, 28, v6
	v_lshlrev_b64 v[2:3], v2, v[36:37]
	v_lshrrev_b32_e32 v4, 3, v0
	v_sub_u32_e32 v3, 29, v6
	v_cmp_gt_u32_e32 vcc, 8, v0
	v_and_b32_e32 v2, 7, v2
	v_cndmask_b32_e32 v0, v4, v3, vcc
	v_mov_b32_e32 v3, 0x2000
	v_cndmask_b32_e32 v1, v1, v2, vcc
	v_lshlrev_b32_e32 v2, 8, v36
	v_lshl_add_u32 v0, v0, 10, v3
	v_and_or_b32 v0, v2, s43, v0
	v_lshl_or_b32 v0, v1, 7, v0
	v_cvt_f32_f16_e32 v0, v0
	buffer_store_dword v0, off, s[0:3], s32 offset:476 ; 4-byte Folded Spill
.LBB310_374:                            ;   in Loop: Header=BB310_13 Depth=1
	s_or_b64 exec, exec, s[38:39]
.LBB310_375:                            ;   in Loop: Header=BB310_13 Depth=1
	s_or_b64 exec, exec, s[36:37]
.LBB310_376:                            ;   in Loop: Header=BB310_13 Depth=1
	s_or_b64 exec, exec, s[34:35]
	flat_load_dword v36, v[34:35] offset:3592
	v_mov_b32_e32 v0, 0
	buffer_store_dword v0, off, s[0:3], s32 offset:488 ; 4-byte Folded Spill
	v_mov_b32_e32 v0, 0
	buffer_store_dword v0, off, s[0:3], s32 offset:500 ; 4-byte Folded Spill
	s_waitcnt vmcnt(0) lgkmcnt(0)
	v_cmp_ne_u16_sdwa vcc, v36, v54 src0_sel:BYTE_0 src1_sel:DWORD
	s_and_saveexec_b64 s[34:35], vcc
	s_cbranch_execz .LBB310_382
; %bb.377:                              ;   in Loop: Header=BB310_13 Depth=1
	v_cmp_ne_u16_sdwa vcc, v36, s41 src0_sel:BYTE_0 src1_sel:DWORD
	v_bfrev_b32_e32 v0, 1
	buffer_store_dword v0, off, s[0:3], s32 offset:500 ; 4-byte Folded Spill
	s_and_saveexec_b64 s[36:37], vcc
	s_cbranch_execz .LBB310_381
; %bb.378:                              ;   in Loop: Header=BB310_13 Depth=1
	v_and_b32_e32 v0, 0x7f, v36
	v_cmp_ne_u32_e32 vcc, s42, v0
	v_mov_b32_e32 v1, 0x7fc02000
	buffer_store_dword v1, off, s[0:3], s32 offset:500 ; 4-byte Folded Spill
	s_and_saveexec_b64 s[38:39], vcc
	s_cbranch_execz .LBB310_380
; %bb.379:                              ;   in Loop: Header=BB310_13 Depth=1
	v_and_b32_e32 v1, 7, v36
	v_ffbh_u32_e32 v2, v1
	v_min_u32_e32 v6, 32, v2
	v_subrev_u32_e32 v2, 28, v6
	v_lshlrev_b64 v[2:3], v2, v[36:37]
	v_lshrrev_b32_e32 v4, 3, v0
	v_sub_u32_e32 v3, 29, v6
	v_cmp_gt_u32_e32 vcc, 8, v0
	v_and_b32_e32 v2, 7, v2
	v_cndmask_b32_e32 v0, v4, v3, vcc
	v_mov_b32_e32 v3, 0x2000
	v_cndmask_b32_e32 v1, v1, v2, vcc
	v_lshlrev_b32_e32 v2, 8, v36
	v_lshl_add_u32 v0, v0, 10, v3
	v_and_or_b32 v0, v2, s43, v0
	v_lshl_or_b32 v0, v1, 7, v0
	v_cvt_f32_f16_e32 v0, v0
	buffer_store_dword v0, off, s[0:3], s32 offset:500 ; 4-byte Folded Spill
.LBB310_380:                            ;   in Loop: Header=BB310_13 Depth=1
	s_or_b64 exec, exec, s[38:39]
.LBB310_381:                            ;   in Loop: Header=BB310_13 Depth=1
	s_or_b64 exec, exec, s[36:37]
.LBB310_382:                            ;   in Loop: Header=BB310_13 Depth=1
	s_or_b64 exec, exec, s[34:35]
	v_lshrrev_b16_e32 v38, 8, v36
	v_cmp_ne_u16_e32 vcc, 0, v38
	s_and_saveexec_b64 s[34:35], vcc
	s_cbranch_execz .LBB310_388
; %bb.383:                              ;   in Loop: Header=BB310_13 Depth=1
	v_cmp_ne_u16_e32 vcc, s41, v38
	v_bfrev_b32_e32 v0, 1
	buffer_store_dword v0, off, s[0:3], s32 offset:488 ; 4-byte Folded Spill
	s_and_saveexec_b64 s[36:37], vcc
	s_cbranch_execz .LBB310_387
; %bb.384:                              ;   in Loop: Header=BB310_13 Depth=1
	v_and_b32_e32 v0, 0x7f, v38
	v_cmp_ne_u32_e32 vcc, s42, v0
	v_mov_b32_e32 v1, 0x7fc02000
	buffer_store_dword v1, off, s[0:3], s32 offset:488 ; 4-byte Folded Spill
	s_and_saveexec_b64 s[38:39], vcc
	s_cbranch_execz .LBB310_386
; %bb.385:                              ;   in Loop: Header=BB310_13 Depth=1
	v_and_b32_e32 v2, 7, v38
	v_lshrrev_b32_e32 v3, 3, v0
	v_cmp_gt_u32_e32 vcc, 8, v0
	v_ffbh_u32_e32 v0, v2
	v_min_u32_e32 v4, 32, v0
	v_subrev_u32_e32 v0, 28, v4
	v_lshlrev_b64 v[0:1], v0, v[38:39]
	v_sub_u32_e32 v1, 29, v4
	v_and_b32_e32 v0, 7, v0
	v_cndmask_b32_e32 v1, v3, v1, vcc
	v_mov_b32_e32 v3, 0x2000
	v_cndmask_b32_e32 v0, v2, v0, vcc
	v_lshlrev_b32_e32 v2, 8, v38
	v_lshl_add_u32 v1, v1, 10, v3
	v_and_or_b32 v1, v2, s43, v1
	v_lshl_or_b32 v0, v0, 7, v1
	v_cvt_f32_f16_e32 v0, v0
	buffer_store_dword v0, off, s[0:3], s32 offset:488 ; 4-byte Folded Spill
.LBB310_386:                            ;   in Loop: Header=BB310_13 Depth=1
	s_or_b64 exec, exec, s[38:39]
.LBB310_387:                            ;   in Loop: Header=BB310_13 Depth=1
	s_or_b64 exec, exec, s[36:37]
.LBB310_388:                            ;   in Loop: Header=BB310_13 Depth=1
	s_or_b64 exec, exec, s[34:35]
	v_lshrrev_b32_e32 v38, 16, v36
	v_mov_b32_e32 v0, 0
	v_cmp_ne_u16_sdwa vcc, v38, v54 src0_sel:BYTE_0 src1_sel:DWORD
	buffer_store_dword v0, off, s[0:3], s32 offset:492 ; 4-byte Folded Spill
	v_mov_b32_e32 v0, 0
	buffer_store_dword v0, off, s[0:3], s32 offset:496 ; 4-byte Folded Spill
	s_and_saveexec_b64 s[34:35], vcc
	s_cbranch_execz .LBB310_394
; %bb.389:                              ;   in Loop: Header=BB310_13 Depth=1
	v_cmp_ne_u16_sdwa vcc, v38, s41 src0_sel:BYTE_0 src1_sel:DWORD
	v_bfrev_b32_e32 v0, 1
	buffer_store_dword v0, off, s[0:3], s32 offset:496 ; 4-byte Folded Spill
	s_and_saveexec_b64 s[36:37], vcc
	s_cbranch_execz .LBB310_393
; %bb.390:                              ;   in Loop: Header=BB310_13 Depth=1
	v_bfe_u32 v0, v36, 16, 7
	v_cmp_ne_u32_e32 vcc, s42, v0
	v_mov_b32_e32 v1, 0x7fc02000
	buffer_store_dword v1, off, s[0:3], s32 offset:496 ; 4-byte Folded Spill
	s_and_saveexec_b64 s[38:39], vcc
	s_cbranch_execz .LBB310_392
; %bb.391:                              ;   in Loop: Header=BB310_13 Depth=1
	v_and_b32_e32 v2, 7, v38
	v_lshrrev_b32_e32 v3, 3, v0
	v_cmp_gt_u32_e32 vcc, 8, v0
	v_ffbh_u32_e32 v0, v2
	v_min_u32_e32 v4, 32, v0
	v_subrev_u32_e32 v0, 28, v4
	v_lshlrev_b64 v[0:1], v0, v[38:39]
	v_sub_u32_e32 v1, 29, v4
	v_and_b32_e32 v0, 7, v0
	v_cndmask_b32_e32 v1, v3, v1, vcc
	v_mov_b32_e32 v3, 0x2000
	v_cndmask_b32_e32 v0, v2, v0, vcc
	v_lshlrev_b32_e32 v2, 8, v38
	v_lshl_add_u32 v1, v1, 10, v3
	v_and_or_b32 v1, v2, s43, v1
	v_lshl_or_b32 v0, v0, 7, v1
	v_cvt_f32_f16_e32 v0, v0
	buffer_store_dword v0, off, s[0:3], s32 offset:496 ; 4-byte Folded Spill
.LBB310_392:                            ;   in Loop: Header=BB310_13 Depth=1
	s_or_b64 exec, exec, s[38:39]
.LBB310_393:                            ;   in Loop: Header=BB310_13 Depth=1
	s_or_b64 exec, exec, s[36:37]
.LBB310_394:                            ;   in Loop: Header=BB310_13 Depth=1
	s_or_b64 exec, exec, s[34:35]
	v_cmp_lt_u32_e32 vcc, s44, v36
	s_and_saveexec_b64 s[34:35], vcc
	s_cbranch_execz .LBB310_400
; %bb.395:                              ;   in Loop: Header=BB310_13 Depth=1
	v_lshrrev_b32_e32 v36, 24, v36
	v_cmp_ne_u32_e32 vcc, s41, v36
	v_bfrev_b32_e32 v0, 1
	buffer_store_dword v0, off, s[0:3], s32 offset:492 ; 4-byte Folded Spill
	s_and_saveexec_b64 s[36:37], vcc
	s_cbranch_execz .LBB310_399
; %bb.396:                              ;   in Loop: Header=BB310_13 Depth=1
	v_and_b32_e32 v0, 0x7f, v36
	v_cmp_ne_u32_e32 vcc, s42, v0
	v_mov_b32_e32 v1, 0x7fc02000
	buffer_store_dword v1, off, s[0:3], s32 offset:492 ; 4-byte Folded Spill
	s_and_saveexec_b64 s[38:39], vcc
	s_cbranch_execz .LBB310_398
; %bb.397:                              ;   in Loop: Header=BB310_13 Depth=1
	v_and_b32_e32 v2, 7, v36
	v_lshrrev_b32_e32 v3, 3, v0
	v_cmp_gt_u32_e32 vcc, 8, v0
	v_ffbh_u32_e32 v0, v2
	v_min_u32_e32 v4, 32, v0
	v_subrev_u32_e32 v0, 28, v4
	v_lshlrev_b64 v[0:1], v0, v[36:37]
	v_sub_u32_e32 v1, 29, v4
	v_and_b32_e32 v0, 7, v0
	v_cndmask_b32_e32 v1, v3, v1, vcc
	v_mov_b32_e32 v3, 0x2000
	v_cndmask_b32_e32 v0, v2, v0, vcc
	v_lshlrev_b32_e32 v2, 8, v36
	v_lshl_add_u32 v1, v1, 10, v3
	v_and_or_b32 v1, v2, s43, v1
	v_lshl_or_b32 v0, v0, 7, v1
	v_cvt_f32_f16_e32 v0, v0
	buffer_store_dword v0, off, s[0:3], s32 offset:492 ; 4-byte Folded Spill
.LBB310_398:                            ;   in Loop: Header=BB310_13 Depth=1
	s_or_b64 exec, exec, s[38:39]
.LBB310_399:                            ;   in Loop: Header=BB310_13 Depth=1
	s_or_b64 exec, exec, s[36:37]
.LBB310_400:                            ;   in Loop: Header=BB310_13 Depth=1
	s_or_b64 exec, exec, s[34:35]
	v_add_co_u32_e32 v0, vcc, 0x1000, v34
	v_addc_co_u32_e32 v1, vcc, 0, v35, vcc
	flat_load_dword v36, v[0:1]
	v_mov_b32_e32 v0, 0
	buffer_store_dword v0, off, s[0:3], s32 offset:516 ; 4-byte Folded Spill
	v_mov_b32_e32 v0, 0
	buffer_store_dword v0, off, s[0:3], s32 offset:504 ; 4-byte Folded Spill
	s_waitcnt vmcnt(0) lgkmcnt(0)
	v_cmp_ne_u16_sdwa vcc, v36, v54 src0_sel:BYTE_0 src1_sel:DWORD
	s_and_saveexec_b64 s[34:35], vcc
	s_cbranch_execz .LBB310_406
; %bb.401:                              ;   in Loop: Header=BB310_13 Depth=1
	v_cmp_ne_u16_sdwa vcc, v36, s41 src0_sel:BYTE_0 src1_sel:DWORD
	v_bfrev_b32_e32 v0, 1
	buffer_store_dword v0, off, s[0:3], s32 offset:504 ; 4-byte Folded Spill
	s_and_saveexec_b64 s[36:37], vcc
	s_cbranch_execz .LBB310_405
; %bb.402:                              ;   in Loop: Header=BB310_13 Depth=1
	v_and_b32_e32 v0, 0x7f, v36
	v_cmp_ne_u32_e32 vcc, s42, v0
	v_mov_b32_e32 v1, 0x7fc02000
	buffer_store_dword v1, off, s[0:3], s32 offset:504 ; 4-byte Folded Spill
	s_and_saveexec_b64 s[38:39], vcc
	s_cbranch_execz .LBB310_404
; %bb.403:                              ;   in Loop: Header=BB310_13 Depth=1
	v_and_b32_e32 v2, 7, v36
	v_lshrrev_b32_e32 v3, 3, v0
	v_cmp_gt_u32_e32 vcc, 8, v0
	v_ffbh_u32_e32 v0, v2
	v_min_u32_e32 v4, 32, v0
	v_subrev_u32_e32 v0, 28, v4
	v_lshlrev_b64 v[0:1], v0, v[36:37]
	v_sub_u32_e32 v1, 29, v4
	v_and_b32_e32 v0, 7, v0
	v_cndmask_b32_e32 v1, v3, v1, vcc
	v_mov_b32_e32 v3, 0x2000
	v_cndmask_b32_e32 v0, v2, v0, vcc
	v_lshlrev_b32_e32 v2, 8, v36
	v_lshl_add_u32 v1, v1, 10, v3
	v_and_or_b32 v1, v2, s43, v1
	v_lshl_or_b32 v0, v0, 7, v1
	v_cvt_f32_f16_e32 v0, v0
	buffer_store_dword v0, off, s[0:3], s32 offset:504 ; 4-byte Folded Spill
.LBB310_404:                            ;   in Loop: Header=BB310_13 Depth=1
	s_or_b64 exec, exec, s[38:39]
.LBB310_405:                            ;   in Loop: Header=BB310_13 Depth=1
	s_or_b64 exec, exec, s[36:37]
.LBB310_406:                            ;   in Loop: Header=BB310_13 Depth=1
	s_or_b64 exec, exec, s[34:35]
	v_lshrrev_b16_e32 v38, 8, v36
	v_cmp_ne_u16_e32 vcc, 0, v38
	s_and_saveexec_b64 s[34:35], vcc
	s_cbranch_execz .LBB310_412
; %bb.407:                              ;   in Loop: Header=BB310_13 Depth=1
	v_cmp_ne_u16_e32 vcc, s41, v38
	v_bfrev_b32_e32 v0, 1
	buffer_store_dword v0, off, s[0:3], s32 offset:516 ; 4-byte Folded Spill
	s_and_saveexec_b64 s[36:37], vcc
	s_cbranch_execz .LBB310_411
; %bb.408:                              ;   in Loop: Header=BB310_13 Depth=1
	v_and_b32_e32 v0, 0x7f, v38
	v_cmp_ne_u32_e32 vcc, s42, v0
	v_mov_b32_e32 v1, 0x7fc02000
	buffer_store_dword v1, off, s[0:3], s32 offset:516 ; 4-byte Folded Spill
	s_and_saveexec_b64 s[38:39], vcc
	s_cbranch_execz .LBB310_410
; %bb.409:                              ;   in Loop: Header=BB310_13 Depth=1
	v_and_b32_e32 v2, 7, v38
	v_lshrrev_b32_e32 v3, 3, v0
	v_cmp_gt_u32_e32 vcc, 8, v0
	v_ffbh_u32_e32 v0, v2
	v_min_u32_e32 v4, 32, v0
	v_subrev_u32_e32 v0, 28, v4
	v_lshlrev_b64 v[0:1], v0, v[38:39]
	v_sub_u32_e32 v1, 29, v4
	v_and_b32_e32 v0, 7, v0
	v_cndmask_b32_e32 v1, v3, v1, vcc
	v_mov_b32_e32 v3, 0x2000
	v_cndmask_b32_e32 v0, v2, v0, vcc
	v_lshlrev_b32_e32 v2, 8, v38
	v_lshl_add_u32 v1, v1, 10, v3
	v_and_or_b32 v1, v2, s43, v1
	v_lshl_or_b32 v0, v0, 7, v1
	v_cvt_f32_f16_e32 v0, v0
	buffer_store_dword v0, off, s[0:3], s32 offset:516 ; 4-byte Folded Spill
.LBB310_410:                            ;   in Loop: Header=BB310_13 Depth=1
	s_or_b64 exec, exec, s[38:39]
.LBB310_411:                            ;   in Loop: Header=BB310_13 Depth=1
	s_or_b64 exec, exec, s[36:37]
.LBB310_412:                            ;   in Loop: Header=BB310_13 Depth=1
	s_or_b64 exec, exec, s[34:35]
	v_lshrrev_b32_e32 v38, 16, v36
	v_mov_b32_e32 v0, 0
	v_cmp_ne_u16_sdwa vcc, v38, v54 src0_sel:BYTE_0 src1_sel:DWORD
	buffer_store_dword v0, off, s[0:3], s32 offset:508 ; 4-byte Folded Spill
	v_mov_b32_e32 v0, 0
	buffer_store_dword v0, off, s[0:3], s32 offset:512 ; 4-byte Folded Spill
	s_and_saveexec_b64 s[34:35], vcc
	s_cbranch_execz .LBB310_418
; %bb.413:                              ;   in Loop: Header=BB310_13 Depth=1
	v_cmp_ne_u16_sdwa vcc, v38, s41 src0_sel:BYTE_0 src1_sel:DWORD
	v_bfrev_b32_e32 v0, 1
	buffer_store_dword v0, off, s[0:3], s32 offset:512 ; 4-byte Folded Spill
	s_and_saveexec_b64 s[36:37], vcc
	s_cbranch_execz .LBB310_417
; %bb.414:                              ;   in Loop: Header=BB310_13 Depth=1
	v_bfe_u32 v0, v36, 16, 7
	v_cmp_ne_u32_e32 vcc, s42, v0
	v_mov_b32_e32 v1, 0x7fc02000
	buffer_store_dword v1, off, s[0:3], s32 offset:512 ; 4-byte Folded Spill
	s_and_saveexec_b64 s[38:39], vcc
	s_cbranch_execz .LBB310_416
; %bb.415:                              ;   in Loop: Header=BB310_13 Depth=1
	v_and_b32_e32 v2, 7, v38
	v_lshrrev_b32_e32 v3, 3, v0
	v_cmp_gt_u32_e32 vcc, 8, v0
	v_ffbh_u32_e32 v0, v2
	v_min_u32_e32 v4, 32, v0
	v_subrev_u32_e32 v0, 28, v4
	v_lshlrev_b64 v[0:1], v0, v[38:39]
	v_sub_u32_e32 v1, 29, v4
	v_and_b32_e32 v0, 7, v0
	v_cndmask_b32_e32 v1, v3, v1, vcc
	v_mov_b32_e32 v3, 0x2000
	v_cndmask_b32_e32 v0, v2, v0, vcc
	v_lshlrev_b32_e32 v2, 8, v38
	v_lshl_add_u32 v1, v1, 10, v3
	v_and_or_b32 v1, v2, s43, v1
	v_lshl_or_b32 v0, v0, 7, v1
	v_cvt_f32_f16_e32 v0, v0
	buffer_store_dword v0, off, s[0:3], s32 offset:512 ; 4-byte Folded Spill
.LBB310_416:                            ;   in Loop: Header=BB310_13 Depth=1
	s_or_b64 exec, exec, s[38:39]
.LBB310_417:                            ;   in Loop: Header=BB310_13 Depth=1
	s_or_b64 exec, exec, s[36:37]
.LBB310_418:                            ;   in Loop: Header=BB310_13 Depth=1
	s_or_b64 exec, exec, s[34:35]
	v_cmp_lt_u32_e32 vcc, s44, v36
	s_and_saveexec_b64 s[34:35], vcc
	s_cbranch_execz .LBB310_424
; %bb.419:                              ;   in Loop: Header=BB310_13 Depth=1
	v_lshrrev_b32_e32 v36, 24, v36
	v_cmp_ne_u32_e32 vcc, s41, v36
	v_bfrev_b32_e32 v0, 1
	buffer_store_dword v0, off, s[0:3], s32 offset:508 ; 4-byte Folded Spill
	s_and_saveexec_b64 s[36:37], vcc
	s_cbranch_execz .LBB310_423
; %bb.420:                              ;   in Loop: Header=BB310_13 Depth=1
	v_and_b32_e32 v0, 0x7f, v36
	v_cmp_ne_u32_e32 vcc, s42, v0
	v_mov_b32_e32 v1, 0x7fc02000
	buffer_store_dword v1, off, s[0:3], s32 offset:508 ; 4-byte Folded Spill
	s_and_saveexec_b64 s[38:39], vcc
	s_cbranch_execz .LBB310_422
; %bb.421:                              ;   in Loop: Header=BB310_13 Depth=1
	v_and_b32_e32 v2, 7, v36
	v_lshrrev_b32_e32 v3, 3, v0
	v_cmp_gt_u32_e32 vcc, 8, v0
	v_ffbh_u32_e32 v0, v2
	v_min_u32_e32 v4, 32, v0
	v_subrev_u32_e32 v0, 28, v4
	v_lshlrev_b64 v[0:1], v0, v[36:37]
	v_sub_u32_e32 v1, 29, v4
	v_and_b32_e32 v0, 7, v0
	v_cndmask_b32_e32 v1, v3, v1, vcc
	v_mov_b32_e32 v3, 0x2000
	v_cndmask_b32_e32 v0, v2, v0, vcc
	v_lshlrev_b32_e32 v2, 8, v36
	v_lshl_add_u32 v1, v1, 10, v3
	v_and_or_b32 v1, v2, s43, v1
	v_lshl_or_b32 v0, v0, 7, v1
	v_cvt_f32_f16_e32 v0, v0
	buffer_store_dword v0, off, s[0:3], s32 offset:508 ; 4-byte Folded Spill
.LBB310_422:                            ;   in Loop: Header=BB310_13 Depth=1
	s_or_b64 exec, exec, s[38:39]
.LBB310_423:                            ;   in Loop: Header=BB310_13 Depth=1
	s_or_b64 exec, exec, s[36:37]
.LBB310_424:                            ;   in Loop: Header=BB310_13 Depth=1
	s_or_b64 exec, exec, s[34:35]
	v_add_co_u32_e32 v0, vcc, 0x1000, v34
	v_addc_co_u32_e32 v1, vcc, 0, v35, vcc
	flat_load_dword v36, v[0:1] offset:8
	v_mov_b32_e32 v0, 0
	buffer_store_dword v0, off, s[0:3], s32 offset:532 ; 4-byte Folded Spill
	v_mov_b32_e32 v0, 0
	buffer_store_dword v0, off, s[0:3], s32 offset:520 ; 4-byte Folded Spill
	s_waitcnt vmcnt(0) lgkmcnt(0)
	v_cmp_ne_u16_sdwa vcc, v36, v54 src0_sel:BYTE_0 src1_sel:DWORD
	s_and_saveexec_b64 s[34:35], vcc
	s_cbranch_execz .LBB310_430
; %bb.425:                              ;   in Loop: Header=BB310_13 Depth=1
	v_cmp_ne_u16_sdwa vcc, v36, s41 src0_sel:BYTE_0 src1_sel:DWORD
	v_bfrev_b32_e32 v0, 1
	buffer_store_dword v0, off, s[0:3], s32 offset:520 ; 4-byte Folded Spill
	s_and_saveexec_b64 s[36:37], vcc
	s_cbranch_execz .LBB310_429
; %bb.426:                              ;   in Loop: Header=BB310_13 Depth=1
	v_and_b32_e32 v0, 0x7f, v36
	v_cmp_ne_u32_e32 vcc, s42, v0
	v_mov_b32_e32 v1, 0x7fc02000
	buffer_store_dword v1, off, s[0:3], s32 offset:520 ; 4-byte Folded Spill
	s_and_saveexec_b64 s[38:39], vcc
	s_cbranch_execz .LBB310_428
; %bb.427:                              ;   in Loop: Header=BB310_13 Depth=1
	v_and_b32_e32 v2, 7, v36
	v_lshrrev_b32_e32 v3, 3, v0
	v_cmp_gt_u32_e32 vcc, 8, v0
	v_ffbh_u32_e32 v0, v2
	v_min_u32_e32 v4, 32, v0
	v_subrev_u32_e32 v0, 28, v4
	v_lshlrev_b64 v[0:1], v0, v[36:37]
	v_sub_u32_e32 v1, 29, v4
	v_and_b32_e32 v0, 7, v0
	v_cndmask_b32_e32 v1, v3, v1, vcc
	v_mov_b32_e32 v3, 0x2000
	v_cndmask_b32_e32 v0, v2, v0, vcc
	v_lshlrev_b32_e32 v2, 8, v36
	v_lshl_add_u32 v1, v1, 10, v3
	v_and_or_b32 v1, v2, s43, v1
	v_lshl_or_b32 v0, v0, 7, v1
	v_cvt_f32_f16_e32 v0, v0
	buffer_store_dword v0, off, s[0:3], s32 offset:520 ; 4-byte Folded Spill
.LBB310_428:                            ;   in Loop: Header=BB310_13 Depth=1
	s_or_b64 exec, exec, s[38:39]
.LBB310_429:                            ;   in Loop: Header=BB310_13 Depth=1
	s_or_b64 exec, exec, s[36:37]
.LBB310_430:                            ;   in Loop: Header=BB310_13 Depth=1
	s_or_b64 exec, exec, s[34:35]
	v_lshrrev_b16_e32 v38, 8, v36
	v_cmp_ne_u16_e32 vcc, 0, v38
	s_and_saveexec_b64 s[34:35], vcc
	s_cbranch_execz .LBB310_436
; %bb.431:                              ;   in Loop: Header=BB310_13 Depth=1
	v_cmp_ne_u16_e32 vcc, s41, v38
	v_bfrev_b32_e32 v0, 1
	buffer_store_dword v0, off, s[0:3], s32 offset:532 ; 4-byte Folded Spill
	s_and_saveexec_b64 s[36:37], vcc
	s_cbranch_execz .LBB310_435
; %bb.432:                              ;   in Loop: Header=BB310_13 Depth=1
	v_and_b32_e32 v0, 0x7f, v38
	v_cmp_ne_u32_e32 vcc, s42, v0
	v_mov_b32_e32 v1, 0x7fc02000
	buffer_store_dword v1, off, s[0:3], s32 offset:532 ; 4-byte Folded Spill
	s_and_saveexec_b64 s[38:39], vcc
	s_cbranch_execz .LBB310_434
; %bb.433:                              ;   in Loop: Header=BB310_13 Depth=1
	v_and_b32_e32 v2, 7, v38
	v_lshrrev_b32_e32 v3, 3, v0
	v_cmp_gt_u32_e32 vcc, 8, v0
	v_ffbh_u32_e32 v0, v2
	v_min_u32_e32 v4, 32, v0
	v_subrev_u32_e32 v0, 28, v4
	v_lshlrev_b64 v[0:1], v0, v[38:39]
	v_sub_u32_e32 v1, 29, v4
	v_and_b32_e32 v0, 7, v0
	v_cndmask_b32_e32 v1, v3, v1, vcc
	v_mov_b32_e32 v3, 0x2000
	v_cndmask_b32_e32 v0, v2, v0, vcc
	v_lshlrev_b32_e32 v2, 8, v38
	v_lshl_add_u32 v1, v1, 10, v3
	v_and_or_b32 v1, v2, s43, v1
	v_lshl_or_b32 v0, v0, 7, v1
	v_cvt_f32_f16_e32 v0, v0
	buffer_store_dword v0, off, s[0:3], s32 offset:532 ; 4-byte Folded Spill
.LBB310_434:                            ;   in Loop: Header=BB310_13 Depth=1
	s_or_b64 exec, exec, s[38:39]
.LBB310_435:                            ;   in Loop: Header=BB310_13 Depth=1
	s_or_b64 exec, exec, s[36:37]
.LBB310_436:                            ;   in Loop: Header=BB310_13 Depth=1
	s_or_b64 exec, exec, s[34:35]
	v_lshrrev_b32_e32 v38, 16, v36
	v_mov_b32_e32 v0, 0
	v_cmp_ne_u16_sdwa vcc, v38, v54 src0_sel:BYTE_0 src1_sel:DWORD
	buffer_store_dword v0, off, s[0:3], s32 offset:524 ; 4-byte Folded Spill
	v_mov_b32_e32 v0, 0
	buffer_store_dword v0, off, s[0:3], s32 offset:528 ; 4-byte Folded Spill
	s_and_saveexec_b64 s[34:35], vcc
	s_cbranch_execz .LBB310_442
; %bb.437:                              ;   in Loop: Header=BB310_13 Depth=1
	v_cmp_ne_u16_sdwa vcc, v38, s41 src0_sel:BYTE_0 src1_sel:DWORD
	v_bfrev_b32_e32 v0, 1
	buffer_store_dword v0, off, s[0:3], s32 offset:528 ; 4-byte Folded Spill
	s_and_saveexec_b64 s[36:37], vcc
	s_cbranch_execz .LBB310_441
; %bb.438:                              ;   in Loop: Header=BB310_13 Depth=1
	v_bfe_u32 v0, v36, 16, 7
	v_cmp_ne_u32_e32 vcc, s42, v0
	v_mov_b32_e32 v1, 0x7fc02000
	buffer_store_dword v1, off, s[0:3], s32 offset:528 ; 4-byte Folded Spill
	s_and_saveexec_b64 s[38:39], vcc
	s_cbranch_execz .LBB310_440
; %bb.439:                              ;   in Loop: Header=BB310_13 Depth=1
	v_and_b32_e32 v2, 7, v38
	v_lshrrev_b32_e32 v3, 3, v0
	v_cmp_gt_u32_e32 vcc, 8, v0
	v_ffbh_u32_e32 v0, v2
	v_min_u32_e32 v4, 32, v0
	v_subrev_u32_e32 v0, 28, v4
	v_lshlrev_b64 v[0:1], v0, v[38:39]
	v_sub_u32_e32 v1, 29, v4
	v_and_b32_e32 v0, 7, v0
	v_cndmask_b32_e32 v1, v3, v1, vcc
	v_mov_b32_e32 v3, 0x2000
	v_cndmask_b32_e32 v0, v2, v0, vcc
	v_lshlrev_b32_e32 v2, 8, v38
	v_lshl_add_u32 v1, v1, 10, v3
	v_and_or_b32 v1, v2, s43, v1
	v_lshl_or_b32 v0, v0, 7, v1
	v_cvt_f32_f16_e32 v0, v0
	buffer_store_dword v0, off, s[0:3], s32 offset:528 ; 4-byte Folded Spill
.LBB310_440:                            ;   in Loop: Header=BB310_13 Depth=1
	s_or_b64 exec, exec, s[38:39]
.LBB310_441:                            ;   in Loop: Header=BB310_13 Depth=1
	s_or_b64 exec, exec, s[36:37]
.LBB310_442:                            ;   in Loop: Header=BB310_13 Depth=1
	s_or_b64 exec, exec, s[34:35]
	v_cmp_lt_u32_e32 vcc, s44, v36
	s_and_saveexec_b64 s[34:35], vcc
	s_cbranch_execz .LBB310_448
; %bb.443:                              ;   in Loop: Header=BB310_13 Depth=1
	v_lshrrev_b32_e32 v36, 24, v36
	v_cmp_ne_u32_e32 vcc, s41, v36
	v_bfrev_b32_e32 v0, 1
	buffer_store_dword v0, off, s[0:3], s32 offset:524 ; 4-byte Folded Spill
	s_and_saveexec_b64 s[36:37], vcc
	s_cbranch_execz .LBB310_447
; %bb.444:                              ;   in Loop: Header=BB310_13 Depth=1
	v_and_b32_e32 v0, 0x7f, v36
	v_cmp_ne_u32_e32 vcc, s42, v0
	v_mov_b32_e32 v1, 0x7fc02000
	buffer_store_dword v1, off, s[0:3], s32 offset:524 ; 4-byte Folded Spill
	s_and_saveexec_b64 s[38:39], vcc
	s_cbranch_execz .LBB310_446
; %bb.445:                              ;   in Loop: Header=BB310_13 Depth=1
	v_and_b32_e32 v2, 7, v36
	v_lshrrev_b32_e32 v3, 3, v0
	v_cmp_gt_u32_e32 vcc, 8, v0
	v_ffbh_u32_e32 v0, v2
	v_min_u32_e32 v4, 32, v0
	v_subrev_u32_e32 v0, 28, v4
	v_lshlrev_b64 v[0:1], v0, v[36:37]
	v_sub_u32_e32 v1, 29, v4
	v_and_b32_e32 v0, 7, v0
	v_cndmask_b32_e32 v1, v3, v1, vcc
	v_mov_b32_e32 v3, 0x2000
	v_cndmask_b32_e32 v0, v2, v0, vcc
	v_lshlrev_b32_e32 v2, 8, v36
	v_lshl_add_u32 v1, v1, 10, v3
	v_and_or_b32 v1, v2, s43, v1
	v_lshl_or_b32 v0, v0, 7, v1
	v_cvt_f32_f16_e32 v0, v0
	buffer_store_dword v0, off, s[0:3], s32 offset:524 ; 4-byte Folded Spill
.LBB310_446:                            ;   in Loop: Header=BB310_13 Depth=1
	s_or_b64 exec, exec, s[38:39]
.LBB310_447:                            ;   in Loop: Header=BB310_13 Depth=1
	s_or_b64 exec, exec, s[36:37]
.LBB310_448:                            ;   in Loop: Header=BB310_13 Depth=1
	s_or_b64 exec, exec, s[34:35]
	v_add_co_u32_e32 v0, vcc, 0x1000, v34
	v_addc_co_u32_e32 v1, vcc, 0, v35, vcc
	flat_load_dword v36, v[0:1] offset:512
	v_mov_b32_e32 v62, 0
	v_mov_b32_e32 v0, 0
	buffer_store_dword v0, off, s[0:3], s32 offset:536 ; 4-byte Folded Spill
	s_waitcnt vmcnt(0) lgkmcnt(0)
	v_cmp_ne_u16_sdwa vcc, v36, v54 src0_sel:BYTE_0 src1_sel:DWORD
	s_and_saveexec_b64 s[34:35], vcc
	s_cbranch_execz .LBB310_454
; %bb.449:                              ;   in Loop: Header=BB310_13 Depth=1
	v_cmp_ne_u16_sdwa vcc, v36, s41 src0_sel:BYTE_0 src1_sel:DWORD
	v_bfrev_b32_e32 v0, 1
	buffer_store_dword v0, off, s[0:3], s32 offset:536 ; 4-byte Folded Spill
	s_and_saveexec_b64 s[36:37], vcc
	s_cbranch_execz .LBB310_453
; %bb.450:                              ;   in Loop: Header=BB310_13 Depth=1
	v_and_b32_e32 v0, 0x7f, v36
	v_cmp_ne_u32_e32 vcc, s42, v0
	v_mov_b32_e32 v1, 0x7fc02000
	buffer_store_dword v1, off, s[0:3], s32 offset:536 ; 4-byte Folded Spill
	s_and_saveexec_b64 s[38:39], vcc
	s_cbranch_execz .LBB310_452
; %bb.451:                              ;   in Loop: Header=BB310_13 Depth=1
	v_and_b32_e32 v2, 7, v36
	v_lshrrev_b32_e32 v3, 3, v0
	v_cmp_gt_u32_e32 vcc, 8, v0
	v_ffbh_u32_e32 v0, v2
	v_min_u32_e32 v4, 32, v0
	v_subrev_u32_e32 v0, 28, v4
	v_lshlrev_b64 v[0:1], v0, v[36:37]
	v_sub_u32_e32 v1, 29, v4
	v_and_b32_e32 v0, 7, v0
	v_cndmask_b32_e32 v1, v3, v1, vcc
	v_mov_b32_e32 v3, 0x2000
	v_cndmask_b32_e32 v0, v2, v0, vcc
	v_lshlrev_b32_e32 v2, 8, v36
	v_lshl_add_u32 v1, v1, 10, v3
	v_and_or_b32 v1, v2, s43, v1
	v_lshl_or_b32 v0, v0, 7, v1
	v_cvt_f32_f16_e32 v0, v0
	buffer_store_dword v0, off, s[0:3], s32 offset:536 ; 4-byte Folded Spill
.LBB310_452:                            ;   in Loop: Header=BB310_13 Depth=1
	s_or_b64 exec, exec, s[38:39]
.LBB310_453:                            ;   in Loop: Header=BB310_13 Depth=1
	s_or_b64 exec, exec, s[36:37]
.LBB310_454:                            ;   in Loop: Header=BB310_13 Depth=1
	s_or_b64 exec, exec, s[34:35]
	v_lshrrev_b16_e32 v38, 8, v36
	v_cmp_ne_u16_e32 vcc, 0, v38
	s_and_saveexec_b64 s[34:35], vcc
	s_cbranch_execz .LBB310_460
; %bb.455:                              ;   in Loop: Header=BB310_13 Depth=1
	v_cmp_ne_u16_e32 vcc, s41, v38
	v_bfrev_b32_e32 v62, 1
	s_and_saveexec_b64 s[36:37], vcc
	s_cbranch_execz .LBB310_459
; %bb.456:                              ;   in Loop: Header=BB310_13 Depth=1
	v_and_b32_e32 v0, 0x7f, v38
	v_cmp_ne_u32_e32 vcc, s42, v0
	v_mov_b32_e32 v62, 0x7fc02000
	s_and_saveexec_b64 s[38:39], vcc
	s_cbranch_execz .LBB310_458
; %bb.457:                              ;   in Loop: Header=BB310_13 Depth=1
	v_and_b32_e32 v2, 7, v38
	v_lshrrev_b32_e32 v3, 3, v0
	v_cmp_gt_u32_e32 vcc, 8, v0
	v_ffbh_u32_e32 v0, v2
	v_min_u32_e32 v4, 32, v0
	v_subrev_u32_e32 v0, 28, v4
	v_lshlrev_b64 v[0:1], v0, v[38:39]
	v_sub_u32_e32 v1, 29, v4
	v_and_b32_e32 v0, 7, v0
	v_cndmask_b32_e32 v1, v3, v1, vcc
	v_mov_b32_e32 v3, 0x2000
	v_cndmask_b32_e32 v0, v2, v0, vcc
	v_lshlrev_b32_e32 v2, 8, v38
	v_lshl_add_u32 v1, v1, 10, v3
	v_and_or_b32 v1, v2, s43, v1
	v_lshl_or_b32 v0, v0, 7, v1
	v_cvt_f32_f16_e32 v62, v0
.LBB310_458:                            ;   in Loop: Header=BB310_13 Depth=1
	s_or_b64 exec, exec, s[38:39]
.LBB310_459:                            ;   in Loop: Header=BB310_13 Depth=1
	s_or_b64 exec, exec, s[36:37]
.LBB310_460:                            ;   in Loop: Header=BB310_13 Depth=1
	s_or_b64 exec, exec, s[34:35]
	v_lshrrev_b32_e32 v38, 16, v36
	v_mov_b32_e32 v0, 0
	v_cmp_ne_u16_sdwa vcc, v38, v54 src0_sel:BYTE_0 src1_sel:DWORD
	buffer_store_dword v0, off, s[0:3], s32 offset:540 ; 4-byte Folded Spill
	v_mov_b32_e32 v0, 0
	buffer_store_dword v0, off, s[0:3], s32 offset:544 ; 4-byte Folded Spill
	s_and_saveexec_b64 s[34:35], vcc
	s_cbranch_execz .LBB310_466
; %bb.461:                              ;   in Loop: Header=BB310_13 Depth=1
	v_cmp_ne_u16_sdwa vcc, v38, s41 src0_sel:BYTE_0 src1_sel:DWORD
	v_bfrev_b32_e32 v0, 1
	buffer_store_dword v0, off, s[0:3], s32 offset:544 ; 4-byte Folded Spill
	s_and_saveexec_b64 s[36:37], vcc
	s_cbranch_execz .LBB310_465
; %bb.462:                              ;   in Loop: Header=BB310_13 Depth=1
	v_bfe_u32 v0, v36, 16, 7
	v_cmp_ne_u32_e32 vcc, s42, v0
	v_mov_b32_e32 v1, 0x7fc02000
	buffer_store_dword v1, off, s[0:3], s32 offset:544 ; 4-byte Folded Spill
	s_and_saveexec_b64 s[38:39], vcc
	s_cbranch_execz .LBB310_464
; %bb.463:                              ;   in Loop: Header=BB310_13 Depth=1
	v_and_b32_e32 v2, 7, v38
	v_lshrrev_b32_e32 v3, 3, v0
	v_cmp_gt_u32_e32 vcc, 8, v0
	v_ffbh_u32_e32 v0, v2
	v_min_u32_e32 v4, 32, v0
	v_subrev_u32_e32 v0, 28, v4
	v_lshlrev_b64 v[0:1], v0, v[38:39]
	v_sub_u32_e32 v1, 29, v4
	v_and_b32_e32 v0, 7, v0
	v_cndmask_b32_e32 v1, v3, v1, vcc
	v_mov_b32_e32 v3, 0x2000
	v_cndmask_b32_e32 v0, v2, v0, vcc
	v_lshlrev_b32_e32 v2, 8, v38
	v_lshl_add_u32 v1, v1, 10, v3
	v_and_or_b32 v1, v2, s43, v1
	v_lshl_or_b32 v0, v0, 7, v1
	v_cvt_f32_f16_e32 v0, v0
	buffer_store_dword v0, off, s[0:3], s32 offset:544 ; 4-byte Folded Spill
.LBB310_464:                            ;   in Loop: Header=BB310_13 Depth=1
	s_or_b64 exec, exec, s[38:39]
.LBB310_465:                            ;   in Loop: Header=BB310_13 Depth=1
	s_or_b64 exec, exec, s[36:37]
.LBB310_466:                            ;   in Loop: Header=BB310_13 Depth=1
	s_or_b64 exec, exec, s[34:35]
	v_cmp_lt_u32_e32 vcc, s44, v36
	s_and_saveexec_b64 s[34:35], vcc
	s_cbranch_execz .LBB310_472
; %bb.467:                              ;   in Loop: Header=BB310_13 Depth=1
	v_lshrrev_b32_e32 v36, 24, v36
	v_cmp_ne_u32_e32 vcc, s41, v36
	v_bfrev_b32_e32 v0, 1
	buffer_store_dword v0, off, s[0:3], s32 offset:540 ; 4-byte Folded Spill
	s_and_saveexec_b64 s[36:37], vcc
	s_cbranch_execz .LBB310_471
; %bb.468:                              ;   in Loop: Header=BB310_13 Depth=1
	v_and_b32_e32 v0, 0x7f, v36
	v_cmp_ne_u32_e32 vcc, s42, v0
	v_mov_b32_e32 v1, 0x7fc02000
	buffer_store_dword v1, off, s[0:3], s32 offset:540 ; 4-byte Folded Spill
	s_and_saveexec_b64 s[38:39], vcc
	s_cbranch_execz .LBB310_470
; %bb.469:                              ;   in Loop: Header=BB310_13 Depth=1
	v_and_b32_e32 v2, 7, v36
	v_lshrrev_b32_e32 v3, 3, v0
	v_cmp_gt_u32_e32 vcc, 8, v0
	v_ffbh_u32_e32 v0, v2
	v_min_u32_e32 v4, 32, v0
	v_subrev_u32_e32 v0, 28, v4
	v_lshlrev_b64 v[0:1], v0, v[36:37]
	v_sub_u32_e32 v1, 29, v4
	v_and_b32_e32 v0, 7, v0
	v_cndmask_b32_e32 v1, v3, v1, vcc
	v_mov_b32_e32 v3, 0x2000
	v_cndmask_b32_e32 v0, v2, v0, vcc
	v_lshlrev_b32_e32 v2, 8, v36
	v_lshl_add_u32 v1, v1, 10, v3
	v_and_or_b32 v1, v2, s43, v1
	v_lshl_or_b32 v0, v0, 7, v1
	v_cvt_f32_f16_e32 v0, v0
	buffer_store_dword v0, off, s[0:3], s32 offset:540 ; 4-byte Folded Spill
.LBB310_470:                            ;   in Loop: Header=BB310_13 Depth=1
	s_or_b64 exec, exec, s[38:39]
.LBB310_471:                            ;   in Loop: Header=BB310_13 Depth=1
	s_or_b64 exec, exec, s[36:37]
.LBB310_472:                            ;   in Loop: Header=BB310_13 Depth=1
	s_or_b64 exec, exec, s[34:35]
	v_add_co_u32_e32 v0, vcc, 0x1200, v34
	v_addc_co_u32_e32 v1, vcc, 0, v35, vcc
	flat_load_dword v36, v[0:1] offset:8
	v_mov_b32_e32 v37, 0
	v_mov_b32_e32 v40, 0
	s_waitcnt vmcnt(0) lgkmcnt(0)
	v_cmp_ne_u16_sdwa vcc, v36, v54 src0_sel:BYTE_0 src1_sel:DWORD
	s_and_saveexec_b64 s[34:35], vcc
	s_cbranch_execz .LBB310_478
; %bb.473:                              ;   in Loop: Header=BB310_13 Depth=1
	v_cmp_ne_u16_sdwa vcc, v36, s41 src0_sel:BYTE_0 src1_sel:DWORD
	v_bfrev_b32_e32 v40, 1
	s_and_saveexec_b64 s[36:37], vcc
	s_cbranch_execz .LBB310_477
; %bb.474:                              ;   in Loop: Header=BB310_13 Depth=1
	v_and_b32_e32 v0, 0x7f, v36
	v_cmp_ne_u32_e32 vcc, s42, v0
	v_mov_b32_e32 v40, 0x7fc02000
	s_and_saveexec_b64 s[38:39], vcc
	s_cbranch_execz .LBB310_476
; %bb.475:                              ;   in Loop: Header=BB310_13 Depth=1
	v_and_b32_e32 v2, 7, v36
	v_lshrrev_b32_e32 v3, 3, v0
	v_cmp_gt_u32_e32 vcc, 8, v0
	v_ffbh_u32_e32 v0, v2
	v_min_u32_e32 v4, 32, v0
	v_subrev_u32_e32 v0, 28, v4
	v_lshlrev_b64 v[0:1], v0, v[36:37]
	v_sub_u32_e32 v1, 29, v4
	v_and_b32_e32 v0, 7, v0
	v_cndmask_b32_e32 v1, v3, v1, vcc
	v_mov_b32_e32 v3, 0x2000
	v_cndmask_b32_e32 v0, v2, v0, vcc
	v_lshlrev_b32_e32 v2, 8, v36
	v_lshl_add_u32 v1, v1, 10, v3
	v_and_or_b32 v1, v2, s43, v1
	v_lshl_or_b32 v0, v0, 7, v1
	v_cvt_f32_f16_e32 v40, v0
.LBB310_476:                            ;   in Loop: Header=BB310_13 Depth=1
	s_or_b64 exec, exec, s[38:39]
.LBB310_477:                            ;   in Loop: Header=BB310_13 Depth=1
	s_or_b64 exec, exec, s[36:37]
.LBB310_478:                            ;   in Loop: Header=BB310_13 Depth=1
	s_or_b64 exec, exec, s[34:35]
	v_lshrrev_b16_e32 v38, 8, v36
	v_cmp_ne_u16_e32 vcc, 0, v38
	s_and_saveexec_b64 s[34:35], vcc
	s_cbranch_execz .LBB310_484
; %bb.479:                              ;   in Loop: Header=BB310_13 Depth=1
	v_cmp_ne_u16_e32 vcc, s41, v38
	v_bfrev_b32_e32 v37, 1
	s_and_saveexec_b64 s[36:37], vcc
	s_cbranch_execz .LBB310_483
; %bb.480:                              ;   in Loop: Header=BB310_13 Depth=1
	v_and_b32_e32 v0, 0x7f, v38
	v_cmp_ne_u32_e32 vcc, s42, v0
	v_mov_b32_e32 v37, 0x7fc02000
	s_and_saveexec_b64 s[38:39], vcc
	s_cbranch_execz .LBB310_482
; %bb.481:                              ;   in Loop: Header=BB310_13 Depth=1
	v_and_b32_e32 v2, 7, v38
	v_lshrrev_b32_e32 v3, 3, v0
	v_cmp_gt_u32_e32 vcc, 8, v0
	v_ffbh_u32_e32 v0, v2
	v_min_u32_e32 v4, 32, v0
	v_subrev_u32_e32 v0, 28, v4
	v_lshlrev_b64 v[0:1], v0, v[38:39]
	v_sub_u32_e32 v1, 29, v4
	v_and_b32_e32 v0, 7, v0
	v_cndmask_b32_e32 v1, v3, v1, vcc
	v_mov_b32_e32 v3, 0x2000
	v_cndmask_b32_e32 v0, v2, v0, vcc
	v_lshlrev_b32_e32 v2, 8, v38
	v_lshl_add_u32 v1, v1, 10, v3
	v_and_or_b32 v1, v2, s43, v1
	v_lshl_or_b32 v0, v0, 7, v1
	v_cvt_f32_f16_e32 v37, v0
.LBB310_482:                            ;   in Loop: Header=BB310_13 Depth=1
	s_or_b64 exec, exec, s[38:39]
.LBB310_483:                            ;   in Loop: Header=BB310_13 Depth=1
	s_or_b64 exec, exec, s[36:37]
.LBB310_484:                            ;   in Loop: Header=BB310_13 Depth=1
	s_or_b64 exec, exec, s[34:35]
	v_lshrrev_b32_e32 v38, 16, v36
	v_cmp_ne_u16_sdwa vcc, v38, v54 src0_sel:BYTE_0 src1_sel:DWORD
	v_mov_b32_e32 v3, 0
	v_mov_b32_e32 v30, 0
	s_and_saveexec_b64 s[34:35], vcc
	s_cbranch_execz .LBB310_490
; %bb.485:                              ;   in Loop: Header=BB310_13 Depth=1
	v_cmp_ne_u16_sdwa vcc, v38, s41 src0_sel:BYTE_0 src1_sel:DWORD
	v_bfrev_b32_e32 v30, 1
	s_and_saveexec_b64 s[36:37], vcc
	s_cbranch_execz .LBB310_489
; %bb.486:                              ;   in Loop: Header=BB310_13 Depth=1
	v_bfe_u32 v0, v36, 16, 7
	v_cmp_ne_u32_e32 vcc, s42, v0
	v_mov_b32_e32 v30, 0x7fc02000
	s_and_saveexec_b64 s[38:39], vcc
	s_cbranch_execz .LBB310_488
; %bb.487:                              ;   in Loop: Header=BB310_13 Depth=1
	v_and_b32_e32 v2, 7, v38
	v_lshrrev_b32_e32 v4, 3, v0
	v_cmp_gt_u32_e32 vcc, 8, v0
	v_ffbh_u32_e32 v0, v2
	v_min_u32_e32 v6, 32, v0
	v_subrev_u32_e32 v0, 28, v6
	v_lshlrev_b64 v[0:1], v0, v[38:39]
	v_sub_u32_e32 v1, 29, v6
	v_and_b32_e32 v0, 7, v0
	v_cndmask_b32_e32 v1, v4, v1, vcc
	v_mov_b32_e32 v4, 0x2000
	v_cndmask_b32_e32 v0, v2, v0, vcc
	v_lshlrev_b32_e32 v2, 8, v38
	v_lshl_add_u32 v1, v1, 10, v4
	v_and_or_b32 v1, v2, s43, v1
	v_lshl_or_b32 v0, v0, 7, v1
	v_cvt_f32_f16_e32 v30, v0
.LBB310_488:                            ;   in Loop: Header=BB310_13 Depth=1
	s_or_b64 exec, exec, s[38:39]
.LBB310_489:                            ;   in Loop: Header=BB310_13 Depth=1
	s_or_b64 exec, exec, s[36:37]
.LBB310_490:                            ;   in Loop: Header=BB310_13 Depth=1
	s_or_b64 exec, exec, s[34:35]
	v_cmp_lt_u32_e32 vcc, s44, v36
	s_and_saveexec_b64 s[34:35], vcc
	s_cbranch_execz .LBB310_496
; %bb.491:                              ;   in Loop: Header=BB310_13 Depth=1
	v_lshrrev_b32_e32 v36, 24, v36
	v_cmp_ne_u32_e32 vcc, s41, v36
	v_bfrev_b32_e32 v3, 1
	s_and_saveexec_b64 s[36:37], vcc
	s_cbranch_execz .LBB310_495
; %bb.492:                              ;   in Loop: Header=BB310_13 Depth=1
	v_and_b32_e32 v0, 0x7f, v36
	v_cmp_ne_u32_e32 vcc, s42, v0
	v_mov_b32_e32 v3, 0x7fc02000
	s_and_saveexec_b64 s[38:39], vcc
	s_cbranch_execz .LBB310_494
; %bb.493:                              ;   in Loop: Header=BB310_13 Depth=1
	v_and_b32_e32 v2, 7, v36
	v_lshrrev_b32_e32 v3, 3, v0
	v_cmp_gt_u32_e32 vcc, 8, v0
	v_ffbh_u32_e32 v0, v2
	v_min_u32_e32 v4, 32, v0
	v_subrev_u32_e32 v0, 28, v4
	v_lshlrev_b64 v[0:1], v0, v[36:37]
	v_sub_u32_e32 v1, 29, v4
	v_and_b32_e32 v0, 7, v0
	v_cndmask_b32_e32 v1, v3, v1, vcc
	v_mov_b32_e32 v3, 0x2000
	v_cndmask_b32_e32 v0, v2, v0, vcc
	v_lshlrev_b32_e32 v2, 8, v36
	v_lshl_add_u32 v1, v1, 10, v3
	v_and_or_b32 v1, v2, s43, v1
	v_lshl_or_b32 v0, v0, 7, v1
	v_cvt_f32_f16_e32 v3, v0
.LBB310_494:                            ;   in Loop: Header=BB310_13 Depth=1
	s_or_b64 exec, exec, s[38:39]
.LBB310_495:                            ;   in Loop: Header=BB310_13 Depth=1
	s_or_b64 exec, exec, s[36:37]
.LBB310_496:                            ;   in Loop: Header=BB310_13 Depth=1
	s_or_b64 exec, exec, s[34:35]
	v_add_co_u32_e32 v0, vcc, 0x1000, v34
	v_addc_co_u32_e32 v1, vcc, 0, v35, vcc
	flat_load_dword v36, v[0:1] offset:1024
	v_mov_b32_e32 v45, 0
	v_mov_b32_e32 v24, 0
	s_waitcnt vmcnt(0) lgkmcnt(0)
	v_cmp_ne_u16_sdwa vcc, v36, v54 src0_sel:BYTE_0 src1_sel:DWORD
	s_and_saveexec_b64 s[34:35], vcc
	s_cbranch_execz .LBB310_502
; %bb.497:                              ;   in Loop: Header=BB310_13 Depth=1
	v_cmp_ne_u16_sdwa vcc, v36, s41 src0_sel:BYTE_0 src1_sel:DWORD
	v_bfrev_b32_e32 v24, 1
	s_and_saveexec_b64 s[36:37], vcc
	s_cbranch_execz .LBB310_501
; %bb.498:                              ;   in Loop: Header=BB310_13 Depth=1
	v_and_b32_e32 v0, 0x7f, v36
	v_cmp_ne_u32_e32 vcc, s42, v0
	v_mov_b32_e32 v24, 0x7fc02000
	s_and_saveexec_b64 s[38:39], vcc
	s_cbranch_execz .LBB310_500
; %bb.499:                              ;   in Loop: Header=BB310_13 Depth=1
	v_and_b32_e32 v2, 7, v36
	v_lshrrev_b32_e32 v4, 3, v0
	v_cmp_gt_u32_e32 vcc, 8, v0
	v_ffbh_u32_e32 v0, v2
	v_min_u32_e32 v6, 32, v0
	v_subrev_u32_e32 v0, 28, v6
	v_lshlrev_b64 v[0:1], v0, v[36:37]
	v_sub_u32_e32 v1, 29, v6
	v_and_b32_e32 v0, 7, v0
	v_cndmask_b32_e32 v1, v4, v1, vcc
	v_mov_b32_e32 v4, 0x2000
	v_cndmask_b32_e32 v0, v2, v0, vcc
	v_lshlrev_b32_e32 v2, 8, v36
	v_lshl_add_u32 v1, v1, 10, v4
	v_and_or_b32 v1, v2, s43, v1
	v_lshl_or_b32 v0, v0, 7, v1
	v_cvt_f32_f16_e32 v24, v0
.LBB310_500:                            ;   in Loop: Header=BB310_13 Depth=1
	s_or_b64 exec, exec, s[38:39]
.LBB310_501:                            ;   in Loop: Header=BB310_13 Depth=1
	s_or_b64 exec, exec, s[36:37]
.LBB310_502:                            ;   in Loop: Header=BB310_13 Depth=1
	s_or_b64 exec, exec, s[34:35]
	v_lshrrev_b16_e32 v38, 8, v36
	v_cmp_ne_u16_e32 vcc, 0, v38
	s_and_saveexec_b64 s[34:35], vcc
	s_cbranch_execz .LBB310_508
; %bb.503:                              ;   in Loop: Header=BB310_13 Depth=1
	v_cmp_ne_u16_e32 vcc, s41, v38
	v_bfrev_b32_e32 v45, 1
	s_and_saveexec_b64 s[36:37], vcc
	s_cbranch_execz .LBB310_507
; %bb.504:                              ;   in Loop: Header=BB310_13 Depth=1
	v_and_b32_e32 v0, 0x7f, v38
	v_cmp_ne_u32_e32 vcc, s42, v0
	v_mov_b32_e32 v45, 0x7fc02000
	s_and_saveexec_b64 s[38:39], vcc
	s_cbranch_execz .LBB310_506
; %bb.505:                              ;   in Loop: Header=BB310_13 Depth=1
	v_and_b32_e32 v2, 7, v38
	v_lshrrev_b32_e32 v4, 3, v0
	v_cmp_gt_u32_e32 vcc, 8, v0
	v_ffbh_u32_e32 v0, v2
	v_min_u32_e32 v6, 32, v0
	v_subrev_u32_e32 v0, 28, v6
	v_lshlrev_b64 v[0:1], v0, v[38:39]
	v_sub_u32_e32 v1, 29, v6
	v_and_b32_e32 v0, 7, v0
	v_cndmask_b32_e32 v1, v4, v1, vcc
	v_mov_b32_e32 v4, 0x2000
	v_cndmask_b32_e32 v0, v2, v0, vcc
	v_lshlrev_b32_e32 v2, 8, v38
	v_lshl_add_u32 v1, v1, 10, v4
	v_and_or_b32 v1, v2, s43, v1
	v_lshl_or_b32 v0, v0, 7, v1
	v_cvt_f32_f16_e32 v45, v0
.LBB310_506:                            ;   in Loop: Header=BB310_13 Depth=1
	s_or_b64 exec, exec, s[38:39]
.LBB310_507:                            ;   in Loop: Header=BB310_13 Depth=1
	s_or_b64 exec, exec, s[36:37]
.LBB310_508:                            ;   in Loop: Header=BB310_13 Depth=1
	s_or_b64 exec, exec, s[34:35]
	v_lshrrev_b32_e32 v38, 16, v36
	v_cmp_ne_u16_sdwa vcc, v38, v54 src0_sel:BYTE_0 src1_sel:DWORD
	v_mov_b32_e32 v20, 0
	v_mov_b32_e32 v7, 0
	s_and_saveexec_b64 s[34:35], vcc
	s_cbranch_execz .LBB310_514
; %bb.509:                              ;   in Loop: Header=BB310_13 Depth=1
	v_cmp_ne_u16_sdwa vcc, v38, s41 src0_sel:BYTE_0 src1_sel:DWORD
	v_bfrev_b32_e32 v7, 1
	s_and_saveexec_b64 s[36:37], vcc
	s_cbranch_execz .LBB310_513
; %bb.510:                              ;   in Loop: Header=BB310_13 Depth=1
	v_bfe_u32 v0, v36, 16, 7
	v_cmp_ne_u32_e32 vcc, s42, v0
	v_mov_b32_e32 v7, 0x7fc02000
	s_and_saveexec_b64 s[38:39], vcc
	s_cbranch_execz .LBB310_512
; %bb.511:                              ;   in Loop: Header=BB310_13 Depth=1
	v_and_b32_e32 v2, 7, v38
	v_lshrrev_b32_e32 v4, 3, v0
	v_cmp_gt_u32_e32 vcc, 8, v0
	v_ffbh_u32_e32 v0, v2
	v_min_u32_e32 v6, 32, v0
	v_subrev_u32_e32 v0, 28, v6
	v_lshlrev_b64 v[0:1], v0, v[38:39]
	v_sub_u32_e32 v1, 29, v6
	v_and_b32_e32 v0, 7, v0
	v_cndmask_b32_e32 v1, v4, v1, vcc
	v_mov_b32_e32 v4, 0x2000
	v_cndmask_b32_e32 v0, v2, v0, vcc
	v_lshlrev_b32_e32 v2, 8, v38
	v_lshl_add_u32 v1, v1, 10, v4
	v_and_or_b32 v1, v2, s43, v1
	v_lshl_or_b32 v0, v0, 7, v1
	v_cvt_f32_f16_e32 v7, v0
.LBB310_512:                            ;   in Loop: Header=BB310_13 Depth=1
	s_or_b64 exec, exec, s[38:39]
.LBB310_513:                            ;   in Loop: Header=BB310_13 Depth=1
	s_or_b64 exec, exec, s[36:37]
.LBB310_514:                            ;   in Loop: Header=BB310_13 Depth=1
	s_or_b64 exec, exec, s[34:35]
	v_cmp_lt_u32_e32 vcc, s44, v36
	s_and_saveexec_b64 s[34:35], vcc
	s_cbranch_execz .LBB310_520
; %bb.515:                              ;   in Loop: Header=BB310_13 Depth=1
	v_lshrrev_b32_e32 v36, 24, v36
	v_cmp_ne_u32_e32 vcc, s41, v36
	v_bfrev_b32_e32 v20, 1
	s_and_saveexec_b64 s[36:37], vcc
	s_cbranch_execz .LBB310_519
; %bb.516:                              ;   in Loop: Header=BB310_13 Depth=1
	v_and_b32_e32 v0, 0x7f, v36
	v_cmp_ne_u32_e32 vcc, s42, v0
	v_mov_b32_e32 v20, 0x7fc02000
	s_and_saveexec_b64 s[38:39], vcc
	s_cbranch_execz .LBB310_518
; %bb.517:                              ;   in Loop: Header=BB310_13 Depth=1
	v_and_b32_e32 v2, 7, v36
	v_lshrrev_b32_e32 v4, 3, v0
	v_cmp_gt_u32_e32 vcc, 8, v0
	v_ffbh_u32_e32 v0, v2
	v_min_u32_e32 v6, 32, v0
	v_subrev_u32_e32 v0, 28, v6
	v_lshlrev_b64 v[0:1], v0, v[36:37]
	v_sub_u32_e32 v1, 29, v6
	v_and_b32_e32 v0, 7, v0
	v_cndmask_b32_e32 v1, v4, v1, vcc
	v_mov_b32_e32 v4, 0x2000
	v_cndmask_b32_e32 v0, v2, v0, vcc
	v_lshlrev_b32_e32 v2, 8, v36
	v_lshl_add_u32 v1, v1, 10, v4
	v_and_or_b32 v1, v2, s43, v1
	v_lshl_or_b32 v0, v0, 7, v1
	v_cvt_f32_f16_e32 v20, v0
.LBB310_518:                            ;   in Loop: Header=BB310_13 Depth=1
	s_or_b64 exec, exec, s[38:39]
.LBB310_519:                            ;   in Loop: Header=BB310_13 Depth=1
	s_or_b64 exec, exec, s[36:37]
.LBB310_520:                            ;   in Loop: Header=BB310_13 Depth=1
	s_or_b64 exec, exec, s[34:35]
	v_add_co_u32_e32 v0, vcc, 0x1400, v34
	v_addc_co_u32_e32 v1, vcc, 0, v35, vcc
	flat_load_dword v36, v[0:1] offset:8
	v_mov_b32_e32 v12, 0
	v_mov_b32_e32 v39, 0
	s_waitcnt vmcnt(0) lgkmcnt(0)
	v_cmp_ne_u16_sdwa vcc, v36, v54 src0_sel:BYTE_0 src1_sel:DWORD
	s_and_saveexec_b64 s[34:35], vcc
	s_cbranch_execz .LBB310_526
; %bb.521:                              ;   in Loop: Header=BB310_13 Depth=1
	v_cmp_ne_u16_sdwa vcc, v36, s41 src0_sel:BYTE_0 src1_sel:DWORD
	v_bfrev_b32_e32 v39, 1
	s_and_saveexec_b64 s[36:37], vcc
	s_cbranch_execz .LBB310_525
; %bb.522:                              ;   in Loop: Header=BB310_13 Depth=1
	v_and_b32_e32 v0, 0x7f, v36
	v_cmp_ne_u32_e32 vcc, s42, v0
	v_mov_b32_e32 v39, 0x7fc02000
	s_and_saveexec_b64 s[38:39], vcc
	s_cbranch_execz .LBB310_524
; %bb.523:                              ;   in Loop: Header=BB310_13 Depth=1
	v_and_b32_e32 v2, 7, v36
	v_lshrrev_b32_e32 v4, 3, v0
	v_cmp_gt_u32_e32 vcc, 8, v0
	v_ffbh_u32_e32 v0, v2
	v_min_u32_e32 v6, 32, v0
	v_subrev_u32_e32 v0, 28, v6
	v_lshlrev_b64 v[0:1], v0, v[36:37]
	v_sub_u32_e32 v1, 29, v6
	v_and_b32_e32 v0, 7, v0
	v_cndmask_b32_e32 v1, v4, v1, vcc
	v_mov_b32_e32 v4, 0x2000
	v_cndmask_b32_e32 v0, v2, v0, vcc
	v_lshlrev_b32_e32 v2, 8, v36
	v_lshl_add_u32 v1, v1, 10, v4
	v_and_or_b32 v1, v2, s43, v1
	v_lshl_or_b32 v0, v0, 7, v1
	v_cvt_f32_f16_e32 v39, v0
.LBB310_524:                            ;   in Loop: Header=BB310_13 Depth=1
	s_or_b64 exec, exec, s[38:39]
.LBB310_525:                            ;   in Loop: Header=BB310_13 Depth=1
	s_or_b64 exec, exec, s[36:37]
.LBB310_526:                            ;   in Loop: Header=BB310_13 Depth=1
	s_or_b64 exec, exec, s[34:35]
	v_lshrrev_b16_e32 v38, 8, v36
	v_cmp_ne_u16_e32 vcc, 0, v38
	s_and_saveexec_b64 s[34:35], vcc
	s_cbranch_execz .LBB310_532
; %bb.527:                              ;   in Loop: Header=BB310_13 Depth=1
	v_cmp_ne_u16_e32 vcc, s41, v38
	v_bfrev_b32_e32 v12, 1
	s_and_saveexec_b64 s[36:37], vcc
	s_cbranch_execz .LBB310_531
; %bb.528:                              ;   in Loop: Header=BB310_13 Depth=1
	v_and_b32_e32 v0, 0x7f, v38
	v_cmp_ne_u32_e32 vcc, s42, v0
	v_mov_b32_e32 v12, 0x7fc02000
	s_and_saveexec_b64 s[38:39], vcc
	s_cbranch_execz .LBB310_530
; %bb.529:                              ;   in Loop: Header=BB310_13 Depth=1
	v_and_b32_e32 v2, 7, v38
	v_lshrrev_b32_e32 v4, 3, v0
	v_cmp_gt_u32_e32 vcc, 8, v0
	v_ffbh_u32_e32 v0, v2
	v_min_u32_e32 v6, 32, v0
	v_subrev_u32_e32 v0, 28, v6
	v_lshlrev_b64 v[0:1], v0, v[38:39]
	v_sub_u32_e32 v1, 29, v6
	v_and_b32_e32 v0, 7, v0
	v_cndmask_b32_e32 v1, v4, v1, vcc
	v_mov_b32_e32 v4, 0x2000
	v_cndmask_b32_e32 v0, v2, v0, vcc
	v_lshlrev_b32_e32 v2, 8, v38
	v_lshl_add_u32 v1, v1, 10, v4
	v_and_or_b32 v1, v2, s43, v1
	v_lshl_or_b32 v0, v0, 7, v1
	v_cvt_f32_f16_e32 v12, v0
.LBB310_530:                            ;   in Loop: Header=BB310_13 Depth=1
	s_or_b64 exec, exec, s[38:39]
.LBB310_531:                            ;   in Loop: Header=BB310_13 Depth=1
	s_or_b64 exec, exec, s[36:37]
.LBB310_532:                            ;   in Loop: Header=BB310_13 Depth=1
	s_or_b64 exec, exec, s[34:35]
	v_lshrrev_b32_e32 v38, 16, v36
	v_cmp_ne_u16_sdwa vcc, v38, v54 src0_sel:BYTE_0 src1_sel:DWORD
	v_mov_b32_e32 v2, 0
	v_mov_b32_e32 v31, 0
	s_and_saveexec_b64 s[34:35], vcc
	s_cbranch_execz .LBB310_538
; %bb.533:                              ;   in Loop: Header=BB310_13 Depth=1
	v_cmp_ne_u16_sdwa vcc, v38, s41 src0_sel:BYTE_0 src1_sel:DWORD
	v_bfrev_b32_e32 v31, 1
	s_and_saveexec_b64 s[36:37], vcc
	s_cbranch_execz .LBB310_537
; %bb.534:                              ;   in Loop: Header=BB310_13 Depth=1
	v_bfe_u32 v0, v36, 16, 7
	v_cmp_ne_u32_e32 vcc, s42, v0
	v_mov_b32_e32 v31, 0x7fc02000
	s_and_saveexec_b64 s[38:39], vcc
	s_cbranch_execz .LBB310_536
; %bb.535:                              ;   in Loop: Header=BB310_13 Depth=1
	v_and_b32_e32 v4, 7, v38
	v_lshrrev_b32_e32 v6, 3, v0
	v_cmp_gt_u32_e32 vcc, 8, v0
	v_ffbh_u32_e32 v0, v4
	v_min_u32_e32 v8, 32, v0
	v_subrev_u32_e32 v0, 28, v8
	v_lshlrev_b64 v[0:1], v0, v[38:39]
	v_sub_u32_e32 v1, 29, v8
	v_and_b32_e32 v0, 7, v0
	v_cndmask_b32_e32 v1, v6, v1, vcc
	v_mov_b32_e32 v6, 0x2000
	v_cndmask_b32_e32 v0, v4, v0, vcc
	v_lshlrev_b32_e32 v4, 8, v38
	v_lshl_add_u32 v1, v1, 10, v6
	v_and_or_b32 v1, v4, s43, v1
	v_lshl_or_b32 v0, v0, 7, v1
	v_cvt_f32_f16_e32 v31, v0
.LBB310_536:                            ;   in Loop: Header=BB310_13 Depth=1
	s_or_b64 exec, exec, s[38:39]
.LBB310_537:                            ;   in Loop: Header=BB310_13 Depth=1
	s_or_b64 exec, exec, s[36:37]
.LBB310_538:                            ;   in Loop: Header=BB310_13 Depth=1
	s_or_b64 exec, exec, s[34:35]
	v_cmp_lt_u32_e32 vcc, s44, v36
	s_and_saveexec_b64 s[34:35], vcc
	s_cbranch_execz .LBB310_544
; %bb.539:                              ;   in Loop: Header=BB310_13 Depth=1
	v_lshrrev_b32_e32 v36, 24, v36
	v_cmp_ne_u32_e32 vcc, s41, v36
	v_bfrev_b32_e32 v2, 1
	s_and_saveexec_b64 s[36:37], vcc
	s_cbranch_execz .LBB310_543
; %bb.540:                              ;   in Loop: Header=BB310_13 Depth=1
	v_and_b32_e32 v0, 0x7f, v36
	v_cmp_ne_u32_e32 vcc, s42, v0
	v_mov_b32_e32 v2, 0x7fc02000
	s_and_saveexec_b64 s[38:39], vcc
	s_cbranch_execz .LBB310_542
; %bb.541:                              ;   in Loop: Header=BB310_13 Depth=1
	v_and_b32_e32 v2, 7, v36
	v_lshrrev_b32_e32 v4, 3, v0
	v_cmp_gt_u32_e32 vcc, 8, v0
	v_ffbh_u32_e32 v0, v2
	v_min_u32_e32 v6, 32, v0
	v_subrev_u32_e32 v0, 28, v6
	v_lshlrev_b64 v[0:1], v0, v[36:37]
	v_sub_u32_e32 v1, 29, v6
	v_and_b32_e32 v0, 7, v0
	v_cndmask_b32_e32 v1, v4, v1, vcc
	v_mov_b32_e32 v4, 0x2000
	v_cndmask_b32_e32 v0, v2, v0, vcc
	v_lshlrev_b32_e32 v2, 8, v36
	v_lshl_add_u32 v1, v1, 10, v4
	v_and_or_b32 v1, v2, s43, v1
	v_lshl_or_b32 v0, v0, 7, v1
	v_cvt_f32_f16_e32 v2, v0
.LBB310_542:                            ;   in Loop: Header=BB310_13 Depth=1
	s_or_b64 exec, exec, s[38:39]
.LBB310_543:                            ;   in Loop: Header=BB310_13 Depth=1
	s_or_b64 exec, exec, s[36:37]
.LBB310_544:                            ;   in Loop: Header=BB310_13 Depth=1
	s_or_b64 exec, exec, s[34:35]
	v_add_co_u32_e32 v0, vcc, 0x1000, v34
	v_addc_co_u32_e32 v1, vcc, 0, v35, vcc
	flat_load_dword v36, v[0:1] offset:1536
	v_mov_b32_e32 v48, 0
	v_mov_b32_e32 v9, 0
	s_waitcnt vmcnt(0) lgkmcnt(0)
	v_cmp_ne_u16_sdwa vcc, v36, v54 src0_sel:BYTE_0 src1_sel:DWORD
	s_and_saveexec_b64 s[34:35], vcc
	s_cbranch_execz .LBB310_550
; %bb.545:                              ;   in Loop: Header=BB310_13 Depth=1
	v_cmp_ne_u16_sdwa vcc, v36, s41 src0_sel:BYTE_0 src1_sel:DWORD
	v_bfrev_b32_e32 v9, 1
	s_and_saveexec_b64 s[36:37], vcc
	s_cbranch_execz .LBB310_549
; %bb.546:                              ;   in Loop: Header=BB310_13 Depth=1
	v_and_b32_e32 v0, 0x7f, v36
	v_cmp_ne_u32_e32 vcc, s42, v0
	v_mov_b32_e32 v9, 0x7fc02000
	s_and_saveexec_b64 s[38:39], vcc
	s_cbranch_execz .LBB310_548
; %bb.547:                              ;   in Loop: Header=BB310_13 Depth=1
	v_and_b32_e32 v4, 7, v36
	v_lshrrev_b32_e32 v6, 3, v0
	v_cmp_gt_u32_e32 vcc, 8, v0
	v_ffbh_u32_e32 v0, v4
	v_min_u32_e32 v8, 32, v0
	v_subrev_u32_e32 v0, 28, v8
	v_lshlrev_b64 v[0:1], v0, v[36:37]
	v_sub_u32_e32 v1, 29, v8
	v_and_b32_e32 v0, 7, v0
	v_cndmask_b32_e32 v1, v6, v1, vcc
	v_mov_b32_e32 v6, 0x2000
	v_cndmask_b32_e32 v0, v4, v0, vcc
	v_lshlrev_b32_e32 v4, 8, v36
	v_lshl_add_u32 v1, v1, 10, v6
	v_and_or_b32 v1, v4, s43, v1
	v_lshl_or_b32 v0, v0, 7, v1
	v_cvt_f32_f16_e32 v9, v0
.LBB310_548:                            ;   in Loop: Header=BB310_13 Depth=1
	s_or_b64 exec, exec, s[38:39]
.LBB310_549:                            ;   in Loop: Header=BB310_13 Depth=1
	s_or_b64 exec, exec, s[36:37]
.LBB310_550:                            ;   in Loop: Header=BB310_13 Depth=1
	s_or_b64 exec, exec, s[34:35]
	v_lshrrev_b16_e32 v38, 8, v36
	v_cmp_ne_u16_e32 vcc, 0, v38
	s_and_saveexec_b64 s[34:35], vcc
	s_cbranch_execz .LBB310_556
; %bb.551:                              ;   in Loop: Header=BB310_13 Depth=1
	v_cmp_ne_u16_e32 vcc, s41, v38
	v_bfrev_b32_e32 v48, 1
	s_and_saveexec_b64 s[36:37], vcc
	s_cbranch_execz .LBB310_555
; %bb.552:                              ;   in Loop: Header=BB310_13 Depth=1
	v_and_b32_e32 v0, 0x7f, v38
	v_cmp_ne_u32_e32 vcc, s42, v0
	v_mov_b32_e32 v48, 0x7fc02000
	s_and_saveexec_b64 s[38:39], vcc
	s_cbranch_execz .LBB310_554
; %bb.553:                              ;   in Loop: Header=BB310_13 Depth=1
	v_and_b32_e32 v4, 7, v38
	v_lshrrev_b32_e32 v6, 3, v0
	v_cmp_gt_u32_e32 vcc, 8, v0
	v_ffbh_u32_e32 v0, v4
	v_min_u32_e32 v8, 32, v0
	v_subrev_u32_e32 v0, 28, v8
	v_lshlrev_b64 v[0:1], v0, v[38:39]
	v_sub_u32_e32 v1, 29, v8
	v_and_b32_e32 v0, 7, v0
	v_cndmask_b32_e32 v1, v6, v1, vcc
	v_mov_b32_e32 v6, 0x2000
	v_cndmask_b32_e32 v0, v4, v0, vcc
	v_lshlrev_b32_e32 v4, 8, v38
	v_lshl_add_u32 v1, v1, 10, v6
	v_and_or_b32 v1, v4, s43, v1
	v_lshl_or_b32 v0, v0, 7, v1
	v_cvt_f32_f16_e32 v48, v0
.LBB310_554:                            ;   in Loop: Header=BB310_13 Depth=1
	s_or_b64 exec, exec, s[38:39]
.LBB310_555:                            ;   in Loop: Header=BB310_13 Depth=1
	s_or_b64 exec, exec, s[36:37]
.LBB310_556:                            ;   in Loop: Header=BB310_13 Depth=1
	s_or_b64 exec, exec, s[34:35]
	v_lshrrev_b32_e32 v38, 16, v36
	v_cmp_ne_u16_sdwa vcc, v38, v54 src0_sel:BYTE_0 src1_sel:DWORD
	v_mov_b32_e32 v60, 0
	v_mov_b32_e32 v50, 0
	s_and_saveexec_b64 s[34:35], vcc
	s_cbranch_execz .LBB310_562
; %bb.557:                              ;   in Loop: Header=BB310_13 Depth=1
	v_cmp_ne_u16_sdwa vcc, v38, s41 src0_sel:BYTE_0 src1_sel:DWORD
	v_bfrev_b32_e32 v50, 1
	s_and_saveexec_b64 s[36:37], vcc
	s_cbranch_execz .LBB310_561
; %bb.558:                              ;   in Loop: Header=BB310_13 Depth=1
	v_bfe_u32 v0, v36, 16, 7
	v_cmp_ne_u32_e32 vcc, s42, v0
	v_mov_b32_e32 v50, 0x7fc02000
	s_and_saveexec_b64 s[38:39], vcc
	s_cbranch_execz .LBB310_560
; %bb.559:                              ;   in Loop: Header=BB310_13 Depth=1
	v_and_b32_e32 v4, 7, v38
	v_lshrrev_b32_e32 v6, 3, v0
	v_cmp_gt_u32_e32 vcc, 8, v0
	v_ffbh_u32_e32 v0, v4
	v_min_u32_e32 v8, 32, v0
	v_subrev_u32_e32 v0, 28, v8
	v_lshlrev_b64 v[0:1], v0, v[38:39]
	v_sub_u32_e32 v1, 29, v8
	v_and_b32_e32 v0, 7, v0
	v_cndmask_b32_e32 v1, v6, v1, vcc
	v_mov_b32_e32 v6, 0x2000
	v_cndmask_b32_e32 v0, v4, v0, vcc
	v_lshlrev_b32_e32 v4, 8, v38
	v_lshl_add_u32 v1, v1, 10, v6
	v_and_or_b32 v1, v4, s43, v1
	v_lshl_or_b32 v0, v0, 7, v1
	v_cvt_f32_f16_e32 v50, v0
.LBB310_560:                            ;   in Loop: Header=BB310_13 Depth=1
	s_or_b64 exec, exec, s[38:39]
.LBB310_561:                            ;   in Loop: Header=BB310_13 Depth=1
	s_or_b64 exec, exec, s[36:37]
.LBB310_562:                            ;   in Loop: Header=BB310_13 Depth=1
	s_or_b64 exec, exec, s[34:35]
	v_cmp_lt_u32_e32 vcc, s44, v36
	s_and_saveexec_b64 s[34:35], vcc
	s_cbranch_execz .LBB310_568
; %bb.563:                              ;   in Loop: Header=BB310_13 Depth=1
	v_lshrrev_b32_e32 v36, 24, v36
	v_cmp_ne_u32_e32 vcc, s41, v36
	v_bfrev_b32_e32 v60, 1
	s_and_saveexec_b64 s[36:37], vcc
	s_cbranch_execz .LBB310_567
; %bb.564:                              ;   in Loop: Header=BB310_13 Depth=1
	v_and_b32_e32 v0, 0x7f, v36
	v_cmp_ne_u32_e32 vcc, s42, v0
	v_mov_b32_e32 v60, 0x7fc02000
	s_and_saveexec_b64 s[38:39], vcc
	s_cbranch_execz .LBB310_566
; %bb.565:                              ;   in Loop: Header=BB310_13 Depth=1
	v_and_b32_e32 v4, 7, v36
	v_lshrrev_b32_e32 v6, 3, v0
	v_cmp_gt_u32_e32 vcc, 8, v0
	v_ffbh_u32_e32 v0, v4
	v_min_u32_e32 v8, 32, v0
	v_subrev_u32_e32 v0, 28, v8
	v_lshlrev_b64 v[0:1], v0, v[36:37]
	v_sub_u32_e32 v1, 29, v8
	v_and_b32_e32 v0, 7, v0
	v_cndmask_b32_e32 v1, v6, v1, vcc
	v_mov_b32_e32 v6, 0x2000
	v_cndmask_b32_e32 v0, v4, v0, vcc
	v_lshlrev_b32_e32 v4, 8, v36
	v_lshl_add_u32 v1, v1, 10, v6
	v_and_or_b32 v1, v4, s43, v1
	v_lshl_or_b32 v0, v0, 7, v1
	v_cvt_f32_f16_e32 v60, v0
.LBB310_566:                            ;   in Loop: Header=BB310_13 Depth=1
	s_or_b64 exec, exec, s[38:39]
.LBB310_567:                            ;   in Loop: Header=BB310_13 Depth=1
	s_or_b64 exec, exec, s[36:37]
.LBB310_568:                            ;   in Loop: Header=BB310_13 Depth=1
	s_or_b64 exec, exec, s[34:35]
	v_add_co_u32_e32 v0, vcc, 0x1600, v34
	v_addc_co_u32_e32 v1, vcc, 0, v35, vcc
	flat_load_dword v36, v[0:1] offset:8
	v_mov_b32_e32 v10, 0
	v_mov_b32_e32 v17, 0
	s_waitcnt vmcnt(0) lgkmcnt(0)
	v_cmp_ne_u16_sdwa vcc, v36, v54 src0_sel:BYTE_0 src1_sel:DWORD
	s_and_saveexec_b64 s[34:35], vcc
	s_cbranch_execz .LBB310_574
; %bb.569:                              ;   in Loop: Header=BB310_13 Depth=1
	v_cmp_ne_u16_sdwa vcc, v36, s41 src0_sel:BYTE_0 src1_sel:DWORD
	v_bfrev_b32_e32 v17, 1
	s_and_saveexec_b64 s[36:37], vcc
	s_cbranch_execz .LBB310_573
; %bb.570:                              ;   in Loop: Header=BB310_13 Depth=1
	v_and_b32_e32 v0, 0x7f, v36
	v_cmp_ne_u32_e32 vcc, s42, v0
	v_mov_b32_e32 v17, 0x7fc02000
	s_and_saveexec_b64 s[38:39], vcc
	s_cbranch_execz .LBB310_572
; %bb.571:                              ;   in Loop: Header=BB310_13 Depth=1
	v_and_b32_e32 v4, 7, v36
	v_lshrrev_b32_e32 v6, 3, v0
	v_cmp_gt_u32_e32 vcc, 8, v0
	v_ffbh_u32_e32 v0, v4
	v_min_u32_e32 v8, 32, v0
	v_subrev_u32_e32 v0, 28, v8
	v_lshlrev_b64 v[0:1], v0, v[36:37]
	v_sub_u32_e32 v1, 29, v8
	v_and_b32_e32 v0, 7, v0
	v_cndmask_b32_e32 v1, v6, v1, vcc
	v_mov_b32_e32 v6, 0x2000
	v_cndmask_b32_e32 v0, v4, v0, vcc
	v_lshlrev_b32_e32 v4, 8, v36
	v_lshl_add_u32 v1, v1, 10, v6
	v_and_or_b32 v1, v4, s43, v1
	v_lshl_or_b32 v0, v0, 7, v1
	v_cvt_f32_f16_e32 v17, v0
.LBB310_572:                            ;   in Loop: Header=BB310_13 Depth=1
	s_or_b64 exec, exec, s[38:39]
.LBB310_573:                            ;   in Loop: Header=BB310_13 Depth=1
	s_or_b64 exec, exec, s[36:37]
.LBB310_574:                            ;   in Loop: Header=BB310_13 Depth=1
	s_or_b64 exec, exec, s[34:35]
	v_lshrrev_b16_e32 v38, 8, v36
	v_cmp_ne_u16_e32 vcc, 0, v38
	s_and_saveexec_b64 s[34:35], vcc
	s_cbranch_execz .LBB310_580
; %bb.575:                              ;   in Loop: Header=BB310_13 Depth=1
	v_cmp_ne_u16_e32 vcc, s41, v38
	v_bfrev_b32_e32 v10, 1
	s_and_saveexec_b64 s[36:37], vcc
	s_cbranch_execz .LBB310_579
; %bb.576:                              ;   in Loop: Header=BB310_13 Depth=1
	v_and_b32_e32 v0, 0x7f, v38
	v_cmp_ne_u32_e32 vcc, s42, v0
	v_mov_b32_e32 v10, 0x7fc02000
	s_and_saveexec_b64 s[38:39], vcc
	s_cbranch_execz .LBB310_578
; %bb.577:                              ;   in Loop: Header=BB310_13 Depth=1
	v_and_b32_e32 v4, 7, v38
	v_lshrrev_b32_e32 v6, 3, v0
	v_cmp_gt_u32_e32 vcc, 8, v0
	v_ffbh_u32_e32 v0, v4
	v_min_u32_e32 v8, 32, v0
	v_subrev_u32_e32 v0, 28, v8
	v_lshlrev_b64 v[0:1], v0, v[38:39]
	v_sub_u32_e32 v1, 29, v8
	v_and_b32_e32 v0, 7, v0
	v_cndmask_b32_e32 v1, v6, v1, vcc
	v_mov_b32_e32 v6, 0x2000
	v_cndmask_b32_e32 v0, v4, v0, vcc
	v_lshlrev_b32_e32 v4, 8, v38
	v_lshl_add_u32 v1, v1, 10, v6
	v_and_or_b32 v1, v4, s43, v1
	v_lshl_or_b32 v0, v0, 7, v1
	v_cvt_f32_f16_e32 v10, v0
.LBB310_578:                            ;   in Loop: Header=BB310_13 Depth=1
	s_or_b64 exec, exec, s[38:39]
.LBB310_579:                            ;   in Loop: Header=BB310_13 Depth=1
	s_or_b64 exec, exec, s[36:37]
.LBB310_580:                            ;   in Loop: Header=BB310_13 Depth=1
	s_or_b64 exec, exec, s[34:35]
	v_lshrrev_b32_e32 v38, 16, v36
	v_cmp_ne_u16_sdwa vcc, v38, v54 src0_sel:BYTE_0 src1_sel:DWORD
	v_mov_b32_e32 v1, 0
	v_mov_b32_e32 v43, 0
	s_and_saveexec_b64 s[34:35], vcc
	s_cbranch_execz .LBB310_586
; %bb.581:                              ;   in Loop: Header=BB310_13 Depth=1
	v_cmp_ne_u16_sdwa vcc, v38, s41 src0_sel:BYTE_0 src1_sel:DWORD
	v_bfrev_b32_e32 v43, 1
	s_and_saveexec_b64 s[36:37], vcc
	s_cbranch_execz .LBB310_585
; %bb.582:                              ;   in Loop: Header=BB310_13 Depth=1
	v_bfe_u32 v0, v36, 16, 7
	v_cmp_ne_u32_e32 vcc, s42, v0
	v_mov_b32_e32 v43, 0x7fc02000
	s_and_saveexec_b64 s[38:39], vcc
	s_cbranch_execz .LBB310_584
; %bb.583:                              ;   in Loop: Header=BB310_13 Depth=1
	v_and_b32_e32 v4, 7, v38
	v_lshrrev_b32_e32 v6, 3, v0
	v_cmp_gt_u32_e32 vcc, 8, v0
	v_ffbh_u32_e32 v0, v4
	v_min_u32_e32 v0, 32, v0
	v_subrev_u32_e32 v8, 28, v0
	v_lshlrev_b64 v[14:15], v8, v[38:39]
	v_sub_u32_e32 v0, 29, v0
	v_and_b32_e32 v8, 7, v14
	v_cndmask_b32_e32 v0, v6, v0, vcc
	v_cndmask_b32_e32 v4, v4, v8, vcc
	v_mov_b32_e32 v8, 0x2000
	v_lshlrev_b32_e32 v6, 8, v38
	v_lshl_add_u32 v0, v0, 10, v8
	v_and_or_b32 v0, v6, s43, v0
	v_lshl_or_b32 v0, v4, 7, v0
	v_cvt_f32_f16_e32 v43, v0
.LBB310_584:                            ;   in Loop: Header=BB310_13 Depth=1
	s_or_b64 exec, exec, s[38:39]
.LBB310_585:                            ;   in Loop: Header=BB310_13 Depth=1
	s_or_b64 exec, exec, s[36:37]
.LBB310_586:                            ;   in Loop: Header=BB310_13 Depth=1
	s_or_b64 exec, exec, s[34:35]
	v_cmp_lt_u32_e32 vcc, s44, v36
	s_and_saveexec_b64 s[34:35], vcc
	s_cbranch_execz .LBB310_592
; %bb.587:                              ;   in Loop: Header=BB310_13 Depth=1
	v_lshrrev_b32_e32 v36, 24, v36
	v_cmp_ne_u32_e32 vcc, s41, v36
	v_bfrev_b32_e32 v1, 1
	s_and_saveexec_b64 s[36:37], vcc
	s_cbranch_execz .LBB310_591
; %bb.588:                              ;   in Loop: Header=BB310_13 Depth=1
	v_and_b32_e32 v0, 0x7f, v36
	v_cmp_ne_u32_e32 vcc, s42, v0
	v_mov_b32_e32 v1, 0x7fc02000
	s_and_saveexec_b64 s[38:39], vcc
	s_cbranch_execz .LBB310_590
; %bb.589:                              ;   in Loop: Header=BB310_13 Depth=1
	v_and_b32_e32 v4, 7, v36
	v_lshrrev_b32_e32 v6, 3, v0
	v_cmp_gt_u32_e32 vcc, 8, v0
	v_ffbh_u32_e32 v0, v4
	v_min_u32_e32 v8, 32, v0
	v_subrev_u32_e32 v0, 28, v8
	v_lshlrev_b64 v[0:1], v0, v[36:37]
	v_sub_u32_e32 v1, 29, v8
	v_and_b32_e32 v0, 7, v0
	v_cndmask_b32_e32 v1, v6, v1, vcc
	v_mov_b32_e32 v6, 0x2000
	v_cndmask_b32_e32 v0, v4, v0, vcc
	v_lshlrev_b32_e32 v4, 8, v36
	v_lshl_add_u32 v1, v1, 10, v6
	v_and_or_b32 v1, v4, s43, v1
	v_lshl_or_b32 v0, v0, 7, v1
	v_cvt_f32_f16_e32 v1, v0
.LBB310_590:                            ;   in Loop: Header=BB310_13 Depth=1
	s_or_b64 exec, exec, s[38:39]
.LBB310_591:                            ;   in Loop: Header=BB310_13 Depth=1
	s_or_b64 exec, exec, s[36:37]
.LBB310_592:                            ;   in Loop: Header=BB310_13 Depth=1
	s_or_b64 exec, exec, s[34:35]
	v_add_co_u32_e32 v14, vcc, 0x1000, v34
	v_addc_co_u32_e32 v15, vcc, 0, v35, vcc
	flat_load_dword v36, v[14:15] offset:2048
	v_mov_b32_e32 v0, 0
	v_mov_b32_e32 v21, 0
	s_waitcnt vmcnt(0) lgkmcnt(0)
	v_cmp_ne_u16_sdwa vcc, v36, v54 src0_sel:BYTE_0 src1_sel:DWORD
	s_and_saveexec_b64 s[34:35], vcc
	s_cbranch_execz .LBB310_598
; %bb.593:                              ;   in Loop: Header=BB310_13 Depth=1
	v_cmp_ne_u16_sdwa vcc, v36, s41 src0_sel:BYTE_0 src1_sel:DWORD
	v_bfrev_b32_e32 v21, 1
	s_and_saveexec_b64 s[36:37], vcc
	s_cbranch_execz .LBB310_597
; %bb.594:                              ;   in Loop: Header=BB310_13 Depth=1
	v_and_b32_e32 v4, 0x7f, v36
	v_cmp_ne_u32_e32 vcc, s42, v4
	v_mov_b32_e32 v21, 0x7fc02000
	s_and_saveexec_b64 s[38:39], vcc
	s_cbranch_execz .LBB310_596
; %bb.595:                              ;   in Loop: Header=BB310_13 Depth=1
	v_and_b32_e32 v6, 7, v36
	v_lshrrev_b32_e32 v8, 3, v4
	v_cmp_gt_u32_e32 vcc, 8, v4
	v_ffbh_u32_e32 v4, v6
	v_min_u32_e32 v4, 32, v4
	v_subrev_u32_e32 v11, 28, v4
	v_lshlrev_b64 v[14:15], v11, v[36:37]
	v_sub_u32_e32 v4, 29, v4
	v_and_b32_e32 v11, 7, v14
	v_cndmask_b32_e32 v4, v8, v4, vcc
	v_cndmask_b32_e32 v6, v6, v11, vcc
	v_mov_b32_e32 v11, 0x2000
	v_lshlrev_b32_e32 v8, 8, v36
	v_lshl_add_u32 v4, v4, 10, v11
	v_and_or_b32 v4, v8, s43, v4
	v_lshl_or_b32 v4, v6, 7, v4
	v_cvt_f32_f16_e32 v21, v4
.LBB310_596:                            ;   in Loop: Header=BB310_13 Depth=1
	s_or_b64 exec, exec, s[38:39]
.LBB310_597:                            ;   in Loop: Header=BB310_13 Depth=1
	s_or_b64 exec, exec, s[36:37]
.LBB310_598:                            ;   in Loop: Header=BB310_13 Depth=1
	s_or_b64 exec, exec, s[34:35]
	v_lshrrev_b16_e32 v38, 8, v36
	v_cmp_ne_u16_e32 vcc, 0, v38
	s_and_saveexec_b64 s[34:35], vcc
	s_cbranch_execz .LBB310_604
; %bb.599:                              ;   in Loop: Header=BB310_13 Depth=1
	v_cmp_ne_u16_e32 vcc, s41, v38
	v_bfrev_b32_e32 v0, 1
	s_and_saveexec_b64 s[36:37], vcc
	s_cbranch_execz .LBB310_603
; %bb.600:                              ;   in Loop: Header=BB310_13 Depth=1
	v_and_b32_e32 v4, 0x7f, v38
	v_cmp_ne_u32_e32 vcc, s42, v4
	v_mov_b32_e32 v0, 0x7fc02000
	s_and_saveexec_b64 s[38:39], vcc
	s_cbranch_execz .LBB310_602
; %bb.601:                              ;   in Loop: Header=BB310_13 Depth=1
	v_and_b32_e32 v0, 7, v38
	v_lshrrev_b32_e32 v6, 3, v4
	v_cmp_gt_u32_e32 vcc, 8, v4
	v_ffbh_u32_e32 v4, v0
	v_min_u32_e32 v4, 32, v4
	v_subrev_u32_e32 v8, 28, v4
	v_lshlrev_b64 v[14:15], v8, v[38:39]
	v_sub_u32_e32 v4, 29, v4
	v_and_b32_e32 v8, 7, v14
	v_cndmask_b32_e32 v4, v6, v4, vcc
	v_cndmask_b32_e32 v0, v0, v8, vcc
	v_mov_b32_e32 v8, 0x2000
	v_lshlrev_b32_e32 v6, 8, v38
	v_lshl_add_u32 v4, v4, 10, v8
	v_and_or_b32 v4, v6, s43, v4
	v_lshl_or_b32 v0, v0, 7, v4
	v_cvt_f32_f16_e32 v0, v0
.LBB310_602:                            ;   in Loop: Header=BB310_13 Depth=1
	s_or_b64 exec, exec, s[38:39]
.LBB310_603:                            ;   in Loop: Header=BB310_13 Depth=1
	s_or_b64 exec, exec, s[36:37]
.LBB310_604:                            ;   in Loop: Header=BB310_13 Depth=1
	s_or_b64 exec, exec, s[34:35]
	v_lshrrev_b32_e32 v38, 16, v36
	v_cmp_ne_u16_sdwa vcc, v38, v54 src0_sel:BYTE_0 src1_sel:DWORD
	v_mov_b32_e32 v19, 0
	v_mov_b32_e32 v4, 0
	s_and_saveexec_b64 s[34:35], vcc
	s_cbranch_execz .LBB310_610
; %bb.605:                              ;   in Loop: Header=BB310_13 Depth=1
	v_cmp_ne_u16_sdwa vcc, v38, s41 src0_sel:BYTE_0 src1_sel:DWORD
	v_bfrev_b32_e32 v4, 1
	s_and_saveexec_b64 s[36:37], vcc
	s_cbranch_execz .LBB310_609
; %bb.606:                              ;   in Loop: Header=BB310_13 Depth=1
	v_bfe_u32 v6, v36, 16, 7
	v_cmp_ne_u32_e32 vcc, s42, v6
	v_mov_b32_e32 v4, 0x7fc02000
	s_and_saveexec_b64 s[38:39], vcc
	s_cbranch_execz .LBB310_608
; %bb.607:                              ;   in Loop: Header=BB310_13 Depth=1
	v_and_b32_e32 v4, 7, v38
	v_lshrrev_b32_e32 v8, 3, v6
	v_cmp_gt_u32_e32 vcc, 8, v6
	v_ffbh_u32_e32 v6, v4
	v_min_u32_e32 v6, 32, v6
	v_subrev_u32_e32 v11, 28, v6
	v_lshlrev_b64 v[14:15], v11, v[38:39]
	v_sub_u32_e32 v6, 29, v6
	v_and_b32_e32 v11, 7, v14
	v_cndmask_b32_e32 v6, v8, v6, vcc
	v_cndmask_b32_e32 v4, v4, v11, vcc
	v_mov_b32_e32 v11, 0x2000
	v_lshlrev_b32_e32 v8, 8, v38
	v_lshl_add_u32 v6, v6, 10, v11
	v_and_or_b32 v6, v8, s43, v6
	v_lshl_or_b32 v4, v4, 7, v6
	v_cvt_f32_f16_e32 v4, v4
.LBB310_608:                            ;   in Loop: Header=BB310_13 Depth=1
	s_or_b64 exec, exec, s[38:39]
.LBB310_609:                            ;   in Loop: Header=BB310_13 Depth=1
	s_or_b64 exec, exec, s[36:37]
.LBB310_610:                            ;   in Loop: Header=BB310_13 Depth=1
	s_or_b64 exec, exec, s[34:35]
	v_cmp_lt_u32_e32 vcc, s44, v36
	s_and_saveexec_b64 s[34:35], vcc
	s_cbranch_execz .LBB310_616
; %bb.611:                              ;   in Loop: Header=BB310_13 Depth=1
	v_lshrrev_b32_e32 v36, 24, v36
	v_cmp_ne_u32_e32 vcc, s41, v36
	v_bfrev_b32_e32 v19, 1
	s_and_saveexec_b64 s[36:37], vcc
	s_cbranch_execz .LBB310_615
; %bb.612:                              ;   in Loop: Header=BB310_13 Depth=1
	v_and_b32_e32 v6, 0x7f, v36
	v_cmp_ne_u32_e32 vcc, s42, v6
	v_mov_b32_e32 v19, 0x7fc02000
	s_and_saveexec_b64 s[38:39], vcc
	s_cbranch_execz .LBB310_614
; %bb.613:                              ;   in Loop: Header=BB310_13 Depth=1
	v_and_b32_e32 v8, 7, v36
	v_lshrrev_b32_e32 v11, 3, v6
	v_cmp_gt_u32_e32 vcc, 8, v6
	v_ffbh_u32_e32 v6, v8
	v_min_u32_e32 v6, 32, v6
	v_subrev_u32_e32 v13, 28, v6
	v_lshlrev_b64 v[14:15], v13, v[36:37]
	v_sub_u32_e32 v6, 29, v6
	v_and_b32_e32 v13, 7, v14
	v_cndmask_b32_e32 v6, v11, v6, vcc
	v_cndmask_b32_e32 v8, v8, v13, vcc
	v_mov_b32_e32 v13, 0x2000
	v_lshlrev_b32_e32 v11, 8, v36
	v_lshl_add_u32 v6, v6, 10, v13
	v_and_or_b32 v6, v11, s43, v6
	v_lshl_or_b32 v6, v8, 7, v6
	v_cvt_f32_f16_e32 v19, v6
.LBB310_614:                            ;   in Loop: Header=BB310_13 Depth=1
	s_or_b64 exec, exec, s[38:39]
.LBB310_615:                            ;   in Loop: Header=BB310_13 Depth=1
	s_or_b64 exec, exec, s[36:37]
.LBB310_616:                            ;   in Loop: Header=BB310_13 Depth=1
	s_or_b64 exec, exec, s[34:35]
	v_add_co_u32_e32 v14, vcc, 0x1800, v34
	v_addc_co_u32_e32 v15, vcc, 0, v35, vcc
	flat_load_dword v36, v[14:15] offset:8
	v_mov_b32_e32 v8, 0
	v_mov_b32_e32 v6, 0
	s_waitcnt vmcnt(0) lgkmcnt(0)
	v_cmp_ne_u16_sdwa vcc, v36, v54 src0_sel:BYTE_0 src1_sel:DWORD
	s_and_saveexec_b64 s[34:35], vcc
	s_cbranch_execz .LBB310_622
; %bb.617:                              ;   in Loop: Header=BB310_13 Depth=1
	v_cmp_ne_u16_sdwa vcc, v36, s41 src0_sel:BYTE_0 src1_sel:DWORD
	v_bfrev_b32_e32 v6, 1
	s_and_saveexec_b64 s[36:37], vcc
	s_cbranch_execz .LBB310_621
; %bb.618:                              ;   in Loop: Header=BB310_13 Depth=1
	v_and_b32_e32 v11, 0x7f, v36
	v_cmp_ne_u32_e32 vcc, s42, v11
	v_mov_b32_e32 v6, 0x7fc02000
	s_and_saveexec_b64 s[38:39], vcc
	s_cbranch_execz .LBB310_620
; %bb.619:                              ;   in Loop: Header=BB310_13 Depth=1
	v_and_b32_e32 v6, 7, v36
	v_lshrrev_b32_e32 v13, 3, v11
	v_cmp_gt_u32_e32 vcc, 8, v11
	v_ffbh_u32_e32 v11, v6
	v_min_u32_e32 v11, 32, v11
	v_subrev_u32_e32 v14, 28, v11
	v_lshlrev_b64 v[14:15], v14, v[36:37]
	v_sub_u32_e32 v11, 29, v11
	v_and_b32_e32 v14, 7, v14
	v_cndmask_b32_e32 v11, v13, v11, vcc
	v_cndmask_b32_e32 v6, v6, v14, vcc
	v_mov_b32_e32 v14, 0x2000
	v_lshlrev_b32_e32 v13, 8, v36
	v_lshl_add_u32 v11, v11, 10, v14
	v_and_or_b32 v11, v13, s43, v11
	v_lshl_or_b32 v6, v6, 7, v11
	v_cvt_f32_f16_e32 v6, v6
.LBB310_620:                            ;   in Loop: Header=BB310_13 Depth=1
	s_or_b64 exec, exec, s[38:39]
.LBB310_621:                            ;   in Loop: Header=BB310_13 Depth=1
	s_or_b64 exec, exec, s[36:37]
.LBB310_622:                            ;   in Loop: Header=BB310_13 Depth=1
	s_or_b64 exec, exec, s[34:35]
	v_lshrrev_b16_e32 v38, 8, v36
	v_cmp_ne_u16_e32 vcc, 0, v38
	s_and_saveexec_b64 s[34:35], vcc
	s_cbranch_execz .LBB310_628
; %bb.623:                              ;   in Loop: Header=BB310_13 Depth=1
	v_cmp_ne_u16_e32 vcc, s41, v38
	v_bfrev_b32_e32 v8, 1
	s_and_saveexec_b64 s[36:37], vcc
	s_cbranch_execz .LBB310_627
; %bb.624:                              ;   in Loop: Header=BB310_13 Depth=1
	v_and_b32_e32 v11, 0x7f, v38
	v_cmp_ne_u32_e32 vcc, s42, v11
	v_mov_b32_e32 v8, 0x7fc02000
	s_and_saveexec_b64 s[38:39], vcc
	s_cbranch_execz .LBB310_626
; %bb.625:                              ;   in Loop: Header=BB310_13 Depth=1
	v_and_b32_e32 v8, 7, v38
	v_lshrrev_b32_e32 v13, 3, v11
	v_cmp_gt_u32_e32 vcc, 8, v11
	v_ffbh_u32_e32 v11, v8
	v_min_u32_e32 v11, 32, v11
	v_subrev_u32_e32 v14, 28, v11
	v_lshlrev_b64 v[14:15], v14, v[38:39]
	v_sub_u32_e32 v11, 29, v11
	v_and_b32_e32 v14, 7, v14
	v_cndmask_b32_e32 v11, v13, v11, vcc
	v_cndmask_b32_e32 v8, v8, v14, vcc
	v_mov_b32_e32 v14, 0x2000
	v_lshlrev_b32_e32 v13, 8, v38
	v_lshl_add_u32 v11, v11, 10, v14
	v_and_or_b32 v11, v13, s43, v11
	v_lshl_or_b32 v8, v8, 7, v11
	v_cvt_f32_f16_e32 v8, v8
.LBB310_626:                            ;   in Loop: Header=BB310_13 Depth=1
	s_or_b64 exec, exec, s[38:39]
.LBB310_627:                            ;   in Loop: Header=BB310_13 Depth=1
	s_or_b64 exec, exec, s[36:37]
.LBB310_628:                            ;   in Loop: Header=BB310_13 Depth=1
	s_or_b64 exec, exec, s[34:35]
	v_lshrrev_b32_e32 v38, 16, v36
	v_cmp_ne_u16_sdwa vcc, v38, v54 src0_sel:BYTE_0 src1_sel:DWORD
	v_mov_b32_e32 v22, 0
	v_mov_b32_e32 v59, 0
	s_and_saveexec_b64 s[34:35], vcc
	s_cbranch_execz .LBB310_634
; %bb.629:                              ;   in Loop: Header=BB310_13 Depth=1
	v_cmp_ne_u16_sdwa vcc, v38, s41 src0_sel:BYTE_0 src1_sel:DWORD
	v_bfrev_b32_e32 v59, 1
	s_and_saveexec_b64 s[36:37], vcc
	s_cbranch_execz .LBB310_633
; %bb.630:                              ;   in Loop: Header=BB310_13 Depth=1
	v_bfe_u32 v11, v36, 16, 7
	v_cmp_ne_u32_e32 vcc, s42, v11
	v_mov_b32_e32 v59, 0x7fc02000
	s_and_saveexec_b64 s[38:39], vcc
	s_cbranch_execz .LBB310_632
; %bb.631:                              ;   in Loop: Header=BB310_13 Depth=1
	v_and_b32_e32 v13, 7, v38
	v_lshrrev_b32_e32 v16, 3, v11
	v_cmp_gt_u32_e32 vcc, 8, v11
	v_ffbh_u32_e32 v11, v13
	v_min_u32_e32 v11, 32, v11
	v_subrev_u32_e32 v14, 28, v11
	v_lshlrev_b64 v[14:15], v14, v[38:39]
	v_sub_u32_e32 v11, 29, v11
	v_and_b32_e32 v14, 7, v14
	v_cndmask_b32_e32 v11, v16, v11, vcc
	v_mov_b32_e32 v15, 0x2000
	v_cndmask_b32_e32 v13, v13, v14, vcc
	v_lshlrev_b32_e32 v14, 8, v38
	v_lshl_add_u32 v11, v11, 10, v15
	v_and_or_b32 v11, v14, s43, v11
	v_lshl_or_b32 v11, v13, 7, v11
	v_cvt_f32_f16_e32 v59, v11
.LBB310_632:                            ;   in Loop: Header=BB310_13 Depth=1
	s_or_b64 exec, exec, s[38:39]
.LBB310_633:                            ;   in Loop: Header=BB310_13 Depth=1
	s_or_b64 exec, exec, s[36:37]
.LBB310_634:                            ;   in Loop: Header=BB310_13 Depth=1
	s_or_b64 exec, exec, s[34:35]
	v_cmp_lt_u32_e32 vcc, s44, v36
	s_and_saveexec_b64 s[34:35], vcc
	s_cbranch_execz .LBB310_640
; %bb.635:                              ;   in Loop: Header=BB310_13 Depth=1
	v_lshrrev_b32_e32 v36, 24, v36
	v_cmp_ne_u32_e32 vcc, s41, v36
	v_bfrev_b32_e32 v22, 1
	s_and_saveexec_b64 s[36:37], vcc
	s_cbranch_execz .LBB310_639
; %bb.636:                              ;   in Loop: Header=BB310_13 Depth=1
	v_and_b32_e32 v11, 0x7f, v36
	v_cmp_ne_u32_e32 vcc, s42, v11
	v_mov_b32_e32 v22, 0x7fc02000
	s_and_saveexec_b64 s[38:39], vcc
	s_cbranch_execz .LBB310_638
; %bb.637:                              ;   in Loop: Header=BB310_13 Depth=1
	v_and_b32_e32 v13, 7, v36
	v_lshrrev_b32_e32 v16, 3, v11
	v_cmp_gt_u32_e32 vcc, 8, v11
	v_ffbh_u32_e32 v11, v13
	v_min_u32_e32 v11, 32, v11
	v_subrev_u32_e32 v14, 28, v11
	v_lshlrev_b64 v[14:15], v14, v[36:37]
	v_sub_u32_e32 v11, 29, v11
	v_and_b32_e32 v14, 7, v14
	v_cndmask_b32_e32 v11, v16, v11, vcc
	v_mov_b32_e32 v15, 0x2000
	v_cndmask_b32_e32 v13, v13, v14, vcc
	v_lshlrev_b32_e32 v14, 8, v36
	v_lshl_add_u32 v11, v11, 10, v15
	v_and_or_b32 v11, v14, s43, v11
	v_lshl_or_b32 v11, v13, 7, v11
	v_cvt_f32_f16_e32 v22, v11
.LBB310_638:                            ;   in Loop: Header=BB310_13 Depth=1
	s_or_b64 exec, exec, s[38:39]
.LBB310_639:                            ;   in Loop: Header=BB310_13 Depth=1
	s_or_b64 exec, exec, s[36:37]
.LBB310_640:                            ;   in Loop: Header=BB310_13 Depth=1
	s_or_b64 exec, exec, s[34:35]
	v_add_co_u32_e32 v14, vcc, 0x1000, v34
	v_addc_co_u32_e32 v15, vcc, 0, v35, vcc
	flat_load_dword v36, v[14:15] offset:2560
	v_mov_b32_e32 v11, 0
	v_mov_b32_e32 v13, 0
	s_waitcnt vmcnt(0) lgkmcnt(0)
	v_cmp_ne_u16_sdwa vcc, v36, v54 src0_sel:BYTE_0 src1_sel:DWORD
	s_and_saveexec_b64 s[34:35], vcc
	s_cbranch_execz .LBB310_646
; %bb.641:                              ;   in Loop: Header=BB310_13 Depth=1
	v_cmp_ne_u16_sdwa vcc, v36, s41 src0_sel:BYTE_0 src1_sel:DWORD
	v_bfrev_b32_e32 v13, 1
	s_and_saveexec_b64 s[36:37], vcc
	s_cbranch_execz .LBB310_645
; %bb.642:                              ;   in Loop: Header=BB310_13 Depth=1
	v_and_b32_e32 v14, 0x7f, v36
	v_cmp_ne_u32_e32 vcc, s42, v14
	v_mov_b32_e32 v13, 0x7fc02000
	s_and_saveexec_b64 s[38:39], vcc
	s_cbranch_execz .LBB310_644
; %bb.643:                              ;   in Loop: Header=BB310_13 Depth=1
	v_and_b32_e32 v13, 7, v36
	v_lshrrev_b32_e32 v16, 3, v14
	v_cmp_gt_u32_e32 vcc, 8, v14
	v_ffbh_u32_e32 v14, v13
	v_min_u32_e32 v18, 32, v14
	v_subrev_u32_e32 v14, 28, v18
	v_lshlrev_b64 v[14:15], v14, v[36:37]
	v_sub_u32_e32 v15, 29, v18
	v_and_b32_e32 v14, 7, v14
	v_cndmask_b32_e32 v15, v16, v15, vcc
	v_mov_b32_e32 v16, 0x2000
	v_cndmask_b32_e32 v13, v13, v14, vcc
	v_lshlrev_b32_e32 v14, 8, v36
	v_lshl_add_u32 v15, v15, 10, v16
	v_and_or_b32 v14, v14, s43, v15
	v_lshl_or_b32 v13, v13, 7, v14
	v_cvt_f32_f16_e32 v13, v13
.LBB310_644:                            ;   in Loop: Header=BB310_13 Depth=1
	s_or_b64 exec, exec, s[38:39]
.LBB310_645:                            ;   in Loop: Header=BB310_13 Depth=1
	s_or_b64 exec, exec, s[36:37]
.LBB310_646:                            ;   in Loop: Header=BB310_13 Depth=1
	s_or_b64 exec, exec, s[34:35]
	v_lshrrev_b16_e32 v38, 8, v36
	v_cmp_ne_u16_e32 vcc, 0, v38
	s_and_saveexec_b64 s[34:35], vcc
	s_cbranch_execz .LBB310_652
; %bb.647:                              ;   in Loop: Header=BB310_13 Depth=1
	v_cmp_ne_u16_e32 vcc, s41, v38
	v_bfrev_b32_e32 v11, 1
	s_and_saveexec_b64 s[36:37], vcc
	s_cbranch_execz .LBB310_651
; %bb.648:                              ;   in Loop: Header=BB310_13 Depth=1
	v_and_b32_e32 v14, 0x7f, v38
	v_cmp_ne_u32_e32 vcc, s42, v14
	v_mov_b32_e32 v11, 0x7fc02000
	s_and_saveexec_b64 s[38:39], vcc
	s_cbranch_execz .LBB310_650
; %bb.649:                              ;   in Loop: Header=BB310_13 Depth=1
	v_and_b32_e32 v11, 7, v38
	v_lshrrev_b32_e32 v16, 3, v14
	v_cmp_gt_u32_e32 vcc, 8, v14
	v_ffbh_u32_e32 v14, v11
	v_min_u32_e32 v18, 32, v14
	v_subrev_u32_e32 v14, 28, v18
	v_lshlrev_b64 v[14:15], v14, v[38:39]
	v_sub_u32_e32 v15, 29, v18
	v_and_b32_e32 v14, 7, v14
	v_cndmask_b32_e32 v15, v16, v15, vcc
	v_mov_b32_e32 v16, 0x2000
	v_cndmask_b32_e32 v11, v11, v14, vcc
	v_lshlrev_b32_e32 v14, 8, v38
	v_lshl_add_u32 v15, v15, 10, v16
	v_and_or_b32 v14, v14, s43, v15
	v_lshl_or_b32 v11, v11, 7, v14
	v_cvt_f32_f16_e32 v11, v11
.LBB310_650:                            ;   in Loop: Header=BB310_13 Depth=1
	s_or_b64 exec, exec, s[38:39]
.LBB310_651:                            ;   in Loop: Header=BB310_13 Depth=1
	s_or_b64 exec, exec, s[36:37]
.LBB310_652:                            ;   in Loop: Header=BB310_13 Depth=1
	s_or_b64 exec, exec, s[34:35]
	v_lshrrev_b32_e32 v38, 16, v36
	v_cmp_ne_u16_sdwa vcc, v38, v54 src0_sel:BYTE_0 src1_sel:DWORD
	v_mov_b32_e32 v14, 0
	v_mov_b32_e32 v15, 0
	s_and_saveexec_b64 s[34:35], vcc
	s_cbranch_execz .LBB310_658
; %bb.653:                              ;   in Loop: Header=BB310_13 Depth=1
	v_cmp_ne_u16_sdwa vcc, v38, s41 src0_sel:BYTE_0 src1_sel:DWORD
	v_bfrev_b32_e32 v15, 1
	s_and_saveexec_b64 s[36:37], vcc
	s_cbranch_execz .LBB310_657
; %bb.654:                              ;   in Loop: Header=BB310_13 Depth=1
	v_bfe_u32 v16, v36, 16, 7
	v_cmp_ne_u32_e32 vcc, s42, v16
	v_mov_b32_e32 v15, 0x7fc02000
	s_and_saveexec_b64 s[38:39], vcc
	s_cbranch_execz .LBB310_656
; %bb.655:                              ;   in Loop: Header=BB310_13 Depth=1
	v_and_b32_e32 v15, 7, v38
	v_lshrrev_b32_e32 v18, 3, v16
	v_cmp_gt_u32_e32 vcc, 8, v16
	v_ffbh_u32_e32 v16, v15
	v_min_u32_e32 v16, 32, v16
	v_subrev_u32_e32 v25, 28, v16
	v_sub_u32_e32 v16, 29, v16
	v_lshlrev_b64 v[26:27], v25, v[38:39]
	v_cndmask_b32_e32 v16, v18, v16, vcc
	v_mov_b32_e32 v23, 0x2000
	v_and_b32_e32 v25, 7, v26
	v_lshlrev_b32_e32 v18, 8, v38
	v_lshl_add_u32 v16, v16, 10, v23
	v_cndmask_b32_e32 v15, v15, v25, vcc
	v_and_or_b32 v16, v18, s43, v16
	v_lshl_or_b32 v15, v15, 7, v16
	v_cvt_f32_f16_e32 v15, v15
.LBB310_656:                            ;   in Loop: Header=BB310_13 Depth=1
	s_or_b64 exec, exec, s[38:39]
.LBB310_657:                            ;   in Loop: Header=BB310_13 Depth=1
	s_or_b64 exec, exec, s[36:37]
.LBB310_658:                            ;   in Loop: Header=BB310_13 Depth=1
	s_or_b64 exec, exec, s[34:35]
	v_cmp_lt_u32_e32 vcc, s44, v36
	s_and_saveexec_b64 s[34:35], vcc
	s_cbranch_execz .LBB310_664
; %bb.659:                              ;   in Loop: Header=BB310_13 Depth=1
	v_lshrrev_b32_e32 v36, 24, v36
	v_cmp_ne_u32_e32 vcc, s41, v36
	v_bfrev_b32_e32 v14, 1
	s_and_saveexec_b64 s[36:37], vcc
	s_cbranch_execz .LBB310_663
; %bb.660:                              ;   in Loop: Header=BB310_13 Depth=1
	v_and_b32_e32 v16, 0x7f, v36
	v_cmp_ne_u32_e32 vcc, s42, v16
	v_mov_b32_e32 v14, 0x7fc02000
	s_and_saveexec_b64 s[38:39], vcc
	s_cbranch_execz .LBB310_662
; %bb.661:                              ;   in Loop: Header=BB310_13 Depth=1
	v_and_b32_e32 v14, 7, v36
	v_lshrrev_b32_e32 v18, 3, v16
	v_cmp_gt_u32_e32 vcc, 8, v16
	v_ffbh_u32_e32 v16, v14
	v_min_u32_e32 v16, 32, v16
	v_subrev_u32_e32 v25, 28, v16
	v_sub_u32_e32 v16, 29, v16
	v_lshlrev_b64 v[26:27], v25, v[36:37]
	v_cndmask_b32_e32 v16, v18, v16, vcc
	v_mov_b32_e32 v23, 0x2000
	v_and_b32_e32 v25, 7, v26
	v_lshlrev_b32_e32 v18, 8, v36
	v_lshl_add_u32 v16, v16, 10, v23
	v_cndmask_b32_e32 v14, v14, v25, vcc
	v_and_or_b32 v16, v18, s43, v16
	v_lshl_or_b32 v14, v14, 7, v16
	v_cvt_f32_f16_e32 v14, v14
.LBB310_662:                            ;   in Loop: Header=BB310_13 Depth=1
	s_or_b64 exec, exec, s[38:39]
.LBB310_663:                            ;   in Loop: Header=BB310_13 Depth=1
	s_or_b64 exec, exec, s[36:37]
.LBB310_664:                            ;   in Loop: Header=BB310_13 Depth=1
	s_or_b64 exec, exec, s[34:35]
	v_add_co_u32_e32 v26, vcc, 0x1a00, v34
	v_addc_co_u32_e32 v27, vcc, 0, v35, vcc
	flat_load_dword v36, v[26:27] offset:8
	v_mov_b32_e32 v25, 0
	v_mov_b32_e32 v26, 0
	s_waitcnt vmcnt(0) lgkmcnt(0)
	v_cmp_ne_u16_sdwa vcc, v36, v54 src0_sel:BYTE_0 src1_sel:DWORD
	s_and_saveexec_b64 s[34:35], vcc
	s_cbranch_execz .LBB310_670
; %bb.665:                              ;   in Loop: Header=BB310_13 Depth=1
	v_cmp_ne_u16_sdwa vcc, v36, s41 src0_sel:BYTE_0 src1_sel:DWORD
	v_bfrev_b32_e32 v26, 1
	s_and_saveexec_b64 s[36:37], vcc
	s_cbranch_execz .LBB310_669
; %bb.666:                              ;   in Loop: Header=BB310_13 Depth=1
	v_and_b32_e32 v16, 0x7f, v36
	v_cmp_ne_u32_e32 vcc, s42, v16
	v_mov_b32_e32 v26, 0x7fc02000
	s_and_saveexec_b64 s[38:39], vcc
	s_cbranch_execz .LBB310_668
; %bb.667:                              ;   in Loop: Header=BB310_13 Depth=1
	v_and_b32_e32 v18, 7, v36
	v_lshrrev_b32_e32 v28, 3, v16
	v_cmp_gt_u32_e32 vcc, 8, v16
	v_ffbh_u32_e32 v16, v18
	v_min_u32_e32 v16, 32, v16
	v_subrev_u32_e32 v26, 28, v16
	v_lshlrev_b64 v[26:27], v26, v[36:37]
	v_sub_u32_e32 v16, 29, v16
	v_and_b32_e32 v26, 7, v26
	v_cndmask_b32_e32 v16, v28, v16, vcc
	v_mov_b32_e32 v23, 0x2000
	v_cndmask_b32_e32 v18, v18, v26, vcc
	v_lshlrev_b32_e32 v26, 8, v36
	v_lshl_add_u32 v16, v16, 10, v23
	v_and_or_b32 v16, v26, s43, v16
	v_lshl_or_b32 v16, v18, 7, v16
	v_cvt_f32_f16_e32 v26, v16
.LBB310_668:                            ;   in Loop: Header=BB310_13 Depth=1
	s_or_b64 exec, exec, s[38:39]
.LBB310_669:                            ;   in Loop: Header=BB310_13 Depth=1
	s_or_b64 exec, exec, s[36:37]
.LBB310_670:                            ;   in Loop: Header=BB310_13 Depth=1
	s_or_b64 exec, exec, s[34:35]
	v_lshrrev_b16_e32 v38, 8, v36
	v_cmp_ne_u16_e32 vcc, 0, v38
	s_and_saveexec_b64 s[34:35], vcc
	s_cbranch_execz .LBB310_676
; %bb.671:                              ;   in Loop: Header=BB310_13 Depth=1
	v_cmp_ne_u16_e32 vcc, s41, v38
	v_bfrev_b32_e32 v25, 1
	s_and_saveexec_b64 s[36:37], vcc
	s_cbranch_execz .LBB310_675
; %bb.672:                              ;   in Loop: Header=BB310_13 Depth=1
	v_and_b32_e32 v16, 0x7f, v38
	v_cmp_ne_u32_e32 vcc, s42, v16
	v_mov_b32_e32 v25, 0x7fc02000
	s_and_saveexec_b64 s[38:39], vcc
	s_cbranch_execz .LBB310_674
; %bb.673:                              ;   in Loop: Header=BB310_13 Depth=1
	v_and_b32_e32 v18, 7, v38
	v_lshrrev_b32_e32 v25, 3, v16
	v_cmp_gt_u32_e32 vcc, 8, v16
	v_ffbh_u32_e32 v16, v18
	v_min_u32_e32 v16, 32, v16
	v_subrev_u32_e32 v27, 28, v16
	v_sub_u32_e32 v16, 29, v16
	v_lshlrev_b64 v[52:53], v27, v[38:39]
	v_cndmask_b32_e32 v16, v25, v16, vcc
	v_mov_b32_e32 v23, 0x2000
	v_and_b32_e32 v27, 7, v52
	v_lshlrev_b32_e32 v25, 8, v38
	v_lshl_add_u32 v16, v16, 10, v23
	v_cndmask_b32_e32 v18, v18, v27, vcc
	v_and_or_b32 v16, v25, s43, v16
	v_lshl_or_b32 v16, v18, 7, v16
	v_cvt_f32_f16_e32 v25, v16
.LBB310_674:                            ;   in Loop: Header=BB310_13 Depth=1
	s_or_b64 exec, exec, s[38:39]
.LBB310_675:                            ;   in Loop: Header=BB310_13 Depth=1
	s_or_b64 exec, exec, s[36:37]
.LBB310_676:                            ;   in Loop: Header=BB310_13 Depth=1
	s_or_b64 exec, exec, s[34:35]
	v_lshrrev_b32_e32 v38, 16, v36
	v_cmp_ne_u16_sdwa vcc, v38, v54 src0_sel:BYTE_0 src1_sel:DWORD
	v_mov_b32_e32 v49, 0
	v_mov_b32_e32 v51, 0
	s_and_saveexec_b64 s[34:35], vcc
	s_cbranch_execz .LBB310_682
; %bb.677:                              ;   in Loop: Header=BB310_13 Depth=1
	v_cmp_ne_u16_sdwa vcc, v38, s41 src0_sel:BYTE_0 src1_sel:DWORD
	v_bfrev_b32_e32 v51, 1
	s_and_saveexec_b64 s[36:37], vcc
	s_cbranch_execz .LBB310_681
; %bb.678:                              ;   in Loop: Header=BB310_13 Depth=1
	v_bfe_u32 v16, v36, 16, 7
	v_cmp_ne_u32_e32 vcc, s42, v16
	v_mov_b32_e32 v51, 0x7fc02000
	s_and_saveexec_b64 s[38:39], vcc
	s_cbranch_execz .LBB310_680
; %bb.679:                              ;   in Loop: Header=BB310_13 Depth=1
	v_and_b32_e32 v18, 7, v38
	v_lshrrev_b32_e32 v27, 3, v16
	v_cmp_gt_u32_e32 vcc, 8, v16
	v_ffbh_u32_e32 v16, v18
	v_min_u32_e32 v16, 32, v16
	v_subrev_u32_e32 v28, 28, v16
	v_sub_u32_e32 v16, 29, v16
	v_lshlrev_b64 v[52:53], v28, v[38:39]
	v_cndmask_b32_e32 v16, v27, v16, vcc
	v_mov_b32_e32 v23, 0x2000
	v_and_b32_e32 v28, 7, v52
	v_lshlrev_b32_e32 v27, 8, v38
	v_lshl_add_u32 v16, v16, 10, v23
	v_cndmask_b32_e32 v18, v18, v28, vcc
	v_and_or_b32 v16, v27, s43, v16
	v_lshl_or_b32 v16, v18, 7, v16
	v_cvt_f32_f16_e32 v51, v16
.LBB310_680:                            ;   in Loop: Header=BB310_13 Depth=1
	s_or_b64 exec, exec, s[38:39]
.LBB310_681:                            ;   in Loop: Header=BB310_13 Depth=1
	s_or_b64 exec, exec, s[36:37]
.LBB310_682:                            ;   in Loop: Header=BB310_13 Depth=1
	s_or_b64 exec, exec, s[34:35]
	v_cmp_lt_u32_e32 vcc, s44, v36
	s_and_saveexec_b64 s[34:35], vcc
	s_cbranch_execz .LBB310_688
; %bb.683:                              ;   in Loop: Header=BB310_13 Depth=1
	v_lshrrev_b32_e32 v36, 24, v36
	v_cmp_ne_u32_e32 vcc, s41, v36
	v_bfrev_b32_e32 v49, 1
	s_and_saveexec_b64 s[36:37], vcc
	s_cbranch_execz .LBB310_687
; %bb.684:                              ;   in Loop: Header=BB310_13 Depth=1
	v_and_b32_e32 v16, 0x7f, v36
	v_cmp_ne_u32_e32 vcc, s42, v16
	v_mov_b32_e32 v49, 0x7fc02000
	s_and_saveexec_b64 s[38:39], vcc
	s_cbranch_execz .LBB310_686
; %bb.685:                              ;   in Loop: Header=BB310_13 Depth=1
	v_and_b32_e32 v18, 7, v36
	v_lshrrev_b32_e32 v27, 3, v16
	v_cmp_gt_u32_e32 vcc, 8, v16
	v_ffbh_u32_e32 v16, v18
	v_min_u32_e32 v16, 32, v16
	v_subrev_u32_e32 v28, 28, v16
	v_sub_u32_e32 v16, 29, v16
	v_lshlrev_b64 v[52:53], v28, v[36:37]
	v_cndmask_b32_e32 v16, v27, v16, vcc
	v_mov_b32_e32 v23, 0x2000
	v_and_b32_e32 v28, 7, v52
	v_lshlrev_b32_e32 v27, 8, v36
	v_lshl_add_u32 v16, v16, 10, v23
	v_cndmask_b32_e32 v18, v18, v28, vcc
	v_and_or_b32 v16, v27, s43, v16
	v_lshl_or_b32 v16, v18, 7, v16
	v_cvt_f32_f16_e32 v49, v16
.LBB310_686:                            ;   in Loop: Header=BB310_13 Depth=1
	s_or_b64 exec, exec, s[38:39]
.LBB310_687:                            ;   in Loop: Header=BB310_13 Depth=1
	s_or_b64 exec, exec, s[36:37]
.LBB310_688:                            ;   in Loop: Header=BB310_13 Depth=1
	s_or_b64 exec, exec, s[34:35]
	v_add_co_u32_e32 v52, vcc, 0x1000, v34
	v_addc_co_u32_e32 v53, vcc, 0, v35, vcc
	flat_load_dword v36, v[52:53] offset:3072
	v_mov_b32_e32 v52, 0
	v_mov_b32_e32 v53, 0
	s_waitcnt vmcnt(0) lgkmcnt(0)
	v_cmp_ne_u16_sdwa vcc, v36, v54 src0_sel:BYTE_0 src1_sel:DWORD
	s_and_saveexec_b64 s[34:35], vcc
	s_cbranch_execz .LBB310_694
; %bb.689:                              ;   in Loop: Header=BB310_13 Depth=1
	v_cmp_ne_u16_sdwa vcc, v36, s41 src0_sel:BYTE_0 src1_sel:DWORD
	v_bfrev_b32_e32 v53, 1
	s_and_saveexec_b64 s[36:37], vcc
	s_cbranch_execz .LBB310_693
; %bb.690:                              ;   in Loop: Header=BB310_13 Depth=1
	v_and_b32_e32 v16, 0x7f, v36
	v_cmp_ne_u32_e32 vcc, s42, v16
	v_mov_b32_e32 v53, 0x7fc02000
	s_and_saveexec_b64 s[38:39], vcc
	s_cbranch_execz .LBB310_692
; %bb.691:                              ;   in Loop: Header=BB310_13 Depth=1
	v_and_b32_e32 v18, 7, v36
	v_lshrrev_b32_e32 v27, 3, v16
	v_cmp_gt_u32_e32 vcc, 8, v16
	v_ffbh_u32_e32 v16, v18
	v_min_u32_e32 v16, 32, v16
	v_subrev_u32_e32 v28, 28, v16
	v_sub_u32_e32 v16, 29, v16
	v_lshlrev_b64 v[46:47], v28, v[36:37]
	v_cndmask_b32_e32 v16, v27, v16, vcc
	v_mov_b32_e32 v23, 0x2000
	v_and_b32_e32 v28, 7, v46
	v_lshlrev_b32_e32 v27, 8, v36
	v_lshl_add_u32 v16, v16, 10, v23
	v_cndmask_b32_e32 v18, v18, v28, vcc
	v_and_or_b32 v16, v27, s43, v16
	v_lshl_or_b32 v16, v18, 7, v16
	v_cvt_f32_f16_e32 v53, v16
.LBB310_692:                            ;   in Loop: Header=BB310_13 Depth=1
	s_or_b64 exec, exec, s[38:39]
.LBB310_693:                            ;   in Loop: Header=BB310_13 Depth=1
	s_or_b64 exec, exec, s[36:37]
.LBB310_694:                            ;   in Loop: Header=BB310_13 Depth=1
	s_or_b64 exec, exec, s[34:35]
	v_lshrrev_b16_e32 v38, 8, v36
	v_cmp_ne_u16_e32 vcc, 0, v38
	s_and_saveexec_b64 s[34:35], vcc
	s_cbranch_execz .LBB310_700
; %bb.695:                              ;   in Loop: Header=BB310_13 Depth=1
	v_cmp_ne_u16_e32 vcc, s41, v38
	v_bfrev_b32_e32 v52, 1
	s_and_saveexec_b64 s[36:37], vcc
	s_cbranch_execz .LBB310_699
; %bb.696:                              ;   in Loop: Header=BB310_13 Depth=1
	v_and_b32_e32 v16, 0x7f, v38
	v_cmp_ne_u32_e32 vcc, s42, v16
	v_mov_b32_e32 v52, 0x7fc02000
	s_and_saveexec_b64 s[38:39], vcc
	s_cbranch_execz .LBB310_698
; %bb.697:                              ;   in Loop: Header=BB310_13 Depth=1
	v_and_b32_e32 v18, 7, v38
	v_lshrrev_b32_e32 v27, 3, v16
	v_cmp_gt_u32_e32 vcc, 8, v16
	v_ffbh_u32_e32 v16, v18
	v_min_u32_e32 v16, 32, v16
	v_subrev_u32_e32 v28, 28, v16
	v_sub_u32_e32 v16, 29, v16
	v_lshlrev_b64 v[46:47], v28, v[38:39]
	v_cndmask_b32_e32 v16, v27, v16, vcc
	v_mov_b32_e32 v23, 0x2000
	v_and_b32_e32 v28, 7, v46
	v_lshlrev_b32_e32 v27, 8, v38
	v_lshl_add_u32 v16, v16, 10, v23
	v_cndmask_b32_e32 v18, v18, v28, vcc
	v_and_or_b32 v16, v27, s43, v16
	v_lshl_or_b32 v16, v18, 7, v16
	v_cvt_f32_f16_e32 v52, v16
.LBB310_698:                            ;   in Loop: Header=BB310_13 Depth=1
	s_or_b64 exec, exec, s[38:39]
.LBB310_699:                            ;   in Loop: Header=BB310_13 Depth=1
	s_or_b64 exec, exec, s[36:37]
.LBB310_700:                            ;   in Loop: Header=BB310_13 Depth=1
	s_or_b64 exec, exec, s[34:35]
	v_lshrrev_b32_e32 v38, 16, v36
	v_cmp_ne_u16_sdwa vcc, v38, v54 src0_sel:BYTE_0 src1_sel:DWORD
	v_mov_b32_e32 v55, 0
	v_mov_b32_e32 v44, 0
	s_and_saveexec_b64 s[34:35], vcc
	s_cbranch_execz .LBB310_706
; %bb.701:                              ;   in Loop: Header=BB310_13 Depth=1
	v_cmp_ne_u16_sdwa vcc, v38, s41 src0_sel:BYTE_0 src1_sel:DWORD
	v_bfrev_b32_e32 v44, 1
	s_and_saveexec_b64 s[36:37], vcc
	s_cbranch_execz .LBB310_705
; %bb.702:                              ;   in Loop: Header=BB310_13 Depth=1
	v_bfe_u32 v16, v36, 16, 7
	v_cmp_ne_u32_e32 vcc, s42, v16
	v_mov_b32_e32 v44, 0x7fc02000
	s_and_saveexec_b64 s[38:39], vcc
	s_cbranch_execz .LBB310_704
; %bb.703:                              ;   in Loop: Header=BB310_13 Depth=1
	v_and_b32_e32 v18, 7, v38
	v_lshrrev_b32_e32 v27, 3, v16
	v_cmp_gt_u32_e32 vcc, 8, v16
	v_ffbh_u32_e32 v16, v18
	v_min_u32_e32 v16, 32, v16
	v_subrev_u32_e32 v28, 28, v16
	v_sub_u32_e32 v16, 29, v16
	v_lshlrev_b64 v[46:47], v28, v[38:39]
	v_cndmask_b32_e32 v16, v27, v16, vcc
	v_mov_b32_e32 v23, 0x2000
	v_and_b32_e32 v28, 7, v46
	v_lshlrev_b32_e32 v27, 8, v38
	v_lshl_add_u32 v16, v16, 10, v23
	v_cndmask_b32_e32 v18, v18, v28, vcc
	v_and_or_b32 v16, v27, s43, v16
	v_lshl_or_b32 v16, v18, 7, v16
	v_cvt_f32_f16_e32 v44, v16
.LBB310_704:                            ;   in Loop: Header=BB310_13 Depth=1
	s_or_b64 exec, exec, s[38:39]
.LBB310_705:                            ;   in Loop: Header=BB310_13 Depth=1
	s_or_b64 exec, exec, s[36:37]
.LBB310_706:                            ;   in Loop: Header=BB310_13 Depth=1
	s_or_b64 exec, exec, s[34:35]
	v_cmp_lt_u32_e32 vcc, s44, v36
	s_and_saveexec_b64 s[34:35], vcc
	s_cbranch_execz .LBB310_712
; %bb.707:                              ;   in Loop: Header=BB310_13 Depth=1
	v_lshrrev_b32_e32 v36, 24, v36
	v_cmp_ne_u32_e32 vcc, s41, v36
	v_bfrev_b32_e32 v55, 1
	s_and_saveexec_b64 s[36:37], vcc
	s_cbranch_execz .LBB310_711
; %bb.708:                              ;   in Loop: Header=BB310_13 Depth=1
	v_and_b32_e32 v16, 0x7f, v36
	v_cmp_ne_u32_e32 vcc, s42, v16
	v_mov_b32_e32 v55, 0x7fc02000
	s_and_saveexec_b64 s[38:39], vcc
	s_cbranch_execz .LBB310_710
; %bb.709:                              ;   in Loop: Header=BB310_13 Depth=1
	v_and_b32_e32 v18, 7, v36
	v_lshrrev_b32_e32 v27, 3, v16
	v_cmp_gt_u32_e32 vcc, 8, v16
	v_ffbh_u32_e32 v16, v18
	v_min_u32_e32 v16, 32, v16
	v_subrev_u32_e32 v28, 28, v16
	v_sub_u32_e32 v16, 29, v16
	v_lshlrev_b64 v[46:47], v28, v[36:37]
	v_cndmask_b32_e32 v16, v27, v16, vcc
	v_mov_b32_e32 v23, 0x2000
	v_and_b32_e32 v28, 7, v46
	v_lshlrev_b32_e32 v27, 8, v36
	v_lshl_add_u32 v16, v16, 10, v23
	v_cndmask_b32_e32 v18, v18, v28, vcc
	v_and_or_b32 v16, v27, s43, v16
	v_lshl_or_b32 v16, v18, 7, v16
	v_cvt_f32_f16_e32 v55, v16
.LBB310_710:                            ;   in Loop: Header=BB310_13 Depth=1
	s_or_b64 exec, exec, s[38:39]
.LBB310_711:                            ;   in Loop: Header=BB310_13 Depth=1
	s_or_b64 exec, exec, s[36:37]
.LBB310_712:                            ;   in Loop: Header=BB310_13 Depth=1
	s_or_b64 exec, exec, s[34:35]
	v_add_co_u32_e32 v46, vcc, 0x1c00, v34
	v_addc_co_u32_e32 v47, vcc, 0, v35, vcc
	flat_load_dword v36, v[46:47] offset:8
	v_mov_b32_e32 v42, 0
	v_mov_b32_e32 v46, 0
	s_waitcnt vmcnt(0) lgkmcnt(0)
	v_cmp_ne_u16_sdwa vcc, v36, v54 src0_sel:BYTE_0 src1_sel:DWORD
	s_and_saveexec_b64 s[34:35], vcc
	s_cbranch_execz .LBB310_718
; %bb.713:                              ;   in Loop: Header=BB310_13 Depth=1
	v_cmp_ne_u16_sdwa vcc, v36, s41 src0_sel:BYTE_0 src1_sel:DWORD
	v_bfrev_b32_e32 v46, 1
	s_and_saveexec_b64 s[36:37], vcc
	s_cbranch_execz .LBB310_717
; %bb.714:                              ;   in Loop: Header=BB310_13 Depth=1
	v_and_b32_e32 v16, 0x7f, v36
	v_cmp_ne_u32_e32 vcc, s42, v16
	v_mov_b32_e32 v46, 0x7fc02000
	s_and_saveexec_b64 s[38:39], vcc
	s_cbranch_execz .LBB310_716
; %bb.715:                              ;   in Loop: Header=BB310_13 Depth=1
	v_and_b32_e32 v18, 7, v36
	v_lshrrev_b32_e32 v27, 3, v16
	v_cmp_gt_u32_e32 vcc, 8, v16
	v_ffbh_u32_e32 v16, v18
	v_min_u32_e32 v16, 32, v16
	v_subrev_u32_e32 v28, 28, v16
	v_sub_u32_e32 v16, 29, v16
	v_lshlrev_b64 v[46:47], v28, v[36:37]
	v_cndmask_b32_e32 v16, v27, v16, vcc
	v_mov_b32_e32 v23, 0x2000
	v_and_b32_e32 v28, 7, v46
	v_lshlrev_b32_e32 v27, 8, v36
	v_lshl_add_u32 v16, v16, 10, v23
	v_cndmask_b32_e32 v18, v18, v28, vcc
	v_and_or_b32 v16, v27, s43, v16
	v_lshl_or_b32 v16, v18, 7, v16
	v_cvt_f32_f16_e32 v46, v16
.LBB310_716:                            ;   in Loop: Header=BB310_13 Depth=1
	s_or_b64 exec, exec, s[38:39]
.LBB310_717:                            ;   in Loop: Header=BB310_13 Depth=1
	s_or_b64 exec, exec, s[36:37]
.LBB310_718:                            ;   in Loop: Header=BB310_13 Depth=1
	s_or_b64 exec, exec, s[34:35]
	v_lshrrev_b16_e32 v38, 8, v36
	v_cmp_ne_u16_e32 vcc, 0, v38
	s_and_saveexec_b64 s[34:35], vcc
	s_cbranch_execz .LBB310_724
; %bb.719:                              ;   in Loop: Header=BB310_13 Depth=1
	v_cmp_ne_u16_e32 vcc, s41, v38
	v_bfrev_b32_e32 v42, 1
	s_and_saveexec_b64 s[36:37], vcc
	s_cbranch_execz .LBB310_723
; %bb.720:                              ;   in Loop: Header=BB310_13 Depth=1
	v_and_b32_e32 v16, 0x7f, v38
	v_cmp_ne_u32_e32 vcc, s42, v16
	v_mov_b32_e32 v42, 0x7fc02000
	s_and_saveexec_b64 s[38:39], vcc
	s_cbranch_execz .LBB310_722
; %bb.721:                              ;   in Loop: Header=BB310_13 Depth=1
	v_and_b32_e32 v18, 7, v38
	v_lshrrev_b32_e32 v27, 3, v16
	v_cmp_gt_u32_e32 vcc, 8, v16
	v_ffbh_u32_e32 v16, v18
	v_min_u32_e32 v16, 32, v16
	v_subrev_u32_e32 v28, 28, v16
	v_sub_u32_e32 v16, 29, v16
	v_lshlrev_b64 v[56:57], v28, v[38:39]
	v_cndmask_b32_e32 v16, v27, v16, vcc
	v_mov_b32_e32 v23, 0x2000
	v_and_b32_e32 v28, 7, v56
	v_lshlrev_b32_e32 v27, 8, v38
	v_lshl_add_u32 v16, v16, 10, v23
	v_cndmask_b32_e32 v18, v18, v28, vcc
	v_and_or_b32 v16, v27, s43, v16
	v_lshl_or_b32 v16, v18, 7, v16
	v_cvt_f32_f16_e32 v42, v16
.LBB310_722:                            ;   in Loop: Header=BB310_13 Depth=1
	s_or_b64 exec, exec, s[38:39]
.LBB310_723:                            ;   in Loop: Header=BB310_13 Depth=1
	s_or_b64 exec, exec, s[36:37]
.LBB310_724:                            ;   in Loop: Header=BB310_13 Depth=1
	s_or_b64 exec, exec, s[34:35]
	v_lshrrev_b32_e32 v38, 16, v36
	v_cmp_ne_u16_sdwa vcc, v38, v54 src0_sel:BYTE_0 src1_sel:DWORD
	v_mov_b32_e32 v16, 0
	v_mov_b32_e32 v41, 0
	s_and_saveexec_b64 s[34:35], vcc
	s_cbranch_execz .LBB310_730
; %bb.725:                              ;   in Loop: Header=BB310_13 Depth=1
	v_cmp_ne_u16_sdwa vcc, v38, s41 src0_sel:BYTE_0 src1_sel:DWORD
	v_bfrev_b32_e32 v41, 1
	s_and_saveexec_b64 s[36:37], vcc
	s_cbranch_execz .LBB310_729
; %bb.726:                              ;   in Loop: Header=BB310_13 Depth=1
	v_bfe_u32 v18, v36, 16, 7
	v_cmp_ne_u32_e32 vcc, s42, v18
	v_mov_b32_e32 v41, 0x7fc02000
	s_and_saveexec_b64 s[38:39], vcc
	s_cbranch_execz .LBB310_728
; %bb.727:                              ;   in Loop: Header=BB310_13 Depth=1
	v_and_b32_e32 v27, 7, v38
	v_lshrrev_b32_e32 v28, 3, v18
	v_cmp_gt_u32_e32 vcc, 8, v18
	v_ffbh_u32_e32 v18, v27
	v_min_u32_e32 v18, 32, v18
	v_subrev_u32_e32 v29, 28, v18
	v_sub_u32_e32 v18, 29, v18
	v_lshlrev_b64 v[56:57], v29, v[38:39]
	v_cndmask_b32_e32 v18, v28, v18, vcc
	v_mov_b32_e32 v23, 0x2000
	v_and_b32_e32 v29, 7, v56
	v_lshlrev_b32_e32 v28, 8, v38
	v_lshl_add_u32 v18, v18, 10, v23
	v_cndmask_b32_e32 v27, v27, v29, vcc
	v_and_or_b32 v18, v28, s43, v18
	v_lshl_or_b32 v18, v27, 7, v18
	v_cvt_f32_f16_e32 v41, v18
.LBB310_728:                            ;   in Loop: Header=BB310_13 Depth=1
	s_or_b64 exec, exec, s[38:39]
.LBB310_729:                            ;   in Loop: Header=BB310_13 Depth=1
	s_or_b64 exec, exec, s[36:37]
.LBB310_730:                            ;   in Loop: Header=BB310_13 Depth=1
	s_or_b64 exec, exec, s[34:35]
	v_cmp_lt_u32_e32 vcc, s44, v36
	s_and_saveexec_b64 s[34:35], vcc
	s_cbranch_execz .LBB310_736
; %bb.731:                              ;   in Loop: Header=BB310_13 Depth=1
	v_lshrrev_b32_e32 v36, 24, v36
	v_cmp_ne_u32_e32 vcc, s41, v36
	v_bfrev_b32_e32 v16, 1
	s_and_saveexec_b64 s[36:37], vcc
	s_cbranch_execz .LBB310_735
; %bb.732:                              ;   in Loop: Header=BB310_13 Depth=1
	v_and_b32_e32 v18, 0x7f, v36
	v_cmp_ne_u32_e32 vcc, s42, v18
	v_mov_b32_e32 v16, 0x7fc02000
	s_and_saveexec_b64 s[38:39], vcc
	s_cbranch_execz .LBB310_734
; %bb.733:                              ;   in Loop: Header=BB310_13 Depth=1
	v_and_b32_e32 v16, 7, v36
	v_lshrrev_b32_e32 v27, 3, v18
	v_cmp_gt_u32_e32 vcc, 8, v18
	v_ffbh_u32_e32 v18, v16
	v_min_u32_e32 v18, 32, v18
	v_subrev_u32_e32 v28, 28, v18
	v_sub_u32_e32 v18, 29, v18
	v_lshlrev_b64 v[56:57], v28, v[36:37]
	v_cndmask_b32_e32 v18, v27, v18, vcc
	v_mov_b32_e32 v23, 0x2000
	v_and_b32_e32 v28, 7, v56
	v_lshlrev_b32_e32 v27, 8, v36
	v_lshl_add_u32 v18, v18, 10, v23
	v_cndmask_b32_e32 v16, v16, v28, vcc
	v_and_or_b32 v18, v27, s43, v18
	v_lshl_or_b32 v16, v16, 7, v18
	v_cvt_f32_f16_e32 v16, v16
.LBB310_734:                            ;   in Loop: Header=BB310_13 Depth=1
	s_or_b64 exec, exec, s[38:39]
.LBB310_735:                            ;   in Loop: Header=BB310_13 Depth=1
	s_or_b64 exec, exec, s[36:37]
.LBB310_736:                            ;   in Loop: Header=BB310_13 Depth=1
	s_or_b64 exec, exec, s[34:35]
	v_add_co_u32_e32 v56, vcc, 0x1000, v34
	v_addc_co_u32_e32 v57, vcc, 0, v35, vcc
	flat_load_dword v36, v[56:57] offset:3584
	v_mov_b32_e32 v47, 0
	v_mov_b32_e32 v56, 0
	s_waitcnt vmcnt(0) lgkmcnt(0)
	v_cmp_ne_u16_sdwa vcc, v36, v54 src0_sel:BYTE_0 src1_sel:DWORD
	s_and_saveexec_b64 s[34:35], vcc
	s_cbranch_execz .LBB310_742
; %bb.737:                              ;   in Loop: Header=BB310_13 Depth=1
	v_cmp_ne_u16_sdwa vcc, v36, s41 src0_sel:BYTE_0 src1_sel:DWORD
	v_bfrev_b32_e32 v56, 1
	s_and_saveexec_b64 s[36:37], vcc
	s_cbranch_execz .LBB310_741
; %bb.738:                              ;   in Loop: Header=BB310_13 Depth=1
	v_and_b32_e32 v18, 0x7f, v36
	v_cmp_ne_u32_e32 vcc, s42, v18
	v_mov_b32_e32 v56, 0x7fc02000
	s_and_saveexec_b64 s[38:39], vcc
	s_cbranch_execz .LBB310_740
; %bb.739:                              ;   in Loop: Header=BB310_13 Depth=1
	v_and_b32_e32 v27, 7, v36
	v_lshrrev_b32_e32 v28, 3, v18
	v_cmp_gt_u32_e32 vcc, 8, v18
	v_ffbh_u32_e32 v18, v27
	v_min_u32_e32 v18, 32, v18
	v_subrev_u32_e32 v29, 28, v18
	v_sub_u32_e32 v18, 29, v18
	v_lshlrev_b64 v[56:57], v29, v[36:37]
	v_cndmask_b32_e32 v18, v28, v18, vcc
	v_mov_b32_e32 v23, 0x2000
	v_and_b32_e32 v29, 7, v56
	v_lshlrev_b32_e32 v28, 8, v36
	v_lshl_add_u32 v18, v18, 10, v23
	v_cndmask_b32_e32 v27, v27, v29, vcc
	v_and_or_b32 v18, v28, s43, v18
	v_lshl_or_b32 v18, v27, 7, v18
	v_cvt_f32_f16_e32 v56, v18
.LBB310_740:                            ;   in Loop: Header=BB310_13 Depth=1
	s_or_b64 exec, exec, s[38:39]
.LBB310_741:                            ;   in Loop: Header=BB310_13 Depth=1
	s_or_b64 exec, exec, s[36:37]
.LBB310_742:                            ;   in Loop: Header=BB310_13 Depth=1
	s_or_b64 exec, exec, s[34:35]
	v_lshrrev_b16_e32 v38, 8, v36
	v_cmp_ne_u16_e32 vcc, 0, v38
	s_and_saveexec_b64 s[34:35], vcc
	s_cbranch_execz .LBB310_748
; %bb.743:                              ;   in Loop: Header=BB310_13 Depth=1
	v_cmp_ne_u16_e32 vcc, s41, v38
	v_bfrev_b32_e32 v47, 1
	s_and_saveexec_b64 s[36:37], vcc
	s_cbranch_execz .LBB310_747
; %bb.744:                              ;   in Loop: Header=BB310_13 Depth=1
	v_and_b32_e32 v18, 0x7f, v38
	v_cmp_ne_u32_e32 vcc, s42, v18
	v_mov_b32_e32 v47, 0x7fc02000
	s_and_saveexec_b64 s[38:39], vcc
	s_cbranch_execz .LBB310_746
; %bb.745:                              ;   in Loop: Header=BB310_13 Depth=1
	v_and_b32_e32 v27, 7, v38
	v_lshrrev_b32_e32 v47, 3, v18
	v_cmp_gt_u32_e32 vcc, 8, v18
	v_ffbh_u32_e32 v18, v27
	v_min_u32_e32 v18, 32, v18
	v_subrev_u32_e32 v28, 28, v18
	v_lshlrev_b64 v[28:29], v28, v[38:39]
	v_sub_u32_e32 v18, 29, v18
	v_and_b32_e32 v28, 7, v28
	v_cndmask_b32_e32 v18, v47, v18, vcc
	v_mov_b32_e32 v23, 0x2000
	v_cndmask_b32_e32 v27, v27, v28, vcc
	v_lshlrev_b32_e32 v28, 8, v38
	v_lshl_add_u32 v18, v18, 10, v23
	v_and_or_b32 v18, v28, s43, v18
	v_lshl_or_b32 v18, v27, 7, v18
	v_cvt_f32_f16_e32 v47, v18
.LBB310_746:                            ;   in Loop: Header=BB310_13 Depth=1
	s_or_b64 exec, exec, s[38:39]
.LBB310_747:                            ;   in Loop: Header=BB310_13 Depth=1
	s_or_b64 exec, exec, s[36:37]
.LBB310_748:                            ;   in Loop: Header=BB310_13 Depth=1
	s_or_b64 exec, exec, s[34:35]
	v_lshrrev_b32_e32 v38, 16, v36
	v_cmp_ne_u16_sdwa vcc, v38, v54 src0_sel:BYTE_0 src1_sel:DWORD
	v_mov_b32_e32 v57, 0
	v_mov_b32_e32 v58, 0
	s_and_saveexec_b64 s[34:35], vcc
	s_cbranch_execz .LBB310_754
; %bb.749:                              ;   in Loop: Header=BB310_13 Depth=1
	v_cmp_ne_u16_sdwa vcc, v38, s41 src0_sel:BYTE_0 src1_sel:DWORD
	v_bfrev_b32_e32 v58, 1
	s_and_saveexec_b64 s[36:37], vcc
	s_cbranch_execz .LBB310_753
; %bb.750:                              ;   in Loop: Header=BB310_13 Depth=1
	v_bfe_u32 v18, v36, 16, 7
	v_cmp_ne_u32_e32 vcc, s42, v18
	v_mov_b32_e32 v58, 0x7fc02000
	s_and_saveexec_b64 s[38:39], vcc
	s_cbranch_execz .LBB310_752
; %bb.751:                              ;   in Loop: Header=BB310_13 Depth=1
	v_and_b32_e32 v27, 7, v38
	v_lshrrev_b32_e32 v58, 3, v18
	v_cmp_gt_u32_e32 vcc, 8, v18
	v_ffbh_u32_e32 v18, v27
	v_min_u32_e32 v18, 32, v18
	v_subrev_u32_e32 v28, 28, v18
	v_lshlrev_b64 v[28:29], v28, v[38:39]
	v_sub_u32_e32 v18, 29, v18
	v_and_b32_e32 v28, 7, v28
	v_cndmask_b32_e32 v18, v58, v18, vcc
	v_mov_b32_e32 v23, 0x2000
	v_cndmask_b32_e32 v27, v27, v28, vcc
	v_lshlrev_b32_e32 v28, 8, v38
	v_lshl_add_u32 v18, v18, 10, v23
	v_and_or_b32 v18, v28, s43, v18
	v_lshl_or_b32 v18, v27, 7, v18
	v_cvt_f32_f16_e32 v58, v18
.LBB310_752:                            ;   in Loop: Header=BB310_13 Depth=1
	s_or_b64 exec, exec, s[38:39]
.LBB310_753:                            ;   in Loop: Header=BB310_13 Depth=1
	s_or_b64 exec, exec, s[36:37]
.LBB310_754:                            ;   in Loop: Header=BB310_13 Depth=1
	s_or_b64 exec, exec, s[34:35]
	v_cmp_lt_u32_e32 vcc, s44, v36
	s_and_saveexec_b64 s[34:35], vcc
	s_cbranch_execz .LBB310_760
; %bb.755:                              ;   in Loop: Header=BB310_13 Depth=1
	v_lshrrev_b32_e32 v36, 24, v36
	v_cmp_ne_u32_e32 vcc, s41, v36
	v_bfrev_b32_e32 v57, 1
	s_and_saveexec_b64 s[36:37], vcc
	s_cbranch_execz .LBB310_759
; %bb.756:                              ;   in Loop: Header=BB310_13 Depth=1
	v_and_b32_e32 v18, 0x7f, v36
	v_cmp_ne_u32_e32 vcc, s42, v18
	v_mov_b32_e32 v57, 0x7fc02000
	s_and_saveexec_b64 s[38:39], vcc
	s_cbranch_execz .LBB310_758
; %bb.757:                              ;   in Loop: Header=BB310_13 Depth=1
	v_and_b32_e32 v27, 7, v36
	v_lshrrev_b32_e32 v38, 3, v18
	v_cmp_gt_u32_e32 vcc, 8, v18
	v_ffbh_u32_e32 v18, v27
	v_min_u32_e32 v18, 32, v18
	v_subrev_u32_e32 v28, 28, v18
	v_lshlrev_b64 v[28:29], v28, v[36:37]
	v_sub_u32_e32 v18, 29, v18
	v_and_b32_e32 v28, 7, v28
	v_cndmask_b32_e32 v18, v38, v18, vcc
	v_mov_b32_e32 v23, 0x2000
	v_cndmask_b32_e32 v27, v27, v28, vcc
	v_lshlrev_b32_e32 v28, 8, v36
	v_lshl_add_u32 v18, v18, 10, v23
	v_and_or_b32 v18, v28, s43, v18
	v_lshl_or_b32 v18, v27, 7, v18
	v_cvt_f32_f16_e32 v57, v18
.LBB310_758:                            ;   in Loop: Header=BB310_13 Depth=1
	s_or_b64 exec, exec, s[38:39]
.LBB310_759:                            ;   in Loop: Header=BB310_13 Depth=1
	s_or_b64 exec, exec, s[36:37]
.LBB310_760:                            ;   in Loop: Header=BB310_13 Depth=1
	s_or_b64 exec, exec, s[34:35]
	v_add_co_u32_e32 v28, vcc, 0x1e00, v34
	v_addc_co_u32_e32 v29, vcc, 0, v35, vcc
	flat_load_dword v34, v[28:29] offset:8
	v_mov_b32_e32 v38, 0
	v_mov_b32_e32 v35, 0
	s_waitcnt vmcnt(0) lgkmcnt(0)
	v_cmp_ne_u16_sdwa vcc, v34, v54 src0_sel:BYTE_0 src1_sel:DWORD
	s_and_saveexec_b64 s[34:35], vcc
	s_cbranch_execz .LBB310_766
; %bb.761:                              ;   in Loop: Header=BB310_13 Depth=1
	v_cmp_ne_u16_sdwa vcc, v34, s41 src0_sel:BYTE_0 src1_sel:DWORD
	v_bfrev_b32_e32 v35, 1
	s_and_saveexec_b64 s[36:37], vcc
	s_cbranch_execz .LBB310_765
; %bb.762:                              ;   in Loop: Header=BB310_13 Depth=1
	v_and_b32_e32 v18, 0x7f, v34
	v_cmp_ne_u32_e32 vcc, s42, v18
	v_mov_b32_e32 v35, 0x7fc02000
	s_and_saveexec_b64 s[38:39], vcc
	s_cbranch_execz .LBB310_764
; %bb.763:                              ;   in Loop: Header=BB310_13 Depth=1
	v_and_b32_e32 v27, 7, v34
	v_lshrrev_b32_e32 v35, 3, v18
	v_cmp_gt_u32_e32 vcc, 8, v18
	v_ffbh_u32_e32 v18, v27
	v_min_u32_e32 v18, 32, v18
	v_subrev_u32_e32 v28, 28, v18
	v_lshlrev_b64 v[28:29], v28, v[34:35]
	v_sub_u32_e32 v18, 29, v18
	v_and_b32_e32 v28, 7, v28
	v_cndmask_b32_e32 v18, v35, v18, vcc
	v_mov_b32_e32 v23, 0x2000
	v_cndmask_b32_e32 v27, v27, v28, vcc
	v_lshlrev_b32_e32 v28, 8, v34
	v_lshl_add_u32 v18, v18, 10, v23
	v_and_or_b32 v18, v28, s43, v18
	v_lshl_or_b32 v18, v27, 7, v18
	v_cvt_f32_f16_e32 v35, v18
.LBB310_764:                            ;   in Loop: Header=BB310_13 Depth=1
	s_or_b64 exec, exec, s[38:39]
.LBB310_765:                            ;   in Loop: Header=BB310_13 Depth=1
	s_or_b64 exec, exec, s[36:37]
.LBB310_766:                            ;   in Loop: Header=BB310_13 Depth=1
	s_or_b64 exec, exec, s[34:35]
	v_lshrrev_b16_e32 v36, 8, v34
	v_cmp_ne_u16_e32 vcc, 0, v36
	s_and_saveexec_b64 s[34:35], vcc
	s_cbranch_execz .LBB310_772
; %bb.767:                              ;   in Loop: Header=BB310_13 Depth=1
	v_cmp_ne_u16_e32 vcc, s41, v36
	v_bfrev_b32_e32 v38, 1
	s_and_saveexec_b64 s[36:37], vcc
	s_cbranch_execz .LBB310_771
; %bb.768:                              ;   in Loop: Header=BB310_13 Depth=1
	v_and_b32_e32 v18, 0x7f, v36
	v_cmp_ne_u32_e32 vcc, s42, v18
	v_mov_b32_e32 v38, 0x7fc02000
	s_and_saveexec_b64 s[38:39], vcc
	s_cbranch_execz .LBB310_770
; %bb.769:                              ;   in Loop: Header=BB310_13 Depth=1
	v_and_b32_e32 v27, 7, v36
	v_lshrrev_b32_e32 v38, 3, v18
	v_cmp_gt_u32_e32 vcc, 8, v18
	v_ffbh_u32_e32 v18, v27
	v_min_u32_e32 v18, 32, v18
	v_subrev_u32_e32 v28, 28, v18
	v_lshlrev_b64 v[28:29], v28, v[36:37]
	v_sub_u32_e32 v18, 29, v18
	v_and_b32_e32 v28, 7, v28
	v_cndmask_b32_e32 v18, v38, v18, vcc
	v_mov_b32_e32 v23, 0x2000
	v_cndmask_b32_e32 v27, v27, v28, vcc
	v_lshlrev_b32_e32 v28, 8, v36
	v_lshl_add_u32 v18, v18, 10, v23
	v_and_or_b32 v18, v28, s43, v18
	v_lshl_or_b32 v18, v27, 7, v18
	v_cvt_f32_f16_e32 v38, v18
.LBB310_770:                            ;   in Loop: Header=BB310_13 Depth=1
	s_or_b64 exec, exec, s[38:39]
.LBB310_771:                            ;   in Loop: Header=BB310_13 Depth=1
	s_or_b64 exec, exec, s[36:37]
.LBB310_772:                            ;   in Loop: Header=BB310_13 Depth=1
	s_or_b64 exec, exec, s[34:35]
	v_lshrrev_b32_e32 v36, 16, v34
	v_cmp_ne_u16_sdwa vcc, v36, v54 src0_sel:BYTE_0 src1_sel:DWORD
	v_mov_b32_e32 v18, 0
	v_mov_b32_e32 v27, 0
	s_and_saveexec_b64 s[34:35], vcc
	s_cbranch_execz .LBB310_778
; %bb.773:                              ;   in Loop: Header=BB310_13 Depth=1
	v_cmp_ne_u16_sdwa vcc, v36, s41 src0_sel:BYTE_0 src1_sel:DWORD
	v_bfrev_b32_e32 v27, 1
	s_and_saveexec_b64 s[36:37], vcc
	s_cbranch_execz .LBB310_777
; %bb.774:                              ;   in Loop: Header=BB310_13 Depth=1
	v_accvgpr_write_b32 a49, v61
	v_bfe_u32 v61, v34, 16, 7
	v_cmp_ne_u32_e32 vcc, s42, v61
	v_mov_b32_e32 v27, 0x7fc02000
	s_and_saveexec_b64 s[38:39], vcc
	s_cbranch_execz .LBB310_776
; %bb.775:                              ;   in Loop: Header=BB310_13 Depth=1
	v_and_b32_e32 v27, 7, v36
	v_ffbh_u32_e32 v28, v27
	v_lshrrev_b32_e32 v23, 3, v61
	v_cmp_gt_u32_e32 vcc, 8, v61
	v_min_u32_e32 v61, 32, v28
	v_subrev_u32_e32 v28, 28, v61
	v_lshlrev_b64 v[28:29], v28, v[36:37]
	v_sub_u32_e32 v29, 29, v61
	v_and_b32_e32 v28, 7, v28
	v_cndmask_b32_e32 v23, v23, v29, vcc
	v_mov_b32_e32 v29, 0x2000
	v_cndmask_b32_e32 v27, v27, v28, vcc
	v_lshlrev_b32_e32 v28, 8, v36
	v_lshl_add_u32 v23, v23, 10, v29
	v_and_or_b32 v23, v28, s43, v23
	v_lshl_or_b32 v23, v27, 7, v23
	v_cvt_f32_f16_e32 v27, v23
.LBB310_776:                            ;   in Loop: Header=BB310_13 Depth=1
	s_or_b64 exec, exec, s[38:39]
	v_accvgpr_read_b32 v61, a49
.LBB310_777:                            ;   in Loop: Header=BB310_13 Depth=1
	s_or_b64 exec, exec, s[36:37]
.LBB310_778:                            ;   in Loop: Header=BB310_13 Depth=1
	s_or_b64 exec, exec, s[34:35]
	v_accvgpr_write_b32 a49, v61
	v_cmp_lt_u32_e32 vcc, s44, v34
	s_and_saveexec_b64 s[34:35], vcc
	s_cbranch_execz .LBB310_784
; %bb.779:                              ;   in Loop: Header=BB310_13 Depth=1
	v_lshrrev_b32_e32 v34, 24, v34
	v_cmp_ne_u32_e32 vcc, s41, v34
	v_bfrev_b32_e32 v18, 1
	s_and_saveexec_b64 s[36:37], vcc
	s_cbranch_execz .LBB310_783
; %bb.780:                              ;   in Loop: Header=BB310_13 Depth=1
	v_and_b32_e32 v36, 0x7f, v34
	v_cmp_ne_u32_e32 vcc, s42, v36
	v_mov_b32_e32 v18, 0x7fc02000
	s_and_saveexec_b64 s[38:39], vcc
	s_cbranch_execz .LBB310_782
; %bb.781:                              ;   in Loop: Header=BB310_13 Depth=1
	v_and_b32_e32 v18, 7, v34
	v_ffbh_u32_e32 v28, v18
	v_lshrrev_b32_e32 v23, 3, v36
	v_cmp_gt_u32_e32 vcc, 8, v36
	v_min_u32_e32 v36, 32, v28
	v_subrev_u32_e32 v28, 28, v36
	v_lshlrev_b64 v[28:29], v28, v[34:35]
	v_sub_u32_e32 v29, 29, v36
	v_and_b32_e32 v28, 7, v28
	v_cndmask_b32_e32 v23, v23, v29, vcc
	v_mov_b32_e32 v29, 0x2000
	v_cndmask_b32_e32 v18, v18, v28, vcc
	v_lshlrev_b32_e32 v28, 8, v34
	v_lshl_add_u32 v23, v23, 10, v29
	v_and_or_b32 v23, v28, s43, v23
	v_lshl_or_b32 v18, v18, 7, v23
	v_cvt_f32_f16_e32 v18, v18
.LBB310_782:                            ;   in Loop: Header=BB310_13 Depth=1
	s_or_b64 exec, exec, s[38:39]
.LBB310_783:                            ;   in Loop: Header=BB310_13 Depth=1
	s_or_b64 exec, exec, s[36:37]
.LBB310_784:                            ;   in Loop: Header=BB310_13 Depth=1
	s_or_b64 exec, exec, s[34:35]
	v_fma_mixlo_f16 v0, v5, v0, 0
	v_accvgpr_write_b32 a21, v0
	v_fma_mixlo_f16 v0, v5, v21, 0
	v_accvgpr_write_b32 a17, v0
	;; [unrolled: 2-line block ×25, first 2 shown]
	buffer_load_dword v0, off, s[0:3], s32 offset:536 ; 4-byte Folded Reload
	v_fma_mixlo_f16 v16, v5, v16, 0
	buffer_store_dword v16, off, s[0:3], s32 offset:584 ; 4-byte Folded Spill
	v_fma_mixlo_f16 v16, v5, v52, 0
	buffer_store_dword v16, off, s[0:3], s32 offset:608 ; 4-byte Folded Spill
	;; [unrolled: 2-line block ×5, first 2 shown]
	v_fma_mixlo_f16 v16, v5, v25, 0
	v_accvgpr_write_b32 a34, v16
	v_fma_mixlo_f16 v16, v5, v26, 0
	v_accvgpr_write_b32 a28, v16
	v_fma_mixlo_f16 v16, v5, v51, 0
	v_accvgpr_write_b32 a33, v16
	v_fma_mixlo_f16 v16, v5, v49, 0
	v_fma_mixlo_f16 v11, v5, v11, 0
	v_accvgpr_write_b32 a30, v11
	v_fma_mixlo_f16 v11, v5, v13, 0
	v_accvgpr_write_b32 a31, v11
	;; [unrolled: 2-line block ×4, first 2 shown]
	v_fma_mixlo_f16 v23, v5, v47, 0
	v_fma_mixlo_f16 v6, v5, v6, 0
	v_accvgpr_write_b32 a25, v6
	v_fma_mixlo_f16 v6, v5, v59, 0
	buffer_store_dword v23, off, s[0:3], s32 offset:576 ; 4-byte Folded Spill
	v_fma_mixlo_f16 v23, v5, v56, 0
	buffer_store_dword v23, off, s[0:3], s32 offset:580 ; 4-byte Folded Spill
	v_fma_mixlo_f16 v23, v5, v58, 0
	buffer_store_dword v23, off, s[0:3], s32 offset:572 ; 4-byte Folded Spill
	v_fma_mixlo_f16 v23, v5, v57, 0
	buffer_store_dword v23, off, s[0:3], s32 offset:568 ; 4-byte Folded Spill
	v_fma_mixlo_f16 v23, v5, v42, 0
	buffer_store_dword v23, off, s[0:3], s32 offset:592 ; 4-byte Folded Spill
	v_fma_mixlo_f16 v23, v5, v46, 0
	buffer_store_dword v23, off, s[0:3], s32 offset:596 ; 4-byte Folded Spill
	v_fma_mixlo_f16 v23, v5, v41, 0
	buffer_store_dword v23, off, s[0:3], s32 offset:588 ; 4-byte Folded Spill
	v_accvgpr_write_b32 a27, v16
	v_fma_mixlo_f16 v8, v5, v8, 0
	v_accvgpr_write_b32 a24, v8
	v_accvgpr_write_b32 a26, v6
	v_fma_mixlo_f16 v6, v5, v22, 0
	v_accvgpr_write_b32 a29, v6
	s_waitcnt vmcnt(12)
	v_fma_mixlo_f16 v0, v5, v0, 0
	v_accvgpr_write_b32 a10, v0
	buffer_load_dword v0, off, s[0:3], s32 offset:544 ; 4-byte Folded Reload
	s_waitcnt vmcnt(0)
	v_fma_mixlo_f16 v0, v5, v0, 0
	v_accvgpr_write_b32 a37, v0
	buffer_load_dword v0, off, s[0:3], s32 offset:540 ; 4-byte Folded Reload
	;; [unrolled: 4-line block ×23, first 2 shown]
	s_waitcnt vmcnt(0)
	v_fma_mixlo_f16 v34, v5, v0, 0
	buffer_load_dword v0, off, s[0:3], s32 offset:440 ; 4-byte Folded Reload
	s_waitcnt vmcnt(0)
	v_fma_mixlo_f16 v26, v5, v0, 0
	buffer_load_dword v0, off, s[0:3], s32 offset:448 ; 4-byte Folded Reload
	;; [unrolled: 3-line block ×6, first 2 shown]
	s_waitcnt vmcnt(0)
	v_fma_mixlo_f16 v0, v5, v0, 0
	v_accvgpr_write_b32 a63, v0
	buffer_load_dword v0, off, s[0:3], s32 offset:428 ; 4-byte Folded Reload
	s_waitcnt vmcnt(0)
	v_fma_mixlo_f16 v25, v5, v0, 0
	buffer_load_dword v0, off, s[0:3], s32 offset:420 ; 4-byte Folded Reload
	s_waitcnt vmcnt(0)
	v_fma_mixlo_f16 v14, v5, v0, 0
	;; [unrolled: 3-line block ×38, first 2 shown]
	buffer_load_dword v0, off, s[0:3], s32 offset:276 ; 4-byte Folded Reload
	v_and_b32_e32 v28, 0xffff, v28
	s_waitcnt vmcnt(0)
	v_fma_mixlo_f16 v30, v5, v0, 0
	buffer_load_dword v0, off, s[0:3], s32 offset:272 ; 4-byte Folded Reload
	v_and_b32_e32 v30, 0xffff, v30
	s_waitcnt vmcnt(0)
	v_fma_mixlo_f16 v40, v5, v0, 0
	buffer_load_dword v0, off, s[0:3], s32 offset:268 ; 4-byte Folded Reload
	s_waitcnt vmcnt(0)
	v_fma_mixlo_f16 v37, v5, v0, 0
	buffer_load_dword v0, off, s[0:3], s32 offset:252 ; 4-byte Folded Reload
	s_waitcnt vmcnt(0)
	v_fma_mixlo_f16 v9, v5, v0, 0
	v_accvgpr_read_b32 v0, a49
	v_fma_mixlo_f16 v22, v5, v0, 0
	buffer_load_dword v0, off, s[0:3], s32 offset:256 ; 4-byte Folded Reload
	s_waitcnt vmcnt(0)
	v_fma_mixlo_f16 v7, v5, v0, 0
	buffer_load_dword v0, off, s[0:3], s32 offset:260 ; 4-byte Folded Reload
	s_waitcnt vmcnt(0)
	v_fma_mixlo_f16 v6, v5, v0, 0
	v_fma_mixlo_f16 v0, v5, v38, 0
	buffer_store_dword v0, off, s[0:3], s32 offset:260 ; 4-byte Folded Spill
	v_fma_mixlo_f16 v0, v5, v35, 0
	v_accvgpr_write_b32 a49, v0
	v_fma_mixlo_f16 v0, v5, v27, 0
	buffer_store_dword v0, off, s[0:3], s32 offset:256 ; 4-byte Folded Spill
	v_fma_mixlo_f16 v0, v5, v18, 0
	buffer_load_dword v5, off, s[0:3], s32 offset:632 ; 4-byte Folded Reload
	s_nop 0
	buffer_store_dword v0, off, s[0:3], s32 offset:252 ; 4-byte Folded Spill
	s_waitcnt vmcnt(1)
	ds_read_b64 v[0:1], v5
	s_waitcnt lgkmcnt(0)
	v_lshrrev_b32_e32 v18, 16, v0
	v_and_b32_e32 v0, 0xffff, v0
	;;#ASMSTART
	v_cvt_f32_f16 v27, v0;
	;;#ASMEND
	v_and_b32_e32 v0, 0xffff, v22
	;;#ASMSTART
	v_cvt_f32_f16 v18, v18;
	;;#ASMEND
	;;#ASMSTART
	v_cvt_f32_f16 v22, v0;
	;;#ASMEND
	v_and_b32_e32 v0, 0xffff, v9
	;;#ASMSTART
	v_cvt_f32_f16 v9, v0;
	;;#ASMEND
	v_lshrrev_b32_e32 v0, 16, v1
	v_and_b32_e32 v1, 0xffff, v1
	;;#ASMSTART
	v_cvt_f32_f16 v35, v1;
	;;#ASMEND
	;;#ASMSTART
	v_cvt_f32_f16 v38, v0;
	;;#ASMEND
	v_and_b32_e32 v0, 0xffff, v7
	;;#ASMSTART
	v_cvt_f32_f16 v7, v0;
	;;#ASMEND
	v_and_b32_e32 v0, 0xffff, v6
	;;#ASMSTART
	v_cvt_f32_f16 v6, v0;
	;;#ASMEND
	ds_read_b64 v[0:1], v5 offset:8
	s_waitcnt lgkmcnt(0)
	v_lshrrev_b32_e32 v62, 16, v0
	v_and_b32_e32 v0, 0xffff, v0
	;;#ASMSTART
	v_cvt_f32_f16 v0, v0;
	;;#ASMEND
	;;#ASMSTART
	v_cvt_f32_f16 v62, v62;
	;;#ASMEND
	;; [unrolled: 3-line block ×4, first 2 shown]
	v_mul_f32_e32 v28, v0, v30
	v_mul_f32_e32 v30, v62, v2
	v_lshrrev_b32_e32 v0, 16, v1
	v_and_b32_e32 v1, 0xffff, v1
	v_fmac_f32_e32 v30, v18, v9
	;;#ASMSTART
	v_cvt_f32_f16 v1, v1;
	;;#ASMEND
	;;#ASMSTART
	v_cvt_f32_f16 v0, v0;
	;;#ASMEND
	v_and_b32_e32 v2, 0xffff, v40
	v_and_b32_e32 v9, 0xffff, v37
	;;#ASMSTART
	v_cvt_f32_f16 v2, v2;
	;;#ASMEND
	;;#ASMSTART
	v_cvt_f32_f16 v9, v9;
	;;#ASMEND
	v_mul_f32_e32 v37, v1, v2
	v_mul_f32_e32 v40, v0, v9
	ds_read_b64 v[0:1], v5 offset:16
	v_fmac_f32_e32 v28, v27, v22
	v_fmac_f32_e32 v40, v38, v6
	v_and_b32_e32 v6, 0xffff, v8
	v_fmac_f32_e32 v37, v35, v7
	s_waitcnt lgkmcnt(0)
	v_lshrrev_b32_e32 v2, 16, v0
	v_and_b32_e32 v0, 0xffff, v0
	;;#ASMSTART
	v_cvt_f32_f16 v0, v0;
	;;#ASMEND
	;;#ASMSTART
	v_cvt_f32_f16 v2, v2;
	;;#ASMEND
	;; [unrolled: 3-line block ×3, first 2 shown]
	v_and_b32_e32 v7, 0xffff, v24
	v_fmac_f32_e32 v28, v0, v6
	v_lshrrev_b32_e32 v0, 16, v1
	v_and_b32_e32 v1, 0xffff, v1
	;;#ASMSTART
	v_cvt_f32_f16 v7, v7;
	;;#ASMEND
	v_fmac_f32_e32 v30, v2, v7
	;;#ASMSTART
	v_cvt_f32_f16 v1, v1;
	;;#ASMEND
	;;#ASMSTART
	v_cvt_f32_f16 v0, v0;
	;;#ASMEND
	v_and_b32_e32 v2, 0xffff, v58
	v_and_b32_e32 v6, 0xffff, v45
	;;#ASMSTART
	v_cvt_f32_f16 v2, v2;
	;;#ASMEND
	;;#ASMSTART
	v_cvt_f32_f16 v6, v6;
	;;#ASMEND
	v_fmac_f32_e32 v37, v1, v2
	v_fmac_f32_e32 v40, v0, v6
	ds_read_b64 v[0:1], v5 offset:24
	v_and_b32_e32 v6, 0xffff, v16
	v_and_b32_e32 v7, 0xffff, v41
	s_waitcnt lgkmcnt(0)
	v_lshrrev_b32_e32 v2, 16, v0
	v_and_b32_e32 v0, 0xffff, v0
	;;#ASMSTART
	v_cvt_f32_f16 v0, v0;
	;;#ASMEND
	;;#ASMSTART
	v_cvt_f32_f16 v2, v2;
	;;#ASMEND
	;;#ASMSTART
	v_cvt_f32_f16 v6, v6;
	;;#ASMEND
	v_fmac_f32_e32 v28, v0, v6
	v_lshrrev_b32_e32 v0, 16, v1
	v_and_b32_e32 v1, 0xffff, v1
	;;#ASMSTART
	v_cvt_f32_f16 v7, v7;
	;;#ASMEND
	v_fmac_f32_e32 v30, v2, v7
	;;#ASMSTART
	v_cvt_f32_f16 v1, v1;
	;;#ASMEND
	;;#ASMSTART
	v_cvt_f32_f16 v0, v0;
	;;#ASMEND
	v_and_b32_e32 v2, 0xffff, v4
	v_and_b32_e32 v4, 0xffff, v56
	;;#ASMSTART
	v_cvt_f32_f16 v2, v2;
	;;#ASMEND
	;;#ASMSTART
	v_cvt_f32_f16 v4, v4;
	;;#ASMEND
	v_fmac_f32_e32 v37, v1, v2
	v_fmac_f32_e32 v40, v0, v4
	ds_read_b64 v[0:1], v5 offset:32
	v_and_b32_e32 v4, 0xffff, v19
	v_and_b32_e32 v6, 0xffff, v20
	s_waitcnt lgkmcnt(0)
	v_lshrrev_b32_e32 v2, 16, v0
	v_and_b32_e32 v0, 0xffff, v0
	;;#ASMSTART
	v_cvt_f32_f16 v0, v0;
	;;#ASMEND
	;;#ASMSTART
	v_cvt_f32_f16 v2, v2;
	;;#ASMEND
	;;#ASMSTART
	v_cvt_f32_f16 v4, v4;
	;;#ASMEND
	v_fmac_f32_e32 v28, v0, v4
	v_lshrrev_b32_e32 v0, 16, v1
	v_and_b32_e32 v1, 0xffff, v1
	;;#ASMSTART
	v_cvt_f32_f16 v6, v6;
	;;#ASMEND
	v_fmac_f32_e32 v30, v2, v6
	;;#ASMSTART
	v_cvt_f32_f16 v1, v1;
	;;#ASMEND
	;;#ASMSTART
	v_cvt_f32_f16 v0, v0;
	;;#ASMEND
	v_and_b32_e32 v2, 0xffff, v57
	v_and_b32_e32 v4, 0xffff, v12
	;;#ASMSTART
	v_cvt_f32_f16 v2, v2;
	;;#ASMEND
	;;#ASMSTART
	v_cvt_f32_f16 v4, v4;
	;;#ASMEND
	v_fmac_f32_e32 v37, v1, v2
	v_fmac_f32_e32 v40, v0, v4
	ds_read_b64 v[0:1], v5 offset:40
	v_and_b32_e32 v4, 0xffff, v21
	v_and_b32_e32 v6, 0xffff, v39
	s_waitcnt lgkmcnt(0)
	v_lshrrev_b32_e32 v2, 16, v0
	v_and_b32_e32 v0, 0xffff, v0
	;;#ASMSTART
	v_cvt_f32_f16 v0, v0;
	;;#ASMEND
	;;#ASMSTART
	v_cvt_f32_f16 v2, v2;
	;;#ASMEND
	;;#ASMSTART
	v_cvt_f32_f16 v4, v4;
	;;#ASMEND
	v_fmac_f32_e32 v28, v0, v4
	v_lshrrev_b32_e32 v0, 16, v1
	v_and_b32_e32 v1, 0xffff, v1
	;;#ASMSTART
	v_cvt_f32_f16 v6, v6;
	;;#ASMEND
	v_fmac_f32_e32 v30, v2, v6
	;;#ASMSTART
	v_cvt_f32_f16 v1, v1;
	;;#ASMEND
	;;#ASMSTART
	v_cvt_f32_f16 v0, v0;
	;;#ASMEND
	v_and_b32_e32 v2, 0xffff, v48
	v_and_b32_e32 v4, 0xffff, v60
	;;#ASMSTART
	v_cvt_f32_f16 v2, v2;
	;;#ASMEND
	;;#ASMSTART
	v_cvt_f32_f16 v4, v4;
	;;#ASMEND
	v_fmac_f32_e32 v37, v1, v2
	v_fmac_f32_e32 v40, v0, v4
	ds_read_b64 v[0:1], v5 offset:48
	v_and_b32_e32 v4, 0xffff, v61
	v_and_b32_e32 v6, 0xffff, v42
	s_waitcnt lgkmcnt(0)
	v_lshrrev_b32_e32 v2, 16, v0
	v_and_b32_e32 v0, 0xffff, v0
	;;#ASMSTART
	v_cvt_f32_f16 v0, v0;
	;;#ASMEND
	;;#ASMSTART
	v_cvt_f32_f16 v2, v2;
	;;#ASMEND
	;;#ASMSTART
	v_cvt_f32_f16 v4, v4;
	;;#ASMEND
	v_fmac_f32_e32 v28, v0, v4
	v_lshrrev_b32_e32 v0, 16, v1
	v_and_b32_e32 v1, 0xffff, v1
	;;#ASMSTART
	v_cvt_f32_f16 v6, v6;
	;;#ASMEND
	v_fmac_f32_e32 v30, v2, v6
	;;#ASMSTART
	v_cvt_f32_f16 v1, v1;
	;;#ASMEND
	;;#ASMSTART
	v_cvt_f32_f16 v0, v0;
	;;#ASMEND
	v_and_b32_e32 v2, 0xffff, v3
	v_and_b32_e32 v3, 0xffff, v43
	;;#ASMSTART
	v_cvt_f32_f16 v2, v2;
	;;#ASMEND
	;;#ASMSTART
	v_cvt_f32_f16 v3, v3;
	;;#ASMEND
	v_fmac_f32_e32 v37, v1, v2
	v_fmac_f32_e32 v40, v0, v3
	ds_read_b64 v[0:1], v5 offset:56
	v_and_b32_e32 v3, 0xffff, v46
	v_and_b32_e32 v4, 0xffff, v59
	s_waitcnt lgkmcnt(0)
	v_lshrrev_b32_e32 v2, 16, v0
	v_and_b32_e32 v0, 0xffff, v0
	;;#ASMSTART
	v_cvt_f32_f16 v0, v0;
	;;#ASMEND
	;;#ASMSTART
	v_cvt_f32_f16 v2, v2;
	;;#ASMEND
	;;#ASMSTART
	v_cvt_f32_f16 v3, v3;
	;;#ASMEND
	v_fmac_f32_e32 v28, v0, v3
	v_lshrrev_b32_e32 v0, 16, v1
	v_and_b32_e32 v1, 0xffff, v1
	;;#ASMSTART
	v_cvt_f32_f16 v4, v4;
	;;#ASMEND
	v_fmac_f32_e32 v30, v2, v4
	;;#ASMSTART
	v_cvt_f32_f16 v1, v1;
	;;#ASMEND
	;;#ASMSTART
	v_cvt_f32_f16 v0, v0;
	;;#ASMEND
	v_and_b32_e32 v2, 0xffff, v10
	v_and_b32_e32 v3, 0xffff, v23
	;;#ASMSTART
	v_cvt_f32_f16 v2, v2;
	;;#ASMEND
	;;#ASMSTART
	v_cvt_f32_f16 v3, v3;
	;;#ASMEND
	v_fmac_f32_e32 v37, v1, v2
	v_fmac_f32_e32 v40, v0, v3
	ds_read_b64 v[0:1], v5 offset:64
	v_and_b32_e32 v3, 0xffff, v11
	v_and_b32_e32 v4, 0xffff, v17
	s_waitcnt lgkmcnt(0)
	v_lshrrev_b32_e32 v2, 16, v0
	v_and_b32_e32 v0, 0xffff, v0
	;;#ASMSTART
	v_cvt_f32_f16 v0, v0;
	;;#ASMEND
	;;#ASMSTART
	v_cvt_f32_f16 v2, v2;
	;;#ASMEND
	;;#ASMSTART
	v_cvt_f32_f16 v3, v3;
	;;#ASMEND
	v_fmac_f32_e32 v28, v0, v3
	v_lshrrev_b32_e32 v0, 16, v1
	v_and_b32_e32 v1, 0xffff, v1
	;;#ASMSTART
	v_cvt_f32_f16 v4, v4;
	;;#ASMEND
	v_fmac_f32_e32 v30, v2, v4
	;;#ASMSTART
	v_cvt_f32_f16 v1, v1;
	;;#ASMEND
	;;#ASMSTART
	v_cvt_f32_f16 v0, v0;
	;;#ASMEND
	v_and_b32_e32 v2, 0xffff, v52
	v_and_b32_e32 v3, 0xffff, v47
	;;#ASMSTART
	v_cvt_f32_f16 v2, v2;
	;;#ASMEND
	;;#ASMSTART
	v_cvt_f32_f16 v3, v3;
	;;#ASMEND
	v_fmac_f32_e32 v37, v1, v2
	v_fmac_f32_e32 v40, v0, v3
	ds_read_b64 v[0:1], v5 offset:72
	v_and_b32_e32 v3, 0xffff, v29
	v_and_b32_e32 v4, 0xffff, v31
	s_waitcnt lgkmcnt(0)
	v_lshrrev_b32_e32 v2, 16, v0
	v_and_b32_e32 v0, 0xffff, v0
	;;#ASMSTART
	v_cvt_f32_f16 v0, v0;
	;;#ASMEND
	;;#ASMSTART
	v_cvt_f32_f16 v2, v2;
	;;#ASMEND
	;;#ASMSTART
	v_cvt_f32_f16 v3, v3;
	;;#ASMEND
	v_fmac_f32_e32 v28, v0, v3
	v_lshrrev_b32_e32 v0, 16, v1
	v_and_b32_e32 v1, 0xffff, v1
	;;#ASMSTART
	v_cvt_f32_f16 v4, v4;
	;;#ASMEND
	v_fmac_f32_e32 v30, v2, v4
	;;#ASMSTART
	v_cvt_f32_f16 v1, v1;
	;;#ASMEND
	;;#ASMSTART
	v_cvt_f32_f16 v0, v0;
	;;#ASMEND
	v_and_b32_e32 v2, 0xffff, v50
	v_and_b32_e32 v3, 0xffff, v51
	;;#ASMSTART
	v_cvt_f32_f16 v2, v2;
	;;#ASMEND
	;;#ASMSTART
	v_cvt_f32_f16 v3, v3;
	;;#ASMEND
	v_fmac_f32_e32 v37, v1, v2
	v_fmac_f32_e32 v40, v0, v3
	ds_read_b64 v[0:1], v5 offset:80
	v_and_b32_e32 v3, 0xffff, v13
	v_and_b32_e32 v4, 0xffff, v14
	s_waitcnt lgkmcnt(0)
	v_lshrrev_b32_e32 v2, 16, v0
	v_and_b32_e32 v0, 0xffff, v0
	;;#ASMSTART
	v_cvt_f32_f16 v0, v0;
	;;#ASMEND
	;;#ASMSTART
	v_cvt_f32_f16 v2, v2;
	;;#ASMEND
	;;#ASMSTART
	v_cvt_f32_f16 v3, v3;
	;;#ASMEND
	v_fmac_f32_e32 v28, v0, v3
	v_lshrrev_b32_e32 v0, 16, v1
	v_and_b32_e32 v1, 0xffff, v1
	;;#ASMSTART
	v_cvt_f32_f16 v4, v4;
	;;#ASMEND
	v_fmac_f32_e32 v30, v2, v4
	;;#ASMSTART
	v_cvt_f32_f16 v1, v1;
	;;#ASMEND
	;;#ASMSTART
	v_cvt_f32_f16 v0, v0;
	;;#ASMEND
	v_and_b32_e32 v2, 0xffff, v55
	v_and_b32_e32 v3, 0xffff, v15
	;;#ASMSTART
	v_cvt_f32_f16 v2, v2;
	;;#ASMEND
	;;#ASMSTART
	v_cvt_f32_f16 v3, v3;
	;;#ASMEND
	v_fmac_f32_e32 v37, v1, v2
	v_fmac_f32_e32 v40, v0, v3
	ds_read_b64 v[0:1], v5 offset:88
	v_and_b32_e32 v3, 0xffff, v53
	v_and_b32_e32 v4, 0xffff, v44
	s_waitcnt lgkmcnt(0)
	v_lshrrev_b32_e32 v2, 16, v0
	v_and_b32_e32 v0, 0xffff, v0
	;;#ASMSTART
	v_cvt_f32_f16 v0, v0;
	;;#ASMEND
	;;#ASMSTART
	v_cvt_f32_f16 v2, v2;
	;;#ASMEND
	;;#ASMSTART
	v_cvt_f32_f16 v3, v3;
	;;#ASMEND
	;;#ASMSTART
	v_cvt_f32_f16 v4, v4;
	;;#ASMEND
	v_fmac_f32_e32 v28, v0, v3
	v_fmac_f32_e32 v30, v2, v4
	v_lshrrev_b32_e32 v0, 16, v1
	v_and_b32_e32 v1, 0xffff, v1
	v_accvgpr_read_b32 v2, a63
	;;#ASMSTART
	v_cvt_f32_f16 v1, v1;
	;;#ASMEND
	;;#ASMSTART
	v_cvt_f32_f16 v0, v0;
	;;#ASMEND
	v_and_b32_e32 v2, 0xffff, v2
	v_and_b32_e32 v3, 0xffff, v25
	;;#ASMSTART
	v_cvt_f32_f16 v2, v2;
	;;#ASMEND
	;;#ASMSTART
	v_cvt_f32_f16 v3, v3;
	;;#ASMEND
	v_fmac_f32_e32 v37, v1, v2
	v_fmac_f32_e32 v40, v0, v3
	ds_read_b64 v[0:1], v5 offset:96
	v_and_b32_e32 v3, 0xffff, v26
	v_and_b32_e32 v4, 0xffff, v34
	s_waitcnt lgkmcnt(0)
	v_lshrrev_b32_e32 v2, 16, v0
	v_and_b32_e32 v0, 0xffff, v0
	;;#ASMSTART
	v_cvt_f32_f16 v0, v0;
	;;#ASMEND
	;;#ASMSTART
	v_cvt_f32_f16 v2, v2;
	;;#ASMEND
	;; [unrolled: 3-line block ×3, first 2 shown]
	v_fmac_f32_e32 v28, v0, v3
	v_lshrrev_b32_e32 v0, 16, v1
	v_and_b32_e32 v1, 0xffff, v1
	;;#ASMSTART
	v_cvt_f32_f16 v4, v4;
	;;#ASMEND
	v_fmac_f32_e32 v30, v2, v4
	;;#ASMSTART
	v_cvt_f32_f16 v1, v1;
	;;#ASMEND
	;;#ASMSTART
	v_cvt_f32_f16 v0, v0;
	;;#ASMEND
	v_and_b32_e32 v2, 0xffff, v36
	v_and_b32_e32 v3, 0xffff, v49
	;;#ASMSTART
	v_cvt_f32_f16 v2, v2;
	;;#ASMEND
	;;#ASMSTART
	v_cvt_f32_f16 v3, v3;
	;;#ASMEND
	v_fmac_f32_e32 v37, v1, v2
	v_fmac_f32_e32 v40, v0, v3
	ds_read_b64 v[0:1], v5 offset:104
	v_accvgpr_read_b32 v3, a62
	v_and_b32_e32 v3, 0xffff, v3
	v_accvgpr_read_b32 v4, a61
	v_and_b32_e32 v4, 0xffff, v4
	s_waitcnt lgkmcnt(0)
	v_lshrrev_b32_e32 v2, 16, v0
	v_and_b32_e32 v0, 0xffff, v0
	;;#ASMSTART
	v_cvt_f32_f16 v0, v0;
	;;#ASMEND
	;;#ASMSTART
	v_cvt_f32_f16 v2, v2;
	;;#ASMEND
	;;#ASMSTART
	v_cvt_f32_f16 v3, v3;
	;;#ASMEND
	;;#ASMSTART
	v_cvt_f32_f16 v4, v4;
	;;#ASMEND
	v_fmac_f32_e32 v28, v0, v3
	v_fmac_f32_e32 v30, v2, v4
	v_lshrrev_b32_e32 v0, 16, v1
	v_and_b32_e32 v1, 0xffff, v1
	v_accvgpr_read_b32 v2, a60
	v_accvgpr_read_b32 v3, a59
	;;#ASMSTART
	v_cvt_f32_f16 v1, v1;
	;;#ASMEND
	;;#ASMSTART
	v_cvt_f32_f16 v0, v0;
	;;#ASMEND
	v_and_b32_e32 v2, 0xffff, v2
	v_and_b32_e32 v3, 0xffff, v3
	;;#ASMSTART
	v_cvt_f32_f16 v2, v2;
	;;#ASMEND
	;;#ASMSTART
	v_cvt_f32_f16 v3, v3;
	;;#ASMEND
	v_fmac_f32_e32 v37, v1, v2
	v_fmac_f32_e32 v40, v0, v3
	ds_read_b64 v[0:1], v5 offset:112
	v_accvgpr_read_b32 v3, a58
	v_and_b32_e32 v3, 0xffff, v3
	v_accvgpr_read_b32 v4, a57
	v_and_b32_e32 v4, 0xffff, v4
	s_waitcnt lgkmcnt(0)
	v_lshrrev_b32_e32 v2, 16, v0
	v_and_b32_e32 v0, 0xffff, v0
	;;#ASMSTART
	v_cvt_f32_f16 v0, v0;
	;;#ASMEND
	;;#ASMSTART
	v_cvt_f32_f16 v2, v2;
	;;#ASMEND
	;;#ASMSTART
	v_cvt_f32_f16 v3, v3;
	;;#ASMEND
	;;#ASMSTART
	v_cvt_f32_f16 v4, v4;
	;;#ASMEND
	v_fmac_f32_e32 v28, v0, v3
	v_fmac_f32_e32 v30, v2, v4
	v_lshrrev_b32_e32 v0, 16, v1
	v_and_b32_e32 v1, 0xffff, v1
	v_accvgpr_read_b32 v2, a56
	v_accvgpr_read_b32 v3, a55
	;;#ASMSTART
	v_cvt_f32_f16 v1, v1;
	;;#ASMEND
	;;#ASMSTART
	v_cvt_f32_f16 v0, v0;
	;;#ASMEND
	v_and_b32_e32 v2, 0xffff, v2
	v_and_b32_e32 v3, 0xffff, v3
	;;#ASMSTART
	v_cvt_f32_f16 v2, v2;
	;;#ASMEND
	;;#ASMSTART
	v_cvt_f32_f16 v3, v3;
	;;#ASMEND
	v_fmac_f32_e32 v37, v1, v2
	v_fmac_f32_e32 v40, v0, v3
	ds_read_b64 v[0:1], v5 offset:120
	v_accvgpr_read_b32 v3, a54
	v_and_b32_e32 v3, 0xffff, v3
	v_accvgpr_read_b32 v4, a53
	v_and_b32_e32 v4, 0xffff, v4
	s_waitcnt lgkmcnt(0)
	v_lshrrev_b32_e32 v2, 16, v0
	v_and_b32_e32 v0, 0xffff, v0
	;;#ASMSTART
	v_cvt_f32_f16 v0, v0;
	;;#ASMEND
	;;#ASMSTART
	v_cvt_f32_f16 v2, v2;
	;;#ASMEND
	;;#ASMSTART
	v_cvt_f32_f16 v3, v3;
	;;#ASMEND
	;;#ASMSTART
	v_cvt_f32_f16 v4, v4;
	;;#ASMEND
	v_fmac_f32_e32 v28, v0, v3
	v_fmac_f32_e32 v30, v2, v4
	v_lshrrev_b32_e32 v0, 16, v1
	v_and_b32_e32 v1, 0xffff, v1
	v_accvgpr_read_b32 v2, a52
	v_accvgpr_read_b32 v3, a51
	;;#ASMSTART
	v_cvt_f32_f16 v1, v1;
	;;#ASMEND
	;;#ASMSTART
	v_cvt_f32_f16 v0, v0;
	;;#ASMEND
	v_and_b32_e32 v2, 0xffff, v2
	v_and_b32_e32 v3, 0xffff, v3
	;;#ASMSTART
	v_cvt_f32_f16 v2, v2;
	;;#ASMEND
	;;#ASMSTART
	v_cvt_f32_f16 v3, v3;
	;;#ASMEND
	v_fmac_f32_e32 v37, v1, v2
	v_fmac_f32_e32 v40, v0, v3
	ds_read_b64 v[0:1], v5 offset:128
	v_accvgpr_read_b32 v3, a50
	v_and_b32_e32 v3, 0xffff, v3
	v_accvgpr_read_b32 v4, a45
	v_and_b32_e32 v4, 0xffff, v4
	s_waitcnt lgkmcnt(0)
	v_lshrrev_b32_e32 v2, 16, v0
	v_and_b32_e32 v0, 0xffff, v0
	;;#ASMSTART
	v_cvt_f32_f16 v0, v0;
	;;#ASMEND
	;;#ASMSTART
	v_cvt_f32_f16 v2, v2;
	;;#ASMEND
	;;#ASMSTART
	v_cvt_f32_f16 v3, v3;
	;;#ASMEND
	;;#ASMSTART
	v_cvt_f32_f16 v4, v4;
	;;#ASMEND
	v_fmac_f32_e32 v28, v0, v3
	v_fmac_f32_e32 v30, v2, v4
	v_lshrrev_b32_e32 v0, 16, v1
	v_and_b32_e32 v1, 0xffff, v1
	v_accvgpr_read_b32 v2, a5
	v_accvgpr_read_b32 v3, a4
	;;#ASMSTART
	v_cvt_f32_f16 v1, v1;
	;;#ASMEND
	;;#ASMSTART
	v_cvt_f32_f16 v0, v0;
	;;#ASMEND
	v_and_b32_e32 v2, 0xffff, v2
	v_and_b32_e32 v3, 0xffff, v3
	;;#ASMSTART
	v_cvt_f32_f16 v2, v2;
	;;#ASMEND
	;;#ASMSTART
	v_cvt_f32_f16 v3, v3;
	;;#ASMEND
	v_fmac_f32_e32 v37, v1, v2
	v_fmac_f32_e32 v40, v0, v3
	ds_read_b64 v[0:1], v5 offset:136
	v_accvgpr_read_b32 v3, a15
	v_and_b32_e32 v3, 0xffff, v3
	v_accvgpr_read_b32 v4, a14
	v_and_b32_e32 v4, 0xffff, v4
	s_waitcnt lgkmcnt(0)
	v_lshrrev_b32_e32 v2, 16, v0
	v_and_b32_e32 v0, 0xffff, v0
	;;#ASMSTART
	v_cvt_f32_f16 v0, v0;
	;;#ASMEND
	;;#ASMSTART
	v_cvt_f32_f16 v2, v2;
	;;#ASMEND
	;;#ASMSTART
	v_cvt_f32_f16 v3, v3;
	;;#ASMEND
	;;#ASMSTART
	v_cvt_f32_f16 v4, v4;
	;;#ASMEND
	v_fmac_f32_e32 v28, v0, v3
	v_fmac_f32_e32 v30, v2, v4
	v_lshrrev_b32_e32 v0, 16, v1
	v_and_b32_e32 v1, 0xffff, v1
	v_accvgpr_read_b32 v2, a8
	v_accvgpr_read_b32 v3, a48
	;;#ASMSTART
	v_cvt_f32_f16 v1, v1;
	;;#ASMEND
	;;#ASMSTART
	v_cvt_f32_f16 v0, v0;
	;;#ASMEND
	v_and_b32_e32 v2, 0xffff, v2
	v_and_b32_e32 v3, 0xffff, v3
	;;#ASMSTART
	v_cvt_f32_f16 v2, v2;
	;;#ASMEND
	;;#ASMSTART
	v_cvt_f32_f16 v3, v3;
	;;#ASMEND
	v_fmac_f32_e32 v37, v1, v2
	v_fmac_f32_e32 v40, v0, v3
	ds_read_b64 v[0:1], v5 offset:144
	v_accvgpr_read_b32 v3, a10
	v_and_b32_e32 v3, 0xffff, v3
	v_accvgpr_read_b32 v4, a46
	v_and_b32_e32 v4, 0xffff, v4
	s_waitcnt lgkmcnt(0)
	v_lshrrev_b32_e32 v2, 16, v0
	v_and_b32_e32 v0, 0xffff, v0
	;;#ASMSTART
	v_cvt_f32_f16 v0, v0;
	;;#ASMEND
	;;#ASMSTART
	v_cvt_f32_f16 v2, v2;
	;;#ASMEND
	;; [unrolled: 3-line block ×4, first 2 shown]
	v_fmac_f32_e32 v28, v0, v3
	v_fmac_f32_e32 v30, v2, v4
	v_accvgpr_read_b32 v2, a37
	v_accvgpr_read_b32 v3, a36
	v_lshrrev_b32_e32 v0, 16, v1
	v_and_b32_e32 v1, 0xffff, v1
	v_and_b32_e32 v2, 0xffff, v2
	;; [unrolled: 1-line block ×3, first 2 shown]
	;;#ASMSTART
	v_cvt_f32_f16 v1, v1;
	;;#ASMEND
	;;#ASMSTART
	v_cvt_f32_f16 v0, v0;
	;;#ASMEND
	;; [unrolled: 3-line block ×4, first 2 shown]
	ds_read_b64 v[34:35], v5 offset:152
	v_fmac_f32_e32 v37, v1, v2
	v_fmac_f32_e32 v40, v0, v3
	v_accvgpr_read_b32 v2, a6
	v_accvgpr_read_b32 v3, a12
	s_waitcnt lgkmcnt(0)
	v_lshrrev_b32_e32 v0, 16, v34
	v_and_b32_e32 v1, 0xffff, v34
	v_and_b32_e32 v2, 0xffff, v2
	;; [unrolled: 1-line block ×3, first 2 shown]
	;;#ASMSTART
	v_cvt_f32_f16 v1, v1;
	;;#ASMEND
	;;#ASMSTART
	v_cvt_f32_f16 v0, v0;
	;;#ASMEND
	;; [unrolled: 3-line block ×4, first 2 shown]
	v_fmac_f32_e32 v28, v1, v2
	v_fmac_f32_e32 v30, v0, v3
	v_lshrrev_b32_e32 v0, 16, v35
	v_and_b32_e32 v1, 0xffff, v35
	v_accvgpr_read_b32 v2, a11
	v_accvgpr_read_b32 v3, a7
	;;#ASMSTART
	v_cvt_f32_f16 v1, v1;
	;;#ASMEND
	;;#ASMSTART
	v_cvt_f32_f16 v0, v0;
	;;#ASMEND
	v_and_b32_e32 v2, 0xffff, v2
	v_and_b32_e32 v3, 0xffff, v3
	;;#ASMSTART
	v_cvt_f32_f16 v2, v2;
	;;#ASMEND
	;;#ASMSTART
	v_cvt_f32_f16 v3, v3;
	;;#ASMEND
	v_fmac_f32_e32 v37, v1, v2
	v_fmac_f32_e32 v40, v0, v3
	ds_read_b64 v[0:1], v5 offset:160
	v_accvgpr_read_b32 v3, a13
	v_and_b32_e32 v3, 0xffff, v3
	v_accvgpr_read_b32 v4, a42
	v_and_b32_e32 v4, 0xffff, v4
	s_waitcnt lgkmcnt(0)
	v_lshrrev_b32_e32 v2, 16, v0
	v_and_b32_e32 v0, 0xffff, v0
	;;#ASMSTART
	v_cvt_f32_f16 v0, v0;
	;;#ASMEND
	;;#ASMSTART
	v_cvt_f32_f16 v2, v2;
	;;#ASMEND
	;; [unrolled: 3-line block ×4, first 2 shown]
	v_fmac_f32_e32 v28, v0, v3
	v_fmac_f32_e32 v30, v2, v4
	v_accvgpr_read_b32 v2, a9
	v_accvgpr_read_b32 v3, a41
	v_lshrrev_b32_e32 v0, 16, v1
	v_and_b32_e32 v1, 0xffff, v1
	v_and_b32_e32 v2, 0xffff, v2
	;; [unrolled: 1-line block ×3, first 2 shown]
	;;#ASMSTART
	v_cvt_f32_f16 v1, v1;
	;;#ASMEND
	;;#ASMSTART
	v_cvt_f32_f16 v0, v0;
	;;#ASMEND
	;; [unrolled: 3-line block ×4, first 2 shown]
	ds_read_b64 v[34:35], v5 offset:168
	v_fmac_f32_e32 v37, v1, v2
	v_fmac_f32_e32 v40, v0, v3
	v_accvgpr_read_b32 v2, a40
	v_accvgpr_read_b32 v3, a43
	s_waitcnt lgkmcnt(0)
	v_lshrrev_b32_e32 v0, 16, v34
	v_and_b32_e32 v1, 0xffff, v34
	v_and_b32_e32 v2, 0xffff, v2
	;; [unrolled: 1-line block ×3, first 2 shown]
	;;#ASMSTART
	v_cvt_f32_f16 v1, v1;
	;;#ASMEND
	;;#ASMSTART
	v_cvt_f32_f16 v0, v0;
	;;#ASMEND
	;;#ASMSTART
	v_cvt_f32_f16 v2, v2;
	;;#ASMEND
	;;#ASMSTART
	v_cvt_f32_f16 v3, v3;
	;;#ASMEND
	v_fmac_f32_e32 v28, v1, v2
	v_fmac_f32_e32 v30, v0, v3
	v_lshrrev_b32_e32 v0, 16, v35
	v_and_b32_e32 v1, 0xffff, v35
	v_accvgpr_read_b32 v2, a35
	v_accvgpr_read_b32 v3, a47
	;;#ASMSTART
	v_cvt_f32_f16 v1, v1;
	;;#ASMEND
	;;#ASMSTART
	v_cvt_f32_f16 v0, v0;
	;;#ASMEND
	v_and_b32_e32 v2, 0xffff, v2
	v_and_b32_e32 v3, 0xffff, v3
	;;#ASMSTART
	v_cvt_f32_f16 v2, v2;
	;;#ASMEND
	;;#ASMSTART
	v_cvt_f32_f16 v3, v3;
	;;#ASMEND
	v_fmac_f32_e32 v37, v1, v2
	v_fmac_f32_e32 v40, v0, v3
	ds_read_b64 v[0:1], v5 offset:176
	v_accvgpr_read_b32 v3, a44
	v_and_b32_e32 v3, 0xffff, v3
	v_accvgpr_read_b32 v4, a3
	v_and_b32_e32 v4, 0xffff, v4
	s_waitcnt lgkmcnt(0)
	v_lshrrev_b32_e32 v2, 16, v0
	v_and_b32_e32 v0, 0xffff, v0
	;;#ASMSTART
	v_cvt_f32_f16 v0, v0;
	;;#ASMEND
	;;#ASMSTART
	v_cvt_f32_f16 v2, v2;
	;;#ASMEND
	;;#ASMSTART
	v_cvt_f32_f16 v3, v3;
	;;#ASMEND
	;;#ASMSTART
	v_cvt_f32_f16 v4, v4;
	;;#ASMEND
	v_fmac_f32_e32 v28, v0, v3
	v_fmac_f32_e32 v30, v2, v4
	v_lshrrev_b32_e32 v0, 16, v1
	v_and_b32_e32 v1, 0xffff, v1
	v_accvgpr_read_b32 v2, a0
	v_accvgpr_read_b32 v3, a39
	;;#ASMSTART
	v_cvt_f32_f16 v1, v1;
	;;#ASMEND
	;;#ASMSTART
	v_cvt_f32_f16 v0, v0;
	;;#ASMEND
	v_and_b32_e32 v2, 0xffff, v2
	v_and_b32_e32 v3, 0xffff, v3
	;;#ASMSTART
	v_cvt_f32_f16 v2, v2;
	;;#ASMEND
	;;#ASMSTART
	v_cvt_f32_f16 v3, v3;
	;;#ASMEND
	v_fmac_f32_e32 v37, v1, v2
	v_fmac_f32_e32 v40, v0, v3
	ds_read_b64 v[0:1], v5 offset:184
	v_accvgpr_read_b32 v3, a2
	v_and_b32_e32 v3, 0xffff, v3
	v_accvgpr_read_b32 v4, a18
	v_and_b32_e32 v4, 0xffff, v4
	s_waitcnt lgkmcnt(0)
	v_lshrrev_b32_e32 v2, 16, v0
	v_and_b32_e32 v0, 0xffff, v0
	;; [unrolled: 42-line block ×6, first 2 shown]
	;;#ASMSTART
	v_cvt_f32_f16 v0, v0;
	;;#ASMEND
	;;#ASMSTART
	v_cvt_f32_f16 v2, v2;
	;;#ASMEND
	;; [unrolled: 3-line block ×4, first 2 shown]
	v_fmac_f32_e32 v28, v0, v3
	v_fmac_f32_e32 v30, v2, v4
	v_lshrrev_b32_e32 v0, 16, v1
	v_and_b32_e32 v1, 0xffff, v1
	v_accvgpr_read_b32 v2, a33
	v_accvgpr_read_b32 v3, a27
	;;#ASMSTART
	v_cvt_f32_f16 v1, v1;
	;;#ASMEND
	;;#ASMSTART
	v_cvt_f32_f16 v0, v0;
	;;#ASMEND
	v_and_b32_e32 v2, 0xffff, v2
	v_and_b32_e32 v3, 0xffff, v3
	;;#ASMSTART
	v_cvt_f32_f16 v2, v2;
	;;#ASMEND
	;;#ASMSTART
	v_cvt_f32_f16 v3, v3;
	;;#ASMEND
	v_fmac_f32_e32 v37, v1, v2
	v_fmac_f32_e32 v40, v0, v3
	ds_read_b64 v[0:1], v5 offset:224
	s_waitcnt lgkmcnt(0)
	v_lshrrev_b32_e32 v2, 16, v0
	v_and_b32_e32 v0, 0xffff, v0
	;;#ASMSTART
	v_cvt_f32_f16 v0, v0;
	;;#ASMEND
	;;#ASMSTART
	v_cvt_f32_f16 v2, v2;
	;;#ASMEND
	buffer_load_dword v3, off, s[0:3], s32 offset:612 ; 4-byte Folded Reload
	s_waitcnt vmcnt(0)
	v_and_b32_e32 v3, 0xffff, v3
	;;#ASMSTART
	v_cvt_f32_f16 v3, v3;
	;;#ASMEND
	buffer_load_dword v4, off, s[0:3], s32 offset:608 ; 4-byte Folded Reload
	v_fmac_f32_e32 v28, v0, v3
	v_lshrrev_b32_e32 v0, 16, v1
	v_and_b32_e32 v1, 0xffff, v1
	s_waitcnt vmcnt(0)
	v_and_b32_e32 v4, 0xffff, v4
	;;#ASMSTART
	v_cvt_f32_f16 v4, v4;
	;;#ASMEND
	v_fmac_f32_e32 v30, v2, v4
	;;#ASMSTART
	v_cvt_f32_f16 v1, v1;
	;;#ASMEND
	;;#ASMSTART
	v_cvt_f32_f16 v0, v0;
	;;#ASMEND
	buffer_load_dword v2, off, s[0:3], s32 offset:604 ; 4-byte Folded Reload
	s_waitcnt vmcnt(0)
	v_and_b32_e32 v2, 0xffff, v2
	;;#ASMSTART
	v_cvt_f32_f16 v2, v2;
	;;#ASMEND
	buffer_load_dword v3, off, s[0:3], s32 offset:600 ; 4-byte Folded Reload
	v_fmac_f32_e32 v37, v1, v2
	s_waitcnt vmcnt(0)
	v_and_b32_e32 v3, 0xffff, v3
	;;#ASMSTART
	v_cvt_f32_f16 v3, v3;
	;;#ASMEND
	v_fmac_f32_e32 v40, v0, v3
	ds_read_b64 v[0:1], v5 offset:232
	s_waitcnt lgkmcnt(0)
	v_lshrrev_b32_e32 v2, 16, v0
	v_and_b32_e32 v0, 0xffff, v0
	;;#ASMSTART
	v_cvt_f32_f16 v0, v0;
	;;#ASMEND
	;;#ASMSTART
	v_cvt_f32_f16 v2, v2;
	;;#ASMEND
	buffer_load_dword v3, off, s[0:3], s32 offset:596 ; 4-byte Folded Reload
	s_waitcnt vmcnt(0)
	v_and_b32_e32 v3, 0xffff, v3
	;;#ASMSTART
	v_cvt_f32_f16 v3, v3;
	;;#ASMEND
	buffer_load_dword v4, off, s[0:3], s32 offset:592 ; 4-byte Folded Reload
	v_fmac_f32_e32 v28, v0, v3
	v_lshrrev_b32_e32 v0, 16, v1
	v_and_b32_e32 v1, 0xffff, v1
	s_waitcnt vmcnt(0)
	v_and_b32_e32 v4, 0xffff, v4
	;;#ASMSTART
	v_cvt_f32_f16 v4, v4;
	;;#ASMEND
	v_fmac_f32_e32 v30, v2, v4
	;;#ASMSTART
	v_cvt_f32_f16 v1, v1;
	;;#ASMEND
	;;#ASMSTART
	v_cvt_f32_f16 v0, v0;
	;;#ASMEND
	buffer_load_dword v2, off, s[0:3], s32 offset:588 ; 4-byte Folded Reload
	s_waitcnt vmcnt(0)
	v_and_b32_e32 v2, 0xffff, v2
	;;#ASMSTART
	v_cvt_f32_f16 v2, v2;
	;;#ASMEND
	buffer_load_dword v3, off, s[0:3], s32 offset:584 ; 4-byte Folded Reload
	v_fmac_f32_e32 v37, v1, v2
	s_waitcnt vmcnt(0)
	v_and_b32_e32 v3, 0xffff, v3
	;;#ASMSTART
	v_cvt_f32_f16 v3, v3;
	;;#ASMEND
	;; [unrolled: 46-line block ×3, first 2 shown]
	v_fmac_f32_e32 v40, v0, v3
	ds_read_b64 v[0:1], v5 offset:248
	v_accvgpr_read_b32 v3, a49
	v_and_b32_e32 v3, 0xffff, v3
	s_waitcnt lgkmcnt(0)
	v_lshrrev_b32_e32 v2, 16, v0
	v_and_b32_e32 v0, 0xffff, v0
	;;#ASMSTART
	v_cvt_f32_f16 v0, v0;
	;;#ASMEND
	;;#ASMSTART
	v_cvt_f32_f16 v2, v2;
	;;#ASMEND
	;; [unrolled: 3-line block ×3, first 2 shown]
	buffer_load_dword v4, off, s[0:3], s32 offset:260 ; 4-byte Folded Reload
	v_fmac_f32_e32 v28, v0, v3
	v_lshrrev_b32_e32 v0, 16, v1
	v_and_b32_e32 v1, 0xffff, v1
	s_waitcnt vmcnt(0)
	v_and_b32_e32 v4, 0xffff, v4
	;;#ASMSTART
	v_cvt_f32_f16 v4, v4;
	;;#ASMEND
	v_fmac_f32_e32 v30, v2, v4
	;;#ASMSTART
	v_cvt_f32_f16 v1, v1;
	;;#ASMEND
	;;#ASMSTART
	v_cvt_f32_f16 v0, v0;
	;;#ASMEND
	buffer_load_dword v2, off, s[0:3], s32 offset:256 ; 4-byte Folded Reload
	s_waitcnt vmcnt(0)
	v_and_b32_e32 v2, 0xffff, v2
	;;#ASMSTART
	v_cvt_f32_f16 v2, v2;
	;;#ASMEND
	buffer_load_dword v3, off, s[0:3], s32 offset:252 ; 4-byte Folded Reload
	v_fmac_f32_e32 v37, v1, v2
	s_waitcnt vmcnt(0)
	v_and_b32_e32 v3, 0xffff, v3
	;;#ASMSTART
	v_cvt_f32_f16 v3, v3;
	;;#ASMEND
	v_fmac_f32_e32 v40, v0, v3
	buffer_load_dword v3, off, s[0:3], s32 offset:636 ; 4-byte Folded Reload
	v_add_f32_e32 v0, v28, v30
	v_add_f32_e32 v0, v0, v37
	;; [unrolled: 1-line block ×3, first 2 shown]
	s_waitcnt vmcnt(0)
	v_and_b32_e32 v2, 64, v3
	v_xor_b32_e32 v1, 1, v3
	v_add_u32_e32 v2, 64, v2
	v_cmp_lt_i32_e32 vcc, v1, v2
	v_cndmask_b32_e32 v1, v3, v1, vcc
	v_lshlrev_b32_e32 v1, 2, v1
	ds_bpermute_b32 v1, v1, v0
	s_and_saveexec_b64 s[34:35], s[8:9]
	s_cbranch_execz .LBB310_11
; %bb.785:                              ;   in Loop: Header=BB310_13 Depth=1
	buffer_load_dword v2, off, s[0:3], s32 offset:668 ; 4-byte Folded Reload
	buffer_load_dword v4, off, s[0:3], s32 offset:664 ; 4-byte Folded Reload
	v_accvgpr_read_b32 v3, a1
	s_waitcnt lgkmcnt(0)
	v_add_f32_e32 v0, v0, v1
	s_load_dword vcc_lo, s[28:29], 0x0
	buffer_load_dword v1, off, s[0:3], s32 offset:660 ; 4-byte Folded Reload
	s_waitcnt vmcnt(2)
	v_add_u32_e32 v2, v2, v3
	s_waitcnt vmcnt(1)
	v_add_u32_e32 v3, v4, v3
	buffer_load_dword v4, off, s[0:3], s32 offset:656 ; 4-byte Folded Reload
	v_cvt_f32_i32_e32 v2, v2
	s_waitcnt vmcnt(0)
	v_mul_f32_e32 v2, v4, v2
	v_cndmask_b32_e64 v2, 0, v2, s[10:11]
	v_fmac_f32_e32 v2, v0, v1
	buffer_load_dword v0, off, s[0:3], s32 offset:204 ; 4-byte Folded Reload
	buffer_load_dword v1, off, s[0:3], s32 offset:208 ; 4-byte Folded Reload
	;; [unrolled: 1-line block ×3, first 2 shown]
	v_accvgpr_read_b32 v4, a32
	s_waitcnt lgkmcnt(0)
	v_add_u32_e32 v4, vcc_lo, v4
	s_waitcnt vmcnt(2)
	v_cmp_lt_i32_e32 vcc, v3, v0
	v_cndmask_b32_e32 v0, 0, v2, vcc
	ds_write_b32 v4, v0
	s_waitcnt vmcnt(0)
	v_max_f32_e32 v0, v1, v1
	v_max_f32_e32 v0, v0, v2
	v_cndmask_b32_e32 v1, v1, v0, vcc
	buffer_store_dword v1, off, s[0:3], s32 offset:628 ; 4-byte Folded Spill
	s_branch .LBB310_11
.LBB310_786:
	s_or_b64 exec, exec, s[30:31]
	buffer_load_dword v38, off, s[0:3], s32 offset:736 ; 4-byte Folded Reload
	buffer_load_dword v15, off, s[0:3], s32 offset:748 ; 4-byte Folded Reload
	;; [unrolled: 1-line block ×16, first 2 shown]
	v_mbcnt_lo_u32_b32 v6, -1, 0
.LBB310_787:
	s_or_b64 exec, exec, s[26:27]
	v_mbcnt_hi_u32_b32 v0, -1, v6
	v_and_b32_e32 v1, 64, v0
	v_add_u32_e32 v1, 64, v1
	v_xor_b32_e32 v2, 32, v0
	v_cmp_lt_i32_e32 vcc, v2, v1
	v_cndmask_b32_e32 v2, v0, v2, vcc
	v_lshlrev_b32_e32 v2, 2, v2
	s_waitcnt vmcnt(0)
	ds_bpermute_b32 v3, v2, v7
	v_xor_b32_e32 v5, 16, v0
	v_max_f32_e32 v4, v7, v7
	v_cmp_lt_i32_e32 vcc, v5, v1
	v_xor_b32_e32 v6, 8, v0
	s_waitcnt lgkmcnt(0)
	v_max_f32_e32 v3, v3, v3
	v_max_f32_e32 v4, v4, v3
	v_cndmask_b32_e32 v3, v0, v5, vcc
	v_lshlrev_b32_e32 v3, 2, v3
	ds_bpermute_b32 v5, v3, v4
	v_cmp_lt_i32_e32 vcc, v6, v1
	v_xor_b32_e32 v7, 4, v0
	v_xor_b32_e32 v8, 2, v0
	s_lshr_b32 s30, s40, 16
	s_waitcnt lgkmcnt(0)
	v_max_f32_e32 v5, v5, v5
	v_max_f32_e32 v5, v4, v5
	v_cndmask_b32_e32 v4, v0, v6, vcc
	v_lshlrev_b32_e32 v4, 2, v4
	ds_bpermute_b32 v6, v4, v5
	v_cmp_lt_i32_e32 vcc, v7, v1
	s_waitcnt lgkmcnt(0)
	v_max_f32_e32 v6, v6, v6
	v_max_f32_e32 v6, v5, v6
	v_cndmask_b32_e32 v5, v0, v7, vcc
	v_lshlrev_b32_e32 v5, 2, v5
	ds_bpermute_b32 v7, v5, v6
	v_cmp_lt_i32_e32 vcc, v8, v1
	s_waitcnt lgkmcnt(0)
	v_max_f32_e32 v7, v7, v7
	v_max_f32_e32 v7, v6, v7
	v_cndmask_b32_e32 v6, v0, v8, vcc
	v_lshlrev_b32_e32 v31, 2, v6
	buffer_load_dword v6, off, s[0:3], s32 offset:616 ; 4-byte Folded Reload
	ds_bpermute_b32 v8, v31, v7
	s_waitcnt vmcnt(0)
	v_and_b32_e32 v29, 63, v6
	v_cmp_eq_u32_e32 vcc, 0, v29
	v_lshlrev_b32_e32 v6, 2, v21
	s_and_saveexec_b64 s[8:9], vcc
	s_cbranch_execz .LBB310_789
; %bb.788:
	s_waitcnt lgkmcnt(0)
	v_max_f32_e32 v8, v8, v8
	v_max_f32_e32 v7, v7, v7
	;; [unrolled: 1-line block ×3, first 2 shown]
	ds_write_b32 v6, v7 offset:512
.LBB310_789:
	s_or_b64 exec, exec, s[8:9]
	v_cmp_gt_u32_e64 s[8:9], 2, v29
	s_waitcnt lgkmcnt(0)
	v_mov_b32_e32 v8, 0xff7fffff
	v_lshlrev_b32_e32 v7, 2, v29
	s_barrier
	s_and_saveexec_b64 s[10:11], s[8:9]
	s_cbranch_execz .LBB310_791
; %bb.790:
	ds_read_b32 v8, v7 offset:512
.LBB310_791:
	s_or_b64 exec, exec, s[10:11]
	v_xor_b32_e32 v9, 1, v0
	v_cmp_lt_i32_e64 s[10:11], v9, v1
	v_cndmask_b32_e64 v1, v0, v9, s[10:11]
	buffer_load_dword v9, off, s[0:3], s32 offset:228 ; 4-byte Folded Reload
	buffer_load_dword v10, off, s[0:3], s32 offset:204 ; 4-byte Folded Reload
	;; [unrolled: 1-line block ×3, first 2 shown]
	v_lshlrev_b32_e32 v35, 2, v1
	s_waitcnt lgkmcnt(0)
	ds_bpermute_b32 v1, v35, v8
	v_max_f32_e32 v8, v8, v8
	v_lshlrev_b32_e32 v0, 2, v0
	s_waitcnt lgkmcnt(0)
	v_max_f32_e32 v1, v1, v1
	v_max_f32_e32 v1, v8, v1
	v_and_b32_e32 v8, 0x100, v0
	ds_bpermute_b32 v0, v8, v1
	s_waitcnt vmcnt(2)
	v_subrev_u32_e32 v9, s21, v9
	v_lshl_add_u32 v9, v9, 5, s25
	s_waitcnt vmcnt(1)
	v_min_i32_e32 v9, v9, v10
	buffer_load_dword v10, off, s[0:3], s32 offset:616 ; 4-byte Folded Reload
	v_subrev_u32_e32 v1, s25, v9
	s_waitcnt vmcnt(0)
	v_cmp_lt_i32_e64 s[10:11], v10, v1
	v_mov_b32_e32 v10, 0
	s_and_saveexec_b64 s[26:27], s[10:11]
	s_cbranch_execz .LBB310_795
; %bb.792:
	buffer_load_dword v12, off, s[0:3], s32 offset:616 ; 4-byte Folded Reload
	s_ashr_i32 s23, s22, 31
	s_lshl_b64 s[16:17], s[22:23], 2
	s_getpc_b64 s[28:29]
	s_add_u32 s28, s28, llvm.amdgcn.dynlds.offset.table@rel32@lo+4
	s_addc_u32 s29, s29, llvm.amdgcn.dynlds.offset.table@rel32@hi+12
	s_add_u32 s16, s16, s28
	s_addc_u32 s17, s17, s29
	s_load_dword s16, s[16:17], 0x0
	s_mov_b64 s[28:29], 0
	v_mov_b32_e32 v10, 0
	s_waitcnt vmcnt(0) lgkmcnt(0)
	v_lshl_add_u32 v11, v12, 2, s16
.LBB310_793:                            ; =>This Inner Loop Header: Depth=1
	ds_read_b32 v13, v11
	v_add_u32_e32 v12, 0x80, v12
	v_cmp_ge_i32_e64 s[16:17], v12, v1
	s_or_b64 s[28:29], s[16:17], s[28:29]
	s_waitcnt lgkmcnt(0)
	v_sub_f32_e32 v13, v13, v0
	v_mul_f32_e32 v13, 0x3fb8aa3b, v13
	v_exp_f32_e32 v13, v13
	ds_write_b32 v11, v13
	v_add_f32_e32 v10, v10, v13
	v_add_u32_e32 v11, 0x200, v11
	s_andn2_b64 exec, exec, s[28:29]
	s_cbranch_execnz .LBB310_793
; %bb.794:
	s_or_b64 exec, exec, s[28:29]
.LBB310_795:
	s_or_b64 exec, exec, s[26:27]
	ds_bpermute_b32 v2, v2, v10
	s_waitcnt lgkmcnt(0)
	v_add_f32_e32 v2, v10, v2
	ds_bpermute_b32 v3, v3, v2
	s_waitcnt lgkmcnt(0)
	v_add_f32_e32 v2, v2, v3
	;; [unrolled: 3-line block ×6, first 2 shown]
	s_and_saveexec_b64 s[16:17], vcc
	s_cbranch_execz .LBB310_797
; %bb.796:
	ds_write_b32 v6, v2 offset:520
.LBB310_797:
	s_or_b64 exec, exec, s[16:17]
	s_waitcnt lgkmcnt(0)
	s_barrier
	s_and_saveexec_b64 s[16:17], s[8:9]
	s_cbranch_execz .LBB310_799
; %bb.798:
	ds_read_b32 v2, v7 offset:520
.LBB310_799:
	s_or_b64 exec, exec, s[16:17]
	s_waitcnt lgkmcnt(0)
	ds_bpermute_b32 v3, v35, v2
	s_waitcnt lgkmcnt(0)
	v_add_f32_e32 v2, v2, v3
	ds_bpermute_b32 v2, v8, v2
	s_and_saveexec_b64 s[8:9], s[10:11]
	s_cbranch_execz .LBB310_812
; %bb.800:
	s_waitcnt lgkmcnt(0)
	v_add_f32_e32 v3, 0x358637bd, v2
	v_div_scale_f32 v4, s[10:11], v3, v3, 1.0
	v_rcp_f32_e32 v5, v4
	v_div_scale_f32 v6, vcc, 1.0, v3, 1.0
	s_movk_i32 s10, 0x7f
	v_fma_f32 v7, -v4, v5, 1.0
	v_fmac_f32_e32 v5, v7, v5
	v_mul_f32_e32 v7, v6, v5
	v_fma_f32 v8, -v4, v7, v6
	v_fmac_f32_e32 v7, v8, v5
	v_fma_f32 v4, -v4, v7, v6
	v_div_fmas_f32 v4, v4, v5, v7
	buffer_load_dword v5, off, s[0:3], s32 offset:616 ; 4-byte Folded Reload
	v_div_fixup_f32 v8, v4, v3, 1.0
	s_mov_b64 s[16:17], -1
	s_waitcnt vmcnt(0)
	v_xad_u32 v3, v5, -1, v9
	v_subrev_u32_e32 v4, s25, v3
	v_cmp_lt_u32_e32 vcc, s10, v4
	v_mov_b32_e32 v3, v5
	s_and_saveexec_b64 s[10:11], vcc
	s_cbranch_execz .LBB310_809
; %bb.801:
	v_lshrrev_b32_e32 v3, 7, v4
	v_add_u32_e32 v5, -1, v3
	v_lshrrev_b32_e32 v4, 1, v5
	v_mov_b32_e32 v9, v8
	v_add_u32_e32 v4, 1, v4
	v_cmp_lt_u32_e32 vcc, 13, v5
	v_mov_b32_e32 v7, 0
	s_and_saveexec_b64 s[16:17], vcc
	s_cbranch_execz .LBB310_805
; %bb.802:
	buffer_load_dword v6, off, s[0:3], s32 offset:616 ; 4-byte Folded Reload
	s_ashr_i32 s23, s22, 31
	s_lshl_b64 s[26:27], s[22:23], 2
	s_getpc_b64 s[28:29]
	s_add_u32 s28, s28, llvm.amdgcn.dynlds.offset.table@rel32@lo+4
	s_addc_u32 s29, s29, llvm.amdgcn.dynlds.offset.table@rel32@hi+12
	s_add_u32 s26, s26, s28
	s_addc_u32 s27, s27, s29
	s_load_dword s23, s[26:27], 0x0
	v_and_b32_e32 v5, -8, v4
	s_mov_b32 s21, 0
	s_mov_b64 s[26:27], 0
	s_waitcnt vmcnt(0) lgkmcnt(0)
	v_lshl_add_u32 v6, v6, 2, s23
.LBB310_803:                            ; =>This Inner Loop Header: Depth=1
	ds_read2st64_b32 v[10:11], v6 offset1:2
	ds_read2st64_b32 v[12:13], v6 offset0:4 offset1:6
	ds_read2st64_b32 v[18:19], v6 offset0:8 offset1:10
	;; [unrolled: 1-line block ×3, first 2 shown]
	v_add_u32_e32 v5, -8, v5
	s_waitcnt lgkmcnt(3)
	v_pk_mul_f32 v[10:11], v[8:9], v[10:11]
	s_waitcnt lgkmcnt(2)
	v_pk_mul_f32 v[12:13], v[8:9], v[12:13]
	ds_write2st64_b32 v6, v10, v11 offset1:2
	ds_write2st64_b32 v6, v12, v13 offset0:4 offset1:6
	ds_read2st64_b32 v[12:13], v6 offset0:16 offset1:18
	s_waitcnt lgkmcnt(4)
	v_pk_mul_f32 v[10:11], v[8:9], v[18:19]
	ds_write2st64_b32 v6, v10, v11 offset0:8 offset1:10
	s_waitcnt lgkmcnt(4)
	v_pk_mul_f32 v[10:11], v[8:9], v[16:17]
	ds_write2st64_b32 v6, v10, v11 offset0:12 offset1:14
	ds_read2st64_b32 v[10:11], v6 offset0:20 offset1:22
	s_waitcnt lgkmcnt(3)
	v_pk_mul_f32 v[12:13], v[8:9], v[12:13]
	ds_read2st64_b32 v[16:17], v6 offset0:24 offset1:26
	ds_write2st64_b32 v6, v12, v13 offset0:16 offset1:18
	ds_read2st64_b32 v[12:13], v6 offset0:28 offset1:30
	s_waitcnt lgkmcnt(3)
	v_pk_mul_f32 v[10:11], v[8:9], v[10:11]
	ds_write2st64_b32 v6, v10, v11 offset0:20 offset1:22
	s_waitcnt lgkmcnt(3)
	v_pk_mul_f32 v[10:11], v[8:9], v[16:17]
	ds_write2st64_b32 v6, v10, v11 offset0:24 offset1:26
	s_waitcnt lgkmcnt(2)
	v_pk_mul_f32 v[10:11], v[8:9], v[12:13]
	s_add_i32 s21, s21, 16
	v_cmp_eq_u32_e32 vcc, 0, v5
	ds_write2st64_b32 v6, v10, v11 offset0:28 offset1:30
	v_add_u32_e32 v6, 0x2000, v6
	s_or_b64 s[26:27], vcc, s[26:27]
	v_mov_b32_e32 v7, s21
	s_andn2_b64 exec, exec, s[26:27]
	s_cbranch_execnz .LBB310_803
; %bb.804:
	s_or_b64 exec, exec, s[26:27]
.LBB310_805:
	s_or_b64 exec, exec, s[16:17]
	v_and_b32_e32 v4, 7, v4
	v_cmp_ne_u32_e32 vcc, 0, v4
	s_and_saveexec_b64 s[16:17], vcc
	s_cbranch_execz .LBB310_808
; %bb.806:
	buffer_load_dword v6, off, s[0:3], s32 offset:616 ; 4-byte Folded Reload
	s_ashr_i32 s23, s22, 31
	s_lshl_b64 s[26:27], s[22:23], 2
	s_getpc_b64 s[28:29]
	s_add_u32 s28, s28, llvm.amdgcn.dynlds.offset.table@rel32@lo+4
	s_addc_u32 s29, s29, llvm.amdgcn.dynlds.offset.table@rel32@hi+12
	s_add_u32 s26, s26, s28
	s_addc_u32 s27, s27, s29
	s_load_dword s21, s[26:27], 0x0
	v_lshlrev_b32_e32 v5, 9, v7
	s_mov_b64 s[26:27], 0
	s_waitcnt vmcnt(0)
	v_lshlrev_b32_e32 v6, 2, v6
	s_waitcnt lgkmcnt(0)
	v_add3_u32 v5, v5, v6, s21
.LBB310_807:                            ; =>This Inner Loop Header: Depth=1
	ds_read2st64_b32 v[6:7], v5 offset1:2
	v_add_u32_e32 v4, -1, v4
	v_cmp_eq_u32_e32 vcc, 0, v4
	s_or_b64 s[26:27], vcc, s[26:27]
	s_waitcnt lgkmcnt(0)
	v_pk_mul_f32 v[6:7], v[8:9], v[6:7]
	ds_write2st64_b32 v5, v6, v7 offset1:2
	v_add_u32_e32 v5, 0x400, v5
	s_andn2_b64 exec, exec, s[26:27]
	s_cbranch_execnz .LBB310_807
.LBB310_808:
	s_or_b64 exec, exec, s[16:17]
	v_add_u32_e32 v4, 1, v3
	buffer_load_dword v3, off, s[0:3], s32 offset:616 ; 4-byte Folded Reload
	v_and_b32_e32 v5, 0x3fffffe, v4
	v_cmp_ne_u32_e32 vcc, v4, v5
	s_orn2_b64 s[16:17], vcc, exec
	s_waitcnt vmcnt(0)
	v_lshl_add_u32 v3, v5, 7, v3
.LBB310_809:
	s_or_b64 exec, exec, s[10:11]
	s_and_b64 exec, exec, s[16:17]
	s_cbranch_execz .LBB310_812
; %bb.810:
	s_ashr_i32 s23, s22, 31
	s_lshl_b64 s[10:11], s[22:23], 2
	s_getpc_b64 s[16:17]
	s_add_u32 s16, s16, llvm.amdgcn.dynlds.offset.table@rel32@lo+4
	s_addc_u32 s17, s17, llvm.amdgcn.dynlds.offset.table@rel32@hi+12
	s_add_u32 s10, s10, s16
	s_addc_u32 s11, s11, s17
	s_load_dword s10, s[10:11], 0x0
	s_waitcnt lgkmcnt(0)
	v_lshl_add_u32 v4, v3, 2, s10
	s_mov_b64 s[10:11], 0
.LBB310_811:                            ; =>This Inner Loop Header: Depth=1
	ds_read_b32 v5, v4
	v_add_u32_e32 v3, 0x80, v3
	v_cmp_ge_i32_e32 vcc, v3, v1
	s_or_b64 s[10:11], vcc, s[10:11]
	s_waitcnt lgkmcnt(0)
	v_mul_f32_e32 v5, v8, v5
	ds_write_b32 v4, v5
	v_add_u32_e32 v4, 0x200, v4
	s_andn2_b64 exec, exec, s[10:11]
	s_cbranch_execnz .LBB310_811
.LBB310_812:
	s_or_b64 exec, exec, s[8:9]
	s_waitcnt lgkmcnt(0)
	s_barrier
	buffer_load_dword v1, off, s[0:3], s32 offset:616 ; 4-byte Folded Reload
	v_cmp_ne_u16_e64 s[8:9], s30, 0
	s_cmp_lg_u64 s[8:9], 0
	s_addc_u32 s21, s13, 0
	s_mul_i32 s8, s21, s24
	s_mul_i32 s8, s8, s15
	s_waitcnt vmcnt(0)
	v_cmp_eq_u32_e32 vcc, 0, v1
	s_and_saveexec_b64 s[10:11], vcc
	s_cbranch_execz .LBB310_814
; %bb.813:
	s_mul_i32 s12, s21, s12
	s_ashr_i32 s9, s8, 31
	s_ashr_i32 s13, s12, 31
	;; [unrolled: 1-line block ×3, first 2 shown]
	s_lshl_b64 s[16:17], s[8:9], 2
	s_lshl_b64 s[12:13], s[12:13], 2
	;; [unrolled: 1-line block ×3, first 2 shown]
	s_add_u32 s9, s24, s12
	s_addc_u32 s12, s25, s13
	s_add_u32 s9, s9, s16
	s_addc_u32 s12, s12, s17
	v_mov_b32_e32 v1, s12
	v_add_co_u32_e32 v4, vcc, s9, v36
	v_addc_co_u32_e32 v5, vcc, v1, v27, vcc
	flat_store_dword v[4:5], v0
	v_add_co_u32_e32 v0, vcc, s9, v25
	v_addc_co_u32_e32 v1, vcc, v1, v24, vcc
	flat_store_dword v[0:1], v2
.LBB310_814:
	s_or_b64 exec, exec, s[10:11]
	buffer_load_dword v0, off, s[0:3], s32 offset:616 ; 4-byte Folded Reload
	s_ashr_i32 s23, s22, 31
	v_mov_b32_e32 v5, 0
	s_lshl_b64 s[10:11], s[22:23], 2
	v_mov_b32_e32 v4, 0
	v_accvgpr_write_b32 a25, v5
	s_getpc_b64 s[12:13]
	s_add_u32 s12, s12, llvm.amdgcn.dynlds.offset.table@rel32@lo+4
	s_addc_u32 s13, s13, llvm.amdgcn.dynlds.offset.table@rel32@hi+12
	v_accvgpr_write_b32 a24, v4
	v_mov_b32_e32 v5, 0
	s_add_u32 s10, s10, s12
	v_mov_b32_e32 v4, 0
	v_accvgpr_write_b32 a23, v5
	s_addc_u32 s11, s11, s13
	v_mov_b32_e32 v36, 0
	v_mov_b32_e32 v37, 0
	v_mov_b32_e32 v32, 0
	v_mov_b32_e32 v33, 0
	v_mov_b32_e32 v1, 0
	v_mov_b32_e32 v24, 0
	v_mov_b32_e32 v25, 0
	v_mov_b32_e32 v2, 0
	v_mov_b32_e32 v3, 0
	v_mov_b32_e32 v8, 0
	v_mov_b32_e32 v9, 0
	v_accvgpr_write_b32 a22, v4
	s_waitcnt vmcnt(0)
	v_and_b32_e32 v0, 3, v0
	v_accvgpr_write_b32 a20, v0
	v_mov_b32_e32 v0, 0
	s_and_saveexec_b64 s[12:13], s[6:7]
	s_cbranch_execz .LBB310_1620
; %bb.815:
	v_add_co_u32_e32 v0, vcc, v26, v20
	v_addc_co_u32_e32 v1, vcc, v22, v23, vcc
	v_accvgpr_write_b32 a27, v1
	v_accvgpr_write_b32 a26, v0
	v_add_u32_e32 v0, -1, v28
	v_and_b32_e32 v2, 0x1f8, v34
	v_accvgpr_write_b32 a21, v0
	v_or_b32_e32 v0, 0x1000, v2
	v_accvgpr_write_b32 a32, v0
	buffer_load_dword v0, off, s[0:3], s32 offset:684 ; 4-byte Folded Reload
	v_or_b32_e32 v4, 0x1200, v2
	v_accvgpr_write_b32 a34, v4
	v_or_b32_e32 v4, 0x1400, v2
	v_accvgpr_write_b32 a36, v4
	;; [unrolled: 2-line block ×6, first 2 shown]
	v_or_b32_e32 v2, 0x1e00, v34
	s_load_dword s6, s[10:11], 0x0
	v_accvgpr_write_b32 a46, v2
	buffer_load_dword v2, off, s[0:3], s32 offset:204 ; 4-byte Folded Reload
	buffer_load_dword v3, off, s[0:3], s32 offset:208 ; 4-byte Folded Reload
	v_and_b32_e32 v62, 24, v34
	s_mov_b32 s16, -1
	v_accvgpr_write_b32 a19, v35
	v_accvgpr_write_b32 a18, v31
	;; [unrolled: 1-line block ×4, first 2 shown]
	s_mov_b32 s17, 0xffffff
	v_mov_b32_e32 v31, 0
	v_accvgpr_write_b32 a42, v4
	s_mov_b64 s[22:23], 0
	s_movk_i32 s9, 0x80
	s_movk_i32 s15, 0x7f
	s_mov_b32 s34, 0x8000
	s_movk_i32 s35, 0x380
	s_mov_b32 s36, 0x3020706
	s_mov_b32 s37, 0x1000504
	;; [unrolled: 1-line block ×3, first 2 shown]
	v_mov_b32_e32 v35, 0x2000
	v_mov_b32_e32 v9, 0
	;; [unrolled: 1-line block ×9, first 2 shown]
	v_accvgpr_write_b32 a15, v62
	s_waitcnt vmcnt(0)
	v_max_i32_e32 v5, v30, v0
	v_cvt_f32_u32_e32 v0, v5
	v_sub_u32_e32 v1, 0, v5
	v_rcp_iflag_f32_e32 v0, v0
	v_mul_f32_e32 v0, 0x4f7ffffe, v0
	v_cvt_u32_f32_e32 v0, v0
	v_mul_lo_u32 v1, v1, v0
	v_mul_hi_u32 v1, v0, v1
	v_add_u32_e32 v0, v0, v1
	v_accvgpr_write_b32 a48, v0
	buffer_load_dword v0, off, s[0:3], s32 offset:212 ; 4-byte Folded Reload
	buffer_load_dword v1, off, s[0:3], s32 offset:216 ; 4-byte Folded Reload
	v_mov_b32_e32 v7, v2
	buffer_load_dword v2, off, s[0:3], s32 offset:676 ; 4-byte Folded Reload
	buffer_load_dword v3, off, s[0:3], s32 offset:680 ; 4-byte Folded Reload
	;; [unrolled: 1-line block ×3, first 2 shown]
	s_waitcnt vmcnt(0)
	v_lshlrev_b64 v[0:1], 2, v[0:1]
	v_add_co_u32_e32 v0, vcc, v2, v0
	v_addc_co_u32_e32 v1, vcc, v3, v1, vcc
	v_add_co_u32_e32 v14, vcc, v14, v0
	v_accvgpr_read_b32 v0, a20
	v_lshlrev_b32_e32 v0, 5, v0
	v_addc_co_u32_e32 v15, vcc, v15, v1, vcc
	v_lshl_or_b32 v0, v21, 7, v0
	v_mov_b32_e32 v1, 0
	s_waitcnt lgkmcnt(0)
	v_add_u32_e32 v19, s6, v0
	v_mov_b32_e32 v0, 0
	v_accvgpr_write_b32 a23, v1
	v_accvgpr_write_b32 a22, v0
	v_mov_b32_e32 v1, 0
	v_mov_b32_e32 v0, 0
	v_accvgpr_write_b32 a25, v1
	v_accvgpr_write_b32 a24, v0
	v_mov_b32_e32 v3, 0
	v_mov_b32_e32 v2, 0
	;; [unrolled: 1-line block ×4, first 2 shown]
	s_branch .LBB310_818
.LBB310_816:                            ;   in Loop: Header=BB310_818 Depth=1
	s_or_b64 exec, exec, s[6:7]
	v_accvgpr_read_b32 v49, a23
	v_add_f32_e32 v4, v13, v16
	v_accvgpr_read_b32 v48, a22
	v_add_f32_e32 v48, v48, v4
	v_add_f32_e32 v4, v10, v12
	v_accvgpr_read_b32 v12, a24
	v_accvgpr_read_b32 v13, a25
	v_add_f32_e32 v13, v13, v4
	v_add_f32_e32 v4, v23, v27
	;; [unrolled: 1-line block ×11, first 2 shown]
	v_accvgpr_read_b32 v4, a51
	v_add_f32_e32 v4, v4, v22
	v_add_f32_e32 v25, v25, v4
	v_accvgpr_read_b32 v4, a49
	v_accvgpr_read_b32 v6, a50
	v_add_f32_e32 v4, v4, v6
	v_add_f32_e32 v24, v24, v4
	v_accvgpr_read_b32 v4, a45
	;; [unrolled: 4-line block ×7, first 2 shown]
	v_accvgpr_read_b32 v6, a29
	v_add_f32_e32 v4, v4, v6
	v_add_f32_e32 v36, v36, v4
	;;#ASMSTART
	v_pk_mul_f16 v4, v44, v38;

	;;#ASMEND
	;;#ASMSTART
	v_pk_mul_f16 v6, v42, v30;

	;;#ASMEND
	;; [unrolled: 4-line block ×4, first 2 shown]
	;;#ASMSTART
	v_pk_add_f16 v4, v4, v6;

	;;#ASMEND
	;;#ASMSTART
	v_pk_add_f16 v4, v4, v10;

	;;#ASMEND
	;; [unrolled: 4-line block ×3, first 2 shown]
	v_lshrrev_b32_e32 v6, 16, v4
	v_and_b32_e32 v4, 0xffff, v4
	;;#ASMSTART
	v_cvt_f32_f16 v4, v4;
	;;#ASMEND
	;;#ASMSTART
	v_cvt_f32_f16 v6, v6;
	;;#ASMEND
	v_add_f32_e32 v4, v4, v6
	v_accvgpr_write_b32 a25, v13
	v_add_f32_e32 v49, v49, v4
	v_accvgpr_write_b32 a22, v48
	v_accvgpr_write_b32 a24, v12
	;; [unrolled: 1-line block ×3, first 2 shown]
.LBB310_817:                            ;   in Loop: Header=BB310_818 Depth=1
	s_or_b64 exec, exec, s[24:25]
	buffer_load_dword v10, off, s[0:3], s32 offset:212 ; 4-byte Folded Reload
	buffer_load_dword v11, off, s[0:3], s32 offset:216 ; 4-byte Folded Reload
	v_add_co_u32_e32 v14, vcc, 8, v14
	v_addc_co_u32_e32 v15, vcc, 0, v15, vcc
	v_add_u32_e32 v19, 0x100, v19
	s_waitcnt vmcnt(1)
	v_mov_b32_e32 v6, v10
	v_add_u32_e32 v6, 2, v6
	v_mov_b32_e32 v4, v6
	buffer_store_dword v4, off, s[0:3], s32 offset:212 ; 4-byte Folded Spill
	s_nop 0
	buffer_store_dword v5, off, s[0:3], s32 offset:216 ; 4-byte Folded Spill
	buffer_load_dword v4, off, s[0:3], s32 offset:228 ; 4-byte Folded Reload
	v_accvgpr_read_b32 v10, a1
	v_add_u32_e32 v10, 64, v10
	s_waitcnt vmcnt(0)
	v_cmp_ge_i32_e32 vcc, v6, v4
	s_or_b64 s[22:23], vcc, s[22:23]
	s_andn2_b64 exec, exec, s[22:23]
	s_cbranch_execz .LBB310_1619
.LBB310_818:                            ; =>This Inner Loop Header: Depth=1
	buffer_load_dword v6, off, s[0:3], s32 offset:224 ; 4-byte Folded Reload
	buffer_load_dword v12, off, s[0:3], s32 offset:220 ; 4-byte Folded Reload
	v_ashrrev_i32_e32 v4, 31, v10
	v_accvgpr_write_b32 a1, v10
	s_waitcnt vmcnt(1)
	v_xor_b32_e32 v4, v4, v6
	v_sub_u32_e32 v6, 0, v10
	v_max_i32_e32 v6, v10, v6
	buffer_load_dword v10, off, s[0:3], s32 offset:240 ; 4-byte Folded Reload
	s_waitcnt vmcnt(0)
	v_mul_hi_u32 v10, v6, v10
	v_mul_lo_u32 v11, v10, v12
	v_sub_u32_e32 v6, v6, v11
	v_add_u32_e32 v11, 1, v10
	v_cmp_ge_u32_e32 vcc, v6, v12
	v_cndmask_b32_e32 v10, v10, v11, vcc
	v_sub_u32_e32 v11, v6, v12
	v_cndmask_b32_e32 v6, v6, v11, vcc
	v_add_u32_e32 v11, 1, v10
	v_cmp_ge_u32_e32 vcc, v6, v12
	v_cndmask_b32_e32 v6, v10, v11, vcc
	buffer_load_dword v10, off, s[0:3], s32 offset:232 ; 4-byte Folded Reload
	buffer_load_dword v11, off, s[0:3], s32 offset:236 ; 4-byte Folded Reload
	v_xor_b32_e32 v6, v6, v4
	v_sub_u32_e32 v4, v6, v4
	v_accvgpr_read_b32 v12, a48
	s_waitcnt vmcnt(1)
	v_add_u32_e32 v6, v4, v10
	s_waitcnt vmcnt(0)
	v_sub_u32_e32 v11, 0, v6
	v_ashrrev_i32_e32 v10, 31, v6
	v_max_i32_e32 v6, v6, v11
	v_mul_hi_u32 v11, v6, v12
	v_mul_lo_u32 v11, v11, v5
	v_sub_u32_e32 v6, v6, v11
	v_sub_u32_e32 v11, v6, v5
	v_cmp_ge_u32_e32 vcc, v6, v5
	v_cndmask_b32_e32 v6, v6, v11, vcc
	v_sub_u32_e32 v11, v6, v5
	v_cmp_ge_u32_e32 vcc, v6, v5
	v_cndmask_b32_e32 v6, v6, v11, vcc
	v_xor_b32_e32 v6, v6, v10
	v_sub_u32_e32 v6, v6, v10
	v_cmp_eq_u32_e32 vcc, 0, v6
	buffer_load_dword v6, off, s[0:3], s32 offset:244 ; 4-byte Folded Reload
	s_waitcnt vmcnt(0)
	v_cmp_gt_i32_e64 s[6:7], v4, v6
	s_or_b64 s[6:7], vcc, s[6:7]
	s_and_saveexec_b64 s[24:25], s[6:7]
	s_cbranch_execz .LBB310_817
; %bb.819:                              ;   in Loop: Header=BB310_818 Depth=1
	flat_load_dword v4, v[14:15]
	ds_read2_b64 v[10:13], v19 offset1:1
	ds_read2_b64 v[20:23], v19 offset0:2 offset1:3
	v_mov_b32_e32 v38, 0
	v_mov_b32_e32 v60, 0
	s_waitcnt lgkmcnt(0)
	;;#ASMSTART
	v_cvt_f16_f32 v6, v10;

	;;#ASMEND
	;;#ASMSTART
	v_cvt_f16_f32 v10, v11;

	;;#ASMEND
	;; [unrolled: 4-line block ×8, first 2 shown]
	buffer_load_dword v26, off, s[0:3], s32 offset:548 ; 4-byte Folded Reload
	buffer_load_dword v27, off, s[0:3], s32 offset:552 ; 4-byte Folded Reload
	v_accvgpr_read_b32 v20, a26
	v_accvgpr_read_b32 v21, a27
	s_waitcnt vmcnt(0)
	v_mad_i64_i32 v[20:21], s[6:7], v4, v26, v[20:21]
	v_accvgpr_read_b32 v4, a28
	v_add_co_u32_e32 v56, vcc, v20, v4
	v_addc_co_u32_e32 v57, vcc, 0, v21, vcc
	flat_load_dwordx2 v[48:49], v[56:57]
	buffer_load_dword v26, off, s[0:3], s32 offset:196 ; 4-byte Folded Reload
	buffer_load_dword v27, off, s[0:3], s32 offset:200 ; 4-byte Folded Reload
	s_waitcnt vmcnt(0) lgkmcnt(0)
	v_cmp_ne_u16_sdwa s[26:27], v48, v31 src0_sel:BYTE_0 src1_sel:DWORD
	flat_load_dword v58, v[26:27]
	s_and_saveexec_b64 s[6:7], s[26:27]
	s_cbranch_execz .LBB310_825
; %bb.820:                              ;   in Loop: Header=BB310_818 Depth=1
	v_cmp_ne_u16_sdwa s[28:29], v48, s9 src0_sel:BYTE_0 src1_sel:DWORD
	v_bfrev_b32_e32 v60, 1
	s_and_saveexec_b64 s[26:27], s[28:29]
	s_cbranch_execz .LBB310_824
; %bb.821:                              ;   in Loop: Header=BB310_818 Depth=1
	v_and_b32_e32 v4, 0x7f, v48
	v_cmp_ne_u32_e32 vcc, s15, v4
	v_mov_b32_e32 v60, 0x7fc02000
	s_and_saveexec_b64 s[28:29], vcc
	s_cbranch_execz .LBB310_823
; %bb.822:                              ;   in Loop: Header=BB310_818 Depth=1
	v_and_b32_e32 v18, 7, v48
	v_ffbh_u32_e32 v18, v18
	v_min_u32_e32 v18, 32, v18
	v_subrev_u32_e32 v26, 28, v18
	v_cmp_gt_u32_e32 vcc, 8, v4
	v_lshrrev_b32_e32 v23, 3, v4
	v_sub_u32_e32 v18, 29, v18
	v_cndmask_b32_e32 v4, 0, v26, vcc
	v_lshlrev_b64 v[26:27], v4, v[48:49]
	v_cndmask_b32_e32 v4, v23, v18, vcc
	v_lshlrev_b32_e32 v23, 8, v48
	v_lshl_add_u32 v4, v4, 10, v35
	v_lshlrev_b32_e32 v18, 7, v26
	v_and_or_b32 v4, v23, s34, v4
	v_and_or_b32 v4, v18, s35, v4
	v_cvt_f32_f16_e32 v60, v4
.LBB310_823:                            ;   in Loop: Header=BB310_818 Depth=1
	s_or_b64 exec, exec, s[28:29]
.LBB310_824:                            ;   in Loop: Header=BB310_818 Depth=1
	s_or_b64 exec, exec, s[26:27]
.LBB310_825:                            ;   in Loop: Header=BB310_818 Depth=1
	s_or_b64 exec, exec, s[6:7]
	v_lshrrev_b16_e32 v30, 8, v48
	v_cmp_ne_u16_e32 vcc, 0, v30
	s_and_saveexec_b64 s[6:7], vcc
	s_cbranch_execz .LBB310_831
; %bb.826:                              ;   in Loop: Header=BB310_818 Depth=1
	v_cmp_ne_u16_e32 vcc, s9, v30
	v_bfrev_b32_e32 v38, 1
	s_and_saveexec_b64 s[26:27], vcc
	s_cbranch_execz .LBB310_830
; %bb.827:                              ;   in Loop: Header=BB310_818 Depth=1
	v_and_b32_e32 v4, 0x7f, v30
	v_cmp_ne_u32_e32 vcc, s15, v4
	v_mov_b32_e32 v38, 0x7fc02000
	s_and_saveexec_b64 s[28:29], vcc
	s_cbranch_execz .LBB310_829
; %bb.828:                              ;   in Loop: Header=BB310_818 Depth=1
	v_and_b32_e32 v18, 7, v30
	v_ffbh_u32_e32 v26, v18
	v_min_u32_e32 v28, 32, v26
	v_subrev_u32_e32 v26, 28, v28
	v_lshlrev_b64 v[26:27], v26, v[30:31]
	v_lshrrev_b32_e32 v23, 3, v4
	v_sub_u32_e32 v27, 29, v28
	v_cmp_gt_u32_e32 vcc, 8, v4
	v_cndmask_b32_e32 v4, v23, v27, vcc
	v_and_b32_e32 v26, 7, v26
	v_lshlrev_b32_e32 v23, 8, v30
	v_lshl_add_u32 v4, v4, 10, v35
	v_cndmask_b32_e32 v18, v18, v26, vcc
	v_and_or_b32 v4, v23, s34, v4
	v_lshl_or_b32 v4, v18, 7, v4
	v_cvt_f32_f16_e32 v38, v4
.LBB310_829:                            ;   in Loop: Header=BB310_818 Depth=1
	s_or_b64 exec, exec, s[28:29]
.LBB310_830:                            ;   in Loop: Header=BB310_818 Depth=1
	s_or_b64 exec, exec, s[26:27]
.LBB310_831:                            ;   in Loop: Header=BB310_818 Depth=1
	s_or_b64 exec, exec, s[6:7]
	v_lshrrev_b32_e32 v30, 16, v48
	v_cmp_ne_u16_sdwa s[26:27], v30, v31 src0_sel:BYTE_0 src1_sel:DWORD
	v_mov_b32_e32 v39, 0
	v_mov_b32_e32 v61, 0
	s_and_saveexec_b64 s[6:7], s[26:27]
	s_cbranch_execz .LBB310_837
; %bb.832:                              ;   in Loop: Header=BB310_818 Depth=1
	v_cmp_ne_u16_sdwa s[28:29], v30, s9 src0_sel:BYTE_0 src1_sel:DWORD
	v_bfrev_b32_e32 v61, 1
	s_and_saveexec_b64 s[26:27], s[28:29]
	s_cbranch_execz .LBB310_836
; %bb.833:                              ;   in Loop: Header=BB310_818 Depth=1
	v_bfe_u32 v4, v48, 16, 7
	v_cmp_ne_u32_e32 vcc, s15, v4
	v_mov_b32_e32 v61, 0x7fc02000
	s_and_saveexec_b64 s[28:29], vcc
	s_cbranch_execz .LBB310_835
; %bb.834:                              ;   in Loop: Header=BB310_818 Depth=1
	v_and_b32_e32 v18, 7, v30
	v_ffbh_u32_e32 v26, v18
	v_min_u32_e32 v28, 32, v26
	v_subrev_u32_e32 v26, 28, v28
	v_lshlrev_b64 v[26:27], v26, v[30:31]
	v_lshrrev_b32_e32 v23, 3, v4
	v_sub_u32_e32 v27, 29, v28
	v_cmp_gt_u32_e32 vcc, 8, v4
	v_cndmask_b32_e32 v4, v23, v27, vcc
	v_and_b32_e32 v26, 7, v26
	v_lshlrev_b32_e32 v23, 8, v30
	v_lshl_add_u32 v4, v4, 10, v35
	v_cndmask_b32_e32 v18, v18, v26, vcc
	v_and_or_b32 v4, v23, s34, v4
	v_lshl_or_b32 v4, v18, 7, v4
	v_cvt_f32_f16_e32 v61, v4
.LBB310_835:                            ;   in Loop: Header=BB310_818 Depth=1
	s_or_b64 exec, exec, s[28:29]
.LBB310_836:                            ;   in Loop: Header=BB310_818 Depth=1
	s_or_b64 exec, exec, s[26:27]
.LBB310_837:                            ;   in Loop: Header=BB310_818 Depth=1
	s_or_b64 exec, exec, s[6:7]
	v_cmp_lt_u32_e32 vcc, s17, v48
	s_and_saveexec_b64 s[6:7], vcc
	s_cbranch_execz .LBB310_843
; %bb.838:                              ;   in Loop: Header=BB310_818 Depth=1
	v_lshrrev_b32_e32 v30, 24, v48
	v_cmp_ne_u32_e32 vcc, s9, v30
	v_bfrev_b32_e32 v39, 1
	s_and_saveexec_b64 s[26:27], vcc
	s_cbranch_execz .LBB310_842
; %bb.839:                              ;   in Loop: Header=BB310_818 Depth=1
	v_and_b32_e32 v4, 0x7f, v30
	v_cmp_ne_u32_e32 vcc, s15, v4
	v_mov_b32_e32 v39, 0x7fc02000
	s_and_saveexec_b64 s[28:29], vcc
	s_cbranch_execz .LBB310_841
; %bb.840:                              ;   in Loop: Header=BB310_818 Depth=1
	v_and_b32_e32 v18, 7, v30
	v_ffbh_u32_e32 v26, v18
	v_min_u32_e32 v28, 32, v26
	v_subrev_u32_e32 v26, 28, v28
	v_lshlrev_b64 v[26:27], v26, v[30:31]
	v_lshrrev_b32_e32 v23, 3, v4
	v_sub_u32_e32 v27, 29, v28
	v_cmp_gt_u32_e32 vcc, 8, v4
	v_cndmask_b32_e32 v4, v23, v27, vcc
	v_and_b32_e32 v26, 7, v26
	v_lshlrev_b32_e32 v23, 8, v30
	v_lshl_add_u32 v4, v4, 10, v35
	v_cndmask_b32_e32 v18, v18, v26, vcc
	v_and_or_b32 v4, v23, s34, v4
	v_lshl_or_b32 v4, v18, 7, v4
	v_cvt_f32_f16_e32 v39, v4
.LBB310_841:                            ;   in Loop: Header=BB310_818 Depth=1
	s_or_b64 exec, exec, s[28:29]
.LBB310_842:                            ;   in Loop: Header=BB310_818 Depth=1
	s_or_b64 exec, exec, s[26:27]
.LBB310_843:                            ;   in Loop: Header=BB310_818 Depth=1
	s_or_b64 exec, exec, s[6:7]
	v_mov_b32_e32 v30, v49
	v_cmp_ne_u16_sdwa s[26:27], v49, v31 src0_sel:BYTE_0 src1_sel:DWORD
	v_mov_b32_e32 v23, 0
	v_mov_b32_e32 v18, 0
	s_and_saveexec_b64 s[6:7], s[26:27]
	s_cbranch_execz .LBB310_849
; %bb.844:                              ;   in Loop: Header=BB310_818 Depth=1
	v_cmp_ne_u16_sdwa s[28:29], v49, s9 src0_sel:BYTE_0 src1_sel:DWORD
	v_bfrev_b32_e32 v18, 1
	s_and_saveexec_b64 s[26:27], s[28:29]
	s_cbranch_execz .LBB310_848
; %bb.845:                              ;   in Loop: Header=BB310_818 Depth=1
	v_and_b32_e32 v4, 0x7f, v49
	v_cmp_ne_u32_e32 vcc, s15, v4
	v_mov_b32_e32 v18, 0x7fc02000
	s_and_saveexec_b64 s[28:29], vcc
	s_cbranch_execz .LBB310_847
; %bb.846:                              ;   in Loop: Header=BB310_818 Depth=1
	v_and_b32_e32 v18, 7, v49
	v_ffbh_u32_e32 v18, v18
	v_min_u32_e32 v18, 32, v18
	v_subrev_u32_e32 v26, 28, v18
	v_cmp_gt_u32_e32 vcc, 8, v4
	v_lshrrev_b32_e32 v28, 3, v4
	v_sub_u32_e32 v18, 29, v18
	v_cndmask_b32_e32 v4, 0, v26, vcc
	v_lshlrev_b64 v[26:27], v4, v[30:31]
	v_cndmask_b32_e32 v4, v28, v18, vcc
	v_lshlrev_b32_e32 v18, 7, v26
	v_lshlrev_b32_e32 v26, 8, v49
	v_lshl_add_u32 v4, v4, 10, v35
	v_and_or_b32 v4, v26, s34, v4
	v_and_or_b32 v4, v18, s35, v4
	v_cvt_f32_f16_e32 v18, v4
.LBB310_847:                            ;   in Loop: Header=BB310_818 Depth=1
	s_or_b64 exec, exec, s[28:29]
.LBB310_848:                            ;   in Loop: Header=BB310_818 Depth=1
	s_or_b64 exec, exec, s[26:27]
.LBB310_849:                            ;   in Loop: Header=BB310_818 Depth=1
	s_or_b64 exec, exec, s[6:7]
	v_lshrrev_b16_e32 v30, 8, v30
	v_cmp_ne_u16_e32 vcc, 0, v30
	s_and_saveexec_b64 s[6:7], vcc
	s_cbranch_execz .LBB310_855
; %bb.850:                              ;   in Loop: Header=BB310_818 Depth=1
	v_cmp_ne_u16_e32 vcc, s9, v30
	v_bfrev_b32_e32 v23, 1
	s_and_saveexec_b64 s[26:27], vcc
	s_cbranch_execz .LBB310_854
; %bb.851:                              ;   in Loop: Header=BB310_818 Depth=1
	v_and_b32_e32 v4, 0x7f, v30
	v_cmp_ne_u32_e32 vcc, s15, v4
	v_mov_b32_e32 v23, 0x7fc02000
	s_and_saveexec_b64 s[28:29], vcc
	s_cbranch_execz .LBB310_853
; %bb.852:                              ;   in Loop: Header=BB310_818 Depth=1
	v_and_b32_e32 v23, 7, v30
	v_ffbh_u32_e32 v26, v23
	v_min_u32_e32 v29, 32, v26
	v_subrev_u32_e32 v26, 28, v29
	v_lshlrev_b64 v[26:27], v26, v[30:31]
	v_lshrrev_b32_e32 v28, 3, v4
	v_sub_u32_e32 v27, 29, v29
	v_cmp_gt_u32_e32 vcc, 8, v4
	v_and_b32_e32 v26, 7, v26
	v_cndmask_b32_e32 v4, v28, v27, vcc
	v_cndmask_b32_e32 v23, v23, v26, vcc
	v_lshlrev_b32_e32 v26, 8, v30
	v_lshl_add_u32 v4, v4, 10, v35
	v_and_or_b32 v4, v26, s34, v4
	v_lshl_or_b32 v4, v23, 7, v4
	v_cvt_f32_f16_e32 v23, v4
.LBB310_853:                            ;   in Loop: Header=BB310_818 Depth=1
	s_or_b64 exec, exec, s[28:29]
.LBB310_854:                            ;   in Loop: Header=BB310_818 Depth=1
	s_or_b64 exec, exec, s[26:27]
.LBB310_855:                            ;   in Loop: Header=BB310_818 Depth=1
	s_or_b64 exec, exec, s[6:7]
	v_lshrrev_b32_e32 v30, 16, v49
	v_cmp_ne_u16_sdwa s[26:27], v30, v31 src0_sel:BYTE_0 src1_sel:DWORD
	v_mov_b32_e32 v26, 0
	v_mov_b32_e32 v27, 0
	s_and_saveexec_b64 s[6:7], s[26:27]
	s_cbranch_execz .LBB310_861
; %bb.856:                              ;   in Loop: Header=BB310_818 Depth=1
	v_cmp_ne_u16_sdwa s[28:29], v30, s9 src0_sel:BYTE_0 src1_sel:DWORD
	v_bfrev_b32_e32 v27, 1
	s_and_saveexec_b64 s[26:27], s[28:29]
	s_cbranch_execz .LBB310_860
; %bb.857:                              ;   in Loop: Header=BB310_818 Depth=1
	v_bfe_u32 v4, v49, 16, 7
	v_cmp_ne_u32_e32 vcc, s15, v4
	v_mov_b32_e32 v27, 0x7fc02000
	s_and_saveexec_b64 s[28:29], vcc
	s_cbranch_execz .LBB310_859
; %bb.858:                              ;   in Loop: Header=BB310_818 Depth=1
	v_and_b32_e32 v27, 7, v30
	v_ffbh_u32_e32 v28, v27
	v_min_u32_e32 v50, 32, v28
	v_subrev_u32_e32 v28, 28, v50
	v_lshlrev_b64 v[28:29], v28, v[30:31]
	v_lshrrev_b32_e32 v34, 3, v4
	v_sub_u32_e32 v29, 29, v50
	v_cmp_gt_u32_e32 vcc, 8, v4
	v_and_b32_e32 v28, 7, v28
	v_cndmask_b32_e32 v4, v34, v29, vcc
	v_cndmask_b32_e32 v27, v27, v28, vcc
	v_lshlrev_b32_e32 v28, 8, v30
	v_lshl_add_u32 v4, v4, 10, v35
	v_and_or_b32 v4, v28, s34, v4
	v_lshl_or_b32 v4, v27, 7, v4
	v_cvt_f32_f16_e32 v27, v4
.LBB310_859:                            ;   in Loop: Header=BB310_818 Depth=1
	s_or_b64 exec, exec, s[28:29]
.LBB310_860:                            ;   in Loop: Header=BB310_818 Depth=1
	s_or_b64 exec, exec, s[26:27]
.LBB310_861:                            ;   in Loop: Header=BB310_818 Depth=1
	s_or_b64 exec, exec, s[6:7]
	v_cmp_lt_u64_e32 vcc, s[16:17], v[48:49]
	s_and_saveexec_b64 s[6:7], vcc
	s_cbranch_execz .LBB310_867
; %bb.862:                              ;   in Loop: Header=BB310_818 Depth=1
	v_lshrrev_b32_e32 v30, 24, v49
	v_cmp_ne_u32_e32 vcc, s9, v30
	v_bfrev_b32_e32 v26, 1
	s_and_saveexec_b64 s[26:27], vcc
	s_cbranch_execz .LBB310_866
; %bb.863:                              ;   in Loop: Header=BB310_818 Depth=1
	v_and_b32_e32 v4, 0x7f, v30
	v_cmp_ne_u32_e32 vcc, s15, v4
	v_mov_b32_e32 v26, 0x7fc02000
	s_and_saveexec_b64 s[28:29], vcc
	s_cbranch_execz .LBB310_865
; %bb.864:                              ;   in Loop: Header=BB310_818 Depth=1
	v_and_b32_e32 v26, 7, v30
	v_ffbh_u32_e32 v28, v26
	v_min_u32_e32 v48, 32, v28
	v_subrev_u32_e32 v28, 28, v48
	v_lshlrev_b64 v[28:29], v28, v[30:31]
	v_lshrrev_b32_e32 v34, 3, v4
	v_sub_u32_e32 v29, 29, v48
	v_cmp_gt_u32_e32 vcc, 8, v4
	v_and_b32_e32 v28, 7, v28
	v_cndmask_b32_e32 v4, v34, v29, vcc
	v_cndmask_b32_e32 v26, v26, v28, vcc
	v_lshlrev_b32_e32 v28, 8, v30
	v_lshl_add_u32 v4, v4, 10, v35
	v_and_or_b32 v4, v28, s34, v4
	v_lshl_or_b32 v4, v26, 7, v4
	v_cvt_f32_f16_e32 v26, v4
.LBB310_865:                            ;   in Loop: Header=BB310_818 Depth=1
	s_or_b64 exec, exec, s[28:29]
.LBB310_866:                            ;   in Loop: Header=BB310_818 Depth=1
	s_or_b64 exec, exec, s[26:27]
.LBB310_867:                            ;   in Loop: Header=BB310_818 Depth=1
	s_or_b64 exec, exec, s[6:7]
	buffer_load_dword v48, off, s[0:3], s32 offset:212 ; 4-byte Folded Reload
	buffer_load_dword v49, off, s[0:3], s32 offset:216 ; 4-byte Folded Reload
	s_waitcnt vmcnt(0) lgkmcnt(0)
	v_pk_mul_f32 v[28:29], v[58:59], v[38:39] op_sel_hi:[0,1]
	v_pk_mul_f32 v[38:39], v[58:59], v[60:61] op_sel_hi:[0,1]
	v_cvt_f16_f32_e32 v29, v29
	v_cvt_f16_f32_e32 v28, v28
	;; [unrolled: 1-line block ×4, first 2 shown]
	v_fma_mixlo_f16 v23, v58, v23, 0
	v_lshlrev_b32_e32 v23, 16, v23
	v_fma_mixlo_f16 v18, v58, v18, 0
	v_accvgpr_read_b32 v4, a1
	v_or_b32_sdwa v23, v23, v18 dst_sel:DWORD dst_unused:UNUSED_PAD src0_sel:DWORD src1_sel:WORD_0
	v_fma_mixlo_f16 v18, v58, v26, 0
	v_add_u32_e32 v4, v62, v4
	v_accvgpr_read_b32 v39, a21
	v_pack_b32_f16 v28, v28, v29
	v_pack_b32_f16 v30, v34, v30
	v_fma_mixlo_f16 v27, v58, v27, 0
	v_lshlrev_b32_e32 v18, 16, v18
	v_perm_b32 v29, v30, v28, s36
	v_perm_b32 v30, v30, v28, s37
	v_or_b32_sdwa v26, v18, v27 dst_sel:DWORD dst_unused:UNUSED_PAD src0_sel:DWORD src1_sel:WORD_0
	v_add_u32_e32 v53, 1, v4
	v_or_b32_e32 v43, 3, v4
	v_or_b32_e32 v34, 2, v4
	;; [unrolled: 1-line block ×6, first 2 shown]
	v_cmp_eq_u32_e32 vcc, v39, v48
	s_and_saveexec_b64 s[26:27], vcc
	s_cbranch_execz .LBB310_869
; %bb.868:                              ;   in Loop: Header=BB310_818 Depth=1
	buffer_load_dword v48, off, s[0:3], s32 offset:204 ; 4-byte Folded Reload
	buffer_load_dword v49, off, s[0:3], s32 offset:208 ; 4-byte Folded Reload
	v_lshrrev_b32_e32 v38, 16, v30
	v_cmp_lt_i32_e64 s[6:7], v53, v7
	v_cndmask_b32_e64 v38, 0, v38, s[6:7]
	v_lshrrev_b32_e32 v26, 16, v26
	s_waitcnt vmcnt(1)
	v_cmp_lt_i32_e64 s[6:7], v4, v48
	v_cndmask_b32_e64 v30, 0, v30, s[6:7]
	v_perm_b32 v30, v38, v30, s38
	v_lshrrev_b32_e32 v38, 16, v29
	v_cmp_lt_i32_e64 s[6:7], v43, v7
	v_cndmask_b32_e64 v38, 0, v38, s[6:7]
	v_cmp_lt_i32_e64 s[6:7], v34, v48
	v_cndmask_b32_e64 v29, 0, v29, s[6:7]
	v_perm_b32 v29, v38, v29, s38
	v_lshrrev_b32_e32 v38, 16, v23
	v_cmp_lt_i32_e64 s[6:7], v40, v7
	v_cndmask_b32_e64 v38, 0, v38, s[6:7]
	v_cmp_lt_i32_e64 s[6:7], v28, v48
	v_cndmask_b32_e64 v23, 0, v23, s[6:7]
	;; [unrolled: 2-line block ×4, first 2 shown]
	v_perm_b32 v23, v38, v23, s38
	v_perm_b32 v26, v26, v27, s38
.LBB310_869:                            ;   in Loop: Header=BB310_818 Depth=1
	s_or_b64 exec, exec, s[26:27]
	v_and_b32_e32 v6, 0xffff, v6
	v_lshl_or_b32 v44, v10, 16, v6
	v_and_b32_e32 v6, 0xffff, v11
	v_lshl_or_b32 v42, v12, 16, v6
	v_and_b32_e32 v6, 0xffff, v13
	v_lshl_or_b32 v54, v16, 16, v6
	v_and_b32_e32 v6, 0xffff, v17
	v_lshl_or_b32 v50, v22, 16, v6
	;;#ASMSTART
	v_pk_mul_f16 v6, v44, v30;

	;;#ASMEND
	;;#ASMSTART
	v_pk_mul_f16 v10, v42, v29;

	;;#ASMEND
	;; [unrolled: 4-line block ×4, first 2 shown]
	;;#ASMSTART
	v_pk_add_f16 v6, v6, v10;

	;;#ASMEND
	;;#ASMSTART
	v_pk_add_f16 v6, v6, v11;

	;;#ASMEND
	;; [unrolled: 4-line block ×3, first 2 shown]
	v_lshrrev_b32_e32 v10, 16, v6
	v_and_b32_e32 v6, 0xffff, v6
	;;#ASMSTART
	v_cvt_f32_f16 v6, v6;
	;;#ASMEND
	v_accvgpr_write_b32 a16, v6
	;;#ASMSTART
	v_cvt_f32_f16 v6, v10;
	;;#ASMEND
	s_waitcnt vmcnt(0)
	flat_load_dwordx2 v[48:49], v[56:57] offset:512
	buffer_load_dword v10, off, s[0:3], s32 offset:196 ; 4-byte Folded Reload
	buffer_load_dword v11, off, s[0:3], s32 offset:200 ; 4-byte Folded Reload
	v_accvgpr_write_b32 a29, v6
	v_mov_b32_e32 v60, 0
	v_mov_b32_e32 v38, 0
	s_waitcnt vmcnt(0) lgkmcnt(0)
	v_cmp_ne_u16_sdwa s[6:7], v48, v31 src0_sel:BYTE_0 src1_sel:DWORD
	flat_load_dword v58, v[10:11]
	s_and_saveexec_b64 s[26:27], s[6:7]
	s_cbranch_execz .LBB310_875
; %bb.870:                              ;   in Loop: Header=BB310_818 Depth=1
	v_cmp_ne_u16_sdwa s[6:7], v48, s9 src0_sel:BYTE_0 src1_sel:DWORD
	v_bfrev_b32_e32 v38, 1
	s_and_saveexec_b64 s[28:29], s[6:7]
	s_cbranch_execz .LBB310_874
; %bb.871:                              ;   in Loop: Header=BB310_818 Depth=1
	v_and_b32_e32 v6, 0x7f, v48
	v_cmp_ne_u32_e64 s[6:7], s15, v6
	v_mov_b32_e32 v38, 0x7fc02000
	s_and_saveexec_b64 s[30:31], s[6:7]
	s_cbranch_execz .LBB310_873
; %bb.872:                              ;   in Loop: Header=BB310_818 Depth=1
	v_and_b32_e32 v10, 7, v48
	v_ffbh_u32_e32 v10, v10
	v_min_u32_e32 v10, 32, v10
	v_subrev_u32_e32 v11, 28, v10
	v_cmp_gt_u32_e64 s[6:7], 8, v6
	v_lshrrev_b32_e32 v12, 3, v6
	v_sub_u32_e32 v13, 29, v10
	v_cndmask_b32_e64 v6, 0, v11, s[6:7]
	v_lshlrev_b64 v[10:11], v6, v[48:49]
	v_cndmask_b32_e64 v6, v12, v13, s[6:7]
	v_lshlrev_b32_e32 v11, 8, v48
	v_lshl_add_u32 v6, v6, 10, v35
	v_lshlrev_b32_e32 v10, 7, v10
	v_and_or_b32 v6, v11, s34, v6
	v_and_or_b32 v6, v10, s35, v6
	v_cvt_f32_f16_e32 v38, v6
.LBB310_873:                            ;   in Loop: Header=BB310_818 Depth=1
	s_or_b64 exec, exec, s[30:31]
.LBB310_874:                            ;   in Loop: Header=BB310_818 Depth=1
	s_or_b64 exec, exec, s[28:29]
.LBB310_875:                            ;   in Loop: Header=BB310_818 Depth=1
	s_or_b64 exec, exec, s[26:27]
	v_lshrrev_b16_e32 v30, 8, v48
	v_cmp_ne_u16_e64 s[6:7], 0, v30
	s_and_saveexec_b64 s[26:27], s[6:7]
	s_cbranch_execz .LBB310_881
; %bb.876:                              ;   in Loop: Header=BB310_818 Depth=1
	v_cmp_ne_u16_e64 s[6:7], s9, v30
	v_bfrev_b32_e32 v60, 1
	s_and_saveexec_b64 s[28:29], s[6:7]
	s_cbranch_execz .LBB310_880
; %bb.877:                              ;   in Loop: Header=BB310_818 Depth=1
	v_and_b32_e32 v6, 0x7f, v30
	v_cmp_ne_u32_e64 s[6:7], s15, v6
	v_mov_b32_e32 v60, 0x7fc02000
	s_and_saveexec_b64 s[30:31], s[6:7]
	s_cbranch_execz .LBB310_879
; %bb.878:                              ;   in Loop: Header=BB310_818 Depth=1
	v_and_b32_e32 v12, 7, v30
	v_ffbh_u32_e32 v10, v12
	v_min_u32_e32 v16, 32, v10
	v_subrev_u32_e32 v10, 28, v16
	v_lshlrev_b64 v[10:11], v10, v[30:31]
	v_lshrrev_b32_e32 v13, 3, v6
	v_sub_u32_e32 v11, 29, v16
	v_cmp_gt_u32_e64 s[6:7], 8, v6
	v_cndmask_b32_e64 v6, v13, v11, s[6:7]
	v_and_b32_e32 v10, 7, v10
	v_lshlrev_b32_e32 v11, 8, v30
	v_lshl_add_u32 v6, v6, 10, v35
	v_cndmask_b32_e64 v10, v12, v10, s[6:7]
	v_and_or_b32 v6, v11, s34, v6
	v_lshl_or_b32 v6, v10, 7, v6
	v_cvt_f32_f16_e32 v60, v6
.LBB310_879:                            ;   in Loop: Header=BB310_818 Depth=1
	s_or_b64 exec, exec, s[30:31]
.LBB310_880:                            ;   in Loop: Header=BB310_818 Depth=1
	s_or_b64 exec, exec, s[28:29]
.LBB310_881:                            ;   in Loop: Header=BB310_818 Depth=1
	s_or_b64 exec, exec, s[26:27]
	v_lshrrev_b32_e32 v30, 16, v48
	v_cmp_ne_u16_sdwa s[6:7], v30, v31 src0_sel:BYTE_0 src1_sel:DWORD
	v_mov_b32_e32 v61, 0
	v_mov_b32_e32 v39, 0
	s_and_saveexec_b64 s[26:27], s[6:7]
	s_cbranch_execz .LBB310_887
; %bb.882:                              ;   in Loop: Header=BB310_818 Depth=1
	v_cmp_ne_u16_sdwa s[6:7], v30, s9 src0_sel:BYTE_0 src1_sel:DWORD
	v_bfrev_b32_e32 v39, 1
	s_and_saveexec_b64 s[28:29], s[6:7]
	s_cbranch_execz .LBB310_886
; %bb.883:                              ;   in Loop: Header=BB310_818 Depth=1
	v_bfe_u32 v6, v48, 16, 7
	v_cmp_ne_u32_e64 s[6:7], s15, v6
	v_mov_b32_e32 v39, 0x7fc02000
	s_and_saveexec_b64 s[30:31], s[6:7]
	s_cbranch_execz .LBB310_885
; %bb.884:                              ;   in Loop: Header=BB310_818 Depth=1
	v_and_b32_e32 v12, 7, v30
	v_ffbh_u32_e32 v10, v12
	v_min_u32_e32 v16, 32, v10
	v_subrev_u32_e32 v10, 28, v16
	v_lshlrev_b64 v[10:11], v10, v[30:31]
	v_lshrrev_b32_e32 v13, 3, v6
	v_sub_u32_e32 v11, 29, v16
	v_cmp_gt_u32_e64 s[6:7], 8, v6
	v_cndmask_b32_e64 v6, v13, v11, s[6:7]
	v_and_b32_e32 v10, 7, v10
	v_lshlrev_b32_e32 v11, 8, v30
	v_lshl_add_u32 v6, v6, 10, v35
	v_cndmask_b32_e64 v10, v12, v10, s[6:7]
	v_and_or_b32 v6, v11, s34, v6
	v_lshl_or_b32 v6, v10, 7, v6
	v_cvt_f32_f16_e32 v39, v6
.LBB310_885:                            ;   in Loop: Header=BB310_818 Depth=1
	s_or_b64 exec, exec, s[30:31]
.LBB310_886:                            ;   in Loop: Header=BB310_818 Depth=1
	s_or_b64 exec, exec, s[28:29]
.LBB310_887:                            ;   in Loop: Header=BB310_818 Depth=1
	s_or_b64 exec, exec, s[26:27]
	v_cmp_lt_u32_e64 s[6:7], s17, v48
	s_and_saveexec_b64 s[26:27], s[6:7]
	s_cbranch_execz .LBB310_893
; %bb.888:                              ;   in Loop: Header=BB310_818 Depth=1
	v_lshrrev_b32_e32 v30, 24, v48
	v_cmp_ne_u32_e64 s[6:7], s9, v30
	v_bfrev_b32_e32 v61, 1
	s_and_saveexec_b64 s[28:29], s[6:7]
	s_cbranch_execz .LBB310_892
; %bb.889:                              ;   in Loop: Header=BB310_818 Depth=1
	v_and_b32_e32 v6, 0x7f, v30
	v_cmp_ne_u32_e64 s[6:7], s15, v6
	v_mov_b32_e32 v61, 0x7fc02000
	s_and_saveexec_b64 s[30:31], s[6:7]
	s_cbranch_execz .LBB310_891
; %bb.890:                              ;   in Loop: Header=BB310_818 Depth=1
	v_and_b32_e32 v12, 7, v30
	v_ffbh_u32_e32 v10, v12
	v_min_u32_e32 v16, 32, v10
	v_subrev_u32_e32 v10, 28, v16
	v_lshlrev_b64 v[10:11], v10, v[30:31]
	v_lshrrev_b32_e32 v13, 3, v6
	v_sub_u32_e32 v11, 29, v16
	v_cmp_gt_u32_e64 s[6:7], 8, v6
	v_cndmask_b32_e64 v6, v13, v11, s[6:7]
	v_and_b32_e32 v10, 7, v10
	v_lshlrev_b32_e32 v11, 8, v30
	v_lshl_add_u32 v6, v6, 10, v35
	v_cndmask_b32_e64 v10, v12, v10, s[6:7]
	v_and_or_b32 v6, v11, s34, v6
	v_lshl_or_b32 v6, v10, 7, v6
	v_cvt_f32_f16_e32 v61, v6
.LBB310_891:                            ;   in Loop: Header=BB310_818 Depth=1
	s_or_b64 exec, exec, s[30:31]
.LBB310_892:                            ;   in Loop: Header=BB310_818 Depth=1
	s_or_b64 exec, exec, s[28:29]
.LBB310_893:                            ;   in Loop: Header=BB310_818 Depth=1
	s_or_b64 exec, exec, s[26:27]
	v_mov_b32_e32 v30, v49
	v_cmp_ne_u16_sdwa s[6:7], v49, v31 src0_sel:BYTE_0 src1_sel:DWORD
	v_mov_b32_e32 v10, 0
	v_mov_b32_e32 v6, 0
	s_and_saveexec_b64 s[26:27], s[6:7]
	s_cbranch_execz .LBB310_899
; %bb.894:                              ;   in Loop: Header=BB310_818 Depth=1
	v_cmp_ne_u16_sdwa s[6:7], v49, s9 src0_sel:BYTE_0 src1_sel:DWORD
	v_bfrev_b32_e32 v6, 1
	s_and_saveexec_b64 s[28:29], s[6:7]
	s_cbranch_execz .LBB310_898
; %bb.895:                              ;   in Loop: Header=BB310_818 Depth=1
	v_and_b32_e32 v11, 0x7f, v49
	v_cmp_ne_u32_e64 s[6:7], s15, v11
	v_mov_b32_e32 v6, 0x7fc02000
	s_and_saveexec_b64 s[30:31], s[6:7]
	s_cbranch_execz .LBB310_897
; %bb.896:                              ;   in Loop: Header=BB310_818 Depth=1
	v_and_b32_e32 v6, 7, v49
	v_ffbh_u32_e32 v6, v6
	v_min_u32_e32 v6, 32, v6
	v_subrev_u32_e32 v12, 28, v6
	v_cmp_gt_u32_e64 s[6:7], 8, v11
	v_lshrrev_b32_e32 v16, 3, v11
	v_sub_u32_e32 v6, 29, v6
	v_cndmask_b32_e64 v11, 0, v12, s[6:7]
	v_lshlrev_b64 v[12:13], v11, v[30:31]
	v_cndmask_b32_e64 v6, v16, v6, s[6:7]
	v_lshlrev_b32_e32 v11, 7, v12
	v_lshlrev_b32_e32 v12, 8, v49
	v_lshl_add_u32 v6, v6, 10, v35
	v_and_or_b32 v6, v12, s34, v6
	v_and_or_b32 v6, v11, s35, v6
	v_cvt_f32_f16_e32 v6, v6
.LBB310_897:                            ;   in Loop: Header=BB310_818 Depth=1
	s_or_b64 exec, exec, s[30:31]
.LBB310_898:                            ;   in Loop: Header=BB310_818 Depth=1
	s_or_b64 exec, exec, s[28:29]
.LBB310_899:                            ;   in Loop: Header=BB310_818 Depth=1
	s_or_b64 exec, exec, s[26:27]
	v_lshrrev_b16_e32 v30, 8, v30
	v_cmp_ne_u16_e64 s[6:7], 0, v30
	s_and_saveexec_b64 s[26:27], s[6:7]
	s_cbranch_execz .LBB310_905
; %bb.900:                              ;   in Loop: Header=BB310_818 Depth=1
	v_cmp_ne_u16_e64 s[6:7], s9, v30
	v_bfrev_b32_e32 v10, 1
	s_and_saveexec_b64 s[28:29], s[6:7]
	s_cbranch_execz .LBB310_904
; %bb.901:                              ;   in Loop: Header=BB310_818 Depth=1
	v_and_b32_e32 v11, 0x7f, v30
	v_cmp_ne_u32_e64 s[6:7], s15, v11
	v_mov_b32_e32 v10, 0x7fc02000
	s_and_saveexec_b64 s[30:31], s[6:7]
	s_cbranch_execz .LBB310_903
; %bb.902:                              ;   in Loop: Header=BB310_818 Depth=1
	v_and_b32_e32 v10, 7, v30
	v_ffbh_u32_e32 v12, v10
	v_min_u32_e32 v17, 32, v12
	v_subrev_u32_e32 v12, 28, v17
	v_lshlrev_b64 v[12:13], v12, v[30:31]
	v_lshrrev_b32_e32 v16, 3, v11
	v_sub_u32_e32 v13, 29, v17
	v_cmp_gt_u32_e64 s[6:7], 8, v11
	v_and_b32_e32 v12, 7, v12
	v_cndmask_b32_e64 v11, v16, v13, s[6:7]
	v_cndmask_b32_e64 v10, v10, v12, s[6:7]
	v_lshlrev_b32_e32 v12, 8, v30
	v_lshl_add_u32 v11, v11, 10, v35
	v_and_or_b32 v11, v12, s34, v11
	v_lshl_or_b32 v10, v10, 7, v11
	v_cvt_f32_f16_e32 v10, v10
.LBB310_903:                            ;   in Loop: Header=BB310_818 Depth=1
	s_or_b64 exec, exec, s[30:31]
.LBB310_904:                            ;   in Loop: Header=BB310_818 Depth=1
	s_or_b64 exec, exec, s[28:29]
.LBB310_905:                            ;   in Loop: Header=BB310_818 Depth=1
	s_or_b64 exec, exec, s[26:27]
	v_lshrrev_b32_e32 v30, 16, v49
	v_cmp_ne_u16_sdwa s[6:7], v30, v31 src0_sel:BYTE_0 src1_sel:DWORD
	v_mov_b32_e32 v11, 0
	v_mov_b32_e32 v12, 0
	s_and_saveexec_b64 s[26:27], s[6:7]
	s_cbranch_execz .LBB310_911
; %bb.906:                              ;   in Loop: Header=BB310_818 Depth=1
	v_cmp_ne_u16_sdwa s[6:7], v30, s9 src0_sel:BYTE_0 src1_sel:DWORD
	v_bfrev_b32_e32 v12, 1
	s_and_saveexec_b64 s[28:29], s[6:7]
	s_cbranch_execz .LBB310_910
; %bb.907:                              ;   in Loop: Header=BB310_818 Depth=1
	v_bfe_u32 v13, v49, 16, 7
	v_cmp_ne_u32_e64 s[6:7], s15, v13
	v_mov_b32_e32 v12, 0x7fc02000
	s_and_saveexec_b64 s[30:31], s[6:7]
	s_cbranch_execz .LBB310_909
; %bb.908:                              ;   in Loop: Header=BB310_818 Depth=1
	v_and_b32_e32 v12, 7, v30
	v_ffbh_u32_e32 v16, v12
	v_min_u32_e32 v23, 32, v16
	v_subrev_u32_e32 v16, 28, v23
	v_lshlrev_b64 v[16:17], v16, v[30:31]
	v_lshrrev_b32_e32 v22, 3, v13
	v_sub_u32_e32 v17, 29, v23
	v_cmp_gt_u32_e64 s[6:7], 8, v13
	v_and_b32_e32 v16, 7, v16
	v_cndmask_b32_e64 v13, v22, v17, s[6:7]
	v_cndmask_b32_e64 v12, v12, v16, s[6:7]
	v_lshlrev_b32_e32 v16, 8, v30
	v_lshl_add_u32 v13, v13, 10, v35
	v_and_or_b32 v13, v16, s34, v13
	v_lshl_or_b32 v12, v12, 7, v13
	v_cvt_f32_f16_e32 v12, v12
.LBB310_909:                            ;   in Loop: Header=BB310_818 Depth=1
	s_or_b64 exec, exec, s[30:31]
.LBB310_910:                            ;   in Loop: Header=BB310_818 Depth=1
	s_or_b64 exec, exec, s[28:29]
.LBB310_911:                            ;   in Loop: Header=BB310_818 Depth=1
	s_or_b64 exec, exec, s[26:27]
	v_cmp_lt_u64_e64 s[6:7], s[16:17], v[48:49]
	s_and_saveexec_b64 s[26:27], s[6:7]
	s_cbranch_execz .LBB310_917
; %bb.912:                              ;   in Loop: Header=BB310_818 Depth=1
	v_lshrrev_b32_e32 v30, 24, v49
	v_cmp_ne_u32_e64 s[6:7], s9, v30
	v_bfrev_b32_e32 v11, 1
	s_and_saveexec_b64 s[28:29], s[6:7]
	s_cbranch_execz .LBB310_916
; %bb.913:                              ;   in Loop: Header=BB310_818 Depth=1
	v_and_b32_e32 v13, 0x7f, v30
	v_cmp_ne_u32_e64 s[6:7], s15, v13
	v_mov_b32_e32 v11, 0x7fc02000
	s_and_saveexec_b64 s[30:31], s[6:7]
	s_cbranch_execz .LBB310_915
; %bb.914:                              ;   in Loop: Header=BB310_818 Depth=1
	v_and_b32_e32 v11, 7, v30
	v_ffbh_u32_e32 v16, v11
	v_min_u32_e32 v23, 32, v16
	v_subrev_u32_e32 v16, 28, v23
	v_lshlrev_b64 v[16:17], v16, v[30:31]
	v_lshrrev_b32_e32 v22, 3, v13
	v_sub_u32_e32 v17, 29, v23
	v_cmp_gt_u32_e64 s[6:7], 8, v13
	v_and_b32_e32 v16, 7, v16
	v_cndmask_b32_e64 v13, v22, v17, s[6:7]
	v_cndmask_b32_e64 v11, v11, v16, s[6:7]
	v_lshlrev_b32_e32 v16, 8, v30
	v_lshl_add_u32 v13, v13, 10, v35
	v_and_or_b32 v13, v16, s34, v13
	v_lshl_or_b32 v11, v11, 7, v13
	v_cvt_f32_f16_e32 v11, v11
.LBB310_915:                            ;   in Loop: Header=BB310_818 Depth=1
	s_or_b64 exec, exec, s[30:31]
.LBB310_916:                            ;   in Loop: Header=BB310_818 Depth=1
	s_or_b64 exec, exec, s[28:29]
.LBB310_917:                            ;   in Loop: Header=BB310_818 Depth=1
	s_or_b64 exec, exec, s[26:27]
	s_waitcnt vmcnt(0) lgkmcnt(0)
	v_pk_mul_f32 v[16:17], v[58:59], v[60:61] op_sel_hi:[0,1]
	v_pk_mul_f32 v[22:23], v[58:59], v[38:39] op_sel_hi:[0,1]
	v_cvt_f16_f32_e32 v13, v17
	v_cvt_f16_f32_e32 v16, v16
	;; [unrolled: 1-line block ×4, first 2 shown]
	v_fma_mixlo_f16 v10, v58, v10, 0
	v_lshlrev_b32_e32 v10, 16, v10
	v_fma_mixlo_f16 v6, v58, v6, 0
	v_or_b32_sdwa v6, v10, v6 dst_sel:DWORD dst_unused:UNUSED_PAD src0_sel:DWORD src1_sel:WORD_0
	v_fma_mixlo_f16 v10, v58, v11, 0
	v_pack_b32_f16 v16, v16, v13
	v_pack_b32_f16 v17, v22, v17
	v_fma_mixlo_f16 v12, v58, v12, 0
	v_lshlrev_b32_e32 v10, 16, v10
	v_perm_b32 v13, v17, v16, s36
	v_perm_b32 v16, v17, v16, s37
	v_or_b32_sdwa v10, v10, v12 dst_sel:DWORD dst_unused:UNUSED_PAD src0_sel:DWORD src1_sel:WORD_0
	s_and_saveexec_b64 s[26:27], vcc
	s_cbranch_execz .LBB310_919
; %bb.918:                              ;   in Loop: Header=BB310_818 Depth=1
	buffer_load_dword v22, off, s[0:3], s32 offset:204 ; 4-byte Folded Reload
	buffer_load_dword v23, off, s[0:3], s32 offset:208 ; 4-byte Folded Reload
	v_lshrrev_b32_e32 v11, 16, v16
	v_cmp_lt_i32_e64 s[6:7], v53, v7
	v_cndmask_b32_e64 v11, 0, v11, s[6:7]
	v_lshrrev_b32_e32 v10, 16, v10
	s_waitcnt vmcnt(1)
	v_cmp_lt_i32_e64 s[6:7], v4, v22
	v_cndmask_b32_e64 v16, 0, v16, s[6:7]
	v_perm_b32 v16, v11, v16, s38
	v_lshrrev_b32_e32 v11, 16, v13
	v_cmp_lt_i32_e64 s[6:7], v43, v7
	v_cndmask_b32_e64 v11, 0, v11, s[6:7]
	v_cmp_lt_i32_e64 s[6:7], v34, v22
	v_cndmask_b32_e64 v13, 0, v13, s[6:7]
	v_perm_b32 v13, v11, v13, s38
	v_lshrrev_b32_e32 v11, 16, v6
	v_cmp_lt_i32_e64 s[6:7], v40, v7
	v_cndmask_b32_e64 v11, 0, v11, s[6:7]
	v_cmp_lt_i32_e64 s[6:7], v28, v22
	v_cndmask_b32_e64 v6, 0, v6, s[6:7]
	;; [unrolled: 2-line block ×3, first 2 shown]
	v_cmp_lt_i32_e64 s[6:7], v18, v22
	v_perm_b32 v6, v11, v6, s38
	v_cndmask_b32_e64 v11, 0, v12, s[6:7]
	v_perm_b32 v10, v10, v11, s38
.LBB310_919:                            ;   in Loop: Header=BB310_818 Depth=1
	s_or_b64 exec, exec, s[26:27]
	;;#ASMSTART
	v_pk_mul_f16 v11, v44, v16;

	;;#ASMEND
	;;#ASMSTART
	v_pk_mul_f16 v12, v42, v13;

	;;#ASMEND
	;;#ASMSTART
	v_pk_mul_f16 v6, v54, v6;

	;;#ASMEND
	;;#ASMSTART
	v_pk_mul_f16 v10, v50, v10;

	;;#ASMEND
	;;#ASMSTART
	v_pk_add_f16 v11, v11, v12;

	;;#ASMEND
	;;#ASMSTART
	v_pk_add_f16 v6, v11, v6;

	;;#ASMEND
	;; [unrolled: 4-line block ×3, first 2 shown]
	v_lshrrev_b32_e32 v10, 16, v6
	v_and_b32_e32 v6, 0xffff, v6
	;;#ASMSTART
	v_cvt_f32_f16 v6, v6;
	;;#ASMEND
	v_accvgpr_write_b32 a30, v6
	;;#ASMSTART
	v_cvt_f32_f16 v6, v10;
	;;#ASMEND
	flat_load_dwordx2 v[48:49], v[56:57] offset:1024
	buffer_load_dword v10, off, s[0:3], s32 offset:196 ; 4-byte Folded Reload
	buffer_load_dword v11, off, s[0:3], s32 offset:200 ; 4-byte Folded Reload
	v_accvgpr_write_b32 a31, v6
	v_mov_b32_e32 v60, 0
	v_mov_b32_e32 v38, 0
	s_waitcnt vmcnt(0) lgkmcnt(0)
	v_cmp_ne_u16_sdwa s[6:7], v48, v31 src0_sel:BYTE_0 src1_sel:DWORD
	flat_load_dword v58, v[10:11]
	s_and_saveexec_b64 s[26:27], s[6:7]
	s_cbranch_execz .LBB310_925
; %bb.920:                              ;   in Loop: Header=BB310_818 Depth=1
	v_cmp_ne_u16_sdwa s[6:7], v48, s9 src0_sel:BYTE_0 src1_sel:DWORD
	v_bfrev_b32_e32 v38, 1
	s_and_saveexec_b64 s[28:29], s[6:7]
	s_cbranch_execz .LBB310_924
; %bb.921:                              ;   in Loop: Header=BB310_818 Depth=1
	v_and_b32_e32 v6, 0x7f, v48
	v_cmp_ne_u32_e64 s[6:7], s15, v6
	v_mov_b32_e32 v38, 0x7fc02000
	s_and_saveexec_b64 s[30:31], s[6:7]
	s_cbranch_execz .LBB310_923
; %bb.922:                              ;   in Loop: Header=BB310_818 Depth=1
	v_and_b32_e32 v10, 7, v48
	v_ffbh_u32_e32 v10, v10
	v_min_u32_e32 v10, 32, v10
	v_subrev_u32_e32 v11, 28, v10
	v_cmp_gt_u32_e64 s[6:7], 8, v6
	v_lshrrev_b32_e32 v12, 3, v6
	v_sub_u32_e32 v13, 29, v10
	v_cndmask_b32_e64 v6, 0, v11, s[6:7]
	v_lshlrev_b64 v[10:11], v6, v[48:49]
	v_cndmask_b32_e64 v6, v12, v13, s[6:7]
	v_lshlrev_b32_e32 v11, 8, v48
	v_lshl_add_u32 v6, v6, 10, v35
	v_lshlrev_b32_e32 v10, 7, v10
	v_and_or_b32 v6, v11, s34, v6
	v_and_or_b32 v6, v10, s35, v6
	v_cvt_f32_f16_e32 v38, v6
.LBB310_923:                            ;   in Loop: Header=BB310_818 Depth=1
	s_or_b64 exec, exec, s[30:31]
.LBB310_924:                            ;   in Loop: Header=BB310_818 Depth=1
	s_or_b64 exec, exec, s[28:29]
.LBB310_925:                            ;   in Loop: Header=BB310_818 Depth=1
	s_or_b64 exec, exec, s[26:27]
	v_lshrrev_b16_e32 v30, 8, v48
	v_cmp_ne_u16_e64 s[6:7], 0, v30
	s_and_saveexec_b64 s[26:27], s[6:7]
	s_cbranch_execz .LBB310_931
; %bb.926:                              ;   in Loop: Header=BB310_818 Depth=1
	v_cmp_ne_u16_e64 s[6:7], s9, v30
	v_bfrev_b32_e32 v60, 1
	s_and_saveexec_b64 s[28:29], s[6:7]
	s_cbranch_execz .LBB310_930
; %bb.927:                              ;   in Loop: Header=BB310_818 Depth=1
	v_and_b32_e32 v6, 0x7f, v30
	v_cmp_ne_u32_e64 s[6:7], s15, v6
	v_mov_b32_e32 v60, 0x7fc02000
	s_and_saveexec_b64 s[30:31], s[6:7]
	s_cbranch_execz .LBB310_929
; %bb.928:                              ;   in Loop: Header=BB310_818 Depth=1
	v_and_b32_e32 v12, 7, v30
	v_ffbh_u32_e32 v10, v12
	v_min_u32_e32 v16, 32, v10
	v_subrev_u32_e32 v10, 28, v16
	v_lshlrev_b64 v[10:11], v10, v[30:31]
	v_lshrrev_b32_e32 v13, 3, v6
	v_sub_u32_e32 v11, 29, v16
	v_cmp_gt_u32_e64 s[6:7], 8, v6
	v_cndmask_b32_e64 v6, v13, v11, s[6:7]
	v_and_b32_e32 v10, 7, v10
	v_lshlrev_b32_e32 v11, 8, v30
	v_lshl_add_u32 v6, v6, 10, v35
	v_cndmask_b32_e64 v10, v12, v10, s[6:7]
	v_and_or_b32 v6, v11, s34, v6
	v_lshl_or_b32 v6, v10, 7, v6
	v_cvt_f32_f16_e32 v60, v6
.LBB310_929:                            ;   in Loop: Header=BB310_818 Depth=1
	s_or_b64 exec, exec, s[30:31]
.LBB310_930:                            ;   in Loop: Header=BB310_818 Depth=1
	s_or_b64 exec, exec, s[28:29]
.LBB310_931:                            ;   in Loop: Header=BB310_818 Depth=1
	s_or_b64 exec, exec, s[26:27]
	v_lshrrev_b32_e32 v30, 16, v48
	v_cmp_ne_u16_sdwa s[6:7], v30, v31 src0_sel:BYTE_0 src1_sel:DWORD
	v_mov_b32_e32 v61, 0
	v_mov_b32_e32 v39, 0
	s_and_saveexec_b64 s[26:27], s[6:7]
	s_cbranch_execz .LBB310_937
; %bb.932:                              ;   in Loop: Header=BB310_818 Depth=1
	v_cmp_ne_u16_sdwa s[6:7], v30, s9 src0_sel:BYTE_0 src1_sel:DWORD
	v_bfrev_b32_e32 v39, 1
	s_and_saveexec_b64 s[28:29], s[6:7]
	s_cbranch_execz .LBB310_936
; %bb.933:                              ;   in Loop: Header=BB310_818 Depth=1
	v_bfe_u32 v6, v48, 16, 7
	v_cmp_ne_u32_e64 s[6:7], s15, v6
	v_mov_b32_e32 v39, 0x7fc02000
	s_and_saveexec_b64 s[30:31], s[6:7]
	s_cbranch_execz .LBB310_935
; %bb.934:                              ;   in Loop: Header=BB310_818 Depth=1
	v_and_b32_e32 v12, 7, v30
	v_ffbh_u32_e32 v10, v12
	v_min_u32_e32 v16, 32, v10
	v_subrev_u32_e32 v10, 28, v16
	v_lshlrev_b64 v[10:11], v10, v[30:31]
	v_lshrrev_b32_e32 v13, 3, v6
	v_sub_u32_e32 v11, 29, v16
	v_cmp_gt_u32_e64 s[6:7], 8, v6
	v_cndmask_b32_e64 v6, v13, v11, s[6:7]
	v_and_b32_e32 v10, 7, v10
	v_lshlrev_b32_e32 v11, 8, v30
	v_lshl_add_u32 v6, v6, 10, v35
	v_cndmask_b32_e64 v10, v12, v10, s[6:7]
	v_and_or_b32 v6, v11, s34, v6
	v_lshl_or_b32 v6, v10, 7, v6
	v_cvt_f32_f16_e32 v39, v6
.LBB310_935:                            ;   in Loop: Header=BB310_818 Depth=1
	s_or_b64 exec, exec, s[30:31]
.LBB310_936:                            ;   in Loop: Header=BB310_818 Depth=1
	s_or_b64 exec, exec, s[28:29]
.LBB310_937:                            ;   in Loop: Header=BB310_818 Depth=1
	s_or_b64 exec, exec, s[26:27]
	v_cmp_lt_u32_e64 s[6:7], s17, v48
	s_and_saveexec_b64 s[26:27], s[6:7]
	s_cbranch_execz .LBB310_943
; %bb.938:                              ;   in Loop: Header=BB310_818 Depth=1
	v_lshrrev_b32_e32 v30, 24, v48
	v_cmp_ne_u32_e64 s[6:7], s9, v30
	v_bfrev_b32_e32 v61, 1
	s_and_saveexec_b64 s[28:29], s[6:7]
	s_cbranch_execz .LBB310_942
; %bb.939:                              ;   in Loop: Header=BB310_818 Depth=1
	v_and_b32_e32 v6, 0x7f, v30
	v_cmp_ne_u32_e64 s[6:7], s15, v6
	v_mov_b32_e32 v61, 0x7fc02000
	s_and_saveexec_b64 s[30:31], s[6:7]
	s_cbranch_execz .LBB310_941
; %bb.940:                              ;   in Loop: Header=BB310_818 Depth=1
	v_and_b32_e32 v12, 7, v30
	v_ffbh_u32_e32 v10, v12
	v_min_u32_e32 v16, 32, v10
	v_subrev_u32_e32 v10, 28, v16
	v_lshlrev_b64 v[10:11], v10, v[30:31]
	v_lshrrev_b32_e32 v13, 3, v6
	v_sub_u32_e32 v11, 29, v16
	v_cmp_gt_u32_e64 s[6:7], 8, v6
	v_cndmask_b32_e64 v6, v13, v11, s[6:7]
	v_and_b32_e32 v10, 7, v10
	v_lshlrev_b32_e32 v11, 8, v30
	v_lshl_add_u32 v6, v6, 10, v35
	v_cndmask_b32_e64 v10, v12, v10, s[6:7]
	v_and_or_b32 v6, v11, s34, v6
	v_lshl_or_b32 v6, v10, 7, v6
	v_cvt_f32_f16_e32 v61, v6
.LBB310_941:                            ;   in Loop: Header=BB310_818 Depth=1
	s_or_b64 exec, exec, s[30:31]
.LBB310_942:                            ;   in Loop: Header=BB310_818 Depth=1
	s_or_b64 exec, exec, s[28:29]
.LBB310_943:                            ;   in Loop: Header=BB310_818 Depth=1
	s_or_b64 exec, exec, s[26:27]
	v_mov_b32_e32 v30, v49
	v_cmp_ne_u16_sdwa s[6:7], v49, v31 src0_sel:BYTE_0 src1_sel:DWORD
	v_mov_b32_e32 v10, 0
	v_mov_b32_e32 v6, 0
	s_and_saveexec_b64 s[26:27], s[6:7]
	s_cbranch_execz .LBB310_949
; %bb.944:                              ;   in Loop: Header=BB310_818 Depth=1
	v_cmp_ne_u16_sdwa s[6:7], v49, s9 src0_sel:BYTE_0 src1_sel:DWORD
	v_bfrev_b32_e32 v6, 1
	s_and_saveexec_b64 s[28:29], s[6:7]
	s_cbranch_execz .LBB310_948
; %bb.945:                              ;   in Loop: Header=BB310_818 Depth=1
	v_and_b32_e32 v11, 0x7f, v49
	v_cmp_ne_u32_e64 s[6:7], s15, v11
	v_mov_b32_e32 v6, 0x7fc02000
	s_and_saveexec_b64 s[30:31], s[6:7]
	s_cbranch_execz .LBB310_947
; %bb.946:                              ;   in Loop: Header=BB310_818 Depth=1
	v_and_b32_e32 v6, 7, v49
	v_ffbh_u32_e32 v6, v6
	v_min_u32_e32 v6, 32, v6
	v_subrev_u32_e32 v12, 28, v6
	v_cmp_gt_u32_e64 s[6:7], 8, v11
	v_lshrrev_b32_e32 v16, 3, v11
	v_sub_u32_e32 v6, 29, v6
	v_cndmask_b32_e64 v11, 0, v12, s[6:7]
	v_lshlrev_b64 v[12:13], v11, v[30:31]
	v_cndmask_b32_e64 v6, v16, v6, s[6:7]
	v_lshlrev_b32_e32 v11, 7, v12
	v_lshlrev_b32_e32 v12, 8, v49
	v_lshl_add_u32 v6, v6, 10, v35
	v_and_or_b32 v6, v12, s34, v6
	v_and_or_b32 v6, v11, s35, v6
	v_cvt_f32_f16_e32 v6, v6
.LBB310_947:                            ;   in Loop: Header=BB310_818 Depth=1
	s_or_b64 exec, exec, s[30:31]
.LBB310_948:                            ;   in Loop: Header=BB310_818 Depth=1
	s_or_b64 exec, exec, s[28:29]
.LBB310_949:                            ;   in Loop: Header=BB310_818 Depth=1
	s_or_b64 exec, exec, s[26:27]
	v_lshrrev_b16_e32 v30, 8, v30
	v_cmp_ne_u16_e64 s[6:7], 0, v30
	s_and_saveexec_b64 s[26:27], s[6:7]
	s_cbranch_execz .LBB310_955
; %bb.950:                              ;   in Loop: Header=BB310_818 Depth=1
	v_cmp_ne_u16_e64 s[6:7], s9, v30
	v_bfrev_b32_e32 v10, 1
	s_and_saveexec_b64 s[28:29], s[6:7]
	s_cbranch_execz .LBB310_954
; %bb.951:                              ;   in Loop: Header=BB310_818 Depth=1
	v_and_b32_e32 v11, 0x7f, v30
	v_cmp_ne_u32_e64 s[6:7], s15, v11
	v_mov_b32_e32 v10, 0x7fc02000
	s_and_saveexec_b64 s[30:31], s[6:7]
	s_cbranch_execz .LBB310_953
; %bb.952:                              ;   in Loop: Header=BB310_818 Depth=1
	v_and_b32_e32 v10, 7, v30
	v_ffbh_u32_e32 v12, v10
	v_min_u32_e32 v17, 32, v12
	v_subrev_u32_e32 v12, 28, v17
	v_lshlrev_b64 v[12:13], v12, v[30:31]
	v_lshrrev_b32_e32 v16, 3, v11
	v_sub_u32_e32 v13, 29, v17
	v_cmp_gt_u32_e64 s[6:7], 8, v11
	v_and_b32_e32 v12, 7, v12
	v_cndmask_b32_e64 v11, v16, v13, s[6:7]
	v_cndmask_b32_e64 v10, v10, v12, s[6:7]
	v_lshlrev_b32_e32 v12, 8, v30
	v_lshl_add_u32 v11, v11, 10, v35
	v_and_or_b32 v11, v12, s34, v11
	v_lshl_or_b32 v10, v10, 7, v11
	v_cvt_f32_f16_e32 v10, v10
.LBB310_953:                            ;   in Loop: Header=BB310_818 Depth=1
	s_or_b64 exec, exec, s[30:31]
.LBB310_954:                            ;   in Loop: Header=BB310_818 Depth=1
	s_or_b64 exec, exec, s[28:29]
.LBB310_955:                            ;   in Loop: Header=BB310_818 Depth=1
	s_or_b64 exec, exec, s[26:27]
	v_lshrrev_b32_e32 v30, 16, v49
	v_cmp_ne_u16_sdwa s[6:7], v30, v31 src0_sel:BYTE_0 src1_sel:DWORD
	v_mov_b32_e32 v11, 0
	v_mov_b32_e32 v12, 0
	s_and_saveexec_b64 s[26:27], s[6:7]
	s_cbranch_execz .LBB310_961
; %bb.956:                              ;   in Loop: Header=BB310_818 Depth=1
	v_cmp_ne_u16_sdwa s[6:7], v30, s9 src0_sel:BYTE_0 src1_sel:DWORD
	v_bfrev_b32_e32 v12, 1
	s_and_saveexec_b64 s[28:29], s[6:7]
	s_cbranch_execz .LBB310_960
; %bb.957:                              ;   in Loop: Header=BB310_818 Depth=1
	v_bfe_u32 v13, v49, 16, 7
	v_cmp_ne_u32_e64 s[6:7], s15, v13
	v_mov_b32_e32 v12, 0x7fc02000
	s_and_saveexec_b64 s[30:31], s[6:7]
	s_cbranch_execz .LBB310_959
; %bb.958:                              ;   in Loop: Header=BB310_818 Depth=1
	v_and_b32_e32 v12, 7, v30
	v_ffbh_u32_e32 v16, v12
	v_min_u32_e32 v23, 32, v16
	v_subrev_u32_e32 v16, 28, v23
	v_lshlrev_b64 v[16:17], v16, v[30:31]
	v_lshrrev_b32_e32 v22, 3, v13
	v_sub_u32_e32 v17, 29, v23
	v_cmp_gt_u32_e64 s[6:7], 8, v13
	v_and_b32_e32 v16, 7, v16
	v_cndmask_b32_e64 v13, v22, v17, s[6:7]
	v_cndmask_b32_e64 v12, v12, v16, s[6:7]
	v_lshlrev_b32_e32 v16, 8, v30
	v_lshl_add_u32 v13, v13, 10, v35
	v_and_or_b32 v13, v16, s34, v13
	v_lshl_or_b32 v12, v12, 7, v13
	v_cvt_f32_f16_e32 v12, v12
.LBB310_959:                            ;   in Loop: Header=BB310_818 Depth=1
	s_or_b64 exec, exec, s[30:31]
.LBB310_960:                            ;   in Loop: Header=BB310_818 Depth=1
	s_or_b64 exec, exec, s[28:29]
.LBB310_961:                            ;   in Loop: Header=BB310_818 Depth=1
	s_or_b64 exec, exec, s[26:27]
	v_cmp_lt_u64_e64 s[6:7], s[16:17], v[48:49]
	s_and_saveexec_b64 s[26:27], s[6:7]
	s_cbranch_execz .LBB310_967
; %bb.962:                              ;   in Loop: Header=BB310_818 Depth=1
	v_lshrrev_b32_e32 v30, 24, v49
	v_cmp_ne_u32_e64 s[6:7], s9, v30
	v_bfrev_b32_e32 v11, 1
	s_and_saveexec_b64 s[28:29], s[6:7]
	s_cbranch_execz .LBB310_966
; %bb.963:                              ;   in Loop: Header=BB310_818 Depth=1
	v_and_b32_e32 v13, 0x7f, v30
	v_cmp_ne_u32_e64 s[6:7], s15, v13
	v_mov_b32_e32 v11, 0x7fc02000
	s_and_saveexec_b64 s[30:31], s[6:7]
	s_cbranch_execz .LBB310_965
; %bb.964:                              ;   in Loop: Header=BB310_818 Depth=1
	v_and_b32_e32 v11, 7, v30
	v_ffbh_u32_e32 v16, v11
	v_min_u32_e32 v23, 32, v16
	v_subrev_u32_e32 v16, 28, v23
	v_lshlrev_b64 v[16:17], v16, v[30:31]
	v_lshrrev_b32_e32 v22, 3, v13
	v_sub_u32_e32 v17, 29, v23
	v_cmp_gt_u32_e64 s[6:7], 8, v13
	v_and_b32_e32 v16, 7, v16
	v_cndmask_b32_e64 v13, v22, v17, s[6:7]
	v_cndmask_b32_e64 v11, v11, v16, s[6:7]
	v_lshlrev_b32_e32 v16, 8, v30
	v_lshl_add_u32 v13, v13, 10, v35
	v_and_or_b32 v13, v16, s34, v13
	v_lshl_or_b32 v11, v11, 7, v13
	v_cvt_f32_f16_e32 v11, v11
.LBB310_965:                            ;   in Loop: Header=BB310_818 Depth=1
	s_or_b64 exec, exec, s[30:31]
.LBB310_966:                            ;   in Loop: Header=BB310_818 Depth=1
	s_or_b64 exec, exec, s[28:29]
.LBB310_967:                            ;   in Loop: Header=BB310_818 Depth=1
	s_or_b64 exec, exec, s[26:27]
	s_waitcnt vmcnt(0) lgkmcnt(0)
	v_pk_mul_f32 v[16:17], v[58:59], v[60:61] op_sel_hi:[0,1]
	v_pk_mul_f32 v[22:23], v[58:59], v[38:39] op_sel_hi:[0,1]
	v_cvt_f16_f32_e32 v13, v17
	v_cvt_f16_f32_e32 v16, v16
	v_cvt_f16_f32_e32 v17, v23
	v_cvt_f16_f32_e32 v22, v22
	v_fma_mixlo_f16 v10, v58, v10, 0
	v_lshlrev_b32_e32 v10, 16, v10
	v_fma_mixlo_f16 v6, v58, v6, 0
	v_or_b32_sdwa v6, v10, v6 dst_sel:DWORD dst_unused:UNUSED_PAD src0_sel:DWORD src1_sel:WORD_0
	v_fma_mixlo_f16 v10, v58, v11, 0
	v_pack_b32_f16 v16, v16, v13
	v_pack_b32_f16 v17, v22, v17
	v_fma_mixlo_f16 v12, v58, v12, 0
	v_lshlrev_b32_e32 v10, 16, v10
	v_perm_b32 v13, v17, v16, s36
	v_perm_b32 v16, v17, v16, s37
	v_or_b32_sdwa v10, v10, v12 dst_sel:DWORD dst_unused:UNUSED_PAD src0_sel:DWORD src1_sel:WORD_0
	s_and_saveexec_b64 s[26:27], vcc
	s_cbranch_execz .LBB310_969
; %bb.968:                              ;   in Loop: Header=BB310_818 Depth=1
	buffer_load_dword v22, off, s[0:3], s32 offset:204 ; 4-byte Folded Reload
	buffer_load_dword v23, off, s[0:3], s32 offset:208 ; 4-byte Folded Reload
	v_lshrrev_b32_e32 v11, 16, v16
	v_cmp_lt_i32_e64 s[6:7], v53, v7
	v_cndmask_b32_e64 v11, 0, v11, s[6:7]
	v_lshrrev_b32_e32 v10, 16, v10
	s_waitcnt vmcnt(1)
	v_cmp_lt_i32_e64 s[6:7], v4, v22
	v_cndmask_b32_e64 v16, 0, v16, s[6:7]
	v_perm_b32 v16, v11, v16, s38
	v_lshrrev_b32_e32 v11, 16, v13
	v_cmp_lt_i32_e64 s[6:7], v43, v7
	v_cndmask_b32_e64 v11, 0, v11, s[6:7]
	v_cmp_lt_i32_e64 s[6:7], v34, v22
	v_cndmask_b32_e64 v13, 0, v13, s[6:7]
	v_perm_b32 v13, v11, v13, s38
	v_lshrrev_b32_e32 v11, 16, v6
	v_cmp_lt_i32_e64 s[6:7], v40, v7
	v_cndmask_b32_e64 v11, 0, v11, s[6:7]
	v_cmp_lt_i32_e64 s[6:7], v28, v22
	v_cndmask_b32_e64 v6, 0, v6, s[6:7]
	;; [unrolled: 2-line block ×3, first 2 shown]
	v_cmp_lt_i32_e64 s[6:7], v18, v22
	v_perm_b32 v6, v11, v6, s38
	v_cndmask_b32_e64 v11, 0, v12, s[6:7]
	v_perm_b32 v10, v10, v11, s38
.LBB310_969:                            ;   in Loop: Header=BB310_818 Depth=1
	s_or_b64 exec, exec, s[26:27]
	;;#ASMSTART
	v_pk_mul_f16 v11, v44, v16;

	;;#ASMEND
	;;#ASMSTART
	v_pk_mul_f16 v12, v42, v13;

	;;#ASMEND
	;; [unrolled: 4-line block ×4, first 2 shown]
	;;#ASMSTART
	v_pk_add_f16 v11, v11, v12;

	;;#ASMEND
	;;#ASMSTART
	v_pk_add_f16 v6, v11, v6;

	;;#ASMEND
	;; [unrolled: 4-line block ×3, first 2 shown]
	v_lshrrev_b32_e32 v10, 16, v6
	v_and_b32_e32 v6, 0xffff, v6
	;;#ASMSTART
	v_cvt_f32_f16 v6, v6;
	;;#ASMEND
	v_accvgpr_write_b32 a33, v6
	;;#ASMSTART
	v_cvt_f32_f16 v6, v10;
	;;#ASMEND
	flat_load_dwordx2 v[48:49], v[56:57] offset:1536
	buffer_load_dword v10, off, s[0:3], s32 offset:196 ; 4-byte Folded Reload
	buffer_load_dword v11, off, s[0:3], s32 offset:200 ; 4-byte Folded Reload
	v_accvgpr_write_b32 a35, v6
	v_mov_b32_e32 v60, 0
	v_mov_b32_e32 v38, 0
	s_waitcnt vmcnt(0) lgkmcnt(0)
	v_cmp_ne_u16_sdwa s[6:7], v48, v31 src0_sel:BYTE_0 src1_sel:DWORD
	flat_load_dword v58, v[10:11]
	s_and_saveexec_b64 s[26:27], s[6:7]
	s_cbranch_execz .LBB310_975
; %bb.970:                              ;   in Loop: Header=BB310_818 Depth=1
	v_cmp_ne_u16_sdwa s[6:7], v48, s9 src0_sel:BYTE_0 src1_sel:DWORD
	v_bfrev_b32_e32 v38, 1
	s_and_saveexec_b64 s[28:29], s[6:7]
	s_cbranch_execz .LBB310_974
; %bb.971:                              ;   in Loop: Header=BB310_818 Depth=1
	v_and_b32_e32 v6, 0x7f, v48
	v_cmp_ne_u32_e64 s[6:7], s15, v6
	v_mov_b32_e32 v38, 0x7fc02000
	s_and_saveexec_b64 s[30:31], s[6:7]
	s_cbranch_execz .LBB310_973
; %bb.972:                              ;   in Loop: Header=BB310_818 Depth=1
	v_and_b32_e32 v10, 7, v48
	v_ffbh_u32_e32 v10, v10
	v_min_u32_e32 v10, 32, v10
	v_subrev_u32_e32 v11, 28, v10
	v_cmp_gt_u32_e64 s[6:7], 8, v6
	v_lshrrev_b32_e32 v12, 3, v6
	v_sub_u32_e32 v13, 29, v10
	v_cndmask_b32_e64 v6, 0, v11, s[6:7]
	v_lshlrev_b64 v[10:11], v6, v[48:49]
	v_cndmask_b32_e64 v6, v12, v13, s[6:7]
	v_lshlrev_b32_e32 v11, 8, v48
	v_lshl_add_u32 v6, v6, 10, v35
	v_lshlrev_b32_e32 v10, 7, v10
	v_and_or_b32 v6, v11, s34, v6
	v_and_or_b32 v6, v10, s35, v6
	v_cvt_f32_f16_e32 v38, v6
.LBB310_973:                            ;   in Loop: Header=BB310_818 Depth=1
	s_or_b64 exec, exec, s[30:31]
.LBB310_974:                            ;   in Loop: Header=BB310_818 Depth=1
	s_or_b64 exec, exec, s[28:29]
.LBB310_975:                            ;   in Loop: Header=BB310_818 Depth=1
	s_or_b64 exec, exec, s[26:27]
	v_lshrrev_b16_e32 v30, 8, v48
	v_cmp_ne_u16_e64 s[6:7], 0, v30
	s_and_saveexec_b64 s[26:27], s[6:7]
	s_cbranch_execz .LBB310_981
; %bb.976:                              ;   in Loop: Header=BB310_818 Depth=1
	v_cmp_ne_u16_e64 s[6:7], s9, v30
	v_bfrev_b32_e32 v60, 1
	s_and_saveexec_b64 s[28:29], s[6:7]
	s_cbranch_execz .LBB310_980
; %bb.977:                              ;   in Loop: Header=BB310_818 Depth=1
	v_and_b32_e32 v6, 0x7f, v30
	v_cmp_ne_u32_e64 s[6:7], s15, v6
	v_mov_b32_e32 v60, 0x7fc02000
	s_and_saveexec_b64 s[30:31], s[6:7]
	s_cbranch_execz .LBB310_979
; %bb.978:                              ;   in Loop: Header=BB310_818 Depth=1
	v_and_b32_e32 v12, 7, v30
	v_ffbh_u32_e32 v10, v12
	v_min_u32_e32 v16, 32, v10
	v_subrev_u32_e32 v10, 28, v16
	v_lshlrev_b64 v[10:11], v10, v[30:31]
	v_lshrrev_b32_e32 v13, 3, v6
	v_sub_u32_e32 v11, 29, v16
	v_cmp_gt_u32_e64 s[6:7], 8, v6
	v_cndmask_b32_e64 v6, v13, v11, s[6:7]
	v_and_b32_e32 v10, 7, v10
	v_lshlrev_b32_e32 v11, 8, v30
	v_lshl_add_u32 v6, v6, 10, v35
	v_cndmask_b32_e64 v10, v12, v10, s[6:7]
	v_and_or_b32 v6, v11, s34, v6
	v_lshl_or_b32 v6, v10, 7, v6
	v_cvt_f32_f16_e32 v60, v6
.LBB310_979:                            ;   in Loop: Header=BB310_818 Depth=1
	s_or_b64 exec, exec, s[30:31]
.LBB310_980:                            ;   in Loop: Header=BB310_818 Depth=1
	s_or_b64 exec, exec, s[28:29]
.LBB310_981:                            ;   in Loop: Header=BB310_818 Depth=1
	s_or_b64 exec, exec, s[26:27]
	v_lshrrev_b32_e32 v30, 16, v48
	v_cmp_ne_u16_sdwa s[6:7], v30, v31 src0_sel:BYTE_0 src1_sel:DWORD
	v_mov_b32_e32 v61, 0
	v_mov_b32_e32 v39, 0
	s_and_saveexec_b64 s[26:27], s[6:7]
	s_cbranch_execz .LBB310_987
; %bb.982:                              ;   in Loop: Header=BB310_818 Depth=1
	v_cmp_ne_u16_sdwa s[6:7], v30, s9 src0_sel:BYTE_0 src1_sel:DWORD
	v_bfrev_b32_e32 v39, 1
	s_and_saveexec_b64 s[28:29], s[6:7]
	s_cbranch_execz .LBB310_986
; %bb.983:                              ;   in Loop: Header=BB310_818 Depth=1
	v_bfe_u32 v6, v48, 16, 7
	v_cmp_ne_u32_e64 s[6:7], s15, v6
	v_mov_b32_e32 v39, 0x7fc02000
	s_and_saveexec_b64 s[30:31], s[6:7]
	s_cbranch_execz .LBB310_985
; %bb.984:                              ;   in Loop: Header=BB310_818 Depth=1
	v_and_b32_e32 v12, 7, v30
	v_ffbh_u32_e32 v10, v12
	v_min_u32_e32 v16, 32, v10
	v_subrev_u32_e32 v10, 28, v16
	v_lshlrev_b64 v[10:11], v10, v[30:31]
	v_lshrrev_b32_e32 v13, 3, v6
	v_sub_u32_e32 v11, 29, v16
	v_cmp_gt_u32_e64 s[6:7], 8, v6
	v_cndmask_b32_e64 v6, v13, v11, s[6:7]
	v_and_b32_e32 v10, 7, v10
	v_lshlrev_b32_e32 v11, 8, v30
	v_lshl_add_u32 v6, v6, 10, v35
	v_cndmask_b32_e64 v10, v12, v10, s[6:7]
	v_and_or_b32 v6, v11, s34, v6
	v_lshl_or_b32 v6, v10, 7, v6
	v_cvt_f32_f16_e32 v39, v6
.LBB310_985:                            ;   in Loop: Header=BB310_818 Depth=1
	s_or_b64 exec, exec, s[30:31]
.LBB310_986:                            ;   in Loop: Header=BB310_818 Depth=1
	s_or_b64 exec, exec, s[28:29]
.LBB310_987:                            ;   in Loop: Header=BB310_818 Depth=1
	s_or_b64 exec, exec, s[26:27]
	v_cmp_lt_u32_e64 s[6:7], s17, v48
	s_and_saveexec_b64 s[26:27], s[6:7]
	s_cbranch_execz .LBB310_993
; %bb.988:                              ;   in Loop: Header=BB310_818 Depth=1
	v_lshrrev_b32_e32 v30, 24, v48
	v_cmp_ne_u32_e64 s[6:7], s9, v30
	v_bfrev_b32_e32 v61, 1
	s_and_saveexec_b64 s[28:29], s[6:7]
	s_cbranch_execz .LBB310_992
; %bb.989:                              ;   in Loop: Header=BB310_818 Depth=1
	v_and_b32_e32 v6, 0x7f, v30
	v_cmp_ne_u32_e64 s[6:7], s15, v6
	v_mov_b32_e32 v61, 0x7fc02000
	s_and_saveexec_b64 s[30:31], s[6:7]
	s_cbranch_execz .LBB310_991
; %bb.990:                              ;   in Loop: Header=BB310_818 Depth=1
	v_and_b32_e32 v12, 7, v30
	v_ffbh_u32_e32 v10, v12
	v_min_u32_e32 v16, 32, v10
	v_subrev_u32_e32 v10, 28, v16
	v_lshlrev_b64 v[10:11], v10, v[30:31]
	v_lshrrev_b32_e32 v13, 3, v6
	v_sub_u32_e32 v11, 29, v16
	v_cmp_gt_u32_e64 s[6:7], 8, v6
	v_cndmask_b32_e64 v6, v13, v11, s[6:7]
	v_and_b32_e32 v10, 7, v10
	v_lshlrev_b32_e32 v11, 8, v30
	v_lshl_add_u32 v6, v6, 10, v35
	v_cndmask_b32_e64 v10, v12, v10, s[6:7]
	v_and_or_b32 v6, v11, s34, v6
	v_lshl_or_b32 v6, v10, 7, v6
	v_cvt_f32_f16_e32 v61, v6
.LBB310_991:                            ;   in Loop: Header=BB310_818 Depth=1
	s_or_b64 exec, exec, s[30:31]
.LBB310_992:                            ;   in Loop: Header=BB310_818 Depth=1
	s_or_b64 exec, exec, s[28:29]
.LBB310_993:                            ;   in Loop: Header=BB310_818 Depth=1
	s_or_b64 exec, exec, s[26:27]
	v_mov_b32_e32 v30, v49
	v_cmp_ne_u16_sdwa s[6:7], v49, v31 src0_sel:BYTE_0 src1_sel:DWORD
	v_mov_b32_e32 v10, 0
	v_mov_b32_e32 v6, 0
	s_and_saveexec_b64 s[26:27], s[6:7]
	s_cbranch_execz .LBB310_999
; %bb.994:                              ;   in Loop: Header=BB310_818 Depth=1
	v_cmp_ne_u16_sdwa s[6:7], v49, s9 src0_sel:BYTE_0 src1_sel:DWORD
	v_bfrev_b32_e32 v6, 1
	s_and_saveexec_b64 s[28:29], s[6:7]
	s_cbranch_execz .LBB310_998
; %bb.995:                              ;   in Loop: Header=BB310_818 Depth=1
	v_and_b32_e32 v11, 0x7f, v49
	v_cmp_ne_u32_e64 s[6:7], s15, v11
	v_mov_b32_e32 v6, 0x7fc02000
	s_and_saveexec_b64 s[30:31], s[6:7]
	s_cbranch_execz .LBB310_997
; %bb.996:                              ;   in Loop: Header=BB310_818 Depth=1
	v_and_b32_e32 v6, 7, v49
	v_ffbh_u32_e32 v6, v6
	v_min_u32_e32 v6, 32, v6
	v_subrev_u32_e32 v12, 28, v6
	v_cmp_gt_u32_e64 s[6:7], 8, v11
	v_lshrrev_b32_e32 v16, 3, v11
	v_sub_u32_e32 v6, 29, v6
	v_cndmask_b32_e64 v11, 0, v12, s[6:7]
	v_lshlrev_b64 v[12:13], v11, v[30:31]
	v_cndmask_b32_e64 v6, v16, v6, s[6:7]
	v_lshlrev_b32_e32 v11, 7, v12
	v_lshlrev_b32_e32 v12, 8, v49
	v_lshl_add_u32 v6, v6, 10, v35
	v_and_or_b32 v6, v12, s34, v6
	v_and_or_b32 v6, v11, s35, v6
	v_cvt_f32_f16_e32 v6, v6
.LBB310_997:                            ;   in Loop: Header=BB310_818 Depth=1
	s_or_b64 exec, exec, s[30:31]
.LBB310_998:                            ;   in Loop: Header=BB310_818 Depth=1
	s_or_b64 exec, exec, s[28:29]
.LBB310_999:                            ;   in Loop: Header=BB310_818 Depth=1
	s_or_b64 exec, exec, s[26:27]
	v_lshrrev_b16_e32 v30, 8, v30
	v_cmp_ne_u16_e64 s[6:7], 0, v30
	s_and_saveexec_b64 s[26:27], s[6:7]
	s_cbranch_execz .LBB310_1005
; %bb.1000:                             ;   in Loop: Header=BB310_818 Depth=1
	v_cmp_ne_u16_e64 s[6:7], s9, v30
	v_bfrev_b32_e32 v10, 1
	s_and_saveexec_b64 s[28:29], s[6:7]
	s_cbranch_execz .LBB310_1004
; %bb.1001:                             ;   in Loop: Header=BB310_818 Depth=1
	v_and_b32_e32 v11, 0x7f, v30
	v_cmp_ne_u32_e64 s[6:7], s15, v11
	v_mov_b32_e32 v10, 0x7fc02000
	s_and_saveexec_b64 s[30:31], s[6:7]
	s_cbranch_execz .LBB310_1003
; %bb.1002:                             ;   in Loop: Header=BB310_818 Depth=1
	v_and_b32_e32 v10, 7, v30
	v_ffbh_u32_e32 v12, v10
	v_min_u32_e32 v17, 32, v12
	v_subrev_u32_e32 v12, 28, v17
	v_lshlrev_b64 v[12:13], v12, v[30:31]
	v_lshrrev_b32_e32 v16, 3, v11
	v_sub_u32_e32 v13, 29, v17
	v_cmp_gt_u32_e64 s[6:7], 8, v11
	v_and_b32_e32 v12, 7, v12
	v_cndmask_b32_e64 v11, v16, v13, s[6:7]
	v_cndmask_b32_e64 v10, v10, v12, s[6:7]
	v_lshlrev_b32_e32 v12, 8, v30
	v_lshl_add_u32 v11, v11, 10, v35
	v_and_or_b32 v11, v12, s34, v11
	v_lshl_or_b32 v10, v10, 7, v11
	v_cvt_f32_f16_e32 v10, v10
.LBB310_1003:                           ;   in Loop: Header=BB310_818 Depth=1
	s_or_b64 exec, exec, s[30:31]
.LBB310_1004:                           ;   in Loop: Header=BB310_818 Depth=1
	s_or_b64 exec, exec, s[28:29]
.LBB310_1005:                           ;   in Loop: Header=BB310_818 Depth=1
	s_or_b64 exec, exec, s[26:27]
	v_lshrrev_b32_e32 v30, 16, v49
	v_cmp_ne_u16_sdwa s[6:7], v30, v31 src0_sel:BYTE_0 src1_sel:DWORD
	v_mov_b32_e32 v11, 0
	v_mov_b32_e32 v12, 0
	s_and_saveexec_b64 s[26:27], s[6:7]
	s_cbranch_execz .LBB310_1011
; %bb.1006:                             ;   in Loop: Header=BB310_818 Depth=1
	v_cmp_ne_u16_sdwa s[6:7], v30, s9 src0_sel:BYTE_0 src1_sel:DWORD
	v_bfrev_b32_e32 v12, 1
	s_and_saveexec_b64 s[28:29], s[6:7]
	s_cbranch_execz .LBB310_1010
; %bb.1007:                             ;   in Loop: Header=BB310_818 Depth=1
	v_bfe_u32 v13, v49, 16, 7
	v_cmp_ne_u32_e64 s[6:7], s15, v13
	v_mov_b32_e32 v12, 0x7fc02000
	s_and_saveexec_b64 s[30:31], s[6:7]
	s_cbranch_execz .LBB310_1009
; %bb.1008:                             ;   in Loop: Header=BB310_818 Depth=1
	v_and_b32_e32 v12, 7, v30
	v_ffbh_u32_e32 v16, v12
	v_min_u32_e32 v23, 32, v16
	v_subrev_u32_e32 v16, 28, v23
	v_lshlrev_b64 v[16:17], v16, v[30:31]
	v_lshrrev_b32_e32 v22, 3, v13
	v_sub_u32_e32 v17, 29, v23
	v_cmp_gt_u32_e64 s[6:7], 8, v13
	v_and_b32_e32 v16, 7, v16
	v_cndmask_b32_e64 v13, v22, v17, s[6:7]
	v_cndmask_b32_e64 v12, v12, v16, s[6:7]
	v_lshlrev_b32_e32 v16, 8, v30
	v_lshl_add_u32 v13, v13, 10, v35
	v_and_or_b32 v13, v16, s34, v13
	v_lshl_or_b32 v12, v12, 7, v13
	v_cvt_f32_f16_e32 v12, v12
.LBB310_1009:                           ;   in Loop: Header=BB310_818 Depth=1
	s_or_b64 exec, exec, s[30:31]
.LBB310_1010:                           ;   in Loop: Header=BB310_818 Depth=1
	s_or_b64 exec, exec, s[28:29]
.LBB310_1011:                           ;   in Loop: Header=BB310_818 Depth=1
	s_or_b64 exec, exec, s[26:27]
	v_cmp_lt_u64_e64 s[6:7], s[16:17], v[48:49]
	s_and_saveexec_b64 s[26:27], s[6:7]
	s_cbranch_execz .LBB310_1017
; %bb.1012:                             ;   in Loop: Header=BB310_818 Depth=1
	v_lshrrev_b32_e32 v30, 24, v49
	v_cmp_ne_u32_e64 s[6:7], s9, v30
	v_bfrev_b32_e32 v11, 1
	s_and_saveexec_b64 s[28:29], s[6:7]
	s_cbranch_execz .LBB310_1016
; %bb.1013:                             ;   in Loop: Header=BB310_818 Depth=1
	v_and_b32_e32 v13, 0x7f, v30
	v_cmp_ne_u32_e64 s[6:7], s15, v13
	v_mov_b32_e32 v11, 0x7fc02000
	s_and_saveexec_b64 s[30:31], s[6:7]
	s_cbranch_execz .LBB310_1015
; %bb.1014:                             ;   in Loop: Header=BB310_818 Depth=1
	v_and_b32_e32 v11, 7, v30
	v_ffbh_u32_e32 v16, v11
	v_min_u32_e32 v23, 32, v16
	v_subrev_u32_e32 v16, 28, v23
	v_lshlrev_b64 v[16:17], v16, v[30:31]
	v_lshrrev_b32_e32 v22, 3, v13
	v_sub_u32_e32 v17, 29, v23
	v_cmp_gt_u32_e64 s[6:7], 8, v13
	v_and_b32_e32 v16, 7, v16
	v_cndmask_b32_e64 v13, v22, v17, s[6:7]
	v_cndmask_b32_e64 v11, v11, v16, s[6:7]
	v_lshlrev_b32_e32 v16, 8, v30
	v_lshl_add_u32 v13, v13, 10, v35
	v_and_or_b32 v13, v16, s34, v13
	v_lshl_or_b32 v11, v11, 7, v13
	v_cvt_f32_f16_e32 v11, v11
.LBB310_1015:                           ;   in Loop: Header=BB310_818 Depth=1
	s_or_b64 exec, exec, s[30:31]
.LBB310_1016:                           ;   in Loop: Header=BB310_818 Depth=1
	s_or_b64 exec, exec, s[28:29]
.LBB310_1017:                           ;   in Loop: Header=BB310_818 Depth=1
	s_or_b64 exec, exec, s[26:27]
	s_waitcnt vmcnt(0) lgkmcnt(0)
	v_pk_mul_f32 v[16:17], v[58:59], v[60:61] op_sel_hi:[0,1]
	v_pk_mul_f32 v[22:23], v[58:59], v[38:39] op_sel_hi:[0,1]
	v_cvt_f16_f32_e32 v13, v17
	v_cvt_f16_f32_e32 v16, v16
	;; [unrolled: 1-line block ×4, first 2 shown]
	v_fma_mixlo_f16 v10, v58, v10, 0
	v_lshlrev_b32_e32 v10, 16, v10
	v_fma_mixlo_f16 v6, v58, v6, 0
	v_or_b32_sdwa v6, v10, v6 dst_sel:DWORD dst_unused:UNUSED_PAD src0_sel:DWORD src1_sel:WORD_0
	v_fma_mixlo_f16 v10, v58, v11, 0
	v_pack_b32_f16 v16, v16, v13
	v_pack_b32_f16 v17, v22, v17
	v_fma_mixlo_f16 v12, v58, v12, 0
	v_lshlrev_b32_e32 v10, 16, v10
	v_perm_b32 v13, v17, v16, s36
	v_perm_b32 v16, v17, v16, s37
	v_or_b32_sdwa v10, v10, v12 dst_sel:DWORD dst_unused:UNUSED_PAD src0_sel:DWORD src1_sel:WORD_0
	s_and_saveexec_b64 s[26:27], vcc
	s_cbranch_execz .LBB310_1019
; %bb.1018:                             ;   in Loop: Header=BB310_818 Depth=1
	buffer_load_dword v22, off, s[0:3], s32 offset:204 ; 4-byte Folded Reload
	buffer_load_dword v23, off, s[0:3], s32 offset:208 ; 4-byte Folded Reload
	v_lshrrev_b32_e32 v11, 16, v16
	v_cmp_lt_i32_e64 s[6:7], v53, v7
	v_cndmask_b32_e64 v11, 0, v11, s[6:7]
	v_lshrrev_b32_e32 v10, 16, v10
	s_waitcnt vmcnt(1)
	v_cmp_lt_i32_e64 s[6:7], v4, v22
	v_cndmask_b32_e64 v16, 0, v16, s[6:7]
	v_perm_b32 v16, v11, v16, s38
	v_lshrrev_b32_e32 v11, 16, v13
	v_cmp_lt_i32_e64 s[6:7], v43, v7
	v_cndmask_b32_e64 v11, 0, v11, s[6:7]
	v_cmp_lt_i32_e64 s[6:7], v34, v22
	v_cndmask_b32_e64 v13, 0, v13, s[6:7]
	v_perm_b32 v13, v11, v13, s38
	v_lshrrev_b32_e32 v11, 16, v6
	v_cmp_lt_i32_e64 s[6:7], v40, v7
	v_cndmask_b32_e64 v11, 0, v11, s[6:7]
	v_cmp_lt_i32_e64 s[6:7], v28, v22
	v_cndmask_b32_e64 v6, 0, v6, s[6:7]
	;; [unrolled: 2-line block ×3, first 2 shown]
	v_cmp_lt_i32_e64 s[6:7], v18, v22
	v_perm_b32 v6, v11, v6, s38
	v_cndmask_b32_e64 v11, 0, v12, s[6:7]
	v_perm_b32 v10, v10, v11, s38
.LBB310_1019:                           ;   in Loop: Header=BB310_818 Depth=1
	s_or_b64 exec, exec, s[26:27]
	;;#ASMSTART
	v_pk_mul_f16 v11, v44, v16;

	;;#ASMEND
	;;#ASMSTART
	v_pk_mul_f16 v12, v42, v13;

	;;#ASMEND
	;; [unrolled: 4-line block ×4, first 2 shown]
	;;#ASMSTART
	v_pk_add_f16 v11, v11, v12;

	;;#ASMEND
	;;#ASMSTART
	v_pk_add_f16 v6, v11, v6;

	;;#ASMEND
	;; [unrolled: 4-line block ×3, first 2 shown]
	v_lshrrev_b32_e32 v10, 16, v6
	v_and_b32_e32 v6, 0xffff, v6
	;;#ASMSTART
	v_cvt_f32_f16 v6, v6;
	;;#ASMEND
	v_accvgpr_write_b32 a37, v6
	;;#ASMSTART
	v_cvt_f32_f16 v6, v10;
	;;#ASMEND
	flat_load_dwordx2 v[48:49], v[56:57] offset:2048
	buffer_load_dword v10, off, s[0:3], s32 offset:196 ; 4-byte Folded Reload
	buffer_load_dword v11, off, s[0:3], s32 offset:200 ; 4-byte Folded Reload
	v_accvgpr_write_b32 a39, v6
	v_mov_b32_e32 v60, 0
	v_mov_b32_e32 v38, 0
	s_waitcnt vmcnt(0) lgkmcnt(0)
	v_cmp_ne_u16_sdwa s[6:7], v48, v31 src0_sel:BYTE_0 src1_sel:DWORD
	flat_load_dword v58, v[10:11]
	s_and_saveexec_b64 s[26:27], s[6:7]
	s_cbranch_execz .LBB310_1025
; %bb.1020:                             ;   in Loop: Header=BB310_818 Depth=1
	v_cmp_ne_u16_sdwa s[6:7], v48, s9 src0_sel:BYTE_0 src1_sel:DWORD
	v_bfrev_b32_e32 v38, 1
	s_and_saveexec_b64 s[28:29], s[6:7]
	s_cbranch_execz .LBB310_1024
; %bb.1021:                             ;   in Loop: Header=BB310_818 Depth=1
	v_and_b32_e32 v6, 0x7f, v48
	v_cmp_ne_u32_e64 s[6:7], s15, v6
	v_mov_b32_e32 v38, 0x7fc02000
	s_and_saveexec_b64 s[30:31], s[6:7]
	s_cbranch_execz .LBB310_1023
; %bb.1022:                             ;   in Loop: Header=BB310_818 Depth=1
	v_and_b32_e32 v10, 7, v48
	v_ffbh_u32_e32 v10, v10
	v_min_u32_e32 v10, 32, v10
	v_subrev_u32_e32 v11, 28, v10
	v_cmp_gt_u32_e64 s[6:7], 8, v6
	v_lshrrev_b32_e32 v12, 3, v6
	v_sub_u32_e32 v13, 29, v10
	v_cndmask_b32_e64 v6, 0, v11, s[6:7]
	v_lshlrev_b64 v[10:11], v6, v[48:49]
	v_cndmask_b32_e64 v6, v12, v13, s[6:7]
	v_lshlrev_b32_e32 v11, 8, v48
	v_lshl_add_u32 v6, v6, 10, v35
	v_lshlrev_b32_e32 v10, 7, v10
	v_and_or_b32 v6, v11, s34, v6
	v_and_or_b32 v6, v10, s35, v6
	v_cvt_f32_f16_e32 v38, v6
.LBB310_1023:                           ;   in Loop: Header=BB310_818 Depth=1
	s_or_b64 exec, exec, s[30:31]
.LBB310_1024:                           ;   in Loop: Header=BB310_818 Depth=1
	s_or_b64 exec, exec, s[28:29]
.LBB310_1025:                           ;   in Loop: Header=BB310_818 Depth=1
	s_or_b64 exec, exec, s[26:27]
	v_lshrrev_b16_e32 v30, 8, v48
	v_cmp_ne_u16_e64 s[6:7], 0, v30
	s_and_saveexec_b64 s[26:27], s[6:7]
	s_cbranch_execz .LBB310_1031
; %bb.1026:                             ;   in Loop: Header=BB310_818 Depth=1
	v_cmp_ne_u16_e64 s[6:7], s9, v30
	v_bfrev_b32_e32 v60, 1
	s_and_saveexec_b64 s[28:29], s[6:7]
	s_cbranch_execz .LBB310_1030
; %bb.1027:                             ;   in Loop: Header=BB310_818 Depth=1
	v_and_b32_e32 v6, 0x7f, v30
	v_cmp_ne_u32_e64 s[6:7], s15, v6
	v_mov_b32_e32 v60, 0x7fc02000
	s_and_saveexec_b64 s[30:31], s[6:7]
	s_cbranch_execz .LBB310_1029
; %bb.1028:                             ;   in Loop: Header=BB310_818 Depth=1
	v_and_b32_e32 v12, 7, v30
	v_ffbh_u32_e32 v10, v12
	v_min_u32_e32 v16, 32, v10
	v_subrev_u32_e32 v10, 28, v16
	v_lshlrev_b64 v[10:11], v10, v[30:31]
	v_lshrrev_b32_e32 v13, 3, v6
	v_sub_u32_e32 v11, 29, v16
	v_cmp_gt_u32_e64 s[6:7], 8, v6
	v_cndmask_b32_e64 v6, v13, v11, s[6:7]
	v_and_b32_e32 v10, 7, v10
	v_lshlrev_b32_e32 v11, 8, v30
	v_lshl_add_u32 v6, v6, 10, v35
	v_cndmask_b32_e64 v10, v12, v10, s[6:7]
	v_and_or_b32 v6, v11, s34, v6
	v_lshl_or_b32 v6, v10, 7, v6
	v_cvt_f32_f16_e32 v60, v6
.LBB310_1029:                           ;   in Loop: Header=BB310_818 Depth=1
	s_or_b64 exec, exec, s[30:31]
.LBB310_1030:                           ;   in Loop: Header=BB310_818 Depth=1
	s_or_b64 exec, exec, s[28:29]
.LBB310_1031:                           ;   in Loop: Header=BB310_818 Depth=1
	s_or_b64 exec, exec, s[26:27]
	v_lshrrev_b32_e32 v30, 16, v48
	v_cmp_ne_u16_sdwa s[6:7], v30, v31 src0_sel:BYTE_0 src1_sel:DWORD
	v_mov_b32_e32 v61, 0
	v_mov_b32_e32 v39, 0
	s_and_saveexec_b64 s[26:27], s[6:7]
	s_cbranch_execz .LBB310_1037
; %bb.1032:                             ;   in Loop: Header=BB310_818 Depth=1
	v_cmp_ne_u16_sdwa s[6:7], v30, s9 src0_sel:BYTE_0 src1_sel:DWORD
	v_bfrev_b32_e32 v39, 1
	s_and_saveexec_b64 s[28:29], s[6:7]
	s_cbranch_execz .LBB310_1036
; %bb.1033:                             ;   in Loop: Header=BB310_818 Depth=1
	v_bfe_u32 v6, v48, 16, 7
	v_cmp_ne_u32_e64 s[6:7], s15, v6
	v_mov_b32_e32 v39, 0x7fc02000
	s_and_saveexec_b64 s[30:31], s[6:7]
	s_cbranch_execz .LBB310_1035
; %bb.1034:                             ;   in Loop: Header=BB310_818 Depth=1
	v_and_b32_e32 v12, 7, v30
	v_ffbh_u32_e32 v10, v12
	v_min_u32_e32 v16, 32, v10
	v_subrev_u32_e32 v10, 28, v16
	v_lshlrev_b64 v[10:11], v10, v[30:31]
	v_lshrrev_b32_e32 v13, 3, v6
	v_sub_u32_e32 v11, 29, v16
	v_cmp_gt_u32_e64 s[6:7], 8, v6
	v_cndmask_b32_e64 v6, v13, v11, s[6:7]
	v_and_b32_e32 v10, 7, v10
	v_lshlrev_b32_e32 v11, 8, v30
	v_lshl_add_u32 v6, v6, 10, v35
	v_cndmask_b32_e64 v10, v12, v10, s[6:7]
	v_and_or_b32 v6, v11, s34, v6
	v_lshl_or_b32 v6, v10, 7, v6
	v_cvt_f32_f16_e32 v39, v6
.LBB310_1035:                           ;   in Loop: Header=BB310_818 Depth=1
	s_or_b64 exec, exec, s[30:31]
.LBB310_1036:                           ;   in Loop: Header=BB310_818 Depth=1
	s_or_b64 exec, exec, s[28:29]
.LBB310_1037:                           ;   in Loop: Header=BB310_818 Depth=1
	s_or_b64 exec, exec, s[26:27]
	v_cmp_lt_u32_e64 s[6:7], s17, v48
	s_and_saveexec_b64 s[26:27], s[6:7]
	s_cbranch_execz .LBB310_1043
; %bb.1038:                             ;   in Loop: Header=BB310_818 Depth=1
	v_lshrrev_b32_e32 v30, 24, v48
	v_cmp_ne_u32_e64 s[6:7], s9, v30
	v_bfrev_b32_e32 v61, 1
	s_and_saveexec_b64 s[28:29], s[6:7]
	s_cbranch_execz .LBB310_1042
; %bb.1039:                             ;   in Loop: Header=BB310_818 Depth=1
	v_and_b32_e32 v6, 0x7f, v30
	v_cmp_ne_u32_e64 s[6:7], s15, v6
	v_mov_b32_e32 v61, 0x7fc02000
	s_and_saveexec_b64 s[30:31], s[6:7]
	s_cbranch_execz .LBB310_1041
; %bb.1040:                             ;   in Loop: Header=BB310_818 Depth=1
	v_and_b32_e32 v12, 7, v30
	v_ffbh_u32_e32 v10, v12
	v_min_u32_e32 v16, 32, v10
	v_subrev_u32_e32 v10, 28, v16
	v_lshlrev_b64 v[10:11], v10, v[30:31]
	v_lshrrev_b32_e32 v13, 3, v6
	v_sub_u32_e32 v11, 29, v16
	v_cmp_gt_u32_e64 s[6:7], 8, v6
	v_cndmask_b32_e64 v6, v13, v11, s[6:7]
	v_and_b32_e32 v10, 7, v10
	v_lshlrev_b32_e32 v11, 8, v30
	v_lshl_add_u32 v6, v6, 10, v35
	v_cndmask_b32_e64 v10, v12, v10, s[6:7]
	v_and_or_b32 v6, v11, s34, v6
	v_lshl_or_b32 v6, v10, 7, v6
	v_cvt_f32_f16_e32 v61, v6
.LBB310_1041:                           ;   in Loop: Header=BB310_818 Depth=1
	s_or_b64 exec, exec, s[30:31]
.LBB310_1042:                           ;   in Loop: Header=BB310_818 Depth=1
	s_or_b64 exec, exec, s[28:29]
.LBB310_1043:                           ;   in Loop: Header=BB310_818 Depth=1
	s_or_b64 exec, exec, s[26:27]
	v_mov_b32_e32 v30, v49
	v_cmp_ne_u16_sdwa s[6:7], v49, v31 src0_sel:BYTE_0 src1_sel:DWORD
	v_mov_b32_e32 v10, 0
	v_mov_b32_e32 v6, 0
	s_and_saveexec_b64 s[26:27], s[6:7]
	s_cbranch_execz .LBB310_1049
; %bb.1044:                             ;   in Loop: Header=BB310_818 Depth=1
	v_cmp_ne_u16_sdwa s[6:7], v49, s9 src0_sel:BYTE_0 src1_sel:DWORD
	v_bfrev_b32_e32 v6, 1
	s_and_saveexec_b64 s[28:29], s[6:7]
	s_cbranch_execz .LBB310_1048
; %bb.1045:                             ;   in Loop: Header=BB310_818 Depth=1
	v_and_b32_e32 v11, 0x7f, v49
	v_cmp_ne_u32_e64 s[6:7], s15, v11
	v_mov_b32_e32 v6, 0x7fc02000
	s_and_saveexec_b64 s[30:31], s[6:7]
	s_cbranch_execz .LBB310_1047
; %bb.1046:                             ;   in Loop: Header=BB310_818 Depth=1
	v_and_b32_e32 v6, 7, v49
	v_ffbh_u32_e32 v6, v6
	v_min_u32_e32 v6, 32, v6
	v_subrev_u32_e32 v12, 28, v6
	v_cmp_gt_u32_e64 s[6:7], 8, v11
	v_lshrrev_b32_e32 v16, 3, v11
	v_sub_u32_e32 v6, 29, v6
	v_cndmask_b32_e64 v11, 0, v12, s[6:7]
	v_lshlrev_b64 v[12:13], v11, v[30:31]
	v_cndmask_b32_e64 v6, v16, v6, s[6:7]
	v_lshlrev_b32_e32 v11, 7, v12
	v_lshlrev_b32_e32 v12, 8, v49
	v_lshl_add_u32 v6, v6, 10, v35
	v_and_or_b32 v6, v12, s34, v6
	v_and_or_b32 v6, v11, s35, v6
	v_cvt_f32_f16_e32 v6, v6
.LBB310_1047:                           ;   in Loop: Header=BB310_818 Depth=1
	s_or_b64 exec, exec, s[30:31]
.LBB310_1048:                           ;   in Loop: Header=BB310_818 Depth=1
	s_or_b64 exec, exec, s[28:29]
.LBB310_1049:                           ;   in Loop: Header=BB310_818 Depth=1
	s_or_b64 exec, exec, s[26:27]
	v_lshrrev_b16_e32 v30, 8, v30
	v_cmp_ne_u16_e64 s[6:7], 0, v30
	s_and_saveexec_b64 s[26:27], s[6:7]
	s_cbranch_execz .LBB310_1055
; %bb.1050:                             ;   in Loop: Header=BB310_818 Depth=1
	v_cmp_ne_u16_e64 s[6:7], s9, v30
	v_bfrev_b32_e32 v10, 1
	s_and_saveexec_b64 s[28:29], s[6:7]
	s_cbranch_execz .LBB310_1054
; %bb.1051:                             ;   in Loop: Header=BB310_818 Depth=1
	v_and_b32_e32 v11, 0x7f, v30
	v_cmp_ne_u32_e64 s[6:7], s15, v11
	v_mov_b32_e32 v10, 0x7fc02000
	s_and_saveexec_b64 s[30:31], s[6:7]
	s_cbranch_execz .LBB310_1053
; %bb.1052:                             ;   in Loop: Header=BB310_818 Depth=1
	v_and_b32_e32 v10, 7, v30
	v_ffbh_u32_e32 v12, v10
	v_min_u32_e32 v17, 32, v12
	v_subrev_u32_e32 v12, 28, v17
	v_lshlrev_b64 v[12:13], v12, v[30:31]
	v_lshrrev_b32_e32 v16, 3, v11
	v_sub_u32_e32 v13, 29, v17
	v_cmp_gt_u32_e64 s[6:7], 8, v11
	v_and_b32_e32 v12, 7, v12
	v_cndmask_b32_e64 v11, v16, v13, s[6:7]
	v_cndmask_b32_e64 v10, v10, v12, s[6:7]
	v_lshlrev_b32_e32 v12, 8, v30
	v_lshl_add_u32 v11, v11, 10, v35
	v_and_or_b32 v11, v12, s34, v11
	v_lshl_or_b32 v10, v10, 7, v11
	v_cvt_f32_f16_e32 v10, v10
.LBB310_1053:                           ;   in Loop: Header=BB310_818 Depth=1
	s_or_b64 exec, exec, s[30:31]
.LBB310_1054:                           ;   in Loop: Header=BB310_818 Depth=1
	s_or_b64 exec, exec, s[28:29]
.LBB310_1055:                           ;   in Loop: Header=BB310_818 Depth=1
	s_or_b64 exec, exec, s[26:27]
	v_lshrrev_b32_e32 v30, 16, v49
	v_cmp_ne_u16_sdwa s[6:7], v30, v31 src0_sel:BYTE_0 src1_sel:DWORD
	v_mov_b32_e32 v11, 0
	v_mov_b32_e32 v12, 0
	s_and_saveexec_b64 s[26:27], s[6:7]
	s_cbranch_execz .LBB310_1061
; %bb.1056:                             ;   in Loop: Header=BB310_818 Depth=1
	v_cmp_ne_u16_sdwa s[6:7], v30, s9 src0_sel:BYTE_0 src1_sel:DWORD
	v_bfrev_b32_e32 v12, 1
	s_and_saveexec_b64 s[28:29], s[6:7]
	s_cbranch_execz .LBB310_1060
; %bb.1057:                             ;   in Loop: Header=BB310_818 Depth=1
	v_bfe_u32 v13, v49, 16, 7
	v_cmp_ne_u32_e64 s[6:7], s15, v13
	v_mov_b32_e32 v12, 0x7fc02000
	s_and_saveexec_b64 s[30:31], s[6:7]
	s_cbranch_execz .LBB310_1059
; %bb.1058:                             ;   in Loop: Header=BB310_818 Depth=1
	v_and_b32_e32 v12, 7, v30
	v_ffbh_u32_e32 v16, v12
	v_min_u32_e32 v23, 32, v16
	v_subrev_u32_e32 v16, 28, v23
	v_lshlrev_b64 v[16:17], v16, v[30:31]
	v_lshrrev_b32_e32 v22, 3, v13
	v_sub_u32_e32 v17, 29, v23
	v_cmp_gt_u32_e64 s[6:7], 8, v13
	v_and_b32_e32 v16, 7, v16
	v_cndmask_b32_e64 v13, v22, v17, s[6:7]
	v_cndmask_b32_e64 v12, v12, v16, s[6:7]
	v_lshlrev_b32_e32 v16, 8, v30
	v_lshl_add_u32 v13, v13, 10, v35
	v_and_or_b32 v13, v16, s34, v13
	v_lshl_or_b32 v12, v12, 7, v13
	v_cvt_f32_f16_e32 v12, v12
.LBB310_1059:                           ;   in Loop: Header=BB310_818 Depth=1
	s_or_b64 exec, exec, s[30:31]
.LBB310_1060:                           ;   in Loop: Header=BB310_818 Depth=1
	s_or_b64 exec, exec, s[28:29]
.LBB310_1061:                           ;   in Loop: Header=BB310_818 Depth=1
	s_or_b64 exec, exec, s[26:27]
	v_cmp_lt_u64_e64 s[6:7], s[16:17], v[48:49]
	s_and_saveexec_b64 s[26:27], s[6:7]
	s_cbranch_execz .LBB310_1067
; %bb.1062:                             ;   in Loop: Header=BB310_818 Depth=1
	v_lshrrev_b32_e32 v30, 24, v49
	v_cmp_ne_u32_e64 s[6:7], s9, v30
	v_bfrev_b32_e32 v11, 1
	s_and_saveexec_b64 s[28:29], s[6:7]
	s_cbranch_execz .LBB310_1066
; %bb.1063:                             ;   in Loop: Header=BB310_818 Depth=1
	v_and_b32_e32 v13, 0x7f, v30
	v_cmp_ne_u32_e64 s[6:7], s15, v13
	v_mov_b32_e32 v11, 0x7fc02000
	s_and_saveexec_b64 s[30:31], s[6:7]
	s_cbranch_execz .LBB310_1065
; %bb.1064:                             ;   in Loop: Header=BB310_818 Depth=1
	v_and_b32_e32 v11, 7, v30
	v_ffbh_u32_e32 v16, v11
	v_min_u32_e32 v23, 32, v16
	v_subrev_u32_e32 v16, 28, v23
	v_lshlrev_b64 v[16:17], v16, v[30:31]
	v_lshrrev_b32_e32 v22, 3, v13
	v_sub_u32_e32 v17, 29, v23
	v_cmp_gt_u32_e64 s[6:7], 8, v13
	v_and_b32_e32 v16, 7, v16
	v_cndmask_b32_e64 v13, v22, v17, s[6:7]
	v_cndmask_b32_e64 v11, v11, v16, s[6:7]
	v_lshlrev_b32_e32 v16, 8, v30
	v_lshl_add_u32 v13, v13, 10, v35
	v_and_or_b32 v13, v16, s34, v13
	v_lshl_or_b32 v11, v11, 7, v13
	v_cvt_f32_f16_e32 v11, v11
.LBB310_1065:                           ;   in Loop: Header=BB310_818 Depth=1
	s_or_b64 exec, exec, s[30:31]
.LBB310_1066:                           ;   in Loop: Header=BB310_818 Depth=1
	s_or_b64 exec, exec, s[28:29]
.LBB310_1067:                           ;   in Loop: Header=BB310_818 Depth=1
	s_or_b64 exec, exec, s[26:27]
	s_waitcnt vmcnt(0) lgkmcnt(0)
	v_pk_mul_f32 v[16:17], v[58:59], v[60:61] op_sel_hi:[0,1]
	v_pk_mul_f32 v[22:23], v[58:59], v[38:39] op_sel_hi:[0,1]
	v_cvt_f16_f32_e32 v13, v17
	v_cvt_f16_f32_e32 v16, v16
	;; [unrolled: 1-line block ×4, first 2 shown]
	v_fma_mixlo_f16 v10, v58, v10, 0
	v_lshlrev_b32_e32 v10, 16, v10
	v_fma_mixlo_f16 v6, v58, v6, 0
	v_or_b32_sdwa v6, v10, v6 dst_sel:DWORD dst_unused:UNUSED_PAD src0_sel:DWORD src1_sel:WORD_0
	v_fma_mixlo_f16 v10, v58, v11, 0
	v_pack_b32_f16 v16, v16, v13
	v_pack_b32_f16 v17, v22, v17
	v_fma_mixlo_f16 v12, v58, v12, 0
	v_lshlrev_b32_e32 v10, 16, v10
	v_perm_b32 v13, v17, v16, s36
	v_perm_b32 v16, v17, v16, s37
	v_or_b32_sdwa v10, v10, v12 dst_sel:DWORD dst_unused:UNUSED_PAD src0_sel:DWORD src1_sel:WORD_0
	s_and_saveexec_b64 s[26:27], vcc
	s_cbranch_execz .LBB310_1069
; %bb.1068:                             ;   in Loop: Header=BB310_818 Depth=1
	buffer_load_dword v22, off, s[0:3], s32 offset:204 ; 4-byte Folded Reload
	buffer_load_dword v23, off, s[0:3], s32 offset:208 ; 4-byte Folded Reload
	v_lshrrev_b32_e32 v11, 16, v16
	v_cmp_lt_i32_e64 s[6:7], v53, v7
	v_cndmask_b32_e64 v11, 0, v11, s[6:7]
	v_lshrrev_b32_e32 v10, 16, v10
	s_waitcnt vmcnt(1)
	v_cmp_lt_i32_e64 s[6:7], v4, v22
	v_cndmask_b32_e64 v16, 0, v16, s[6:7]
	v_perm_b32 v16, v11, v16, s38
	v_lshrrev_b32_e32 v11, 16, v13
	v_cmp_lt_i32_e64 s[6:7], v43, v7
	v_cndmask_b32_e64 v11, 0, v11, s[6:7]
	v_cmp_lt_i32_e64 s[6:7], v34, v22
	v_cndmask_b32_e64 v13, 0, v13, s[6:7]
	v_perm_b32 v13, v11, v13, s38
	v_lshrrev_b32_e32 v11, 16, v6
	v_cmp_lt_i32_e64 s[6:7], v40, v7
	v_cndmask_b32_e64 v11, 0, v11, s[6:7]
	v_cmp_lt_i32_e64 s[6:7], v28, v22
	v_cndmask_b32_e64 v6, 0, v6, s[6:7]
	;; [unrolled: 2-line block ×3, first 2 shown]
	v_cmp_lt_i32_e64 s[6:7], v18, v22
	v_perm_b32 v6, v11, v6, s38
	v_cndmask_b32_e64 v11, 0, v12, s[6:7]
	v_perm_b32 v10, v10, v11, s38
.LBB310_1069:                           ;   in Loop: Header=BB310_818 Depth=1
	s_or_b64 exec, exec, s[26:27]
	;;#ASMSTART
	v_pk_mul_f16 v11, v44, v16;

	;;#ASMEND
	;;#ASMSTART
	v_pk_mul_f16 v12, v42, v13;

	;;#ASMEND
	;; [unrolled: 4-line block ×4, first 2 shown]
	;;#ASMSTART
	v_pk_add_f16 v11, v11, v12;

	;;#ASMEND
	;;#ASMSTART
	v_pk_add_f16 v6, v11, v6;

	;;#ASMEND
	;; [unrolled: 4-line block ×3, first 2 shown]
	v_lshrrev_b32_e32 v10, 16, v6
	v_and_b32_e32 v6, 0xffff, v6
	;;#ASMSTART
	v_cvt_f32_f16 v6, v6;
	;;#ASMEND
	v_accvgpr_write_b32 a41, v6
	;;#ASMSTART
	v_cvt_f32_f16 v6, v10;
	;;#ASMEND
	flat_load_dwordx2 v[48:49], v[56:57] offset:2560
	buffer_load_dword v10, off, s[0:3], s32 offset:196 ; 4-byte Folded Reload
	buffer_load_dword v11, off, s[0:3], s32 offset:200 ; 4-byte Folded Reload
	v_accvgpr_write_b32 a43, v6
	v_mov_b32_e32 v60, 0
	v_mov_b32_e32 v38, 0
	s_waitcnt vmcnt(0) lgkmcnt(0)
	v_cmp_ne_u16_sdwa s[6:7], v48, v31 src0_sel:BYTE_0 src1_sel:DWORD
	flat_load_dword v58, v[10:11]
	s_and_saveexec_b64 s[26:27], s[6:7]
	s_cbranch_execz .LBB310_1075
; %bb.1070:                             ;   in Loop: Header=BB310_818 Depth=1
	v_cmp_ne_u16_sdwa s[6:7], v48, s9 src0_sel:BYTE_0 src1_sel:DWORD
	v_bfrev_b32_e32 v38, 1
	s_and_saveexec_b64 s[28:29], s[6:7]
	s_cbranch_execz .LBB310_1074
; %bb.1071:                             ;   in Loop: Header=BB310_818 Depth=1
	v_and_b32_e32 v6, 0x7f, v48
	v_cmp_ne_u32_e64 s[6:7], s15, v6
	v_mov_b32_e32 v38, 0x7fc02000
	s_and_saveexec_b64 s[30:31], s[6:7]
	s_cbranch_execz .LBB310_1073
; %bb.1072:                             ;   in Loop: Header=BB310_818 Depth=1
	v_and_b32_e32 v10, 7, v48
	v_ffbh_u32_e32 v10, v10
	v_min_u32_e32 v10, 32, v10
	v_subrev_u32_e32 v11, 28, v10
	v_cmp_gt_u32_e64 s[6:7], 8, v6
	v_lshrrev_b32_e32 v12, 3, v6
	v_sub_u32_e32 v13, 29, v10
	v_cndmask_b32_e64 v6, 0, v11, s[6:7]
	v_lshlrev_b64 v[10:11], v6, v[48:49]
	v_cndmask_b32_e64 v6, v12, v13, s[6:7]
	v_lshlrev_b32_e32 v11, 8, v48
	v_lshl_add_u32 v6, v6, 10, v35
	v_lshlrev_b32_e32 v10, 7, v10
	v_and_or_b32 v6, v11, s34, v6
	v_and_or_b32 v6, v10, s35, v6
	v_cvt_f32_f16_e32 v38, v6
.LBB310_1073:                           ;   in Loop: Header=BB310_818 Depth=1
	s_or_b64 exec, exec, s[30:31]
.LBB310_1074:                           ;   in Loop: Header=BB310_818 Depth=1
	s_or_b64 exec, exec, s[28:29]
.LBB310_1075:                           ;   in Loop: Header=BB310_818 Depth=1
	s_or_b64 exec, exec, s[26:27]
	v_lshrrev_b16_e32 v30, 8, v48
	v_cmp_ne_u16_e64 s[6:7], 0, v30
	s_and_saveexec_b64 s[26:27], s[6:7]
	s_cbranch_execz .LBB310_1081
; %bb.1076:                             ;   in Loop: Header=BB310_818 Depth=1
	v_cmp_ne_u16_e64 s[6:7], s9, v30
	v_bfrev_b32_e32 v60, 1
	s_and_saveexec_b64 s[28:29], s[6:7]
	s_cbranch_execz .LBB310_1080
; %bb.1077:                             ;   in Loop: Header=BB310_818 Depth=1
	v_and_b32_e32 v6, 0x7f, v30
	v_cmp_ne_u32_e64 s[6:7], s15, v6
	v_mov_b32_e32 v60, 0x7fc02000
	s_and_saveexec_b64 s[30:31], s[6:7]
	s_cbranch_execz .LBB310_1079
; %bb.1078:                             ;   in Loop: Header=BB310_818 Depth=1
	v_and_b32_e32 v12, 7, v30
	v_ffbh_u32_e32 v10, v12
	v_min_u32_e32 v16, 32, v10
	v_subrev_u32_e32 v10, 28, v16
	v_lshlrev_b64 v[10:11], v10, v[30:31]
	v_lshrrev_b32_e32 v13, 3, v6
	v_sub_u32_e32 v11, 29, v16
	v_cmp_gt_u32_e64 s[6:7], 8, v6
	v_cndmask_b32_e64 v6, v13, v11, s[6:7]
	v_and_b32_e32 v10, 7, v10
	v_lshlrev_b32_e32 v11, 8, v30
	v_lshl_add_u32 v6, v6, 10, v35
	v_cndmask_b32_e64 v10, v12, v10, s[6:7]
	v_and_or_b32 v6, v11, s34, v6
	v_lshl_or_b32 v6, v10, 7, v6
	v_cvt_f32_f16_e32 v60, v6
.LBB310_1079:                           ;   in Loop: Header=BB310_818 Depth=1
	s_or_b64 exec, exec, s[30:31]
.LBB310_1080:                           ;   in Loop: Header=BB310_818 Depth=1
	s_or_b64 exec, exec, s[28:29]
.LBB310_1081:                           ;   in Loop: Header=BB310_818 Depth=1
	s_or_b64 exec, exec, s[26:27]
	v_lshrrev_b32_e32 v30, 16, v48
	v_cmp_ne_u16_sdwa s[6:7], v30, v31 src0_sel:BYTE_0 src1_sel:DWORD
	v_mov_b32_e32 v61, 0
	v_mov_b32_e32 v39, 0
	s_and_saveexec_b64 s[26:27], s[6:7]
	s_cbranch_execz .LBB310_1087
; %bb.1082:                             ;   in Loop: Header=BB310_818 Depth=1
	v_cmp_ne_u16_sdwa s[6:7], v30, s9 src0_sel:BYTE_0 src1_sel:DWORD
	v_bfrev_b32_e32 v39, 1
	s_and_saveexec_b64 s[28:29], s[6:7]
	s_cbranch_execz .LBB310_1086
; %bb.1083:                             ;   in Loop: Header=BB310_818 Depth=1
	v_bfe_u32 v6, v48, 16, 7
	v_cmp_ne_u32_e64 s[6:7], s15, v6
	v_mov_b32_e32 v39, 0x7fc02000
	s_and_saveexec_b64 s[30:31], s[6:7]
	s_cbranch_execz .LBB310_1085
; %bb.1084:                             ;   in Loop: Header=BB310_818 Depth=1
	v_and_b32_e32 v12, 7, v30
	v_ffbh_u32_e32 v10, v12
	v_min_u32_e32 v16, 32, v10
	v_subrev_u32_e32 v10, 28, v16
	v_lshlrev_b64 v[10:11], v10, v[30:31]
	v_lshrrev_b32_e32 v13, 3, v6
	v_sub_u32_e32 v11, 29, v16
	v_cmp_gt_u32_e64 s[6:7], 8, v6
	v_cndmask_b32_e64 v6, v13, v11, s[6:7]
	v_and_b32_e32 v10, 7, v10
	v_lshlrev_b32_e32 v11, 8, v30
	v_lshl_add_u32 v6, v6, 10, v35
	v_cndmask_b32_e64 v10, v12, v10, s[6:7]
	v_and_or_b32 v6, v11, s34, v6
	v_lshl_or_b32 v6, v10, 7, v6
	v_cvt_f32_f16_e32 v39, v6
.LBB310_1085:                           ;   in Loop: Header=BB310_818 Depth=1
	s_or_b64 exec, exec, s[30:31]
.LBB310_1086:                           ;   in Loop: Header=BB310_818 Depth=1
	s_or_b64 exec, exec, s[28:29]
.LBB310_1087:                           ;   in Loop: Header=BB310_818 Depth=1
	s_or_b64 exec, exec, s[26:27]
	v_cmp_lt_u32_e64 s[6:7], s17, v48
	s_and_saveexec_b64 s[26:27], s[6:7]
	s_cbranch_execz .LBB310_1093
; %bb.1088:                             ;   in Loop: Header=BB310_818 Depth=1
	v_lshrrev_b32_e32 v30, 24, v48
	v_cmp_ne_u32_e64 s[6:7], s9, v30
	v_bfrev_b32_e32 v61, 1
	s_and_saveexec_b64 s[28:29], s[6:7]
	s_cbranch_execz .LBB310_1092
; %bb.1089:                             ;   in Loop: Header=BB310_818 Depth=1
	v_and_b32_e32 v6, 0x7f, v30
	v_cmp_ne_u32_e64 s[6:7], s15, v6
	v_mov_b32_e32 v61, 0x7fc02000
	s_and_saveexec_b64 s[30:31], s[6:7]
	s_cbranch_execz .LBB310_1091
; %bb.1090:                             ;   in Loop: Header=BB310_818 Depth=1
	v_and_b32_e32 v12, 7, v30
	v_ffbh_u32_e32 v10, v12
	v_min_u32_e32 v16, 32, v10
	v_subrev_u32_e32 v10, 28, v16
	v_lshlrev_b64 v[10:11], v10, v[30:31]
	v_lshrrev_b32_e32 v13, 3, v6
	v_sub_u32_e32 v11, 29, v16
	v_cmp_gt_u32_e64 s[6:7], 8, v6
	v_cndmask_b32_e64 v6, v13, v11, s[6:7]
	v_and_b32_e32 v10, 7, v10
	v_lshlrev_b32_e32 v11, 8, v30
	v_lshl_add_u32 v6, v6, 10, v35
	v_cndmask_b32_e64 v10, v12, v10, s[6:7]
	v_and_or_b32 v6, v11, s34, v6
	v_lshl_or_b32 v6, v10, 7, v6
	v_cvt_f32_f16_e32 v61, v6
.LBB310_1091:                           ;   in Loop: Header=BB310_818 Depth=1
	s_or_b64 exec, exec, s[30:31]
.LBB310_1092:                           ;   in Loop: Header=BB310_818 Depth=1
	s_or_b64 exec, exec, s[28:29]
.LBB310_1093:                           ;   in Loop: Header=BB310_818 Depth=1
	s_or_b64 exec, exec, s[26:27]
	v_mov_b32_e32 v30, v49
	v_cmp_ne_u16_sdwa s[6:7], v49, v31 src0_sel:BYTE_0 src1_sel:DWORD
	v_mov_b32_e32 v10, 0
	v_mov_b32_e32 v6, 0
	s_and_saveexec_b64 s[26:27], s[6:7]
	s_cbranch_execz .LBB310_1099
; %bb.1094:                             ;   in Loop: Header=BB310_818 Depth=1
	v_cmp_ne_u16_sdwa s[6:7], v49, s9 src0_sel:BYTE_0 src1_sel:DWORD
	v_bfrev_b32_e32 v6, 1
	s_and_saveexec_b64 s[28:29], s[6:7]
	s_cbranch_execz .LBB310_1098
; %bb.1095:                             ;   in Loop: Header=BB310_818 Depth=1
	v_and_b32_e32 v11, 0x7f, v49
	v_cmp_ne_u32_e64 s[6:7], s15, v11
	v_mov_b32_e32 v6, 0x7fc02000
	s_and_saveexec_b64 s[30:31], s[6:7]
	s_cbranch_execz .LBB310_1097
; %bb.1096:                             ;   in Loop: Header=BB310_818 Depth=1
	v_and_b32_e32 v6, 7, v49
	v_ffbh_u32_e32 v6, v6
	v_min_u32_e32 v6, 32, v6
	v_subrev_u32_e32 v12, 28, v6
	v_cmp_gt_u32_e64 s[6:7], 8, v11
	v_lshrrev_b32_e32 v16, 3, v11
	v_sub_u32_e32 v6, 29, v6
	v_cndmask_b32_e64 v11, 0, v12, s[6:7]
	v_lshlrev_b64 v[12:13], v11, v[30:31]
	v_cndmask_b32_e64 v6, v16, v6, s[6:7]
	v_lshlrev_b32_e32 v11, 7, v12
	v_lshlrev_b32_e32 v12, 8, v49
	v_lshl_add_u32 v6, v6, 10, v35
	v_and_or_b32 v6, v12, s34, v6
	v_and_or_b32 v6, v11, s35, v6
	v_cvt_f32_f16_e32 v6, v6
.LBB310_1097:                           ;   in Loop: Header=BB310_818 Depth=1
	s_or_b64 exec, exec, s[30:31]
.LBB310_1098:                           ;   in Loop: Header=BB310_818 Depth=1
	s_or_b64 exec, exec, s[28:29]
.LBB310_1099:                           ;   in Loop: Header=BB310_818 Depth=1
	s_or_b64 exec, exec, s[26:27]
	v_lshrrev_b16_e32 v30, 8, v30
	v_cmp_ne_u16_e64 s[6:7], 0, v30
	s_and_saveexec_b64 s[26:27], s[6:7]
	s_cbranch_execz .LBB310_1105
; %bb.1100:                             ;   in Loop: Header=BB310_818 Depth=1
	v_cmp_ne_u16_e64 s[6:7], s9, v30
	v_bfrev_b32_e32 v10, 1
	s_and_saveexec_b64 s[28:29], s[6:7]
	s_cbranch_execz .LBB310_1104
; %bb.1101:                             ;   in Loop: Header=BB310_818 Depth=1
	v_and_b32_e32 v11, 0x7f, v30
	v_cmp_ne_u32_e64 s[6:7], s15, v11
	v_mov_b32_e32 v10, 0x7fc02000
	s_and_saveexec_b64 s[30:31], s[6:7]
	s_cbranch_execz .LBB310_1103
; %bb.1102:                             ;   in Loop: Header=BB310_818 Depth=1
	v_and_b32_e32 v10, 7, v30
	v_ffbh_u32_e32 v12, v10
	v_min_u32_e32 v17, 32, v12
	v_subrev_u32_e32 v12, 28, v17
	v_lshlrev_b64 v[12:13], v12, v[30:31]
	v_lshrrev_b32_e32 v16, 3, v11
	v_sub_u32_e32 v13, 29, v17
	v_cmp_gt_u32_e64 s[6:7], 8, v11
	v_and_b32_e32 v12, 7, v12
	v_cndmask_b32_e64 v11, v16, v13, s[6:7]
	v_cndmask_b32_e64 v10, v10, v12, s[6:7]
	v_lshlrev_b32_e32 v12, 8, v30
	v_lshl_add_u32 v11, v11, 10, v35
	v_and_or_b32 v11, v12, s34, v11
	v_lshl_or_b32 v10, v10, 7, v11
	v_cvt_f32_f16_e32 v10, v10
.LBB310_1103:                           ;   in Loop: Header=BB310_818 Depth=1
	s_or_b64 exec, exec, s[30:31]
.LBB310_1104:                           ;   in Loop: Header=BB310_818 Depth=1
	s_or_b64 exec, exec, s[28:29]
.LBB310_1105:                           ;   in Loop: Header=BB310_818 Depth=1
	s_or_b64 exec, exec, s[26:27]
	v_lshrrev_b32_e32 v30, 16, v49
	v_cmp_ne_u16_sdwa s[6:7], v30, v31 src0_sel:BYTE_0 src1_sel:DWORD
	v_mov_b32_e32 v11, 0
	v_mov_b32_e32 v12, 0
	s_and_saveexec_b64 s[26:27], s[6:7]
	s_cbranch_execz .LBB310_1111
; %bb.1106:                             ;   in Loop: Header=BB310_818 Depth=1
	v_cmp_ne_u16_sdwa s[6:7], v30, s9 src0_sel:BYTE_0 src1_sel:DWORD
	v_bfrev_b32_e32 v12, 1
	s_and_saveexec_b64 s[28:29], s[6:7]
	s_cbranch_execz .LBB310_1110
; %bb.1107:                             ;   in Loop: Header=BB310_818 Depth=1
	v_bfe_u32 v13, v49, 16, 7
	v_cmp_ne_u32_e64 s[6:7], s15, v13
	v_mov_b32_e32 v12, 0x7fc02000
	s_and_saveexec_b64 s[30:31], s[6:7]
	s_cbranch_execz .LBB310_1109
; %bb.1108:                             ;   in Loop: Header=BB310_818 Depth=1
	v_and_b32_e32 v12, 7, v30
	v_ffbh_u32_e32 v16, v12
	v_min_u32_e32 v23, 32, v16
	v_subrev_u32_e32 v16, 28, v23
	v_lshlrev_b64 v[16:17], v16, v[30:31]
	v_lshrrev_b32_e32 v22, 3, v13
	v_sub_u32_e32 v17, 29, v23
	v_cmp_gt_u32_e64 s[6:7], 8, v13
	v_and_b32_e32 v16, 7, v16
	v_cndmask_b32_e64 v13, v22, v17, s[6:7]
	v_cndmask_b32_e64 v12, v12, v16, s[6:7]
	v_lshlrev_b32_e32 v16, 8, v30
	v_lshl_add_u32 v13, v13, 10, v35
	v_and_or_b32 v13, v16, s34, v13
	v_lshl_or_b32 v12, v12, 7, v13
	v_cvt_f32_f16_e32 v12, v12
.LBB310_1109:                           ;   in Loop: Header=BB310_818 Depth=1
	s_or_b64 exec, exec, s[30:31]
.LBB310_1110:                           ;   in Loop: Header=BB310_818 Depth=1
	s_or_b64 exec, exec, s[28:29]
.LBB310_1111:                           ;   in Loop: Header=BB310_818 Depth=1
	s_or_b64 exec, exec, s[26:27]
	v_cmp_lt_u64_e64 s[6:7], s[16:17], v[48:49]
	s_and_saveexec_b64 s[26:27], s[6:7]
	s_cbranch_execz .LBB310_1117
; %bb.1112:                             ;   in Loop: Header=BB310_818 Depth=1
	v_lshrrev_b32_e32 v30, 24, v49
	v_cmp_ne_u32_e64 s[6:7], s9, v30
	v_bfrev_b32_e32 v11, 1
	s_and_saveexec_b64 s[28:29], s[6:7]
	s_cbranch_execz .LBB310_1116
; %bb.1113:                             ;   in Loop: Header=BB310_818 Depth=1
	v_and_b32_e32 v13, 0x7f, v30
	v_cmp_ne_u32_e64 s[6:7], s15, v13
	v_mov_b32_e32 v11, 0x7fc02000
	s_and_saveexec_b64 s[30:31], s[6:7]
	s_cbranch_execz .LBB310_1115
; %bb.1114:                             ;   in Loop: Header=BB310_818 Depth=1
	v_and_b32_e32 v11, 7, v30
	v_ffbh_u32_e32 v16, v11
	v_min_u32_e32 v23, 32, v16
	v_subrev_u32_e32 v16, 28, v23
	v_lshlrev_b64 v[16:17], v16, v[30:31]
	v_lshrrev_b32_e32 v22, 3, v13
	v_sub_u32_e32 v17, 29, v23
	v_cmp_gt_u32_e64 s[6:7], 8, v13
	v_and_b32_e32 v16, 7, v16
	v_cndmask_b32_e64 v13, v22, v17, s[6:7]
	v_cndmask_b32_e64 v11, v11, v16, s[6:7]
	v_lshlrev_b32_e32 v16, 8, v30
	v_lshl_add_u32 v13, v13, 10, v35
	v_and_or_b32 v13, v16, s34, v13
	v_lshl_or_b32 v11, v11, 7, v13
	v_cvt_f32_f16_e32 v11, v11
.LBB310_1115:                           ;   in Loop: Header=BB310_818 Depth=1
	s_or_b64 exec, exec, s[30:31]
.LBB310_1116:                           ;   in Loop: Header=BB310_818 Depth=1
	s_or_b64 exec, exec, s[28:29]
.LBB310_1117:                           ;   in Loop: Header=BB310_818 Depth=1
	s_or_b64 exec, exec, s[26:27]
	s_waitcnt vmcnt(0) lgkmcnt(0)
	v_pk_mul_f32 v[16:17], v[58:59], v[60:61] op_sel_hi:[0,1]
	v_pk_mul_f32 v[22:23], v[58:59], v[38:39] op_sel_hi:[0,1]
	v_cvt_f16_f32_e32 v13, v17
	v_cvt_f16_f32_e32 v16, v16
	;; [unrolled: 1-line block ×4, first 2 shown]
	v_fma_mixlo_f16 v10, v58, v10, 0
	v_lshlrev_b32_e32 v10, 16, v10
	v_fma_mixlo_f16 v6, v58, v6, 0
	v_or_b32_sdwa v6, v10, v6 dst_sel:DWORD dst_unused:UNUSED_PAD src0_sel:DWORD src1_sel:WORD_0
	v_fma_mixlo_f16 v10, v58, v11, 0
	v_pack_b32_f16 v16, v16, v13
	v_pack_b32_f16 v17, v22, v17
	v_fma_mixlo_f16 v12, v58, v12, 0
	v_lshlrev_b32_e32 v10, 16, v10
	v_perm_b32 v13, v17, v16, s36
	v_perm_b32 v16, v17, v16, s37
	v_or_b32_sdwa v10, v10, v12 dst_sel:DWORD dst_unused:UNUSED_PAD src0_sel:DWORD src1_sel:WORD_0
	s_and_saveexec_b64 s[26:27], vcc
	s_cbranch_execz .LBB310_1119
; %bb.1118:                             ;   in Loop: Header=BB310_818 Depth=1
	buffer_load_dword v22, off, s[0:3], s32 offset:204 ; 4-byte Folded Reload
	buffer_load_dword v23, off, s[0:3], s32 offset:208 ; 4-byte Folded Reload
	v_lshrrev_b32_e32 v11, 16, v16
	v_cmp_lt_i32_e64 s[6:7], v53, v7
	v_cndmask_b32_e64 v11, 0, v11, s[6:7]
	v_lshrrev_b32_e32 v10, 16, v10
	s_waitcnt vmcnt(1)
	v_cmp_lt_i32_e64 s[6:7], v4, v22
	v_cndmask_b32_e64 v16, 0, v16, s[6:7]
	v_perm_b32 v16, v11, v16, s38
	v_lshrrev_b32_e32 v11, 16, v13
	v_cmp_lt_i32_e64 s[6:7], v43, v7
	v_cndmask_b32_e64 v11, 0, v11, s[6:7]
	v_cmp_lt_i32_e64 s[6:7], v34, v22
	v_cndmask_b32_e64 v13, 0, v13, s[6:7]
	v_perm_b32 v13, v11, v13, s38
	v_lshrrev_b32_e32 v11, 16, v6
	v_cmp_lt_i32_e64 s[6:7], v40, v7
	v_cndmask_b32_e64 v11, 0, v11, s[6:7]
	v_cmp_lt_i32_e64 s[6:7], v28, v22
	v_cndmask_b32_e64 v6, 0, v6, s[6:7]
	;; [unrolled: 2-line block ×3, first 2 shown]
	v_cmp_lt_i32_e64 s[6:7], v18, v22
	v_perm_b32 v6, v11, v6, s38
	v_cndmask_b32_e64 v11, 0, v12, s[6:7]
	v_perm_b32 v10, v10, v11, s38
.LBB310_1119:                           ;   in Loop: Header=BB310_818 Depth=1
	s_or_b64 exec, exec, s[26:27]
	;;#ASMSTART
	v_pk_mul_f16 v11, v44, v16;

	;;#ASMEND
	;;#ASMSTART
	v_pk_mul_f16 v12, v42, v13;

	;;#ASMEND
	;; [unrolled: 4-line block ×4, first 2 shown]
	;;#ASMSTART
	v_pk_add_f16 v11, v11, v12;

	;;#ASMEND
	;;#ASMSTART
	v_pk_add_f16 v6, v11, v6;

	;;#ASMEND
	;; [unrolled: 4-line block ×3, first 2 shown]
	v_lshrrev_b32_e32 v10, 16, v6
	v_and_b32_e32 v6, 0xffff, v6
	;;#ASMSTART
	v_cvt_f32_f16 v6, v6;
	;;#ASMEND
	v_accvgpr_write_b32 a45, v6
	;;#ASMSTART
	v_cvt_f32_f16 v6, v10;
	;;#ASMEND
	flat_load_dwordx2 v[48:49], v[56:57] offset:3072
	buffer_load_dword v10, off, s[0:3], s32 offset:196 ; 4-byte Folded Reload
	buffer_load_dword v11, off, s[0:3], s32 offset:200 ; 4-byte Folded Reload
	v_accvgpr_write_b32 a47, v6
	v_mov_b32_e32 v60, 0
	v_mov_b32_e32 v38, 0
	s_waitcnt vmcnt(0) lgkmcnt(0)
	v_cmp_ne_u16_sdwa s[6:7], v48, v31 src0_sel:BYTE_0 src1_sel:DWORD
	flat_load_dword v58, v[10:11]
	s_and_saveexec_b64 s[26:27], s[6:7]
	s_cbranch_execz .LBB310_1125
; %bb.1120:                             ;   in Loop: Header=BB310_818 Depth=1
	v_cmp_ne_u16_sdwa s[6:7], v48, s9 src0_sel:BYTE_0 src1_sel:DWORD
	v_bfrev_b32_e32 v38, 1
	s_and_saveexec_b64 s[28:29], s[6:7]
	s_cbranch_execz .LBB310_1124
; %bb.1121:                             ;   in Loop: Header=BB310_818 Depth=1
	v_and_b32_e32 v6, 0x7f, v48
	v_cmp_ne_u32_e64 s[6:7], s15, v6
	v_mov_b32_e32 v38, 0x7fc02000
	s_and_saveexec_b64 s[30:31], s[6:7]
	s_cbranch_execz .LBB310_1123
; %bb.1122:                             ;   in Loop: Header=BB310_818 Depth=1
	v_and_b32_e32 v10, 7, v48
	v_ffbh_u32_e32 v10, v10
	v_min_u32_e32 v10, 32, v10
	v_subrev_u32_e32 v11, 28, v10
	v_cmp_gt_u32_e64 s[6:7], 8, v6
	v_lshrrev_b32_e32 v12, 3, v6
	v_sub_u32_e32 v13, 29, v10
	v_cndmask_b32_e64 v6, 0, v11, s[6:7]
	v_lshlrev_b64 v[10:11], v6, v[48:49]
	v_cndmask_b32_e64 v6, v12, v13, s[6:7]
	v_lshlrev_b32_e32 v11, 8, v48
	v_lshl_add_u32 v6, v6, 10, v35
	v_lshlrev_b32_e32 v10, 7, v10
	v_and_or_b32 v6, v11, s34, v6
	v_and_or_b32 v6, v10, s35, v6
	v_cvt_f32_f16_e32 v38, v6
.LBB310_1123:                           ;   in Loop: Header=BB310_818 Depth=1
	s_or_b64 exec, exec, s[30:31]
.LBB310_1124:                           ;   in Loop: Header=BB310_818 Depth=1
	s_or_b64 exec, exec, s[28:29]
.LBB310_1125:                           ;   in Loop: Header=BB310_818 Depth=1
	s_or_b64 exec, exec, s[26:27]
	v_lshrrev_b16_e32 v30, 8, v48
	v_cmp_ne_u16_e64 s[6:7], 0, v30
	s_and_saveexec_b64 s[26:27], s[6:7]
	s_cbranch_execz .LBB310_1131
; %bb.1126:                             ;   in Loop: Header=BB310_818 Depth=1
	v_cmp_ne_u16_e64 s[6:7], s9, v30
	v_bfrev_b32_e32 v60, 1
	s_and_saveexec_b64 s[28:29], s[6:7]
	s_cbranch_execz .LBB310_1130
; %bb.1127:                             ;   in Loop: Header=BB310_818 Depth=1
	v_and_b32_e32 v6, 0x7f, v30
	v_cmp_ne_u32_e64 s[6:7], s15, v6
	v_mov_b32_e32 v60, 0x7fc02000
	s_and_saveexec_b64 s[30:31], s[6:7]
	s_cbranch_execz .LBB310_1129
; %bb.1128:                             ;   in Loop: Header=BB310_818 Depth=1
	v_and_b32_e32 v12, 7, v30
	v_ffbh_u32_e32 v10, v12
	v_min_u32_e32 v16, 32, v10
	v_subrev_u32_e32 v10, 28, v16
	v_lshlrev_b64 v[10:11], v10, v[30:31]
	v_lshrrev_b32_e32 v13, 3, v6
	v_sub_u32_e32 v11, 29, v16
	v_cmp_gt_u32_e64 s[6:7], 8, v6
	v_cndmask_b32_e64 v6, v13, v11, s[6:7]
	v_and_b32_e32 v10, 7, v10
	v_lshlrev_b32_e32 v11, 8, v30
	v_lshl_add_u32 v6, v6, 10, v35
	v_cndmask_b32_e64 v10, v12, v10, s[6:7]
	v_and_or_b32 v6, v11, s34, v6
	v_lshl_or_b32 v6, v10, 7, v6
	v_cvt_f32_f16_e32 v60, v6
.LBB310_1129:                           ;   in Loop: Header=BB310_818 Depth=1
	s_or_b64 exec, exec, s[30:31]
.LBB310_1130:                           ;   in Loop: Header=BB310_818 Depth=1
	s_or_b64 exec, exec, s[28:29]
.LBB310_1131:                           ;   in Loop: Header=BB310_818 Depth=1
	s_or_b64 exec, exec, s[26:27]
	v_lshrrev_b32_e32 v30, 16, v48
	v_cmp_ne_u16_sdwa s[6:7], v30, v31 src0_sel:BYTE_0 src1_sel:DWORD
	v_mov_b32_e32 v61, 0
	v_mov_b32_e32 v39, 0
	s_and_saveexec_b64 s[26:27], s[6:7]
	s_cbranch_execz .LBB310_1137
; %bb.1132:                             ;   in Loop: Header=BB310_818 Depth=1
	v_cmp_ne_u16_sdwa s[6:7], v30, s9 src0_sel:BYTE_0 src1_sel:DWORD
	v_bfrev_b32_e32 v39, 1
	s_and_saveexec_b64 s[28:29], s[6:7]
	s_cbranch_execz .LBB310_1136
; %bb.1133:                             ;   in Loop: Header=BB310_818 Depth=1
	v_bfe_u32 v6, v48, 16, 7
	v_cmp_ne_u32_e64 s[6:7], s15, v6
	v_mov_b32_e32 v39, 0x7fc02000
	s_and_saveexec_b64 s[30:31], s[6:7]
	s_cbranch_execz .LBB310_1135
; %bb.1134:                             ;   in Loop: Header=BB310_818 Depth=1
	v_and_b32_e32 v12, 7, v30
	v_ffbh_u32_e32 v10, v12
	v_min_u32_e32 v16, 32, v10
	v_subrev_u32_e32 v10, 28, v16
	v_lshlrev_b64 v[10:11], v10, v[30:31]
	v_lshrrev_b32_e32 v13, 3, v6
	v_sub_u32_e32 v11, 29, v16
	v_cmp_gt_u32_e64 s[6:7], 8, v6
	v_cndmask_b32_e64 v6, v13, v11, s[6:7]
	v_and_b32_e32 v10, 7, v10
	v_lshlrev_b32_e32 v11, 8, v30
	v_lshl_add_u32 v6, v6, 10, v35
	v_cndmask_b32_e64 v10, v12, v10, s[6:7]
	v_and_or_b32 v6, v11, s34, v6
	v_lshl_or_b32 v6, v10, 7, v6
	v_cvt_f32_f16_e32 v39, v6
.LBB310_1135:                           ;   in Loop: Header=BB310_818 Depth=1
	s_or_b64 exec, exec, s[30:31]
.LBB310_1136:                           ;   in Loop: Header=BB310_818 Depth=1
	s_or_b64 exec, exec, s[28:29]
.LBB310_1137:                           ;   in Loop: Header=BB310_818 Depth=1
	s_or_b64 exec, exec, s[26:27]
	v_cmp_lt_u32_e64 s[6:7], s17, v48
	s_and_saveexec_b64 s[26:27], s[6:7]
	s_cbranch_execz .LBB310_1143
; %bb.1138:                             ;   in Loop: Header=BB310_818 Depth=1
	v_lshrrev_b32_e32 v30, 24, v48
	v_cmp_ne_u32_e64 s[6:7], s9, v30
	v_bfrev_b32_e32 v61, 1
	s_and_saveexec_b64 s[28:29], s[6:7]
	s_cbranch_execz .LBB310_1142
; %bb.1139:                             ;   in Loop: Header=BB310_818 Depth=1
	v_and_b32_e32 v6, 0x7f, v30
	v_cmp_ne_u32_e64 s[6:7], s15, v6
	v_mov_b32_e32 v61, 0x7fc02000
	s_and_saveexec_b64 s[30:31], s[6:7]
	s_cbranch_execz .LBB310_1141
; %bb.1140:                             ;   in Loop: Header=BB310_818 Depth=1
	v_and_b32_e32 v12, 7, v30
	v_ffbh_u32_e32 v10, v12
	v_min_u32_e32 v16, 32, v10
	v_subrev_u32_e32 v10, 28, v16
	v_lshlrev_b64 v[10:11], v10, v[30:31]
	v_lshrrev_b32_e32 v13, 3, v6
	v_sub_u32_e32 v11, 29, v16
	v_cmp_gt_u32_e64 s[6:7], 8, v6
	v_cndmask_b32_e64 v6, v13, v11, s[6:7]
	v_and_b32_e32 v10, 7, v10
	v_lshlrev_b32_e32 v11, 8, v30
	v_lshl_add_u32 v6, v6, 10, v35
	v_cndmask_b32_e64 v10, v12, v10, s[6:7]
	v_and_or_b32 v6, v11, s34, v6
	v_lshl_or_b32 v6, v10, 7, v6
	v_cvt_f32_f16_e32 v61, v6
.LBB310_1141:                           ;   in Loop: Header=BB310_818 Depth=1
	s_or_b64 exec, exec, s[30:31]
.LBB310_1142:                           ;   in Loop: Header=BB310_818 Depth=1
	s_or_b64 exec, exec, s[28:29]
.LBB310_1143:                           ;   in Loop: Header=BB310_818 Depth=1
	s_or_b64 exec, exec, s[26:27]
	v_mov_b32_e32 v30, v49
	v_cmp_ne_u16_sdwa s[6:7], v49, v31 src0_sel:BYTE_0 src1_sel:DWORD
	v_mov_b32_e32 v10, 0
	v_mov_b32_e32 v6, 0
	s_and_saveexec_b64 s[26:27], s[6:7]
	s_cbranch_execz .LBB310_1149
; %bb.1144:                             ;   in Loop: Header=BB310_818 Depth=1
	v_cmp_ne_u16_sdwa s[6:7], v49, s9 src0_sel:BYTE_0 src1_sel:DWORD
	v_bfrev_b32_e32 v6, 1
	s_and_saveexec_b64 s[28:29], s[6:7]
	s_cbranch_execz .LBB310_1148
; %bb.1145:                             ;   in Loop: Header=BB310_818 Depth=1
	v_and_b32_e32 v11, 0x7f, v49
	v_cmp_ne_u32_e64 s[6:7], s15, v11
	v_mov_b32_e32 v6, 0x7fc02000
	s_and_saveexec_b64 s[30:31], s[6:7]
	s_cbranch_execz .LBB310_1147
; %bb.1146:                             ;   in Loop: Header=BB310_818 Depth=1
	v_and_b32_e32 v6, 7, v49
	v_ffbh_u32_e32 v6, v6
	v_min_u32_e32 v6, 32, v6
	v_subrev_u32_e32 v12, 28, v6
	v_cmp_gt_u32_e64 s[6:7], 8, v11
	v_lshrrev_b32_e32 v16, 3, v11
	v_sub_u32_e32 v6, 29, v6
	v_cndmask_b32_e64 v11, 0, v12, s[6:7]
	v_lshlrev_b64 v[12:13], v11, v[30:31]
	v_cndmask_b32_e64 v6, v16, v6, s[6:7]
	v_lshlrev_b32_e32 v11, 7, v12
	v_lshlrev_b32_e32 v12, 8, v49
	v_lshl_add_u32 v6, v6, 10, v35
	v_and_or_b32 v6, v12, s34, v6
	v_and_or_b32 v6, v11, s35, v6
	v_cvt_f32_f16_e32 v6, v6
.LBB310_1147:                           ;   in Loop: Header=BB310_818 Depth=1
	s_or_b64 exec, exec, s[30:31]
.LBB310_1148:                           ;   in Loop: Header=BB310_818 Depth=1
	s_or_b64 exec, exec, s[28:29]
.LBB310_1149:                           ;   in Loop: Header=BB310_818 Depth=1
	s_or_b64 exec, exec, s[26:27]
	v_lshrrev_b16_e32 v30, 8, v30
	v_cmp_ne_u16_e64 s[6:7], 0, v30
	s_and_saveexec_b64 s[26:27], s[6:7]
	s_cbranch_execz .LBB310_1155
; %bb.1150:                             ;   in Loop: Header=BB310_818 Depth=1
	v_cmp_ne_u16_e64 s[6:7], s9, v30
	v_bfrev_b32_e32 v10, 1
	s_and_saveexec_b64 s[28:29], s[6:7]
	s_cbranch_execz .LBB310_1154
; %bb.1151:                             ;   in Loop: Header=BB310_818 Depth=1
	v_and_b32_e32 v11, 0x7f, v30
	v_cmp_ne_u32_e64 s[6:7], s15, v11
	v_mov_b32_e32 v10, 0x7fc02000
	s_and_saveexec_b64 s[30:31], s[6:7]
	s_cbranch_execz .LBB310_1153
; %bb.1152:                             ;   in Loop: Header=BB310_818 Depth=1
	v_and_b32_e32 v10, 7, v30
	v_ffbh_u32_e32 v12, v10
	v_min_u32_e32 v17, 32, v12
	v_subrev_u32_e32 v12, 28, v17
	v_lshlrev_b64 v[12:13], v12, v[30:31]
	v_lshrrev_b32_e32 v16, 3, v11
	v_sub_u32_e32 v13, 29, v17
	v_cmp_gt_u32_e64 s[6:7], 8, v11
	v_and_b32_e32 v12, 7, v12
	v_cndmask_b32_e64 v11, v16, v13, s[6:7]
	v_cndmask_b32_e64 v10, v10, v12, s[6:7]
	v_lshlrev_b32_e32 v12, 8, v30
	v_lshl_add_u32 v11, v11, 10, v35
	v_and_or_b32 v11, v12, s34, v11
	v_lshl_or_b32 v10, v10, 7, v11
	v_cvt_f32_f16_e32 v10, v10
.LBB310_1153:                           ;   in Loop: Header=BB310_818 Depth=1
	s_or_b64 exec, exec, s[30:31]
.LBB310_1154:                           ;   in Loop: Header=BB310_818 Depth=1
	s_or_b64 exec, exec, s[28:29]
.LBB310_1155:                           ;   in Loop: Header=BB310_818 Depth=1
	s_or_b64 exec, exec, s[26:27]
	v_lshrrev_b32_e32 v30, 16, v49
	v_cmp_ne_u16_sdwa s[6:7], v30, v31 src0_sel:BYTE_0 src1_sel:DWORD
	v_mov_b32_e32 v11, 0
	v_mov_b32_e32 v12, 0
	s_and_saveexec_b64 s[26:27], s[6:7]
	s_cbranch_execz .LBB310_1161
; %bb.1156:                             ;   in Loop: Header=BB310_818 Depth=1
	v_cmp_ne_u16_sdwa s[6:7], v30, s9 src0_sel:BYTE_0 src1_sel:DWORD
	v_bfrev_b32_e32 v12, 1
	s_and_saveexec_b64 s[28:29], s[6:7]
	s_cbranch_execz .LBB310_1160
; %bb.1157:                             ;   in Loop: Header=BB310_818 Depth=1
	v_bfe_u32 v13, v49, 16, 7
	v_cmp_ne_u32_e64 s[6:7], s15, v13
	v_mov_b32_e32 v12, 0x7fc02000
	s_and_saveexec_b64 s[30:31], s[6:7]
	s_cbranch_execz .LBB310_1159
; %bb.1158:                             ;   in Loop: Header=BB310_818 Depth=1
	v_and_b32_e32 v12, 7, v30
	v_ffbh_u32_e32 v16, v12
	v_min_u32_e32 v23, 32, v16
	v_subrev_u32_e32 v16, 28, v23
	v_lshlrev_b64 v[16:17], v16, v[30:31]
	v_lshrrev_b32_e32 v22, 3, v13
	v_sub_u32_e32 v17, 29, v23
	v_cmp_gt_u32_e64 s[6:7], 8, v13
	v_and_b32_e32 v16, 7, v16
	v_cndmask_b32_e64 v13, v22, v17, s[6:7]
	v_cndmask_b32_e64 v12, v12, v16, s[6:7]
	v_lshlrev_b32_e32 v16, 8, v30
	v_lshl_add_u32 v13, v13, 10, v35
	v_and_or_b32 v13, v16, s34, v13
	v_lshl_or_b32 v12, v12, 7, v13
	v_cvt_f32_f16_e32 v12, v12
.LBB310_1159:                           ;   in Loop: Header=BB310_818 Depth=1
	s_or_b64 exec, exec, s[30:31]
.LBB310_1160:                           ;   in Loop: Header=BB310_818 Depth=1
	s_or_b64 exec, exec, s[28:29]
.LBB310_1161:                           ;   in Loop: Header=BB310_818 Depth=1
	s_or_b64 exec, exec, s[26:27]
	v_cmp_lt_u64_e64 s[6:7], s[16:17], v[48:49]
	s_and_saveexec_b64 s[26:27], s[6:7]
	s_cbranch_execz .LBB310_1167
; %bb.1162:                             ;   in Loop: Header=BB310_818 Depth=1
	v_lshrrev_b32_e32 v30, 24, v49
	v_cmp_ne_u32_e64 s[6:7], s9, v30
	v_bfrev_b32_e32 v11, 1
	s_and_saveexec_b64 s[28:29], s[6:7]
	s_cbranch_execz .LBB310_1166
; %bb.1163:                             ;   in Loop: Header=BB310_818 Depth=1
	v_and_b32_e32 v13, 0x7f, v30
	v_cmp_ne_u32_e64 s[6:7], s15, v13
	v_mov_b32_e32 v11, 0x7fc02000
	s_and_saveexec_b64 s[30:31], s[6:7]
	s_cbranch_execz .LBB310_1165
; %bb.1164:                             ;   in Loop: Header=BB310_818 Depth=1
	v_and_b32_e32 v11, 7, v30
	v_ffbh_u32_e32 v16, v11
	v_min_u32_e32 v23, 32, v16
	v_subrev_u32_e32 v16, 28, v23
	v_lshlrev_b64 v[16:17], v16, v[30:31]
	v_lshrrev_b32_e32 v22, 3, v13
	v_sub_u32_e32 v17, 29, v23
	v_cmp_gt_u32_e64 s[6:7], 8, v13
	v_and_b32_e32 v16, 7, v16
	v_cndmask_b32_e64 v13, v22, v17, s[6:7]
	v_cndmask_b32_e64 v11, v11, v16, s[6:7]
	v_lshlrev_b32_e32 v16, 8, v30
	v_lshl_add_u32 v13, v13, 10, v35
	v_and_or_b32 v13, v16, s34, v13
	v_lshl_or_b32 v11, v11, 7, v13
	v_cvt_f32_f16_e32 v11, v11
.LBB310_1165:                           ;   in Loop: Header=BB310_818 Depth=1
	s_or_b64 exec, exec, s[30:31]
.LBB310_1166:                           ;   in Loop: Header=BB310_818 Depth=1
	s_or_b64 exec, exec, s[28:29]
.LBB310_1167:                           ;   in Loop: Header=BB310_818 Depth=1
	s_or_b64 exec, exec, s[26:27]
	s_waitcnt vmcnt(0) lgkmcnt(0)
	v_pk_mul_f32 v[16:17], v[58:59], v[60:61] op_sel_hi:[0,1]
	v_pk_mul_f32 v[22:23], v[58:59], v[38:39] op_sel_hi:[0,1]
	v_cvt_f16_f32_e32 v13, v17
	v_cvt_f16_f32_e32 v16, v16
	;; [unrolled: 1-line block ×4, first 2 shown]
	v_fma_mixlo_f16 v10, v58, v10, 0
	v_lshlrev_b32_e32 v10, 16, v10
	v_fma_mixlo_f16 v6, v58, v6, 0
	v_or_b32_sdwa v6, v10, v6 dst_sel:DWORD dst_unused:UNUSED_PAD src0_sel:DWORD src1_sel:WORD_0
	v_fma_mixlo_f16 v10, v58, v11, 0
	v_pack_b32_f16 v16, v16, v13
	v_pack_b32_f16 v17, v22, v17
	v_fma_mixlo_f16 v12, v58, v12, 0
	v_lshlrev_b32_e32 v10, 16, v10
	v_perm_b32 v13, v17, v16, s36
	v_perm_b32 v16, v17, v16, s37
	v_or_b32_sdwa v10, v10, v12 dst_sel:DWORD dst_unused:UNUSED_PAD src0_sel:DWORD src1_sel:WORD_0
	s_and_saveexec_b64 s[26:27], vcc
	s_cbranch_execz .LBB310_1169
; %bb.1168:                             ;   in Loop: Header=BB310_818 Depth=1
	buffer_load_dword v22, off, s[0:3], s32 offset:204 ; 4-byte Folded Reload
	buffer_load_dword v23, off, s[0:3], s32 offset:208 ; 4-byte Folded Reload
	v_lshrrev_b32_e32 v11, 16, v16
	v_cmp_lt_i32_e64 s[6:7], v53, v7
	v_cndmask_b32_e64 v11, 0, v11, s[6:7]
	v_lshrrev_b32_e32 v10, 16, v10
	s_waitcnt vmcnt(1)
	v_cmp_lt_i32_e64 s[6:7], v4, v22
	v_cndmask_b32_e64 v16, 0, v16, s[6:7]
	v_perm_b32 v16, v11, v16, s38
	v_lshrrev_b32_e32 v11, 16, v13
	v_cmp_lt_i32_e64 s[6:7], v43, v7
	v_cndmask_b32_e64 v11, 0, v11, s[6:7]
	v_cmp_lt_i32_e64 s[6:7], v34, v22
	v_cndmask_b32_e64 v13, 0, v13, s[6:7]
	v_perm_b32 v13, v11, v13, s38
	v_lshrrev_b32_e32 v11, 16, v6
	v_cmp_lt_i32_e64 s[6:7], v40, v7
	v_cndmask_b32_e64 v11, 0, v11, s[6:7]
	v_cmp_lt_i32_e64 s[6:7], v28, v22
	v_cndmask_b32_e64 v6, 0, v6, s[6:7]
	;; [unrolled: 2-line block ×3, first 2 shown]
	v_cmp_lt_i32_e64 s[6:7], v18, v22
	v_perm_b32 v6, v11, v6, s38
	v_cndmask_b32_e64 v11, 0, v12, s[6:7]
	v_perm_b32 v10, v10, v11, s38
.LBB310_1169:                           ;   in Loop: Header=BB310_818 Depth=1
	s_or_b64 exec, exec, s[26:27]
	;;#ASMSTART
	v_pk_mul_f16 v11, v44, v16;

	;;#ASMEND
	;;#ASMSTART
	v_pk_mul_f16 v12, v42, v13;

	;;#ASMEND
	;; [unrolled: 4-line block ×4, first 2 shown]
	;;#ASMSTART
	v_pk_add_f16 v11, v11, v12;

	;;#ASMEND
	;;#ASMSTART
	v_pk_add_f16 v6, v11, v6;

	;;#ASMEND
	;; [unrolled: 4-line block ×3, first 2 shown]
	v_lshrrev_b32_e32 v10, 16, v6
	v_and_b32_e32 v6, 0xffff, v6
	;;#ASMSTART
	v_cvt_f32_f16 v6, v6;
	;;#ASMEND
	v_accvgpr_write_b32 a49, v6
	;;#ASMSTART
	v_cvt_f32_f16 v6, v10;
	;;#ASMEND
	flat_load_dwordx2 v[48:49], v[56:57] offset:3584
	buffer_load_dword v10, off, s[0:3], s32 offset:196 ; 4-byte Folded Reload
	buffer_load_dword v11, off, s[0:3], s32 offset:200 ; 4-byte Folded Reload
	v_accvgpr_write_b32 a50, v6
	v_mov_b32_e32 v58, 0
	v_mov_b32_e32 v38, 0
	s_waitcnt vmcnt(0) lgkmcnt(0)
	v_cmp_ne_u16_sdwa s[6:7], v48, v31 src0_sel:BYTE_0 src1_sel:DWORD
	flat_load_dword v56, v[10:11]
	s_and_saveexec_b64 s[26:27], s[6:7]
	s_cbranch_execz .LBB310_1175
; %bb.1170:                             ;   in Loop: Header=BB310_818 Depth=1
	v_cmp_ne_u16_sdwa s[6:7], v48, s9 src0_sel:BYTE_0 src1_sel:DWORD
	v_bfrev_b32_e32 v38, 1
	s_and_saveexec_b64 s[28:29], s[6:7]
	s_cbranch_execz .LBB310_1174
; %bb.1171:                             ;   in Loop: Header=BB310_818 Depth=1
	v_and_b32_e32 v6, 0x7f, v48
	v_cmp_ne_u32_e64 s[6:7], s15, v6
	v_mov_b32_e32 v38, 0x7fc02000
	s_and_saveexec_b64 s[30:31], s[6:7]
	s_cbranch_execz .LBB310_1173
; %bb.1172:                             ;   in Loop: Header=BB310_818 Depth=1
	v_and_b32_e32 v10, 7, v48
	v_ffbh_u32_e32 v10, v10
	v_min_u32_e32 v10, 32, v10
	v_subrev_u32_e32 v11, 28, v10
	v_cmp_gt_u32_e64 s[6:7], 8, v6
	v_lshrrev_b32_e32 v12, 3, v6
	v_sub_u32_e32 v13, 29, v10
	v_cndmask_b32_e64 v6, 0, v11, s[6:7]
	v_lshlrev_b64 v[10:11], v6, v[48:49]
	v_cndmask_b32_e64 v6, v12, v13, s[6:7]
	v_lshlrev_b32_e32 v11, 8, v48
	v_lshl_add_u32 v6, v6, 10, v35
	v_lshlrev_b32_e32 v10, 7, v10
	v_and_or_b32 v6, v11, s34, v6
	v_and_or_b32 v6, v10, s35, v6
	v_cvt_f32_f16_e32 v38, v6
.LBB310_1173:                           ;   in Loop: Header=BB310_818 Depth=1
	s_or_b64 exec, exec, s[30:31]
.LBB310_1174:                           ;   in Loop: Header=BB310_818 Depth=1
	s_or_b64 exec, exec, s[28:29]
.LBB310_1175:                           ;   in Loop: Header=BB310_818 Depth=1
	s_or_b64 exec, exec, s[26:27]
	v_lshrrev_b16_e32 v30, 8, v48
	v_cmp_ne_u16_e64 s[6:7], 0, v30
	s_and_saveexec_b64 s[26:27], s[6:7]
	s_cbranch_execz .LBB310_1181
; %bb.1176:                             ;   in Loop: Header=BB310_818 Depth=1
	v_cmp_ne_u16_e64 s[6:7], s9, v30
	v_bfrev_b32_e32 v58, 1
	s_and_saveexec_b64 s[28:29], s[6:7]
	s_cbranch_execz .LBB310_1180
; %bb.1177:                             ;   in Loop: Header=BB310_818 Depth=1
	v_and_b32_e32 v6, 0x7f, v30
	v_cmp_ne_u32_e64 s[6:7], s15, v6
	v_mov_b32_e32 v58, 0x7fc02000
	s_and_saveexec_b64 s[30:31], s[6:7]
	s_cbranch_execz .LBB310_1179
; %bb.1178:                             ;   in Loop: Header=BB310_818 Depth=1
	v_and_b32_e32 v12, 7, v30
	v_ffbh_u32_e32 v10, v12
	v_min_u32_e32 v16, 32, v10
	v_subrev_u32_e32 v10, 28, v16
	v_lshlrev_b64 v[10:11], v10, v[30:31]
	v_lshrrev_b32_e32 v13, 3, v6
	v_sub_u32_e32 v11, 29, v16
	v_cmp_gt_u32_e64 s[6:7], 8, v6
	v_cndmask_b32_e64 v6, v13, v11, s[6:7]
	v_and_b32_e32 v10, 7, v10
	v_lshlrev_b32_e32 v11, 8, v30
	v_lshl_add_u32 v6, v6, 10, v35
	v_cndmask_b32_e64 v10, v12, v10, s[6:7]
	v_and_or_b32 v6, v11, s34, v6
	v_lshl_or_b32 v6, v10, 7, v6
	v_cvt_f32_f16_e32 v58, v6
.LBB310_1179:                           ;   in Loop: Header=BB310_818 Depth=1
	s_or_b64 exec, exec, s[30:31]
.LBB310_1180:                           ;   in Loop: Header=BB310_818 Depth=1
	s_or_b64 exec, exec, s[28:29]
.LBB310_1181:                           ;   in Loop: Header=BB310_818 Depth=1
	s_or_b64 exec, exec, s[26:27]
	v_lshrrev_b32_e32 v30, 16, v48
	v_cmp_ne_u16_sdwa s[6:7], v30, v31 src0_sel:BYTE_0 src1_sel:DWORD
	v_mov_b32_e32 v59, 0
	v_mov_b32_e32 v39, 0
	s_and_saveexec_b64 s[26:27], s[6:7]
	s_cbranch_execz .LBB310_1187
; %bb.1182:                             ;   in Loop: Header=BB310_818 Depth=1
	v_cmp_ne_u16_sdwa s[6:7], v30, s9 src0_sel:BYTE_0 src1_sel:DWORD
	v_bfrev_b32_e32 v39, 1
	s_and_saveexec_b64 s[28:29], s[6:7]
	s_cbranch_execz .LBB310_1186
; %bb.1183:                             ;   in Loop: Header=BB310_818 Depth=1
	v_bfe_u32 v6, v48, 16, 7
	v_cmp_ne_u32_e64 s[6:7], s15, v6
	v_mov_b32_e32 v39, 0x7fc02000
	s_and_saveexec_b64 s[30:31], s[6:7]
	s_cbranch_execz .LBB310_1185
; %bb.1184:                             ;   in Loop: Header=BB310_818 Depth=1
	v_and_b32_e32 v12, 7, v30
	v_ffbh_u32_e32 v10, v12
	v_min_u32_e32 v16, 32, v10
	v_subrev_u32_e32 v10, 28, v16
	v_lshlrev_b64 v[10:11], v10, v[30:31]
	v_lshrrev_b32_e32 v13, 3, v6
	v_sub_u32_e32 v11, 29, v16
	v_cmp_gt_u32_e64 s[6:7], 8, v6
	v_cndmask_b32_e64 v6, v13, v11, s[6:7]
	v_and_b32_e32 v10, 7, v10
	v_lshlrev_b32_e32 v11, 8, v30
	v_lshl_add_u32 v6, v6, 10, v35
	v_cndmask_b32_e64 v10, v12, v10, s[6:7]
	v_and_or_b32 v6, v11, s34, v6
	v_lshl_or_b32 v6, v10, 7, v6
	v_cvt_f32_f16_e32 v39, v6
.LBB310_1185:                           ;   in Loop: Header=BB310_818 Depth=1
	s_or_b64 exec, exec, s[30:31]
.LBB310_1186:                           ;   in Loop: Header=BB310_818 Depth=1
	s_or_b64 exec, exec, s[28:29]
.LBB310_1187:                           ;   in Loop: Header=BB310_818 Depth=1
	s_or_b64 exec, exec, s[26:27]
	v_cmp_lt_u32_e64 s[6:7], s17, v48
	s_and_saveexec_b64 s[26:27], s[6:7]
	s_cbranch_execz .LBB310_1193
; %bb.1188:                             ;   in Loop: Header=BB310_818 Depth=1
	v_lshrrev_b32_e32 v30, 24, v48
	v_cmp_ne_u32_e64 s[6:7], s9, v30
	v_bfrev_b32_e32 v59, 1
	s_and_saveexec_b64 s[28:29], s[6:7]
	s_cbranch_execz .LBB310_1192
; %bb.1189:                             ;   in Loop: Header=BB310_818 Depth=1
	v_and_b32_e32 v6, 0x7f, v30
	v_cmp_ne_u32_e64 s[6:7], s15, v6
	v_mov_b32_e32 v59, 0x7fc02000
	s_and_saveexec_b64 s[30:31], s[6:7]
	s_cbranch_execz .LBB310_1191
; %bb.1190:                             ;   in Loop: Header=BB310_818 Depth=1
	v_and_b32_e32 v12, 7, v30
	v_ffbh_u32_e32 v10, v12
	v_min_u32_e32 v16, 32, v10
	v_subrev_u32_e32 v10, 28, v16
	v_lshlrev_b64 v[10:11], v10, v[30:31]
	v_lshrrev_b32_e32 v13, 3, v6
	v_sub_u32_e32 v11, 29, v16
	v_cmp_gt_u32_e64 s[6:7], 8, v6
	v_cndmask_b32_e64 v6, v13, v11, s[6:7]
	v_and_b32_e32 v10, 7, v10
	v_lshlrev_b32_e32 v11, 8, v30
	v_lshl_add_u32 v6, v6, 10, v35
	v_cndmask_b32_e64 v10, v12, v10, s[6:7]
	v_and_or_b32 v6, v11, s34, v6
	v_lshl_or_b32 v6, v10, 7, v6
	v_cvt_f32_f16_e32 v59, v6
.LBB310_1191:                           ;   in Loop: Header=BB310_818 Depth=1
	s_or_b64 exec, exec, s[30:31]
.LBB310_1192:                           ;   in Loop: Header=BB310_818 Depth=1
	s_or_b64 exec, exec, s[28:29]
.LBB310_1193:                           ;   in Loop: Header=BB310_818 Depth=1
	s_or_b64 exec, exec, s[26:27]
	v_mov_b32_e32 v30, v49
	v_cmp_ne_u16_sdwa s[6:7], v49, v31 src0_sel:BYTE_0 src1_sel:DWORD
	v_mov_b32_e32 v10, 0
	v_mov_b32_e32 v6, 0
	s_and_saveexec_b64 s[26:27], s[6:7]
	s_cbranch_execz .LBB310_1199
; %bb.1194:                             ;   in Loop: Header=BB310_818 Depth=1
	v_cmp_ne_u16_sdwa s[6:7], v49, s9 src0_sel:BYTE_0 src1_sel:DWORD
	v_bfrev_b32_e32 v6, 1
	s_and_saveexec_b64 s[28:29], s[6:7]
	s_cbranch_execz .LBB310_1198
; %bb.1195:                             ;   in Loop: Header=BB310_818 Depth=1
	v_and_b32_e32 v11, 0x7f, v49
	v_cmp_ne_u32_e64 s[6:7], s15, v11
	v_mov_b32_e32 v6, 0x7fc02000
	s_and_saveexec_b64 s[30:31], s[6:7]
	s_cbranch_execz .LBB310_1197
; %bb.1196:                             ;   in Loop: Header=BB310_818 Depth=1
	v_and_b32_e32 v6, 7, v49
	v_ffbh_u32_e32 v6, v6
	v_min_u32_e32 v6, 32, v6
	v_subrev_u32_e32 v12, 28, v6
	v_cmp_gt_u32_e64 s[6:7], 8, v11
	v_lshrrev_b32_e32 v16, 3, v11
	v_sub_u32_e32 v6, 29, v6
	v_cndmask_b32_e64 v11, 0, v12, s[6:7]
	v_lshlrev_b64 v[12:13], v11, v[30:31]
	v_cndmask_b32_e64 v6, v16, v6, s[6:7]
	v_lshlrev_b32_e32 v11, 7, v12
	v_lshlrev_b32_e32 v12, 8, v49
	v_lshl_add_u32 v6, v6, 10, v35
	v_and_or_b32 v6, v12, s34, v6
	v_and_or_b32 v6, v11, s35, v6
	v_cvt_f32_f16_e32 v6, v6
.LBB310_1197:                           ;   in Loop: Header=BB310_818 Depth=1
	s_or_b64 exec, exec, s[30:31]
.LBB310_1198:                           ;   in Loop: Header=BB310_818 Depth=1
	s_or_b64 exec, exec, s[28:29]
.LBB310_1199:                           ;   in Loop: Header=BB310_818 Depth=1
	s_or_b64 exec, exec, s[26:27]
	v_lshrrev_b16_e32 v30, 8, v30
	v_cmp_ne_u16_e64 s[6:7], 0, v30
	s_and_saveexec_b64 s[26:27], s[6:7]
	s_cbranch_execz .LBB310_1205
; %bb.1200:                             ;   in Loop: Header=BB310_818 Depth=1
	v_cmp_ne_u16_e64 s[6:7], s9, v30
	v_bfrev_b32_e32 v10, 1
	s_and_saveexec_b64 s[28:29], s[6:7]
	s_cbranch_execz .LBB310_1204
; %bb.1201:                             ;   in Loop: Header=BB310_818 Depth=1
	v_and_b32_e32 v11, 0x7f, v30
	v_cmp_ne_u32_e64 s[6:7], s15, v11
	v_mov_b32_e32 v10, 0x7fc02000
	s_and_saveexec_b64 s[30:31], s[6:7]
	s_cbranch_execz .LBB310_1203
; %bb.1202:                             ;   in Loop: Header=BB310_818 Depth=1
	v_and_b32_e32 v10, 7, v30
	v_ffbh_u32_e32 v12, v10
	v_min_u32_e32 v17, 32, v12
	v_subrev_u32_e32 v12, 28, v17
	v_lshlrev_b64 v[12:13], v12, v[30:31]
	v_lshrrev_b32_e32 v16, 3, v11
	v_sub_u32_e32 v13, 29, v17
	v_cmp_gt_u32_e64 s[6:7], 8, v11
	v_and_b32_e32 v12, 7, v12
	v_cndmask_b32_e64 v11, v16, v13, s[6:7]
	v_cndmask_b32_e64 v10, v10, v12, s[6:7]
	v_lshlrev_b32_e32 v12, 8, v30
	v_lshl_add_u32 v11, v11, 10, v35
	v_and_or_b32 v11, v12, s34, v11
	v_lshl_or_b32 v10, v10, 7, v11
	v_cvt_f32_f16_e32 v10, v10
.LBB310_1203:                           ;   in Loop: Header=BB310_818 Depth=1
	s_or_b64 exec, exec, s[30:31]
.LBB310_1204:                           ;   in Loop: Header=BB310_818 Depth=1
	s_or_b64 exec, exec, s[28:29]
.LBB310_1205:                           ;   in Loop: Header=BB310_818 Depth=1
	s_or_b64 exec, exec, s[26:27]
	v_lshrrev_b32_e32 v30, 16, v49
	v_cmp_ne_u16_sdwa s[6:7], v30, v31 src0_sel:BYTE_0 src1_sel:DWORD
	v_mov_b32_e32 v11, 0
	v_mov_b32_e32 v12, 0
	s_and_saveexec_b64 s[26:27], s[6:7]
	s_cbranch_execz .LBB310_1211
; %bb.1206:                             ;   in Loop: Header=BB310_818 Depth=1
	v_cmp_ne_u16_sdwa s[6:7], v30, s9 src0_sel:BYTE_0 src1_sel:DWORD
	v_bfrev_b32_e32 v12, 1
	s_and_saveexec_b64 s[28:29], s[6:7]
	s_cbranch_execz .LBB310_1210
; %bb.1207:                             ;   in Loop: Header=BB310_818 Depth=1
	v_bfe_u32 v13, v49, 16, 7
	v_cmp_ne_u32_e64 s[6:7], s15, v13
	v_mov_b32_e32 v12, 0x7fc02000
	s_and_saveexec_b64 s[30:31], s[6:7]
	s_cbranch_execz .LBB310_1209
; %bb.1208:                             ;   in Loop: Header=BB310_818 Depth=1
	v_and_b32_e32 v12, 7, v30
	v_ffbh_u32_e32 v16, v12
	v_min_u32_e32 v23, 32, v16
	v_subrev_u32_e32 v16, 28, v23
	v_lshlrev_b64 v[16:17], v16, v[30:31]
	v_lshrrev_b32_e32 v22, 3, v13
	v_sub_u32_e32 v17, 29, v23
	v_cmp_gt_u32_e64 s[6:7], 8, v13
	v_and_b32_e32 v16, 7, v16
	v_cndmask_b32_e64 v13, v22, v17, s[6:7]
	v_cndmask_b32_e64 v12, v12, v16, s[6:7]
	v_lshlrev_b32_e32 v16, 8, v30
	v_lshl_add_u32 v13, v13, 10, v35
	v_and_or_b32 v13, v16, s34, v13
	v_lshl_or_b32 v12, v12, 7, v13
	v_cvt_f32_f16_e32 v12, v12
.LBB310_1209:                           ;   in Loop: Header=BB310_818 Depth=1
	s_or_b64 exec, exec, s[30:31]
.LBB310_1210:                           ;   in Loop: Header=BB310_818 Depth=1
	s_or_b64 exec, exec, s[28:29]
.LBB310_1211:                           ;   in Loop: Header=BB310_818 Depth=1
	s_or_b64 exec, exec, s[26:27]
	v_cmp_lt_u64_e64 s[6:7], s[16:17], v[48:49]
	s_and_saveexec_b64 s[26:27], s[6:7]
	s_cbranch_execz .LBB310_1217
; %bb.1212:                             ;   in Loop: Header=BB310_818 Depth=1
	v_lshrrev_b32_e32 v30, 24, v49
	v_cmp_ne_u32_e64 s[6:7], s9, v30
	v_bfrev_b32_e32 v11, 1
	s_and_saveexec_b64 s[28:29], s[6:7]
	s_cbranch_execz .LBB310_1216
; %bb.1213:                             ;   in Loop: Header=BB310_818 Depth=1
	v_and_b32_e32 v13, 0x7f, v30
	v_cmp_ne_u32_e64 s[6:7], s15, v13
	v_mov_b32_e32 v11, 0x7fc02000
	s_and_saveexec_b64 s[30:31], s[6:7]
	s_cbranch_execz .LBB310_1215
; %bb.1214:                             ;   in Loop: Header=BB310_818 Depth=1
	v_and_b32_e32 v11, 7, v30
	v_ffbh_u32_e32 v16, v11
	v_min_u32_e32 v23, 32, v16
	v_subrev_u32_e32 v16, 28, v23
	v_lshlrev_b64 v[16:17], v16, v[30:31]
	v_lshrrev_b32_e32 v22, 3, v13
	v_sub_u32_e32 v17, 29, v23
	v_cmp_gt_u32_e64 s[6:7], 8, v13
	v_and_b32_e32 v16, 7, v16
	v_cndmask_b32_e64 v13, v22, v17, s[6:7]
	v_cndmask_b32_e64 v11, v11, v16, s[6:7]
	v_lshlrev_b32_e32 v16, 8, v30
	v_lshl_add_u32 v13, v13, 10, v35
	v_and_or_b32 v13, v16, s34, v13
	v_lshl_or_b32 v11, v11, 7, v13
	v_cvt_f32_f16_e32 v11, v11
.LBB310_1215:                           ;   in Loop: Header=BB310_818 Depth=1
	s_or_b64 exec, exec, s[30:31]
.LBB310_1216:                           ;   in Loop: Header=BB310_818 Depth=1
	s_or_b64 exec, exec, s[28:29]
.LBB310_1217:                           ;   in Loop: Header=BB310_818 Depth=1
	s_or_b64 exec, exec, s[26:27]
	s_waitcnt vmcnt(0) lgkmcnt(0)
	v_pk_mul_f32 v[16:17], v[56:57], v[58:59] op_sel_hi:[0,1]
	v_pk_mul_f32 v[22:23], v[56:57], v[38:39] op_sel_hi:[0,1]
	v_cvt_f16_f32_e32 v13, v17
	v_cvt_f16_f32_e32 v16, v16
	;; [unrolled: 1-line block ×4, first 2 shown]
	v_fma_mixlo_f16 v10, v56, v10, 0
	v_lshlrev_b32_e32 v10, 16, v10
	v_fma_mixlo_f16 v6, v56, v6, 0
	v_or_b32_sdwa v6, v10, v6 dst_sel:DWORD dst_unused:UNUSED_PAD src0_sel:DWORD src1_sel:WORD_0
	v_fma_mixlo_f16 v10, v56, v11, 0
	v_pack_b32_f16 v16, v16, v13
	v_pack_b32_f16 v17, v22, v17
	v_fma_mixlo_f16 v12, v56, v12, 0
	v_lshlrev_b32_e32 v10, 16, v10
	v_perm_b32 v13, v17, v16, s36
	v_perm_b32 v16, v17, v16, s37
	v_or_b32_sdwa v10, v10, v12 dst_sel:DWORD dst_unused:UNUSED_PAD src0_sel:DWORD src1_sel:WORD_0
	s_and_saveexec_b64 s[26:27], vcc
	s_cbranch_execz .LBB310_1219
; %bb.1218:                             ;   in Loop: Header=BB310_818 Depth=1
	buffer_load_dword v22, off, s[0:3], s32 offset:204 ; 4-byte Folded Reload
	buffer_load_dword v23, off, s[0:3], s32 offset:208 ; 4-byte Folded Reload
	v_lshrrev_b32_e32 v11, 16, v16
	v_cmp_lt_i32_e64 s[6:7], v53, v7
	v_cndmask_b32_e64 v11, 0, v11, s[6:7]
	v_lshrrev_b32_e32 v10, 16, v10
	s_waitcnt vmcnt(1)
	v_cmp_lt_i32_e64 s[6:7], v4, v22
	v_cndmask_b32_e64 v16, 0, v16, s[6:7]
	v_perm_b32 v16, v11, v16, s38
	v_lshrrev_b32_e32 v11, 16, v13
	v_cmp_lt_i32_e64 s[6:7], v43, v7
	v_cndmask_b32_e64 v11, 0, v11, s[6:7]
	v_cmp_lt_i32_e64 s[6:7], v34, v22
	v_cndmask_b32_e64 v13, 0, v13, s[6:7]
	v_perm_b32 v13, v11, v13, s38
	v_lshrrev_b32_e32 v11, 16, v6
	v_cmp_lt_i32_e64 s[6:7], v40, v7
	v_cndmask_b32_e64 v11, 0, v11, s[6:7]
	v_cmp_lt_i32_e64 s[6:7], v28, v22
	v_cndmask_b32_e64 v6, 0, v6, s[6:7]
	;; [unrolled: 2-line block ×3, first 2 shown]
	v_cmp_lt_i32_e64 s[6:7], v18, v22
	v_perm_b32 v6, v11, v6, s38
	v_cndmask_b32_e64 v11, 0, v12, s[6:7]
	v_perm_b32 v10, v10, v11, s38
.LBB310_1219:                           ;   in Loop: Header=BB310_818 Depth=1
	s_or_b64 exec, exec, s[26:27]
	;;#ASMSTART
	v_pk_mul_f16 v11, v44, v16;

	;;#ASMEND
	;;#ASMSTART
	v_pk_mul_f16 v12, v42, v13;

	;;#ASMEND
	;; [unrolled: 4-line block ×4, first 2 shown]
	;;#ASMSTART
	v_pk_add_f16 v11, v11, v12;

	;;#ASMEND
	;;#ASMSTART
	v_pk_add_f16 v6, v11, v6;

	;;#ASMEND
	;; [unrolled: 4-line block ×3, first 2 shown]
	v_lshrrev_b32_e32 v10, 16, v6
	v_and_b32_e32 v6, 0xffff, v6
	;;#ASMSTART
	v_cvt_f32_f16 v6, v6;
	;;#ASMEND
	v_accvgpr_write_b32 a51, v6
	v_accvgpr_read_b32 v6, a32
	;;#ASMSTART
	v_cvt_f32_f16 v22, v10;
	;;#ASMEND
	v_add_co_u32_e64 v10, s[6:7], v20, v6
	v_addc_co_u32_e64 v11, s[6:7], 0, v21, s[6:7]
	flat_load_dwordx2 v[48:49], v[10:11]
	s_nop 0
	buffer_load_dword v10, off, s[0:3], s32 offset:196 ; 4-byte Folded Reload
	buffer_load_dword v11, off, s[0:3], s32 offset:200 ; 4-byte Folded Reload
	v_mov_b32_e32 v58, 0
	v_mov_b32_e32 v38, 0
	s_waitcnt vmcnt(0) lgkmcnt(0)
	v_cmp_ne_u16_sdwa s[6:7], v48, v31 src0_sel:BYTE_0 src1_sel:DWORD
	flat_load_dword v56, v[10:11]
	s_and_saveexec_b64 s[26:27], s[6:7]
	s_cbranch_execz .LBB310_1225
; %bb.1220:                             ;   in Loop: Header=BB310_818 Depth=1
	v_cmp_ne_u16_sdwa s[6:7], v48, s9 src0_sel:BYTE_0 src1_sel:DWORD
	v_bfrev_b32_e32 v38, 1
	s_and_saveexec_b64 s[28:29], s[6:7]
	s_cbranch_execz .LBB310_1224
; %bb.1221:                             ;   in Loop: Header=BB310_818 Depth=1
	v_and_b32_e32 v6, 0x7f, v48
	v_cmp_ne_u32_e64 s[6:7], s15, v6
	v_mov_b32_e32 v38, 0x7fc02000
	s_and_saveexec_b64 s[30:31], s[6:7]
	s_cbranch_execz .LBB310_1223
; %bb.1222:                             ;   in Loop: Header=BB310_818 Depth=1
	v_and_b32_e32 v10, 7, v48
	v_ffbh_u32_e32 v10, v10
	v_min_u32_e32 v10, 32, v10
	v_subrev_u32_e32 v11, 28, v10
	v_cmp_gt_u32_e64 s[6:7], 8, v6
	v_lshrrev_b32_e32 v12, 3, v6
	v_sub_u32_e32 v13, 29, v10
	v_cndmask_b32_e64 v6, 0, v11, s[6:7]
	v_lshlrev_b64 v[10:11], v6, v[48:49]
	v_cndmask_b32_e64 v6, v12, v13, s[6:7]
	v_lshlrev_b32_e32 v11, 8, v48
	v_lshl_add_u32 v6, v6, 10, v35
	v_lshlrev_b32_e32 v10, 7, v10
	v_and_or_b32 v6, v11, s34, v6
	v_and_or_b32 v6, v10, s35, v6
	v_cvt_f32_f16_e32 v38, v6
.LBB310_1223:                           ;   in Loop: Header=BB310_818 Depth=1
	s_or_b64 exec, exec, s[30:31]
.LBB310_1224:                           ;   in Loop: Header=BB310_818 Depth=1
	s_or_b64 exec, exec, s[28:29]
.LBB310_1225:                           ;   in Loop: Header=BB310_818 Depth=1
	s_or_b64 exec, exec, s[26:27]
	v_lshrrev_b16_e32 v30, 8, v48
	v_cmp_ne_u16_e64 s[6:7], 0, v30
	s_and_saveexec_b64 s[26:27], s[6:7]
	s_cbranch_execz .LBB310_1231
; %bb.1226:                             ;   in Loop: Header=BB310_818 Depth=1
	v_cmp_ne_u16_e64 s[6:7], s9, v30
	v_bfrev_b32_e32 v58, 1
	s_and_saveexec_b64 s[28:29], s[6:7]
	s_cbranch_execz .LBB310_1230
; %bb.1227:                             ;   in Loop: Header=BB310_818 Depth=1
	v_and_b32_e32 v6, 0x7f, v30
	v_cmp_ne_u32_e64 s[6:7], s15, v6
	v_mov_b32_e32 v58, 0x7fc02000
	s_and_saveexec_b64 s[30:31], s[6:7]
	s_cbranch_execz .LBB310_1229
; %bb.1228:                             ;   in Loop: Header=BB310_818 Depth=1
	v_and_b32_e32 v12, 7, v30
	v_ffbh_u32_e32 v10, v12
	v_min_u32_e32 v16, 32, v10
	v_subrev_u32_e32 v10, 28, v16
	v_lshlrev_b64 v[10:11], v10, v[30:31]
	v_lshrrev_b32_e32 v13, 3, v6
	v_sub_u32_e32 v11, 29, v16
	v_cmp_gt_u32_e64 s[6:7], 8, v6
	v_cndmask_b32_e64 v6, v13, v11, s[6:7]
	v_and_b32_e32 v10, 7, v10
	v_lshlrev_b32_e32 v11, 8, v30
	v_lshl_add_u32 v6, v6, 10, v35
	v_cndmask_b32_e64 v10, v12, v10, s[6:7]
	v_and_or_b32 v6, v11, s34, v6
	v_lshl_or_b32 v6, v10, 7, v6
	v_cvt_f32_f16_e32 v58, v6
.LBB310_1229:                           ;   in Loop: Header=BB310_818 Depth=1
	s_or_b64 exec, exec, s[30:31]
.LBB310_1230:                           ;   in Loop: Header=BB310_818 Depth=1
	s_or_b64 exec, exec, s[28:29]
.LBB310_1231:                           ;   in Loop: Header=BB310_818 Depth=1
	s_or_b64 exec, exec, s[26:27]
	v_lshrrev_b32_e32 v30, 16, v48
	v_cmp_ne_u16_sdwa s[6:7], v30, v31 src0_sel:BYTE_0 src1_sel:DWORD
	v_mov_b32_e32 v59, 0
	v_mov_b32_e32 v39, 0
	s_and_saveexec_b64 s[26:27], s[6:7]
	s_cbranch_execz .LBB310_1237
; %bb.1232:                             ;   in Loop: Header=BB310_818 Depth=1
	v_cmp_ne_u16_sdwa s[6:7], v30, s9 src0_sel:BYTE_0 src1_sel:DWORD
	v_bfrev_b32_e32 v39, 1
	s_and_saveexec_b64 s[28:29], s[6:7]
	s_cbranch_execz .LBB310_1236
; %bb.1233:                             ;   in Loop: Header=BB310_818 Depth=1
	v_bfe_u32 v6, v48, 16, 7
	v_cmp_ne_u32_e64 s[6:7], s15, v6
	v_mov_b32_e32 v39, 0x7fc02000
	s_and_saveexec_b64 s[30:31], s[6:7]
	s_cbranch_execz .LBB310_1235
; %bb.1234:                             ;   in Loop: Header=BB310_818 Depth=1
	v_and_b32_e32 v12, 7, v30
	v_ffbh_u32_e32 v10, v12
	v_min_u32_e32 v16, 32, v10
	v_subrev_u32_e32 v10, 28, v16
	v_lshlrev_b64 v[10:11], v10, v[30:31]
	v_lshrrev_b32_e32 v13, 3, v6
	v_sub_u32_e32 v11, 29, v16
	v_cmp_gt_u32_e64 s[6:7], 8, v6
	v_cndmask_b32_e64 v6, v13, v11, s[6:7]
	v_and_b32_e32 v10, 7, v10
	v_lshlrev_b32_e32 v11, 8, v30
	v_lshl_add_u32 v6, v6, 10, v35
	v_cndmask_b32_e64 v10, v12, v10, s[6:7]
	v_and_or_b32 v6, v11, s34, v6
	v_lshl_or_b32 v6, v10, 7, v6
	v_cvt_f32_f16_e32 v39, v6
.LBB310_1235:                           ;   in Loop: Header=BB310_818 Depth=1
	s_or_b64 exec, exec, s[30:31]
.LBB310_1236:                           ;   in Loop: Header=BB310_818 Depth=1
	s_or_b64 exec, exec, s[28:29]
.LBB310_1237:                           ;   in Loop: Header=BB310_818 Depth=1
	s_or_b64 exec, exec, s[26:27]
	v_cmp_lt_u32_e64 s[6:7], s17, v48
	s_and_saveexec_b64 s[26:27], s[6:7]
	s_cbranch_execz .LBB310_1243
; %bb.1238:                             ;   in Loop: Header=BB310_818 Depth=1
	v_lshrrev_b32_e32 v30, 24, v48
	v_cmp_ne_u32_e64 s[6:7], s9, v30
	v_bfrev_b32_e32 v59, 1
	s_and_saveexec_b64 s[28:29], s[6:7]
	s_cbranch_execz .LBB310_1242
; %bb.1239:                             ;   in Loop: Header=BB310_818 Depth=1
	v_and_b32_e32 v6, 0x7f, v30
	v_cmp_ne_u32_e64 s[6:7], s15, v6
	v_mov_b32_e32 v59, 0x7fc02000
	s_and_saveexec_b64 s[30:31], s[6:7]
	s_cbranch_execz .LBB310_1241
; %bb.1240:                             ;   in Loop: Header=BB310_818 Depth=1
	v_and_b32_e32 v12, 7, v30
	v_ffbh_u32_e32 v10, v12
	v_min_u32_e32 v16, 32, v10
	v_subrev_u32_e32 v10, 28, v16
	v_lshlrev_b64 v[10:11], v10, v[30:31]
	v_lshrrev_b32_e32 v13, 3, v6
	v_sub_u32_e32 v11, 29, v16
	v_cmp_gt_u32_e64 s[6:7], 8, v6
	v_cndmask_b32_e64 v6, v13, v11, s[6:7]
	v_and_b32_e32 v10, 7, v10
	v_lshlrev_b32_e32 v11, 8, v30
	v_lshl_add_u32 v6, v6, 10, v35
	v_cndmask_b32_e64 v10, v12, v10, s[6:7]
	v_and_or_b32 v6, v11, s34, v6
	v_lshl_or_b32 v6, v10, 7, v6
	v_cvt_f32_f16_e32 v59, v6
.LBB310_1241:                           ;   in Loop: Header=BB310_818 Depth=1
	s_or_b64 exec, exec, s[30:31]
.LBB310_1242:                           ;   in Loop: Header=BB310_818 Depth=1
	s_or_b64 exec, exec, s[28:29]
.LBB310_1243:                           ;   in Loop: Header=BB310_818 Depth=1
	s_or_b64 exec, exec, s[26:27]
	v_mov_b32_e32 v30, v49
	v_cmp_ne_u16_sdwa s[6:7], v49, v31 src0_sel:BYTE_0 src1_sel:DWORD
	v_mov_b32_e32 v10, 0
	v_mov_b32_e32 v6, 0
	s_and_saveexec_b64 s[26:27], s[6:7]
	s_cbranch_execz .LBB310_1249
; %bb.1244:                             ;   in Loop: Header=BB310_818 Depth=1
	v_cmp_ne_u16_sdwa s[6:7], v49, s9 src0_sel:BYTE_0 src1_sel:DWORD
	v_bfrev_b32_e32 v6, 1
	s_and_saveexec_b64 s[28:29], s[6:7]
	s_cbranch_execz .LBB310_1248
; %bb.1245:                             ;   in Loop: Header=BB310_818 Depth=1
	v_and_b32_e32 v11, 0x7f, v49
	v_cmp_ne_u32_e64 s[6:7], s15, v11
	v_mov_b32_e32 v6, 0x7fc02000
	s_and_saveexec_b64 s[30:31], s[6:7]
	s_cbranch_execz .LBB310_1247
; %bb.1246:                             ;   in Loop: Header=BB310_818 Depth=1
	v_and_b32_e32 v6, 7, v49
	v_ffbh_u32_e32 v6, v6
	v_min_u32_e32 v6, 32, v6
	v_subrev_u32_e32 v12, 28, v6
	v_cmp_gt_u32_e64 s[6:7], 8, v11
	v_lshrrev_b32_e32 v16, 3, v11
	v_sub_u32_e32 v6, 29, v6
	v_cndmask_b32_e64 v11, 0, v12, s[6:7]
	v_lshlrev_b64 v[12:13], v11, v[30:31]
	v_cndmask_b32_e64 v6, v16, v6, s[6:7]
	v_lshlrev_b32_e32 v11, 7, v12
	v_lshlrev_b32_e32 v12, 8, v49
	v_lshl_add_u32 v6, v6, 10, v35
	v_and_or_b32 v6, v12, s34, v6
	v_and_or_b32 v6, v11, s35, v6
	v_cvt_f32_f16_e32 v6, v6
.LBB310_1247:                           ;   in Loop: Header=BB310_818 Depth=1
	s_or_b64 exec, exec, s[30:31]
.LBB310_1248:                           ;   in Loop: Header=BB310_818 Depth=1
	s_or_b64 exec, exec, s[28:29]
.LBB310_1249:                           ;   in Loop: Header=BB310_818 Depth=1
	s_or_b64 exec, exec, s[26:27]
	v_lshrrev_b16_e32 v30, 8, v30
	v_cmp_ne_u16_e64 s[6:7], 0, v30
	s_and_saveexec_b64 s[26:27], s[6:7]
	s_cbranch_execz .LBB310_1255
; %bb.1250:                             ;   in Loop: Header=BB310_818 Depth=1
	v_cmp_ne_u16_e64 s[6:7], s9, v30
	v_bfrev_b32_e32 v10, 1
	s_and_saveexec_b64 s[28:29], s[6:7]
	s_cbranch_execz .LBB310_1254
; %bb.1251:                             ;   in Loop: Header=BB310_818 Depth=1
	v_and_b32_e32 v11, 0x7f, v30
	v_cmp_ne_u32_e64 s[6:7], s15, v11
	v_mov_b32_e32 v10, 0x7fc02000
	s_and_saveexec_b64 s[30:31], s[6:7]
	s_cbranch_execz .LBB310_1253
; %bb.1252:                             ;   in Loop: Header=BB310_818 Depth=1
	v_and_b32_e32 v10, 7, v30
	v_ffbh_u32_e32 v12, v10
	v_min_u32_e32 v17, 32, v12
	v_subrev_u32_e32 v12, 28, v17
	v_lshlrev_b64 v[12:13], v12, v[30:31]
	v_lshrrev_b32_e32 v16, 3, v11
	v_sub_u32_e32 v13, 29, v17
	v_cmp_gt_u32_e64 s[6:7], 8, v11
	v_and_b32_e32 v12, 7, v12
	v_cndmask_b32_e64 v11, v16, v13, s[6:7]
	v_cndmask_b32_e64 v10, v10, v12, s[6:7]
	v_lshlrev_b32_e32 v12, 8, v30
	v_lshl_add_u32 v11, v11, 10, v35
	v_and_or_b32 v11, v12, s34, v11
	v_lshl_or_b32 v10, v10, 7, v11
	v_cvt_f32_f16_e32 v10, v10
.LBB310_1253:                           ;   in Loop: Header=BB310_818 Depth=1
	s_or_b64 exec, exec, s[30:31]
.LBB310_1254:                           ;   in Loop: Header=BB310_818 Depth=1
	s_or_b64 exec, exec, s[28:29]
.LBB310_1255:                           ;   in Loop: Header=BB310_818 Depth=1
	s_or_b64 exec, exec, s[26:27]
	v_lshrrev_b32_e32 v30, 16, v49
	v_cmp_ne_u16_sdwa s[6:7], v30, v31 src0_sel:BYTE_0 src1_sel:DWORD
	v_mov_b32_e32 v11, 0
	v_mov_b32_e32 v12, 0
	s_and_saveexec_b64 s[26:27], s[6:7]
	s_cbranch_execz .LBB310_1261
; %bb.1256:                             ;   in Loop: Header=BB310_818 Depth=1
	v_cmp_ne_u16_sdwa s[6:7], v30, s9 src0_sel:BYTE_0 src1_sel:DWORD
	v_bfrev_b32_e32 v12, 1
	s_and_saveexec_b64 s[28:29], s[6:7]
	s_cbranch_execz .LBB310_1260
; %bb.1257:                             ;   in Loop: Header=BB310_818 Depth=1
	v_bfe_u32 v13, v49, 16, 7
	v_cmp_ne_u32_e64 s[6:7], s15, v13
	v_mov_b32_e32 v12, 0x7fc02000
	s_and_saveexec_b64 s[30:31], s[6:7]
	s_cbranch_execz .LBB310_1259
; %bb.1258:                             ;   in Loop: Header=BB310_818 Depth=1
	v_and_b32_e32 v12, 7, v30
	v_ffbh_u32_e32 v16, v12
	v_min_u32_e32 v26, 32, v16
	v_subrev_u32_e32 v16, 28, v26
	v_lshlrev_b64 v[16:17], v16, v[30:31]
	v_lshrrev_b32_e32 v23, 3, v13
	v_sub_u32_e32 v17, 29, v26
	v_cmp_gt_u32_e64 s[6:7], 8, v13
	v_and_b32_e32 v16, 7, v16
	v_cndmask_b32_e64 v13, v23, v17, s[6:7]
	v_cndmask_b32_e64 v12, v12, v16, s[6:7]
	v_lshlrev_b32_e32 v16, 8, v30
	v_lshl_add_u32 v13, v13, 10, v35
	v_and_or_b32 v13, v16, s34, v13
	v_lshl_or_b32 v12, v12, 7, v13
	v_cvt_f32_f16_e32 v12, v12
.LBB310_1259:                           ;   in Loop: Header=BB310_818 Depth=1
	s_or_b64 exec, exec, s[30:31]
.LBB310_1260:                           ;   in Loop: Header=BB310_818 Depth=1
	s_or_b64 exec, exec, s[28:29]
.LBB310_1261:                           ;   in Loop: Header=BB310_818 Depth=1
	s_or_b64 exec, exec, s[26:27]
	v_cmp_lt_u64_e64 s[6:7], s[16:17], v[48:49]
	s_and_saveexec_b64 s[26:27], s[6:7]
	s_cbranch_execz .LBB310_1267
; %bb.1262:                             ;   in Loop: Header=BB310_818 Depth=1
	v_lshrrev_b32_e32 v30, 24, v49
	v_cmp_ne_u32_e64 s[6:7], s9, v30
	v_bfrev_b32_e32 v11, 1
	s_and_saveexec_b64 s[28:29], s[6:7]
	s_cbranch_execz .LBB310_1266
; %bb.1263:                             ;   in Loop: Header=BB310_818 Depth=1
	v_and_b32_e32 v13, 0x7f, v30
	v_cmp_ne_u32_e64 s[6:7], s15, v13
	v_mov_b32_e32 v11, 0x7fc02000
	s_and_saveexec_b64 s[30:31], s[6:7]
	s_cbranch_execz .LBB310_1265
; %bb.1264:                             ;   in Loop: Header=BB310_818 Depth=1
	v_and_b32_e32 v11, 7, v30
	v_ffbh_u32_e32 v16, v11
	v_min_u32_e32 v26, 32, v16
	v_subrev_u32_e32 v16, 28, v26
	v_lshlrev_b64 v[16:17], v16, v[30:31]
	v_lshrrev_b32_e32 v23, 3, v13
	v_sub_u32_e32 v17, 29, v26
	v_cmp_gt_u32_e64 s[6:7], 8, v13
	v_and_b32_e32 v16, 7, v16
	v_cndmask_b32_e64 v13, v23, v17, s[6:7]
	v_cndmask_b32_e64 v11, v11, v16, s[6:7]
	v_lshlrev_b32_e32 v16, 8, v30
	v_lshl_add_u32 v13, v13, 10, v35
	v_and_or_b32 v13, v16, s34, v13
	v_lshl_or_b32 v11, v11, 7, v13
	v_cvt_f32_f16_e32 v11, v11
.LBB310_1265:                           ;   in Loop: Header=BB310_818 Depth=1
	s_or_b64 exec, exec, s[30:31]
.LBB310_1266:                           ;   in Loop: Header=BB310_818 Depth=1
	s_or_b64 exec, exec, s[28:29]
.LBB310_1267:                           ;   in Loop: Header=BB310_818 Depth=1
	s_or_b64 exec, exec, s[26:27]
	s_waitcnt vmcnt(0) lgkmcnt(0)
	v_pk_mul_f32 v[16:17], v[56:57], v[58:59] op_sel_hi:[0,1]
	v_pk_mul_f32 v[26:27], v[56:57], v[38:39] op_sel_hi:[0,1]
	v_cvt_f16_f32_e32 v13, v17
	v_cvt_f16_f32_e32 v16, v16
	;; [unrolled: 1-line block ×4, first 2 shown]
	v_fma_mixlo_f16 v10, v56, v10, 0
	v_lshlrev_b32_e32 v10, 16, v10
	v_fma_mixlo_f16 v6, v56, v6, 0
	v_or_b32_sdwa v6, v10, v6 dst_sel:DWORD dst_unused:UNUSED_PAD src0_sel:DWORD src1_sel:WORD_0
	v_fma_mixlo_f16 v10, v56, v11, 0
	v_pack_b32_f16 v16, v16, v13
	v_pack_b32_f16 v17, v23, v17
	v_fma_mixlo_f16 v12, v56, v12, 0
	v_lshlrev_b32_e32 v10, 16, v10
	v_perm_b32 v13, v17, v16, s36
	v_perm_b32 v16, v17, v16, s37
	v_or_b32_sdwa v10, v10, v12 dst_sel:DWORD dst_unused:UNUSED_PAD src0_sel:DWORD src1_sel:WORD_0
	s_and_saveexec_b64 s[26:27], vcc
	s_cbranch_execz .LBB310_1269
; %bb.1268:                             ;   in Loop: Header=BB310_818 Depth=1
	buffer_load_dword v26, off, s[0:3], s32 offset:204 ; 4-byte Folded Reload
	buffer_load_dword v27, off, s[0:3], s32 offset:208 ; 4-byte Folded Reload
	v_lshrrev_b32_e32 v11, 16, v16
	v_cmp_lt_i32_e64 s[6:7], v53, v7
	v_cndmask_b32_e64 v11, 0, v11, s[6:7]
	v_lshrrev_b32_e32 v10, 16, v10
	s_waitcnt vmcnt(1)
	v_cmp_lt_i32_e64 s[6:7], v4, v26
	v_cndmask_b32_e64 v16, 0, v16, s[6:7]
	v_perm_b32 v16, v11, v16, s38
	v_lshrrev_b32_e32 v11, 16, v13
	v_cmp_lt_i32_e64 s[6:7], v43, v7
	v_cndmask_b32_e64 v11, 0, v11, s[6:7]
	v_cmp_lt_i32_e64 s[6:7], v34, v26
	v_cndmask_b32_e64 v13, 0, v13, s[6:7]
	v_perm_b32 v13, v11, v13, s38
	v_lshrrev_b32_e32 v11, 16, v6
	v_cmp_lt_i32_e64 s[6:7], v40, v7
	v_cndmask_b32_e64 v11, 0, v11, s[6:7]
	v_cmp_lt_i32_e64 s[6:7], v28, v26
	v_cndmask_b32_e64 v6, 0, v6, s[6:7]
	;; [unrolled: 2-line block ×3, first 2 shown]
	v_cmp_lt_i32_e64 s[6:7], v18, v26
	v_perm_b32 v6, v11, v6, s38
	v_cndmask_b32_e64 v11, 0, v12, s[6:7]
	v_perm_b32 v10, v10, v11, s38
.LBB310_1269:                           ;   in Loop: Header=BB310_818 Depth=1
	s_or_b64 exec, exec, s[26:27]
	;;#ASMSTART
	v_pk_mul_f16 v11, v44, v16;

	;;#ASMEND
	;;#ASMSTART
	v_pk_mul_f16 v12, v42, v13;

	;;#ASMEND
	;; [unrolled: 4-line block ×4, first 2 shown]
	;;#ASMSTART
	v_pk_add_f16 v11, v11, v12;

	;;#ASMEND
	;;#ASMSTART
	v_pk_add_f16 v6, v11, v6;

	;;#ASMEND
	;;#ASMSTART
	v_pk_add_f16 v6, v6, v10;

	;;#ASMEND
	v_lshrrev_b32_e32 v10, 16, v6
	v_and_b32_e32 v6, 0xffff, v6
	;;#ASMSTART
	v_cvt_f32_f16 v26, v6;
	;;#ASMEND
	v_accvgpr_read_b32 v6, a34
	;;#ASMSTART
	v_cvt_f32_f16 v17, v10;
	;;#ASMEND
	v_add_co_u32_e64 v10, s[6:7], v20, v6
	v_addc_co_u32_e64 v11, s[6:7], 0, v21, s[6:7]
	flat_load_dwordx2 v[48:49], v[10:11]
	s_nop 0
	buffer_load_dword v10, off, s[0:3], s32 offset:196 ; 4-byte Folded Reload
	buffer_load_dword v11, off, s[0:3], s32 offset:200 ; 4-byte Folded Reload
	v_mov_b32_e32 v58, 0
	v_mov_b32_e32 v38, 0
	s_waitcnt vmcnt(0) lgkmcnt(0)
	v_cmp_ne_u16_sdwa s[6:7], v48, v31 src0_sel:BYTE_0 src1_sel:DWORD
	flat_load_dword v56, v[10:11]
	s_and_saveexec_b64 s[26:27], s[6:7]
	s_cbranch_execz .LBB310_1275
; %bb.1270:                             ;   in Loop: Header=BB310_818 Depth=1
	v_cmp_ne_u16_sdwa s[6:7], v48, s9 src0_sel:BYTE_0 src1_sel:DWORD
	v_bfrev_b32_e32 v38, 1
	s_and_saveexec_b64 s[28:29], s[6:7]
	s_cbranch_execz .LBB310_1274
; %bb.1271:                             ;   in Loop: Header=BB310_818 Depth=1
	v_and_b32_e32 v6, 0x7f, v48
	v_cmp_ne_u32_e64 s[6:7], s15, v6
	v_mov_b32_e32 v38, 0x7fc02000
	s_and_saveexec_b64 s[30:31], s[6:7]
	s_cbranch_execz .LBB310_1273
; %bb.1272:                             ;   in Loop: Header=BB310_818 Depth=1
	v_and_b32_e32 v10, 7, v48
	v_ffbh_u32_e32 v10, v10
	v_min_u32_e32 v10, 32, v10
	v_subrev_u32_e32 v11, 28, v10
	v_cmp_gt_u32_e64 s[6:7], 8, v6
	v_lshrrev_b32_e32 v12, 3, v6
	v_sub_u32_e32 v13, 29, v10
	v_cndmask_b32_e64 v6, 0, v11, s[6:7]
	v_lshlrev_b64 v[10:11], v6, v[48:49]
	v_cndmask_b32_e64 v6, v12, v13, s[6:7]
	v_lshlrev_b32_e32 v11, 8, v48
	v_lshl_add_u32 v6, v6, 10, v35
	v_lshlrev_b32_e32 v10, 7, v10
	v_and_or_b32 v6, v11, s34, v6
	v_and_or_b32 v6, v10, s35, v6
	v_cvt_f32_f16_e32 v38, v6
.LBB310_1273:                           ;   in Loop: Header=BB310_818 Depth=1
	s_or_b64 exec, exec, s[30:31]
.LBB310_1274:                           ;   in Loop: Header=BB310_818 Depth=1
	s_or_b64 exec, exec, s[28:29]
.LBB310_1275:                           ;   in Loop: Header=BB310_818 Depth=1
	s_or_b64 exec, exec, s[26:27]
	v_lshrrev_b16_e32 v30, 8, v48
	v_cmp_ne_u16_e64 s[6:7], 0, v30
	s_and_saveexec_b64 s[26:27], s[6:7]
	s_cbranch_execz .LBB310_1281
; %bb.1276:                             ;   in Loop: Header=BB310_818 Depth=1
	v_cmp_ne_u16_e64 s[6:7], s9, v30
	v_bfrev_b32_e32 v58, 1
	s_and_saveexec_b64 s[28:29], s[6:7]
	s_cbranch_execz .LBB310_1280
; %bb.1277:                             ;   in Loop: Header=BB310_818 Depth=1
	v_and_b32_e32 v6, 0x7f, v30
	v_cmp_ne_u32_e64 s[6:7], s15, v6
	v_mov_b32_e32 v58, 0x7fc02000
	s_and_saveexec_b64 s[30:31], s[6:7]
	s_cbranch_execz .LBB310_1279
; %bb.1278:                             ;   in Loop: Header=BB310_818 Depth=1
	v_and_b32_e32 v12, 7, v30
	v_ffbh_u32_e32 v10, v12
	v_min_u32_e32 v16, 32, v10
	v_subrev_u32_e32 v10, 28, v16
	v_lshlrev_b64 v[10:11], v10, v[30:31]
	v_lshrrev_b32_e32 v13, 3, v6
	v_sub_u32_e32 v11, 29, v16
	v_cmp_gt_u32_e64 s[6:7], 8, v6
	v_cndmask_b32_e64 v6, v13, v11, s[6:7]
	v_and_b32_e32 v10, 7, v10
	v_lshlrev_b32_e32 v11, 8, v30
	v_lshl_add_u32 v6, v6, 10, v35
	v_cndmask_b32_e64 v10, v12, v10, s[6:7]
	v_and_or_b32 v6, v11, s34, v6
	v_lshl_or_b32 v6, v10, 7, v6
	v_cvt_f32_f16_e32 v58, v6
.LBB310_1279:                           ;   in Loop: Header=BB310_818 Depth=1
	s_or_b64 exec, exec, s[30:31]
.LBB310_1280:                           ;   in Loop: Header=BB310_818 Depth=1
	s_or_b64 exec, exec, s[28:29]
.LBB310_1281:                           ;   in Loop: Header=BB310_818 Depth=1
	s_or_b64 exec, exec, s[26:27]
	v_lshrrev_b32_e32 v30, 16, v48
	v_cmp_ne_u16_sdwa s[6:7], v30, v31 src0_sel:BYTE_0 src1_sel:DWORD
	v_mov_b32_e32 v59, 0
	v_mov_b32_e32 v39, 0
	s_and_saveexec_b64 s[26:27], s[6:7]
	s_cbranch_execz .LBB310_1287
; %bb.1282:                             ;   in Loop: Header=BB310_818 Depth=1
	v_cmp_ne_u16_sdwa s[6:7], v30, s9 src0_sel:BYTE_0 src1_sel:DWORD
	v_bfrev_b32_e32 v39, 1
	s_and_saveexec_b64 s[28:29], s[6:7]
	s_cbranch_execz .LBB310_1286
; %bb.1283:                             ;   in Loop: Header=BB310_818 Depth=1
	v_bfe_u32 v6, v48, 16, 7
	v_cmp_ne_u32_e64 s[6:7], s15, v6
	v_mov_b32_e32 v39, 0x7fc02000
	s_and_saveexec_b64 s[30:31], s[6:7]
	s_cbranch_execz .LBB310_1285
; %bb.1284:                             ;   in Loop: Header=BB310_818 Depth=1
	v_and_b32_e32 v12, 7, v30
	v_ffbh_u32_e32 v10, v12
	v_min_u32_e32 v16, 32, v10
	v_subrev_u32_e32 v10, 28, v16
	v_lshlrev_b64 v[10:11], v10, v[30:31]
	v_lshrrev_b32_e32 v13, 3, v6
	v_sub_u32_e32 v11, 29, v16
	v_cmp_gt_u32_e64 s[6:7], 8, v6
	v_cndmask_b32_e64 v6, v13, v11, s[6:7]
	v_and_b32_e32 v10, 7, v10
	v_lshlrev_b32_e32 v11, 8, v30
	v_lshl_add_u32 v6, v6, 10, v35
	v_cndmask_b32_e64 v10, v12, v10, s[6:7]
	v_and_or_b32 v6, v11, s34, v6
	v_lshl_or_b32 v6, v10, 7, v6
	v_cvt_f32_f16_e32 v39, v6
.LBB310_1285:                           ;   in Loop: Header=BB310_818 Depth=1
	s_or_b64 exec, exec, s[30:31]
.LBB310_1286:                           ;   in Loop: Header=BB310_818 Depth=1
	s_or_b64 exec, exec, s[28:29]
.LBB310_1287:                           ;   in Loop: Header=BB310_818 Depth=1
	s_or_b64 exec, exec, s[26:27]
	v_cmp_lt_u32_e64 s[6:7], s17, v48
	s_and_saveexec_b64 s[26:27], s[6:7]
	s_cbranch_execz .LBB310_1293
; %bb.1288:                             ;   in Loop: Header=BB310_818 Depth=1
	v_lshrrev_b32_e32 v30, 24, v48
	v_cmp_ne_u32_e64 s[6:7], s9, v30
	v_bfrev_b32_e32 v59, 1
	s_and_saveexec_b64 s[28:29], s[6:7]
	s_cbranch_execz .LBB310_1292
; %bb.1289:                             ;   in Loop: Header=BB310_818 Depth=1
	v_and_b32_e32 v6, 0x7f, v30
	v_cmp_ne_u32_e64 s[6:7], s15, v6
	v_mov_b32_e32 v59, 0x7fc02000
	s_and_saveexec_b64 s[30:31], s[6:7]
	s_cbranch_execz .LBB310_1291
; %bb.1290:                             ;   in Loop: Header=BB310_818 Depth=1
	v_and_b32_e32 v12, 7, v30
	v_ffbh_u32_e32 v10, v12
	v_min_u32_e32 v16, 32, v10
	v_subrev_u32_e32 v10, 28, v16
	v_lshlrev_b64 v[10:11], v10, v[30:31]
	v_lshrrev_b32_e32 v13, 3, v6
	v_sub_u32_e32 v11, 29, v16
	v_cmp_gt_u32_e64 s[6:7], 8, v6
	v_cndmask_b32_e64 v6, v13, v11, s[6:7]
	v_and_b32_e32 v10, 7, v10
	v_lshlrev_b32_e32 v11, 8, v30
	v_lshl_add_u32 v6, v6, 10, v35
	v_cndmask_b32_e64 v10, v12, v10, s[6:7]
	v_and_or_b32 v6, v11, s34, v6
	v_lshl_or_b32 v6, v10, 7, v6
	v_cvt_f32_f16_e32 v59, v6
.LBB310_1291:                           ;   in Loop: Header=BB310_818 Depth=1
	s_or_b64 exec, exec, s[30:31]
.LBB310_1292:                           ;   in Loop: Header=BB310_818 Depth=1
	s_or_b64 exec, exec, s[28:29]
.LBB310_1293:                           ;   in Loop: Header=BB310_818 Depth=1
	s_or_b64 exec, exec, s[26:27]
	v_mov_b32_e32 v30, v49
	v_cmp_ne_u16_sdwa s[6:7], v49, v31 src0_sel:BYTE_0 src1_sel:DWORD
	v_mov_b32_e32 v10, 0
	v_mov_b32_e32 v6, 0
	s_and_saveexec_b64 s[26:27], s[6:7]
	s_cbranch_execz .LBB310_1299
; %bb.1294:                             ;   in Loop: Header=BB310_818 Depth=1
	v_cmp_ne_u16_sdwa s[6:7], v49, s9 src0_sel:BYTE_0 src1_sel:DWORD
	v_bfrev_b32_e32 v6, 1
	s_and_saveexec_b64 s[28:29], s[6:7]
	s_cbranch_execz .LBB310_1298
; %bb.1295:                             ;   in Loop: Header=BB310_818 Depth=1
	v_and_b32_e32 v11, 0x7f, v49
	v_cmp_ne_u32_e64 s[6:7], s15, v11
	v_mov_b32_e32 v6, 0x7fc02000
	s_and_saveexec_b64 s[30:31], s[6:7]
	s_cbranch_execz .LBB310_1297
; %bb.1296:                             ;   in Loop: Header=BB310_818 Depth=1
	v_and_b32_e32 v6, 7, v49
	v_ffbh_u32_e32 v6, v6
	v_min_u32_e32 v6, 32, v6
	v_subrev_u32_e32 v12, 28, v6
	v_cmp_gt_u32_e64 s[6:7], 8, v11
	v_lshrrev_b32_e32 v16, 3, v11
	v_sub_u32_e32 v6, 29, v6
	v_cndmask_b32_e64 v11, 0, v12, s[6:7]
	v_lshlrev_b64 v[12:13], v11, v[30:31]
	v_cndmask_b32_e64 v6, v16, v6, s[6:7]
	v_lshlrev_b32_e32 v11, 7, v12
	v_lshlrev_b32_e32 v12, 8, v49
	v_lshl_add_u32 v6, v6, 10, v35
	v_and_or_b32 v6, v12, s34, v6
	v_and_or_b32 v6, v11, s35, v6
	v_cvt_f32_f16_e32 v6, v6
.LBB310_1297:                           ;   in Loop: Header=BB310_818 Depth=1
	s_or_b64 exec, exec, s[30:31]
.LBB310_1298:                           ;   in Loop: Header=BB310_818 Depth=1
	s_or_b64 exec, exec, s[28:29]
.LBB310_1299:                           ;   in Loop: Header=BB310_818 Depth=1
	s_or_b64 exec, exec, s[26:27]
	v_lshrrev_b16_e32 v30, 8, v30
	v_cmp_ne_u16_e64 s[6:7], 0, v30
	s_and_saveexec_b64 s[26:27], s[6:7]
	s_cbranch_execz .LBB310_1305
; %bb.1300:                             ;   in Loop: Header=BB310_818 Depth=1
	v_cmp_ne_u16_e64 s[6:7], s9, v30
	v_bfrev_b32_e32 v10, 1
	s_and_saveexec_b64 s[28:29], s[6:7]
	s_cbranch_execz .LBB310_1304
; %bb.1301:                             ;   in Loop: Header=BB310_818 Depth=1
	v_and_b32_e32 v11, 0x7f, v30
	v_cmp_ne_u32_e64 s[6:7], s15, v11
	v_mov_b32_e32 v10, 0x7fc02000
	s_and_saveexec_b64 s[30:31], s[6:7]
	s_cbranch_execz .LBB310_1303
; %bb.1302:                             ;   in Loop: Header=BB310_818 Depth=1
	v_and_b32_e32 v10, 7, v30
	v_ffbh_u32_e32 v12, v10
	v_min_u32_e32 v23, 32, v12
	v_subrev_u32_e32 v12, 28, v23
	v_lshlrev_b64 v[12:13], v12, v[30:31]
	v_lshrrev_b32_e32 v16, 3, v11
	v_sub_u32_e32 v13, 29, v23
	v_cmp_gt_u32_e64 s[6:7], 8, v11
	v_and_b32_e32 v12, 7, v12
	v_cndmask_b32_e64 v11, v16, v13, s[6:7]
	v_cndmask_b32_e64 v10, v10, v12, s[6:7]
	v_lshlrev_b32_e32 v12, 8, v30
	v_lshl_add_u32 v11, v11, 10, v35
	v_and_or_b32 v11, v12, s34, v11
	v_lshl_or_b32 v10, v10, 7, v11
	v_cvt_f32_f16_e32 v10, v10
.LBB310_1303:                           ;   in Loop: Header=BB310_818 Depth=1
	s_or_b64 exec, exec, s[30:31]
.LBB310_1304:                           ;   in Loop: Header=BB310_818 Depth=1
	s_or_b64 exec, exec, s[28:29]
.LBB310_1305:                           ;   in Loop: Header=BB310_818 Depth=1
	s_or_b64 exec, exec, s[26:27]
	v_lshrrev_b32_e32 v30, 16, v49
	v_cmp_ne_u16_sdwa s[6:7], v30, v31 src0_sel:BYTE_0 src1_sel:DWORD
	v_mov_b32_e32 v11, 0
	v_mov_b32_e32 v12, 0
	s_and_saveexec_b64 s[26:27], s[6:7]
	s_cbranch_execz .LBB310_1311
; %bb.1306:                             ;   in Loop: Header=BB310_818 Depth=1
	v_cmp_ne_u16_sdwa s[6:7], v30, s9 src0_sel:BYTE_0 src1_sel:DWORD
	v_bfrev_b32_e32 v12, 1
	s_and_saveexec_b64 s[28:29], s[6:7]
	s_cbranch_execz .LBB310_1310
; %bb.1307:                             ;   in Loop: Header=BB310_818 Depth=1
	v_bfe_u32 v13, v49, 16, 7
	v_cmp_ne_u32_e64 s[6:7], s15, v13
	v_mov_b32_e32 v12, 0x7fc02000
	s_and_saveexec_b64 s[30:31], s[6:7]
	s_cbranch_execz .LBB310_1309
; %bb.1308:                             ;   in Loop: Header=BB310_818 Depth=1
	v_and_b32_e32 v12, 7, v30
	v_ffbh_u32_e32 v23, v12
	v_min_u32_e32 v23, 32, v23
	v_lshrrev_b32_e32 v16, 3, v13
	v_subrev_u32_e32 v27, 28, v23
	v_sub_u32_e32 v23, 29, v23
	v_cmp_gt_u32_e64 s[6:7], 8, v13
	v_lshlrev_b64 v[46:47], v27, v[30:31]
	v_cndmask_b32_e64 v13, v16, v23, s[6:7]
	v_and_b32_e32 v27, 7, v46
	v_lshlrev_b32_e32 v16, 8, v30
	v_lshl_add_u32 v13, v13, 10, v35
	v_cndmask_b32_e64 v12, v12, v27, s[6:7]
	v_and_or_b32 v13, v16, s34, v13
	v_lshl_or_b32 v12, v12, 7, v13
	v_cvt_f32_f16_e32 v12, v12
.LBB310_1309:                           ;   in Loop: Header=BB310_818 Depth=1
	s_or_b64 exec, exec, s[30:31]
.LBB310_1310:                           ;   in Loop: Header=BB310_818 Depth=1
	s_or_b64 exec, exec, s[28:29]
.LBB310_1311:                           ;   in Loop: Header=BB310_818 Depth=1
	s_or_b64 exec, exec, s[26:27]
	v_cmp_lt_u64_e64 s[6:7], s[16:17], v[48:49]
	s_and_saveexec_b64 s[26:27], s[6:7]
	s_cbranch_execz .LBB310_1317
; %bb.1312:                             ;   in Loop: Header=BB310_818 Depth=1
	v_lshrrev_b32_e32 v30, 24, v49
	v_cmp_ne_u32_e64 s[6:7], s9, v30
	v_bfrev_b32_e32 v11, 1
	s_and_saveexec_b64 s[28:29], s[6:7]
	s_cbranch_execz .LBB310_1316
; %bb.1313:                             ;   in Loop: Header=BB310_818 Depth=1
	v_and_b32_e32 v13, 0x7f, v30
	v_cmp_ne_u32_e64 s[6:7], s15, v13
	v_mov_b32_e32 v11, 0x7fc02000
	s_and_saveexec_b64 s[30:31], s[6:7]
	s_cbranch_execz .LBB310_1315
; %bb.1314:                             ;   in Loop: Header=BB310_818 Depth=1
	v_and_b32_e32 v11, 7, v30
	v_ffbh_u32_e32 v23, v11
	v_min_u32_e32 v23, 32, v23
	v_lshrrev_b32_e32 v16, 3, v13
	v_subrev_u32_e32 v27, 28, v23
	v_sub_u32_e32 v23, 29, v23
	v_cmp_gt_u32_e64 s[6:7], 8, v13
	v_lshlrev_b64 v[48:49], v27, v[30:31]
	v_cndmask_b32_e64 v13, v16, v23, s[6:7]
	v_and_b32_e32 v27, 7, v48
	v_lshlrev_b32_e32 v16, 8, v30
	v_lshl_add_u32 v13, v13, 10, v35
	v_cndmask_b32_e64 v11, v11, v27, s[6:7]
	v_and_or_b32 v13, v16, s34, v13
	v_lshl_or_b32 v11, v11, 7, v13
	v_cvt_f32_f16_e32 v11, v11
.LBB310_1315:                           ;   in Loop: Header=BB310_818 Depth=1
	s_or_b64 exec, exec, s[30:31]
.LBB310_1316:                           ;   in Loop: Header=BB310_818 Depth=1
	s_or_b64 exec, exec, s[28:29]
.LBB310_1317:                           ;   in Loop: Header=BB310_818 Depth=1
	s_or_b64 exec, exec, s[26:27]
	s_waitcnt vmcnt(0) lgkmcnt(0)
	v_pk_mul_f32 v[48:49], v[56:57], v[58:59] op_sel_hi:[0,1]
	v_pk_mul_f32 v[38:39], v[56:57], v[38:39] op_sel_hi:[0,1]
	v_cvt_f16_f32_e32 v13, v49
	v_cvt_f16_f32_e32 v16, v48
	;; [unrolled: 1-line block ×4, first 2 shown]
	v_fma_mixlo_f16 v10, v56, v10, 0
	v_lshlrev_b32_e32 v10, 16, v10
	v_fma_mixlo_f16 v6, v56, v6, 0
	v_or_b32_sdwa v6, v10, v6 dst_sel:DWORD dst_unused:UNUSED_PAD src0_sel:DWORD src1_sel:WORD_0
	v_fma_mixlo_f16 v10, v56, v11, 0
	v_pack_b32_f16 v16, v16, v13
	v_pack_b32_f16 v23, v27, v23
	v_fma_mixlo_f16 v12, v56, v12, 0
	v_lshlrev_b32_e32 v10, 16, v10
	v_perm_b32 v13, v23, v16, s36
	v_perm_b32 v16, v23, v16, s37
	v_or_b32_sdwa v10, v10, v12 dst_sel:DWORD dst_unused:UNUSED_PAD src0_sel:DWORD src1_sel:WORD_0
	s_and_saveexec_b64 s[26:27], vcc
	s_cbranch_execz .LBB310_1319
; %bb.1318:                             ;   in Loop: Header=BB310_818 Depth=1
	buffer_load_dword v38, off, s[0:3], s32 offset:204 ; 4-byte Folded Reload
	buffer_load_dword v39, off, s[0:3], s32 offset:208 ; 4-byte Folded Reload
	v_lshrrev_b32_e32 v11, 16, v16
	v_cmp_lt_i32_e64 s[6:7], v53, v7
	v_cndmask_b32_e64 v11, 0, v11, s[6:7]
	v_lshrrev_b32_e32 v10, 16, v10
	s_waitcnt vmcnt(1)
	v_mov_b32_e32 v30, v38
	v_cmp_lt_i32_e64 s[6:7], v4, v30
	v_cndmask_b32_e64 v16, 0, v16, s[6:7]
	v_perm_b32 v16, v11, v16, s38
	v_lshrrev_b32_e32 v11, 16, v13
	v_cmp_lt_i32_e64 s[6:7], v43, v7
	v_cndmask_b32_e64 v11, 0, v11, s[6:7]
	v_cmp_lt_i32_e64 s[6:7], v34, v30
	v_cndmask_b32_e64 v13, 0, v13, s[6:7]
	v_perm_b32 v13, v11, v13, s38
	v_lshrrev_b32_e32 v11, 16, v6
	v_cmp_lt_i32_e64 s[6:7], v40, v7
	v_cndmask_b32_e64 v11, 0, v11, s[6:7]
	v_cmp_lt_i32_e64 s[6:7], v28, v30
	v_cndmask_b32_e64 v6, 0, v6, s[6:7]
	;; [unrolled: 2-line block ×3, first 2 shown]
	v_cmp_lt_i32_e64 s[6:7], v18, v30
	v_perm_b32 v6, v11, v6, s38
	v_cndmask_b32_e64 v11, 0, v12, s[6:7]
	v_perm_b32 v10, v10, v11, s38
.LBB310_1319:                           ;   in Loop: Header=BB310_818 Depth=1
	s_or_b64 exec, exec, s[26:27]
	;;#ASMSTART
	v_pk_mul_f16 v11, v44, v16;

	;;#ASMEND
	;;#ASMSTART
	v_pk_mul_f16 v12, v42, v13;

	;;#ASMEND
	;;#ASMSTART
	v_pk_mul_f16 v6, v54, v6;

	;;#ASMEND
	;;#ASMSTART
	v_pk_mul_f16 v10, v50, v10;

	;;#ASMEND
	;;#ASMSTART
	v_pk_add_f16 v11, v11, v12;

	;;#ASMEND
	;;#ASMSTART
	v_pk_add_f16 v6, v11, v6;

	;;#ASMEND
	;; [unrolled: 4-line block ×3, first 2 shown]
	v_lshrrev_b32_e32 v10, 16, v6
	v_and_b32_e32 v6, 0xffff, v6
	;;#ASMSTART
	v_cvt_f32_f16 v11, v6;
	;;#ASMEND
	v_accvgpr_read_b32 v6, a36
	v_add_co_u32_e64 v12, s[6:7], v20, v6
	v_addc_co_u32_e64 v13, s[6:7], 0, v21, s[6:7]
	;;#ASMSTART
	v_cvt_f32_f16 v29, v10;
	;;#ASMEND
	flat_load_dwordx2 v[48:49], v[12:13]
	s_nop 0
	buffer_load_dword v12, off, s[0:3], s32 offset:196 ; 4-byte Folded Reload
	buffer_load_dword v13, off, s[0:3], s32 offset:200 ; 4-byte Folded Reload
	v_mov_b32_e32 v58, 0
	v_mov_b32_e32 v38, 0
	s_waitcnt vmcnt(0) lgkmcnt(0)
	v_cmp_ne_u16_sdwa s[6:7], v48, v31 src0_sel:BYTE_0 src1_sel:DWORD
	flat_load_dword v56, v[12:13]
	s_and_saveexec_b64 s[26:27], s[6:7]
	s_cbranch_execz .LBB310_1325
; %bb.1320:                             ;   in Loop: Header=BB310_818 Depth=1
	v_cmp_ne_u16_sdwa s[6:7], v48, s9 src0_sel:BYTE_0 src1_sel:DWORD
	v_bfrev_b32_e32 v38, 1
	s_and_saveexec_b64 s[28:29], s[6:7]
	s_cbranch_execz .LBB310_1324
; %bb.1321:                             ;   in Loop: Header=BB310_818 Depth=1
	v_and_b32_e32 v6, 0x7f, v48
	v_cmp_ne_u32_e64 s[6:7], s15, v6
	v_mov_b32_e32 v38, 0x7fc02000
	s_and_saveexec_b64 s[30:31], s[6:7]
	s_cbranch_execz .LBB310_1323
; %bb.1322:                             ;   in Loop: Header=BB310_818 Depth=1
	v_and_b32_e32 v10, 7, v48
	v_ffbh_u32_e32 v10, v10
	v_min_u32_e32 v10, 32, v10
	v_subrev_u32_e32 v12, 28, v10
	v_cmp_gt_u32_e64 s[6:7], 8, v6
	v_lshrrev_b32_e32 v16, 3, v6
	v_sub_u32_e32 v10, 29, v10
	v_cndmask_b32_e64 v6, 0, v12, s[6:7]
	v_lshlrev_b64 v[12:13], v6, v[48:49]
	v_cndmask_b32_e64 v6, v16, v10, s[6:7]
	v_lshlrev_b32_e32 v10, 7, v12
	v_lshlrev_b32_e32 v12, 8, v48
	v_lshl_add_u32 v6, v6, 10, v35
	v_and_or_b32 v6, v12, s34, v6
	v_and_or_b32 v6, v10, s35, v6
	v_cvt_f32_f16_e32 v38, v6
.LBB310_1323:                           ;   in Loop: Header=BB310_818 Depth=1
	s_or_b64 exec, exec, s[30:31]
.LBB310_1324:                           ;   in Loop: Header=BB310_818 Depth=1
	s_or_b64 exec, exec, s[28:29]
.LBB310_1325:                           ;   in Loop: Header=BB310_818 Depth=1
	s_or_b64 exec, exec, s[26:27]
	v_lshrrev_b16_e32 v30, 8, v48
	v_cmp_ne_u16_e64 s[6:7], 0, v30
	s_and_saveexec_b64 s[26:27], s[6:7]
	s_cbranch_execz .LBB310_1331
; %bb.1326:                             ;   in Loop: Header=BB310_818 Depth=1
	v_cmp_ne_u16_e64 s[6:7], s9, v30
	v_bfrev_b32_e32 v58, 1
	s_and_saveexec_b64 s[28:29], s[6:7]
	s_cbranch_execz .LBB310_1330
; %bb.1327:                             ;   in Loop: Header=BB310_818 Depth=1
	v_and_b32_e32 v6, 0x7f, v30
	v_cmp_ne_u32_e64 s[6:7], s15, v6
	v_mov_b32_e32 v58, 0x7fc02000
	s_and_saveexec_b64 s[30:31], s[6:7]
	s_cbranch_execz .LBB310_1329
; %bb.1328:                             ;   in Loop: Header=BB310_818 Depth=1
	v_and_b32_e32 v10, 7, v30
	v_ffbh_u32_e32 v12, v10
	v_min_u32_e32 v23, 32, v12
	v_subrev_u32_e32 v12, 28, v23
	v_lshlrev_b64 v[12:13], v12, v[30:31]
	v_lshrrev_b32_e32 v16, 3, v6
	v_sub_u32_e32 v13, 29, v23
	v_cmp_gt_u32_e64 s[6:7], 8, v6
	v_and_b32_e32 v12, 7, v12
	v_cndmask_b32_e64 v6, v16, v13, s[6:7]
	v_cndmask_b32_e64 v10, v10, v12, s[6:7]
	v_lshlrev_b32_e32 v12, 8, v30
	v_lshl_add_u32 v6, v6, 10, v35
	v_and_or_b32 v6, v12, s34, v6
	v_lshl_or_b32 v6, v10, 7, v6
	v_cvt_f32_f16_e32 v58, v6
.LBB310_1329:                           ;   in Loop: Header=BB310_818 Depth=1
	s_or_b64 exec, exec, s[30:31]
.LBB310_1330:                           ;   in Loop: Header=BB310_818 Depth=1
	s_or_b64 exec, exec, s[28:29]
.LBB310_1331:                           ;   in Loop: Header=BB310_818 Depth=1
	s_or_b64 exec, exec, s[26:27]
	v_lshrrev_b32_e32 v30, 16, v48
	v_cmp_ne_u16_sdwa s[6:7], v30, v31 src0_sel:BYTE_0 src1_sel:DWORD
	v_mov_b32_e32 v59, 0
	v_mov_b32_e32 v39, 0
	s_and_saveexec_b64 s[26:27], s[6:7]
	s_cbranch_execz .LBB310_1337
; %bb.1332:                             ;   in Loop: Header=BB310_818 Depth=1
	v_cmp_ne_u16_sdwa s[6:7], v30, s9 src0_sel:BYTE_0 src1_sel:DWORD
	v_bfrev_b32_e32 v39, 1
	s_and_saveexec_b64 s[28:29], s[6:7]
	s_cbranch_execz .LBB310_1336
; %bb.1333:                             ;   in Loop: Header=BB310_818 Depth=1
	v_bfe_u32 v6, v48, 16, 7
	v_cmp_ne_u32_e64 s[6:7], s15, v6
	v_mov_b32_e32 v39, 0x7fc02000
	s_and_saveexec_b64 s[30:31], s[6:7]
	s_cbranch_execz .LBB310_1335
; %bb.1334:                             ;   in Loop: Header=BB310_818 Depth=1
	v_and_b32_e32 v10, 7, v30
	v_ffbh_u32_e32 v12, v10
	v_min_u32_e32 v23, 32, v12
	v_subrev_u32_e32 v12, 28, v23
	v_lshlrev_b64 v[12:13], v12, v[30:31]
	v_lshrrev_b32_e32 v16, 3, v6
	v_sub_u32_e32 v13, 29, v23
	v_cmp_gt_u32_e64 s[6:7], 8, v6
	v_and_b32_e32 v12, 7, v12
	v_cndmask_b32_e64 v6, v16, v13, s[6:7]
	v_cndmask_b32_e64 v10, v10, v12, s[6:7]
	v_lshlrev_b32_e32 v12, 8, v30
	v_lshl_add_u32 v6, v6, 10, v35
	v_and_or_b32 v6, v12, s34, v6
	v_lshl_or_b32 v6, v10, 7, v6
	v_cvt_f32_f16_e32 v39, v6
.LBB310_1335:                           ;   in Loop: Header=BB310_818 Depth=1
	s_or_b64 exec, exec, s[30:31]
.LBB310_1336:                           ;   in Loop: Header=BB310_818 Depth=1
	s_or_b64 exec, exec, s[28:29]
.LBB310_1337:                           ;   in Loop: Header=BB310_818 Depth=1
	s_or_b64 exec, exec, s[26:27]
	v_cmp_lt_u32_e64 s[6:7], s17, v48
	s_and_saveexec_b64 s[26:27], s[6:7]
	s_cbranch_execz .LBB310_1343
; %bb.1338:                             ;   in Loop: Header=BB310_818 Depth=1
	v_lshrrev_b32_e32 v30, 24, v48
	v_cmp_ne_u32_e64 s[6:7], s9, v30
	v_bfrev_b32_e32 v59, 1
	s_and_saveexec_b64 s[28:29], s[6:7]
	s_cbranch_execz .LBB310_1342
; %bb.1339:                             ;   in Loop: Header=BB310_818 Depth=1
	v_and_b32_e32 v6, 0x7f, v30
	v_cmp_ne_u32_e64 s[6:7], s15, v6
	v_mov_b32_e32 v59, 0x7fc02000
	s_and_saveexec_b64 s[30:31], s[6:7]
	s_cbranch_execz .LBB310_1341
; %bb.1340:                             ;   in Loop: Header=BB310_818 Depth=1
	v_and_b32_e32 v10, 7, v30
	v_ffbh_u32_e32 v12, v10
	v_min_u32_e32 v23, 32, v12
	v_subrev_u32_e32 v12, 28, v23
	v_lshlrev_b64 v[12:13], v12, v[30:31]
	v_lshrrev_b32_e32 v16, 3, v6
	v_sub_u32_e32 v13, 29, v23
	v_cmp_gt_u32_e64 s[6:7], 8, v6
	v_and_b32_e32 v12, 7, v12
	v_cndmask_b32_e64 v6, v16, v13, s[6:7]
	v_cndmask_b32_e64 v10, v10, v12, s[6:7]
	v_lshlrev_b32_e32 v12, 8, v30
	v_lshl_add_u32 v6, v6, 10, v35
	v_and_or_b32 v6, v12, s34, v6
	v_lshl_or_b32 v6, v10, 7, v6
	v_cvt_f32_f16_e32 v59, v6
.LBB310_1341:                           ;   in Loop: Header=BB310_818 Depth=1
	s_or_b64 exec, exec, s[30:31]
.LBB310_1342:                           ;   in Loop: Header=BB310_818 Depth=1
	s_or_b64 exec, exec, s[28:29]
.LBB310_1343:                           ;   in Loop: Header=BB310_818 Depth=1
	s_or_b64 exec, exec, s[26:27]
	v_mov_b32_e32 v30, v49
	v_cmp_ne_u16_sdwa s[6:7], v49, v31 src0_sel:BYTE_0 src1_sel:DWORD
	v_mov_b32_e32 v10, 0
	v_mov_b32_e32 v6, 0
	s_and_saveexec_b64 s[26:27], s[6:7]
	s_cbranch_execz .LBB310_1349
; %bb.1344:                             ;   in Loop: Header=BB310_818 Depth=1
	v_cmp_ne_u16_sdwa s[6:7], v49, s9 src0_sel:BYTE_0 src1_sel:DWORD
	v_bfrev_b32_e32 v6, 1
	s_and_saveexec_b64 s[28:29], s[6:7]
	s_cbranch_execz .LBB310_1348
; %bb.1345:                             ;   in Loop: Header=BB310_818 Depth=1
	v_and_b32_e32 v12, 0x7f, v49
	v_cmp_ne_u32_e64 s[6:7], s15, v12
	v_mov_b32_e32 v6, 0x7fc02000
	s_and_saveexec_b64 s[30:31], s[6:7]
	s_cbranch_execz .LBB310_1347
; %bb.1346:                             ;   in Loop: Header=BB310_818 Depth=1
	v_and_b32_e32 v6, 7, v49
	v_ffbh_u32_e32 v6, v6
	v_min_u32_e32 v6, 32, v6
	v_subrev_u32_e32 v13, 28, v6
	v_cmp_gt_u32_e64 s[6:7], 8, v12
	v_lshrrev_b32_e32 v16, 3, v12
	v_sub_u32_e32 v6, 29, v6
	v_cndmask_b32_e64 v12, 0, v13, s[6:7]
	v_lshlrev_b64 v[12:13], v12, v[30:31]
	v_cndmask_b32_e64 v6, v16, v6, s[6:7]
	v_lshlrev_b32_e32 v13, 8, v49
	v_lshl_add_u32 v6, v6, 10, v35
	v_lshlrev_b32_e32 v12, 7, v12
	v_and_or_b32 v6, v13, s34, v6
	v_and_or_b32 v6, v12, s35, v6
	v_cvt_f32_f16_e32 v6, v6
.LBB310_1347:                           ;   in Loop: Header=BB310_818 Depth=1
	s_or_b64 exec, exec, s[30:31]
.LBB310_1348:                           ;   in Loop: Header=BB310_818 Depth=1
	s_or_b64 exec, exec, s[28:29]
.LBB310_1349:                           ;   in Loop: Header=BB310_818 Depth=1
	s_or_b64 exec, exec, s[26:27]
	v_lshrrev_b16_e32 v30, 8, v30
	v_cmp_ne_u16_e64 s[6:7], 0, v30
	s_and_saveexec_b64 s[26:27], s[6:7]
	s_cbranch_execz .LBB310_1355
; %bb.1350:                             ;   in Loop: Header=BB310_818 Depth=1
	v_cmp_ne_u16_e64 s[6:7], s9, v30
	v_bfrev_b32_e32 v10, 1
	s_and_saveexec_b64 s[28:29], s[6:7]
	s_cbranch_execz .LBB310_1354
; %bb.1351:                             ;   in Loop: Header=BB310_818 Depth=1
	v_and_b32_e32 v12, 0x7f, v30
	v_cmp_ne_u32_e64 s[6:7], s15, v12
	v_mov_b32_e32 v10, 0x7fc02000
	s_and_saveexec_b64 s[30:31], s[6:7]
	s_cbranch_execz .LBB310_1353
; %bb.1352:                             ;   in Loop: Header=BB310_818 Depth=1
	v_and_b32_e32 v10, 7, v30
	v_ffbh_u32_e32 v16, v10
	v_min_u32_e32 v16, 32, v16
	v_lshrrev_b32_e32 v13, 3, v12
	v_subrev_u32_e32 v23, 28, v16
	v_sub_u32_e32 v16, 29, v16
	v_cmp_gt_u32_e64 s[6:7], 8, v12
	v_lshlrev_b64 v[46:47], v23, v[30:31]
	v_cndmask_b32_e64 v12, v13, v16, s[6:7]
	v_and_b32_e32 v23, 7, v46
	v_lshlrev_b32_e32 v13, 8, v30
	v_lshl_add_u32 v12, v12, 10, v35
	v_cndmask_b32_e64 v10, v10, v23, s[6:7]
	v_and_or_b32 v12, v13, s34, v12
	v_lshl_or_b32 v10, v10, 7, v12
	v_cvt_f32_f16_e32 v10, v10
.LBB310_1353:                           ;   in Loop: Header=BB310_818 Depth=1
	s_or_b64 exec, exec, s[30:31]
.LBB310_1354:                           ;   in Loop: Header=BB310_818 Depth=1
	s_or_b64 exec, exec, s[28:29]
.LBB310_1355:                           ;   in Loop: Header=BB310_818 Depth=1
	s_or_b64 exec, exec, s[26:27]
	v_lshrrev_b32_e32 v30, 16, v49
	v_cmp_ne_u16_sdwa s[6:7], v30, v31 src0_sel:BYTE_0 src1_sel:DWORD
	v_mov_b32_e32 v12, 0
	v_mov_b32_e32 v13, 0
	s_and_saveexec_b64 s[26:27], s[6:7]
	s_cbranch_execz .LBB310_1361
; %bb.1356:                             ;   in Loop: Header=BB310_818 Depth=1
	v_cmp_ne_u16_sdwa s[6:7], v30, s9 src0_sel:BYTE_0 src1_sel:DWORD
	v_bfrev_b32_e32 v13, 1
	s_and_saveexec_b64 s[28:29], s[6:7]
	s_cbranch_execz .LBB310_1360
; %bb.1357:                             ;   in Loop: Header=BB310_818 Depth=1
	v_bfe_u32 v16, v49, 16, 7
	v_cmp_ne_u32_e64 s[6:7], s15, v16
	v_mov_b32_e32 v13, 0x7fc02000
	s_and_saveexec_b64 s[30:31], s[6:7]
	s_cbranch_execz .LBB310_1359
; %bb.1358:                             ;   in Loop: Header=BB310_818 Depth=1
	v_and_b32_e32 v13, 7, v30
	v_ffbh_u32_e32 v27, v13
	v_min_u32_e32 v27, 32, v27
	v_lshrrev_b32_e32 v23, 3, v16
	v_subrev_u32_e32 v52, 28, v27
	v_sub_u32_e32 v27, 29, v27
	v_cmp_gt_u32_e64 s[6:7], 8, v16
	v_lshlrev_b64 v[46:47], v52, v[30:31]
	v_cndmask_b32_e64 v16, v23, v27, s[6:7]
	v_and_b32_e32 v52, 7, v46
	v_lshlrev_b32_e32 v23, 8, v30
	v_lshl_add_u32 v16, v16, 10, v35
	v_cndmask_b32_e64 v13, v13, v52, s[6:7]
	v_and_or_b32 v16, v23, s34, v16
	v_lshl_or_b32 v13, v13, 7, v16
	v_cvt_f32_f16_e32 v13, v13
.LBB310_1359:                           ;   in Loop: Header=BB310_818 Depth=1
	s_or_b64 exec, exec, s[30:31]
.LBB310_1360:                           ;   in Loop: Header=BB310_818 Depth=1
	s_or_b64 exec, exec, s[28:29]
.LBB310_1361:                           ;   in Loop: Header=BB310_818 Depth=1
	s_or_b64 exec, exec, s[26:27]
	v_cmp_lt_u64_e64 s[6:7], s[16:17], v[48:49]
	s_and_saveexec_b64 s[26:27], s[6:7]
	s_cbranch_execz .LBB310_1367
; %bb.1362:                             ;   in Loop: Header=BB310_818 Depth=1
	v_lshrrev_b32_e32 v30, 24, v49
	v_cmp_ne_u32_e64 s[6:7], s9, v30
	v_bfrev_b32_e32 v12, 1
	s_and_saveexec_b64 s[28:29], s[6:7]
	s_cbranch_execz .LBB310_1366
; %bb.1363:                             ;   in Loop: Header=BB310_818 Depth=1
	v_and_b32_e32 v16, 0x7f, v30
	v_cmp_ne_u32_e64 s[6:7], s15, v16
	v_mov_b32_e32 v12, 0x7fc02000
	s_and_saveexec_b64 s[30:31], s[6:7]
	s_cbranch_execz .LBB310_1365
; %bb.1364:                             ;   in Loop: Header=BB310_818 Depth=1
	v_and_b32_e32 v12, 7, v30
	v_ffbh_u32_e32 v27, v12
	v_min_u32_e32 v27, 32, v27
	v_lshrrev_b32_e32 v23, 3, v16
	v_subrev_u32_e32 v48, 28, v27
	v_sub_u32_e32 v27, 29, v27
	v_cmp_gt_u32_e64 s[6:7], 8, v16
	v_lshlrev_b64 v[48:49], v48, v[30:31]
	v_cndmask_b32_e64 v16, v23, v27, s[6:7]
	v_and_b32_e32 v48, 7, v48
	v_lshlrev_b32_e32 v23, 8, v30
	v_lshl_add_u32 v16, v16, 10, v35
	v_cndmask_b32_e64 v12, v12, v48, s[6:7]
	v_and_or_b32 v16, v23, s34, v16
	v_lshl_or_b32 v12, v12, 7, v16
	v_cvt_f32_f16_e32 v12, v12
.LBB310_1365:                           ;   in Loop: Header=BB310_818 Depth=1
	s_or_b64 exec, exec, s[30:31]
.LBB310_1366:                           ;   in Loop: Header=BB310_818 Depth=1
	s_or_b64 exec, exec, s[28:29]
.LBB310_1367:                           ;   in Loop: Header=BB310_818 Depth=1
	s_or_b64 exec, exec, s[26:27]
	s_waitcnt vmcnt(0) lgkmcnt(0)
	v_pk_mul_f32 v[48:49], v[56:57], v[58:59] op_sel_hi:[0,1]
	v_pk_mul_f32 v[38:39], v[56:57], v[38:39] op_sel_hi:[0,1]
	v_cvt_f16_f32_e32 v16, v49
	v_cvt_f16_f32_e32 v23, v48
	;; [unrolled: 1-line block ×4, first 2 shown]
	v_fma_mixlo_f16 v10, v56, v10, 0
	v_lshlrev_b32_e32 v10, 16, v10
	v_fma_mixlo_f16 v6, v56, v6, 0
	v_or_b32_sdwa v6, v10, v6 dst_sel:DWORD dst_unused:UNUSED_PAD src0_sel:DWORD src1_sel:WORD_0
	v_fma_mixlo_f16 v10, v56, v12, 0
	v_pack_b32_f16 v23, v23, v16
	v_pack_b32_f16 v27, v30, v27
	v_fma_mixlo_f16 v13, v56, v13, 0
	v_lshlrev_b32_e32 v10, 16, v10
	v_perm_b32 v16, v27, v23, s36
	v_perm_b32 v23, v27, v23, s37
	v_or_b32_sdwa v10, v10, v13 dst_sel:DWORD dst_unused:UNUSED_PAD src0_sel:DWORD src1_sel:WORD_0
	s_and_saveexec_b64 s[26:27], vcc
	s_cbranch_execz .LBB310_1369
; %bb.1368:                             ;   in Loop: Header=BB310_818 Depth=1
	buffer_load_dword v38, off, s[0:3], s32 offset:204 ; 4-byte Folded Reload
	buffer_load_dword v39, off, s[0:3], s32 offset:208 ; 4-byte Folded Reload
	v_lshrrev_b32_e32 v12, 16, v23
	v_cmp_lt_i32_e64 s[6:7], v53, v7
	v_cndmask_b32_e64 v12, 0, v12, s[6:7]
	v_lshrrev_b32_e32 v10, 16, v10
	s_waitcnt vmcnt(1)
	v_mov_b32_e32 v30, v38
	v_cmp_lt_i32_e64 s[6:7], v4, v30
	v_cndmask_b32_e64 v23, 0, v23, s[6:7]
	v_perm_b32 v23, v12, v23, s38
	v_lshrrev_b32_e32 v12, 16, v16
	v_cmp_lt_i32_e64 s[6:7], v43, v7
	v_cndmask_b32_e64 v12, 0, v12, s[6:7]
	v_cmp_lt_i32_e64 s[6:7], v34, v30
	v_cndmask_b32_e64 v16, 0, v16, s[6:7]
	v_perm_b32 v16, v12, v16, s38
	v_lshrrev_b32_e32 v12, 16, v6
	v_cmp_lt_i32_e64 s[6:7], v40, v7
	v_cndmask_b32_e64 v12, 0, v12, s[6:7]
	v_cmp_lt_i32_e64 s[6:7], v28, v30
	v_cndmask_b32_e64 v6, 0, v6, s[6:7]
	;; [unrolled: 2-line block ×3, first 2 shown]
	v_cmp_lt_i32_e64 s[6:7], v18, v30
	v_perm_b32 v6, v12, v6, s38
	v_cndmask_b32_e64 v12, 0, v13, s[6:7]
	v_perm_b32 v10, v10, v12, s38
.LBB310_1369:                           ;   in Loop: Header=BB310_818 Depth=1
	s_or_b64 exec, exec, s[26:27]
	;;#ASMSTART
	v_pk_mul_f16 v12, v44, v23;

	;;#ASMEND
	;;#ASMSTART
	v_pk_mul_f16 v13, v42, v16;

	;;#ASMEND
	;; [unrolled: 4-line block ×4, first 2 shown]
	;;#ASMSTART
	v_pk_add_f16 v12, v12, v13;

	;;#ASMEND
	;;#ASMSTART
	v_pk_add_f16 v6, v12, v6;

	;;#ASMEND
	;;#ASMSTART
	v_pk_add_f16 v6, v6, v10;

	;;#ASMEND
	v_lshrrev_b32_e32 v10, 16, v6
	v_and_b32_e32 v6, 0xffff, v6
	;;#ASMSTART
	v_cvt_f32_f16 v6, v6;
	;;#ASMEND
	;;#ASMSTART
	v_cvt_f32_f16 v55, v10;
	;;#ASMEND
	v_accvgpr_read_b32 v10, a38
	v_add_co_u32_e64 v12, s[6:7], v20, v10
	v_addc_co_u32_e64 v13, s[6:7], 0, v21, s[6:7]
	flat_load_dwordx2 v[48:49], v[12:13]
	s_nop 0
	buffer_load_dword v12, off, s[0:3], s32 offset:196 ; 4-byte Folded Reload
	buffer_load_dword v13, off, s[0:3], s32 offset:200 ; 4-byte Folded Reload
	v_mov_b32_e32 v58, 0
	v_mov_b32_e32 v38, 0
	s_waitcnt vmcnt(0) lgkmcnt(0)
	v_cmp_ne_u16_sdwa s[6:7], v48, v31 src0_sel:BYTE_0 src1_sel:DWORD
	flat_load_dword v56, v[12:13]
	s_and_saveexec_b64 s[26:27], s[6:7]
	s_cbranch_execz .LBB310_1375
; %bb.1370:                             ;   in Loop: Header=BB310_818 Depth=1
	v_cmp_ne_u16_sdwa s[6:7], v48, s9 src0_sel:BYTE_0 src1_sel:DWORD
	v_bfrev_b32_e32 v38, 1
	s_and_saveexec_b64 s[28:29], s[6:7]
	s_cbranch_execz .LBB310_1374
; %bb.1371:                             ;   in Loop: Header=BB310_818 Depth=1
	v_and_b32_e32 v10, 0x7f, v48
	v_cmp_ne_u32_e64 s[6:7], s15, v10
	v_mov_b32_e32 v38, 0x7fc02000
	s_and_saveexec_b64 s[30:31], s[6:7]
	s_cbranch_execz .LBB310_1373
; %bb.1372:                             ;   in Loop: Header=BB310_818 Depth=1
	v_and_b32_e32 v12, 7, v48
	v_ffbh_u32_e32 v12, v12
	v_min_u32_e32 v12, 32, v12
	v_subrev_u32_e32 v13, 28, v12
	v_cmp_gt_u32_e64 s[6:7], 8, v10
	v_lshrrev_b32_e32 v16, 3, v10
	v_sub_u32_e32 v23, 29, v12
	v_cndmask_b32_e64 v10, 0, v13, s[6:7]
	v_lshlrev_b64 v[12:13], v10, v[48:49]
	v_cndmask_b32_e64 v10, v16, v23, s[6:7]
	v_lshlrev_b32_e32 v13, 8, v48
	v_lshl_add_u32 v10, v10, 10, v35
	v_lshlrev_b32_e32 v12, 7, v12
	v_and_or_b32 v10, v13, s34, v10
	v_and_or_b32 v10, v12, s35, v10
	v_cvt_f32_f16_e32 v38, v10
.LBB310_1373:                           ;   in Loop: Header=BB310_818 Depth=1
	s_or_b64 exec, exec, s[30:31]
.LBB310_1374:                           ;   in Loop: Header=BB310_818 Depth=1
	s_or_b64 exec, exec, s[28:29]
.LBB310_1375:                           ;   in Loop: Header=BB310_818 Depth=1
	s_or_b64 exec, exec, s[26:27]
	v_lshrrev_b16_e32 v30, 8, v48
	v_cmp_ne_u16_e64 s[6:7], 0, v30
	s_and_saveexec_b64 s[26:27], s[6:7]
	s_cbranch_execz .LBB310_1381
; %bb.1376:                             ;   in Loop: Header=BB310_818 Depth=1
	v_cmp_ne_u16_e64 s[6:7], s9, v30
	v_bfrev_b32_e32 v58, 1
	s_and_saveexec_b64 s[28:29], s[6:7]
	s_cbranch_execz .LBB310_1380
; %bb.1377:                             ;   in Loop: Header=BB310_818 Depth=1
	v_and_b32_e32 v10, 0x7f, v30
	v_cmp_ne_u32_e64 s[6:7], s15, v10
	v_mov_b32_e32 v58, 0x7fc02000
	s_and_saveexec_b64 s[30:31], s[6:7]
	s_cbranch_execz .LBB310_1379
; %bb.1378:                             ;   in Loop: Header=BB310_818 Depth=1
	v_and_b32_e32 v16, 7, v30
	v_ffbh_u32_e32 v12, v16
	v_min_u32_e32 v27, 32, v12
	v_subrev_u32_e32 v12, 28, v27
	v_lshlrev_b64 v[12:13], v12, v[30:31]
	v_lshrrev_b32_e32 v23, 3, v10
	v_sub_u32_e32 v13, 29, v27
	v_cmp_gt_u32_e64 s[6:7], 8, v10
	v_cndmask_b32_e64 v10, v23, v13, s[6:7]
	v_and_b32_e32 v12, 7, v12
	v_lshlrev_b32_e32 v13, 8, v30
	v_lshl_add_u32 v10, v10, 10, v35
	v_cndmask_b32_e64 v12, v16, v12, s[6:7]
	v_and_or_b32 v10, v13, s34, v10
	v_lshl_or_b32 v10, v12, 7, v10
	v_cvt_f32_f16_e32 v58, v10
.LBB310_1379:                           ;   in Loop: Header=BB310_818 Depth=1
	s_or_b64 exec, exec, s[30:31]
.LBB310_1380:                           ;   in Loop: Header=BB310_818 Depth=1
	s_or_b64 exec, exec, s[28:29]
.LBB310_1381:                           ;   in Loop: Header=BB310_818 Depth=1
	s_or_b64 exec, exec, s[26:27]
	v_lshrrev_b32_e32 v30, 16, v48
	v_cmp_ne_u16_sdwa s[6:7], v30, v31 src0_sel:BYTE_0 src1_sel:DWORD
	v_mov_b32_e32 v59, 0
	v_mov_b32_e32 v39, 0
	s_and_saveexec_b64 s[26:27], s[6:7]
	s_cbranch_execz .LBB310_1387
; %bb.1382:                             ;   in Loop: Header=BB310_818 Depth=1
	v_cmp_ne_u16_sdwa s[6:7], v30, s9 src0_sel:BYTE_0 src1_sel:DWORD
	v_bfrev_b32_e32 v39, 1
	s_and_saveexec_b64 s[28:29], s[6:7]
	s_cbranch_execz .LBB310_1386
; %bb.1383:                             ;   in Loop: Header=BB310_818 Depth=1
	v_bfe_u32 v10, v48, 16, 7
	v_cmp_ne_u32_e64 s[6:7], s15, v10
	v_mov_b32_e32 v39, 0x7fc02000
	s_and_saveexec_b64 s[30:31], s[6:7]
	s_cbranch_execz .LBB310_1385
; %bb.1384:                             ;   in Loop: Header=BB310_818 Depth=1
	v_and_b32_e32 v16, 7, v30
	v_ffbh_u32_e32 v12, v16
	v_min_u32_e32 v27, 32, v12
	v_subrev_u32_e32 v12, 28, v27
	v_lshlrev_b64 v[12:13], v12, v[30:31]
	v_lshrrev_b32_e32 v23, 3, v10
	v_sub_u32_e32 v13, 29, v27
	v_cmp_gt_u32_e64 s[6:7], 8, v10
	v_cndmask_b32_e64 v10, v23, v13, s[6:7]
	v_and_b32_e32 v12, 7, v12
	v_lshlrev_b32_e32 v13, 8, v30
	v_lshl_add_u32 v10, v10, 10, v35
	v_cndmask_b32_e64 v12, v16, v12, s[6:7]
	v_and_or_b32 v10, v13, s34, v10
	v_lshl_or_b32 v10, v12, 7, v10
	v_cvt_f32_f16_e32 v39, v10
.LBB310_1385:                           ;   in Loop: Header=BB310_818 Depth=1
	s_or_b64 exec, exec, s[30:31]
.LBB310_1386:                           ;   in Loop: Header=BB310_818 Depth=1
	s_or_b64 exec, exec, s[28:29]
.LBB310_1387:                           ;   in Loop: Header=BB310_818 Depth=1
	s_or_b64 exec, exec, s[26:27]
	v_cmp_lt_u32_e64 s[6:7], s17, v48
	s_and_saveexec_b64 s[26:27], s[6:7]
	s_cbranch_execz .LBB310_1393
; %bb.1388:                             ;   in Loop: Header=BB310_818 Depth=1
	v_lshrrev_b32_e32 v30, 24, v48
	v_cmp_ne_u32_e64 s[6:7], s9, v30
	v_bfrev_b32_e32 v59, 1
	s_and_saveexec_b64 s[28:29], s[6:7]
	s_cbranch_execz .LBB310_1392
; %bb.1389:                             ;   in Loop: Header=BB310_818 Depth=1
	v_and_b32_e32 v10, 0x7f, v30
	v_cmp_ne_u32_e64 s[6:7], s15, v10
	v_mov_b32_e32 v59, 0x7fc02000
	s_and_saveexec_b64 s[30:31], s[6:7]
	s_cbranch_execz .LBB310_1391
; %bb.1390:                             ;   in Loop: Header=BB310_818 Depth=1
	v_and_b32_e32 v16, 7, v30
	v_ffbh_u32_e32 v12, v16
	v_min_u32_e32 v27, 32, v12
	v_subrev_u32_e32 v12, 28, v27
	v_lshlrev_b64 v[12:13], v12, v[30:31]
	v_lshrrev_b32_e32 v23, 3, v10
	v_sub_u32_e32 v13, 29, v27
	v_cmp_gt_u32_e64 s[6:7], 8, v10
	v_cndmask_b32_e64 v10, v23, v13, s[6:7]
	v_and_b32_e32 v12, 7, v12
	v_lshlrev_b32_e32 v13, 8, v30
	v_lshl_add_u32 v10, v10, 10, v35
	v_cndmask_b32_e64 v12, v16, v12, s[6:7]
	v_and_or_b32 v10, v13, s34, v10
	v_lshl_or_b32 v10, v12, 7, v10
	v_cvt_f32_f16_e32 v59, v10
.LBB310_1391:                           ;   in Loop: Header=BB310_818 Depth=1
	s_or_b64 exec, exec, s[30:31]
.LBB310_1392:                           ;   in Loop: Header=BB310_818 Depth=1
	s_or_b64 exec, exec, s[28:29]
.LBB310_1393:                           ;   in Loop: Header=BB310_818 Depth=1
	s_or_b64 exec, exec, s[26:27]
	v_mov_b32_e32 v30, v49
	v_cmp_ne_u16_sdwa s[6:7], v49, v31 src0_sel:BYTE_0 src1_sel:DWORD
	v_mov_b32_e32 v12, 0
	v_mov_b32_e32 v10, 0
	s_and_saveexec_b64 s[26:27], s[6:7]
	s_cbranch_execz .LBB310_1399
; %bb.1394:                             ;   in Loop: Header=BB310_818 Depth=1
	v_cmp_ne_u16_sdwa s[6:7], v49, s9 src0_sel:BYTE_0 src1_sel:DWORD
	v_bfrev_b32_e32 v10, 1
	s_and_saveexec_b64 s[28:29], s[6:7]
	s_cbranch_execz .LBB310_1398
; %bb.1395:                             ;   in Loop: Header=BB310_818 Depth=1
	v_and_b32_e32 v13, 0x7f, v49
	v_cmp_ne_u32_e64 s[6:7], s15, v13
	v_mov_b32_e32 v10, 0x7fc02000
	s_and_saveexec_b64 s[30:31], s[6:7]
	s_cbranch_execz .LBB310_1397
; %bb.1396:                             ;   in Loop: Header=BB310_818 Depth=1
	v_and_b32_e32 v10, 7, v49
	v_ffbh_u32_e32 v10, v10
	v_min_u32_e32 v10, 32, v10
	v_lshrrev_b32_e32 v16, 3, v13
	v_subrev_u32_e32 v23, 28, v10
	v_sub_u32_e32 v10, 29, v10
	v_cmp_gt_u32_e64 s[6:7], 8, v13
	v_cndmask_b32_e64 v13, 0, v23, s[6:7]
	v_cndmask_b32_e64 v10, v16, v10, s[6:7]
	v_lshlrev_b64 v[46:47], v13, v[30:31]
	v_lshlrev_b32_e32 v16, 8, v49
	v_lshl_add_u32 v10, v10, 10, v35
	v_lshlrev_b32_e32 v13, 7, v46
	v_and_or_b32 v10, v16, s34, v10
	v_and_or_b32 v10, v13, s35, v10
	v_cvt_f32_f16_e32 v10, v10
.LBB310_1397:                           ;   in Loop: Header=BB310_818 Depth=1
	s_or_b64 exec, exec, s[30:31]
.LBB310_1398:                           ;   in Loop: Header=BB310_818 Depth=1
	s_or_b64 exec, exec, s[28:29]
.LBB310_1399:                           ;   in Loop: Header=BB310_818 Depth=1
	s_or_b64 exec, exec, s[26:27]
	v_lshrrev_b16_e32 v30, 8, v30
	v_cmp_ne_u16_e64 s[6:7], 0, v30
	s_and_saveexec_b64 s[26:27], s[6:7]
	s_cbranch_execz .LBB310_1405
; %bb.1400:                             ;   in Loop: Header=BB310_818 Depth=1
	v_cmp_ne_u16_e64 s[6:7], s9, v30
	v_bfrev_b32_e32 v12, 1
	s_and_saveexec_b64 s[28:29], s[6:7]
	s_cbranch_execz .LBB310_1404
; %bb.1401:                             ;   in Loop: Header=BB310_818 Depth=1
	v_and_b32_e32 v13, 0x7f, v30
	v_cmp_ne_u32_e64 s[6:7], s15, v13
	v_mov_b32_e32 v12, 0x7fc02000
	s_and_saveexec_b64 s[30:31], s[6:7]
	s_cbranch_execz .LBB310_1403
; %bb.1402:                             ;   in Loop: Header=BB310_818 Depth=1
	v_and_b32_e32 v12, 7, v30
	v_ffbh_u32_e32 v23, v12
	v_min_u32_e32 v23, 32, v23
	v_lshrrev_b32_e32 v16, 3, v13
	v_subrev_u32_e32 v27, 28, v23
	v_sub_u32_e32 v23, 29, v23
	v_cmp_gt_u32_e64 s[6:7], 8, v13
	v_lshlrev_b64 v[46:47], v27, v[30:31]
	v_cndmask_b32_e64 v13, v16, v23, s[6:7]
	v_and_b32_e32 v27, 7, v46
	v_lshlrev_b32_e32 v16, 8, v30
	v_lshl_add_u32 v13, v13, 10, v35
	v_cndmask_b32_e64 v12, v12, v27, s[6:7]
	v_and_or_b32 v13, v16, s34, v13
	v_lshl_or_b32 v12, v12, 7, v13
	v_cvt_f32_f16_e32 v12, v12
.LBB310_1403:                           ;   in Loop: Header=BB310_818 Depth=1
	s_or_b64 exec, exec, s[30:31]
.LBB310_1404:                           ;   in Loop: Header=BB310_818 Depth=1
	s_or_b64 exec, exec, s[28:29]
.LBB310_1405:                           ;   in Loop: Header=BB310_818 Depth=1
	s_or_b64 exec, exec, s[26:27]
	v_lshrrev_b32_e32 v30, 16, v49
	v_cmp_ne_u16_sdwa s[6:7], v30, v31 src0_sel:BYTE_0 src1_sel:DWORD
	v_mov_b32_e32 v13, 0
	v_mov_b32_e32 v16, 0
	s_and_saveexec_b64 s[26:27], s[6:7]
	s_cbranch_execz .LBB310_1411
; %bb.1406:                             ;   in Loop: Header=BB310_818 Depth=1
	v_cmp_ne_u16_sdwa s[6:7], v30, s9 src0_sel:BYTE_0 src1_sel:DWORD
	v_bfrev_b32_e32 v16, 1
	s_and_saveexec_b64 s[28:29], s[6:7]
	s_cbranch_execz .LBB310_1410
; %bb.1407:                             ;   in Loop: Header=BB310_818 Depth=1
	v_bfe_u32 v23, v49, 16, 7
	v_cmp_ne_u32_e64 s[6:7], s15, v23
	v_mov_b32_e32 v16, 0x7fc02000
	s_and_saveexec_b64 s[30:31], s[6:7]
	s_cbranch_execz .LBB310_1409
; %bb.1408:                             ;   in Loop: Header=BB310_818 Depth=1
	v_and_b32_e32 v16, 7, v30
	v_ffbh_u32_e32 v52, v16
	v_min_u32_e32 v52, 32, v52
	v_lshrrev_b32_e32 v27, 3, v23
	v_subrev_u32_e32 v41, 28, v52
	v_sub_u32_e32 v52, 29, v52
	v_cmp_gt_u32_e64 s[6:7], 8, v23
	v_lshlrev_b64 v[46:47], v41, v[30:31]
	v_cndmask_b32_e64 v23, v27, v52, s[6:7]
	v_and_b32_e32 v41, 7, v46
	v_lshlrev_b32_e32 v27, 8, v30
	v_lshl_add_u32 v23, v23, 10, v35
	v_cndmask_b32_e64 v16, v16, v41, s[6:7]
	v_and_or_b32 v23, v27, s34, v23
	v_lshl_or_b32 v16, v16, 7, v23
	v_cvt_f32_f16_e32 v16, v16
.LBB310_1409:                           ;   in Loop: Header=BB310_818 Depth=1
	s_or_b64 exec, exec, s[30:31]
.LBB310_1410:                           ;   in Loop: Header=BB310_818 Depth=1
	s_or_b64 exec, exec, s[28:29]
.LBB310_1411:                           ;   in Loop: Header=BB310_818 Depth=1
	s_or_b64 exec, exec, s[26:27]
	v_cmp_lt_u64_e64 s[6:7], s[16:17], v[48:49]
	s_and_saveexec_b64 s[26:27], s[6:7]
	s_cbranch_execz .LBB310_1417
; %bb.1412:                             ;   in Loop: Header=BB310_818 Depth=1
	v_lshrrev_b32_e32 v30, 24, v49
	v_cmp_ne_u32_e64 s[6:7], s9, v30
	v_bfrev_b32_e32 v13, 1
	s_and_saveexec_b64 s[28:29], s[6:7]
	s_cbranch_execz .LBB310_1416
; %bb.1413:                             ;   in Loop: Header=BB310_818 Depth=1
	v_and_b32_e32 v23, 0x7f, v30
	v_cmp_ne_u32_e64 s[6:7], s15, v23
	v_mov_b32_e32 v13, 0x7fc02000
	s_and_saveexec_b64 s[30:31], s[6:7]
	s_cbranch_execz .LBB310_1415
; %bb.1414:                             ;   in Loop: Header=BB310_818 Depth=1
	v_and_b32_e32 v13, 7, v30
	v_ffbh_u32_e32 v48, v13
	v_min_u32_e32 v52, 32, v48
	v_subrev_u32_e32 v48, 28, v52
	v_lshlrev_b64 v[48:49], v48, v[30:31]
	v_lshrrev_b32_e32 v27, 3, v23
	v_sub_u32_e32 v49, 29, v52
	v_cmp_gt_u32_e64 s[6:7], 8, v23
	v_cndmask_b32_e64 v23, v27, v49, s[6:7]
	v_and_b32_e32 v48, 7, v48
	v_lshlrev_b32_e32 v27, 8, v30
	v_lshl_add_u32 v23, v23, 10, v35
	v_cndmask_b32_e64 v13, v13, v48, s[6:7]
	v_and_or_b32 v23, v27, s34, v23
	v_lshl_or_b32 v13, v13, 7, v23
	v_cvt_f32_f16_e32 v13, v13
.LBB310_1415:                           ;   in Loop: Header=BB310_818 Depth=1
	s_or_b64 exec, exec, s[30:31]
.LBB310_1416:                           ;   in Loop: Header=BB310_818 Depth=1
	s_or_b64 exec, exec, s[28:29]
.LBB310_1417:                           ;   in Loop: Header=BB310_818 Depth=1
	s_or_b64 exec, exec, s[26:27]
	s_waitcnt vmcnt(0) lgkmcnt(0)
	v_pk_mul_f32 v[48:49], v[56:57], v[58:59] op_sel_hi:[0,1]
	v_pk_mul_f32 v[38:39], v[56:57], v[38:39] op_sel_hi:[0,1]
	v_cvt_f16_f32_e32 v23, v49
	v_cvt_f16_f32_e32 v27, v48
	;; [unrolled: 1-line block ×4, first 2 shown]
	v_fma_mixlo_f16 v12, v56, v12, 0
	v_lshlrev_b32_e32 v12, 16, v12
	v_fma_mixlo_f16 v10, v56, v10, 0
	v_or_b32_sdwa v10, v12, v10 dst_sel:DWORD dst_unused:UNUSED_PAD src0_sel:DWORD src1_sel:WORD_0
	v_fma_mixlo_f16 v12, v56, v13, 0
	v_pack_b32_f16 v27, v27, v23
	v_pack_b32_f16 v30, v38, v30
	v_fma_mixlo_f16 v16, v56, v16, 0
	v_lshlrev_b32_e32 v12, 16, v12
	v_perm_b32 v23, v30, v27, s36
	v_perm_b32 v27, v30, v27, s37
	v_or_b32_sdwa v12, v12, v16 dst_sel:DWORD dst_unused:UNUSED_PAD src0_sel:DWORD src1_sel:WORD_0
	s_and_saveexec_b64 s[26:27], vcc
	s_cbranch_execz .LBB310_1419
; %bb.1418:                             ;   in Loop: Header=BB310_818 Depth=1
	buffer_load_dword v38, off, s[0:3], s32 offset:204 ; 4-byte Folded Reload
	buffer_load_dword v39, off, s[0:3], s32 offset:208 ; 4-byte Folded Reload
	v_lshrrev_b32_e32 v13, 16, v27
	v_cmp_lt_i32_e64 s[6:7], v53, v7
	v_cndmask_b32_e64 v13, 0, v13, s[6:7]
	v_lshrrev_b32_e32 v12, 16, v12
	s_waitcnt vmcnt(1)
	v_mov_b32_e32 v30, v38
	v_cmp_lt_i32_e64 s[6:7], v4, v30
	v_cndmask_b32_e64 v27, 0, v27, s[6:7]
	v_perm_b32 v27, v13, v27, s38
	v_lshrrev_b32_e32 v13, 16, v23
	v_cmp_lt_i32_e64 s[6:7], v43, v7
	v_cndmask_b32_e64 v13, 0, v13, s[6:7]
	v_cmp_lt_i32_e64 s[6:7], v34, v30
	v_cndmask_b32_e64 v23, 0, v23, s[6:7]
	v_perm_b32 v23, v13, v23, s38
	v_lshrrev_b32_e32 v13, 16, v10
	v_cmp_lt_i32_e64 s[6:7], v40, v7
	v_cndmask_b32_e64 v13, 0, v13, s[6:7]
	v_cmp_lt_i32_e64 s[6:7], v28, v30
	v_cndmask_b32_e64 v10, 0, v10, s[6:7]
	;; [unrolled: 2-line block ×3, first 2 shown]
	v_cmp_lt_i32_e64 s[6:7], v18, v30
	v_perm_b32 v10, v13, v10, s38
	v_cndmask_b32_e64 v13, 0, v16, s[6:7]
	v_perm_b32 v12, v12, v13, s38
.LBB310_1419:                           ;   in Loop: Header=BB310_818 Depth=1
	s_or_b64 exec, exec, s[26:27]
	;;#ASMSTART
	v_pk_mul_f16 v13, v44, v27;

	;;#ASMEND
	;;#ASMSTART
	v_pk_mul_f16 v16, v42, v23;

	;;#ASMEND
	;;#ASMSTART
	v_pk_mul_f16 v10, v54, v10;

	;;#ASMEND
	;;#ASMSTART
	v_pk_mul_f16 v12, v50, v12;

	;;#ASMEND
	;;#ASMSTART
	v_pk_add_f16 v13, v13, v16;

	;;#ASMEND
	;;#ASMSTART
	v_pk_add_f16 v10, v13, v10;

	;;#ASMEND
	;; [unrolled: 4-line block ×3, first 2 shown]
	v_lshrrev_b32_e32 v12, 16, v10
	v_and_b32_e32 v10, 0xffff, v10
	;;#ASMSTART
	v_cvt_f32_f16 v41, v10;
	;;#ASMEND
	v_accvgpr_read_b32 v10, a40
	;;#ASMSTART
	v_cvt_f32_f16 v46, v12;
	;;#ASMEND
	v_add_co_u32_e64 v12, s[6:7], v20, v10
	v_addc_co_u32_e64 v13, s[6:7], 0, v21, s[6:7]
	flat_load_dwordx2 v[48:49], v[12:13]
	s_nop 0
	buffer_load_dword v12, off, s[0:3], s32 offset:196 ; 4-byte Folded Reload
	buffer_load_dword v13, off, s[0:3], s32 offset:200 ; 4-byte Folded Reload
	v_mov_b32_e32 v58, 0
	v_mov_b32_e32 v38, 0
	s_waitcnt vmcnt(0) lgkmcnt(0)
	v_cmp_ne_u16_sdwa s[6:7], v48, v31 src0_sel:BYTE_0 src1_sel:DWORD
	flat_load_dword v56, v[12:13]
	s_and_saveexec_b64 s[26:27], s[6:7]
	s_cbranch_execz .LBB310_1425
; %bb.1420:                             ;   in Loop: Header=BB310_818 Depth=1
	v_cmp_ne_u16_sdwa s[6:7], v48, s9 src0_sel:BYTE_0 src1_sel:DWORD
	v_bfrev_b32_e32 v38, 1
	s_and_saveexec_b64 s[28:29], s[6:7]
	s_cbranch_execz .LBB310_1424
; %bb.1421:                             ;   in Loop: Header=BB310_818 Depth=1
	v_and_b32_e32 v10, 0x7f, v48
	v_cmp_ne_u32_e64 s[6:7], s15, v10
	v_mov_b32_e32 v38, 0x7fc02000
	s_and_saveexec_b64 s[30:31], s[6:7]
	s_cbranch_execz .LBB310_1423
; %bb.1422:                             ;   in Loop: Header=BB310_818 Depth=1
	v_and_b32_e32 v12, 7, v48
	v_ffbh_u32_e32 v12, v12
	v_min_u32_e32 v12, 32, v12
	v_subrev_u32_e32 v13, 28, v12
	v_cmp_gt_u32_e64 s[6:7], 8, v10
	v_lshrrev_b32_e32 v16, 3, v10
	v_sub_u32_e32 v23, 29, v12
	v_cndmask_b32_e64 v10, 0, v13, s[6:7]
	v_lshlrev_b64 v[12:13], v10, v[48:49]
	v_cndmask_b32_e64 v10, v16, v23, s[6:7]
	v_lshlrev_b32_e32 v13, 8, v48
	v_lshl_add_u32 v10, v10, 10, v35
	v_lshlrev_b32_e32 v12, 7, v12
	v_and_or_b32 v10, v13, s34, v10
	v_and_or_b32 v10, v12, s35, v10
	v_cvt_f32_f16_e32 v38, v10
.LBB310_1423:                           ;   in Loop: Header=BB310_818 Depth=1
	s_or_b64 exec, exec, s[30:31]
.LBB310_1424:                           ;   in Loop: Header=BB310_818 Depth=1
	s_or_b64 exec, exec, s[28:29]
.LBB310_1425:                           ;   in Loop: Header=BB310_818 Depth=1
	s_or_b64 exec, exec, s[26:27]
	v_lshrrev_b16_e32 v30, 8, v48
	v_cmp_ne_u16_e64 s[6:7], 0, v30
	s_and_saveexec_b64 s[26:27], s[6:7]
	s_cbranch_execz .LBB310_1431
; %bb.1426:                             ;   in Loop: Header=BB310_818 Depth=1
	v_cmp_ne_u16_e64 s[6:7], s9, v30
	v_bfrev_b32_e32 v58, 1
	s_and_saveexec_b64 s[28:29], s[6:7]
	s_cbranch_execz .LBB310_1430
; %bb.1427:                             ;   in Loop: Header=BB310_818 Depth=1
	v_and_b32_e32 v10, 0x7f, v30
	v_cmp_ne_u32_e64 s[6:7], s15, v10
	v_mov_b32_e32 v58, 0x7fc02000
	s_and_saveexec_b64 s[30:31], s[6:7]
	s_cbranch_execz .LBB310_1429
; %bb.1428:                             ;   in Loop: Header=BB310_818 Depth=1
	v_and_b32_e32 v16, 7, v30
	v_ffbh_u32_e32 v12, v16
	v_min_u32_e32 v27, 32, v12
	v_subrev_u32_e32 v12, 28, v27
	v_lshlrev_b64 v[12:13], v12, v[30:31]
	v_lshrrev_b32_e32 v23, 3, v10
	v_sub_u32_e32 v13, 29, v27
	v_cmp_gt_u32_e64 s[6:7], 8, v10
	v_cndmask_b32_e64 v10, v23, v13, s[6:7]
	v_and_b32_e32 v12, 7, v12
	v_lshlrev_b32_e32 v13, 8, v30
	v_lshl_add_u32 v10, v10, 10, v35
	v_cndmask_b32_e64 v12, v16, v12, s[6:7]
	v_and_or_b32 v10, v13, s34, v10
	v_lshl_or_b32 v10, v12, 7, v10
	v_cvt_f32_f16_e32 v58, v10
.LBB310_1429:                           ;   in Loop: Header=BB310_818 Depth=1
	s_or_b64 exec, exec, s[30:31]
.LBB310_1430:                           ;   in Loop: Header=BB310_818 Depth=1
	s_or_b64 exec, exec, s[28:29]
.LBB310_1431:                           ;   in Loop: Header=BB310_818 Depth=1
	s_or_b64 exec, exec, s[26:27]
	v_lshrrev_b32_e32 v30, 16, v48
	v_cmp_ne_u16_sdwa s[6:7], v30, v31 src0_sel:BYTE_0 src1_sel:DWORD
	v_mov_b32_e32 v59, 0
	v_mov_b32_e32 v39, 0
	s_and_saveexec_b64 s[26:27], s[6:7]
	s_cbranch_execz .LBB310_1437
; %bb.1432:                             ;   in Loop: Header=BB310_818 Depth=1
	v_cmp_ne_u16_sdwa s[6:7], v30, s9 src0_sel:BYTE_0 src1_sel:DWORD
	v_bfrev_b32_e32 v39, 1
	s_and_saveexec_b64 s[28:29], s[6:7]
	s_cbranch_execz .LBB310_1436
; %bb.1433:                             ;   in Loop: Header=BB310_818 Depth=1
	v_bfe_u32 v10, v48, 16, 7
	v_cmp_ne_u32_e64 s[6:7], s15, v10
	v_mov_b32_e32 v39, 0x7fc02000
	s_and_saveexec_b64 s[30:31], s[6:7]
	s_cbranch_execz .LBB310_1435
; %bb.1434:                             ;   in Loop: Header=BB310_818 Depth=1
	v_and_b32_e32 v16, 7, v30
	v_ffbh_u32_e32 v12, v16
	v_min_u32_e32 v27, 32, v12
	v_subrev_u32_e32 v12, 28, v27
	v_lshlrev_b64 v[12:13], v12, v[30:31]
	v_lshrrev_b32_e32 v23, 3, v10
	v_sub_u32_e32 v13, 29, v27
	v_cmp_gt_u32_e64 s[6:7], 8, v10
	v_cndmask_b32_e64 v10, v23, v13, s[6:7]
	v_and_b32_e32 v12, 7, v12
	v_lshlrev_b32_e32 v13, 8, v30
	v_lshl_add_u32 v10, v10, 10, v35
	v_cndmask_b32_e64 v12, v16, v12, s[6:7]
	v_and_or_b32 v10, v13, s34, v10
	v_lshl_or_b32 v10, v12, 7, v10
	v_cvt_f32_f16_e32 v39, v10
.LBB310_1435:                           ;   in Loop: Header=BB310_818 Depth=1
	s_or_b64 exec, exec, s[30:31]
.LBB310_1436:                           ;   in Loop: Header=BB310_818 Depth=1
	s_or_b64 exec, exec, s[28:29]
.LBB310_1437:                           ;   in Loop: Header=BB310_818 Depth=1
	s_or_b64 exec, exec, s[26:27]
	v_cmp_lt_u32_e64 s[6:7], s17, v48
	s_and_saveexec_b64 s[26:27], s[6:7]
	s_cbranch_execz .LBB310_1443
; %bb.1438:                             ;   in Loop: Header=BB310_818 Depth=1
	v_lshrrev_b32_e32 v30, 24, v48
	v_cmp_ne_u32_e64 s[6:7], s9, v30
	v_bfrev_b32_e32 v59, 1
	s_and_saveexec_b64 s[28:29], s[6:7]
	s_cbranch_execz .LBB310_1442
; %bb.1439:                             ;   in Loop: Header=BB310_818 Depth=1
	v_and_b32_e32 v10, 0x7f, v30
	v_cmp_ne_u32_e64 s[6:7], s15, v10
	v_mov_b32_e32 v59, 0x7fc02000
	s_and_saveexec_b64 s[30:31], s[6:7]
	s_cbranch_execz .LBB310_1441
; %bb.1440:                             ;   in Loop: Header=BB310_818 Depth=1
	v_and_b32_e32 v16, 7, v30
	v_ffbh_u32_e32 v12, v16
	v_min_u32_e32 v27, 32, v12
	v_subrev_u32_e32 v12, 28, v27
	v_lshlrev_b64 v[12:13], v12, v[30:31]
	v_lshrrev_b32_e32 v23, 3, v10
	v_sub_u32_e32 v13, 29, v27
	v_cmp_gt_u32_e64 s[6:7], 8, v10
	v_cndmask_b32_e64 v10, v23, v13, s[6:7]
	v_and_b32_e32 v12, 7, v12
	v_lshlrev_b32_e32 v13, 8, v30
	v_lshl_add_u32 v10, v10, 10, v35
	v_cndmask_b32_e64 v12, v16, v12, s[6:7]
	v_and_or_b32 v10, v13, s34, v10
	v_lshl_or_b32 v10, v12, 7, v10
	v_cvt_f32_f16_e32 v59, v10
.LBB310_1441:                           ;   in Loop: Header=BB310_818 Depth=1
	s_or_b64 exec, exec, s[30:31]
.LBB310_1442:                           ;   in Loop: Header=BB310_818 Depth=1
	s_or_b64 exec, exec, s[28:29]
.LBB310_1443:                           ;   in Loop: Header=BB310_818 Depth=1
	s_or_b64 exec, exec, s[26:27]
	v_mov_b32_e32 v30, v49
	v_cmp_ne_u16_sdwa s[6:7], v49, v31 src0_sel:BYTE_0 src1_sel:DWORD
	v_mov_b32_e32 v12, 0
	v_mov_b32_e32 v10, 0
	s_and_saveexec_b64 s[26:27], s[6:7]
	s_cbranch_execz .LBB310_1449
; %bb.1444:                             ;   in Loop: Header=BB310_818 Depth=1
	v_cmp_ne_u16_sdwa s[6:7], v49, s9 src0_sel:BYTE_0 src1_sel:DWORD
	v_bfrev_b32_e32 v10, 1
	s_and_saveexec_b64 s[28:29], s[6:7]
	s_cbranch_execz .LBB310_1448
; %bb.1445:                             ;   in Loop: Header=BB310_818 Depth=1
	v_and_b32_e32 v13, 0x7f, v49
	v_cmp_ne_u32_e64 s[6:7], s15, v13
	v_mov_b32_e32 v10, 0x7fc02000
	s_and_saveexec_b64 s[30:31], s[6:7]
	s_cbranch_execz .LBB310_1447
; %bb.1446:                             ;   in Loop: Header=BB310_818 Depth=1
	v_and_b32_e32 v10, 7, v49
	v_ffbh_u32_e32 v10, v10
	v_min_u32_e32 v10, 32, v10
	v_lshrrev_b32_e32 v16, 3, v13
	v_subrev_u32_e32 v23, 28, v10
	v_sub_u32_e32 v10, 29, v10
	v_cmp_gt_u32_e64 s[6:7], 8, v13
	v_cndmask_b32_e64 v13, 0, v23, s[6:7]
	v_cndmask_b32_e64 v10, v16, v10, s[6:7]
	v_lshlrev_b64 v[60:61], v13, v[30:31]
	v_lshlrev_b32_e32 v16, 8, v49
	v_lshl_add_u32 v10, v10, 10, v35
	v_lshlrev_b32_e32 v13, 7, v60
	v_and_or_b32 v10, v16, s34, v10
	v_and_or_b32 v10, v13, s35, v10
	v_cvt_f32_f16_e32 v10, v10
.LBB310_1447:                           ;   in Loop: Header=BB310_818 Depth=1
	s_or_b64 exec, exec, s[30:31]
.LBB310_1448:                           ;   in Loop: Header=BB310_818 Depth=1
	s_or_b64 exec, exec, s[28:29]
.LBB310_1449:                           ;   in Loop: Header=BB310_818 Depth=1
	s_or_b64 exec, exec, s[26:27]
	v_lshrrev_b16_e32 v30, 8, v30
	v_cmp_ne_u16_e64 s[6:7], 0, v30
	s_and_saveexec_b64 s[26:27], s[6:7]
	s_cbranch_execz .LBB310_1455
; %bb.1450:                             ;   in Loop: Header=BB310_818 Depth=1
	v_cmp_ne_u16_e64 s[6:7], s9, v30
	v_bfrev_b32_e32 v12, 1
	s_and_saveexec_b64 s[28:29], s[6:7]
	s_cbranch_execz .LBB310_1454
; %bb.1451:                             ;   in Loop: Header=BB310_818 Depth=1
	v_and_b32_e32 v13, 0x7f, v30
	v_cmp_ne_u32_e64 s[6:7], s15, v13
	v_mov_b32_e32 v12, 0x7fc02000
	s_and_saveexec_b64 s[30:31], s[6:7]
	s_cbranch_execz .LBB310_1453
; %bb.1452:                             ;   in Loop: Header=BB310_818 Depth=1
	v_and_b32_e32 v12, 7, v30
	v_ffbh_u32_e32 v23, v12
	v_min_u32_e32 v23, 32, v23
	v_lshrrev_b32_e32 v16, 3, v13
	v_subrev_u32_e32 v27, 28, v23
	v_sub_u32_e32 v23, 29, v23
	v_cmp_gt_u32_e64 s[6:7], 8, v13
	v_lshlrev_b64 v[60:61], v27, v[30:31]
	v_cndmask_b32_e64 v13, v16, v23, s[6:7]
	v_and_b32_e32 v27, 7, v60
	v_lshlrev_b32_e32 v16, 8, v30
	v_lshl_add_u32 v13, v13, 10, v35
	v_cndmask_b32_e64 v12, v12, v27, s[6:7]
	v_and_or_b32 v13, v16, s34, v13
	v_lshl_or_b32 v12, v12, 7, v13
	v_cvt_f32_f16_e32 v12, v12
.LBB310_1453:                           ;   in Loop: Header=BB310_818 Depth=1
	s_or_b64 exec, exec, s[30:31]
.LBB310_1454:                           ;   in Loop: Header=BB310_818 Depth=1
	s_or_b64 exec, exec, s[28:29]
.LBB310_1455:                           ;   in Loop: Header=BB310_818 Depth=1
	s_or_b64 exec, exec, s[26:27]
	v_lshrrev_b32_e32 v30, 16, v49
	v_cmp_ne_u16_sdwa s[6:7], v30, v31 src0_sel:BYTE_0 src1_sel:DWORD
	v_mov_b32_e32 v13, 0
	v_mov_b32_e32 v16, 0
	s_and_saveexec_b64 s[26:27], s[6:7]
	s_cbranch_execz .LBB310_1461
; %bb.1456:                             ;   in Loop: Header=BB310_818 Depth=1
	v_cmp_ne_u16_sdwa s[6:7], v30, s9 src0_sel:BYTE_0 src1_sel:DWORD
	v_bfrev_b32_e32 v16, 1
	s_and_saveexec_b64 s[28:29], s[6:7]
	s_cbranch_execz .LBB310_1460
; %bb.1457:                             ;   in Loop: Header=BB310_818 Depth=1
	v_bfe_u32 v23, v49, 16, 7
	v_cmp_ne_u32_e64 s[6:7], s15, v23
	v_mov_b32_e32 v16, 0x7fc02000
	s_and_saveexec_b64 s[30:31], s[6:7]
	s_cbranch_execz .LBB310_1459
; %bb.1458:                             ;   in Loop: Header=BB310_818 Depth=1
	v_and_b32_e32 v16, 7, v30
	v_ffbh_u32_e32 v52, v16
	v_min_u32_e32 v52, 32, v52
	v_lshrrev_b32_e32 v27, 3, v23
	v_subrev_u32_e32 v47, 28, v52
	v_sub_u32_e32 v52, 29, v52
	v_cmp_gt_u32_e64 s[6:7], 8, v23
	v_lshlrev_b64 v[60:61], v47, v[30:31]
	v_cndmask_b32_e64 v23, v27, v52, s[6:7]
	v_and_b32_e32 v47, 7, v60
	v_lshlrev_b32_e32 v27, 8, v30
	v_lshl_add_u32 v23, v23, 10, v35
	v_cndmask_b32_e64 v16, v16, v47, s[6:7]
	v_and_or_b32 v23, v27, s34, v23
	v_lshl_or_b32 v16, v16, 7, v23
	v_cvt_f32_f16_e32 v16, v16
.LBB310_1459:                           ;   in Loop: Header=BB310_818 Depth=1
	s_or_b64 exec, exec, s[30:31]
.LBB310_1460:                           ;   in Loop: Header=BB310_818 Depth=1
	s_or_b64 exec, exec, s[28:29]
.LBB310_1461:                           ;   in Loop: Header=BB310_818 Depth=1
	s_or_b64 exec, exec, s[26:27]
	v_cmp_lt_u64_e64 s[6:7], s[16:17], v[48:49]
	s_and_saveexec_b64 s[26:27], s[6:7]
	s_cbranch_execz .LBB310_1467
; %bb.1462:                             ;   in Loop: Header=BB310_818 Depth=1
	v_lshrrev_b32_e32 v30, 24, v49
	v_cmp_ne_u32_e64 s[6:7], s9, v30
	v_bfrev_b32_e32 v13, 1
	s_and_saveexec_b64 s[28:29], s[6:7]
	s_cbranch_execz .LBB310_1466
; %bb.1463:                             ;   in Loop: Header=BB310_818 Depth=1
	v_and_b32_e32 v23, 0x7f, v30
	v_cmp_ne_u32_e64 s[6:7], s15, v23
	v_mov_b32_e32 v13, 0x7fc02000
	s_and_saveexec_b64 s[30:31], s[6:7]
	s_cbranch_execz .LBB310_1465
; %bb.1464:                             ;   in Loop: Header=BB310_818 Depth=1
	v_and_b32_e32 v13, 7, v30
	v_ffbh_u32_e32 v48, v13
	v_min_u32_e32 v52, 32, v48
	v_subrev_u32_e32 v48, 28, v52
	v_lshlrev_b64 v[48:49], v48, v[30:31]
	v_lshrrev_b32_e32 v27, 3, v23
	v_sub_u32_e32 v49, 29, v52
	v_cmp_gt_u32_e64 s[6:7], 8, v23
	v_cndmask_b32_e64 v23, v27, v49, s[6:7]
	v_and_b32_e32 v48, 7, v48
	v_lshlrev_b32_e32 v27, 8, v30
	v_lshl_add_u32 v23, v23, 10, v35
	v_cndmask_b32_e64 v13, v13, v48, s[6:7]
	v_and_or_b32 v23, v27, s34, v23
	v_lshl_or_b32 v13, v13, 7, v23
	v_cvt_f32_f16_e32 v13, v13
.LBB310_1465:                           ;   in Loop: Header=BB310_818 Depth=1
	s_or_b64 exec, exec, s[30:31]
.LBB310_1466:                           ;   in Loop: Header=BB310_818 Depth=1
	s_or_b64 exec, exec, s[28:29]
.LBB310_1467:                           ;   in Loop: Header=BB310_818 Depth=1
	s_or_b64 exec, exec, s[26:27]
	s_waitcnt vmcnt(0) lgkmcnt(0)
	v_pk_mul_f32 v[48:49], v[56:57], v[58:59] op_sel_hi:[0,1]
	v_pk_mul_f32 v[38:39], v[56:57], v[38:39] op_sel_hi:[0,1]
	v_cvt_f16_f32_e32 v23, v49
	v_cvt_f16_f32_e32 v27, v48
	;; [unrolled: 1-line block ×4, first 2 shown]
	v_fma_mixlo_f16 v12, v56, v12, 0
	v_lshlrev_b32_e32 v12, 16, v12
	v_fma_mixlo_f16 v10, v56, v10, 0
	v_or_b32_sdwa v10, v12, v10 dst_sel:DWORD dst_unused:UNUSED_PAD src0_sel:DWORD src1_sel:WORD_0
	v_fma_mixlo_f16 v12, v56, v13, 0
	v_pack_b32_f16 v27, v27, v23
	v_pack_b32_f16 v30, v38, v30
	v_fma_mixlo_f16 v16, v56, v16, 0
	v_lshlrev_b32_e32 v12, 16, v12
	v_perm_b32 v23, v30, v27, s36
	v_perm_b32 v27, v30, v27, s37
	v_or_b32_sdwa v12, v12, v16 dst_sel:DWORD dst_unused:UNUSED_PAD src0_sel:DWORD src1_sel:WORD_0
	s_and_saveexec_b64 s[26:27], vcc
	s_cbranch_execz .LBB310_1469
; %bb.1468:                             ;   in Loop: Header=BB310_818 Depth=1
	buffer_load_dword v38, off, s[0:3], s32 offset:204 ; 4-byte Folded Reload
	buffer_load_dword v39, off, s[0:3], s32 offset:208 ; 4-byte Folded Reload
	v_lshrrev_b32_e32 v13, 16, v27
	v_cmp_lt_i32_e64 s[6:7], v53, v7
	v_cndmask_b32_e64 v13, 0, v13, s[6:7]
	v_lshrrev_b32_e32 v12, 16, v12
	s_waitcnt vmcnt(1)
	v_mov_b32_e32 v30, v38
	v_cmp_lt_i32_e64 s[6:7], v4, v30
	v_cndmask_b32_e64 v27, 0, v27, s[6:7]
	v_perm_b32 v27, v13, v27, s38
	v_lshrrev_b32_e32 v13, 16, v23
	v_cmp_lt_i32_e64 s[6:7], v43, v7
	v_cndmask_b32_e64 v13, 0, v13, s[6:7]
	v_cmp_lt_i32_e64 s[6:7], v34, v30
	v_cndmask_b32_e64 v23, 0, v23, s[6:7]
	v_perm_b32 v23, v13, v23, s38
	v_lshrrev_b32_e32 v13, 16, v10
	v_cmp_lt_i32_e64 s[6:7], v40, v7
	v_cndmask_b32_e64 v13, 0, v13, s[6:7]
	v_cmp_lt_i32_e64 s[6:7], v28, v30
	v_cndmask_b32_e64 v10, 0, v10, s[6:7]
	;; [unrolled: 2-line block ×3, first 2 shown]
	v_cmp_lt_i32_e64 s[6:7], v18, v30
	v_perm_b32 v10, v13, v10, s38
	v_cndmask_b32_e64 v13, 0, v16, s[6:7]
	v_perm_b32 v12, v12, v13, s38
.LBB310_1469:                           ;   in Loop: Header=BB310_818 Depth=1
	s_or_b64 exec, exec, s[26:27]
	;;#ASMSTART
	v_pk_mul_f16 v13, v44, v27;

	;;#ASMEND
	;;#ASMSTART
	v_pk_mul_f16 v16, v42, v23;

	;;#ASMEND
	;; [unrolled: 4-line block ×4, first 2 shown]
	;;#ASMSTART
	v_pk_add_f16 v13, v13, v16;

	;;#ASMEND
	;;#ASMSTART
	v_pk_add_f16 v10, v13, v10;

	;;#ASMEND
	;;#ASMSTART
	v_pk_add_f16 v10, v10, v12;

	;;#ASMEND
	v_lshrrev_b32_e32 v12, 16, v10
	v_and_b32_e32 v10, 0xffff, v10
	;;#ASMSTART
	v_cvt_f32_f16 v23, v10;
	;;#ASMEND
	v_accvgpr_read_b32 v10, a42
	;;#ASMSTART
	v_cvt_f32_f16 v27, v12;
	;;#ASMEND
	v_add_co_u32_e64 v12, s[6:7], v20, v10
	v_addc_co_u32_e64 v13, s[6:7], 0, v21, s[6:7]
	flat_load_dwordx2 v[48:49], v[12:13]
	s_nop 0
	buffer_load_dword v12, off, s[0:3], s32 offset:196 ; 4-byte Folded Reload
	buffer_load_dword v13, off, s[0:3], s32 offset:200 ; 4-byte Folded Reload
	v_mov_b32_e32 v58, 0
	v_mov_b32_e32 v38, 0
	s_waitcnt vmcnt(0) lgkmcnt(0)
	v_cmp_ne_u16_sdwa s[6:7], v48, v31 src0_sel:BYTE_0 src1_sel:DWORD
	flat_load_dword v56, v[12:13]
	s_and_saveexec_b64 s[26:27], s[6:7]
	s_cbranch_execz .LBB310_1475
; %bb.1470:                             ;   in Loop: Header=BB310_818 Depth=1
	v_cmp_ne_u16_sdwa s[6:7], v48, s9 src0_sel:BYTE_0 src1_sel:DWORD
	v_bfrev_b32_e32 v38, 1
	s_and_saveexec_b64 s[28:29], s[6:7]
	s_cbranch_execz .LBB310_1474
; %bb.1471:                             ;   in Loop: Header=BB310_818 Depth=1
	v_and_b32_e32 v10, 0x7f, v48
	v_cmp_ne_u32_e64 s[6:7], s15, v10
	v_mov_b32_e32 v38, 0x7fc02000
	s_and_saveexec_b64 s[30:31], s[6:7]
	s_cbranch_execz .LBB310_1473
; %bb.1472:                             ;   in Loop: Header=BB310_818 Depth=1
	v_and_b32_e32 v12, 7, v48
	v_ffbh_u32_e32 v12, v12
	v_min_u32_e32 v12, 32, v12
	v_subrev_u32_e32 v13, 28, v12
	v_cmp_gt_u32_e64 s[6:7], 8, v10
	v_lshrrev_b32_e32 v16, 3, v10
	v_sub_u32_e32 v30, 29, v12
	v_cndmask_b32_e64 v10, 0, v13, s[6:7]
	v_lshlrev_b64 v[12:13], v10, v[48:49]
	v_cndmask_b32_e64 v10, v16, v30, s[6:7]
	v_lshlrev_b32_e32 v13, 8, v48
	v_lshl_add_u32 v10, v10, 10, v35
	v_lshlrev_b32_e32 v12, 7, v12
	v_and_or_b32 v10, v13, s34, v10
	v_and_or_b32 v10, v12, s35, v10
	v_cvt_f32_f16_e32 v38, v10
.LBB310_1473:                           ;   in Loop: Header=BB310_818 Depth=1
	s_or_b64 exec, exec, s[30:31]
.LBB310_1474:                           ;   in Loop: Header=BB310_818 Depth=1
	s_or_b64 exec, exec, s[28:29]
.LBB310_1475:                           ;   in Loop: Header=BB310_818 Depth=1
	s_or_b64 exec, exec, s[26:27]
	v_lshrrev_b16_e32 v30, 8, v48
	v_cmp_ne_u16_e64 s[6:7], 0, v30
	s_and_saveexec_b64 s[26:27], s[6:7]
	s_cbranch_execz .LBB310_1481
; %bb.1476:                             ;   in Loop: Header=BB310_818 Depth=1
	v_cmp_ne_u16_e64 s[6:7], s9, v30
	v_bfrev_b32_e32 v58, 1
	s_and_saveexec_b64 s[28:29], s[6:7]
	s_cbranch_execz .LBB310_1480
; %bb.1477:                             ;   in Loop: Header=BB310_818 Depth=1
	v_and_b32_e32 v10, 0x7f, v30
	v_cmp_ne_u32_e64 s[6:7], s15, v10
	v_mov_b32_e32 v58, 0x7fc02000
	s_and_saveexec_b64 s[30:31], s[6:7]
	s_cbranch_execz .LBB310_1479
; %bb.1478:                             ;   in Loop: Header=BB310_818 Depth=1
	v_and_b32_e32 v16, 7, v30
	v_ffbh_u32_e32 v12, v16
	v_min_u32_e32 v52, 32, v12
	v_subrev_u32_e32 v12, 28, v52
	v_lshlrev_b64 v[12:13], v12, v[30:31]
	v_lshrrev_b32_e32 v39, 3, v10
	v_sub_u32_e32 v13, 29, v52
	v_cmp_gt_u32_e64 s[6:7], 8, v10
	v_cndmask_b32_e64 v10, v39, v13, s[6:7]
	v_and_b32_e32 v12, 7, v12
	v_lshlrev_b32_e32 v13, 8, v30
	v_lshl_add_u32 v10, v10, 10, v35
	v_cndmask_b32_e64 v12, v16, v12, s[6:7]
	v_and_or_b32 v10, v13, s34, v10
	v_lshl_or_b32 v10, v12, 7, v10
	v_cvt_f32_f16_e32 v58, v10
.LBB310_1479:                           ;   in Loop: Header=BB310_818 Depth=1
	s_or_b64 exec, exec, s[30:31]
.LBB310_1480:                           ;   in Loop: Header=BB310_818 Depth=1
	s_or_b64 exec, exec, s[28:29]
.LBB310_1481:                           ;   in Loop: Header=BB310_818 Depth=1
	s_or_b64 exec, exec, s[26:27]
	v_lshrrev_b32_e32 v30, 16, v48
	v_cmp_ne_u16_sdwa s[6:7], v30, v31 src0_sel:BYTE_0 src1_sel:DWORD
	v_mov_b32_e32 v59, 0
	v_mov_b32_e32 v39, 0
	s_and_saveexec_b64 s[26:27], s[6:7]
	s_cbranch_execz .LBB310_1487
; %bb.1482:                             ;   in Loop: Header=BB310_818 Depth=1
	v_cmp_ne_u16_sdwa s[6:7], v30, s9 src0_sel:BYTE_0 src1_sel:DWORD
	v_bfrev_b32_e32 v39, 1
	s_and_saveexec_b64 s[28:29], s[6:7]
	s_cbranch_execz .LBB310_1486
; %bb.1483:                             ;   in Loop: Header=BB310_818 Depth=1
	v_bfe_u32 v10, v48, 16, 7
	v_cmp_ne_u32_e64 s[6:7], s15, v10
	v_mov_b32_e32 v39, 0x7fc02000
	s_and_saveexec_b64 s[30:31], s[6:7]
	s_cbranch_execz .LBB310_1485
; %bb.1484:                             ;   in Loop: Header=BB310_818 Depth=1
	v_and_b32_e32 v16, 7, v30
	v_ffbh_u32_e32 v12, v16
	v_min_u32_e32 v52, 32, v12
	v_subrev_u32_e32 v12, 28, v52
	v_lshlrev_b64 v[12:13], v12, v[30:31]
	v_lshrrev_b32_e32 v39, 3, v10
	v_sub_u32_e32 v13, 29, v52
	v_cmp_gt_u32_e64 s[6:7], 8, v10
	v_cndmask_b32_e64 v10, v39, v13, s[6:7]
	v_and_b32_e32 v12, 7, v12
	v_lshlrev_b32_e32 v13, 8, v30
	v_lshl_add_u32 v10, v10, 10, v35
	v_cndmask_b32_e64 v12, v16, v12, s[6:7]
	v_and_or_b32 v10, v13, s34, v10
	v_lshl_or_b32 v10, v12, 7, v10
	v_cvt_f32_f16_e32 v39, v10
.LBB310_1485:                           ;   in Loop: Header=BB310_818 Depth=1
	s_or_b64 exec, exec, s[30:31]
.LBB310_1486:                           ;   in Loop: Header=BB310_818 Depth=1
	s_or_b64 exec, exec, s[28:29]
.LBB310_1487:                           ;   in Loop: Header=BB310_818 Depth=1
	s_or_b64 exec, exec, s[26:27]
	v_cmp_lt_u32_e64 s[6:7], s17, v48
	s_and_saveexec_b64 s[26:27], s[6:7]
	s_cbranch_execz .LBB310_1493
; %bb.1488:                             ;   in Loop: Header=BB310_818 Depth=1
	v_lshrrev_b32_e32 v30, 24, v48
	v_cmp_ne_u32_e64 s[6:7], s9, v30
	v_bfrev_b32_e32 v59, 1
	s_and_saveexec_b64 s[28:29], s[6:7]
	s_cbranch_execz .LBB310_1492
; %bb.1489:                             ;   in Loop: Header=BB310_818 Depth=1
	v_and_b32_e32 v10, 0x7f, v30
	v_cmp_ne_u32_e64 s[6:7], s15, v10
	v_mov_b32_e32 v59, 0x7fc02000
	s_and_saveexec_b64 s[30:31], s[6:7]
	s_cbranch_execz .LBB310_1491
; %bb.1490:                             ;   in Loop: Header=BB310_818 Depth=1
	v_and_b32_e32 v16, 7, v30
	v_ffbh_u32_e32 v12, v16
	v_min_u32_e32 v47, 32, v12
	v_subrev_u32_e32 v12, 28, v47
	v_lshlrev_b64 v[12:13], v12, v[30:31]
	v_lshrrev_b32_e32 v52, 3, v10
	v_sub_u32_e32 v13, 29, v47
	v_cmp_gt_u32_e64 s[6:7], 8, v10
	v_cndmask_b32_e64 v10, v52, v13, s[6:7]
	v_and_b32_e32 v12, 7, v12
	v_lshlrev_b32_e32 v13, 8, v30
	v_lshl_add_u32 v10, v10, 10, v35
	v_cndmask_b32_e64 v12, v16, v12, s[6:7]
	v_and_or_b32 v10, v13, s34, v10
	v_lshl_or_b32 v10, v12, 7, v10
	v_cvt_f32_f16_e32 v59, v10
.LBB310_1491:                           ;   in Loop: Header=BB310_818 Depth=1
	s_or_b64 exec, exec, s[30:31]
.LBB310_1492:                           ;   in Loop: Header=BB310_818 Depth=1
	s_or_b64 exec, exec, s[28:29]
.LBB310_1493:                           ;   in Loop: Header=BB310_818 Depth=1
	s_or_b64 exec, exec, s[26:27]
	v_mov_b32_e32 v30, v49
	v_cmp_ne_u16_sdwa s[6:7], v49, v31 src0_sel:BYTE_0 src1_sel:DWORD
	v_mov_b32_e32 v12, 0
	v_mov_b32_e32 v10, 0
	s_and_saveexec_b64 s[26:27], s[6:7]
	s_cbranch_execz .LBB310_1499
; %bb.1494:                             ;   in Loop: Header=BB310_818 Depth=1
	v_cmp_ne_u16_sdwa s[6:7], v49, s9 src0_sel:BYTE_0 src1_sel:DWORD
	v_bfrev_b32_e32 v10, 1
	s_and_saveexec_b64 s[28:29], s[6:7]
	s_cbranch_execz .LBB310_1498
; %bb.1495:                             ;   in Loop: Header=BB310_818 Depth=1
	v_and_b32_e32 v13, 0x7f, v49
	v_cmp_ne_u32_e64 s[6:7], s15, v13
	v_mov_b32_e32 v10, 0x7fc02000
	s_and_saveexec_b64 s[30:31], s[6:7]
	s_cbranch_execz .LBB310_1497
; %bb.1496:                             ;   in Loop: Header=BB310_818 Depth=1
	v_and_b32_e32 v10, 7, v49
	v_ffbh_u32_e32 v10, v10
	v_min_u32_e32 v10, 32, v10
	v_lshrrev_b32_e32 v16, 3, v13
	v_subrev_u32_e32 v52, 28, v10
	v_sub_u32_e32 v10, 29, v10
	v_cmp_gt_u32_e64 s[6:7], 8, v13
	v_cndmask_b32_e64 v13, 0, v52, s[6:7]
	v_cndmask_b32_e64 v10, v16, v10, s[6:7]
	v_lshlrev_b64 v[60:61], v13, v[30:31]
	v_lshlrev_b32_e32 v16, 8, v49
	v_lshl_add_u32 v10, v10, 10, v35
	v_lshlrev_b32_e32 v13, 7, v60
	v_and_or_b32 v10, v16, s34, v10
	v_and_or_b32 v10, v13, s35, v10
	v_cvt_f32_f16_e32 v10, v10
.LBB310_1497:                           ;   in Loop: Header=BB310_818 Depth=1
	s_or_b64 exec, exec, s[30:31]
.LBB310_1498:                           ;   in Loop: Header=BB310_818 Depth=1
	s_or_b64 exec, exec, s[28:29]
.LBB310_1499:                           ;   in Loop: Header=BB310_818 Depth=1
	s_or_b64 exec, exec, s[26:27]
	v_lshrrev_b16_e32 v30, 8, v30
	v_cmp_ne_u16_e64 s[6:7], 0, v30
	s_and_saveexec_b64 s[26:27], s[6:7]
	s_cbranch_execz .LBB310_1505
; %bb.1500:                             ;   in Loop: Header=BB310_818 Depth=1
	v_cmp_ne_u16_e64 s[6:7], s9, v30
	v_bfrev_b32_e32 v12, 1
	s_and_saveexec_b64 s[28:29], s[6:7]
	s_cbranch_execz .LBB310_1504
; %bb.1501:                             ;   in Loop: Header=BB310_818 Depth=1
	v_and_b32_e32 v13, 0x7f, v30
	v_cmp_ne_u32_e64 s[6:7], s15, v13
	v_mov_b32_e32 v12, 0x7fc02000
	s_and_saveexec_b64 s[30:31], s[6:7]
	s_cbranch_execz .LBB310_1503
; %bb.1502:                             ;   in Loop: Header=BB310_818 Depth=1
	v_and_b32_e32 v12, 7, v30
	v_ffbh_u32_e32 v52, v12
	v_min_u32_e32 v52, 32, v52
	v_lshrrev_b32_e32 v16, 3, v13
	v_subrev_u32_e32 v47, 28, v52
	v_sub_u32_e32 v52, 29, v52
	v_cmp_gt_u32_e64 s[6:7], 8, v13
	v_lshlrev_b64 v[60:61], v47, v[30:31]
	v_cndmask_b32_e64 v13, v16, v52, s[6:7]
	v_and_b32_e32 v47, 7, v60
	v_lshlrev_b32_e32 v16, 8, v30
	v_lshl_add_u32 v13, v13, 10, v35
	v_cndmask_b32_e64 v12, v12, v47, s[6:7]
	v_and_or_b32 v13, v16, s34, v13
	v_lshl_or_b32 v12, v12, 7, v13
	v_cvt_f32_f16_e32 v12, v12
.LBB310_1503:                           ;   in Loop: Header=BB310_818 Depth=1
	s_or_b64 exec, exec, s[30:31]
.LBB310_1504:                           ;   in Loop: Header=BB310_818 Depth=1
	s_or_b64 exec, exec, s[28:29]
.LBB310_1505:                           ;   in Loop: Header=BB310_818 Depth=1
	s_or_b64 exec, exec, s[26:27]
	v_lshrrev_b32_e32 v30, 16, v49
	v_cmp_ne_u16_sdwa s[6:7], v30, v31 src0_sel:BYTE_0 src1_sel:DWORD
	v_mov_b32_e32 v13, 0
	v_mov_b32_e32 v16, 0
	s_and_saveexec_b64 s[26:27], s[6:7]
	s_cbranch_execz .LBB310_1511
; %bb.1506:                             ;   in Loop: Header=BB310_818 Depth=1
	v_cmp_ne_u16_sdwa s[6:7], v30, s9 src0_sel:BYTE_0 src1_sel:DWORD
	v_bfrev_b32_e32 v16, 1
	s_and_saveexec_b64 s[28:29], s[6:7]
	s_cbranch_execz .LBB310_1510
; %bb.1507:                             ;   in Loop: Header=BB310_818 Depth=1
	v_bfe_u32 v52, v49, 16, 7
	v_cmp_ne_u32_e64 s[6:7], s15, v52
	v_mov_b32_e32 v16, 0x7fc02000
	s_and_saveexec_b64 s[30:31], s[6:7]
	s_cbranch_execz .LBB310_1509
; %bb.1508:                             ;   in Loop: Header=BB310_818 Depth=1
	v_and_b32_e32 v16, 7, v30
	v_ffbh_u32_e32 v57, v16
	v_min_u32_e32 v57, 32, v57
	v_lshrrev_b32_e32 v47, 3, v52
	v_subrev_u32_e32 v60, 28, v57
	v_sub_u32_e32 v57, 29, v57
	v_cmp_gt_u32_e64 s[6:7], 8, v52
	v_lshlrev_b64 v[60:61], v60, v[30:31]
	v_cndmask_b32_e64 v52, v47, v57, s[6:7]
	v_and_b32_e32 v60, 7, v60
	v_lshlrev_b32_e32 v30, 8, v30
	v_lshl_add_u32 v52, v52, 10, v35
	v_cndmask_b32_e64 v16, v16, v60, s[6:7]
	v_and_or_b32 v30, v30, s34, v52
	v_lshl_or_b32 v16, v16, 7, v30
	v_cvt_f32_f16_e32 v16, v16
.LBB310_1509:                           ;   in Loop: Header=BB310_818 Depth=1
	s_or_b64 exec, exec, s[30:31]
.LBB310_1510:                           ;   in Loop: Header=BB310_818 Depth=1
	s_or_b64 exec, exec, s[28:29]
.LBB310_1511:                           ;   in Loop: Header=BB310_818 Depth=1
	s_or_b64 exec, exec, s[26:27]
	v_cmp_lt_u64_e64 s[6:7], s[16:17], v[48:49]
	s_and_saveexec_b64 s[26:27], s[6:7]
	s_cbranch_execz .LBB310_1517
; %bb.1512:                             ;   in Loop: Header=BB310_818 Depth=1
	v_lshrrev_b32_e32 v30, 24, v49
	v_cmp_ne_u32_e64 s[6:7], s9, v30
	v_bfrev_b32_e32 v13, 1
	s_and_saveexec_b64 s[28:29], s[6:7]
	s_cbranch_execz .LBB310_1516
; %bb.1513:                             ;   in Loop: Header=BB310_818 Depth=1
	v_and_b32_e32 v48, 0x7f, v30
	v_cmp_ne_u32_e64 s[6:7], s15, v48
	v_mov_b32_e32 v13, 0x7fc02000
	s_and_saveexec_b64 s[30:31], s[6:7]
	s_cbranch_execz .LBB310_1515
; %bb.1514:                             ;   in Loop: Header=BB310_818 Depth=1
	v_and_b32_e32 v13, 7, v30
	v_ffbh_u32_e32 v52, v13
	v_min_u32_e32 v52, 32, v52
	v_lshrrev_b32_e32 v49, 3, v48
	v_subrev_u32_e32 v47, 28, v52
	v_sub_u32_e32 v52, 29, v52
	v_cmp_gt_u32_e64 s[6:7], 8, v48
	v_lshlrev_b64 v[60:61], v47, v[30:31]
	v_cndmask_b32_e64 v48, v49, v52, s[6:7]
	v_and_b32_e32 v47, 7, v60
	v_lshlrev_b32_e32 v30, 8, v30
	v_lshl_add_u32 v48, v48, 10, v35
	v_cndmask_b32_e64 v13, v13, v47, s[6:7]
	v_and_or_b32 v30, v30, s34, v48
	v_lshl_or_b32 v13, v13, 7, v30
	v_cvt_f32_f16_e32 v13, v13
.LBB310_1515:                           ;   in Loop: Header=BB310_818 Depth=1
	s_or_b64 exec, exec, s[30:31]
.LBB310_1516:                           ;   in Loop: Header=BB310_818 Depth=1
	s_or_b64 exec, exec, s[28:29]
.LBB310_1517:                           ;   in Loop: Header=BB310_818 Depth=1
	s_or_b64 exec, exec, s[26:27]
	s_waitcnt vmcnt(0) lgkmcnt(0)
	v_pk_mul_f32 v[48:49], v[56:57], v[58:59] op_sel_hi:[0,1]
	v_pk_mul_f32 v[38:39], v[56:57], v[38:39] op_sel_hi:[0,1]
	v_cvt_f16_f32_e32 v30, v49
	v_cvt_f16_f32_e32 v48, v48
	;; [unrolled: 1-line block ×4, first 2 shown]
	v_fma_mixlo_f16 v12, v56, v12, 0
	v_lshlrev_b32_e32 v12, 16, v12
	v_fma_mixlo_f16 v10, v56, v10, 0
	v_or_b32_sdwa v10, v12, v10 dst_sel:DWORD dst_unused:UNUSED_PAD src0_sel:DWORD src1_sel:WORD_0
	v_fma_mixlo_f16 v12, v56, v13, 0
	v_pack_b32_f16 v48, v48, v30
	v_pack_b32_f16 v38, v38, v39
	v_fma_mixlo_f16 v16, v56, v16, 0
	v_lshlrev_b32_e32 v12, 16, v12
	v_perm_b32 v30, v38, v48, s36
	v_perm_b32 v38, v38, v48, s37
	v_or_b32_sdwa v12, v12, v16 dst_sel:DWORD dst_unused:UNUSED_PAD src0_sel:DWORD src1_sel:WORD_0
	s_and_saveexec_b64 s[26:27], vcc
	s_cbranch_execz .LBB310_1519
; %bb.1518:                             ;   in Loop: Header=BB310_818 Depth=1
	buffer_load_dword v48, off, s[0:3], s32 offset:204 ; 4-byte Folded Reload
	buffer_load_dword v49, off, s[0:3], s32 offset:208 ; 4-byte Folded Reload
	v_lshrrev_b32_e32 v13, 16, v38
	v_cmp_lt_i32_e64 s[6:7], v53, v7
	v_cndmask_b32_e64 v13, 0, v13, s[6:7]
	v_lshrrev_b32_e32 v12, 16, v12
	s_waitcnt vmcnt(1)
	v_cmp_lt_i32_e64 s[6:7], v4, v48
	v_cndmask_b32_e64 v38, 0, v38, s[6:7]
	v_perm_b32 v38, v13, v38, s38
	v_lshrrev_b32_e32 v13, 16, v30
	v_cmp_lt_i32_e64 s[6:7], v43, v7
	v_cndmask_b32_e64 v13, 0, v13, s[6:7]
	v_cmp_lt_i32_e64 s[6:7], v34, v48
	v_cndmask_b32_e64 v30, 0, v30, s[6:7]
	v_perm_b32 v30, v13, v30, s38
	v_lshrrev_b32_e32 v13, 16, v10
	v_cmp_lt_i32_e64 s[6:7], v40, v7
	v_cndmask_b32_e64 v13, 0, v13, s[6:7]
	v_cmp_lt_i32_e64 s[6:7], v28, v48
	v_cndmask_b32_e64 v10, 0, v10, s[6:7]
	;; [unrolled: 2-line block ×3, first 2 shown]
	v_cmp_lt_i32_e64 s[6:7], v18, v48
	v_perm_b32 v10, v13, v10, s38
	v_cndmask_b32_e64 v13, 0, v16, s[6:7]
	v_perm_b32 v12, v12, v13, s38
.LBB310_1519:                           ;   in Loop: Header=BB310_818 Depth=1
	s_or_b64 exec, exec, s[26:27]
	;;#ASMSTART
	v_pk_mul_f16 v13, v44, v38;

	;;#ASMEND
	;;#ASMSTART
	v_pk_mul_f16 v16, v42, v30;

	;;#ASMEND
	;;#ASMSTART
	v_pk_mul_f16 v10, v54, v10;

	;;#ASMEND
	;;#ASMSTART
	v_pk_mul_f16 v12, v50, v12;

	;;#ASMEND
	;;#ASMSTART
	v_pk_add_f16 v13, v13, v16;

	;;#ASMEND
	;;#ASMSTART
	v_pk_add_f16 v10, v13, v10;

	;;#ASMEND
	v_accvgpr_read_b32 v16, a44
	;;#ASMSTART
	v_pk_add_f16 v10, v10, v12;

	;;#ASMEND
	v_add_co_u32_e64 v38, s[6:7], v20, v16
	v_lshrrev_b32_e32 v12, 16, v10
	v_and_b32_e32 v10, 0xffff, v10
	v_addc_co_u32_e64 v39, s[6:7], 0, v21, s[6:7]
	;;#ASMSTART
	v_cvt_f32_f16 v10, v10;
	;;#ASMEND
	;;#ASMSTART
	v_cvt_f32_f16 v12, v12;
	;;#ASMEND
	s_waitcnt vmcnt(0)
	flat_load_dwordx2 v[48:49], v[38:39]
	s_nop 0
	buffer_load_dword v38, off, s[0:3], s32 offset:196 ; 4-byte Folded Reload
	buffer_load_dword v39, off, s[0:3], s32 offset:200 ; 4-byte Folded Reload
	v_mov_b32_e32 v58, 0
	s_waitcnt vmcnt(0) lgkmcnt(0)
	v_cmp_ne_u16_sdwa s[6:7], v48, v31 src0_sel:BYTE_0 src1_sel:DWORD
	flat_load_dword v56, v[38:39]
	v_mov_b32_e32 v38, 0
	s_and_saveexec_b64 s[26:27], s[6:7]
	s_cbranch_execz .LBB310_1525
; %bb.1520:                             ;   in Loop: Header=BB310_818 Depth=1
	v_cmp_ne_u16_sdwa s[6:7], v48, s9 src0_sel:BYTE_0 src1_sel:DWORD
	v_bfrev_b32_e32 v38, 1
	s_and_saveexec_b64 s[28:29], s[6:7]
	s_cbranch_execz .LBB310_1524
; %bb.1521:                             ;   in Loop: Header=BB310_818 Depth=1
	v_and_b32_e32 v13, 0x7f, v48
	v_cmp_ne_u32_e64 s[6:7], s15, v13
	v_mov_b32_e32 v38, 0x7fc02000
	s_and_saveexec_b64 s[30:31], s[6:7]
	s_cbranch_execz .LBB310_1523
; %bb.1522:                             ;   in Loop: Header=BB310_818 Depth=1
	v_and_b32_e32 v16, 7, v48
	v_ffbh_u32_e32 v16, v16
	v_min_u32_e32 v16, 32, v16
	v_subrev_u32_e32 v38, 28, v16
	v_cmp_gt_u32_e64 s[6:7], 8, v13
	v_lshrrev_b32_e32 v30, 3, v13
	v_sub_u32_e32 v16, 29, v16
	v_cndmask_b32_e64 v13, 0, v38, s[6:7]
	v_lshlrev_b64 v[38:39], v13, v[48:49]
	v_cndmask_b32_e64 v13, v30, v16, s[6:7]
	v_lshlrev_b32_e32 v30, 8, v48
	v_lshl_add_u32 v13, v13, 10, v35
	v_lshlrev_b32_e32 v16, 7, v38
	v_and_or_b32 v13, v30, s34, v13
	v_and_or_b32 v13, v16, s35, v13
	v_cvt_f32_f16_e32 v38, v13
.LBB310_1523:                           ;   in Loop: Header=BB310_818 Depth=1
	s_or_b64 exec, exec, s[30:31]
.LBB310_1524:                           ;   in Loop: Header=BB310_818 Depth=1
	s_or_b64 exec, exec, s[28:29]
.LBB310_1525:                           ;   in Loop: Header=BB310_818 Depth=1
	s_or_b64 exec, exec, s[26:27]
	v_lshrrev_b16_e32 v30, 8, v48
	v_cmp_ne_u16_e64 s[6:7], 0, v30
	s_and_saveexec_b64 s[26:27], s[6:7]
	s_cbranch_execz .LBB310_1531
; %bb.1526:                             ;   in Loop: Header=BB310_818 Depth=1
	v_cmp_ne_u16_e64 s[6:7], s9, v30
	v_bfrev_b32_e32 v58, 1
	s_and_saveexec_b64 s[28:29], s[6:7]
	s_cbranch_execz .LBB310_1530
; %bb.1527:                             ;   in Loop: Header=BB310_818 Depth=1
	v_and_b32_e32 v13, 0x7f, v30
	v_cmp_ne_u32_e64 s[6:7], s15, v13
	v_mov_b32_e32 v58, 0x7fc02000
	s_and_saveexec_b64 s[30:31], s[6:7]
	s_cbranch_execz .LBB310_1529
; %bb.1528:                             ;   in Loop: Header=BB310_818 Depth=1
	v_and_b32_e32 v16, 7, v30
	v_ffbh_u32_e32 v52, v16
	v_min_u32_e32 v52, 32, v52
	v_lshrrev_b32_e32 v39, 3, v13
	v_subrev_u32_e32 v47, 28, v52
	v_sub_u32_e32 v52, 29, v52
	v_cmp_gt_u32_e64 s[6:7], 8, v13
	v_lshlrev_b64 v[58:59], v47, v[30:31]
	v_cndmask_b32_e64 v13, v39, v52, s[6:7]
	v_and_b32_e32 v47, 7, v58
	v_lshlrev_b32_e32 v30, 8, v30
	v_lshl_add_u32 v13, v13, 10, v35
	v_cndmask_b32_e64 v16, v16, v47, s[6:7]
	v_and_or_b32 v13, v30, s34, v13
	v_lshl_or_b32 v13, v16, 7, v13
	v_cvt_f32_f16_e32 v58, v13
.LBB310_1529:                           ;   in Loop: Header=BB310_818 Depth=1
	s_or_b64 exec, exec, s[30:31]
.LBB310_1530:                           ;   in Loop: Header=BB310_818 Depth=1
	s_or_b64 exec, exec, s[28:29]
.LBB310_1531:                           ;   in Loop: Header=BB310_818 Depth=1
	s_or_b64 exec, exec, s[26:27]
	v_lshrrev_b32_e32 v30, 16, v48
	v_cmp_ne_u16_sdwa s[6:7], v30, v31 src0_sel:BYTE_0 src1_sel:DWORD
	v_mov_b32_e32 v59, 0
	v_mov_b32_e32 v39, 0
	s_and_saveexec_b64 s[26:27], s[6:7]
	s_cbranch_execz .LBB310_1537
; %bb.1532:                             ;   in Loop: Header=BB310_818 Depth=1
	v_cmp_ne_u16_sdwa s[6:7], v30, s9 src0_sel:BYTE_0 src1_sel:DWORD
	v_bfrev_b32_e32 v39, 1
	s_and_saveexec_b64 s[28:29], s[6:7]
	s_cbranch_execz .LBB310_1536
; %bb.1533:                             ;   in Loop: Header=BB310_818 Depth=1
	v_bfe_u32 v13, v48, 16, 7
	v_cmp_ne_u32_e64 s[6:7], s15, v13
	v_mov_b32_e32 v39, 0x7fc02000
	s_and_saveexec_b64 s[30:31], s[6:7]
	s_cbranch_execz .LBB310_1535
; %bb.1534:                             ;   in Loop: Header=BB310_818 Depth=1
	v_and_b32_e32 v16, 7, v30
	v_ffbh_u32_e32 v52, v16
	v_min_u32_e32 v52, 32, v52
	v_lshrrev_b32_e32 v39, 3, v13
	v_subrev_u32_e32 v47, 28, v52
	v_sub_u32_e32 v52, 29, v52
	v_cmp_gt_u32_e64 s[6:7], 8, v13
	v_lshlrev_b64 v[60:61], v47, v[30:31]
	v_cndmask_b32_e64 v13, v39, v52, s[6:7]
	v_and_b32_e32 v47, 7, v60
	v_lshlrev_b32_e32 v30, 8, v30
	v_lshl_add_u32 v13, v13, 10, v35
	v_cndmask_b32_e64 v16, v16, v47, s[6:7]
	v_and_or_b32 v13, v30, s34, v13
	v_lshl_or_b32 v13, v16, 7, v13
	v_cvt_f32_f16_e32 v39, v13
.LBB310_1535:                           ;   in Loop: Header=BB310_818 Depth=1
	s_or_b64 exec, exec, s[30:31]
.LBB310_1536:                           ;   in Loop: Header=BB310_818 Depth=1
	s_or_b64 exec, exec, s[28:29]
.LBB310_1537:                           ;   in Loop: Header=BB310_818 Depth=1
	s_or_b64 exec, exec, s[26:27]
	v_cmp_lt_u32_e64 s[6:7], s17, v48
	s_and_saveexec_b64 s[26:27], s[6:7]
	s_cbranch_execz .LBB310_1543
; %bb.1538:                             ;   in Loop: Header=BB310_818 Depth=1
	v_lshrrev_b32_e32 v30, 24, v48
	v_cmp_ne_u32_e64 s[6:7], s9, v30
	v_bfrev_b32_e32 v59, 1
	s_and_saveexec_b64 s[28:29], s[6:7]
	s_cbranch_execz .LBB310_1542
; %bb.1539:                             ;   in Loop: Header=BB310_818 Depth=1
	v_and_b32_e32 v13, 0x7f, v30
	v_cmp_ne_u32_e64 s[6:7], s15, v13
	v_mov_b32_e32 v59, 0x7fc02000
	s_and_saveexec_b64 s[30:31], s[6:7]
	s_cbranch_execz .LBB310_1541
; %bb.1540:                             ;   in Loop: Header=BB310_818 Depth=1
	v_and_b32_e32 v16, 7, v30
	v_ffbh_u32_e32 v47, v16
	v_min_u32_e32 v47, 32, v47
	v_lshrrev_b32_e32 v52, 3, v13
	v_subrev_u32_e32 v57, 28, v47
	v_sub_u32_e32 v47, 29, v47
	v_cmp_gt_u32_e64 s[6:7], 8, v13
	v_lshlrev_b64 v[60:61], v57, v[30:31]
	v_cndmask_b32_e64 v13, v52, v47, s[6:7]
	v_and_b32_e32 v57, 7, v60
	v_lshlrev_b32_e32 v30, 8, v30
	v_lshl_add_u32 v13, v13, 10, v35
	v_cndmask_b32_e64 v16, v16, v57, s[6:7]
	v_and_or_b32 v13, v30, s34, v13
	v_lshl_or_b32 v13, v16, 7, v13
	v_cvt_f32_f16_e32 v59, v13
.LBB310_1541:                           ;   in Loop: Header=BB310_818 Depth=1
	s_or_b64 exec, exec, s[30:31]
.LBB310_1542:                           ;   in Loop: Header=BB310_818 Depth=1
	s_or_b64 exec, exec, s[28:29]
.LBB310_1543:                           ;   in Loop: Header=BB310_818 Depth=1
	s_or_b64 exec, exec, s[26:27]
	v_mov_b32_e32 v30, v49
	v_cmp_ne_u16_sdwa s[6:7], v49, v31 src0_sel:BYTE_0 src1_sel:DWORD
	v_mov_b32_e32 v16, 0
	v_mov_b32_e32 v13, 0
	s_and_saveexec_b64 s[26:27], s[6:7]
	s_cbranch_execz .LBB310_1549
; %bb.1544:                             ;   in Loop: Header=BB310_818 Depth=1
	v_cmp_ne_u16_sdwa s[6:7], v49, s9 src0_sel:BYTE_0 src1_sel:DWORD
	v_bfrev_b32_e32 v13, 1
	s_and_saveexec_b64 s[28:29], s[6:7]
	s_cbranch_execz .LBB310_1548
; %bb.1545:                             ;   in Loop: Header=BB310_818 Depth=1
	v_and_b32_e32 v52, 0x7f, v49
	v_cmp_ne_u32_e64 s[6:7], s15, v52
	v_mov_b32_e32 v13, 0x7fc02000
	s_and_saveexec_b64 s[30:31], s[6:7]
	s_cbranch_execz .LBB310_1547
; %bb.1546:                             ;   in Loop: Header=BB310_818 Depth=1
	v_and_b32_e32 v13, 7, v49
	v_ffbh_u32_e32 v13, v13
	v_min_u32_e32 v13, 32, v13
	v_lshrrev_b32_e32 v47, 3, v52
	v_subrev_u32_e32 v57, 28, v13
	v_sub_u32_e32 v13, 29, v13
	v_cmp_gt_u32_e64 s[6:7], 8, v52
	v_cndmask_b32_e64 v52, 0, v57, s[6:7]
	v_cndmask_b32_e64 v13, v47, v13, s[6:7]
	v_lshlrev_b64 v[60:61], v52, v[30:31]
	v_lshlrev_b32_e32 v47, 8, v49
	v_lshl_add_u32 v13, v13, 10, v35
	v_lshlrev_b32_e32 v52, 7, v60
	v_and_or_b32 v13, v47, s34, v13
	v_and_or_b32 v13, v52, s35, v13
	v_cvt_f32_f16_e32 v13, v13
.LBB310_1547:                           ;   in Loop: Header=BB310_818 Depth=1
	s_or_b64 exec, exec, s[30:31]
.LBB310_1548:                           ;   in Loop: Header=BB310_818 Depth=1
	s_or_b64 exec, exec, s[28:29]
.LBB310_1549:                           ;   in Loop: Header=BB310_818 Depth=1
	s_or_b64 exec, exec, s[26:27]
	v_lshrrev_b16_e32 v30, 8, v30
	v_cmp_ne_u16_e64 s[6:7], 0, v30
	s_and_saveexec_b64 s[26:27], s[6:7]
	s_cbranch_execz .LBB310_1555
; %bb.1550:                             ;   in Loop: Header=BB310_818 Depth=1
	v_cmp_ne_u16_e64 s[6:7], s9, v30
	v_bfrev_b32_e32 v16, 1
	s_and_saveexec_b64 s[28:29], s[6:7]
	s_cbranch_execz .LBB310_1554
; %bb.1551:                             ;   in Loop: Header=BB310_818 Depth=1
	v_and_b32_e32 v52, 0x7f, v30
	v_cmp_ne_u32_e64 s[6:7], s15, v52
	v_mov_b32_e32 v16, 0x7fc02000
	s_and_saveexec_b64 s[30:31], s[6:7]
	s_cbranch_execz .LBB310_1553
; %bb.1552:                             ;   in Loop: Header=BB310_818 Depth=1
	v_and_b32_e32 v16, 7, v30
	v_ffbh_u32_e32 v57, v16
	v_min_u32_e32 v57, 32, v57
	v_lshrrev_b32_e32 v47, 3, v52
	v_subrev_u32_e32 v60, 28, v57
	v_sub_u32_e32 v57, 29, v57
	v_cmp_gt_u32_e64 s[6:7], 8, v52
	v_lshlrev_b64 v[60:61], v60, v[30:31]
	v_cndmask_b32_e64 v52, v47, v57, s[6:7]
	v_and_b32_e32 v60, 7, v60
	v_lshlrev_b32_e32 v30, 8, v30
	v_lshl_add_u32 v52, v52, 10, v35
	v_cndmask_b32_e64 v16, v16, v60, s[6:7]
	v_and_or_b32 v30, v30, s34, v52
	v_lshl_or_b32 v16, v16, 7, v30
	v_cvt_f32_f16_e32 v16, v16
.LBB310_1553:                           ;   in Loop: Header=BB310_818 Depth=1
	s_or_b64 exec, exec, s[30:31]
.LBB310_1554:                           ;   in Loop: Header=BB310_818 Depth=1
	s_or_b64 exec, exec, s[28:29]
.LBB310_1555:                           ;   in Loop: Header=BB310_818 Depth=1
	s_or_b64 exec, exec, s[26:27]
	v_lshrrev_b32_e32 v30, 16, v49
	v_cmp_ne_u16_sdwa s[6:7], v30, v31 src0_sel:BYTE_0 src1_sel:DWORD
	v_mov_b32_e32 v52, 0
	v_mov_b32_e32 v47, 0
	s_and_saveexec_b64 s[26:27], s[6:7]
	s_cbranch_execz .LBB310_1561
; %bb.1556:                             ;   in Loop: Header=BB310_818 Depth=1
	v_cmp_ne_u16_sdwa s[6:7], v30, s9 src0_sel:BYTE_0 src1_sel:DWORD
	v_bfrev_b32_e32 v47, 1
	s_and_saveexec_b64 s[28:29], s[6:7]
	s_cbranch_execz .LBB310_1560
; %bb.1557:                             ;   in Loop: Header=BB310_818 Depth=1
	v_bfe_u32 v57, v49, 16, 7
	v_cmp_ne_u32_e64 s[6:7], s15, v57
	v_mov_b32_e32 v47, 0x7fc02000
	s_and_saveexec_b64 s[30:31], s[6:7]
	s_cbranch_execz .LBB310_1559
; %bb.1558:                             ;   in Loop: Header=BB310_818 Depth=1
	v_and_b32_e32 v47, 7, v30
	v_ffbh_u32_e32 v60, v47
	v_min_u32_e32 v45, 32, v60
	v_lshrrev_b32_e32 v62, 3, v57
	v_subrev_u32_e32 v60, 28, v45
	v_sub_u32_e32 v45, 29, v45
	v_cmp_gt_u32_e64 s[6:7], 8, v57
	v_lshlrev_b64 v[60:61], v60, v[30:31]
	v_cndmask_b32_e64 v45, v62, v45, s[6:7]
	v_and_b32_e32 v60, 7, v60
	v_lshlrev_b32_e32 v30, 8, v30
	v_lshl_add_u32 v45, v45, 10, v35
	v_cndmask_b32_e64 v47, v47, v60, s[6:7]
	v_and_or_b32 v30, v30, s34, v45
	v_lshl_or_b32 v30, v47, 7, v30
	v_cvt_f32_f16_e32 v47, v30
	v_accvgpr_read_b32 v62, a15
.LBB310_1559:                           ;   in Loop: Header=BB310_818 Depth=1
	s_or_b64 exec, exec, s[30:31]
.LBB310_1560:                           ;   in Loop: Header=BB310_818 Depth=1
	s_or_b64 exec, exec, s[28:29]
.LBB310_1561:                           ;   in Loop: Header=BB310_818 Depth=1
	s_or_b64 exec, exec, s[26:27]
	v_cmp_lt_u64_e64 s[6:7], s[16:17], v[48:49]
	s_and_saveexec_b64 s[26:27], s[6:7]
	s_cbranch_execz .LBB310_1567
; %bb.1562:                             ;   in Loop: Header=BB310_818 Depth=1
	v_lshrrev_b32_e32 v30, 24, v49
	v_cmp_ne_u32_e64 s[6:7], s9, v30
	v_bfrev_b32_e32 v52, 1
	s_and_saveexec_b64 s[28:29], s[6:7]
	s_cbranch_execz .LBB310_1566
; %bb.1563:                             ;   in Loop: Header=BB310_818 Depth=1
	v_and_b32_e32 v48, 0x7f, v30
	v_cmp_ne_u32_e64 s[6:7], s15, v48
	v_mov_b32_e32 v52, 0x7fc02000
	s_and_saveexec_b64 s[30:31], s[6:7]
	s_cbranch_execz .LBB310_1565
; %bb.1564:                             ;   in Loop: Header=BB310_818 Depth=1
	v_and_b32_e32 v49, 7, v30
	v_ffbh_u32_e32 v45, v49
	v_min_u32_e32 v45, 32, v45
	v_lshrrev_b32_e32 v52, 3, v48
	v_subrev_u32_e32 v57, 28, v45
	v_sub_u32_e32 v45, 29, v45
	v_cmp_gt_u32_e64 s[6:7], 8, v48
	v_lshlrev_b64 v[60:61], v57, v[30:31]
	v_cndmask_b32_e64 v48, v52, v45, s[6:7]
	v_and_b32_e32 v57, 7, v60
	v_lshlrev_b32_e32 v30, 8, v30
	v_lshl_add_u32 v48, v48, 10, v35
	v_cndmask_b32_e64 v49, v49, v57, s[6:7]
	v_and_or_b32 v30, v30, s34, v48
	v_lshl_or_b32 v30, v49, 7, v30
	v_cvt_f32_f16_e32 v52, v30
.LBB310_1565:                           ;   in Loop: Header=BB310_818 Depth=1
	s_or_b64 exec, exec, s[30:31]
.LBB310_1566:                           ;   in Loop: Header=BB310_818 Depth=1
	s_or_b64 exec, exec, s[28:29]
.LBB310_1567:                           ;   in Loop: Header=BB310_818 Depth=1
	s_or_b64 exec, exec, s[26:27]
	s_waitcnt vmcnt(0) lgkmcnt(0)
	v_pk_mul_f32 v[48:49], v[56:57], v[58:59] op_sel_hi:[0,1]
	v_pk_mul_f32 v[38:39], v[56:57], v[38:39] op_sel_hi:[0,1]
	v_cvt_f16_f32_e32 v30, v49
	v_cvt_f16_f32_e32 v48, v48
	;; [unrolled: 1-line block ×4, first 2 shown]
	v_fma_mixlo_f16 v16, v56, v16, 0
	v_lshlrev_b32_e32 v16, 16, v16
	v_fma_mixlo_f16 v13, v56, v13, 0
	v_or_b32_sdwa v13, v16, v13 dst_sel:DWORD dst_unused:UNUSED_PAD src0_sel:DWORD src1_sel:WORD_0
	v_fma_mixlo_f16 v16, v56, v52, 0
	v_pack_b32_f16 v48, v48, v30
	v_pack_b32_f16 v38, v38, v39
	v_fma_mixlo_f16 v39, v56, v47, 0
	v_lshlrev_b32_e32 v16, 16, v16
	v_perm_b32 v30, v38, v48, s36
	v_perm_b32 v38, v38, v48, s37
	v_or_b32_sdwa v16, v16, v39 dst_sel:DWORD dst_unused:UNUSED_PAD src0_sel:DWORD src1_sel:WORD_0
	s_and_saveexec_b64 s[26:27], vcc
	s_cbranch_execz .LBB310_1569
; %bb.1568:                             ;   in Loop: Header=BB310_818 Depth=1
	buffer_load_dword a2, off, s[0:3], s32 offset:204 ; 4-byte Folded Reload
	buffer_load_dword a3, off, s[0:3], s32 offset:208 ; 4-byte Folded Reload
	v_lshrrev_b32_e32 v48, 16, v38
	v_cmp_lt_i32_e64 s[6:7], v53, v7
	v_cndmask_b32_e64 v48, 0, v48, s[6:7]
	v_lshrrev_b32_e32 v16, 16, v16
	s_waitcnt vmcnt(1)
	v_accvgpr_read_b32 v52, a2
	v_cmp_lt_i32_e64 s[6:7], v4, v52
	v_cndmask_b32_e64 v38, 0, v38, s[6:7]
	v_perm_b32 v38, v48, v38, s38
	v_lshrrev_b32_e32 v48, 16, v30
	v_cmp_lt_i32_e64 s[6:7], v43, v7
	v_cndmask_b32_e64 v48, 0, v48, s[6:7]
	v_cmp_lt_i32_e64 s[6:7], v34, v52
	v_cndmask_b32_e64 v30, 0, v30, s[6:7]
	v_perm_b32 v30, v48, v30, s38
	v_lshrrev_b32_e32 v48, 16, v13
	v_cmp_lt_i32_e64 s[6:7], v40, v7
	v_cndmask_b32_e64 v48, 0, v48, s[6:7]
	v_cmp_lt_i32_e64 s[6:7], v28, v52
	v_cndmask_b32_e64 v13, 0, v13, s[6:7]
	;; [unrolled: 2-line block ×4, first 2 shown]
	v_perm_b32 v13, v48, v13, s38
	v_perm_b32 v16, v16, v39, s38
.LBB310_1569:                           ;   in Loop: Header=BB310_818 Depth=1
	s_or_b64 exec, exec, s[26:27]
	;;#ASMSTART
	v_pk_mul_f16 v38, v44, v38;

	;;#ASMEND
	;;#ASMSTART
	v_pk_mul_f16 v30, v42, v30;

	;;#ASMEND
	;; [unrolled: 4-line block ×4, first 2 shown]
	;;#ASMSTART
	v_pk_add_f16 v30, v38, v30;

	;;#ASMEND
	;;#ASMSTART
	v_pk_add_f16 v13, v30, v13;

	;;#ASMEND
	v_accvgpr_read_b32 v30, a46
	;;#ASMSTART
	v_pk_add_f16 v13, v13, v16;

	;;#ASMEND
	v_add_co_u32_e64 v20, s[6:7], v20, v30
	v_lshrrev_b32_e32 v16, 16, v13
	v_and_b32_e32 v13, 0xffff, v13
	v_addc_co_u32_e64 v21, s[6:7], 0, v21, s[6:7]
	;;#ASMSTART
	v_cvt_f32_f16 v13, v13;
	;;#ASMEND
	;;#ASMSTART
	v_cvt_f32_f16 v16, v16;
	;;#ASMEND
	flat_load_dwordx2 v[48:49], v[20:21]
	s_nop 0
	buffer_load_dword v20, off, s[0:3], s32 offset:196 ; 4-byte Folded Reload
	buffer_load_dword v21, off, s[0:3], s32 offset:200 ; 4-byte Folded Reload
	v_mov_b32_e32 v56, 0
	v_mov_b32_e32 v38, 0
	s_waitcnt vmcnt(0) lgkmcnt(0)
	v_cmp_ne_u16_sdwa s[6:7], v48, v31 src0_sel:BYTE_0 src1_sel:DWORD
	flat_load_dword v20, v[20:21]
	s_and_saveexec_b64 s[26:27], s[6:7]
	s_cbranch_execz .LBB310_1575
; %bb.1570:                             ;   in Loop: Header=BB310_818 Depth=1
	v_cmp_ne_u16_sdwa s[6:7], v48, s9 src0_sel:BYTE_0 src1_sel:DWORD
	v_bfrev_b32_e32 v38, 1
	s_and_saveexec_b64 s[28:29], s[6:7]
	s_cbranch_execz .LBB310_1574
; %bb.1571:                             ;   in Loop: Header=BB310_818 Depth=1
	v_and_b32_e32 v21, 0x7f, v48
	v_cmp_ne_u32_e64 s[6:7], s15, v21
	v_mov_b32_e32 v38, 0x7fc02000
	s_and_saveexec_b64 s[30:31], s[6:7]
	s_cbranch_execz .LBB310_1573
; %bb.1572:                             ;   in Loop: Header=BB310_818 Depth=1
	v_and_b32_e32 v30, 7, v48
	v_ffbh_u32_e32 v30, v30
	v_min_u32_e32 v30, 32, v30
	v_subrev_u32_e32 v38, 28, v30
	v_cmp_gt_u32_e64 s[6:7], 8, v21
	v_lshrrev_b32_e32 v52, 3, v21
	v_sub_u32_e32 v30, 29, v30
	v_cndmask_b32_e64 v21, 0, v38, s[6:7]
	v_lshlrev_b64 v[38:39], v21, v[48:49]
	v_cndmask_b32_e64 v21, v52, v30, s[6:7]
	v_lshlrev_b32_e32 v30, 7, v38
	v_lshlrev_b32_e32 v38, 8, v48
	v_lshl_add_u32 v21, v21, 10, v35
	v_and_or_b32 v21, v38, s34, v21
	v_and_or_b32 v21, v30, s35, v21
	v_cvt_f32_f16_e32 v38, v21
.LBB310_1573:                           ;   in Loop: Header=BB310_818 Depth=1
	s_or_b64 exec, exec, s[30:31]
.LBB310_1574:                           ;   in Loop: Header=BB310_818 Depth=1
	s_or_b64 exec, exec, s[28:29]
.LBB310_1575:                           ;   in Loop: Header=BB310_818 Depth=1
	s_or_b64 exec, exec, s[26:27]
	v_lshrrev_b16_e32 v30, 8, v48
	v_cmp_ne_u16_e64 s[6:7], 0, v30
	s_and_saveexec_b64 s[26:27], s[6:7]
	s_cbranch_execz .LBB310_1581
; %bb.1576:                             ;   in Loop: Header=BB310_818 Depth=1
	v_cmp_ne_u16_e64 s[6:7], s9, v30
	v_bfrev_b32_e32 v56, 1
	s_and_saveexec_b64 s[28:29], s[6:7]
	s_cbranch_execz .LBB310_1580
; %bb.1577:                             ;   in Loop: Header=BB310_818 Depth=1
	v_and_b32_e32 v21, 0x7f, v30
	v_cmp_ne_u32_e64 s[6:7], s15, v21
	v_mov_b32_e32 v56, 0x7fc02000
	s_and_saveexec_b64 s[30:31], s[6:7]
	s_cbranch_execz .LBB310_1579
; %bb.1578:                             ;   in Loop: Header=BB310_818 Depth=1
	v_and_b32_e32 v39, 7, v30
	v_ffbh_u32_e32 v45, v39
	v_min_u32_e32 v45, 32, v45
	v_lshrrev_b32_e32 v52, 3, v21
	v_subrev_u32_e32 v47, 28, v45
	v_sub_u32_e32 v45, 29, v45
	v_cmp_gt_u32_e64 s[6:7], 8, v21
	v_lshlrev_b64 v[56:57], v47, v[30:31]
	v_cndmask_b32_e64 v21, v52, v45, s[6:7]
	v_and_b32_e32 v47, 7, v56
	v_lshlrev_b32_e32 v30, 8, v30
	v_lshl_add_u32 v21, v21, 10, v35
	v_cndmask_b32_e64 v39, v39, v47, s[6:7]
	v_and_or_b32 v21, v30, s34, v21
	v_lshl_or_b32 v21, v39, 7, v21
	v_cvt_f32_f16_e32 v56, v21
.LBB310_1579:                           ;   in Loop: Header=BB310_818 Depth=1
	s_or_b64 exec, exec, s[30:31]
.LBB310_1580:                           ;   in Loop: Header=BB310_818 Depth=1
	s_or_b64 exec, exec, s[28:29]
.LBB310_1581:                           ;   in Loop: Header=BB310_818 Depth=1
	s_or_b64 exec, exec, s[26:27]
	v_lshrrev_b32_e32 v30, 16, v48
	v_cmp_ne_u16_sdwa s[6:7], v30, v31 src0_sel:BYTE_0 src1_sel:DWORD
	v_mov_b32_e32 v57, 0
	v_mov_b32_e32 v39, 0
	s_and_saveexec_b64 s[26:27], s[6:7]
	s_cbranch_execz .LBB310_1587
; %bb.1582:                             ;   in Loop: Header=BB310_818 Depth=1
	v_cmp_ne_u16_sdwa s[6:7], v30, s9 src0_sel:BYTE_0 src1_sel:DWORD
	v_bfrev_b32_e32 v39, 1
	s_and_saveexec_b64 s[28:29], s[6:7]
	s_cbranch_execz .LBB310_1586
; %bb.1583:                             ;   in Loop: Header=BB310_818 Depth=1
	v_bfe_u32 v21, v48, 16, 7
	v_cmp_ne_u32_e64 s[6:7], s15, v21
	v_mov_b32_e32 v39, 0x7fc02000
	s_and_saveexec_b64 s[30:31], s[6:7]
	s_cbranch_execz .LBB310_1585
; %bb.1584:                             ;   in Loop: Header=BB310_818 Depth=1
	v_and_b32_e32 v39, 7, v30
	v_ffbh_u32_e32 v45, v39
	v_min_u32_e32 v45, 32, v45
	v_lshrrev_b32_e32 v52, 3, v21
	v_subrev_u32_e32 v47, 28, v45
	v_sub_u32_e32 v45, 29, v45
	v_cmp_gt_u32_e64 s[6:7], 8, v21
	v_lshlrev_b64 v[58:59], v47, v[30:31]
	v_cndmask_b32_e64 v21, v52, v45, s[6:7]
	v_and_b32_e32 v47, 7, v58
	v_lshlrev_b32_e32 v30, 8, v30
	v_lshl_add_u32 v21, v21, 10, v35
	v_cndmask_b32_e64 v39, v39, v47, s[6:7]
	v_and_or_b32 v21, v30, s34, v21
	v_lshl_or_b32 v21, v39, 7, v21
	v_cvt_f32_f16_e32 v39, v21
.LBB310_1585:                           ;   in Loop: Header=BB310_818 Depth=1
	s_or_b64 exec, exec, s[30:31]
.LBB310_1586:                           ;   in Loop: Header=BB310_818 Depth=1
	s_or_b64 exec, exec, s[28:29]
.LBB310_1587:                           ;   in Loop: Header=BB310_818 Depth=1
	s_or_b64 exec, exec, s[26:27]
	v_cmp_lt_u32_e64 s[6:7], s17, v48
	s_and_saveexec_b64 s[26:27], s[6:7]
	s_cbranch_execz .LBB310_1593
; %bb.1588:                             ;   in Loop: Header=BB310_818 Depth=1
	v_lshrrev_b32_e32 v30, 24, v48
	v_cmp_ne_u32_e64 s[6:7], s9, v30
	v_bfrev_b32_e32 v57, 1
	s_and_saveexec_b64 s[28:29], s[6:7]
	s_cbranch_execz .LBB310_1592
; %bb.1589:                             ;   in Loop: Header=BB310_818 Depth=1
	v_and_b32_e32 v21, 0x7f, v30
	v_cmp_ne_u32_e64 s[6:7], s15, v21
	v_mov_b32_e32 v57, 0x7fc02000
	s_and_saveexec_b64 s[30:31], s[6:7]
	s_cbranch_execz .LBB310_1591
; %bb.1590:                             ;   in Loop: Header=BB310_818 Depth=1
	v_and_b32_e32 v52, 7, v30
	v_ffbh_u32_e32 v47, v52
	v_min_u32_e32 v47, 32, v47
	v_lshrrev_b32_e32 v45, 3, v21
	v_subrev_u32_e32 v57, 28, v47
	v_sub_u32_e32 v47, 29, v47
	v_cmp_gt_u32_e64 s[6:7], 8, v21
	v_lshlrev_b64 v[58:59], v57, v[30:31]
	v_cndmask_b32_e64 v21, v45, v47, s[6:7]
	v_and_b32_e32 v57, 7, v58
	v_lshlrev_b32_e32 v30, 8, v30
	v_lshl_add_u32 v21, v21, 10, v35
	v_cndmask_b32_e64 v52, v52, v57, s[6:7]
	v_and_or_b32 v21, v30, s34, v21
	v_lshl_or_b32 v21, v52, 7, v21
	v_cvt_f32_f16_e32 v57, v21
.LBB310_1591:                           ;   in Loop: Header=BB310_818 Depth=1
	s_or_b64 exec, exec, s[30:31]
.LBB310_1592:                           ;   in Loop: Header=BB310_818 Depth=1
	s_or_b64 exec, exec, s[28:29]
.LBB310_1593:                           ;   in Loop: Header=BB310_818 Depth=1
	s_or_b64 exec, exec, s[26:27]
	v_mov_b32_e32 v30, v49
	v_cmp_ne_u16_sdwa s[6:7], v49, v31 src0_sel:BYTE_0 src1_sel:DWORD
	v_mov_b32_e32 v52, 0
	v_mov_b32_e32 v21, 0
	s_and_saveexec_b64 s[26:27], s[6:7]
	s_cbranch_execz .LBB310_1599
; %bb.1594:                             ;   in Loop: Header=BB310_818 Depth=1
	v_cmp_ne_u16_sdwa s[6:7], v49, s9 src0_sel:BYTE_0 src1_sel:DWORD
	v_bfrev_b32_e32 v21, 1
	s_and_saveexec_b64 s[28:29], s[6:7]
	s_cbranch_execz .LBB310_1598
; %bb.1595:                             ;   in Loop: Header=BB310_818 Depth=1
	v_and_b32_e32 v47, 0x7f, v49
	v_cmp_ne_u32_e64 s[6:7], s15, v47
	v_mov_b32_e32 v21, 0x7fc02000
	s_and_saveexec_b64 s[30:31], s[6:7]
	s_cbranch_execz .LBB310_1597
; %bb.1596:                             ;   in Loop: Header=BB310_818 Depth=1
	v_and_b32_e32 v21, 7, v49
	v_ffbh_u32_e32 v21, v21
	v_min_u32_e32 v21, 32, v21
	v_lshrrev_b32_e32 v45, 3, v47
	v_subrev_u32_e32 v58, 28, v21
	v_sub_u32_e32 v21, 29, v21
	v_cmp_gt_u32_e64 s[6:7], 8, v47
	v_cndmask_b32_e64 v47, 0, v58, s[6:7]
	v_cndmask_b32_e64 v21, v45, v21, s[6:7]
	v_lshlrev_b64 v[58:59], v47, v[30:31]
	v_lshlrev_b32_e32 v47, 8, v49
	v_lshl_add_u32 v21, v21, 10, v35
	v_lshlrev_b32_e32 v45, 7, v58
	v_and_or_b32 v21, v47, s34, v21
	v_and_or_b32 v21, v45, s35, v21
	v_cvt_f32_f16_e32 v21, v21
.LBB310_1597:                           ;   in Loop: Header=BB310_818 Depth=1
	s_or_b64 exec, exec, s[30:31]
.LBB310_1598:                           ;   in Loop: Header=BB310_818 Depth=1
	s_or_b64 exec, exec, s[28:29]
.LBB310_1599:                           ;   in Loop: Header=BB310_818 Depth=1
	s_or_b64 exec, exec, s[26:27]
	v_lshrrev_b16_e32 v30, 8, v30
	v_cmp_ne_u16_e64 s[6:7], 0, v30
	s_and_saveexec_b64 s[26:27], s[6:7]
	s_cbranch_execz .LBB310_1605
; %bb.1600:                             ;   in Loop: Header=BB310_818 Depth=1
	v_cmp_ne_u16_e64 s[6:7], s9, v30
	v_bfrev_b32_e32 v52, 1
	s_and_saveexec_b64 s[28:29], s[6:7]
	s_cbranch_execz .LBB310_1604
; %bb.1601:                             ;   in Loop: Header=BB310_818 Depth=1
	v_and_b32_e32 v47, 0x7f, v30
	v_cmp_ne_u32_e64 s[6:7], s15, v47
	v_mov_b32_e32 v52, 0x7fc02000
	s_and_saveexec_b64 s[30:31], s[6:7]
	s_cbranch_execz .LBB310_1603
; %bb.1602:                             ;   in Loop: Header=BB310_818 Depth=1
	v_and_b32_e32 v52, 7, v30
	v_ffbh_u32_e32 v58, v52
	v_min_u32_e32 v60, 32, v58
	v_subrev_u32_e32 v58, 28, v60
	v_lshlrev_b64 v[58:59], v58, v[30:31]
	v_lshrrev_b32_e32 v45, 3, v47
	v_sub_u32_e32 v59, 29, v60
	v_cmp_gt_u32_e64 s[6:7], 8, v47
	v_cndmask_b32_e64 v45, v45, v59, s[6:7]
	v_and_b32_e32 v58, 7, v58
	v_lshlrev_b32_e32 v30, 8, v30
	v_lshl_add_u32 v45, v45, 10, v35
	v_cndmask_b32_e64 v52, v52, v58, s[6:7]
	v_and_or_b32 v30, v30, s34, v45
	v_lshl_or_b32 v30, v52, 7, v30
	v_cvt_f32_f16_e32 v52, v30
.LBB310_1603:                           ;   in Loop: Header=BB310_818 Depth=1
	s_or_b64 exec, exec, s[30:31]
.LBB310_1604:                           ;   in Loop: Header=BB310_818 Depth=1
	s_or_b64 exec, exec, s[28:29]
.LBB310_1605:                           ;   in Loop: Header=BB310_818 Depth=1
	s_or_b64 exec, exec, s[26:27]
	v_lshrrev_b32_e32 v30, 16, v49
	v_cmp_ne_u16_sdwa s[6:7], v30, v31 src0_sel:BYTE_0 src1_sel:DWORD
	v_mov_b32_e32 v47, 0
	v_mov_b32_e32 v58, 0
	s_and_saveexec_b64 s[26:27], s[6:7]
	s_cbranch_execz .LBB310_1611
; %bb.1606:                             ;   in Loop: Header=BB310_818 Depth=1
	v_cmp_ne_u16_sdwa s[6:7], v30, s9 src0_sel:BYTE_0 src1_sel:DWORD
	v_bfrev_b32_e32 v58, 1
	s_and_saveexec_b64 s[28:29], s[6:7]
	s_cbranch_execz .LBB310_1610
; %bb.1607:                             ;   in Loop: Header=BB310_818 Depth=1
	v_bfe_u32 v59, v49, 16, 7
	v_cmp_ne_u32_e64 s[6:7], s15, v59
	v_mov_b32_e32 v58, 0x7fc02000
	s_and_saveexec_b64 s[30:31], s[6:7]
	s_cbranch_execz .LBB310_1609
; %bb.1608:                             ;   in Loop: Header=BB310_818 Depth=1
	v_and_b32_e32 v45, 7, v30
	v_ffbh_u32_e32 v60, v45
	v_min_u32_e32 v62, 32, v60
	v_subrev_u32_e32 v60, 28, v62
	v_lshlrev_b64 v[60:61], v60, v[30:31]
	v_lshrrev_b32_e32 v58, 3, v59
	v_sub_u32_e32 v61, 29, v62
	v_cmp_gt_u32_e64 s[6:7], 8, v59
	v_cndmask_b32_e64 v58, v58, v61, s[6:7]
	v_and_b32_e32 v60, 7, v60
	v_lshlrev_b32_e32 v30, 8, v30
	v_lshl_add_u32 v58, v58, 10, v35
	v_cndmask_b32_e64 v45, v45, v60, s[6:7]
	v_and_or_b32 v30, v30, s34, v58
	v_lshl_or_b32 v30, v45, 7, v30
	v_cvt_f32_f16_e32 v58, v30
	v_accvgpr_read_b32 v62, a15
.LBB310_1609:                           ;   in Loop: Header=BB310_818 Depth=1
	s_or_b64 exec, exec, s[30:31]
.LBB310_1610:                           ;   in Loop: Header=BB310_818 Depth=1
	s_or_b64 exec, exec, s[28:29]
.LBB310_1611:                           ;   in Loop: Header=BB310_818 Depth=1
	s_or_b64 exec, exec, s[26:27]
	v_cmp_lt_u64_e64 s[6:7], s[16:17], v[48:49]
	s_and_saveexec_b64 s[26:27], s[6:7]
	s_cbranch_execz .LBB310_1617
; %bb.1612:                             ;   in Loop: Header=BB310_818 Depth=1
	v_lshrrev_b32_e32 v30, 24, v49
	v_cmp_ne_u32_e64 s[6:7], s9, v30
	v_bfrev_b32_e32 v47, 1
	s_and_saveexec_b64 s[28:29], s[6:7]
	s_cbranch_execz .LBB310_1616
; %bb.1613:                             ;   in Loop: Header=BB310_818 Depth=1
	v_and_b32_e32 v48, 0x7f, v30
	v_cmp_ne_u32_e64 s[6:7], s15, v48
	v_mov_b32_e32 v47, 0x7fc02000
	s_and_saveexec_b64 s[30:31], s[6:7]
	s_cbranch_execz .LBB310_1615
; %bb.1614:                             ;   in Loop: Header=BB310_818 Depth=1
	v_and_b32_e32 v49, 7, v30
	v_ffbh_u32_e32 v47, v49
	v_min_u32_e32 v47, 32, v47
	v_lshrrev_b32_e32 v45, 3, v48
	v_subrev_u32_e32 v59, 28, v47
	v_sub_u32_e32 v47, 29, v47
	v_cmp_gt_u32_e64 s[6:7], 8, v48
	v_lshlrev_b64 v[60:61], v59, v[30:31]
	v_cndmask_b32_e64 v48, v45, v47, s[6:7]
	v_and_b32_e32 v59, 7, v60
	v_lshlrev_b32_e32 v30, 8, v30
	v_lshl_add_u32 v48, v48, 10, v35
	v_cndmask_b32_e64 v49, v49, v59, s[6:7]
	v_and_or_b32 v30, v30, s34, v48
	v_lshl_or_b32 v30, v49, 7, v30
	v_cvt_f32_f16_e32 v47, v30
.LBB310_1615:                           ;   in Loop: Header=BB310_818 Depth=1
	s_or_b64 exec, exec, s[30:31]
.LBB310_1616:                           ;   in Loop: Header=BB310_818 Depth=1
	s_or_b64 exec, exec, s[28:29]
.LBB310_1617:                           ;   in Loop: Header=BB310_818 Depth=1
	s_or_b64 exec, exec, s[26:27]
	s_waitcnt vmcnt(0) lgkmcnt(0)
	v_pk_mul_f32 v[38:39], v[20:21], v[38:39] op_sel_hi:[0,1]
	v_cvt_f16_f32_e32 v39, v39
	v_cvt_f16_f32_e32 v38, v38
	v_pk_mul_f32 v[48:49], v[20:21], v[56:57] op_sel_hi:[0,1]
	v_cvt_f16_f32_e32 v30, v49
	v_cvt_f16_f32_e32 v48, v48
	v_pack_b32_f16 v38, v38, v39
	v_fma_mixlo_f16 v39, v20, v52, 0
	v_lshlrev_b32_e32 v39, 16, v39
	v_fma_mixlo_f16 v21, v20, v21, 0
	v_or_b32_sdwa v21, v39, v21 dst_sel:DWORD dst_unused:UNUSED_PAD src0_sel:DWORD src1_sel:WORD_0
	v_fma_mixlo_f16 v39, v20, v58, 0
	v_fma_mixlo_f16 v20, v20, v47, 0
	v_pack_b32_f16 v48, v48, v30
	v_lshlrev_b32_e32 v20, 16, v20
	v_perm_b32 v30, v38, v48, s36
	v_perm_b32 v38, v38, v48, s37
	v_or_b32_sdwa v20, v20, v39 dst_sel:DWORD dst_unused:UNUSED_PAD src0_sel:DWORD src1_sel:WORD_0
	s_and_saveexec_b64 s[6:7], vcc
	s_cbranch_execz .LBB310_816
; %bb.1618:                             ;   in Loop: Header=BB310_818 Depth=1
	v_cmp_lt_i32_e32 vcc, v53, v7
	buffer_load_dword v52, off, s[0:3], s32 offset:204 ; 4-byte Folded Reload
	buffer_load_dword v53, off, s[0:3], s32 offset:208 ; 4-byte Folded Reload
	v_lshrrev_b32_e32 v48, 16, v38
	v_cndmask_b32_e32 v48, 0, v48, vcc
	s_waitcnt vmcnt(1)
	v_cmp_lt_i32_e32 vcc, v4, v52
	v_cndmask_b32_e32 v4, 0, v38, vcc
	v_perm_b32 v38, v48, v4, s38
	v_lshrrev_b32_e32 v4, 16, v30
	v_cmp_lt_i32_e32 vcc, v43, v7
	v_cndmask_b32_e32 v4, 0, v4, vcc
	v_cmp_lt_i32_e32 vcc, v34, v52
	v_cndmask_b32_e32 v30, 0, v30, vcc
	v_perm_b32 v30, v4, v30, s38
	v_lshrrev_b32_e32 v4, 16, v21
	v_cmp_lt_i32_e32 vcc, v40, v7
	v_cndmask_b32_e32 v4, 0, v4, vcc
	;; [unrolled: 6-line block ×3, first 2 shown]
	v_cmp_lt_i32_e32 vcc, v18, v52
	v_cndmask_b32_e32 v18, 0, v39, vcc
	v_perm_b32 v20, v4, v18, s38
	s_branch .LBB310_816
.LBB310_1619:
	s_or_b64 exec, exec, s[22:23]
	v_accvgpr_read_b32 v38, a0
	v_accvgpr_read_b32 v29, a17
	;; [unrolled: 1-line block ×4, first 2 shown]
.LBB310_1620:
	s_or_b64 exec, exec, s[12:13]
	ds_bpermute_b32 v4, v31, v36
	ds_bpermute_b32 v5, v31, v37
	;; [unrolled: 1-line block ×6, first 2 shown]
	s_waitcnt lgkmcnt(0)
	v_pk_add_f32 v[4:5], v[36:37], v[4:5]
	ds_bpermute_b32 v10, v35, v4
	ds_bpermute_b32 v11, v35, v5
	v_pk_add_f32 v[14:15], v[32:33], v[6:7]
	ds_bpermute_b32 v16, v35, v14
	ds_bpermute_b32 v17, v35, v15
	v_pk_add_f32 v[0:1], v[0:1], v[12:13]
	s_waitcnt lgkmcnt(2)
	v_pk_add_f32 v[6:7], v[4:5], v[10:11]
	ds_bpermute_b32 v4, v35, v0
	ds_bpermute_b32 v5, v35, v1
	;; [unrolled: 1-line block ×4, first 2 shown]
	s_waitcnt lgkmcnt(4)
	v_pk_add_f32 v[10:11], v[14:15], v[16:17]
	ds_bpermute_b32 v16, v31, v2
	ds_bpermute_b32 v17, v31, v3
	v_accvgpr_read_b32 v22, a24
	s_waitcnt lgkmcnt(4)
	v_pk_add_f32 v[14:15], v[0:1], v[4:5]
	s_waitcnt lgkmcnt(2)
	v_pk_add_f32 v[0:1], v[24:25], v[12:13]
	v_accvgpr_read_b32 v23, a25
	ds_bpermute_b32 v4, v35, v0
	ds_bpermute_b32 v5, v35, v1
	s_waitcnt lgkmcnt(2)
	v_pk_add_f32 v[2:3], v[2:3], v[16:17]
	ds_bpermute_b32 v16, v31, v22
	ds_bpermute_b32 v17, v31, v23
	s_waitcnt lgkmcnt(0)
	s_barrier
	v_accvgpr_read_b32 v33, a23
	v_pk_add_f32 v[22:23], v[22:23], v[16:17]
	v_pk_add_f32 v[16:17], v[0:1], v[4:5]
	buffer_load_dword v4, off, s[0:3], s32 offset:616 ; 4-byte Folded Reload
	ds_bpermute_b32 v12, v31, v8
	ds_bpermute_b32 v13, v31, v9
	v_accvgpr_read_b32 v32, a22
	ds_bpermute_b32 v26, v31, v32
	ds_bpermute_b32 v27, v31, v33
	ds_bpermute_b32 v18, v35, v2
	ds_bpermute_b32 v19, v35, v3
	s_waitcnt lgkmcnt(4)
	v_pk_add_f32 v[8:9], v[8:9], v[12:13]
	ds_bpermute_b32 v20, v35, v8
	ds_bpermute_b32 v21, v35, v9
	;; [unrolled: 1-line block ×4, first 2 shown]
	s_waitcnt lgkmcnt(6)
	v_pk_add_f32 v[0:1], v[32:33], v[26:27]
	s_waitcnt lgkmcnt(4)
	v_pk_add_f32 v[12:13], v[2:3], v[18:19]
	ds_bpermute_b32 v18, v35, v0
	ds_bpermute_b32 v19, v35, v1
	s_waitcnt lgkmcnt(4)
	v_pk_add_f32 v[8:9], v[8:9], v[20:21]
	s_waitcnt lgkmcnt(2)
	v_pk_add_f32 v[2:3], v[22:23], v[24:25]
	s_waitcnt vmcnt(0)
	v_and_b32_e32 v4, 0x3c3, v4
	v_cmp_ne_u32_e32 vcc, 64, v4
	s_and_saveexec_b64 s[6:7], vcc
	s_xor_b64 s[6:7], exec, s[6:7]
; %bb.1621:
                                        ; implicit-def: $vgpr29
; %bb.1622:
	s_or_saveexec_b64 s[6:7], s[6:7]
	s_waitcnt lgkmcnt(0)
	v_pk_add_f32 v[0:1], v[0:1], v[18:19]
	s_xor_b64 exec, exec, s[6:7]
	s_cbranch_execz .LBB310_1624
; %bb.1623:
	s_load_dword s9, s[10:11], 0x0
	s_waitcnt lgkmcnt(0)
	v_add_u32_e32 v5, s9, v29
	ds_write2_b32 v5, v6, v7 offset1:16
	ds_write2_b32 v5, v10, v11 offset0:32 offset1:48
	ds_write2_b32 v5, v14, v15 offset0:64 offset1:80
	;; [unrolled: 1-line block ×7, first 2 shown]
.LBB310_1624:
	s_or_b64 exec, exec, s[6:7]
	s_waitcnt lgkmcnt(0)
	s_barrier
	s_and_saveexec_b64 s[6:7], s[4:5]
	s_cbranch_execz .LBB310_1643
; %bb.1625:
	v_accvgpr_read_b32 v5, a20
	v_cmp_eq_u32_e32 vcc, 0, v5
	buffer_load_dword v5, off, s[0:3], s32 offset:616 ; 4-byte Folded Reload
	s_waitcnt vmcnt(0)
	v_lshrrev_b32_e32 v5, 2, v5
	s_and_saveexec_b64 s[4:5], vcc
	s_cbranch_execnz .LBB310_1646
; %bb.1626:
	s_or_b64 exec, exec, s[4:5]
	s_and_saveexec_b64 s[4:5], vcc
	s_cbranch_execnz .LBB310_1647
.LBB310_1627:
	s_or_b64 exec, exec, s[4:5]
	s_and_saveexec_b64 s[4:5], vcc
	s_cbranch_execnz .LBB310_1648
.LBB310_1628:
	s_or_b64 exec, exec, s[4:5]
	s_and_saveexec_b64 s[4:5], vcc
	s_cbranch_execnz .LBB310_1649
.LBB310_1629:
	s_or_b64 exec, exec, s[4:5]
	s_and_saveexec_b64 s[4:5], vcc
	s_cbranch_execnz .LBB310_1650
.LBB310_1630:
	s_or_b64 exec, exec, s[4:5]
	s_and_saveexec_b64 s[4:5], vcc
	s_cbranch_execnz .LBB310_1651
.LBB310_1631:
	s_or_b64 exec, exec, s[4:5]
	s_and_saveexec_b64 s[4:5], vcc
	s_cbranch_execnz .LBB310_1652
.LBB310_1632:
	s_or_b64 exec, exec, s[4:5]
	s_and_saveexec_b64 s[4:5], vcc
	s_cbranch_execnz .LBB310_1653
.LBB310_1633:
	s_or_b64 exec, exec, s[4:5]
	s_and_saveexec_b64 s[4:5], vcc
	s_cbranch_execnz .LBB310_1654
.LBB310_1634:
	s_or_b64 exec, exec, s[4:5]
	s_and_saveexec_b64 s[4:5], vcc
	s_cbranch_execnz .LBB310_1655
.LBB310_1635:
	s_or_b64 exec, exec, s[4:5]
	s_and_saveexec_b64 s[4:5], vcc
	s_cbranch_execnz .LBB310_1656
.LBB310_1636:
	s_or_b64 exec, exec, s[4:5]
	s_and_saveexec_b64 s[4:5], vcc
	s_cbranch_execnz .LBB310_1657
.LBB310_1637:
	s_or_b64 exec, exec, s[4:5]
	s_and_saveexec_b64 s[4:5], vcc
	s_cbranch_execnz .LBB310_1658
.LBB310_1638:
	s_or_b64 exec, exec, s[4:5]
	s_and_saveexec_b64 s[4:5], vcc
	s_cbranch_execnz .LBB310_1659
.LBB310_1639:
	s_or_b64 exec, exec, s[4:5]
	s_and_saveexec_b64 s[4:5], vcc
	s_cbranch_execnz .LBB310_1660
.LBB310_1640:
	s_or_b64 exec, exec, s[4:5]
	s_and_saveexec_b64 s[4:5], vcc
	s_cbranch_execz .LBB310_1642
.LBB310_1641:
	s_load_dword s9, s[10:11], 0x0
	s_waitcnt lgkmcnt(0)
	v_lshl_add_u32 v5, v5, 2, s9
	ds_read_b32 v5, v5 offset:960
	s_waitcnt lgkmcnt(0)
	v_add_f32_e32 v1, v5, v1
.LBB310_1642:
	s_or_b64 exec, exec, s[4:5]
.LBB310_1643:
	s_or_b64 exec, exec, s[6:7]
	v_cmp_eq_u32_e32 vcc, 0, v4
	s_barrier
	s_and_b64 exec, exec, vcc
	s_cbranch_execz .LBB310_1645
; %bb.1644:
	buffer_load_dword v18, off, s[0:3], s32 offset:672 ; 4-byte Folded Reload
	s_lshl_b32 s4, s8, 8
	s_mul_i32 s6, s20, s21
	s_lshl_b32 s8, s14, 8
	s_ashr_i32 s5, s4, 31
	s_ashr_i32 s7, s6, 31
	;; [unrolled: 1-line block ×3, first 2 shown]
	s_lshl_b64 s[4:5], s[4:5], 1
	s_lshl_b64 s[6:7], s[6:7], 1
	s_lshl_b64 s[8:9], s[8:9], 1
	s_add_u32 s6, s8, s6
	s_addc_u32 s7, s9, s7
	s_add_u32 s4, s6, s4
	s_addc_u32 s5, s7, s5
	v_mov_b32_e32 v4, s5
	v_add_co_u32_e32 v5, vcc, s4, v38
	s_waitcnt vmcnt(0)
	v_addc_co_u32_e32 v18, vcc, v4, v18, vcc
	buffer_load_dword v4, off, s[0:3], s32 offset:616 ; 4-byte Folded Reload
	;;#ASMSTART
	v_cvt_f16_f32 v6, v6;

	;;#ASMEND
	s_waitcnt vmcnt(0)
	v_lshrrev_b32_e32 v4, 1, v4
	v_add_co_u32_e32 v4, vcc, v5, v4
	v_addc_co_u32_e32 v5, vcc, 0, v18, vcc
	flat_store_short v[4:5], v6
	;;#ASMSTART
	v_cvt_f16_f32 v6, v7;

	;;#ASMEND
	flat_store_short v[4:5], v6 offset:32
	;;#ASMSTART
	v_cvt_f16_f32 v6, v10;

	;;#ASMEND
	flat_store_short v[4:5], v6 offset:64
	;; [unrolled: 5-line block ×15, first 2 shown]
.LBB310_1645:
	s_or_b64 exec, exec, s[18:19]
	buffer_load_dword a63, off, s[0:3], s32 offset:8 ; 4-byte Folded Reload
	buffer_load_dword a62, off, s[0:3], s32 offset:12 ; 4-byte Folded Reload
	;; [unrolled: 1-line block ×47, first 2 shown]
	v_readlane_b32 s30, v63, 11
	v_readlane_b32 s31, v63, 12
	;; [unrolled: 1-line block ×13, first 2 shown]
	s_or_saveexec_b64 s[4:5], -1
	buffer_load_dword v63, off, s[0:3], s32 offset:752 ; 4-byte Folded Reload
	s_mov_b64 exec, s[4:5]
	s_waitcnt vmcnt(0) lgkmcnt(0)
	s_setpc_b64 s[30:31]
.LBB310_1646:
	s_load_dword s9, s[10:11], 0x0
	s_waitcnt lgkmcnt(0)
	v_lshl_add_u32 v18, v5, 2, s9
	ds_read_b32 v18, v18
	s_waitcnt lgkmcnt(0)
	v_add_f32_e32 v6, v18, v6
	s_or_b64 exec, exec, s[4:5]
	s_and_saveexec_b64 s[4:5], vcc
	s_cbranch_execz .LBB310_1627
.LBB310_1647:
	s_load_dword s9, s[10:11], 0x0
	s_waitcnt lgkmcnt(0)
	v_lshl_add_u32 v18, v5, 2, s9
	ds_read_b32 v18, v18 offset:64
	s_waitcnt lgkmcnt(0)
	v_add_f32_e32 v7, v18, v7
	s_or_b64 exec, exec, s[4:5]
	s_and_saveexec_b64 s[4:5], vcc
	s_cbranch_execz .LBB310_1628
.LBB310_1648:
	s_load_dword s9, s[10:11], 0x0
	s_waitcnt lgkmcnt(0)
	v_lshl_add_u32 v18, v5, 2, s9
	ds_read_b32 v18, v18 offset:128
	s_waitcnt lgkmcnt(0)
	v_add_f32_e32 v10, v18, v10
	s_or_b64 exec, exec, s[4:5]
	s_and_saveexec_b64 s[4:5], vcc
	s_cbranch_execz .LBB310_1629
.LBB310_1649:
	s_load_dword s9, s[10:11], 0x0
	s_waitcnt lgkmcnt(0)
	v_lshl_add_u32 v18, v5, 2, s9
	ds_read_b32 v18, v18 offset:192
	s_waitcnt lgkmcnt(0)
	v_add_f32_e32 v11, v18, v11
	s_or_b64 exec, exec, s[4:5]
	s_and_saveexec_b64 s[4:5], vcc
	s_cbranch_execz .LBB310_1630
.LBB310_1650:
	s_load_dword s9, s[10:11], 0x0
	s_waitcnt lgkmcnt(0)
	v_lshl_add_u32 v18, v5, 2, s9
	ds_read_b32 v18, v18 offset:256
	s_waitcnt lgkmcnt(0)
	v_add_f32_e32 v14, v18, v14
	s_or_b64 exec, exec, s[4:5]
	s_and_saveexec_b64 s[4:5], vcc
	s_cbranch_execz .LBB310_1631
.LBB310_1651:
	s_load_dword s9, s[10:11], 0x0
	s_waitcnt lgkmcnt(0)
	v_lshl_add_u32 v18, v5, 2, s9
	ds_read_b32 v18, v18 offset:320
	s_waitcnt lgkmcnt(0)
	v_add_f32_e32 v15, v18, v15
	s_or_b64 exec, exec, s[4:5]
	s_and_saveexec_b64 s[4:5], vcc
	s_cbranch_execz .LBB310_1632
.LBB310_1652:
	s_load_dword s9, s[10:11], 0x0
	s_waitcnt lgkmcnt(0)
	v_lshl_add_u32 v18, v5, 2, s9
	ds_read_b32 v18, v18 offset:384
	s_waitcnt lgkmcnt(0)
	v_add_f32_e32 v16, v18, v16
	s_or_b64 exec, exec, s[4:5]
	s_and_saveexec_b64 s[4:5], vcc
	s_cbranch_execz .LBB310_1633
.LBB310_1653:
	s_load_dword s9, s[10:11], 0x0
	s_waitcnt lgkmcnt(0)
	v_lshl_add_u32 v18, v5, 2, s9
	ds_read_b32 v18, v18 offset:448
	s_waitcnt lgkmcnt(0)
	v_add_f32_e32 v17, v18, v17
	s_or_b64 exec, exec, s[4:5]
	s_and_saveexec_b64 s[4:5], vcc
	s_cbranch_execz .LBB310_1634
.LBB310_1654:
	s_load_dword s9, s[10:11], 0x0
	s_waitcnt lgkmcnt(0)
	v_lshl_add_u32 v18, v5, 2, s9
	ds_read_b32 v18, v18 offset:512
	s_waitcnt lgkmcnt(0)
	v_add_f32_e32 v12, v18, v12
	s_or_b64 exec, exec, s[4:5]
	s_and_saveexec_b64 s[4:5], vcc
	s_cbranch_execz .LBB310_1635
.LBB310_1655:
	s_load_dword s9, s[10:11], 0x0
	s_waitcnt lgkmcnt(0)
	v_lshl_add_u32 v18, v5, 2, s9
	ds_read_b32 v18, v18 offset:576
	s_waitcnt lgkmcnt(0)
	v_add_f32_e32 v13, v18, v13
	s_or_b64 exec, exec, s[4:5]
	s_and_saveexec_b64 s[4:5], vcc
	s_cbranch_execz .LBB310_1636
.LBB310_1656:
	s_load_dword s9, s[10:11], 0x0
	s_waitcnt lgkmcnt(0)
	v_lshl_add_u32 v18, v5, 2, s9
	ds_read_b32 v18, v18 offset:640
	s_waitcnt lgkmcnt(0)
	v_add_f32_e32 v8, v18, v8
	s_or_b64 exec, exec, s[4:5]
	s_and_saveexec_b64 s[4:5], vcc
	s_cbranch_execz .LBB310_1637
.LBB310_1657:
	s_load_dword s9, s[10:11], 0x0
	s_waitcnt lgkmcnt(0)
	v_lshl_add_u32 v18, v5, 2, s9
	ds_read_b32 v18, v18 offset:704
	s_waitcnt lgkmcnt(0)
	v_add_f32_e32 v9, v18, v9
	s_or_b64 exec, exec, s[4:5]
	s_and_saveexec_b64 s[4:5], vcc
	s_cbranch_execz .LBB310_1638
.LBB310_1658:
	s_load_dword s9, s[10:11], 0x0
	s_waitcnt lgkmcnt(0)
	v_lshl_add_u32 v18, v5, 2, s9
	ds_read_b32 v18, v18 offset:768
	s_waitcnt lgkmcnt(0)
	v_add_f32_e32 v2, v18, v2
	s_or_b64 exec, exec, s[4:5]
	s_and_saveexec_b64 s[4:5], vcc
	s_cbranch_execz .LBB310_1639
.LBB310_1659:
	s_load_dword s9, s[10:11], 0x0
	s_waitcnt lgkmcnt(0)
	v_lshl_add_u32 v18, v5, 2, s9
	ds_read_b32 v18, v18 offset:832
	s_waitcnt lgkmcnt(0)
	v_add_f32_e32 v3, v18, v3
	s_or_b64 exec, exec, s[4:5]
	s_and_saveexec_b64 s[4:5], vcc
	s_cbranch_execz .LBB310_1640
.LBB310_1660:
	s_load_dword s9, s[10:11], 0x0
	s_waitcnt lgkmcnt(0)
	v_lshl_add_u32 v18, v5, 2, s9
	ds_read_b32 v18, v18 offset:896
	s_waitcnt lgkmcnt(0)
	v_add_f32_e32 v0, v18, v0
	s_or_b64 exec, exec, s[4:5]
	s_and_saveexec_b64 s[4:5], vcc
	s_cbranch_execnz .LBB310_1641
	s_branch .LBB310_1642
.Lfunc_end310:
	.size	_ZN4vllm22paged_attention_kernelIthLi256ELi32ELi128ELNS_18Fp8KVCacheDataTypeE1ELb1ELi512EEEvPfS2_PT_PKS3_PKT0_S9_ifPKiSB_iPKfiiiSD_SD_iiiii, .Lfunc_end310-_ZN4vllm22paged_attention_kernelIthLi256ELi32ELi128ELNS_18Fp8KVCacheDataTypeE1ELb1ELi512EEEvPfS2_PT_PKS3_PKT0_S9_ifPKiSB_iPKfiiiSD_SD_iiiii
                                        ; -- End function
	.section	.AMDGPU.csdata,"",@progbits
; Function info:
; codeLenInByte = 72052
; NumSgprs: 49
; NumVgprs: 64
; NumAgprs: 64
; TotalNumVgprs: 128
; ScratchSize: 760
; MemoryBound: 0
	.section	.text._ZN4vllm25paged_attention_v2_kernelIthLi256ELi32ELi128ELNS_18Fp8KVCacheDataTypeE1ELb1ELi512EEEvPfS2_PT_PKS3_PKT0_S9_ifPKiSB_iPKfiiiSD_SD_iiiii,"axG",@progbits,_ZN4vllm25paged_attention_v2_kernelIthLi256ELi32ELi128ELNS_18Fp8KVCacheDataTypeE1ELb1ELi512EEEvPfS2_PT_PKS3_PKT0_S9_ifPKiSB_iPKfiiiSD_SD_iiiii,comdat
	.protected	_ZN4vllm25paged_attention_v2_kernelIthLi256ELi32ELi128ELNS_18Fp8KVCacheDataTypeE1ELb1ELi512EEEvPfS2_PT_PKS3_PKT0_S9_ifPKiSB_iPKfiiiSD_SD_iiiii ; -- Begin function _ZN4vllm25paged_attention_v2_kernelIthLi256ELi32ELi128ELNS_18Fp8KVCacheDataTypeE1ELb1ELi512EEEvPfS2_PT_PKS3_PKT0_S9_ifPKiSB_iPKfiiiSD_SD_iiiii
	.globl	_ZN4vllm25paged_attention_v2_kernelIthLi256ELi32ELi128ELNS_18Fp8KVCacheDataTypeE1ELb1ELi512EEEvPfS2_PT_PKS3_PKT0_S9_ifPKiSB_iPKfiiiSD_SD_iiiii
	.p2align	8
	.type	_ZN4vllm25paged_attention_v2_kernelIthLi256ELi32ELi128ELNS_18Fp8KVCacheDataTypeE1ELb1ELi512EEEvPfS2_PT_PKS3_PKT0_S9_ifPKiSB_iPKfiiiSD_SD_iiiii,@function
_ZN4vllm25paged_attention_v2_kernelIthLi256ELi32ELi128ELNS_18Fp8KVCacheDataTypeE1ELb1ELi512EEEvPfS2_PT_PKS3_PKT0_S9_ifPKiSB_iPKfiiiSD_SD_iiiii: ; @_ZN4vllm25paged_attention_v2_kernelIthLi256ELi32ELi128ELNS_18Fp8KVCacheDataTypeE1ELb1ELi512EEEvPfS2_PT_PKS3_PKT0_S9_ifPKiSB_iPKfiiiSD_SD_iiiii
; %bb.0:
	s_add_u32 flat_scratch_lo, s6, s11
	s_addc_u32 flat_scratch_hi, s7, 0
	s_add_u32 s0, s0, s11
	s_mov_b32 s12, s8
	s_load_dwordx8 s[24:31], s[4:5], 0x0
	s_load_dwordx8 s[16:23], s[4:5], 0x20
	s_load_dwordx2 s[6:7], s[4:5], 0x40
	s_load_dwordx4 s[44:47], s[4:5], 0x78
	s_load_dwordx2 s[34:35], s[4:5], 0x50
	s_load_dword s11, s[4:5], 0x48
	s_load_dword s8, s[4:5], 0x88
	s_load_dwordx8 s[36:43], s[4:5], 0x58
	s_mov_b32 s32, 0
	s_addc_u32 s1, s1, 0
	s_waitcnt lgkmcnt(0)
	v_mov_b32_e32 v1, s47
	buffer_store_dword v1, off, s[0:3], s32
	v_mov_b32_e32 v1, s8
	s_add_u32 s8, s4, 0x90
	s_mov_b32 s13, s9
	buffer_store_dword v1, off, s[0:3], s32 offset:4
	s_addc_u32 s9, s5, 0
	s_mov_b32 s14, s10
	s_mov_b32 s15, 53
	v_mov_b32_e32 v31, v0
	v_mov_b32_e32 v0, s24
	;; [unrolled: 1-line block ×32, first 2 shown]
	s_getpc_b64 s[4:5]
	s_add_u32 s4, s4, _ZN4vllm22paged_attention_kernelIthLi256ELi32ELi128ELNS_18Fp8KVCacheDataTypeE1ELb1ELi512EEEvPfS2_PT_PKS3_PKT0_S9_ifPKiSB_iPKfiiiSD_SD_iiiii@rel32@lo+4
	s_addc_u32 s5, s5, _ZN4vllm22paged_attention_kernelIthLi256ELi32ELi128ELNS_18Fp8KVCacheDataTypeE1ELb1ELi512EEEvPfS2_PT_PKS3_PKT0_S9_ifPKiSB_iPKfiiiSD_SD_iiiii@rel32@hi+12
	s_swappc_b64 s[30:31], s[4:5]
	s_endpgm
	.section	.rodata,"a",@progbits
	.p2align	6, 0x0
	.amdhsa_kernel _ZN4vllm25paged_attention_v2_kernelIthLi256ELi32ELi128ELNS_18Fp8KVCacheDataTypeE1ELb1ELi512EEEvPfS2_PT_PKS3_PKT0_S9_ifPKiSB_iPKfiiiSD_SD_iiiii
		.amdhsa_group_segment_fixed_size 528
		.amdhsa_private_segment_fixed_size 760
		.amdhsa_kernarg_size 400
		.amdhsa_user_sgpr_count 8
		.amdhsa_user_sgpr_private_segment_buffer 1
		.amdhsa_user_sgpr_dispatch_ptr 0
		.amdhsa_user_sgpr_queue_ptr 0
		.amdhsa_user_sgpr_kernarg_segment_ptr 1
		.amdhsa_user_sgpr_dispatch_id 0
		.amdhsa_user_sgpr_flat_scratch_init 1
		.amdhsa_user_sgpr_kernarg_preload_length 0
		.amdhsa_user_sgpr_kernarg_preload_offset 0
		.amdhsa_user_sgpr_private_segment_size 0
		.amdhsa_uses_dynamic_stack 0
		.amdhsa_system_sgpr_private_segment_wavefront_offset 1
		.amdhsa_system_sgpr_workgroup_id_x 1
		.amdhsa_system_sgpr_workgroup_id_y 1
		.amdhsa_system_sgpr_workgroup_id_z 1
		.amdhsa_system_sgpr_workgroup_info 0
		.amdhsa_system_vgpr_workitem_id 0
		.amdhsa_next_free_vgpr 128
		.amdhsa_next_free_sgpr 48
		.amdhsa_accum_offset 64
		.amdhsa_reserve_vcc 1
		.amdhsa_reserve_flat_scratch 1
		.amdhsa_float_round_mode_32 0
		.amdhsa_float_round_mode_16_64 0
		.amdhsa_float_denorm_mode_32 3
		.amdhsa_float_denorm_mode_16_64 3
		.amdhsa_dx10_clamp 1
		.amdhsa_ieee_mode 1
		.amdhsa_fp16_overflow 0
		.amdhsa_tg_split 0
		.amdhsa_exception_fp_ieee_invalid_op 0
		.amdhsa_exception_fp_denorm_src 0
		.amdhsa_exception_fp_ieee_div_zero 0
		.amdhsa_exception_fp_ieee_overflow 0
		.amdhsa_exception_fp_ieee_underflow 0
		.amdhsa_exception_fp_ieee_inexact 0
		.amdhsa_exception_int_div_zero 0
	.end_amdhsa_kernel
	.section	.text._ZN4vllm25paged_attention_v2_kernelIthLi256ELi32ELi128ELNS_18Fp8KVCacheDataTypeE1ELb1ELi512EEEvPfS2_PT_PKS3_PKT0_S9_ifPKiSB_iPKfiiiSD_SD_iiiii,"axG",@progbits,_ZN4vllm25paged_attention_v2_kernelIthLi256ELi32ELi128ELNS_18Fp8KVCacheDataTypeE1ELb1ELi512EEEvPfS2_PT_PKS3_PKT0_S9_ifPKiSB_iPKfiiiSD_SD_iiiii,comdat
.Lfunc_end311:
	.size	_ZN4vllm25paged_attention_v2_kernelIthLi256ELi32ELi128ELNS_18Fp8KVCacheDataTypeE1ELb1ELi512EEEvPfS2_PT_PKS3_PKT0_S9_ifPKiSB_iPKfiiiSD_SD_iiiii, .Lfunc_end311-_ZN4vllm25paged_attention_v2_kernelIthLi256ELi32ELi128ELNS_18Fp8KVCacheDataTypeE1ELb1ELi512EEEvPfS2_PT_PKS3_PKT0_S9_ifPKiSB_iPKfiiiSD_SD_iiiii
                                        ; -- End function
	.section	.AMDGPU.csdata,"",@progbits
; Kernel info:
; codeLenInByte = 296
; NumSgprs: 54
; NumVgprs: 64
; NumAgprs: 64
; TotalNumVgprs: 128
; ScratchSize: 760
; MemoryBound: 0
; FloatMode: 240
; IeeeMode: 1
; LDSByteSize: 528 bytes/workgroup (compile time only)
; SGPRBlocks: 6
; VGPRBlocks: 15
; NumSGPRsForWavesPerEU: 54
; NumVGPRsForWavesPerEU: 128
; AccumOffset: 64
; Occupancy: 4
; WaveLimiterHint : 1
; COMPUTE_PGM_RSRC2:SCRATCH_EN: 1
; COMPUTE_PGM_RSRC2:USER_SGPR: 8
; COMPUTE_PGM_RSRC2:TRAP_HANDLER: 0
; COMPUTE_PGM_RSRC2:TGID_X_EN: 1
; COMPUTE_PGM_RSRC2:TGID_Y_EN: 1
; COMPUTE_PGM_RSRC2:TGID_Z_EN: 1
; COMPUTE_PGM_RSRC2:TIDIG_COMP_CNT: 0
; COMPUTE_PGM_RSRC3_GFX90A:ACCUM_OFFSET: 15
; COMPUTE_PGM_RSRC3_GFX90A:TG_SPLIT: 0
	.section	.text._ZN4vllm25paged_attention_v2_kernelIthLi32ELi32ELi128ELNS_18Fp8KVCacheDataTypeE1ELb0ELi512EEEvPfS2_PT_PKS3_PKT0_S9_ifPKiSB_iPKfiiiSD_SD_iiiii,"axG",@progbits,_ZN4vllm25paged_attention_v2_kernelIthLi32ELi32ELi128ELNS_18Fp8KVCacheDataTypeE1ELb0ELi512EEEvPfS2_PT_PKS3_PKT0_S9_ifPKiSB_iPKfiiiSD_SD_iiiii,comdat
	.protected	_ZN4vllm25paged_attention_v2_kernelIthLi32ELi32ELi128ELNS_18Fp8KVCacheDataTypeE1ELb0ELi512EEEvPfS2_PT_PKS3_PKT0_S9_ifPKiSB_iPKfiiiSD_SD_iiiii ; -- Begin function _ZN4vllm25paged_attention_v2_kernelIthLi32ELi32ELi128ELNS_18Fp8KVCacheDataTypeE1ELb0ELi512EEEvPfS2_PT_PKS3_PKT0_S9_ifPKiSB_iPKfiiiSD_SD_iiiii
	.globl	_ZN4vllm25paged_attention_v2_kernelIthLi32ELi32ELi128ELNS_18Fp8KVCacheDataTypeE1ELb0ELi512EEEvPfS2_PT_PKS3_PKT0_S9_ifPKiSB_iPKfiiiSD_SD_iiiii
	.p2align	8
	.type	_ZN4vllm25paged_attention_v2_kernelIthLi32ELi32ELi128ELNS_18Fp8KVCacheDataTypeE1ELb0ELi512EEEvPfS2_PT_PKS3_PKT0_S9_ifPKiSB_iPKfiiiSD_SD_iiiii,@function
_ZN4vllm25paged_attention_v2_kernelIthLi32ELi32ELi128ELNS_18Fp8KVCacheDataTypeE1ELb0ELi512EEEvPfS2_PT_PKS3_PKT0_S9_ifPKiSB_iPKfiiiSD_SD_iiiii: ; @_ZN4vllm25paged_attention_v2_kernelIthLi32ELi32ELi128ELNS_18Fp8KVCacheDataTypeE1ELb0ELi512EEEvPfS2_PT_PKS3_PKT0_S9_ifPKiSB_iPKfiiiSD_SD_iiiii
; %bb.0:
	s_load_dwordx2 s[0:1], s[4:5], 0x40
	s_mov_b32 s28, s7
	s_ashr_i32 s29, s7, 31
	s_lshl_b64 s[2:3], s[28:29], 2
	s_waitcnt lgkmcnt(0)
	s_add_u32 s0, s0, s2
	s_addc_u32 s1, s1, s3
	s_load_dword s29, s[0:1], 0x0
	s_lshl_b32 s46, s8, 9
	s_waitcnt lgkmcnt(0)
	s_cmp_ge_i32 s46, s29
	s_cbranch_scc1 .LBB312_250
; %bb.1:
	s_load_dword s9, s[4:5], 0x90
	s_load_dwordx2 s[10:11], s[4:5], 0x30
	s_mov_b32 s47, 0
	s_waitcnt lgkmcnt(0)
	s_abs_i32 s2, s9
	s_abs_i32 s0, s10
	v_cvt_f32_u32_e32 v1, s0
	s_sub_i32 s3, 0, s0
	s_xor_b32 s1, s9, s10
	s_ashr_i32 s1, s1, 31
	v_rcp_iflag_f32_e32 v1, v1
	v_mul_f32_e32 v1, 0x4f7ffffe, v1
	v_cvt_u32_f32_e32 v1, v1
	v_readfirstlane_b32 s7, v1
	s_mul_i32 s3, s3, s7
	s_mul_hi_u32 s3, s7, s3
	s_add_i32 s7, s7, s3
	s_mul_hi_u32 s3, s2, s7
	s_mul_i32 s7, s3, s0
	s_sub_i32 s2, s2, s7
	s_add_i32 s10, s3, 1
	s_sub_i32 s7, s2, s0
	s_cmp_ge_u32 s2, s0
	s_cselect_b32 s3, s10, s3
	s_cselect_b32 s2, s7, s2
	s_add_i32 s7, s3, 1
	s_cmp_ge_u32 s2, s0
	s_cselect_b32 s0, s7, s3
	s_xor_b32 s0, s0, s1
	s_sub_i32 s10, s0, s1
	s_abs_i32 s2, s10
	v_cvt_f32_u32_e32 v1, s2
	s_load_dwordx2 s[0:1], s[4:5], 0x50
	s_sub_i32 s7, 0, s2
	s_abs_i32 s3, s6
	v_rcp_iflag_f32_e32 v1, v1
	v_mul_f32_e32 v1, 0x4f7ffffe, v1
	v_cvt_u32_f32_e32 v1, v1
	v_readfirstlane_b32 s12, v1
	s_mul_i32 s7, s7, s12
	s_mul_hi_u32 s7, s12, s7
	s_add_i32 s12, s12, s7
	s_waitcnt lgkmcnt(0)
	s_cmp_eq_u64 s[0:1], 0
	s_mul_hi_u32 s12, s3, s12
	s_cbranch_scc1 .LBB312_3
; %bb.2:
	s_ashr_i32 s7, s6, 31
	s_lshl_b64 s[14:15], s[6:7], 2
	s_add_u32 s0, s0, s14
	s_addc_u32 s1, s1, s15
	s_load_dword s47, s[0:1], 0x0
.LBB312_3:
	s_load_dwordx4 s[16:19], s[4:5], 0x58
	s_ashr_i32 s7, s6, 31
	s_ashr_i32 s13, s10, 31
	v_and_b32_e32 v8, 1, v0
	s_lshl_b32 s24, s6, 5
	v_cmp_gt_u32_e32 vcc, 8, v0
	v_lshlrev_b32_e32 v1, 3, v0
	s_and_saveexec_b64 s[0:1], vcc
	s_cbranch_execz .LBB312_5
; %bb.4:
	s_load_dwordx2 s[14:15], s[4:5], 0x18
	s_waitcnt lgkmcnt(0)
	s_mul_i32 s20, s28, s16
	s_ashr_i32 s21, s20, 31
	s_lshl_b64 s[20:21], s[20:21], 1
	v_lshlrev_b32_e32 v4, 2, v0
	s_add_u32 s10, s14, s20
	s_addc_u32 s16, s15, s21
	s_ashr_i32 s25, s24, 31
	s_lshl_b64 s[14:15], s[24:25], 1
	s_add_u32 s14, s10, s14
	s_addc_u32 s15, s16, s15
	global_load_dwordx2 v[2:3], v1, s[14:15]
	v_and_b32_e32 v4, 0xff8, v4
	v_lshl_add_u32 v4, v8, 5, v4
	s_waitcnt vmcnt(0)
	ds_write_b64 v4, v[2:3]
.LBB312_5:
	s_or_b64 exec, exec, s[0:1]
	s_add_i32 s0, s29, 31
	s_ashr_i32 s1, s0, 31
	s_lshr_b32 s1, s1, 27
	s_add_i32 s0, s0, s1
	s_lshl_b32 s10, s8, 4
	s_mul_i32 s1, s12, s2
	s_waitcnt lgkmcnt(0)
	s_ashr_i32 s16, s0, 5
	s_add_i32 s0, s10, 16
	s_sub_i32 s1, s3, s1
	s_min_i32 s33, s0, s16
	s_xor_b32 s0, s7, s13
	s_add_i32 s3, s12, 1
	s_sub_i32 s7, s1, s2
	s_cmp_ge_u32 s1, s2
	s_cselect_b32 s3, s3, s12
	s_cselect_b32 s1, s7, s1
	s_add_i32 s7, s3, 1
	s_cmp_ge_u32 s1, s2
	s_load_dwordx2 s[30:31], s[4:5], 0x38
	s_load_dword s2, s[4:5], 0x48
	v_lshrrev_b32_e32 v13, 6, v0
	s_cselect_b32 s1, s7, s3
	s_xor_b32 s1, s1, s0
	v_or_b32_e32 v2, s10, v13
	s_waitcnt lgkmcnt(0)
	s_mul_i32 s34, s28, s2
	s_sub_i32 s7, s1, s0
	s_ashr_i32 s35, s34, 31
	v_cmp_gt_i32_e64 s[0:1], s33, v2
	v_cmp_le_i32_e32 vcc, s33, v2
	v_mbcnt_lo_u32_b32 v11, -1, 0
	s_barrier
	s_waitcnt lgkmcnt(0)
                                        ; implicit-def: $sgpr19
                                        ; implicit-def: $vgpr7
                                        ; implicit-def: $vgpr10
	s_and_saveexec_b64 s[2:3], vcc
	s_xor_b64 s[2:3], exec, s[2:3]
; %bb.6:
	v_mbcnt_hi_u32_b32 v7, -1, v11
	v_and_b32_e32 v3, 64, v7
	v_add_u32_e32 v10, 64, v3
	s_mov_b32 s19, 0xff7fffff
                                        ; implicit-def: $vgpr8
                                        ; implicit-def: $vgpr11
; %bb.7:
	s_or_saveexec_b64 s[38:39], s[2:3]
	s_load_dwordx4 s[20:23], s[4:5], 0x0
	s_load_dwordx2 s[26:27], s[4:5], 0x10
	s_load_dword s25, s[4:5], 0x98
	s_load_dwordx2 s[36:37], s[4:5], 0x28
	s_load_dwordx4 s[12:15], s[4:5], 0x68
	v_mov_b32_e32 v15, s19
	s_mul_i32 s7, s7, s18
	v_ashrrev_i32_e32 v3, 31, v2
	v_lshlrev_b32_e32 v16, 5, v13
	s_xor_b64 exec, exec, s[38:39]
	s_cbranch_execz .LBB312_109
; %bb.8:
	s_load_dwordx2 s[2:3], s[4:5], 0x20
	s_ashr_i32 s4, s7, 31
	v_bfe_u32 v7, v0, 1, 5
	v_lshlrev_b32_e32 v4, 4, v7
	v_add3_u32 v19, s46, v16, v7
	s_waitcnt lgkmcnt(0)
	s_add_u32 s2, s2, s7
	s_addc_u32 s3, s3, s4
	v_mov_b32_e32 v5, s3
	v_add_co_u32_e32 v4, vcc, s2, v4
	s_sub_i32 s49, 1, s29
	s_lshl_b64 s[4:5], s[34:35], 2
	v_addc_co_u32_e32 v5, vcc, 0, v5, vcc
	v_lshlrev_b32_e32 v7, 2, v7
	s_add_u32 s4, s30, s4
	v_lshlrev_b32_e32 v6, 2, v8
	v_lshlrev_b32_e32 v18, 5, v8
	v_cmp_eq_u32_e32 vcc, 0, v8
	v_lshl_or_b32 v7, v13, 7, v7
	v_lshlrev_b64 v[8:9], 2, v[2:3]
	s_addc_u32 s5, s31, s5
	v_add_u32_e32 v20, 0x50, v7
	v_mov_b32_e32 v7, s5
	v_add_co_u32_e64 v8, s[4:5], s4, v8
	s_mov_b32 s48, s17
	v_mov_b32_e32 v17, 0
	v_cmp_neq_f32_e64 s[2:3], s47, 0
	v_addc_co_u32_e64 v9, s[4:5], v7, v9, s[4:5]
	s_mov_b64 s[18:19], 0
	v_mov_b32_e32 v15, 0xff7fffff
	s_movk_i32 s50, 0x80
	s_movk_i32 s51, 0x7f
	s_mov_b32 s52, 0x8000
	s_mov_b32 s53, 0xffffff
	v_mbcnt_hi_u32_b32 v7, -1, v11
	v_mov_b32_e32 v21, 0x2000
	v_mov_b32_e32 v22, v2
	s_branch .LBB312_10
.LBB312_9:                              ;   in Loop: Header=BB312_10 Depth=1
	s_or_b64 exec, exec, s[40:41]
	v_add_u32_e32 v22, 2, v22
	v_cmp_le_i32_e64 s[4:5], s33, v22
	s_or_b64 s[18:19], s[4:5], s[18:19]
	v_add_co_u32_e64 v8, s[4:5], 8, v8
	v_add_u32_e32 v19, 64, v19
	v_add_u32_e32 v20, 0x100, v20
	v_addc_co_u32_e64 v9, s[4:5], 0, v9, s[4:5]
	s_andn2_b64 exec, exec, s[18:19]
	s_cbranch_execz .LBB312_108
.LBB312_10:                             ; =>This Inner Loop Header: Depth=1
	global_load_dword v10, v[8:9], off
	v_mov_b32_e32 v24, 0
	s_waitcnt vmcnt(0)
	v_mad_i64_i32 v[10:11], s[4:5], v10, s48, v[4:5]
	v_add_co_u32_e64 v10, s[4:5], v10, v6
	v_addc_co_u32_e64 v11, s[4:5], 0, v11, s[4:5]
	s_waitcnt lgkmcnt(0)
	global_load_dword v12, v[10:11], off
	global_load_dword v23, v17, s[12:13]
	s_waitcnt vmcnt(1)
	v_cmp_ne_u16_sdwa s[4:5], v12, v17 src0_sel:BYTE_0 src1_sel:DWORD
	s_and_saveexec_b64 s[40:41], s[4:5]
	s_cbranch_execz .LBB312_16
; %bb.11:                               ;   in Loop: Header=BB312_10 Depth=1
	v_cmp_ne_u16_sdwa s[4:5], v12, s50 src0_sel:BYTE_0 src1_sel:DWORD
	v_bfrev_b32_e32 v24, 1
	s_and_saveexec_b64 s[42:43], s[4:5]
	s_cbranch_execz .LBB312_15
; %bb.12:                               ;   in Loop: Header=BB312_10 Depth=1
	v_and_b32_e32 v14, 0x7f, v12
	v_cmp_ne_u32_e64 s[4:5], s51, v14
	v_mov_b32_e32 v24, 0x7fc02000
	s_and_saveexec_b64 s[44:45], s[4:5]
	s_cbranch_execz .LBB312_14
; %bb.13:                               ;   in Loop: Header=BB312_10 Depth=1
	v_and_b32_e32 v26, 7, v12
	v_ffbh_u32_e32 v24, v26
	v_min_u32_e32 v28, 32, v24
	v_subrev_u32_e32 v24, 28, v28
	v_lshlrev_b64 v[24:25], v24, v[12:13]
	v_lshrrev_b32_e32 v27, 3, v14
	v_sub_u32_e32 v25, 29, v28
	v_cmp_gt_u32_e64 s[4:5], 8, v14
	v_cndmask_b32_e64 v14, v27, v25, s[4:5]
	v_and_b32_e32 v24, 7, v24
	v_lshlrev_b32_e32 v25, 8, v12
	v_lshl_add_u32 v14, v14, 10, v21
	v_cndmask_b32_e64 v24, v26, v24, s[4:5]
	v_and_or_b32 v14, v25, s52, v14
	v_lshl_or_b32 v14, v24, 7, v14
	v_cvt_f32_f16_e32 v24, v14
.LBB312_14:                             ;   in Loop: Header=BB312_10 Depth=1
	s_or_b64 exec, exec, s[44:45]
.LBB312_15:                             ;   in Loop: Header=BB312_10 Depth=1
	s_or_b64 exec, exec, s[42:43]
.LBB312_16:                             ;   in Loop: Header=BB312_10 Depth=1
	s_or_b64 exec, exec, s[40:41]
	v_lshrrev_b16_e32 v14, 8, v12
	v_cmp_ne_u16_e64 s[4:5], 0, v14
	v_mov_b32_e32 v25, 0
	v_mov_b32_e32 v26, 0
	s_and_saveexec_b64 s[40:41], s[4:5]
	s_cbranch_execz .LBB312_22
; %bb.17:                               ;   in Loop: Header=BB312_10 Depth=1
	v_cmp_ne_u16_e64 s[4:5], s50, v14
	v_bfrev_b32_e32 v26, 1
	s_and_saveexec_b64 s[42:43], s[4:5]
	s_cbranch_execz .LBB312_21
; %bb.18:                               ;   in Loop: Header=BB312_10 Depth=1
	v_and_b32_e32 v27, 0x7f, v14
	v_cmp_ne_u32_e64 s[4:5], s51, v27
	v_mov_b32_e32 v26, 0x7fc02000
	s_and_saveexec_b64 s[44:45], s[4:5]
	s_cbranch_execz .LBB312_20
; %bb.19:                               ;   in Loop: Header=BB312_10 Depth=1
	v_and_b32_e32 v26, 7, v14
	v_ffbh_u32_e32 v28, v26
	v_min_u32_e32 v31, 32, v28
	v_subrev_u32_e32 v28, 28, v31
	v_lshlrev_b64 v[28:29], v28, v[14:15]
	v_lshrrev_b32_e32 v30, 3, v27
	v_sub_u32_e32 v29, 29, v31
	v_cmp_gt_u32_e64 s[4:5], 8, v27
	v_cndmask_b32_e64 v27, v30, v29, s[4:5]
	v_and_b32_e32 v28, 7, v28
	v_lshlrev_b32_e32 v14, 8, v14
	v_lshl_add_u32 v27, v27, 10, v21
	v_cndmask_b32_e64 v26, v26, v28, s[4:5]
	v_and_or_b32 v14, v14, s52, v27
	v_lshl_or_b32 v14, v26, 7, v14
	v_cvt_f32_f16_e32 v26, v14
.LBB312_20:                             ;   in Loop: Header=BB312_10 Depth=1
	s_or_b64 exec, exec, s[44:45]
.LBB312_21:                             ;   in Loop: Header=BB312_10 Depth=1
	s_or_b64 exec, exec, s[42:43]
.LBB312_22:                             ;   in Loop: Header=BB312_10 Depth=1
	s_or_b64 exec, exec, s[40:41]
	v_lshrrev_b32_e32 v14, 16, v12
	v_cmp_ne_u16_sdwa s[4:5], v14, v17 src0_sel:BYTE_0 src1_sel:DWORD
	s_and_saveexec_b64 s[40:41], s[4:5]
	s_cbranch_execz .LBB312_28
; %bb.23:                               ;   in Loop: Header=BB312_10 Depth=1
	v_cmp_ne_u16_sdwa s[4:5], v14, s50 src0_sel:BYTE_0 src1_sel:DWORD
	v_bfrev_b32_e32 v25, 1
	s_and_saveexec_b64 s[42:43], s[4:5]
	s_cbranch_execz .LBB312_27
; %bb.24:                               ;   in Loop: Header=BB312_10 Depth=1
	v_bfe_u32 v27, v12, 16, 7
	v_cmp_ne_u32_e64 s[4:5], s51, v27
	v_mov_b32_e32 v25, 0x7fc02000
	s_and_saveexec_b64 s[44:45], s[4:5]
	s_cbranch_execz .LBB312_26
; %bb.25:                               ;   in Loop: Header=BB312_10 Depth=1
	v_and_b32_e32 v25, 7, v14
	v_ffbh_u32_e32 v28, v25
	v_min_u32_e32 v31, 32, v28
	v_subrev_u32_e32 v28, 28, v31
	v_lshlrev_b64 v[28:29], v28, v[14:15]
	v_lshrrev_b32_e32 v30, 3, v27
	v_sub_u32_e32 v29, 29, v31
	v_cmp_gt_u32_e64 s[4:5], 8, v27
	v_cndmask_b32_e64 v27, v30, v29, s[4:5]
	v_and_b32_e32 v28, 7, v28
	v_lshlrev_b32_e32 v14, 8, v14
	v_lshl_add_u32 v27, v27, 10, v21
	v_cndmask_b32_e64 v25, v25, v28, s[4:5]
	v_and_or_b32 v14, v14, s52, v27
	v_lshl_or_b32 v14, v25, 7, v14
	v_cvt_f32_f16_e32 v25, v14
.LBB312_26:                             ;   in Loop: Header=BB312_10 Depth=1
	s_or_b64 exec, exec, s[44:45]
.LBB312_27:                             ;   in Loop: Header=BB312_10 Depth=1
	s_or_b64 exec, exec, s[42:43]
.LBB312_28:                             ;   in Loop: Header=BB312_10 Depth=1
	s_or_b64 exec, exec, s[40:41]
	v_cmp_lt_u32_e64 s[4:5], s53, v12
	v_mov_b32_e32 v28, 0
	v_mov_b32_e32 v27, 0
	s_and_saveexec_b64 s[40:41], s[4:5]
	s_cbranch_execz .LBB312_34
; %bb.29:                               ;   in Loop: Header=BB312_10 Depth=1
	v_lshrrev_b32_e32 v12, 24, v12
	v_cmp_ne_u32_e64 s[4:5], s50, v12
	v_bfrev_b32_e32 v27, 1
	s_and_saveexec_b64 s[42:43], s[4:5]
	s_cbranch_execz .LBB312_33
; %bb.30:                               ;   in Loop: Header=BB312_10 Depth=1
	v_and_b32_e32 v14, 0x7f, v12
	v_cmp_ne_u32_e64 s[4:5], s51, v14
	v_mov_b32_e32 v27, 0x7fc02000
	s_and_saveexec_b64 s[44:45], s[4:5]
	s_cbranch_execz .LBB312_32
; %bb.31:                               ;   in Loop: Header=BB312_10 Depth=1
	v_and_b32_e32 v27, 7, v12
	v_ffbh_u32_e32 v30, v27
	v_min_u32_e32 v32, 32, v30
	v_subrev_u32_e32 v30, 28, v32
	v_lshlrev_b64 v[30:31], v30, v[12:13]
	v_lshrrev_b32_e32 v29, 3, v14
	v_sub_u32_e32 v31, 29, v32
	v_cmp_gt_u32_e64 s[4:5], 8, v14
	v_cndmask_b32_e64 v14, v29, v31, s[4:5]
	v_and_b32_e32 v30, 7, v30
	v_lshlrev_b32_e32 v12, 8, v12
	v_lshl_add_u32 v14, v14, 10, v21
	v_cndmask_b32_e64 v27, v27, v30, s[4:5]
	v_and_or_b32 v12, v12, s52, v14
	v_lshl_or_b32 v12, v27, 7, v12
	v_cvt_f32_f16_e32 v27, v12
.LBB312_32:                             ;   in Loop: Header=BB312_10 Depth=1
	s_or_b64 exec, exec, s[44:45]
.LBB312_33:                             ;   in Loop: Header=BB312_10 Depth=1
	s_or_b64 exec, exec, s[42:43]
.LBB312_34:                             ;   in Loop: Header=BB312_10 Depth=1
	s_or_b64 exec, exec, s[40:41]
	global_load_dword v12, v[10:11], off offset:8
	s_waitcnt vmcnt(0)
	v_cmp_ne_u16_sdwa s[4:5], v12, v17 src0_sel:BYTE_0 src1_sel:DWORD
	s_and_saveexec_b64 s[40:41], s[4:5]
	s_cbranch_execz .LBB312_40
; %bb.35:                               ;   in Loop: Header=BB312_10 Depth=1
	v_cmp_ne_u16_sdwa s[4:5], v12, s50 src0_sel:BYTE_0 src1_sel:DWORD
	v_bfrev_b32_e32 v28, 1
	s_and_saveexec_b64 s[42:43], s[4:5]
	s_cbranch_execz .LBB312_39
; %bb.36:                               ;   in Loop: Header=BB312_10 Depth=1
	v_and_b32_e32 v14, 0x7f, v12
	v_cmp_ne_u32_e64 s[4:5], s51, v14
	v_mov_b32_e32 v28, 0x7fc02000
	s_and_saveexec_b64 s[44:45], s[4:5]
	s_cbranch_execz .LBB312_38
; %bb.37:                               ;   in Loop: Header=BB312_10 Depth=1
	v_and_b32_e32 v30, 7, v12
	v_ffbh_u32_e32 v28, v30
	v_min_u32_e32 v32, 32, v28
	v_subrev_u32_e32 v28, 28, v32
	v_lshlrev_b64 v[28:29], v28, v[12:13]
	v_lshrrev_b32_e32 v31, 3, v14
	v_sub_u32_e32 v29, 29, v32
	v_cmp_gt_u32_e64 s[4:5], 8, v14
	v_cndmask_b32_e64 v14, v31, v29, s[4:5]
	v_and_b32_e32 v28, 7, v28
	v_lshlrev_b32_e32 v29, 8, v12
	v_lshl_add_u32 v14, v14, 10, v21
	v_cndmask_b32_e64 v28, v30, v28, s[4:5]
	v_and_or_b32 v14, v29, s52, v14
	v_lshl_or_b32 v14, v28, 7, v14
	v_cvt_f32_f16_e32 v28, v14
.LBB312_38:                             ;   in Loop: Header=BB312_10 Depth=1
	s_or_b64 exec, exec, s[44:45]
.LBB312_39:                             ;   in Loop: Header=BB312_10 Depth=1
	s_or_b64 exec, exec, s[42:43]
.LBB312_40:                             ;   in Loop: Header=BB312_10 Depth=1
	s_or_b64 exec, exec, s[40:41]
	v_lshrrev_b16_e32 v14, 8, v12
	v_cmp_ne_u16_e64 s[4:5], 0, v14
	v_mov_b32_e32 v29, 0
	v_mov_b32_e32 v30, 0
	s_and_saveexec_b64 s[40:41], s[4:5]
	s_cbranch_execz .LBB312_46
; %bb.41:                               ;   in Loop: Header=BB312_10 Depth=1
	v_cmp_ne_u16_e64 s[4:5], s50, v14
	v_bfrev_b32_e32 v30, 1
	s_and_saveexec_b64 s[42:43], s[4:5]
	s_cbranch_execz .LBB312_45
; %bb.42:                               ;   in Loop: Header=BB312_10 Depth=1
	v_and_b32_e32 v31, 0x7f, v14
	v_cmp_ne_u32_e64 s[4:5], s51, v31
	v_mov_b32_e32 v30, 0x7fc02000
	s_and_saveexec_b64 s[44:45], s[4:5]
	s_cbranch_execz .LBB312_44
; %bb.43:                               ;   in Loop: Header=BB312_10 Depth=1
	v_and_b32_e32 v30, 7, v14
	v_ffbh_u32_e32 v32, v30
	v_min_u32_e32 v35, 32, v32
	v_subrev_u32_e32 v32, 28, v35
	v_lshlrev_b64 v[32:33], v32, v[14:15]
	v_lshrrev_b32_e32 v34, 3, v31
	v_sub_u32_e32 v33, 29, v35
	v_cmp_gt_u32_e64 s[4:5], 8, v31
	v_cndmask_b32_e64 v31, v34, v33, s[4:5]
	v_and_b32_e32 v32, 7, v32
	v_lshlrev_b32_e32 v14, 8, v14
	v_lshl_add_u32 v31, v31, 10, v21
	v_cndmask_b32_e64 v30, v30, v32, s[4:5]
	v_and_or_b32 v14, v14, s52, v31
	v_lshl_or_b32 v14, v30, 7, v14
	v_cvt_f32_f16_e32 v30, v14
.LBB312_44:                             ;   in Loop: Header=BB312_10 Depth=1
	s_or_b64 exec, exec, s[44:45]
.LBB312_45:                             ;   in Loop: Header=BB312_10 Depth=1
	s_or_b64 exec, exec, s[42:43]
.LBB312_46:                             ;   in Loop: Header=BB312_10 Depth=1
	s_or_b64 exec, exec, s[40:41]
	v_lshrrev_b32_e32 v14, 16, v12
	v_cmp_ne_u16_sdwa s[4:5], v14, v17 src0_sel:BYTE_0 src1_sel:DWORD
	s_and_saveexec_b64 s[40:41], s[4:5]
	s_cbranch_execz .LBB312_52
; %bb.47:                               ;   in Loop: Header=BB312_10 Depth=1
	v_cmp_ne_u16_sdwa s[4:5], v14, s50 src0_sel:BYTE_0 src1_sel:DWORD
	v_bfrev_b32_e32 v29, 1
	s_and_saveexec_b64 s[42:43], s[4:5]
	s_cbranch_execz .LBB312_51
; %bb.48:                               ;   in Loop: Header=BB312_10 Depth=1
	v_bfe_u32 v31, v12, 16, 7
	v_cmp_ne_u32_e64 s[4:5], s51, v31
	v_mov_b32_e32 v29, 0x7fc02000
	s_and_saveexec_b64 s[44:45], s[4:5]
	s_cbranch_execz .LBB312_50
; %bb.49:                               ;   in Loop: Header=BB312_10 Depth=1
	v_and_b32_e32 v29, 7, v14
	v_ffbh_u32_e32 v32, v29
	v_min_u32_e32 v35, 32, v32
	v_subrev_u32_e32 v32, 28, v35
	v_lshlrev_b64 v[32:33], v32, v[14:15]
	v_lshrrev_b32_e32 v34, 3, v31
	v_sub_u32_e32 v33, 29, v35
	v_cmp_gt_u32_e64 s[4:5], 8, v31
	v_cndmask_b32_e64 v31, v34, v33, s[4:5]
	v_and_b32_e32 v32, 7, v32
	v_lshlrev_b32_e32 v14, 8, v14
	v_lshl_add_u32 v31, v31, 10, v21
	v_cndmask_b32_e64 v29, v29, v32, s[4:5]
	v_and_or_b32 v14, v14, s52, v31
	v_lshl_or_b32 v14, v29, 7, v14
	v_cvt_f32_f16_e32 v29, v14
.LBB312_50:                             ;   in Loop: Header=BB312_10 Depth=1
	s_or_b64 exec, exec, s[44:45]
.LBB312_51:                             ;   in Loop: Header=BB312_10 Depth=1
	s_or_b64 exec, exec, s[42:43]
.LBB312_52:                             ;   in Loop: Header=BB312_10 Depth=1
	s_or_b64 exec, exec, s[40:41]
	v_cmp_lt_u32_e64 s[4:5], s53, v12
	v_mov_b32_e32 v32, 0
	v_mov_b32_e32 v31, 0
	s_and_saveexec_b64 s[40:41], s[4:5]
	s_cbranch_execz .LBB312_58
; %bb.53:                               ;   in Loop: Header=BB312_10 Depth=1
	v_lshrrev_b32_e32 v12, 24, v12
	v_cmp_ne_u32_e64 s[4:5], s50, v12
	v_bfrev_b32_e32 v31, 1
	s_and_saveexec_b64 s[42:43], s[4:5]
	s_cbranch_execz .LBB312_57
; %bb.54:                               ;   in Loop: Header=BB312_10 Depth=1
	v_and_b32_e32 v14, 0x7f, v12
	v_cmp_ne_u32_e64 s[4:5], s51, v14
	v_mov_b32_e32 v31, 0x7fc02000
	s_and_saveexec_b64 s[44:45], s[4:5]
	s_cbranch_execz .LBB312_56
; %bb.55:                               ;   in Loop: Header=BB312_10 Depth=1
	v_and_b32_e32 v31, 7, v12
	v_ffbh_u32_e32 v34, v31
	v_min_u32_e32 v36, 32, v34
	v_subrev_u32_e32 v34, 28, v36
	v_lshlrev_b64 v[34:35], v34, v[12:13]
	v_lshrrev_b32_e32 v33, 3, v14
	v_sub_u32_e32 v35, 29, v36
	v_cmp_gt_u32_e64 s[4:5], 8, v14
	v_cndmask_b32_e64 v14, v33, v35, s[4:5]
	v_and_b32_e32 v34, 7, v34
	v_lshlrev_b32_e32 v12, 8, v12
	v_lshl_add_u32 v14, v14, 10, v21
	v_cndmask_b32_e64 v31, v31, v34, s[4:5]
	v_and_or_b32 v12, v12, s52, v14
	v_lshl_or_b32 v12, v31, 7, v12
	v_cvt_f32_f16_e32 v31, v12
.LBB312_56:                             ;   in Loop: Header=BB312_10 Depth=1
	s_or_b64 exec, exec, s[44:45]
.LBB312_57:                             ;   in Loop: Header=BB312_10 Depth=1
	s_or_b64 exec, exec, s[42:43]
.LBB312_58:                             ;   in Loop: Header=BB312_10 Depth=1
	s_or_b64 exec, exec, s[40:41]
	global_load_dword v12, v[10:11], off offset:512
	s_waitcnt vmcnt(0)
	v_cmp_ne_u16_sdwa s[4:5], v12, v17 src0_sel:BYTE_0 src1_sel:DWORD
	s_and_saveexec_b64 s[40:41], s[4:5]
	s_cbranch_execz .LBB312_64
; %bb.59:                               ;   in Loop: Header=BB312_10 Depth=1
	v_cmp_ne_u16_sdwa s[4:5], v12, s50 src0_sel:BYTE_0 src1_sel:DWORD
	v_bfrev_b32_e32 v32, 1
	s_and_saveexec_b64 s[42:43], s[4:5]
	s_cbranch_execz .LBB312_63
; %bb.60:                               ;   in Loop: Header=BB312_10 Depth=1
	v_and_b32_e32 v14, 0x7f, v12
	v_cmp_ne_u32_e64 s[4:5], s51, v14
	v_mov_b32_e32 v32, 0x7fc02000
	s_and_saveexec_b64 s[44:45], s[4:5]
	s_cbranch_execz .LBB312_62
; %bb.61:                               ;   in Loop: Header=BB312_10 Depth=1
	v_and_b32_e32 v34, 7, v12
	v_ffbh_u32_e32 v32, v34
	v_min_u32_e32 v36, 32, v32
	v_subrev_u32_e32 v32, 28, v36
	v_lshlrev_b64 v[32:33], v32, v[12:13]
	v_lshrrev_b32_e32 v35, 3, v14
	v_sub_u32_e32 v33, 29, v36
	v_cmp_gt_u32_e64 s[4:5], 8, v14
	v_cndmask_b32_e64 v14, v35, v33, s[4:5]
	v_and_b32_e32 v32, 7, v32
	v_lshlrev_b32_e32 v33, 8, v12
	v_lshl_add_u32 v14, v14, 10, v21
	v_cndmask_b32_e64 v32, v34, v32, s[4:5]
	v_and_or_b32 v14, v33, s52, v14
	v_lshl_or_b32 v14, v32, 7, v14
	v_cvt_f32_f16_e32 v32, v14
.LBB312_62:                             ;   in Loop: Header=BB312_10 Depth=1
	s_or_b64 exec, exec, s[44:45]
.LBB312_63:                             ;   in Loop: Header=BB312_10 Depth=1
	s_or_b64 exec, exec, s[42:43]
.LBB312_64:                             ;   in Loop: Header=BB312_10 Depth=1
	s_or_b64 exec, exec, s[40:41]
	v_lshrrev_b16_e32 v14, 8, v12
	v_cmp_ne_u16_e64 s[4:5], 0, v14
	v_mov_b32_e32 v33, 0
	v_mov_b32_e32 v34, 0
	s_and_saveexec_b64 s[40:41], s[4:5]
	s_cbranch_execz .LBB312_70
; %bb.65:                               ;   in Loop: Header=BB312_10 Depth=1
	v_cmp_ne_u16_e64 s[4:5], s50, v14
	v_bfrev_b32_e32 v34, 1
	s_and_saveexec_b64 s[42:43], s[4:5]
	s_cbranch_execz .LBB312_69
; %bb.66:                               ;   in Loop: Header=BB312_10 Depth=1
	v_and_b32_e32 v35, 0x7f, v14
	v_cmp_ne_u32_e64 s[4:5], s51, v35
	v_mov_b32_e32 v34, 0x7fc02000
	s_and_saveexec_b64 s[44:45], s[4:5]
	s_cbranch_execz .LBB312_68
; %bb.67:                               ;   in Loop: Header=BB312_10 Depth=1
	v_and_b32_e32 v34, 7, v14
	v_ffbh_u32_e32 v36, v34
	v_min_u32_e32 v39, 32, v36
	v_subrev_u32_e32 v36, 28, v39
	v_lshlrev_b64 v[36:37], v36, v[14:15]
	v_lshrrev_b32_e32 v38, 3, v35
	v_sub_u32_e32 v37, 29, v39
	v_cmp_gt_u32_e64 s[4:5], 8, v35
	v_cndmask_b32_e64 v35, v38, v37, s[4:5]
	v_and_b32_e32 v36, 7, v36
	v_lshlrev_b32_e32 v14, 8, v14
	v_lshl_add_u32 v35, v35, 10, v21
	v_cndmask_b32_e64 v34, v34, v36, s[4:5]
	v_and_or_b32 v14, v14, s52, v35
	v_lshl_or_b32 v14, v34, 7, v14
	v_cvt_f32_f16_e32 v34, v14
.LBB312_68:                             ;   in Loop: Header=BB312_10 Depth=1
	s_or_b64 exec, exec, s[44:45]
.LBB312_69:                             ;   in Loop: Header=BB312_10 Depth=1
	s_or_b64 exec, exec, s[42:43]
.LBB312_70:                             ;   in Loop: Header=BB312_10 Depth=1
	s_or_b64 exec, exec, s[40:41]
	v_lshrrev_b32_e32 v14, 16, v12
	v_cmp_ne_u16_sdwa s[4:5], v14, v17 src0_sel:BYTE_0 src1_sel:DWORD
	s_and_saveexec_b64 s[40:41], s[4:5]
	s_cbranch_execz .LBB312_76
; %bb.71:                               ;   in Loop: Header=BB312_10 Depth=1
	v_cmp_ne_u16_sdwa s[4:5], v14, s50 src0_sel:BYTE_0 src1_sel:DWORD
	v_bfrev_b32_e32 v33, 1
	s_and_saveexec_b64 s[42:43], s[4:5]
	s_cbranch_execz .LBB312_75
; %bb.72:                               ;   in Loop: Header=BB312_10 Depth=1
	v_bfe_u32 v35, v12, 16, 7
	v_cmp_ne_u32_e64 s[4:5], s51, v35
	v_mov_b32_e32 v33, 0x7fc02000
	s_and_saveexec_b64 s[44:45], s[4:5]
	s_cbranch_execz .LBB312_74
; %bb.73:                               ;   in Loop: Header=BB312_10 Depth=1
	v_and_b32_e32 v33, 7, v14
	v_ffbh_u32_e32 v36, v33
	v_min_u32_e32 v39, 32, v36
	v_subrev_u32_e32 v36, 28, v39
	v_lshlrev_b64 v[36:37], v36, v[14:15]
	v_lshrrev_b32_e32 v38, 3, v35
	v_sub_u32_e32 v37, 29, v39
	v_cmp_gt_u32_e64 s[4:5], 8, v35
	v_cndmask_b32_e64 v35, v38, v37, s[4:5]
	v_and_b32_e32 v36, 7, v36
	v_lshlrev_b32_e32 v14, 8, v14
	v_lshl_add_u32 v35, v35, 10, v21
	v_cndmask_b32_e64 v33, v33, v36, s[4:5]
	v_and_or_b32 v14, v14, s52, v35
	v_lshl_or_b32 v14, v33, 7, v14
	v_cvt_f32_f16_e32 v33, v14
.LBB312_74:                             ;   in Loop: Header=BB312_10 Depth=1
	s_or_b64 exec, exec, s[44:45]
.LBB312_75:                             ;   in Loop: Header=BB312_10 Depth=1
	s_or_b64 exec, exec, s[42:43]
.LBB312_76:                             ;   in Loop: Header=BB312_10 Depth=1
	s_or_b64 exec, exec, s[40:41]
	v_cmp_lt_u32_e64 s[4:5], s53, v12
	v_mov_b32_e32 v14, 0
	v_mov_b32_e32 v35, 0
	s_and_saveexec_b64 s[40:41], s[4:5]
	s_cbranch_execz .LBB312_82
; %bb.77:                               ;   in Loop: Header=BB312_10 Depth=1
	v_lshrrev_b32_e32 v12, 24, v12
	v_cmp_ne_u32_e64 s[4:5], s50, v12
	v_bfrev_b32_e32 v35, 1
	s_and_saveexec_b64 s[42:43], s[4:5]
	s_cbranch_execz .LBB312_81
; %bb.78:                               ;   in Loop: Header=BB312_10 Depth=1
	v_and_b32_e32 v36, 0x7f, v12
	v_cmp_ne_u32_e64 s[4:5], s51, v36
	v_mov_b32_e32 v35, 0x7fc02000
	s_and_saveexec_b64 s[44:45], s[4:5]
	s_cbranch_execz .LBB312_80
; %bb.79:                               ;   in Loop: Header=BB312_10 Depth=1
	v_and_b32_e32 v35, 7, v12
	v_ffbh_u32_e32 v38, v35
	v_min_u32_e32 v40, 32, v38
	v_subrev_u32_e32 v38, 28, v40
	v_lshlrev_b64 v[38:39], v38, v[12:13]
	v_lshrrev_b32_e32 v37, 3, v36
	v_sub_u32_e32 v39, 29, v40
	v_cmp_gt_u32_e64 s[4:5], 8, v36
	v_cndmask_b32_e64 v36, v37, v39, s[4:5]
	v_and_b32_e32 v38, 7, v38
	v_lshlrev_b32_e32 v12, 8, v12
	v_lshl_add_u32 v36, v36, 10, v21
	v_cndmask_b32_e64 v35, v35, v38, s[4:5]
	v_and_or_b32 v12, v12, s52, v36
	v_lshl_or_b32 v12, v35, 7, v12
	v_cvt_f32_f16_e32 v35, v12
.LBB312_80:                             ;   in Loop: Header=BB312_10 Depth=1
	s_or_b64 exec, exec, s[44:45]
.LBB312_81:                             ;   in Loop: Header=BB312_10 Depth=1
	s_or_b64 exec, exec, s[42:43]
.LBB312_82:                             ;   in Loop: Header=BB312_10 Depth=1
	s_or_b64 exec, exec, s[40:41]
	global_load_dword v10, v[10:11], off offset:520
	s_waitcnt vmcnt(0)
	v_cmp_ne_u16_sdwa s[4:5], v10, v17 src0_sel:BYTE_0 src1_sel:DWORD
	s_and_saveexec_b64 s[40:41], s[4:5]
	s_cbranch_execz .LBB312_88
; %bb.83:                               ;   in Loop: Header=BB312_10 Depth=1
	v_cmp_ne_u16_sdwa s[4:5], v10, s50 src0_sel:BYTE_0 src1_sel:DWORD
	v_bfrev_b32_e32 v14, 1
	s_and_saveexec_b64 s[42:43], s[4:5]
	s_cbranch_execz .LBB312_87
; %bb.84:                               ;   in Loop: Header=BB312_10 Depth=1
	v_and_b32_e32 v11, 0x7f, v10
	v_cmp_ne_u32_e64 s[4:5], s51, v11
	v_mov_b32_e32 v14, 0x7fc02000
	s_and_saveexec_b64 s[44:45], s[4:5]
	s_cbranch_execz .LBB312_86
; %bb.85:                               ;   in Loop: Header=BB312_10 Depth=1
	v_and_b32_e32 v12, 7, v10
	v_ffbh_u32_e32 v36, v12
	v_min_u32_e32 v38, 32, v36
	v_subrev_u32_e32 v36, 28, v38
	v_lshlrev_b64 v[36:37], v36, v[10:11]
	v_lshrrev_b32_e32 v14, 3, v11
	v_sub_u32_e32 v37, 29, v38
	v_cmp_gt_u32_e64 s[4:5], 8, v11
	v_cndmask_b32_e64 v11, v14, v37, s[4:5]
	v_and_b32_e32 v36, 7, v36
	v_lshlrev_b32_e32 v14, 8, v10
	v_lshl_add_u32 v11, v11, 10, v21
	v_cndmask_b32_e64 v12, v12, v36, s[4:5]
	v_and_or_b32 v11, v14, s52, v11
	v_lshl_or_b32 v11, v12, 7, v11
	v_cvt_f32_f16_e32 v14, v11
.LBB312_86:                             ;   in Loop: Header=BB312_10 Depth=1
	s_or_b64 exec, exec, s[44:45]
.LBB312_87:                             ;   in Loop: Header=BB312_10 Depth=1
	s_or_b64 exec, exec, s[42:43]
.LBB312_88:                             ;   in Loop: Header=BB312_10 Depth=1
	s_or_b64 exec, exec, s[40:41]
	v_lshrrev_b16_e32 v12, 8, v10
	v_cmp_ne_u16_e64 s[4:5], 0, v12
	v_mov_b32_e32 v11, 0
	v_mov_b32_e32 v36, 0
	s_and_saveexec_b64 s[40:41], s[4:5]
	s_cbranch_execz .LBB312_94
; %bb.89:                               ;   in Loop: Header=BB312_10 Depth=1
	v_cmp_ne_u16_e64 s[4:5], s50, v12
	v_bfrev_b32_e32 v36, 1
	s_and_saveexec_b64 s[42:43], s[4:5]
	s_cbranch_execz .LBB312_93
; %bb.90:                               ;   in Loop: Header=BB312_10 Depth=1
	v_and_b32_e32 v37, 0x7f, v12
	v_cmp_ne_u32_e64 s[4:5], s51, v37
	v_mov_b32_e32 v36, 0x7fc02000
	s_and_saveexec_b64 s[44:45], s[4:5]
	s_cbranch_execz .LBB312_92
; %bb.91:                               ;   in Loop: Header=BB312_10 Depth=1
	v_and_b32_e32 v36, 7, v12
	v_ffbh_u32_e32 v38, v36
	v_min_u32_e32 v41, 32, v38
	v_subrev_u32_e32 v38, 28, v41
	v_lshlrev_b64 v[38:39], v38, v[12:13]
	v_lshrrev_b32_e32 v40, 3, v37
	v_sub_u32_e32 v39, 29, v41
	v_cmp_gt_u32_e64 s[4:5], 8, v37
	v_cndmask_b32_e64 v37, v40, v39, s[4:5]
	v_and_b32_e32 v38, 7, v38
	v_lshlrev_b32_e32 v12, 8, v12
	v_lshl_add_u32 v37, v37, 10, v21
	v_cndmask_b32_e64 v36, v36, v38, s[4:5]
	v_and_or_b32 v12, v12, s52, v37
	v_lshl_or_b32 v12, v36, 7, v12
	v_cvt_f32_f16_e32 v36, v12
.LBB312_92:                             ;   in Loop: Header=BB312_10 Depth=1
	s_or_b64 exec, exec, s[44:45]
.LBB312_93:                             ;   in Loop: Header=BB312_10 Depth=1
	s_or_b64 exec, exec, s[42:43]
.LBB312_94:                             ;   in Loop: Header=BB312_10 Depth=1
	s_or_b64 exec, exec, s[40:41]
	v_lshrrev_b32_e32 v12, 16, v10
	v_cmp_ne_u16_sdwa s[4:5], v12, v17 src0_sel:BYTE_0 src1_sel:DWORD
	s_and_saveexec_b64 s[40:41], s[4:5]
	s_cbranch_execz .LBB312_100
; %bb.95:                               ;   in Loop: Header=BB312_10 Depth=1
	v_cmp_ne_u16_sdwa s[4:5], v12, s50 src0_sel:BYTE_0 src1_sel:DWORD
	v_bfrev_b32_e32 v11, 1
	s_and_saveexec_b64 s[42:43], s[4:5]
	s_cbranch_execz .LBB312_99
; %bb.96:                               ;   in Loop: Header=BB312_10 Depth=1
	v_bfe_u32 v37, v10, 16, 7
	v_cmp_ne_u32_e64 s[4:5], s51, v37
	v_mov_b32_e32 v11, 0x7fc02000
	s_and_saveexec_b64 s[44:45], s[4:5]
	s_cbranch_execz .LBB312_98
; %bb.97:                               ;   in Loop: Header=BB312_10 Depth=1
	v_and_b32_e32 v11, 7, v12
	v_ffbh_u32_e32 v38, v11
	v_min_u32_e32 v41, 32, v38
	v_subrev_u32_e32 v38, 28, v41
	v_lshlrev_b64 v[38:39], v38, v[12:13]
	v_lshrrev_b32_e32 v40, 3, v37
	v_sub_u32_e32 v39, 29, v41
	v_cmp_gt_u32_e64 s[4:5], 8, v37
	v_cndmask_b32_e64 v37, v40, v39, s[4:5]
	v_and_b32_e32 v38, 7, v38
	v_lshlrev_b32_e32 v12, 8, v12
	v_lshl_add_u32 v37, v37, 10, v21
	v_cndmask_b32_e64 v11, v11, v38, s[4:5]
	v_and_or_b32 v12, v12, s52, v37
	v_lshl_or_b32 v11, v11, 7, v12
	v_cvt_f32_f16_e32 v11, v11
.LBB312_98:                             ;   in Loop: Header=BB312_10 Depth=1
	s_or_b64 exec, exec, s[44:45]
.LBB312_99:                             ;   in Loop: Header=BB312_10 Depth=1
	s_or_b64 exec, exec, s[42:43]
.LBB312_100:                            ;   in Loop: Header=BB312_10 Depth=1
	s_or_b64 exec, exec, s[40:41]
	v_cmp_lt_u32_e64 s[4:5], s53, v10
	v_mov_b32_e32 v12, 0
	s_and_saveexec_b64 s[40:41], s[4:5]
	s_cbranch_execz .LBB312_106
; %bb.101:                              ;   in Loop: Header=BB312_10 Depth=1
	v_lshrrev_b32_e32 v10, 24, v10
	v_cmp_ne_u32_e64 s[4:5], s50, v10
	v_bfrev_b32_e32 v12, 1
	s_and_saveexec_b64 s[42:43], s[4:5]
	s_cbranch_execz .LBB312_105
; %bb.102:                              ;   in Loop: Header=BB312_10 Depth=1
	v_and_b32_e32 v37, 0x7f, v10
	v_cmp_ne_u32_e64 s[4:5], s51, v37
	v_mov_b32_e32 v12, 0x7fc02000
	s_and_saveexec_b64 s[44:45], s[4:5]
	s_cbranch_execz .LBB312_104
; %bb.103:                              ;   in Loop: Header=BB312_10 Depth=1
	v_and_b32_e32 v12, 7, v10
	v_ffbh_u32_e32 v38, v12
	v_min_u32_e32 v41, 32, v38
	v_subrev_u32_e32 v38, 28, v41
	v_lshlrev_b64 v[38:39], v38, v[10:11]
	v_lshrrev_b32_e32 v40, 3, v37
	v_sub_u32_e32 v39, 29, v41
	v_cmp_gt_u32_e64 s[4:5], 8, v37
	v_cndmask_b32_e64 v37, v40, v39, s[4:5]
	v_and_b32_e32 v38, 7, v38
	v_lshlrev_b32_e32 v10, 8, v10
	v_lshl_add_u32 v37, v37, 10, v21
	v_cndmask_b32_e64 v12, v12, v38, s[4:5]
	v_and_or_b32 v10, v10, s52, v37
	v_lshl_or_b32 v10, v12, 7, v10
	v_cvt_f32_f16_e32 v12, v10
.LBB312_104:                            ;   in Loop: Header=BB312_10 Depth=1
	s_or_b64 exec, exec, s[44:45]
.LBB312_105:                            ;   in Loop: Header=BB312_10 Depth=1
	s_or_b64 exec, exec, s[42:43]
.LBB312_106:                            ;   in Loop: Header=BB312_10 Depth=1
	s_or_b64 exec, exec, s[40:41]
	v_fma_mixlo_f16 v10, v23, v30, 0
	v_fma_mixlo_f16 v30, v23, v28, 0
	;; [unrolled: 1-line block ×3, first 2 shown]
	ds_read_b64 v[28:29], v18
	v_fma_mixlo_f16 v24, v23, v24, 0
	v_fma_mixlo_f16 v26, v23, v26, 0
	v_and_b32_e32 v24, 0xffff, v24
	v_fma_mixlo_f16 v25, v23, v25, 0
	s_waitcnt lgkmcnt(0)
	v_lshrrev_b32_e32 v38, 16, v28
	v_and_b32_e32 v28, 0xffff, v28
	;;#ASMSTART
	v_cvt_f32_f16 v28, v28;
	;;#ASMEND
	;;#ASMSTART
	v_cvt_f32_f16 v38, v38;
	;;#ASMEND
	;; [unrolled: 3-line block ×3, first 2 shown]
	v_and_b32_e32 v24, 0xffff, v26
	;;#ASMSTART
	v_cvt_f32_f16 v26, v24;
	;;#ASMEND
	v_lshrrev_b32_e32 v24, 16, v29
	v_and_b32_e32 v29, 0xffff, v29
	v_fma_mixlo_f16 v27, v23, v27, 0
	;;#ASMSTART
	v_cvt_f32_f16 v29, v29;
	;;#ASMEND
	;;#ASMSTART
	v_cvt_f32_f16 v40, v24;
	;;#ASMEND
	v_and_b32_e32 v24, 0xffff, v25
	;;#ASMSTART
	v_cvt_f32_f16 v41, v24;
	;;#ASMEND
	v_and_b32_e32 v24, 0xffff, v27
	;;#ASMSTART
	v_cvt_f32_f16 v27, v24;
	;;#ASMEND
	ds_read_b64 v[24:25], v18 offset:8
	v_fma_mixlo_f16 v34, v23, v34, 0
	v_fma_mixlo_f16 v32, v23, v32, 0
	v_fma_mixlo_f16 v33, v23, v33, 0
	v_fma_mixlo_f16 v35, v23, v35, 0
	v_fma_mixlo_f16 v31, v23, v31, 0
	v_fma_mixlo_f16 v36, v23, v36, 0
	v_fma_mixlo_f16 v14, v23, v14, 0
	v_fma_mixlo_f16 v42, v23, v11, 0
	v_fma_mixlo_f16 v12, v23, v12, 0
	s_waitcnt lgkmcnt(0)
	v_lshrrev_b32_e32 v11, 16, v24
	v_and_b32_e32 v23, 0xffff, v24
	v_and_b32_e32 v24, 0xffff, v30
	;; [unrolled: 1-line block ×3, first 2 shown]
	;;#ASMSTART
	v_cvt_f32_f16 v23, v23;
	;;#ASMEND
	;;#ASMSTART
	v_cvt_f32_f16 v11, v11;
	;;#ASMEND
	;; [unrolled: 3-line block ×4, first 2 shown]
	v_mul_f32_e32 v23, v23, v24
	v_mul_f32_e32 v24, v11, v10
	v_lshrrev_b32_e32 v10, 16, v25
	v_fmac_f32_e32 v24, v38, v26
	v_and_b32_e32 v11, 0xffff, v25
	;;#ASMSTART
	v_cvt_f32_f16 v25, v11;
	;;#ASMEND
	;;#ASMSTART
	v_cvt_f32_f16 v26, v10;
	;;#ASMEND
	v_and_b32_e32 v10, 0xffff, v37
	v_fmac_f32_e32 v23, v28, v39
	;;#ASMSTART
	v_cvt_f32_f16 v28, v10;
	;;#ASMEND
	v_and_b32_e32 v10, 0xffff, v31
	;;#ASMSTART
	v_cvt_f32_f16 v30, v10;
	;;#ASMEND
	ds_read_b64 v[10:11], v18 offset:16
	v_mul_f32_e32 v26, v26, v30
	v_fmac_f32_e32 v26, v40, v27
	v_mul_f32_e32 v25, v25, v28
	v_fmac_f32_e32 v25, v29, v41
	s_waitcnt lgkmcnt(0)
	v_lshrrev_b32_e32 v27, 16, v10
	v_and_b32_e32 v10, 0xffff, v10
	;;#ASMSTART
	v_cvt_f32_f16 v28, v10;
	;;#ASMEND
	v_and_b32_e32 v10, 0xffff, v32
	;;#ASMSTART
	v_cvt_f32_f16 v27, v27;
	;;#ASMEND
	;;#ASMSTART
	v_cvt_f32_f16 v29, v10;
	;;#ASMEND
	v_and_b32_e32 v10, 0xffff, v34
	;;#ASMSTART
	v_cvt_f32_f16 v30, v10;
	;;#ASMEND
	v_lshrrev_b32_e32 v10, 16, v11
	v_and_b32_e32 v11, 0xffff, v11
	;;#ASMSTART
	v_cvt_f32_f16 v31, v11;
	;;#ASMEND
	;;#ASMSTART
	v_cvt_f32_f16 v32, v10;
	;;#ASMEND
	v_and_b32_e32 v10, 0xffff, v33
	;;#ASMSTART
	v_cvt_f32_f16 v33, v10;
	;;#ASMEND
	v_and_b32_e32 v10, 0xffff, v35
	;;#ASMSTART
	v_cvt_f32_f16 v34, v10;
	;;#ASMEND
	ds_read_b64 v[10:11], v18 offset:24
	v_fmac_f32_e32 v24, v27, v30
	v_fmac_f32_e32 v23, v28, v29
	v_and_b32_e32 v14, 0xffff, v14
	v_and_b32_e32 v28, 0xffff, v36
	s_waitcnt lgkmcnt(0)
	v_lshrrev_b32_e32 v27, 16, v10
	v_and_b32_e32 v10, 0xffff, v10
	;;#ASMSTART
	v_cvt_f32_f16 v10, v10;
	;;#ASMEND
	;;#ASMSTART
	v_cvt_f32_f16 v27, v27;
	;;#ASMEND
	;; [unrolled: 3-line block ×3, first 2 shown]
	v_fmac_f32_e32 v23, v10, v14
	v_lshrrev_b32_e32 v10, 16, v11
	v_and_b32_e32 v11, 0xffff, v11
	v_fmac_f32_e32 v25, v31, v33
	v_fmac_f32_e32 v26, v32, v34
	;;#ASMSTART
	v_cvt_f32_f16 v28, v28;
	;;#ASMEND
	v_fmac_f32_e32 v24, v27, v28
	;;#ASMSTART
	v_cvt_f32_f16 v11, v11;
	;;#ASMEND
	;;#ASMSTART
	v_cvt_f32_f16 v10, v10;
	;;#ASMEND
	v_and_b32_e32 v14, 0xffff, v42
	v_and_b32_e32 v12, 0xffff, v12
	;;#ASMSTART
	v_cvt_f32_f16 v14, v14;
	;;#ASMEND
	;;#ASMSTART
	v_cvt_f32_f16 v12, v12;
	;;#ASMEND
	v_fmac_f32_e32 v25, v11, v14
	v_fmac_f32_e32 v26, v10, v12
	v_add_f32_e32 v10, v23, v24
	v_add_f32_e32 v10, v10, v25
	;; [unrolled: 1-line block ×3, first 2 shown]
	v_and_b32_e32 v10, 64, v7
	v_xor_b32_e32 v12, 1, v7
	v_add_u32_e32 v10, 64, v10
	v_cmp_lt_i32_e64 s[4:5], v12, v10
	v_cndmask_b32_e64 v12, v7, v12, s[4:5]
	v_lshlrev_b32_e32 v12, 2, v12
	ds_bpermute_b32 v12, v12, v11
	s_and_saveexec_b64 s[40:41], vcc
	s_cbranch_execz .LBB312_9
; %bb.107:                              ;   in Loop: Header=BB312_10 Depth=1
	v_add_u32_e32 v14, s49, v19
	v_cvt_f32_i32_e32 v14, v14
	s_waitcnt lgkmcnt(0)
	v_add_f32_e32 v11, v11, v12
	v_cmp_gt_i32_e64 s[4:5], s29, v19
	v_max_f32_e32 v12, v15, v15
	v_mul_f32_e32 v14, s47, v14
	v_cndmask_b32_e64 v14, 0, v14, s[2:3]
	v_fmac_f32_e32 v14, s11, v11
	v_cndmask_b32_e64 v11, 0, v14, s[4:5]
	ds_write_b32 v20, v11
	v_max_f32_e32 v11, v12, v14
	v_cndmask_b32_e64 v15, v15, v11, s[4:5]
	s_branch .LBB312_9
.LBB312_108:
	s_or_b64 exec, exec, s[18:19]
.LBB312_109:
	s_or_b64 exec, exec, s[38:39]
	v_xor_b32_e32 v4, 32, v7
	v_cmp_lt_i32_e32 vcc, v4, v10
	v_cndmask_b32_e32 v4, v7, v4, vcc
	v_lshlrev_b32_e32 v4, 2, v4
	ds_bpermute_b32 v5, v4, v15
	v_xor_b32_e32 v8, 16, v7
	v_max_f32_e32 v6, v15, v15
	v_cmp_lt_i32_e32 vcc, v8, v10
	v_xor_b32_e32 v9, 8, v7
	s_waitcnt lgkmcnt(0)
	v_max_f32_e32 v5, v5, v5
	v_max_f32_e32 v6, v6, v5
	v_cndmask_b32_e32 v5, v7, v8, vcc
	v_lshlrev_b32_e32 v5, 2, v5
	ds_bpermute_b32 v8, v5, v6
	v_cmp_lt_i32_e32 vcc, v9, v10
	v_xor_b32_e32 v11, 4, v7
	v_xor_b32_e32 v12, 2, v7
	v_and_b32_e32 v15, 63, v0
	s_waitcnt lgkmcnt(0)
	v_max_f32_e32 v8, v8, v8
	v_max_f32_e32 v6, v6, v8
	v_cndmask_b32_e32 v8, v7, v9, vcc
	v_lshlrev_b32_e32 v8, 2, v8
	ds_bpermute_b32 v9, v8, v6
	v_cmp_lt_i32_e32 vcc, v11, v10
	s_waitcnt lgkmcnt(0)
	v_max_f32_e32 v9, v9, v9
	v_max_f32_e32 v6, v6, v9
	v_cndmask_b32_e32 v9, v7, v11, vcc
	v_lshlrev_b32_e32 v9, 2, v9
	ds_bpermute_b32 v11, v9, v6
	v_cmp_lt_i32_e32 vcc, v12, v10
	s_waitcnt lgkmcnt(0)
	v_max_f32_e32 v11, v11, v11
	v_max_f32_e32 v6, v6, v11
	v_cndmask_b32_e32 v11, v7, v12, vcc
	v_lshlrev_b32_e32 v22, 2, v11
	ds_bpermute_b32 v12, v22, v6
	v_cmp_eq_u32_e32 vcc, 0, v15
	v_lshlrev_b32_e32 v11, 2, v13
	s_and_saveexec_b64 s[2:3], vcc
	s_cbranch_execz .LBB312_111
; %bb.110:
	s_waitcnt lgkmcnt(0)
	v_max_f32_e32 v12, v12, v12
	v_max_f32_e32 v6, v6, v6
	;; [unrolled: 1-line block ×3, first 2 shown]
	ds_write_b32 v11, v6 offset:64
.LBB312_111:
	s_or_b64 exec, exec, s[2:3]
	v_cmp_gt_u32_e64 s[2:3], 2, v15
	v_mov_b32_e32 v6, 0xff7fffff
	s_waitcnt lgkmcnt(0)
	v_lshlrev_b32_e32 v12, 2, v15
	s_barrier
	s_and_saveexec_b64 s[4:5], s[2:3]
	s_cbranch_execz .LBB312_113
; %bb.112:
	ds_read_b32 v6, v12 offset:64
.LBB312_113:
	s_or_b64 exec, exec, s[4:5]
	v_xor_b32_e32 v14, 1, v7
	v_cmp_lt_i32_e64 s[4:5], v14, v10
	v_cndmask_b32_e64 v10, v7, v14, s[4:5]
	v_lshlrev_b32_e32 v23, 2, v10
	s_waitcnt lgkmcnt(0)
	ds_bpermute_b32 v10, v23, v6
	v_max_f32_e32 v6, v6, v6
	v_lshlrev_b32_e32 v7, 2, v7
	s_sub_i32 s4, s33, s10
	v_and_b32_e32 v7, 0xffffff00, v7
	s_waitcnt lgkmcnt(0)
	v_max_f32_e32 v10, v10, v10
	v_max_f32_e32 v6, v6, v10
	s_lshl_b32 s4, s4, 5
	ds_bpermute_b32 v6, v7, v6
	s_add_i32 s4, s4, s46
	s_min_i32 s39, s4, s29
	s_sub_i32 s38, s39, s46
	v_cmp_gt_i32_e64 s[4:5], s38, v0
	v_mov_b32_e32 v10, 0
	s_and_saveexec_b64 s[12:13], s[4:5]
	s_cbranch_execz .LBB312_117
; %bb.114:
	v_mov_b32_e32 v10, 0x50
	v_lshl_add_u32 v14, v0, 2, v10
	s_mov_b64 s[18:19], 0
	v_mov_b32_e32 v10, 0
	v_mov_b32_e32 v17, v0
.LBB312_115:                            ; =>This Inner Loop Header: Depth=1
	ds_read_b32 v18, v14
	v_add_u32_e32 v17, 0x80, v17
	v_cmp_le_i32_e64 s[10:11], s38, v17
	s_or_b64 s[18:19], s[10:11], s[18:19]
	s_waitcnt lgkmcnt(0)
	v_sub_f32_e32 v18, v18, v6
	v_mul_f32_e32 v18, 0x3fb8aa3b, v18
	v_exp_f32_e32 v18, v18
	ds_write_b32 v14, v18
	v_add_f32_e32 v10, v10, v18
	v_add_u32_e32 v14, 0x200, v14
	s_andn2_b64 exec, exec, s[18:19]
	s_cbranch_execnz .LBB312_115
; %bb.116:
	s_or_b64 exec, exec, s[18:19]
.LBB312_117:
	s_or_b64 exec, exec, s[12:13]
	ds_bpermute_b32 v4, v4, v10
	s_waitcnt lgkmcnt(0)
	v_add_f32_e32 v4, v10, v4
	ds_bpermute_b32 v5, v5, v4
	s_waitcnt lgkmcnt(0)
	v_add_f32_e32 v4, v4, v5
	;; [unrolled: 3-line block ×6, first 2 shown]
	s_and_saveexec_b64 s[10:11], vcc
	s_cbranch_execz .LBB312_119
; %bb.118:
	ds_write_b32 v11, v4 offset:72
.LBB312_119:
	s_or_b64 exec, exec, s[10:11]
	s_waitcnt lgkmcnt(0)
	s_barrier
	s_and_saveexec_b64 s[10:11], s[2:3]
	s_cbranch_execz .LBB312_121
; %bb.120:
	ds_read_b32 v4, v12 offset:72
.LBB312_121:
	s_or_b64 exec, exec, s[10:11]
	s_waitcnt lgkmcnt(0)
	ds_bpermute_b32 v5, v23, v4
	s_waitcnt lgkmcnt(0)
	v_add_f32_e32 v4, v4, v5
	ds_bpermute_b32 v7, v7, v4
	s_and_saveexec_b64 s[2:3], s[4:5]
	s_cbranch_execz .LBB312_134
; %bb.122:
	s_waitcnt lgkmcnt(0)
	v_add_f32_e32 v4, 0x358637bd, v7
	v_div_scale_f32 v5, s[4:5], v4, v4, 1.0
	v_rcp_f32_e32 v8, v5
	v_div_scale_f32 v9, vcc, 1.0, v4, 1.0
	s_movk_i32 s4, 0x7f
	v_fma_f32 v10, -v5, v8, 1.0
	v_fmac_f32_e32 v8, v10, v8
	v_mul_f32_e32 v10, v9, v8
	v_fma_f32 v11, -v5, v10, v9
	v_fmac_f32_e32 v10, v11, v8
	v_fma_f32 v5, -v5, v10, v9
	v_div_fmas_f32 v5, v5, v8, v10
	v_div_fixup_f32 v4, v5, v4, 1.0
	v_xad_u32 v5, v0, -1, s39
	v_subrev_u32_e32 v8, s46, v5
	v_cmp_lt_u32_e32 vcc, s4, v8
	s_mov_b64 s[10:11], -1
	v_mov_b32_e32 v5, v0
	s_and_saveexec_b64 s[4:5], vcc
	s_cbranch_execz .LBB312_131
; %bb.123:
	v_lshrrev_b32_e32 v8, 7, v8
	v_add_u32_e32 v10, -1, v8
	v_lshrrev_b32_e32 v9, 1, v10
	v_mov_b32_e32 v5, v4
	v_add_u32_e32 v9, 1, v9
	v_cmp_lt_u32_e32 vcc, 13, v10
	v_mov_b32_e32 v12, 0
	s_and_saveexec_b64 s[10:11], vcc
	s_cbranch_execz .LBB312_127
; %bb.124:
	v_mov_b32_e32 v11, 0x50
	v_and_b32_e32 v10, -8, v9
	v_lshl_add_u32 v11, v0, 2, v11
	s_mov_b32 s18, 0
	s_mov_b64 s[12:13], 0
.LBB312_125:                            ; =>This Inner Loop Header: Depth=1
	ds_read2st64_b32 v[18:19], v11 offset1:2
	ds_read2st64_b32 v[20:21], v11 offset0:4 offset1:6
	ds_read2st64_b32 v[24:25], v11 offset0:8 offset1:10
	;; [unrolled: 1-line block ×3, first 2 shown]
	v_add_u32_e32 v10, -8, v10
	s_waitcnt lgkmcnt(3)
	v_pk_mul_f32 v[18:19], v[4:5], v[18:19]
	s_waitcnt lgkmcnt(2)
	v_pk_mul_f32 v[20:21], v[4:5], v[20:21]
	ds_write2st64_b32 v11, v18, v19 offset1:2
	ds_write2st64_b32 v11, v20, v21 offset0:4 offset1:6
	ds_read2st64_b32 v[20:21], v11 offset0:16 offset1:18
	s_waitcnt lgkmcnt(4)
	v_pk_mul_f32 v[18:19], v[4:5], v[24:25]
	ds_write2st64_b32 v11, v18, v19 offset0:8 offset1:10
	s_waitcnt lgkmcnt(4)
	v_pk_mul_f32 v[18:19], v[4:5], v[26:27]
	ds_write2st64_b32 v11, v18, v19 offset0:12 offset1:14
	ds_read2st64_b32 v[18:19], v11 offset0:20 offset1:22
	s_waitcnt lgkmcnt(3)
	v_pk_mul_f32 v[20:21], v[4:5], v[20:21]
	ds_read2st64_b32 v[24:25], v11 offset0:24 offset1:26
	ds_write2st64_b32 v11, v20, v21 offset0:16 offset1:18
	ds_read2st64_b32 v[20:21], v11 offset0:28 offset1:30
	s_waitcnt lgkmcnt(3)
	v_pk_mul_f32 v[18:19], v[4:5], v[18:19]
	ds_write2st64_b32 v11, v18, v19 offset0:20 offset1:22
	s_waitcnt lgkmcnt(3)
	v_pk_mul_f32 v[18:19], v[4:5], v[24:25]
	ds_write2st64_b32 v11, v18, v19 offset0:24 offset1:26
	s_waitcnt lgkmcnt(2)
	v_pk_mul_f32 v[18:19], v[4:5], v[20:21]
	s_add_i32 s18, s18, 16
	v_cmp_eq_u32_e32 vcc, 0, v10
	ds_write2st64_b32 v11, v18, v19 offset0:28 offset1:30
	v_add_u32_e32 v11, 0x2000, v11
	s_or_b64 s[12:13], vcc, s[12:13]
	v_mov_b32_e32 v12, s18
	s_andn2_b64 exec, exec, s[12:13]
	s_cbranch_execnz .LBB312_125
; %bb.126:
	s_or_b64 exec, exec, s[12:13]
.LBB312_127:
	s_or_b64 exec, exec, s[10:11]
	v_and_b32_e32 v9, 7, v9
	v_cmp_ne_u32_e32 vcc, 0, v9
	s_and_saveexec_b64 s[10:11], vcc
	s_cbranch_execz .LBB312_130
; %bb.128:
	v_lshlrev_b32_e32 v10, 9, v12
	v_lshlrev_b32_e32 v11, 2, v0
	s_movk_i32 s12, 0x50
	v_add3_u32 v10, v10, v11, s12
	s_mov_b64 s[12:13], 0
.LBB312_129:                            ; =>This Inner Loop Header: Depth=1
	ds_read2st64_b32 v[18:19], v10 offset1:2
	v_add_u32_e32 v9, -1, v9
	v_cmp_eq_u32_e32 vcc, 0, v9
	s_or_b64 s[12:13], vcc, s[12:13]
	s_waitcnt lgkmcnt(0)
	v_pk_mul_f32 v[18:19], v[4:5], v[18:19]
	ds_write2st64_b32 v10, v18, v19 offset1:2
	v_add_u32_e32 v10, 0x400, v10
	s_andn2_b64 exec, exec, s[12:13]
	s_cbranch_execnz .LBB312_129
.LBB312_130:
	s_or_b64 exec, exec, s[10:11]
	v_add_u32_e32 v8, 1, v8
	v_and_b32_e32 v9, 0x3fffffe, v8
	v_cmp_ne_u32_e32 vcc, v8, v9
	v_lshl_add_u32 v5, v9, 7, v0
	s_orn2_b64 s[10:11], vcc, exec
.LBB312_131:
	s_or_b64 exec, exec, s[4:5]
	s_and_b64 exec, exec, s[10:11]
	s_cbranch_execz .LBB312_134
; %bb.132:
	v_mov_b32_e32 v8, 0x50
	v_lshl_add_u32 v8, v5, 2, v8
	s_mov_b64 s[4:5], 0
.LBB312_133:                            ; =>This Inner Loop Header: Depth=1
	ds_read_b32 v9, v8
	v_add_u32_e32 v5, 0x80, v5
	v_cmp_le_i32_e32 vcc, s38, v5
	s_or_b64 s[4:5], vcc, s[4:5]
	s_waitcnt lgkmcnt(0)
	v_mul_f32_e32 v9, v4, v9
	ds_write_b32 v8, v9
	v_add_u32_e32 v8, 0x200, v8
	s_andn2_b64 exec, exec, s[4:5]
	s_cbranch_execnz .LBB312_133
.LBB312_134:
	s_or_b64 exec, exec, s[2:3]
	s_mul_i32 s2, s25, s28
	v_cmp_eq_u32_e32 vcc, 0, v0
	s_mul_i32 s2, s2, s9
	s_waitcnt lgkmcnt(0)
	s_barrier
	s_and_saveexec_b64 s[4:5], vcc
	s_cbranch_execz .LBB312_136
; %bb.135:
	s_ashr_i32 s3, s2, 31
	s_lshl_b64 s[10:11], s[2:3], 2
	s_add_u32 s3, s22, s10
	s_mul_i32 s12, s25, s6
	s_addc_u32 s9, s23, s11
	s_ashr_i32 s13, s12, 31
	s_lshl_b64 s[12:13], s[12:13], 2
	s_add_u32 s3, s3, s12
	s_addc_u32 s6, s9, s13
	s_ashr_i32 s9, s8, 31
	s_lshl_b64 s[18:19], s[8:9], 2
	s_add_u32 s22, s3, s18
	s_addc_u32 s23, s6, s19
	s_add_u32 s3, s20, s10
	s_addc_u32 s6, s21, s11
	;; [unrolled: 2-line block ×3, first 2 shown]
	s_add_u32 s10, s3, s18
	v_mov_b32_e32 v4, 0
	s_addc_u32 s11, s6, s19
	global_store_dword v4, v6, s[22:23]
	global_store_dword v4, v7, s[10:11]
.LBB312_136:
	s_or_b64 exec, exec, s[4:5]
	v_mov_b32_e32 v7, 0
	v_and_b32_e32 v24, 3, v0
	v_mov_b32_e32 v6, 0
	s_and_saveexec_b64 s[4:5], s[0:1]
	s_cbranch_execz .LBB312_240
; %bb.137:
	s_ashr_i32 s0, s7, 31
	s_add_u32 s1, s36, s7
	v_and_b32_e32 v4, 24, v1
	s_addc_u32 s0, s37, s0
	v_and_b32_e32 v1, 0x1f8, v1
	s_add_i32 s9, s16, -1
	v_mov_b32_e32 v6, s0
	v_add_co_u32_e32 v8, vcc, s1, v1
	s_lshl_b64 s[0:1], s[34:35], 2
	s_add_u32 s0, s30, s0
	v_addc_co_u32_e32 v9, vcc, 0, v6, vcc
	v_add3_u32 v1, s46, v16, v4
	v_lshlrev_b32_e32 v4, 5, v24
	v_lshlrev_b64 v[6:7], 2, v[2:3]
	s_addc_u32 s1, s31, s1
	s_mov_b32 s6, -1
	v_lshl_or_b32 v4, v13, 7, v4
	v_mov_b32_e32 v3, s1
	v_add_co_u32_e32 v10, vcc, s0, v6
	v_mov_b32_e32 v6, 0
	s_mov_b32 s3, s17
	s_mov_b32 s7, 0xffffff
	v_mov_b32_e32 v5, 0
	s_mov_b32 s20, s29
	v_add_u32_e32 v25, 0x50, v4
	v_addc_co_u32_e32 v11, vcc, v3, v7, vcc
	s_mov_b64 s[10:11], 0
	s_movk_i32 s21, 0x80
	s_movk_i32 s22, 0x7f
	s_mov_b32 s23, 0x8000
	s_movk_i32 s28, 0x380
	s_mov_b32 s30, 0x3020706
	s_mov_b32 s31, 0x1000504
	;; [unrolled: 1-line block ×3, first 2 shown]
	v_mov_b32_e32 v3, 0x2000
	v_mov_b32_e32 v7, v6
	s_branch .LBB312_139
.LBB312_138:                            ;   in Loop: Header=BB312_139 Depth=1
	s_or_b64 exec, exec, s[0:1]
	;;#ASMSTART
	v_pk_mul_f16 v12, v31, v12;

	;;#ASMEND
	;;#ASMSTART
	v_pk_mul_f16 v4, v32, v4;

	;;#ASMEND
	;;#ASMSTART
	v_pk_mul_f16 v13, v33, v13;

	;;#ASMEND
	;;#ASMSTART
	v_pk_mul_f16 v14, v34, v14;

	;;#ASMEND
	;;#ASMSTART
	v_pk_add_f16 v4, v12, v4;

	;;#ASMEND
	;;#ASMSTART
	v_pk_add_f16 v4, v4, v13;

	;;#ASMEND
	;; [unrolled: 4-line block ×3, first 2 shown]
	v_lshrrev_b32_e32 v12, 16, v4
	v_and_b32_e32 v4, 0xffff, v4
	v_add_u32_e32 v2, 2, v2
	;;#ASMSTART
	v_cvt_f32_f16 v4, v4;
	;;#ASMEND
	v_cmp_le_i32_e32 vcc, s33, v2
	v_add_f32_e32 v16, v35, v36
	;;#ASMSTART
	v_cvt_f32_f16 v12, v12;
	;;#ASMEND
	v_add_f32_e32 v4, v4, v12
	s_or_b64 s[10:11], vcc, s[10:11]
	v_add_co_u32_e32 v10, vcc, 8, v10
	v_add_f32_e32 v6, v6, v16
	v_add_f32_e32 v7, v7, v4
	v_add_u32_e32 v1, 64, v1
	v_add_u32_e32 v25, 0x100, v25
	v_addc_co_u32_e32 v11, vcc, 0, v11, vcc
	s_andn2_b64 exec, exec, s[10:11]
	s_cbranch_execz .LBB312_239
.LBB312_139:                            ; =>This Inner Loop Header: Depth=1
	global_load_dword v4, v[10:11], off
	ds_read2_b64 v[16:19], v25 offset1:1
	ds_read2_b64 v[26:29], v25 offset0:2 offset1:3
	s_waitcnt lgkmcnt(1)
	;;#ASMSTART
	v_cvt_f16_f32 v31, v16;

	;;#ASMEND
	;;#ASMSTART
	v_cvt_f16_f32 v32, v17;

	;;#ASMEND
	;; [unrolled: 4-line block ×4, first 2 shown]
	s_waitcnt lgkmcnt(0)
	;;#ASMSTART
	v_cvt_f16_f32 v35, v26;

	;;#ASMEND
	;;#ASMSTART
	v_cvt_f16_f32 v36, v27;

	;;#ASMEND
	;; [unrolled: 4-line block ×4, first 2 shown]
	v_mov_b32_e32 v16, 0
	s_waitcnt vmcnt(0)
	v_mad_i64_i32 v[12:13], s[0:1], v4, s3, v[8:9]
	global_load_dwordx2 v[18:19], v[12:13], off
	global_load_dword v14, v5, s[14:15]
	s_waitcnt vmcnt(1)
	v_cmp_ne_u16_sdwa s[12:13], v18, v5 src0_sel:BYTE_0 src1_sel:DWORD
	s_and_saveexec_b64 s[0:1], s[12:13]
	s_cbranch_execz .LBB312_145
; %bb.140:                              ;   in Loop: Header=BB312_139 Depth=1
	v_cmp_ne_u16_sdwa s[16:17], v18, s21 src0_sel:BYTE_0 src1_sel:DWORD
	v_bfrev_b32_e32 v16, 1
	s_and_saveexec_b64 s[12:13], s[16:17]
	s_cbranch_execz .LBB312_144
; %bb.141:                              ;   in Loop: Header=BB312_139 Depth=1
	v_and_b32_e32 v4, 0x7f, v18
	v_cmp_ne_u32_e32 vcc, s22, v4
	v_mov_b32_e32 v16, 0x7fc02000
	s_and_saveexec_b64 s[16:17], vcc
	s_cbranch_execz .LBB312_143
; %bb.142:                              ;   in Loop: Header=BB312_139 Depth=1
	v_and_b32_e32 v16, 7, v18
	v_ffbh_u32_e32 v16, v16
	v_min_u32_e32 v16, 32, v16
	v_subrev_u32_e32 v17, 28, v16
	v_cmp_gt_u32_e32 vcc, 8, v4
	v_lshrrev_b32_e32 v20, 3, v4
	v_sub_u32_e32 v21, 29, v16
	v_cndmask_b32_e32 v4, 0, v17, vcc
	v_lshlrev_b64 v[16:17], v4, v[18:19]
	v_cndmask_b32_e32 v4, v20, v21, vcc
	v_lshlrev_b32_e32 v17, 8, v18
	v_lshl_add_u32 v4, v4, 10, v3
	v_lshlrev_b32_e32 v16, 7, v16
	v_and_or_b32 v4, v17, s23, v4
	v_and_or_b32 v4, v16, s28, v4
	v_cvt_f32_f16_e32 v16, v4
.LBB312_143:                            ;   in Loop: Header=BB312_139 Depth=1
	s_or_b64 exec, exec, s[16:17]
.LBB312_144:                            ;   in Loop: Header=BB312_139 Depth=1
	s_or_b64 exec, exec, s[12:13]
.LBB312_145:                            ;   in Loop: Header=BB312_139 Depth=1
	s_or_b64 exec, exec, s[0:1]
	v_lshrrev_b16_e32 v4, 8, v18
	v_cmp_ne_u16_e32 vcc, 0, v4
	v_mov_b32_e32 v17, 0
	v_mov_b32_e32 v20, 0
	s_and_saveexec_b64 s[0:1], vcc
	s_cbranch_execz .LBB312_151
; %bb.146:                              ;   in Loop: Header=BB312_139 Depth=1
	v_cmp_ne_u16_e32 vcc, s21, v4
	v_bfrev_b32_e32 v20, 1
	s_and_saveexec_b64 s[12:13], vcc
	s_cbranch_execz .LBB312_150
; %bb.147:                              ;   in Loop: Header=BB312_139 Depth=1
	v_and_b32_e32 v21, 0x7f, v4
	v_cmp_ne_u32_e32 vcc, s22, v21
	v_mov_b32_e32 v20, 0x7fc02000
	s_and_saveexec_b64 s[16:17], vcc
	s_cbranch_execz .LBB312_149
; %bb.148:                              ;   in Loop: Header=BB312_139 Depth=1
	v_and_b32_e32 v20, 7, v4
	v_ffbh_u32_e32 v26, v20
	v_min_u32_e32 v29, 32, v26
	v_subrev_u32_e32 v26, 28, v29
	v_lshlrev_b64 v[26:27], v26, v[4:5]
	v_lshrrev_b32_e32 v28, 3, v21
	v_sub_u32_e32 v27, 29, v29
	v_cmp_gt_u32_e32 vcc, 8, v21
	v_cndmask_b32_e32 v21, v28, v27, vcc
	v_and_b32_e32 v26, 7, v26
	v_lshlrev_b32_e32 v4, 8, v4
	v_lshl_add_u32 v21, v21, 10, v3
	v_cndmask_b32_e32 v20, v20, v26, vcc
	v_and_or_b32 v4, v4, s23, v21
	v_lshl_or_b32 v4, v20, 7, v4
	v_cvt_f32_f16_e32 v20, v4
.LBB312_149:                            ;   in Loop: Header=BB312_139 Depth=1
	s_or_b64 exec, exec, s[16:17]
.LBB312_150:                            ;   in Loop: Header=BB312_139 Depth=1
	s_or_b64 exec, exec, s[12:13]
.LBB312_151:                            ;   in Loop: Header=BB312_139 Depth=1
	s_or_b64 exec, exec, s[0:1]
	v_lshrrev_b32_e32 v4, 16, v18
	v_cmp_ne_u16_sdwa s[12:13], v4, v5 src0_sel:BYTE_0 src1_sel:DWORD
	s_and_saveexec_b64 s[0:1], s[12:13]
	s_cbranch_execz .LBB312_157
; %bb.152:                              ;   in Loop: Header=BB312_139 Depth=1
	v_cmp_ne_u16_sdwa s[16:17], v4, s21 src0_sel:BYTE_0 src1_sel:DWORD
	v_bfrev_b32_e32 v17, 1
	s_and_saveexec_b64 s[12:13], s[16:17]
	s_cbranch_execz .LBB312_156
; %bb.153:                              ;   in Loop: Header=BB312_139 Depth=1
	v_bfe_u32 v21, v18, 16, 7
	v_cmp_ne_u32_e32 vcc, s22, v21
	v_mov_b32_e32 v17, 0x7fc02000
	s_and_saveexec_b64 s[16:17], vcc
	s_cbranch_execz .LBB312_155
; %bb.154:                              ;   in Loop: Header=BB312_139 Depth=1
	v_and_b32_e32 v17, 7, v4
	v_ffbh_u32_e32 v26, v17
	v_min_u32_e32 v29, 32, v26
	v_subrev_u32_e32 v26, 28, v29
	v_lshlrev_b64 v[26:27], v26, v[4:5]
	v_lshrrev_b32_e32 v28, 3, v21
	v_sub_u32_e32 v27, 29, v29
	v_cmp_gt_u32_e32 vcc, 8, v21
	v_cndmask_b32_e32 v21, v28, v27, vcc
	v_and_b32_e32 v26, 7, v26
	v_lshlrev_b32_e32 v4, 8, v4
	v_lshl_add_u32 v21, v21, 10, v3
	v_cndmask_b32_e32 v17, v17, v26, vcc
	v_and_or_b32 v4, v4, s23, v21
	v_lshl_or_b32 v4, v17, 7, v4
	v_cvt_f32_f16_e32 v17, v4
.LBB312_155:                            ;   in Loop: Header=BB312_139 Depth=1
	s_or_b64 exec, exec, s[16:17]
.LBB312_156:                            ;   in Loop: Header=BB312_139 Depth=1
	s_or_b64 exec, exec, s[12:13]
.LBB312_157:                            ;   in Loop: Header=BB312_139 Depth=1
	s_or_b64 exec, exec, s[0:1]
	v_cmp_lt_u32_e32 vcc, s7, v18
	v_mov_b32_e32 v26, 0
	v_mov_b32_e32 v21, 0
	s_and_saveexec_b64 s[0:1], vcc
	s_cbranch_execz .LBB312_163
; %bb.158:                              ;   in Loop: Header=BB312_139 Depth=1
	v_lshrrev_b32_e32 v4, 24, v18
	v_cmp_ne_u32_e32 vcc, s21, v4
	v_bfrev_b32_e32 v21, 1
	s_and_saveexec_b64 s[12:13], vcc
	s_cbranch_execz .LBB312_162
; %bb.159:                              ;   in Loop: Header=BB312_139 Depth=1
	v_and_b32_e32 v27, 0x7f, v4
	v_cmp_ne_u32_e32 vcc, s22, v27
	v_mov_b32_e32 v21, 0x7fc02000
	s_and_saveexec_b64 s[16:17], vcc
	s_cbranch_execz .LBB312_161
; %bb.160:                              ;   in Loop: Header=BB312_139 Depth=1
	v_and_b32_e32 v21, 7, v4
	v_ffbh_u32_e32 v28, v21
	v_min_u32_e32 v39, 32, v28
	v_subrev_u32_e32 v28, 28, v39
	v_lshlrev_b64 v[28:29], v28, v[4:5]
	v_lshrrev_b32_e32 v30, 3, v27
	v_sub_u32_e32 v29, 29, v39
	v_cmp_gt_u32_e32 vcc, 8, v27
	v_cndmask_b32_e32 v27, v30, v29, vcc
	v_and_b32_e32 v28, 7, v28
	v_lshlrev_b32_e32 v4, 8, v4
	v_lshl_add_u32 v27, v27, 10, v3
	v_cndmask_b32_e32 v21, v21, v28, vcc
	v_and_or_b32 v4, v4, s23, v27
	v_lshl_or_b32 v4, v21, 7, v4
	v_cvt_f32_f16_e32 v21, v4
.LBB312_161:                            ;   in Loop: Header=BB312_139 Depth=1
	s_or_b64 exec, exec, s[16:17]
.LBB312_162:                            ;   in Loop: Header=BB312_139 Depth=1
	s_or_b64 exec, exec, s[12:13]
.LBB312_163:                            ;   in Loop: Header=BB312_139 Depth=1
	s_or_b64 exec, exec, s[0:1]
	v_mov_b32_e32 v4, v19
	v_cmp_ne_u16_sdwa s[12:13], v19, v5 src0_sel:BYTE_0 src1_sel:DWORD
	s_and_saveexec_b64 s[0:1], s[12:13]
	s_cbranch_execz .LBB312_169
; %bb.164:                              ;   in Loop: Header=BB312_139 Depth=1
	v_cmp_ne_u16_sdwa s[16:17], v19, s21 src0_sel:BYTE_0 src1_sel:DWORD
	v_bfrev_b32_e32 v26, 1
	s_and_saveexec_b64 s[12:13], s[16:17]
	s_cbranch_execz .LBB312_168
; %bb.165:                              ;   in Loop: Header=BB312_139 Depth=1
	v_and_b32_e32 v27, 0x7f, v19
	v_cmp_ne_u32_e32 vcc, s22, v27
	v_mov_b32_e32 v26, 0x7fc02000
	s_and_saveexec_b64 s[16:17], vcc
	s_cbranch_execz .LBB312_167
; %bb.166:                              ;   in Loop: Header=BB312_139 Depth=1
	v_and_b32_e32 v26, 7, v19
	v_ffbh_u32_e32 v26, v26
	v_min_u32_e32 v26, 32, v26
	v_subrev_u32_e32 v29, 28, v26
	v_cmp_gt_u32_e32 vcc, 8, v27
	v_sub_u32_e32 v30, 29, v26
	v_cndmask_b32_e32 v26, 0, v29, vcc
	v_lshrrev_b32_e32 v28, 3, v27
	v_lshlrev_b64 v[26:27], v26, v[4:5]
	v_cndmask_b32_e32 v27, v28, v30, vcc
	v_lshlrev_b32_e32 v28, 8, v19
	v_lshl_add_u32 v27, v27, 10, v3
	v_lshlrev_b32_e32 v26, 7, v26
	v_and_or_b32 v27, v28, s23, v27
	v_and_or_b32 v26, v26, s28, v27
	v_cvt_f32_f16_e32 v26, v26
.LBB312_167:                            ;   in Loop: Header=BB312_139 Depth=1
	s_or_b64 exec, exec, s[16:17]
.LBB312_168:                            ;   in Loop: Header=BB312_139 Depth=1
	s_or_b64 exec, exec, s[12:13]
.LBB312_169:                            ;   in Loop: Header=BB312_139 Depth=1
	s_or_b64 exec, exec, s[0:1]
	v_lshrrev_b16_e32 v4, 8, v4
	v_cmp_ne_u16_e32 vcc, 0, v4
	v_mov_b32_e32 v27, 0
	v_mov_b32_e32 v28, 0
	s_and_saveexec_b64 s[0:1], vcc
	s_cbranch_execz .LBB312_175
; %bb.170:                              ;   in Loop: Header=BB312_139 Depth=1
	v_cmp_ne_u16_e32 vcc, s21, v4
	v_bfrev_b32_e32 v28, 1
	s_and_saveexec_b64 s[12:13], vcc
	s_cbranch_execz .LBB312_174
; %bb.171:                              ;   in Loop: Header=BB312_139 Depth=1
	v_and_b32_e32 v29, 0x7f, v4
	v_cmp_ne_u32_e32 vcc, s22, v29
	v_mov_b32_e32 v28, 0x7fc02000
	s_and_saveexec_b64 s[16:17], vcc
	s_cbranch_execz .LBB312_173
; %bb.172:                              ;   in Loop: Header=BB312_139 Depth=1
	v_and_b32_e32 v28, 7, v4
	v_ffbh_u32_e32 v39, v28
	v_min_u32_e32 v39, 32, v39
	v_lshrrev_b32_e32 v30, 3, v29
	v_subrev_u32_e32 v40, 28, v39
	v_sub_u32_e32 v39, 29, v39
	v_cmp_gt_u32_e32 vcc, 8, v29
	v_lshlrev_b64 v[40:41], v40, v[4:5]
	v_cndmask_b32_e32 v29, v30, v39, vcc
	v_and_b32_e32 v40, 7, v40
	v_lshlrev_b32_e32 v4, 8, v4
	v_lshl_add_u32 v29, v29, 10, v3
	v_cndmask_b32_e32 v28, v28, v40, vcc
	v_and_or_b32 v4, v4, s23, v29
	v_lshl_or_b32 v4, v28, 7, v4
	v_cvt_f32_f16_e32 v28, v4
.LBB312_173:                            ;   in Loop: Header=BB312_139 Depth=1
	s_or_b64 exec, exec, s[16:17]
.LBB312_174:                            ;   in Loop: Header=BB312_139 Depth=1
	s_or_b64 exec, exec, s[12:13]
.LBB312_175:                            ;   in Loop: Header=BB312_139 Depth=1
	s_or_b64 exec, exec, s[0:1]
	v_lshrrev_b32_e32 v4, 16, v19
	v_cmp_ne_u16_sdwa s[12:13], v4, v5 src0_sel:BYTE_0 src1_sel:DWORD
	s_and_saveexec_b64 s[0:1], s[12:13]
	s_cbranch_execz .LBB312_181
; %bb.176:                              ;   in Loop: Header=BB312_139 Depth=1
	v_cmp_ne_u16_sdwa s[16:17], v4, s21 src0_sel:BYTE_0 src1_sel:DWORD
	v_bfrev_b32_e32 v27, 1
	s_and_saveexec_b64 s[12:13], s[16:17]
	s_cbranch_execz .LBB312_180
; %bb.177:                              ;   in Loop: Header=BB312_139 Depth=1
	v_bfe_u32 v29, v19, 16, 7
	v_cmp_ne_u32_e32 vcc, s22, v29
	v_mov_b32_e32 v27, 0x7fc02000
	s_and_saveexec_b64 s[16:17], vcc
	s_cbranch_execz .LBB312_179
; %bb.178:                              ;   in Loop: Header=BB312_139 Depth=1
	v_and_b32_e32 v27, 7, v4
	v_ffbh_u32_e32 v39, v27
	v_min_u32_e32 v39, 32, v39
	v_lshrrev_b32_e32 v30, 3, v29
	v_subrev_u32_e32 v40, 28, v39
	v_sub_u32_e32 v39, 29, v39
	v_cmp_gt_u32_e32 vcc, 8, v29
	v_lshlrev_b64 v[40:41], v40, v[4:5]
	v_cndmask_b32_e32 v29, v30, v39, vcc
	v_and_b32_e32 v40, 7, v40
	v_lshlrev_b32_e32 v4, 8, v4
	v_lshl_add_u32 v29, v29, 10, v3
	v_cndmask_b32_e32 v27, v27, v40, vcc
	v_and_or_b32 v4, v4, s23, v29
	v_lshl_or_b32 v4, v27, 7, v4
	v_cvt_f32_f16_e32 v27, v4
.LBB312_179:                            ;   in Loop: Header=BB312_139 Depth=1
	s_or_b64 exec, exec, s[16:17]
.LBB312_180:                            ;   in Loop: Header=BB312_139 Depth=1
	s_or_b64 exec, exec, s[12:13]
.LBB312_181:                            ;   in Loop: Header=BB312_139 Depth=1
	s_or_b64 exec, exec, s[0:1]
	v_cmp_lt_u64_e32 vcc, s[6:7], v[18:19]
	v_mov_b32_e32 v18, 0
	s_and_saveexec_b64 s[0:1], vcc
	s_cbranch_execz .LBB312_187
; %bb.182:                              ;   in Loop: Header=BB312_139 Depth=1
	v_lshrrev_b32_e32 v4, 24, v19
	v_cmp_ne_u32_e32 vcc, s21, v4
	v_bfrev_b32_e32 v18, 1
	s_and_saveexec_b64 s[12:13], vcc
	s_cbranch_execz .LBB312_186
; %bb.183:                              ;   in Loop: Header=BB312_139 Depth=1
	v_and_b32_e32 v19, 0x7f, v4
	v_cmp_ne_u32_e32 vcc, s22, v19
	v_mov_b32_e32 v18, 0x7fc02000
	s_and_saveexec_b64 s[16:17], vcc
	s_cbranch_execz .LBB312_185
; %bb.184:                              ;   in Loop: Header=BB312_139 Depth=1
	v_and_b32_e32 v18, 7, v4
	v_ffbh_u32_e32 v30, v18
	v_min_u32_e32 v30, 32, v30
	v_lshrrev_b32_e32 v29, 3, v19
	v_subrev_u32_e32 v39, 28, v30
	v_sub_u32_e32 v30, 29, v30
	v_cmp_gt_u32_e32 vcc, 8, v19
	v_lshlrev_b64 v[40:41], v39, v[4:5]
	v_cndmask_b32_e32 v19, v29, v30, vcc
	v_and_b32_e32 v39, 7, v40
	v_lshlrev_b32_e32 v4, 8, v4
	v_lshl_add_u32 v19, v19, 10, v3
	v_cndmask_b32_e32 v18, v18, v39, vcc
	v_and_or_b32 v4, v4, s23, v19
	v_lshl_or_b32 v4, v18, 7, v4
	v_cvt_f32_f16_e32 v18, v4
.LBB312_185:                            ;   in Loop: Header=BB312_139 Depth=1
	s_or_b64 exec, exec, s[16:17]
.LBB312_186:                            ;   in Loop: Header=BB312_139 Depth=1
	s_or_b64 exec, exec, s[12:13]
.LBB312_187:                            ;   in Loop: Header=BB312_139 Depth=1
	s_or_b64 exec, exec, s[0:1]
	s_waitcnt vmcnt(0)
	v_pk_mul_f32 v[20:21], v[14:15], v[20:21] op_sel_hi:[0,1]
	v_pk_mul_f32 v[16:17], v[14:15], v[16:17] op_sel_hi:[0,1]
	v_cvt_f16_f32_e32 v4, v21
	v_cvt_f16_f32_e32 v19, v20
	;; [unrolled: 1-line block ×4, first 2 shown]
	v_cmp_eq_u32_e32 vcc, s9, v2
	v_pack_b32_f16 v19, v19, v4
	v_add_u32_e32 v30, 1, v1
	v_pack_b32_f16 v16, v16, v17
	v_fma_mixlo_f16 v17, v14, v28, 0
	v_perm_b32 v4, v16, v19, s30
	v_perm_b32 v16, v16, v19, s31
	v_lshlrev_b32_e32 v17, 16, v17
	v_fma_mixlo_f16 v19, v14, v26, 0
	v_or_b32_sdwa v17, v17, v19 dst_sel:DWORD dst_unused:UNUSED_PAD src0_sel:DWORD src1_sel:WORD_0
	v_fma_mixlo_f16 v19, v14, v27, 0
	v_fma_mixlo_f16 v14, v14, v18, 0
	v_lshlrev_b32_e32 v14, 16, v14
	v_or_b32_sdwa v14, v14, v19 dst_sel:DWORD dst_unused:UNUSED_PAD src0_sel:DWORD src1_sel:WORD_0
	v_or_b32_e32 v29, 3, v1
	v_or_b32_e32 v28, 2, v1
	;; [unrolled: 1-line block ×6, first 2 shown]
	s_and_saveexec_b64 s[12:13], vcc
	s_cbranch_execz .LBB312_189
; %bb.188:                              ;   in Loop: Header=BB312_139 Depth=1
	v_lshrrev_b32_e32 v18, 16, v16
	v_cmp_gt_i32_e64 s[0:1], s20, v30
	v_cndmask_b32_e64 v18, 0, v18, s[0:1]
	v_cmp_gt_i32_e64 s[0:1], s29, v1
	v_cndmask_b32_e64 v16, 0, v16, s[0:1]
	v_perm_b32 v16, v18, v16, s34
	v_lshrrev_b32_e32 v18, 16, v4
	v_cmp_gt_i32_e64 s[0:1], s20, v29
	v_cndmask_b32_e64 v18, 0, v18, s[0:1]
	v_cmp_gt_i32_e64 s[0:1], s29, v28
	v_cndmask_b32_e64 v4, 0, v4, s[0:1]
	v_perm_b32 v4, v18, v4, s34
	v_lshrrev_b32_e32 v18, 16, v17
	v_cmp_gt_i32_e64 s[0:1], s20, v27
	v_cndmask_b32_e64 v18, 0, v18, s[0:1]
	v_cmp_gt_i32_e64 s[0:1], s29, v26
	v_cndmask_b32_e64 v17, 0, v17, s[0:1]
	v_lshrrev_b32_e32 v14, 16, v14
	v_cmp_gt_i32_e64 s[0:1], s20, v21
	v_cndmask_b32_e64 v14, 0, v14, s[0:1]
	v_cmp_gt_i32_e64 s[0:1], s29, v20
	v_perm_b32 v17, v18, v17, s34
	v_cndmask_b32_e64 v18, 0, v19, s[0:1]
	v_perm_b32 v14, v14, v18, s34
.LBB312_189:                            ;   in Loop: Header=BB312_139 Depth=1
	s_or_b64 exec, exec, s[12:13]
	v_and_b32_e32 v18, 0xffff, v31
	v_lshl_or_b32 v31, v32, 16, v18
	v_and_b32_e32 v18, 0xffff, v33
	v_lshl_or_b32 v32, v34, 16, v18
	;; [unrolled: 2-line block ×3, first 2 shown]
	v_and_b32_e32 v18, 0xffff, v37
	;;#ASMSTART
	v_pk_mul_f16 v16, v31, v16;

	;;#ASMEND
	;;#ASMSTART
	v_pk_mul_f16 v4, v32, v4;

	;;#ASMEND
	v_lshl_or_b32 v34, v38, 16, v18
	;;#ASMSTART
	v_pk_mul_f16 v17, v33, v17;

	;;#ASMEND
	;;#ASMSTART
	v_pk_mul_f16 v14, v34, v14;

	;;#ASMEND
	;;#ASMSTART
	v_pk_add_f16 v4, v16, v4;

	;;#ASMEND
	;;#ASMSTART
	v_pk_add_f16 v4, v4, v17;
	;; [unrolled: 4-line block ×3, first 2 shown]

	;;#ASMEND
	v_lshrrev_b32_e32 v14, 16, v4
	v_and_b32_e32 v4, 0xffff, v4
	;;#ASMSTART
	v_cvt_f32_f16 v35, v4;
	;;#ASMEND
	;;#ASMSTART
	v_cvt_f32_f16 v36, v14;
	;;#ASMEND
	global_load_dwordx2 v[18:19], v[12:13], off offset:512
	global_load_dword v14, v5, s[14:15]
	v_mov_b32_e32 v16, 0
	v_mov_b32_e32 v12, 0
	s_waitcnt vmcnt(1)
	v_cmp_ne_u16_sdwa s[0:1], v18, v5 src0_sel:BYTE_0 src1_sel:DWORD
	s_and_saveexec_b64 s[12:13], s[0:1]
	s_cbranch_execz .LBB312_195
; %bb.190:                              ;   in Loop: Header=BB312_139 Depth=1
	v_cmp_ne_u16_sdwa s[0:1], v18, s21 src0_sel:BYTE_0 src1_sel:DWORD
	v_bfrev_b32_e32 v12, 1
	s_and_saveexec_b64 s[16:17], s[0:1]
	s_cbranch_execz .LBB312_194
; %bb.191:                              ;   in Loop: Header=BB312_139 Depth=1
	v_and_b32_e32 v4, 0x7f, v18
	v_cmp_ne_u32_e64 s[0:1], s22, v4
	v_mov_b32_e32 v12, 0x7fc02000
	s_and_saveexec_b64 s[18:19], s[0:1]
	s_cbranch_execz .LBB312_193
; %bb.192:                              ;   in Loop: Header=BB312_139 Depth=1
	v_and_b32_e32 v12, 7, v18
	v_ffbh_u32_e32 v12, v12
	v_min_u32_e32 v12, 32, v12
	v_subrev_u32_e32 v13, 28, v12
	v_cmp_gt_u32_e64 s[0:1], 8, v4
	v_lshrrev_b32_e32 v17, 3, v4
	v_sub_u32_e32 v37, 29, v12
	v_cndmask_b32_e64 v4, 0, v13, s[0:1]
	v_lshlrev_b64 v[12:13], v4, v[18:19]
	v_cndmask_b32_e64 v4, v17, v37, s[0:1]
	v_lshlrev_b32_e32 v13, 8, v18
	v_lshl_add_u32 v4, v4, 10, v3
	v_lshlrev_b32_e32 v12, 7, v12
	v_and_or_b32 v4, v13, s23, v4
	v_and_or_b32 v4, v12, s28, v4
	v_cvt_f32_f16_e32 v12, v4
.LBB312_193:                            ;   in Loop: Header=BB312_139 Depth=1
	s_or_b64 exec, exec, s[18:19]
.LBB312_194:                            ;   in Loop: Header=BB312_139 Depth=1
	s_or_b64 exec, exec, s[16:17]
.LBB312_195:                            ;   in Loop: Header=BB312_139 Depth=1
	s_or_b64 exec, exec, s[12:13]
	v_lshrrev_b16_e32 v4, 8, v18
	v_cmp_ne_u16_e64 s[0:1], 0, v4
	s_and_saveexec_b64 s[12:13], s[0:1]
	s_cbranch_execz .LBB312_201
; %bb.196:                              ;   in Loop: Header=BB312_139 Depth=1
	v_cmp_ne_u16_e64 s[0:1], s21, v4
	v_bfrev_b32_e32 v16, 1
	s_and_saveexec_b64 s[16:17], s[0:1]
	s_cbranch_execz .LBB312_200
; %bb.197:                              ;   in Loop: Header=BB312_139 Depth=1
	v_and_b32_e32 v13, 0x7f, v4
	v_cmp_ne_u32_e64 s[0:1], s22, v13
	v_mov_b32_e32 v16, 0x7fc02000
	s_and_saveexec_b64 s[18:19], s[0:1]
	s_cbranch_execz .LBB312_199
; %bb.198:                              ;   in Loop: Header=BB312_139 Depth=1
	v_and_b32_e32 v37, 7, v4
	v_ffbh_u32_e32 v16, v37
	v_min_u32_e32 v39, 32, v16
	v_subrev_u32_e32 v16, 28, v39
	v_lshlrev_b64 v[16:17], v16, v[4:5]
	v_lshrrev_b32_e32 v38, 3, v13
	v_sub_u32_e32 v17, 29, v39
	v_cmp_gt_u32_e64 s[0:1], 8, v13
	v_cndmask_b32_e64 v13, v38, v17, s[0:1]
	v_and_b32_e32 v16, 7, v16
	v_lshlrev_b32_e32 v4, 8, v4
	v_lshl_add_u32 v13, v13, 10, v3
	v_cndmask_b32_e64 v16, v37, v16, s[0:1]
	v_and_or_b32 v4, v4, s23, v13
	v_lshl_or_b32 v4, v16, 7, v4
	v_cvt_f32_f16_e32 v16, v4
.LBB312_199:                            ;   in Loop: Header=BB312_139 Depth=1
	s_or_b64 exec, exec, s[18:19]
.LBB312_200:                            ;   in Loop: Header=BB312_139 Depth=1
	s_or_b64 exec, exec, s[16:17]
.LBB312_201:                            ;   in Loop: Header=BB312_139 Depth=1
	s_or_b64 exec, exec, s[12:13]
	v_lshrrev_b32_e32 v4, 16, v18
	v_cmp_ne_u16_sdwa s[0:1], v4, v5 src0_sel:BYTE_0 src1_sel:DWORD
	v_mov_b32_e32 v17, 0
	v_mov_b32_e32 v13, 0
	s_and_saveexec_b64 s[12:13], s[0:1]
	s_cbranch_execz .LBB312_207
; %bb.202:                              ;   in Loop: Header=BB312_139 Depth=1
	v_cmp_ne_u16_sdwa s[0:1], v4, s21 src0_sel:BYTE_0 src1_sel:DWORD
	v_bfrev_b32_e32 v13, 1
	s_and_saveexec_b64 s[16:17], s[0:1]
	s_cbranch_execz .LBB312_206
; %bb.203:                              ;   in Loop: Header=BB312_139 Depth=1
	v_bfe_u32 v37, v18, 16, 7
	v_cmp_ne_u32_e64 s[0:1], s22, v37
	v_mov_b32_e32 v13, 0x7fc02000
	s_and_saveexec_b64 s[18:19], s[0:1]
	s_cbranch_execz .LBB312_205
; %bb.204:                              ;   in Loop: Header=BB312_139 Depth=1
	v_and_b32_e32 v13, 7, v4
	v_ffbh_u32_e32 v38, v13
	v_min_u32_e32 v41, 32, v38
	v_subrev_u32_e32 v38, 28, v41
	v_lshlrev_b64 v[38:39], v38, v[4:5]
	v_lshrrev_b32_e32 v40, 3, v37
	v_sub_u32_e32 v39, 29, v41
	v_cmp_gt_u32_e64 s[0:1], 8, v37
	v_cndmask_b32_e64 v37, v40, v39, s[0:1]
	v_and_b32_e32 v38, 7, v38
	v_lshlrev_b32_e32 v4, 8, v4
	v_lshl_add_u32 v37, v37, 10, v3
	v_cndmask_b32_e64 v13, v13, v38, s[0:1]
	v_and_or_b32 v4, v4, s23, v37
	v_lshl_or_b32 v4, v13, 7, v4
	v_cvt_f32_f16_e32 v13, v4
.LBB312_205:                            ;   in Loop: Header=BB312_139 Depth=1
	s_or_b64 exec, exec, s[18:19]
.LBB312_206:                            ;   in Loop: Header=BB312_139 Depth=1
	s_or_b64 exec, exec, s[16:17]
.LBB312_207:                            ;   in Loop: Header=BB312_139 Depth=1
	s_or_b64 exec, exec, s[12:13]
	v_cmp_lt_u32_e64 s[0:1], s7, v18
	s_and_saveexec_b64 s[12:13], s[0:1]
	s_cbranch_execz .LBB312_213
; %bb.208:                              ;   in Loop: Header=BB312_139 Depth=1
	v_lshrrev_b32_e32 v4, 24, v18
	v_cmp_ne_u32_e64 s[0:1], s21, v4
	v_bfrev_b32_e32 v17, 1
	s_and_saveexec_b64 s[16:17], s[0:1]
	s_cbranch_execz .LBB312_212
; %bb.209:                              ;   in Loop: Header=BB312_139 Depth=1
	v_and_b32_e32 v37, 0x7f, v4
	v_cmp_ne_u32_e64 s[0:1], s22, v37
	v_mov_b32_e32 v17, 0x7fc02000
	s_and_saveexec_b64 s[18:19], s[0:1]
	s_cbranch_execz .LBB312_211
; %bb.210:                              ;   in Loop: Header=BB312_139 Depth=1
	v_and_b32_e32 v17, 7, v4
	v_ffbh_u32_e32 v38, v17
	v_min_u32_e32 v41, 32, v38
	v_subrev_u32_e32 v38, 28, v41
	v_lshlrev_b64 v[38:39], v38, v[4:5]
	v_lshrrev_b32_e32 v40, 3, v37
	v_sub_u32_e32 v39, 29, v41
	v_cmp_gt_u32_e64 s[0:1], 8, v37
	v_cndmask_b32_e64 v37, v40, v39, s[0:1]
	v_and_b32_e32 v38, 7, v38
	v_lshlrev_b32_e32 v4, 8, v4
	v_lshl_add_u32 v37, v37, 10, v3
	v_cndmask_b32_e64 v17, v17, v38, s[0:1]
	v_and_or_b32 v4, v4, s23, v37
	v_lshl_or_b32 v4, v17, 7, v4
	v_cvt_f32_f16_e32 v17, v4
.LBB312_211:                            ;   in Loop: Header=BB312_139 Depth=1
	s_or_b64 exec, exec, s[18:19]
.LBB312_212:                            ;   in Loop: Header=BB312_139 Depth=1
	s_or_b64 exec, exec, s[16:17]
.LBB312_213:                            ;   in Loop: Header=BB312_139 Depth=1
	s_or_b64 exec, exec, s[12:13]
	v_mov_b32_e32 v4, v19
	v_cmp_ne_u16_sdwa s[0:1], v19, v5 src0_sel:BYTE_0 src1_sel:DWORD
	v_mov_b32_e32 v38, 0
	v_mov_b32_e32 v37, 0
	s_and_saveexec_b64 s[12:13], s[0:1]
	s_cbranch_execz .LBB312_219
; %bb.214:                              ;   in Loop: Header=BB312_139 Depth=1
	v_cmp_ne_u16_sdwa s[0:1], v19, s21 src0_sel:BYTE_0 src1_sel:DWORD
	v_bfrev_b32_e32 v37, 1
	s_and_saveexec_b64 s[16:17], s[0:1]
	s_cbranch_execz .LBB312_218
; %bb.215:                              ;   in Loop: Header=BB312_139 Depth=1
	v_and_b32_e32 v39, 0x7f, v19
	v_cmp_ne_u32_e64 s[0:1], s22, v39
	v_mov_b32_e32 v37, 0x7fc02000
	s_and_saveexec_b64 s[18:19], s[0:1]
	s_cbranch_execz .LBB312_217
; %bb.216:                              ;   in Loop: Header=BB312_139 Depth=1
	v_and_b32_e32 v37, 7, v19
	v_ffbh_u32_e32 v37, v37
	v_min_u32_e32 v37, 32, v37
	v_subrev_u32_e32 v40, 28, v37
	v_cmp_gt_u32_e64 s[0:1], 8, v39
	v_lshrrev_b32_e32 v42, 3, v39
	v_sub_u32_e32 v37, 29, v37
	v_cndmask_b32_e64 v39, 0, v40, s[0:1]
	v_lshlrev_b64 v[40:41], v39, v[4:5]
	v_cndmask_b32_e64 v37, v42, v37, s[0:1]
	v_lshlrev_b32_e32 v39, 7, v40
	v_lshlrev_b32_e32 v40, 8, v19
	v_lshl_add_u32 v37, v37, 10, v3
	v_and_or_b32 v37, v40, s23, v37
	v_and_or_b32 v37, v39, s28, v37
	v_cvt_f32_f16_e32 v37, v37
.LBB312_217:                            ;   in Loop: Header=BB312_139 Depth=1
	s_or_b64 exec, exec, s[18:19]
.LBB312_218:                            ;   in Loop: Header=BB312_139 Depth=1
	s_or_b64 exec, exec, s[16:17]
.LBB312_219:                            ;   in Loop: Header=BB312_139 Depth=1
	s_or_b64 exec, exec, s[12:13]
	v_lshrrev_b16_e32 v4, 8, v4
	v_cmp_ne_u16_e64 s[0:1], 0, v4
	s_and_saveexec_b64 s[12:13], s[0:1]
	s_cbranch_execz .LBB312_225
; %bb.220:                              ;   in Loop: Header=BB312_139 Depth=1
	v_cmp_ne_u16_e64 s[0:1], s21, v4
	v_bfrev_b32_e32 v38, 1
	s_and_saveexec_b64 s[16:17], s[0:1]
	s_cbranch_execz .LBB312_224
; %bb.221:                              ;   in Loop: Header=BB312_139 Depth=1
	v_and_b32_e32 v39, 0x7f, v4
	v_cmp_ne_u32_e64 s[0:1], s22, v39
	v_mov_b32_e32 v38, 0x7fc02000
	s_and_saveexec_b64 s[18:19], s[0:1]
	s_cbranch_execz .LBB312_223
; %bb.222:                              ;   in Loop: Header=BB312_139 Depth=1
	v_and_b32_e32 v38, 7, v4
	v_ffbh_u32_e32 v40, v38
	v_min_u32_e32 v43, 32, v40
	v_subrev_u32_e32 v40, 28, v43
	v_lshlrev_b64 v[40:41], v40, v[4:5]
	v_lshrrev_b32_e32 v42, 3, v39
	v_sub_u32_e32 v41, 29, v43
	v_cmp_gt_u32_e64 s[0:1], 8, v39
	v_cndmask_b32_e64 v39, v42, v41, s[0:1]
	v_and_b32_e32 v40, 7, v40
	v_lshlrev_b32_e32 v4, 8, v4
	v_lshl_add_u32 v39, v39, 10, v3
	v_cndmask_b32_e64 v38, v38, v40, s[0:1]
	v_and_or_b32 v4, v4, s23, v39
	v_lshl_or_b32 v4, v38, 7, v4
	v_cvt_f32_f16_e32 v38, v4
.LBB312_223:                            ;   in Loop: Header=BB312_139 Depth=1
	s_or_b64 exec, exec, s[18:19]
.LBB312_224:                            ;   in Loop: Header=BB312_139 Depth=1
	s_or_b64 exec, exec, s[16:17]
.LBB312_225:                            ;   in Loop: Header=BB312_139 Depth=1
	s_or_b64 exec, exec, s[12:13]
	v_lshrrev_b32_e32 v4, 16, v19
	v_cmp_ne_u16_sdwa s[0:1], v4, v5 src0_sel:BYTE_0 src1_sel:DWORD
	v_mov_b32_e32 v39, 0
	v_mov_b32_e32 v40, 0
	s_and_saveexec_b64 s[12:13], s[0:1]
	s_cbranch_execz .LBB312_231
; %bb.226:                              ;   in Loop: Header=BB312_139 Depth=1
	v_cmp_ne_u16_sdwa s[0:1], v4, s21 src0_sel:BYTE_0 src1_sel:DWORD
	v_bfrev_b32_e32 v40, 1
	s_and_saveexec_b64 s[16:17], s[0:1]
	s_cbranch_execz .LBB312_230
; %bb.227:                              ;   in Loop: Header=BB312_139 Depth=1
	v_bfe_u32 v41, v19, 16, 7
	v_cmp_ne_u32_e64 s[0:1], s22, v41
	v_mov_b32_e32 v40, 0x7fc02000
	s_and_saveexec_b64 s[18:19], s[0:1]
	s_cbranch_execz .LBB312_229
; %bb.228:                              ;   in Loop: Header=BB312_139 Depth=1
	v_and_b32_e32 v40, 7, v4
	v_ffbh_u32_e32 v42, v40
	v_min_u32_e32 v45, 32, v42
	v_subrev_u32_e32 v42, 28, v45
	v_lshlrev_b64 v[42:43], v42, v[4:5]
	v_lshrrev_b32_e32 v44, 3, v41
	v_sub_u32_e32 v43, 29, v45
	v_cmp_gt_u32_e64 s[0:1], 8, v41
	v_cndmask_b32_e64 v41, v44, v43, s[0:1]
	v_and_b32_e32 v42, 7, v42
	v_lshlrev_b32_e32 v4, 8, v4
	v_lshl_add_u32 v41, v41, 10, v3
	v_cndmask_b32_e64 v40, v40, v42, s[0:1]
	v_and_or_b32 v4, v4, s23, v41
	v_lshl_or_b32 v4, v40, 7, v4
	v_cvt_f32_f16_e32 v40, v4
.LBB312_229:                            ;   in Loop: Header=BB312_139 Depth=1
	s_or_b64 exec, exec, s[18:19]
.LBB312_230:                            ;   in Loop: Header=BB312_139 Depth=1
	s_or_b64 exec, exec, s[16:17]
.LBB312_231:                            ;   in Loop: Header=BB312_139 Depth=1
	s_or_b64 exec, exec, s[12:13]
	v_cmp_lt_u64_e64 s[0:1], s[6:7], v[18:19]
	s_and_saveexec_b64 s[12:13], s[0:1]
	s_cbranch_execz .LBB312_237
; %bb.232:                              ;   in Loop: Header=BB312_139 Depth=1
	v_lshrrev_b32_e32 v4, 24, v19
	v_cmp_ne_u32_e64 s[0:1], s21, v4
	v_bfrev_b32_e32 v39, 1
	s_and_saveexec_b64 s[16:17], s[0:1]
	s_cbranch_execz .LBB312_236
; %bb.233:                              ;   in Loop: Header=BB312_139 Depth=1
	v_and_b32_e32 v18, 0x7f, v4
	v_cmp_ne_u32_e64 s[0:1], s22, v18
	v_mov_b32_e32 v39, 0x7fc02000
	s_and_saveexec_b64 s[18:19], s[0:1]
	s_cbranch_execz .LBB312_235
; %bb.234:                              ;   in Loop: Header=BB312_139 Depth=1
	v_and_b32_e32 v19, 7, v4
	v_ffbh_u32_e32 v41, v19
	v_min_u32_e32 v41, 32, v41
	v_lshrrev_b32_e32 v39, 3, v18
	v_subrev_u32_e32 v42, 28, v41
	v_sub_u32_e32 v41, 29, v41
	v_cmp_gt_u32_e64 s[0:1], 8, v18
	v_lshlrev_b64 v[42:43], v42, v[4:5]
	v_cndmask_b32_e64 v18, v39, v41, s[0:1]
	v_and_b32_e32 v42, 7, v42
	v_lshlrev_b32_e32 v4, 8, v4
	v_lshl_add_u32 v18, v18, 10, v3
	v_cndmask_b32_e64 v19, v19, v42, s[0:1]
	v_and_or_b32 v4, v4, s23, v18
	v_lshl_or_b32 v4, v19, 7, v4
	v_cvt_f32_f16_e32 v39, v4
.LBB312_235:                            ;   in Loop: Header=BB312_139 Depth=1
	s_or_b64 exec, exec, s[18:19]
.LBB312_236:                            ;   in Loop: Header=BB312_139 Depth=1
	s_or_b64 exec, exec, s[16:17]
.LBB312_237:                            ;   in Loop: Header=BB312_139 Depth=1
	s_or_b64 exec, exec, s[12:13]
	s_waitcnt vmcnt(0)
	v_pk_mul_f32 v[16:17], v[14:15], v[16:17] op_sel_hi:[0,1]
	v_pk_mul_f32 v[12:13], v[14:15], v[12:13] op_sel_hi:[0,1]
	v_cvt_f16_f32_e32 v4, v17
	v_cvt_f16_f32_e32 v16, v16
	;; [unrolled: 1-line block ×4, first 2 shown]
	v_pack_b32_f16 v16, v16, v4
	v_pack_b32_f16 v12, v12, v13
	v_fma_mixlo_f16 v13, v14, v38, 0
	v_perm_b32 v4, v12, v16, s30
	v_perm_b32 v12, v12, v16, s31
	v_lshlrev_b32_e32 v13, 16, v13
	v_fma_mixlo_f16 v16, v14, v37, 0
	v_or_b32_sdwa v13, v13, v16 dst_sel:DWORD dst_unused:UNUSED_PAD src0_sel:DWORD src1_sel:WORD_0
	v_fma_mixlo_f16 v16, v14, v40, 0
	v_fma_mixlo_f16 v14, v14, v39, 0
	v_lshlrev_b32_e32 v14, 16, v14
	v_or_b32_sdwa v14, v14, v16 dst_sel:DWORD dst_unused:UNUSED_PAD src0_sel:DWORD src1_sel:WORD_0
	s_and_saveexec_b64 s[0:1], vcc
	s_cbranch_execz .LBB312_138
; %bb.238:                              ;   in Loop: Header=BB312_139 Depth=1
	v_lshrrev_b32_e32 v17, 16, v12
	v_cmp_gt_i32_e32 vcc, s20, v30
	v_cndmask_b32_e32 v17, 0, v17, vcc
	v_cmp_gt_i32_e32 vcc, s29, v1
	v_cndmask_b32_e32 v12, 0, v12, vcc
	v_perm_b32 v12, v17, v12, s34
	v_lshrrev_b32_e32 v17, 16, v4
	v_cmp_gt_i32_e32 vcc, s20, v29
	v_cndmask_b32_e32 v17, 0, v17, vcc
	v_cmp_gt_i32_e32 vcc, s29, v28
	v_cndmask_b32_e32 v4, 0, v4, vcc
	v_perm_b32 v4, v17, v4, s34
	v_lshrrev_b32_e32 v17, 16, v13
	v_cmp_gt_i32_e32 vcc, s20, v27
	v_cndmask_b32_e32 v17, 0, v17, vcc
	v_cmp_gt_i32_e32 vcc, s29, v26
	v_cndmask_b32_e32 v13, 0, v13, vcc
	v_lshrrev_b32_e32 v14, 16, v14
	v_cmp_gt_i32_e32 vcc, s20, v21
	v_cndmask_b32_e32 v14, 0, v14, vcc
	v_cmp_gt_i32_e32 vcc, s29, v20
	v_cndmask_b32_e32 v16, 0, v16, vcc
	v_perm_b32 v13, v17, v13, s34
	v_perm_b32 v14, v14, v16, s34
	s_branch .LBB312_138
.LBB312_239:
	s_or_b64 exec, exec, s[10:11]
.LBB312_240:
	s_or_b64 exec, exec, s[4:5]
	ds_bpermute_b32 v2, v22, v6
	ds_bpermute_b32 v3, v22, v7
	v_and_b32_e32 v1, 0x3c3, v0
	v_cmp_eq_u32_e32 vcc, 64, v1
	s_waitcnt lgkmcnt(0)
	s_barrier
	v_pk_add_f32 v[2:3], v[6:7], v[2:3]
	ds_bpermute_b32 v4, v23, v2
	ds_bpermute_b32 v5, v23, v3
	s_waitcnt lgkmcnt(0)
	v_pk_add_f32 v[2:3], v[2:3], v[4:5]
	s_and_saveexec_b64 s[0:1], vcc
	s_cbranch_execz .LBB312_242
; %bb.241:
	v_add_u32_e32 v5, 0x50, v15
	v_add_u32_e32 v4, 0x50, v0
	ds_write_b32 v5, v2
	ds_write_b32 v4, v3
.LBB312_242:
	s_or_b64 exec, exec, s[0:1]
	v_cmp_gt_u32_e32 vcc, 64, v0
	s_waitcnt lgkmcnt(0)
	s_barrier
	s_and_saveexec_b64 s[0:1], vcc
	s_cbranch_execz .LBB312_248
; %bb.243:
	v_cmp_eq_u32_e32 vcc, 0, v24
	v_lshrrev_b32_e32 v4, 2, v0
	s_and_saveexec_b64 s[4:5], vcc
	s_cbranch_execz .LBB312_245
; %bb.244:
	v_mov_b32_e32 v5, 0x50
	v_lshl_add_u32 v5, v4, 2, v5
	ds_read_b32 v5, v5
	s_waitcnt lgkmcnt(0)
	v_add_f32_e32 v2, v2, v5
.LBB312_245:
	s_or_b64 exec, exec, s[4:5]
	s_and_saveexec_b64 s[4:5], vcc
	s_cbranch_execz .LBB312_247
; %bb.246:
	v_mov_b32_e32 v5, 0x50
	v_lshl_add_u32 v4, v4, 2, v5
	ds_read_b32 v4, v4 offset:64
	s_waitcnt lgkmcnt(0)
	v_add_f32_e32 v3, v3, v4
.LBB312_247:
	s_or_b64 exec, exec, s[4:5]
.LBB312_248:
	s_or_b64 exec, exec, s[0:1]
	v_cmp_eq_u32_e32 vcc, 0, v1
	s_barrier
	s_and_saveexec_b64 s[0:1], vcc
	s_cbranch_execz .LBB312_250
; %bb.249:
	s_lshl_b32 s0, s2, 5
	s_ashr_i32 s1, s0, 31
	s_lshl_b64 s[0:1], s[0:1], 1
	s_add_u32 s2, s26, s0
	s_mul_i32 s0, s25, s24
	s_addc_u32 s3, s27, s1
	s_ashr_i32 s1, s0, 31
	s_lshl_b64 s[0:1], s[0:1], 1
	s_add_u32 s2, s2, s0
	s_addc_u32 s3, s3, s1
	s_lshl_b32 s0, s8, 5
	s_ashr_i32 s1, s0, 31
	s_lshl_b64 s[0:1], s[0:1], 1
	s_add_u32 s0, s2, s0
	s_addc_u32 s1, s3, s1
	v_lshrrev_b32_e32 v0, 1, v0
	;;#ASMSTART
	v_cvt_f16_f32 v1, v2;

	;;#ASMEND
	global_store_short v0, v1, s[0:1]
	;;#ASMSTART
	v_cvt_f16_f32 v1, v3;

	;;#ASMEND
	global_store_short v0, v1, s[0:1] offset:32
.LBB312_250:
	s_endpgm
	.section	.rodata,"a",@progbits
	.p2align	6, 0x0
	.amdhsa_kernel _ZN4vllm25paged_attention_v2_kernelIthLi32ELi32ELi128ELNS_18Fp8KVCacheDataTypeE1ELb0ELi512EEEvPfS2_PT_PKS3_PKT0_S9_ifPKiSB_iPKfiiiSD_SD_iiiii
		.amdhsa_group_segment_fixed_size 80
		.amdhsa_private_segment_fixed_size 0
		.amdhsa_kernarg_size 400
		.amdhsa_user_sgpr_count 6
		.amdhsa_user_sgpr_private_segment_buffer 1
		.amdhsa_user_sgpr_dispatch_ptr 0
		.amdhsa_user_sgpr_queue_ptr 0
		.amdhsa_user_sgpr_kernarg_segment_ptr 1
		.amdhsa_user_sgpr_dispatch_id 0
		.amdhsa_user_sgpr_flat_scratch_init 0
		.amdhsa_user_sgpr_kernarg_preload_length 0
		.amdhsa_user_sgpr_kernarg_preload_offset 0
		.amdhsa_user_sgpr_private_segment_size 0
		.amdhsa_uses_dynamic_stack 0
		.amdhsa_system_sgpr_private_segment_wavefront_offset 0
		.amdhsa_system_sgpr_workgroup_id_x 1
		.amdhsa_system_sgpr_workgroup_id_y 1
		.amdhsa_system_sgpr_workgroup_id_z 1
		.amdhsa_system_sgpr_workgroup_info 0
		.amdhsa_system_vgpr_workitem_id 0
		.amdhsa_next_free_vgpr 46
		.amdhsa_next_free_sgpr 54
		.amdhsa_accum_offset 48
		.amdhsa_reserve_vcc 1
		.amdhsa_reserve_flat_scratch 0
		.amdhsa_float_round_mode_32 0
		.amdhsa_float_round_mode_16_64 0
		.amdhsa_float_denorm_mode_32 3
		.amdhsa_float_denorm_mode_16_64 3
		.amdhsa_dx10_clamp 1
		.amdhsa_ieee_mode 1
		.amdhsa_fp16_overflow 0
		.amdhsa_tg_split 0
		.amdhsa_exception_fp_ieee_invalid_op 0
		.amdhsa_exception_fp_denorm_src 0
		.amdhsa_exception_fp_ieee_div_zero 0
		.amdhsa_exception_fp_ieee_overflow 0
		.amdhsa_exception_fp_ieee_underflow 0
		.amdhsa_exception_fp_ieee_inexact 0
		.amdhsa_exception_int_div_zero 0
	.end_amdhsa_kernel
	.section	.text._ZN4vllm25paged_attention_v2_kernelIthLi32ELi32ELi128ELNS_18Fp8KVCacheDataTypeE1ELb0ELi512EEEvPfS2_PT_PKS3_PKT0_S9_ifPKiSB_iPKfiiiSD_SD_iiiii,"axG",@progbits,_ZN4vllm25paged_attention_v2_kernelIthLi32ELi32ELi128ELNS_18Fp8KVCacheDataTypeE1ELb0ELi512EEEvPfS2_PT_PKS3_PKT0_S9_ifPKiSB_iPKfiiiSD_SD_iiiii,comdat
.Lfunc_end312:
	.size	_ZN4vllm25paged_attention_v2_kernelIthLi32ELi32ELi128ELNS_18Fp8KVCacheDataTypeE1ELb0ELi512EEEvPfS2_PT_PKS3_PKT0_S9_ifPKiSB_iPKfiiiSD_SD_iiiii, .Lfunc_end312-_ZN4vllm25paged_attention_v2_kernelIthLi32ELi32ELi128ELNS_18Fp8KVCacheDataTypeE1ELb0ELi512EEEvPfS2_PT_PKS3_PKT0_S9_ifPKiSB_iPKfiiiSD_SD_iiiii
                                        ; -- End function
	.section	.AMDGPU.csdata,"",@progbits
; Kernel info:
; codeLenInByte = 10544
; NumSgprs: 58
; NumVgprs: 46
; NumAgprs: 0
; TotalNumVgprs: 46
; ScratchSize: 0
; MemoryBound: 0
; FloatMode: 240
; IeeeMode: 1
; LDSByteSize: 80 bytes/workgroup (compile time only)
; SGPRBlocks: 7
; VGPRBlocks: 5
; NumSGPRsForWavesPerEU: 58
; NumVGPRsForWavesPerEU: 46
; AccumOffset: 48
; Occupancy: 8
; WaveLimiterHint : 1
; COMPUTE_PGM_RSRC2:SCRATCH_EN: 0
; COMPUTE_PGM_RSRC2:USER_SGPR: 6
; COMPUTE_PGM_RSRC2:TRAP_HANDLER: 0
; COMPUTE_PGM_RSRC2:TGID_X_EN: 1
; COMPUTE_PGM_RSRC2:TGID_Y_EN: 1
; COMPUTE_PGM_RSRC2:TGID_Z_EN: 1
; COMPUTE_PGM_RSRC2:TIDIG_COMP_CNT: 0
; COMPUTE_PGM_RSRC3_GFX90A:ACCUM_OFFSET: 11
; COMPUTE_PGM_RSRC3_GFX90A:TG_SPLIT: 0
	.section	.text._ZN4vllm25paged_attention_v2_kernelIthLi64ELi32ELi128ELNS_18Fp8KVCacheDataTypeE1ELb0ELi512EEEvPfS2_PT_PKS3_PKT0_S9_ifPKiSB_iPKfiiiSD_SD_iiiii,"axG",@progbits,_ZN4vllm25paged_attention_v2_kernelIthLi64ELi32ELi128ELNS_18Fp8KVCacheDataTypeE1ELb0ELi512EEEvPfS2_PT_PKS3_PKT0_S9_ifPKiSB_iPKfiiiSD_SD_iiiii,comdat
	.protected	_ZN4vllm25paged_attention_v2_kernelIthLi64ELi32ELi128ELNS_18Fp8KVCacheDataTypeE1ELb0ELi512EEEvPfS2_PT_PKS3_PKT0_S9_ifPKiSB_iPKfiiiSD_SD_iiiii ; -- Begin function _ZN4vllm25paged_attention_v2_kernelIthLi64ELi32ELi128ELNS_18Fp8KVCacheDataTypeE1ELb0ELi512EEEvPfS2_PT_PKS3_PKT0_S9_ifPKiSB_iPKfiiiSD_SD_iiiii
	.globl	_ZN4vllm25paged_attention_v2_kernelIthLi64ELi32ELi128ELNS_18Fp8KVCacheDataTypeE1ELb0ELi512EEEvPfS2_PT_PKS3_PKT0_S9_ifPKiSB_iPKfiiiSD_SD_iiiii
	.p2align	8
	.type	_ZN4vllm25paged_attention_v2_kernelIthLi64ELi32ELi128ELNS_18Fp8KVCacheDataTypeE1ELb0ELi512EEEvPfS2_PT_PKS3_PKT0_S9_ifPKiSB_iPKfiiiSD_SD_iiiii,@function
_ZN4vllm25paged_attention_v2_kernelIthLi64ELi32ELi128ELNS_18Fp8KVCacheDataTypeE1ELb0ELi512EEEvPfS2_PT_PKS3_PKT0_S9_ifPKiSB_iPKfiiiSD_SD_iiiii: ; @_ZN4vllm25paged_attention_v2_kernelIthLi64ELi32ELi128ELNS_18Fp8KVCacheDataTypeE1ELb0ELi512EEEvPfS2_PT_PKS3_PKT0_S9_ifPKiSB_iPKfiiiSD_SD_iiiii
; %bb.0:
	s_load_dwordx2 s[0:1], s[4:5], 0x40
	s_mov_b32 s28, s7
	s_ashr_i32 s29, s7, 31
	s_lshl_b64 s[2:3], s[28:29], 2
	s_waitcnt lgkmcnt(0)
	s_add_u32 s0, s0, s2
	s_addc_u32 s1, s1, s3
	s_load_dword s29, s[0:1], 0x0
	s_lshl_b32 s46, s8, 9
	s_waitcnt lgkmcnt(0)
	s_cmp_ge_i32 s46, s29
	s_cbranch_scc1 .LBB313_447
; %bb.1:
	s_load_dword s9, s[4:5], 0x90
	s_load_dwordx2 s[10:11], s[4:5], 0x30
	s_mov_b32 s47, 0
	s_waitcnt lgkmcnt(0)
	s_abs_i32 s2, s9
	s_abs_i32 s0, s10
	v_cvt_f32_u32_e32 v1, s0
	s_sub_i32 s3, 0, s0
	s_xor_b32 s1, s9, s10
	s_ashr_i32 s1, s1, 31
	v_rcp_iflag_f32_e32 v1, v1
	v_mul_f32_e32 v1, 0x4f7ffffe, v1
	v_cvt_u32_f32_e32 v1, v1
	v_readfirstlane_b32 s7, v1
	s_mul_i32 s3, s3, s7
	s_mul_hi_u32 s3, s7, s3
	s_add_i32 s7, s7, s3
	s_mul_hi_u32 s3, s2, s7
	s_mul_i32 s7, s3, s0
	s_sub_i32 s2, s2, s7
	s_add_i32 s10, s3, 1
	s_sub_i32 s7, s2, s0
	s_cmp_ge_u32 s2, s0
	s_cselect_b32 s3, s10, s3
	s_cselect_b32 s2, s7, s2
	s_add_i32 s7, s3, 1
	s_cmp_ge_u32 s2, s0
	s_cselect_b32 s0, s7, s3
	s_xor_b32 s0, s0, s1
	s_sub_i32 s10, s0, s1
	s_abs_i32 s2, s10
	v_cvt_f32_u32_e32 v1, s2
	s_load_dwordx2 s[0:1], s[4:5], 0x50
	s_sub_i32 s7, 0, s2
	s_abs_i32 s3, s6
	v_rcp_iflag_f32_e32 v1, v1
	v_mul_f32_e32 v1, 0x4f7ffffe, v1
	v_cvt_u32_f32_e32 v1, v1
	v_readfirstlane_b32 s12, v1
	s_mul_i32 s7, s7, s12
	s_mul_hi_u32 s7, s12, s7
	s_add_i32 s12, s12, s7
	s_waitcnt lgkmcnt(0)
	s_cmp_eq_u64 s[0:1], 0
	s_mul_hi_u32 s12, s3, s12
	s_cbranch_scc1 .LBB313_3
; %bb.2:
	s_ashr_i32 s7, s6, 31
	s_lshl_b64 s[14:15], s[6:7], 2
	s_add_u32 s0, s0, s14
	s_addc_u32 s1, s1, s15
	s_load_dword s47, s[0:1], 0x0
.LBB313_3:
	s_load_dwordx4 s[16:19], s[4:5], 0x58
	s_ashr_i32 s7, s6, 31
	s_ashr_i32 s13, s10, 31
	v_and_b32_e32 v8, 1, v0
	s_lshl_b32 s24, s6, 6
	v_cmp_gt_u32_e32 vcc, 16, v0
	v_lshlrev_b32_e32 v1, 3, v0
	s_and_saveexec_b64 s[0:1], vcc
	s_cbranch_execz .LBB313_5
; %bb.4:
	s_load_dwordx2 s[14:15], s[4:5], 0x18
	s_waitcnt lgkmcnt(0)
	s_mul_i32 s20, s28, s16
	s_ashr_i32 s21, s20, 31
	s_lshl_b64 s[20:21], s[20:21], 1
	v_lshlrev_b32_e32 v4, 2, v0
	s_add_u32 s10, s14, s20
	s_addc_u32 s16, s15, s21
	s_ashr_i32 s25, s24, 31
	s_lshl_b64 s[14:15], s[24:25], 1
	s_add_u32 s14, s10, s14
	s_addc_u32 s15, s16, s15
	global_load_dwordx2 v[2:3], v1, s[14:15]
	v_and_b32_e32 v4, 0xff8, v4
	v_lshl_add_u32 v4, v8, 6, v4
	s_waitcnt vmcnt(0)
	ds_write_b64 v4, v[2:3]
.LBB313_5:
	s_or_b64 exec, exec, s[0:1]
	s_add_i32 s0, s29, 31
	s_ashr_i32 s1, s0, 31
	s_lshr_b32 s1, s1, 27
	s_add_i32 s0, s0, s1
	s_lshl_b32 s10, s8, 4
	s_mul_i32 s1, s12, s2
	s_waitcnt lgkmcnt(0)
	s_ashr_i32 s16, s0, 5
	s_add_i32 s0, s10, 16
	s_sub_i32 s1, s3, s1
	s_min_i32 s33, s0, s16
	s_xor_b32 s0, s7, s13
	s_add_i32 s3, s12, 1
	s_sub_i32 s7, s1, s2
	s_cmp_ge_u32 s1, s2
	s_cselect_b32 s3, s3, s12
	s_cselect_b32 s1, s7, s1
	s_add_i32 s7, s3, 1
	s_cmp_ge_u32 s1, s2
	s_load_dwordx2 s[30:31], s[4:5], 0x38
	s_load_dword s2, s[4:5], 0x48
	v_lshrrev_b32_e32 v13, 6, v0
	s_cselect_b32 s1, s7, s3
	s_xor_b32 s1, s1, s0
	v_or_b32_e32 v2, s10, v13
	s_waitcnt lgkmcnt(0)
	s_mul_i32 s34, s28, s2
	s_sub_i32 s7, s1, s0
	s_ashr_i32 s35, s34, 31
	v_cmp_gt_i32_e64 s[0:1], s33, v2
	v_cmp_le_i32_e32 vcc, s33, v2
	v_mbcnt_lo_u32_b32 v11, -1, 0
	s_barrier
	s_waitcnt lgkmcnt(0)
                                        ; implicit-def: $sgpr19
                                        ; implicit-def: $vgpr7
                                        ; implicit-def: $vgpr10
	s_and_saveexec_b64 s[2:3], vcc
	s_xor_b64 s[2:3], exec, s[2:3]
; %bb.6:
	v_mbcnt_hi_u32_b32 v7, -1, v11
	v_and_b32_e32 v3, 64, v7
	v_add_u32_e32 v10, 64, v3
	s_mov_b32 s19, 0xff7fffff
                                        ; implicit-def: $vgpr8
                                        ; implicit-def: $vgpr11
; %bb.7:
	s_or_saveexec_b64 s[38:39], s[2:3]
	s_load_dwordx4 s[20:23], s[4:5], 0x0
	s_load_dwordx2 s[26:27], s[4:5], 0x10
	s_load_dword s25, s[4:5], 0x98
	s_load_dwordx2 s[36:37], s[4:5], 0x28
	s_load_dwordx4 s[12:15], s[4:5], 0x68
	v_mov_b32_e32 v16, s19
	s_mul_i32 s7, s7, s18
	v_ashrrev_i32_e32 v3, 31, v2
	v_lshlrev_b32_e32 v15, 5, v13
	s_xor_b64 exec, exec, s[38:39]
	s_cbranch_execz .LBB313_205
; %bb.8:
	s_load_dwordx2 s[2:3], s[4:5], 0x20
	s_ashr_i32 s4, s7, 31
	v_bfe_u32 v7, v0, 1, 5
	v_lshlrev_b32_e32 v4, 4, v7
	v_add3_u32 v19, s46, v15, v7
	s_waitcnt lgkmcnt(0)
	s_add_u32 s2, s2, s7
	s_addc_u32 s3, s3, s4
	v_mov_b32_e32 v5, s3
	v_add_co_u32_e32 v4, vcc, s2, v4
	s_sub_i32 s49, 1, s29
	s_lshl_b64 s[4:5], s[34:35], 2
	v_addc_co_u32_e32 v5, vcc, 0, v5, vcc
	v_lshlrev_b32_e32 v7, 2, v7
	s_add_u32 s4, s30, s4
	v_lshlrev_b32_e32 v6, 2, v8
	v_lshlrev_b32_e32 v18, 6, v8
	v_cmp_eq_u32_e32 vcc, 0, v8
	v_lshl_or_b32 v7, v13, 7, v7
	v_lshlrev_b64 v[8:9], 2, v[2:3]
	s_addc_u32 s5, s31, s5
	v_add_u32_e32 v20, 0x90, v7
	v_mov_b32_e32 v7, s5
	v_add_co_u32_e64 v8, s[4:5], s4, v8
	s_mov_b32 s48, s17
	v_mov_b32_e32 v17, 0
	v_cmp_neq_f32_e64 s[2:3], s47, 0
	v_addc_co_u32_e64 v9, s[4:5], v7, v9, s[4:5]
	s_mov_b64 s[18:19], 0
	v_mov_b32_e32 v16, 0xff7fffff
	s_movk_i32 s50, 0x80
	s_movk_i32 s51, 0x7f
	s_mov_b32 s52, 0x8000
	s_mov_b32 s53, 0xffffff
	v_mbcnt_hi_u32_b32 v7, -1, v11
	v_mov_b32_e32 v21, 0x2000
	v_mov_b32_e32 v22, v2
	s_branch .LBB313_10
.LBB313_9:                              ;   in Loop: Header=BB313_10 Depth=1
	s_or_b64 exec, exec, s[40:41]
	v_add_u32_e32 v22, 2, v22
	v_cmp_le_i32_e64 s[4:5], s33, v22
	s_or_b64 s[18:19], s[4:5], s[18:19]
	v_add_co_u32_e64 v8, s[4:5], 8, v8
	v_add_u32_e32 v19, 64, v19
	v_add_u32_e32 v20, 0x100, v20
	v_addc_co_u32_e64 v9, s[4:5], 0, v9, s[4:5]
	s_andn2_b64 exec, exec, s[18:19]
	s_cbranch_execz .LBB313_204
.LBB313_10:                             ; =>This Inner Loop Header: Depth=1
	global_load_dword v10, v[8:9], off
	v_mov_b32_e32 v24, 0
	s_waitcnt vmcnt(0)
	v_mad_i64_i32 v[10:11], s[4:5], v10, s48, v[4:5]
	v_add_co_u32_e64 v10, s[4:5], v10, v6
	v_addc_co_u32_e64 v11, s[4:5], 0, v11, s[4:5]
	s_waitcnt lgkmcnt(0)
	global_load_dword v12, v[10:11], off
	global_load_dword v23, v17, s[12:13]
	s_waitcnt vmcnt(1)
	v_cmp_ne_u16_sdwa s[4:5], v12, v17 src0_sel:BYTE_0 src1_sel:DWORD
	s_and_saveexec_b64 s[40:41], s[4:5]
	s_cbranch_execz .LBB313_16
; %bb.11:                               ;   in Loop: Header=BB313_10 Depth=1
	v_cmp_ne_u16_sdwa s[4:5], v12, s50 src0_sel:BYTE_0 src1_sel:DWORD
	v_bfrev_b32_e32 v24, 1
	s_and_saveexec_b64 s[42:43], s[4:5]
	s_cbranch_execz .LBB313_15
; %bb.12:                               ;   in Loop: Header=BB313_10 Depth=1
	v_and_b32_e32 v14, 0x7f, v12
	v_cmp_ne_u32_e64 s[4:5], s51, v14
	v_mov_b32_e32 v24, 0x7fc02000
	s_and_saveexec_b64 s[44:45], s[4:5]
	s_cbranch_execz .LBB313_14
; %bb.13:                               ;   in Loop: Header=BB313_10 Depth=1
	v_and_b32_e32 v26, 7, v12
	v_ffbh_u32_e32 v24, v26
	v_min_u32_e32 v28, 32, v24
	v_subrev_u32_e32 v24, 28, v28
	v_lshlrev_b64 v[24:25], v24, v[12:13]
	v_lshrrev_b32_e32 v27, 3, v14
	v_sub_u32_e32 v25, 29, v28
	v_cmp_gt_u32_e64 s[4:5], 8, v14
	v_cndmask_b32_e64 v14, v27, v25, s[4:5]
	v_and_b32_e32 v24, 7, v24
	v_lshlrev_b32_e32 v25, 8, v12
	v_lshl_add_u32 v14, v14, 10, v21
	v_cndmask_b32_e64 v24, v26, v24, s[4:5]
	v_and_or_b32 v14, v25, s52, v14
	v_lshl_or_b32 v14, v24, 7, v14
	v_cvt_f32_f16_e32 v24, v14
.LBB313_14:                             ;   in Loop: Header=BB313_10 Depth=1
	s_or_b64 exec, exec, s[44:45]
.LBB313_15:                             ;   in Loop: Header=BB313_10 Depth=1
	s_or_b64 exec, exec, s[42:43]
.LBB313_16:                             ;   in Loop: Header=BB313_10 Depth=1
	s_or_b64 exec, exec, s[40:41]
	v_lshrrev_b16_e32 v14, 8, v12
	v_cmp_ne_u16_e64 s[4:5], 0, v14
	v_mov_b32_e32 v25, 0
	v_mov_b32_e32 v26, 0
	s_and_saveexec_b64 s[40:41], s[4:5]
	s_cbranch_execz .LBB313_22
; %bb.17:                               ;   in Loop: Header=BB313_10 Depth=1
	v_cmp_ne_u16_e64 s[4:5], s50, v14
	v_bfrev_b32_e32 v26, 1
	s_and_saveexec_b64 s[42:43], s[4:5]
	s_cbranch_execz .LBB313_21
; %bb.18:                               ;   in Loop: Header=BB313_10 Depth=1
	v_and_b32_e32 v27, 0x7f, v14
	v_cmp_ne_u32_e64 s[4:5], s51, v27
	v_mov_b32_e32 v26, 0x7fc02000
	s_and_saveexec_b64 s[44:45], s[4:5]
	s_cbranch_execz .LBB313_20
; %bb.19:                               ;   in Loop: Header=BB313_10 Depth=1
	v_and_b32_e32 v26, 7, v14
	v_ffbh_u32_e32 v28, v26
	v_min_u32_e32 v31, 32, v28
	v_subrev_u32_e32 v28, 28, v31
	v_lshlrev_b64 v[28:29], v28, v[14:15]
	v_lshrrev_b32_e32 v30, 3, v27
	v_sub_u32_e32 v29, 29, v31
	v_cmp_gt_u32_e64 s[4:5], 8, v27
	v_cndmask_b32_e64 v27, v30, v29, s[4:5]
	v_and_b32_e32 v28, 7, v28
	v_lshlrev_b32_e32 v14, 8, v14
	v_lshl_add_u32 v27, v27, 10, v21
	v_cndmask_b32_e64 v26, v26, v28, s[4:5]
	v_and_or_b32 v14, v14, s52, v27
	v_lshl_or_b32 v14, v26, 7, v14
	v_cvt_f32_f16_e32 v26, v14
.LBB313_20:                             ;   in Loop: Header=BB313_10 Depth=1
	s_or_b64 exec, exec, s[44:45]
.LBB313_21:                             ;   in Loop: Header=BB313_10 Depth=1
	s_or_b64 exec, exec, s[42:43]
.LBB313_22:                             ;   in Loop: Header=BB313_10 Depth=1
	s_or_b64 exec, exec, s[40:41]
	v_lshrrev_b32_e32 v14, 16, v12
	v_cmp_ne_u16_sdwa s[4:5], v14, v17 src0_sel:BYTE_0 src1_sel:DWORD
	s_and_saveexec_b64 s[40:41], s[4:5]
	s_cbranch_execz .LBB313_28
; %bb.23:                               ;   in Loop: Header=BB313_10 Depth=1
	v_cmp_ne_u16_sdwa s[4:5], v14, s50 src0_sel:BYTE_0 src1_sel:DWORD
	v_bfrev_b32_e32 v25, 1
	s_and_saveexec_b64 s[42:43], s[4:5]
	s_cbranch_execz .LBB313_27
; %bb.24:                               ;   in Loop: Header=BB313_10 Depth=1
	v_bfe_u32 v27, v12, 16, 7
	v_cmp_ne_u32_e64 s[4:5], s51, v27
	v_mov_b32_e32 v25, 0x7fc02000
	s_and_saveexec_b64 s[44:45], s[4:5]
	s_cbranch_execz .LBB313_26
; %bb.25:                               ;   in Loop: Header=BB313_10 Depth=1
	v_and_b32_e32 v25, 7, v14
	v_ffbh_u32_e32 v28, v25
	v_min_u32_e32 v31, 32, v28
	v_subrev_u32_e32 v28, 28, v31
	v_lshlrev_b64 v[28:29], v28, v[14:15]
	v_lshrrev_b32_e32 v30, 3, v27
	v_sub_u32_e32 v29, 29, v31
	v_cmp_gt_u32_e64 s[4:5], 8, v27
	v_cndmask_b32_e64 v27, v30, v29, s[4:5]
	v_and_b32_e32 v28, 7, v28
	v_lshlrev_b32_e32 v14, 8, v14
	v_lshl_add_u32 v27, v27, 10, v21
	v_cndmask_b32_e64 v25, v25, v28, s[4:5]
	v_and_or_b32 v14, v14, s52, v27
	v_lshl_or_b32 v14, v25, 7, v14
	v_cvt_f32_f16_e32 v25, v14
.LBB313_26:                             ;   in Loop: Header=BB313_10 Depth=1
	s_or_b64 exec, exec, s[44:45]
.LBB313_27:                             ;   in Loop: Header=BB313_10 Depth=1
	s_or_b64 exec, exec, s[42:43]
.LBB313_28:                             ;   in Loop: Header=BB313_10 Depth=1
	s_or_b64 exec, exec, s[40:41]
	v_cmp_lt_u32_e64 s[4:5], s53, v12
	v_mov_b32_e32 v28, 0
	v_mov_b32_e32 v27, 0
	s_and_saveexec_b64 s[40:41], s[4:5]
	s_cbranch_execz .LBB313_34
; %bb.29:                               ;   in Loop: Header=BB313_10 Depth=1
	v_lshrrev_b32_e32 v12, 24, v12
	v_cmp_ne_u32_e64 s[4:5], s50, v12
	v_bfrev_b32_e32 v27, 1
	s_and_saveexec_b64 s[42:43], s[4:5]
	s_cbranch_execz .LBB313_33
; %bb.30:                               ;   in Loop: Header=BB313_10 Depth=1
	v_and_b32_e32 v14, 0x7f, v12
	v_cmp_ne_u32_e64 s[4:5], s51, v14
	v_mov_b32_e32 v27, 0x7fc02000
	s_and_saveexec_b64 s[44:45], s[4:5]
	s_cbranch_execz .LBB313_32
; %bb.31:                               ;   in Loop: Header=BB313_10 Depth=1
	v_and_b32_e32 v27, 7, v12
	v_ffbh_u32_e32 v30, v27
	v_min_u32_e32 v32, 32, v30
	v_subrev_u32_e32 v30, 28, v32
	v_lshlrev_b64 v[30:31], v30, v[12:13]
	v_lshrrev_b32_e32 v29, 3, v14
	v_sub_u32_e32 v31, 29, v32
	v_cmp_gt_u32_e64 s[4:5], 8, v14
	v_cndmask_b32_e64 v14, v29, v31, s[4:5]
	v_and_b32_e32 v30, 7, v30
	v_lshlrev_b32_e32 v12, 8, v12
	v_lshl_add_u32 v14, v14, 10, v21
	v_cndmask_b32_e64 v27, v27, v30, s[4:5]
	v_and_or_b32 v12, v12, s52, v14
	v_lshl_or_b32 v12, v27, 7, v12
	v_cvt_f32_f16_e32 v27, v12
.LBB313_32:                             ;   in Loop: Header=BB313_10 Depth=1
	s_or_b64 exec, exec, s[44:45]
.LBB313_33:                             ;   in Loop: Header=BB313_10 Depth=1
	s_or_b64 exec, exec, s[42:43]
.LBB313_34:                             ;   in Loop: Header=BB313_10 Depth=1
	s_or_b64 exec, exec, s[40:41]
	global_load_dword v12, v[10:11], off offset:8
	s_waitcnt vmcnt(0)
	v_cmp_ne_u16_sdwa s[4:5], v12, v17 src0_sel:BYTE_0 src1_sel:DWORD
	s_and_saveexec_b64 s[40:41], s[4:5]
	s_cbranch_execz .LBB313_40
; %bb.35:                               ;   in Loop: Header=BB313_10 Depth=1
	v_cmp_ne_u16_sdwa s[4:5], v12, s50 src0_sel:BYTE_0 src1_sel:DWORD
	v_bfrev_b32_e32 v28, 1
	s_and_saveexec_b64 s[42:43], s[4:5]
	s_cbranch_execz .LBB313_39
; %bb.36:                               ;   in Loop: Header=BB313_10 Depth=1
	v_and_b32_e32 v14, 0x7f, v12
	v_cmp_ne_u32_e64 s[4:5], s51, v14
	v_mov_b32_e32 v28, 0x7fc02000
	s_and_saveexec_b64 s[44:45], s[4:5]
	s_cbranch_execz .LBB313_38
; %bb.37:                               ;   in Loop: Header=BB313_10 Depth=1
	v_and_b32_e32 v30, 7, v12
	v_ffbh_u32_e32 v28, v30
	v_min_u32_e32 v32, 32, v28
	v_subrev_u32_e32 v28, 28, v32
	v_lshlrev_b64 v[28:29], v28, v[12:13]
	v_lshrrev_b32_e32 v31, 3, v14
	v_sub_u32_e32 v29, 29, v32
	v_cmp_gt_u32_e64 s[4:5], 8, v14
	v_cndmask_b32_e64 v14, v31, v29, s[4:5]
	v_and_b32_e32 v28, 7, v28
	v_lshlrev_b32_e32 v29, 8, v12
	v_lshl_add_u32 v14, v14, 10, v21
	v_cndmask_b32_e64 v28, v30, v28, s[4:5]
	v_and_or_b32 v14, v29, s52, v14
	v_lshl_or_b32 v14, v28, 7, v14
	v_cvt_f32_f16_e32 v28, v14
.LBB313_38:                             ;   in Loop: Header=BB313_10 Depth=1
	s_or_b64 exec, exec, s[44:45]
.LBB313_39:                             ;   in Loop: Header=BB313_10 Depth=1
	s_or_b64 exec, exec, s[42:43]
.LBB313_40:                             ;   in Loop: Header=BB313_10 Depth=1
	s_or_b64 exec, exec, s[40:41]
	v_lshrrev_b16_e32 v14, 8, v12
	v_cmp_ne_u16_e64 s[4:5], 0, v14
	v_mov_b32_e32 v29, 0
	v_mov_b32_e32 v30, 0
	s_and_saveexec_b64 s[40:41], s[4:5]
	s_cbranch_execz .LBB313_46
; %bb.41:                               ;   in Loop: Header=BB313_10 Depth=1
	v_cmp_ne_u16_e64 s[4:5], s50, v14
	v_bfrev_b32_e32 v30, 1
	s_and_saveexec_b64 s[42:43], s[4:5]
	s_cbranch_execz .LBB313_45
; %bb.42:                               ;   in Loop: Header=BB313_10 Depth=1
	v_and_b32_e32 v31, 0x7f, v14
	v_cmp_ne_u32_e64 s[4:5], s51, v31
	v_mov_b32_e32 v30, 0x7fc02000
	s_and_saveexec_b64 s[44:45], s[4:5]
	s_cbranch_execz .LBB313_44
; %bb.43:                               ;   in Loop: Header=BB313_10 Depth=1
	v_and_b32_e32 v30, 7, v14
	v_ffbh_u32_e32 v32, v30
	v_min_u32_e32 v35, 32, v32
	v_subrev_u32_e32 v32, 28, v35
	v_lshlrev_b64 v[32:33], v32, v[14:15]
	v_lshrrev_b32_e32 v34, 3, v31
	v_sub_u32_e32 v33, 29, v35
	v_cmp_gt_u32_e64 s[4:5], 8, v31
	v_cndmask_b32_e64 v31, v34, v33, s[4:5]
	v_and_b32_e32 v32, 7, v32
	v_lshlrev_b32_e32 v14, 8, v14
	v_lshl_add_u32 v31, v31, 10, v21
	v_cndmask_b32_e64 v30, v30, v32, s[4:5]
	v_and_or_b32 v14, v14, s52, v31
	v_lshl_or_b32 v14, v30, 7, v14
	v_cvt_f32_f16_e32 v30, v14
.LBB313_44:                             ;   in Loop: Header=BB313_10 Depth=1
	s_or_b64 exec, exec, s[44:45]
.LBB313_45:                             ;   in Loop: Header=BB313_10 Depth=1
	s_or_b64 exec, exec, s[42:43]
.LBB313_46:                             ;   in Loop: Header=BB313_10 Depth=1
	s_or_b64 exec, exec, s[40:41]
	v_lshrrev_b32_e32 v14, 16, v12
	v_cmp_ne_u16_sdwa s[4:5], v14, v17 src0_sel:BYTE_0 src1_sel:DWORD
	s_and_saveexec_b64 s[40:41], s[4:5]
	s_cbranch_execz .LBB313_52
; %bb.47:                               ;   in Loop: Header=BB313_10 Depth=1
	v_cmp_ne_u16_sdwa s[4:5], v14, s50 src0_sel:BYTE_0 src1_sel:DWORD
	v_bfrev_b32_e32 v29, 1
	s_and_saveexec_b64 s[42:43], s[4:5]
	s_cbranch_execz .LBB313_51
; %bb.48:                               ;   in Loop: Header=BB313_10 Depth=1
	v_bfe_u32 v31, v12, 16, 7
	v_cmp_ne_u32_e64 s[4:5], s51, v31
	v_mov_b32_e32 v29, 0x7fc02000
	s_and_saveexec_b64 s[44:45], s[4:5]
	s_cbranch_execz .LBB313_50
; %bb.49:                               ;   in Loop: Header=BB313_10 Depth=1
	v_and_b32_e32 v29, 7, v14
	v_ffbh_u32_e32 v32, v29
	v_min_u32_e32 v35, 32, v32
	v_subrev_u32_e32 v32, 28, v35
	v_lshlrev_b64 v[32:33], v32, v[14:15]
	v_lshrrev_b32_e32 v34, 3, v31
	v_sub_u32_e32 v33, 29, v35
	v_cmp_gt_u32_e64 s[4:5], 8, v31
	v_cndmask_b32_e64 v31, v34, v33, s[4:5]
	v_and_b32_e32 v32, 7, v32
	v_lshlrev_b32_e32 v14, 8, v14
	v_lshl_add_u32 v31, v31, 10, v21
	v_cndmask_b32_e64 v29, v29, v32, s[4:5]
	v_and_or_b32 v14, v14, s52, v31
	v_lshl_or_b32 v14, v29, 7, v14
	v_cvt_f32_f16_e32 v29, v14
.LBB313_50:                             ;   in Loop: Header=BB313_10 Depth=1
	s_or_b64 exec, exec, s[44:45]
.LBB313_51:                             ;   in Loop: Header=BB313_10 Depth=1
	s_or_b64 exec, exec, s[42:43]
.LBB313_52:                             ;   in Loop: Header=BB313_10 Depth=1
	s_or_b64 exec, exec, s[40:41]
	v_cmp_lt_u32_e64 s[4:5], s53, v12
	v_mov_b32_e32 v32, 0
	v_mov_b32_e32 v31, 0
	s_and_saveexec_b64 s[40:41], s[4:5]
	s_cbranch_execz .LBB313_58
; %bb.53:                               ;   in Loop: Header=BB313_10 Depth=1
	v_lshrrev_b32_e32 v12, 24, v12
	v_cmp_ne_u32_e64 s[4:5], s50, v12
	v_bfrev_b32_e32 v31, 1
	s_and_saveexec_b64 s[42:43], s[4:5]
	s_cbranch_execz .LBB313_57
; %bb.54:                               ;   in Loop: Header=BB313_10 Depth=1
	v_and_b32_e32 v14, 0x7f, v12
	v_cmp_ne_u32_e64 s[4:5], s51, v14
	v_mov_b32_e32 v31, 0x7fc02000
	s_and_saveexec_b64 s[44:45], s[4:5]
	s_cbranch_execz .LBB313_56
; %bb.55:                               ;   in Loop: Header=BB313_10 Depth=1
	v_and_b32_e32 v31, 7, v12
	v_ffbh_u32_e32 v34, v31
	v_min_u32_e32 v36, 32, v34
	v_subrev_u32_e32 v34, 28, v36
	v_lshlrev_b64 v[34:35], v34, v[12:13]
	v_lshrrev_b32_e32 v33, 3, v14
	v_sub_u32_e32 v35, 29, v36
	v_cmp_gt_u32_e64 s[4:5], 8, v14
	v_cndmask_b32_e64 v14, v33, v35, s[4:5]
	v_and_b32_e32 v34, 7, v34
	v_lshlrev_b32_e32 v12, 8, v12
	v_lshl_add_u32 v14, v14, 10, v21
	v_cndmask_b32_e64 v31, v31, v34, s[4:5]
	v_and_or_b32 v12, v12, s52, v14
	v_lshl_or_b32 v12, v31, 7, v12
	v_cvt_f32_f16_e32 v31, v12
.LBB313_56:                             ;   in Loop: Header=BB313_10 Depth=1
	s_or_b64 exec, exec, s[44:45]
.LBB313_57:                             ;   in Loop: Header=BB313_10 Depth=1
	s_or_b64 exec, exec, s[42:43]
.LBB313_58:                             ;   in Loop: Header=BB313_10 Depth=1
	s_or_b64 exec, exec, s[40:41]
	global_load_dword v12, v[10:11], off offset:512
	s_waitcnt vmcnt(0)
	v_cmp_ne_u16_sdwa s[4:5], v12, v17 src0_sel:BYTE_0 src1_sel:DWORD
	s_and_saveexec_b64 s[40:41], s[4:5]
	s_cbranch_execz .LBB313_64
; %bb.59:                               ;   in Loop: Header=BB313_10 Depth=1
	v_cmp_ne_u16_sdwa s[4:5], v12, s50 src0_sel:BYTE_0 src1_sel:DWORD
	v_bfrev_b32_e32 v32, 1
	s_and_saveexec_b64 s[42:43], s[4:5]
	s_cbranch_execz .LBB313_63
; %bb.60:                               ;   in Loop: Header=BB313_10 Depth=1
	v_and_b32_e32 v14, 0x7f, v12
	v_cmp_ne_u32_e64 s[4:5], s51, v14
	v_mov_b32_e32 v32, 0x7fc02000
	s_and_saveexec_b64 s[44:45], s[4:5]
	s_cbranch_execz .LBB313_62
; %bb.61:                               ;   in Loop: Header=BB313_10 Depth=1
	v_and_b32_e32 v34, 7, v12
	v_ffbh_u32_e32 v32, v34
	v_min_u32_e32 v36, 32, v32
	v_subrev_u32_e32 v32, 28, v36
	v_lshlrev_b64 v[32:33], v32, v[12:13]
	v_lshrrev_b32_e32 v35, 3, v14
	v_sub_u32_e32 v33, 29, v36
	v_cmp_gt_u32_e64 s[4:5], 8, v14
	v_cndmask_b32_e64 v14, v35, v33, s[4:5]
	v_and_b32_e32 v32, 7, v32
	v_lshlrev_b32_e32 v33, 8, v12
	v_lshl_add_u32 v14, v14, 10, v21
	v_cndmask_b32_e64 v32, v34, v32, s[4:5]
	v_and_or_b32 v14, v33, s52, v14
	v_lshl_or_b32 v14, v32, 7, v14
	v_cvt_f32_f16_e32 v32, v14
.LBB313_62:                             ;   in Loop: Header=BB313_10 Depth=1
	s_or_b64 exec, exec, s[44:45]
.LBB313_63:                             ;   in Loop: Header=BB313_10 Depth=1
	s_or_b64 exec, exec, s[42:43]
.LBB313_64:                             ;   in Loop: Header=BB313_10 Depth=1
	s_or_b64 exec, exec, s[40:41]
	v_lshrrev_b16_e32 v14, 8, v12
	v_cmp_ne_u16_e64 s[4:5], 0, v14
	v_mov_b32_e32 v33, 0
	v_mov_b32_e32 v34, 0
	s_and_saveexec_b64 s[40:41], s[4:5]
	s_cbranch_execz .LBB313_70
; %bb.65:                               ;   in Loop: Header=BB313_10 Depth=1
	v_cmp_ne_u16_e64 s[4:5], s50, v14
	v_bfrev_b32_e32 v34, 1
	s_and_saveexec_b64 s[42:43], s[4:5]
	s_cbranch_execz .LBB313_69
; %bb.66:                               ;   in Loop: Header=BB313_10 Depth=1
	v_and_b32_e32 v35, 0x7f, v14
	v_cmp_ne_u32_e64 s[4:5], s51, v35
	v_mov_b32_e32 v34, 0x7fc02000
	s_and_saveexec_b64 s[44:45], s[4:5]
	s_cbranch_execz .LBB313_68
; %bb.67:                               ;   in Loop: Header=BB313_10 Depth=1
	v_and_b32_e32 v34, 7, v14
	v_ffbh_u32_e32 v36, v34
	v_min_u32_e32 v39, 32, v36
	v_subrev_u32_e32 v36, 28, v39
	v_lshlrev_b64 v[36:37], v36, v[14:15]
	v_lshrrev_b32_e32 v38, 3, v35
	v_sub_u32_e32 v37, 29, v39
	v_cmp_gt_u32_e64 s[4:5], 8, v35
	v_cndmask_b32_e64 v35, v38, v37, s[4:5]
	v_and_b32_e32 v36, 7, v36
	v_lshlrev_b32_e32 v14, 8, v14
	v_lshl_add_u32 v35, v35, 10, v21
	v_cndmask_b32_e64 v34, v34, v36, s[4:5]
	v_and_or_b32 v14, v14, s52, v35
	v_lshl_or_b32 v14, v34, 7, v14
	v_cvt_f32_f16_e32 v34, v14
.LBB313_68:                             ;   in Loop: Header=BB313_10 Depth=1
	s_or_b64 exec, exec, s[44:45]
.LBB313_69:                             ;   in Loop: Header=BB313_10 Depth=1
	s_or_b64 exec, exec, s[42:43]
.LBB313_70:                             ;   in Loop: Header=BB313_10 Depth=1
	s_or_b64 exec, exec, s[40:41]
	v_lshrrev_b32_e32 v14, 16, v12
	v_cmp_ne_u16_sdwa s[4:5], v14, v17 src0_sel:BYTE_0 src1_sel:DWORD
	s_and_saveexec_b64 s[40:41], s[4:5]
	s_cbranch_execz .LBB313_76
; %bb.71:                               ;   in Loop: Header=BB313_10 Depth=1
	v_cmp_ne_u16_sdwa s[4:5], v14, s50 src0_sel:BYTE_0 src1_sel:DWORD
	v_bfrev_b32_e32 v33, 1
	s_and_saveexec_b64 s[42:43], s[4:5]
	s_cbranch_execz .LBB313_75
; %bb.72:                               ;   in Loop: Header=BB313_10 Depth=1
	v_bfe_u32 v35, v12, 16, 7
	v_cmp_ne_u32_e64 s[4:5], s51, v35
	v_mov_b32_e32 v33, 0x7fc02000
	s_and_saveexec_b64 s[44:45], s[4:5]
	s_cbranch_execz .LBB313_74
; %bb.73:                               ;   in Loop: Header=BB313_10 Depth=1
	v_and_b32_e32 v33, 7, v14
	v_ffbh_u32_e32 v36, v33
	v_min_u32_e32 v39, 32, v36
	v_subrev_u32_e32 v36, 28, v39
	v_lshlrev_b64 v[36:37], v36, v[14:15]
	v_lshrrev_b32_e32 v38, 3, v35
	v_sub_u32_e32 v37, 29, v39
	v_cmp_gt_u32_e64 s[4:5], 8, v35
	v_cndmask_b32_e64 v35, v38, v37, s[4:5]
	v_and_b32_e32 v36, 7, v36
	v_lshlrev_b32_e32 v14, 8, v14
	v_lshl_add_u32 v35, v35, 10, v21
	v_cndmask_b32_e64 v33, v33, v36, s[4:5]
	v_and_or_b32 v14, v14, s52, v35
	v_lshl_or_b32 v14, v33, 7, v14
	v_cvt_f32_f16_e32 v33, v14
.LBB313_74:                             ;   in Loop: Header=BB313_10 Depth=1
	s_or_b64 exec, exec, s[44:45]
.LBB313_75:                             ;   in Loop: Header=BB313_10 Depth=1
	s_or_b64 exec, exec, s[42:43]
.LBB313_76:                             ;   in Loop: Header=BB313_10 Depth=1
	s_or_b64 exec, exec, s[40:41]
	v_cmp_lt_u32_e64 s[4:5], s53, v12
	v_mov_b32_e32 v36, 0
	v_mov_b32_e32 v35, 0
	s_and_saveexec_b64 s[40:41], s[4:5]
	s_cbranch_execz .LBB313_82
; %bb.77:                               ;   in Loop: Header=BB313_10 Depth=1
	v_lshrrev_b32_e32 v12, 24, v12
	v_cmp_ne_u32_e64 s[4:5], s50, v12
	v_bfrev_b32_e32 v35, 1
	s_and_saveexec_b64 s[42:43], s[4:5]
	s_cbranch_execz .LBB313_81
; %bb.78:                               ;   in Loop: Header=BB313_10 Depth=1
	v_and_b32_e32 v14, 0x7f, v12
	v_cmp_ne_u32_e64 s[4:5], s51, v14
	v_mov_b32_e32 v35, 0x7fc02000
	s_and_saveexec_b64 s[44:45], s[4:5]
	s_cbranch_execz .LBB313_80
; %bb.79:                               ;   in Loop: Header=BB313_10 Depth=1
	v_and_b32_e32 v35, 7, v12
	v_ffbh_u32_e32 v38, v35
	v_min_u32_e32 v40, 32, v38
	v_subrev_u32_e32 v38, 28, v40
	v_lshlrev_b64 v[38:39], v38, v[12:13]
	v_lshrrev_b32_e32 v37, 3, v14
	v_sub_u32_e32 v39, 29, v40
	v_cmp_gt_u32_e64 s[4:5], 8, v14
	v_cndmask_b32_e64 v14, v37, v39, s[4:5]
	v_and_b32_e32 v38, 7, v38
	v_lshlrev_b32_e32 v12, 8, v12
	v_lshl_add_u32 v14, v14, 10, v21
	v_cndmask_b32_e64 v35, v35, v38, s[4:5]
	v_and_or_b32 v12, v12, s52, v14
	v_lshl_or_b32 v12, v35, 7, v12
	v_cvt_f32_f16_e32 v35, v12
.LBB313_80:                             ;   in Loop: Header=BB313_10 Depth=1
	s_or_b64 exec, exec, s[44:45]
.LBB313_81:                             ;   in Loop: Header=BB313_10 Depth=1
	s_or_b64 exec, exec, s[42:43]
.LBB313_82:                             ;   in Loop: Header=BB313_10 Depth=1
	s_or_b64 exec, exec, s[40:41]
	global_load_dword v12, v[10:11], off offset:520
	s_waitcnt vmcnt(0)
	v_cmp_ne_u16_sdwa s[4:5], v12, v17 src0_sel:BYTE_0 src1_sel:DWORD
	s_and_saveexec_b64 s[40:41], s[4:5]
	s_cbranch_execz .LBB313_88
; %bb.83:                               ;   in Loop: Header=BB313_10 Depth=1
	v_cmp_ne_u16_sdwa s[4:5], v12, s50 src0_sel:BYTE_0 src1_sel:DWORD
	v_bfrev_b32_e32 v36, 1
	s_and_saveexec_b64 s[42:43], s[4:5]
	s_cbranch_execz .LBB313_87
; %bb.84:                               ;   in Loop: Header=BB313_10 Depth=1
	v_and_b32_e32 v14, 0x7f, v12
	v_cmp_ne_u32_e64 s[4:5], s51, v14
	v_mov_b32_e32 v36, 0x7fc02000
	s_and_saveexec_b64 s[44:45], s[4:5]
	s_cbranch_execz .LBB313_86
; %bb.85:                               ;   in Loop: Header=BB313_10 Depth=1
	v_and_b32_e32 v38, 7, v12
	v_ffbh_u32_e32 v36, v38
	v_min_u32_e32 v40, 32, v36
	v_subrev_u32_e32 v36, 28, v40
	v_lshlrev_b64 v[36:37], v36, v[12:13]
	v_lshrrev_b32_e32 v39, 3, v14
	v_sub_u32_e32 v37, 29, v40
	v_cmp_gt_u32_e64 s[4:5], 8, v14
	v_cndmask_b32_e64 v14, v39, v37, s[4:5]
	v_and_b32_e32 v36, 7, v36
	v_lshlrev_b32_e32 v37, 8, v12
	v_lshl_add_u32 v14, v14, 10, v21
	v_cndmask_b32_e64 v36, v38, v36, s[4:5]
	v_and_or_b32 v14, v37, s52, v14
	v_lshl_or_b32 v14, v36, 7, v14
	v_cvt_f32_f16_e32 v36, v14
.LBB313_86:                             ;   in Loop: Header=BB313_10 Depth=1
	s_or_b64 exec, exec, s[44:45]
.LBB313_87:                             ;   in Loop: Header=BB313_10 Depth=1
	s_or_b64 exec, exec, s[42:43]
.LBB313_88:                             ;   in Loop: Header=BB313_10 Depth=1
	s_or_b64 exec, exec, s[40:41]
	v_lshrrev_b16_e32 v14, 8, v12
	v_cmp_ne_u16_e64 s[4:5], 0, v14
	v_mov_b32_e32 v37, 0
	v_mov_b32_e32 v38, 0
	s_and_saveexec_b64 s[40:41], s[4:5]
	s_cbranch_execz .LBB313_94
; %bb.89:                               ;   in Loop: Header=BB313_10 Depth=1
	v_cmp_ne_u16_e64 s[4:5], s50, v14
	v_bfrev_b32_e32 v38, 1
	s_and_saveexec_b64 s[42:43], s[4:5]
	s_cbranch_execz .LBB313_93
; %bb.90:                               ;   in Loop: Header=BB313_10 Depth=1
	v_and_b32_e32 v39, 0x7f, v14
	v_cmp_ne_u32_e64 s[4:5], s51, v39
	v_mov_b32_e32 v38, 0x7fc02000
	s_and_saveexec_b64 s[44:45], s[4:5]
	s_cbranch_execz .LBB313_92
; %bb.91:                               ;   in Loop: Header=BB313_10 Depth=1
	v_and_b32_e32 v38, 7, v14
	v_ffbh_u32_e32 v40, v38
	v_min_u32_e32 v43, 32, v40
	v_subrev_u32_e32 v40, 28, v43
	v_lshlrev_b64 v[40:41], v40, v[14:15]
	v_lshrrev_b32_e32 v42, 3, v39
	v_sub_u32_e32 v41, 29, v43
	v_cmp_gt_u32_e64 s[4:5], 8, v39
	v_cndmask_b32_e64 v39, v42, v41, s[4:5]
	v_and_b32_e32 v40, 7, v40
	v_lshlrev_b32_e32 v14, 8, v14
	v_lshl_add_u32 v39, v39, 10, v21
	v_cndmask_b32_e64 v38, v38, v40, s[4:5]
	v_and_or_b32 v14, v14, s52, v39
	v_lshl_or_b32 v14, v38, 7, v14
	v_cvt_f32_f16_e32 v38, v14
.LBB313_92:                             ;   in Loop: Header=BB313_10 Depth=1
	s_or_b64 exec, exec, s[44:45]
.LBB313_93:                             ;   in Loop: Header=BB313_10 Depth=1
	s_or_b64 exec, exec, s[42:43]
.LBB313_94:                             ;   in Loop: Header=BB313_10 Depth=1
	s_or_b64 exec, exec, s[40:41]
	v_lshrrev_b32_e32 v14, 16, v12
	v_cmp_ne_u16_sdwa s[4:5], v14, v17 src0_sel:BYTE_0 src1_sel:DWORD
	s_and_saveexec_b64 s[40:41], s[4:5]
	s_cbranch_execz .LBB313_100
; %bb.95:                               ;   in Loop: Header=BB313_10 Depth=1
	v_cmp_ne_u16_sdwa s[4:5], v14, s50 src0_sel:BYTE_0 src1_sel:DWORD
	v_bfrev_b32_e32 v37, 1
	s_and_saveexec_b64 s[42:43], s[4:5]
	s_cbranch_execz .LBB313_99
; %bb.96:                               ;   in Loop: Header=BB313_10 Depth=1
	v_bfe_u32 v39, v12, 16, 7
	v_cmp_ne_u32_e64 s[4:5], s51, v39
	v_mov_b32_e32 v37, 0x7fc02000
	s_and_saveexec_b64 s[44:45], s[4:5]
	s_cbranch_execz .LBB313_98
; %bb.97:                               ;   in Loop: Header=BB313_10 Depth=1
	v_and_b32_e32 v37, 7, v14
	v_ffbh_u32_e32 v40, v37
	v_min_u32_e32 v43, 32, v40
	v_subrev_u32_e32 v40, 28, v43
	v_lshlrev_b64 v[40:41], v40, v[14:15]
	v_lshrrev_b32_e32 v42, 3, v39
	v_sub_u32_e32 v41, 29, v43
	v_cmp_gt_u32_e64 s[4:5], 8, v39
	v_cndmask_b32_e64 v39, v42, v41, s[4:5]
	v_and_b32_e32 v40, 7, v40
	v_lshlrev_b32_e32 v14, 8, v14
	v_lshl_add_u32 v39, v39, 10, v21
	v_cndmask_b32_e64 v37, v37, v40, s[4:5]
	v_and_or_b32 v14, v14, s52, v39
	v_lshl_or_b32 v14, v37, 7, v14
	v_cvt_f32_f16_e32 v37, v14
.LBB313_98:                             ;   in Loop: Header=BB313_10 Depth=1
	s_or_b64 exec, exec, s[44:45]
.LBB313_99:                             ;   in Loop: Header=BB313_10 Depth=1
	s_or_b64 exec, exec, s[42:43]
.LBB313_100:                            ;   in Loop: Header=BB313_10 Depth=1
	s_or_b64 exec, exec, s[40:41]
	v_cmp_lt_u32_e64 s[4:5], s53, v12
	v_mov_b32_e32 v40, 0
	v_mov_b32_e32 v39, 0
	s_and_saveexec_b64 s[40:41], s[4:5]
	s_cbranch_execz .LBB313_106
; %bb.101:                              ;   in Loop: Header=BB313_10 Depth=1
	v_lshrrev_b32_e32 v12, 24, v12
	v_cmp_ne_u32_e64 s[4:5], s50, v12
	v_bfrev_b32_e32 v39, 1
	s_and_saveexec_b64 s[42:43], s[4:5]
	s_cbranch_execz .LBB313_105
; %bb.102:                              ;   in Loop: Header=BB313_10 Depth=1
	v_and_b32_e32 v14, 0x7f, v12
	v_cmp_ne_u32_e64 s[4:5], s51, v14
	v_mov_b32_e32 v39, 0x7fc02000
	s_and_saveexec_b64 s[44:45], s[4:5]
	s_cbranch_execz .LBB313_104
; %bb.103:                              ;   in Loop: Header=BB313_10 Depth=1
	v_and_b32_e32 v39, 7, v12
	v_ffbh_u32_e32 v42, v39
	v_min_u32_e32 v44, 32, v42
	v_subrev_u32_e32 v42, 28, v44
	v_lshlrev_b64 v[42:43], v42, v[12:13]
	v_lshrrev_b32_e32 v41, 3, v14
	v_sub_u32_e32 v43, 29, v44
	v_cmp_gt_u32_e64 s[4:5], 8, v14
	v_cndmask_b32_e64 v14, v41, v43, s[4:5]
	v_and_b32_e32 v42, 7, v42
	v_lshlrev_b32_e32 v12, 8, v12
	v_lshl_add_u32 v14, v14, 10, v21
	v_cndmask_b32_e64 v39, v39, v42, s[4:5]
	v_and_or_b32 v12, v12, s52, v14
	v_lshl_or_b32 v12, v39, 7, v12
	v_cvt_f32_f16_e32 v39, v12
.LBB313_104:                            ;   in Loop: Header=BB313_10 Depth=1
	s_or_b64 exec, exec, s[44:45]
.LBB313_105:                            ;   in Loop: Header=BB313_10 Depth=1
	s_or_b64 exec, exec, s[42:43]
.LBB313_106:                            ;   in Loop: Header=BB313_10 Depth=1
	s_or_b64 exec, exec, s[40:41]
	global_load_dword v12, v[10:11], off offset:1024
	s_waitcnt vmcnt(0)
	v_cmp_ne_u16_sdwa s[4:5], v12, v17 src0_sel:BYTE_0 src1_sel:DWORD
	s_and_saveexec_b64 s[40:41], s[4:5]
	s_cbranch_execz .LBB313_112
; %bb.107:                              ;   in Loop: Header=BB313_10 Depth=1
	v_cmp_ne_u16_sdwa s[4:5], v12, s50 src0_sel:BYTE_0 src1_sel:DWORD
	v_bfrev_b32_e32 v40, 1
	s_and_saveexec_b64 s[42:43], s[4:5]
	s_cbranch_execz .LBB313_111
; %bb.108:                              ;   in Loop: Header=BB313_10 Depth=1
	v_and_b32_e32 v14, 0x7f, v12
	v_cmp_ne_u32_e64 s[4:5], s51, v14
	v_mov_b32_e32 v40, 0x7fc02000
	s_and_saveexec_b64 s[44:45], s[4:5]
	s_cbranch_execz .LBB313_110
; %bb.109:                              ;   in Loop: Header=BB313_10 Depth=1
	v_and_b32_e32 v42, 7, v12
	v_ffbh_u32_e32 v40, v42
	v_min_u32_e32 v44, 32, v40
	v_subrev_u32_e32 v40, 28, v44
	v_lshlrev_b64 v[40:41], v40, v[12:13]
	v_lshrrev_b32_e32 v43, 3, v14
	v_sub_u32_e32 v41, 29, v44
	v_cmp_gt_u32_e64 s[4:5], 8, v14
	v_cndmask_b32_e64 v14, v43, v41, s[4:5]
	v_and_b32_e32 v40, 7, v40
	v_lshlrev_b32_e32 v41, 8, v12
	v_lshl_add_u32 v14, v14, 10, v21
	v_cndmask_b32_e64 v40, v42, v40, s[4:5]
	v_and_or_b32 v14, v41, s52, v14
	v_lshl_or_b32 v14, v40, 7, v14
	v_cvt_f32_f16_e32 v40, v14
.LBB313_110:                            ;   in Loop: Header=BB313_10 Depth=1
	s_or_b64 exec, exec, s[44:45]
.LBB313_111:                            ;   in Loop: Header=BB313_10 Depth=1
	s_or_b64 exec, exec, s[42:43]
.LBB313_112:                            ;   in Loop: Header=BB313_10 Depth=1
	s_or_b64 exec, exec, s[40:41]
	v_lshrrev_b16_e32 v14, 8, v12
	v_cmp_ne_u16_e64 s[4:5], 0, v14
	v_mov_b32_e32 v41, 0
	v_mov_b32_e32 v42, 0
	s_and_saveexec_b64 s[40:41], s[4:5]
	s_cbranch_execz .LBB313_118
; %bb.113:                              ;   in Loop: Header=BB313_10 Depth=1
	v_cmp_ne_u16_e64 s[4:5], s50, v14
	v_bfrev_b32_e32 v42, 1
	s_and_saveexec_b64 s[42:43], s[4:5]
	s_cbranch_execz .LBB313_117
; %bb.114:                              ;   in Loop: Header=BB313_10 Depth=1
	v_and_b32_e32 v43, 0x7f, v14
	v_cmp_ne_u32_e64 s[4:5], s51, v43
	v_mov_b32_e32 v42, 0x7fc02000
	s_and_saveexec_b64 s[44:45], s[4:5]
	s_cbranch_execz .LBB313_116
; %bb.115:                              ;   in Loop: Header=BB313_10 Depth=1
	v_and_b32_e32 v42, 7, v14
	v_ffbh_u32_e32 v44, v42
	v_min_u32_e32 v47, 32, v44
	v_subrev_u32_e32 v44, 28, v47
	v_lshlrev_b64 v[44:45], v44, v[14:15]
	v_lshrrev_b32_e32 v46, 3, v43
	v_sub_u32_e32 v45, 29, v47
	v_cmp_gt_u32_e64 s[4:5], 8, v43
	v_cndmask_b32_e64 v43, v46, v45, s[4:5]
	v_and_b32_e32 v44, 7, v44
	v_lshlrev_b32_e32 v14, 8, v14
	v_lshl_add_u32 v43, v43, 10, v21
	v_cndmask_b32_e64 v42, v42, v44, s[4:5]
	v_and_or_b32 v14, v14, s52, v43
	v_lshl_or_b32 v14, v42, 7, v14
	v_cvt_f32_f16_e32 v42, v14
.LBB313_116:                            ;   in Loop: Header=BB313_10 Depth=1
	s_or_b64 exec, exec, s[44:45]
.LBB313_117:                            ;   in Loop: Header=BB313_10 Depth=1
	s_or_b64 exec, exec, s[42:43]
.LBB313_118:                            ;   in Loop: Header=BB313_10 Depth=1
	s_or_b64 exec, exec, s[40:41]
	v_lshrrev_b32_e32 v14, 16, v12
	v_cmp_ne_u16_sdwa s[4:5], v14, v17 src0_sel:BYTE_0 src1_sel:DWORD
	s_and_saveexec_b64 s[40:41], s[4:5]
	s_cbranch_execz .LBB313_124
; %bb.119:                              ;   in Loop: Header=BB313_10 Depth=1
	v_cmp_ne_u16_sdwa s[4:5], v14, s50 src0_sel:BYTE_0 src1_sel:DWORD
	v_bfrev_b32_e32 v41, 1
	s_and_saveexec_b64 s[42:43], s[4:5]
	s_cbranch_execz .LBB313_123
; %bb.120:                              ;   in Loop: Header=BB313_10 Depth=1
	v_bfe_u32 v43, v12, 16, 7
	v_cmp_ne_u32_e64 s[4:5], s51, v43
	v_mov_b32_e32 v41, 0x7fc02000
	s_and_saveexec_b64 s[44:45], s[4:5]
	s_cbranch_execz .LBB313_122
; %bb.121:                              ;   in Loop: Header=BB313_10 Depth=1
	v_and_b32_e32 v41, 7, v14
	v_ffbh_u32_e32 v44, v41
	v_min_u32_e32 v47, 32, v44
	v_subrev_u32_e32 v44, 28, v47
	v_lshlrev_b64 v[44:45], v44, v[14:15]
	v_lshrrev_b32_e32 v46, 3, v43
	v_sub_u32_e32 v45, 29, v47
	v_cmp_gt_u32_e64 s[4:5], 8, v43
	v_cndmask_b32_e64 v43, v46, v45, s[4:5]
	v_and_b32_e32 v44, 7, v44
	v_lshlrev_b32_e32 v14, 8, v14
	v_lshl_add_u32 v43, v43, 10, v21
	v_cndmask_b32_e64 v41, v41, v44, s[4:5]
	v_and_or_b32 v14, v14, s52, v43
	v_lshl_or_b32 v14, v41, 7, v14
	v_cvt_f32_f16_e32 v41, v14
.LBB313_122:                            ;   in Loop: Header=BB313_10 Depth=1
	s_or_b64 exec, exec, s[44:45]
.LBB313_123:                            ;   in Loop: Header=BB313_10 Depth=1
	s_or_b64 exec, exec, s[42:43]
.LBB313_124:                            ;   in Loop: Header=BB313_10 Depth=1
	s_or_b64 exec, exec, s[40:41]
	v_cmp_lt_u32_e64 s[4:5], s53, v12
	v_mov_b32_e32 v44, 0
	v_mov_b32_e32 v43, 0
	s_and_saveexec_b64 s[40:41], s[4:5]
	s_cbranch_execz .LBB313_130
; %bb.125:                              ;   in Loop: Header=BB313_10 Depth=1
	v_lshrrev_b32_e32 v12, 24, v12
	v_cmp_ne_u32_e64 s[4:5], s50, v12
	v_bfrev_b32_e32 v43, 1
	s_and_saveexec_b64 s[42:43], s[4:5]
	s_cbranch_execz .LBB313_129
; %bb.126:                              ;   in Loop: Header=BB313_10 Depth=1
	v_and_b32_e32 v14, 0x7f, v12
	v_cmp_ne_u32_e64 s[4:5], s51, v14
	v_mov_b32_e32 v43, 0x7fc02000
	s_and_saveexec_b64 s[44:45], s[4:5]
	s_cbranch_execz .LBB313_128
; %bb.127:                              ;   in Loop: Header=BB313_10 Depth=1
	v_and_b32_e32 v43, 7, v12
	v_ffbh_u32_e32 v46, v43
	v_min_u32_e32 v48, 32, v46
	v_subrev_u32_e32 v46, 28, v48
	v_lshlrev_b64 v[46:47], v46, v[12:13]
	v_lshrrev_b32_e32 v45, 3, v14
	v_sub_u32_e32 v47, 29, v48
	v_cmp_gt_u32_e64 s[4:5], 8, v14
	v_cndmask_b32_e64 v14, v45, v47, s[4:5]
	v_and_b32_e32 v46, 7, v46
	v_lshlrev_b32_e32 v12, 8, v12
	v_lshl_add_u32 v14, v14, 10, v21
	v_cndmask_b32_e64 v43, v43, v46, s[4:5]
	v_and_or_b32 v12, v12, s52, v14
	v_lshl_or_b32 v12, v43, 7, v12
	v_cvt_f32_f16_e32 v43, v12
.LBB313_128:                            ;   in Loop: Header=BB313_10 Depth=1
	s_or_b64 exec, exec, s[44:45]
.LBB313_129:                            ;   in Loop: Header=BB313_10 Depth=1
	s_or_b64 exec, exec, s[42:43]
.LBB313_130:                            ;   in Loop: Header=BB313_10 Depth=1
	s_or_b64 exec, exec, s[40:41]
	global_load_dword v12, v[10:11], off offset:1032
	s_waitcnt vmcnt(0)
	v_cmp_ne_u16_sdwa s[4:5], v12, v17 src0_sel:BYTE_0 src1_sel:DWORD
	s_and_saveexec_b64 s[40:41], s[4:5]
	s_cbranch_execz .LBB313_136
; %bb.131:                              ;   in Loop: Header=BB313_10 Depth=1
	v_cmp_ne_u16_sdwa s[4:5], v12, s50 src0_sel:BYTE_0 src1_sel:DWORD
	v_bfrev_b32_e32 v44, 1
	s_and_saveexec_b64 s[42:43], s[4:5]
	s_cbranch_execz .LBB313_135
; %bb.132:                              ;   in Loop: Header=BB313_10 Depth=1
	v_and_b32_e32 v14, 0x7f, v12
	v_cmp_ne_u32_e64 s[4:5], s51, v14
	v_mov_b32_e32 v44, 0x7fc02000
	s_and_saveexec_b64 s[44:45], s[4:5]
	s_cbranch_execz .LBB313_134
; %bb.133:                              ;   in Loop: Header=BB313_10 Depth=1
	v_and_b32_e32 v46, 7, v12
	v_ffbh_u32_e32 v44, v46
	v_min_u32_e32 v48, 32, v44
	v_subrev_u32_e32 v44, 28, v48
	v_lshlrev_b64 v[44:45], v44, v[12:13]
	v_lshrrev_b32_e32 v47, 3, v14
	v_sub_u32_e32 v45, 29, v48
	v_cmp_gt_u32_e64 s[4:5], 8, v14
	v_cndmask_b32_e64 v14, v47, v45, s[4:5]
	v_and_b32_e32 v44, 7, v44
	v_lshlrev_b32_e32 v45, 8, v12
	v_lshl_add_u32 v14, v14, 10, v21
	v_cndmask_b32_e64 v44, v46, v44, s[4:5]
	v_and_or_b32 v14, v45, s52, v14
	v_lshl_or_b32 v14, v44, 7, v14
	v_cvt_f32_f16_e32 v44, v14
.LBB313_134:                            ;   in Loop: Header=BB313_10 Depth=1
	s_or_b64 exec, exec, s[44:45]
.LBB313_135:                            ;   in Loop: Header=BB313_10 Depth=1
	s_or_b64 exec, exec, s[42:43]
.LBB313_136:                            ;   in Loop: Header=BB313_10 Depth=1
	s_or_b64 exec, exec, s[40:41]
	v_lshrrev_b16_e32 v14, 8, v12
	v_cmp_ne_u16_e64 s[4:5], 0, v14
	v_mov_b32_e32 v45, 0
	v_mov_b32_e32 v46, 0
	s_and_saveexec_b64 s[40:41], s[4:5]
	s_cbranch_execz .LBB313_142
; %bb.137:                              ;   in Loop: Header=BB313_10 Depth=1
	v_cmp_ne_u16_e64 s[4:5], s50, v14
	v_bfrev_b32_e32 v46, 1
	s_and_saveexec_b64 s[42:43], s[4:5]
	s_cbranch_execz .LBB313_141
; %bb.138:                              ;   in Loop: Header=BB313_10 Depth=1
	v_and_b32_e32 v47, 0x7f, v14
	v_cmp_ne_u32_e64 s[4:5], s51, v47
	v_mov_b32_e32 v46, 0x7fc02000
	s_and_saveexec_b64 s[44:45], s[4:5]
	s_cbranch_execz .LBB313_140
; %bb.139:                              ;   in Loop: Header=BB313_10 Depth=1
	v_and_b32_e32 v46, 7, v14
	v_ffbh_u32_e32 v48, v46
	v_min_u32_e32 v51, 32, v48
	v_subrev_u32_e32 v48, 28, v51
	v_lshlrev_b64 v[48:49], v48, v[14:15]
	v_lshrrev_b32_e32 v50, 3, v47
	v_sub_u32_e32 v49, 29, v51
	v_cmp_gt_u32_e64 s[4:5], 8, v47
	v_cndmask_b32_e64 v47, v50, v49, s[4:5]
	v_and_b32_e32 v48, 7, v48
	v_lshlrev_b32_e32 v14, 8, v14
	v_lshl_add_u32 v47, v47, 10, v21
	v_cndmask_b32_e64 v46, v46, v48, s[4:5]
	v_and_or_b32 v14, v14, s52, v47
	v_lshl_or_b32 v14, v46, 7, v14
	v_cvt_f32_f16_e32 v46, v14
.LBB313_140:                            ;   in Loop: Header=BB313_10 Depth=1
	s_or_b64 exec, exec, s[44:45]
.LBB313_141:                            ;   in Loop: Header=BB313_10 Depth=1
	s_or_b64 exec, exec, s[42:43]
.LBB313_142:                            ;   in Loop: Header=BB313_10 Depth=1
	s_or_b64 exec, exec, s[40:41]
	v_lshrrev_b32_e32 v14, 16, v12
	v_cmp_ne_u16_sdwa s[4:5], v14, v17 src0_sel:BYTE_0 src1_sel:DWORD
	s_and_saveexec_b64 s[40:41], s[4:5]
	s_cbranch_execz .LBB313_148
; %bb.143:                              ;   in Loop: Header=BB313_10 Depth=1
	v_cmp_ne_u16_sdwa s[4:5], v14, s50 src0_sel:BYTE_0 src1_sel:DWORD
	v_bfrev_b32_e32 v45, 1
	s_and_saveexec_b64 s[42:43], s[4:5]
	s_cbranch_execz .LBB313_147
; %bb.144:                              ;   in Loop: Header=BB313_10 Depth=1
	v_bfe_u32 v47, v12, 16, 7
	v_cmp_ne_u32_e64 s[4:5], s51, v47
	v_mov_b32_e32 v45, 0x7fc02000
	s_and_saveexec_b64 s[44:45], s[4:5]
	s_cbranch_execz .LBB313_146
; %bb.145:                              ;   in Loop: Header=BB313_10 Depth=1
	v_and_b32_e32 v45, 7, v14
	v_ffbh_u32_e32 v48, v45
	v_min_u32_e32 v51, 32, v48
	v_subrev_u32_e32 v48, 28, v51
	v_lshlrev_b64 v[48:49], v48, v[14:15]
	v_lshrrev_b32_e32 v50, 3, v47
	v_sub_u32_e32 v49, 29, v51
	v_cmp_gt_u32_e64 s[4:5], 8, v47
	v_cndmask_b32_e64 v47, v50, v49, s[4:5]
	v_and_b32_e32 v48, 7, v48
	v_lshlrev_b32_e32 v14, 8, v14
	v_lshl_add_u32 v47, v47, 10, v21
	v_cndmask_b32_e64 v45, v45, v48, s[4:5]
	v_and_or_b32 v14, v14, s52, v47
	v_lshl_or_b32 v14, v45, 7, v14
	v_cvt_f32_f16_e32 v45, v14
.LBB313_146:                            ;   in Loop: Header=BB313_10 Depth=1
	s_or_b64 exec, exec, s[44:45]
.LBB313_147:                            ;   in Loop: Header=BB313_10 Depth=1
	s_or_b64 exec, exec, s[42:43]
.LBB313_148:                            ;   in Loop: Header=BB313_10 Depth=1
	s_or_b64 exec, exec, s[40:41]
	v_cmp_lt_u32_e64 s[4:5], s53, v12
	v_mov_b32_e32 v48, 0
	v_mov_b32_e32 v47, 0
	s_and_saveexec_b64 s[40:41], s[4:5]
	s_cbranch_execz .LBB313_154
; %bb.149:                              ;   in Loop: Header=BB313_10 Depth=1
	v_lshrrev_b32_e32 v12, 24, v12
	v_cmp_ne_u32_e64 s[4:5], s50, v12
	v_bfrev_b32_e32 v47, 1
	s_and_saveexec_b64 s[42:43], s[4:5]
	s_cbranch_execz .LBB313_153
; %bb.150:                              ;   in Loop: Header=BB313_10 Depth=1
	v_and_b32_e32 v14, 0x7f, v12
	v_cmp_ne_u32_e64 s[4:5], s51, v14
	v_mov_b32_e32 v47, 0x7fc02000
	s_and_saveexec_b64 s[44:45], s[4:5]
	s_cbranch_execz .LBB313_152
; %bb.151:                              ;   in Loop: Header=BB313_10 Depth=1
	v_and_b32_e32 v47, 7, v12
	v_ffbh_u32_e32 v50, v47
	v_min_u32_e32 v52, 32, v50
	v_subrev_u32_e32 v50, 28, v52
	v_lshlrev_b64 v[50:51], v50, v[12:13]
	v_lshrrev_b32_e32 v49, 3, v14
	v_sub_u32_e32 v51, 29, v52
	v_cmp_gt_u32_e64 s[4:5], 8, v14
	v_cndmask_b32_e64 v14, v49, v51, s[4:5]
	v_and_b32_e32 v50, 7, v50
	v_lshlrev_b32_e32 v12, 8, v12
	v_lshl_add_u32 v14, v14, 10, v21
	v_cndmask_b32_e64 v47, v47, v50, s[4:5]
	v_and_or_b32 v12, v12, s52, v14
	v_lshl_or_b32 v12, v47, 7, v12
	v_cvt_f32_f16_e32 v47, v12
.LBB313_152:                            ;   in Loop: Header=BB313_10 Depth=1
	s_or_b64 exec, exec, s[44:45]
.LBB313_153:                            ;   in Loop: Header=BB313_10 Depth=1
	s_or_b64 exec, exec, s[42:43]
.LBB313_154:                            ;   in Loop: Header=BB313_10 Depth=1
	s_or_b64 exec, exec, s[40:41]
	global_load_dword v12, v[10:11], off offset:1536
	s_waitcnt vmcnt(0)
	v_cmp_ne_u16_sdwa s[4:5], v12, v17 src0_sel:BYTE_0 src1_sel:DWORD
	s_and_saveexec_b64 s[40:41], s[4:5]
	s_cbranch_execz .LBB313_160
; %bb.155:                              ;   in Loop: Header=BB313_10 Depth=1
	v_cmp_ne_u16_sdwa s[4:5], v12, s50 src0_sel:BYTE_0 src1_sel:DWORD
	v_bfrev_b32_e32 v48, 1
	s_and_saveexec_b64 s[42:43], s[4:5]
	s_cbranch_execz .LBB313_159
; %bb.156:                              ;   in Loop: Header=BB313_10 Depth=1
	v_and_b32_e32 v14, 0x7f, v12
	v_cmp_ne_u32_e64 s[4:5], s51, v14
	v_mov_b32_e32 v48, 0x7fc02000
	s_and_saveexec_b64 s[44:45], s[4:5]
	s_cbranch_execz .LBB313_158
; %bb.157:                              ;   in Loop: Header=BB313_10 Depth=1
	v_and_b32_e32 v50, 7, v12
	v_ffbh_u32_e32 v48, v50
	v_min_u32_e32 v52, 32, v48
	v_subrev_u32_e32 v48, 28, v52
	v_lshlrev_b64 v[48:49], v48, v[12:13]
	v_lshrrev_b32_e32 v51, 3, v14
	v_sub_u32_e32 v49, 29, v52
	v_cmp_gt_u32_e64 s[4:5], 8, v14
	v_cndmask_b32_e64 v14, v51, v49, s[4:5]
	v_and_b32_e32 v48, 7, v48
	v_lshlrev_b32_e32 v49, 8, v12
	v_lshl_add_u32 v14, v14, 10, v21
	v_cndmask_b32_e64 v48, v50, v48, s[4:5]
	v_and_or_b32 v14, v49, s52, v14
	v_lshl_or_b32 v14, v48, 7, v14
	v_cvt_f32_f16_e32 v48, v14
.LBB313_158:                            ;   in Loop: Header=BB313_10 Depth=1
	s_or_b64 exec, exec, s[44:45]
.LBB313_159:                            ;   in Loop: Header=BB313_10 Depth=1
	s_or_b64 exec, exec, s[42:43]
.LBB313_160:                            ;   in Loop: Header=BB313_10 Depth=1
	s_or_b64 exec, exec, s[40:41]
	v_lshrrev_b16_e32 v14, 8, v12
	v_cmp_ne_u16_e64 s[4:5], 0, v14
	v_mov_b32_e32 v49, 0
	v_mov_b32_e32 v50, 0
	s_and_saveexec_b64 s[40:41], s[4:5]
	s_cbranch_execz .LBB313_166
; %bb.161:                              ;   in Loop: Header=BB313_10 Depth=1
	v_cmp_ne_u16_e64 s[4:5], s50, v14
	v_bfrev_b32_e32 v50, 1
	s_and_saveexec_b64 s[42:43], s[4:5]
	s_cbranch_execz .LBB313_165
; %bb.162:                              ;   in Loop: Header=BB313_10 Depth=1
	v_and_b32_e32 v51, 0x7f, v14
	v_cmp_ne_u32_e64 s[4:5], s51, v51
	v_mov_b32_e32 v50, 0x7fc02000
	s_and_saveexec_b64 s[44:45], s[4:5]
	s_cbranch_execz .LBB313_164
; %bb.163:                              ;   in Loop: Header=BB313_10 Depth=1
	v_and_b32_e32 v50, 7, v14
	v_ffbh_u32_e32 v52, v50
	v_min_u32_e32 v55, 32, v52
	v_subrev_u32_e32 v52, 28, v55
	v_lshlrev_b64 v[52:53], v52, v[14:15]
	v_lshrrev_b32_e32 v54, 3, v51
	v_sub_u32_e32 v53, 29, v55
	v_cmp_gt_u32_e64 s[4:5], 8, v51
	v_cndmask_b32_e64 v51, v54, v53, s[4:5]
	v_and_b32_e32 v52, 7, v52
	v_lshlrev_b32_e32 v14, 8, v14
	v_lshl_add_u32 v51, v51, 10, v21
	v_cndmask_b32_e64 v50, v50, v52, s[4:5]
	v_and_or_b32 v14, v14, s52, v51
	v_lshl_or_b32 v14, v50, 7, v14
	v_cvt_f32_f16_e32 v50, v14
.LBB313_164:                            ;   in Loop: Header=BB313_10 Depth=1
	s_or_b64 exec, exec, s[44:45]
.LBB313_165:                            ;   in Loop: Header=BB313_10 Depth=1
	s_or_b64 exec, exec, s[42:43]
.LBB313_166:                            ;   in Loop: Header=BB313_10 Depth=1
	s_or_b64 exec, exec, s[40:41]
	v_lshrrev_b32_e32 v14, 16, v12
	v_cmp_ne_u16_sdwa s[4:5], v14, v17 src0_sel:BYTE_0 src1_sel:DWORD
	s_and_saveexec_b64 s[40:41], s[4:5]
	s_cbranch_execz .LBB313_172
; %bb.167:                              ;   in Loop: Header=BB313_10 Depth=1
	v_cmp_ne_u16_sdwa s[4:5], v14, s50 src0_sel:BYTE_0 src1_sel:DWORD
	v_bfrev_b32_e32 v49, 1
	s_and_saveexec_b64 s[42:43], s[4:5]
	s_cbranch_execz .LBB313_171
; %bb.168:                              ;   in Loop: Header=BB313_10 Depth=1
	v_bfe_u32 v51, v12, 16, 7
	v_cmp_ne_u32_e64 s[4:5], s51, v51
	v_mov_b32_e32 v49, 0x7fc02000
	s_and_saveexec_b64 s[44:45], s[4:5]
	s_cbranch_execz .LBB313_170
; %bb.169:                              ;   in Loop: Header=BB313_10 Depth=1
	v_and_b32_e32 v49, 7, v14
	v_ffbh_u32_e32 v52, v49
	v_min_u32_e32 v55, 32, v52
	v_subrev_u32_e32 v52, 28, v55
	v_lshlrev_b64 v[52:53], v52, v[14:15]
	v_lshrrev_b32_e32 v54, 3, v51
	v_sub_u32_e32 v53, 29, v55
	v_cmp_gt_u32_e64 s[4:5], 8, v51
	v_cndmask_b32_e64 v51, v54, v53, s[4:5]
	v_and_b32_e32 v52, 7, v52
	v_lshlrev_b32_e32 v14, 8, v14
	v_lshl_add_u32 v51, v51, 10, v21
	v_cndmask_b32_e64 v49, v49, v52, s[4:5]
	v_and_or_b32 v14, v14, s52, v51
	v_lshl_or_b32 v14, v49, 7, v14
	v_cvt_f32_f16_e32 v49, v14
.LBB313_170:                            ;   in Loop: Header=BB313_10 Depth=1
	s_or_b64 exec, exec, s[44:45]
.LBB313_171:                            ;   in Loop: Header=BB313_10 Depth=1
	s_or_b64 exec, exec, s[42:43]
.LBB313_172:                            ;   in Loop: Header=BB313_10 Depth=1
	s_or_b64 exec, exec, s[40:41]
	v_cmp_lt_u32_e64 s[4:5], s53, v12
	v_mov_b32_e32 v14, 0
	v_mov_b32_e32 v51, 0
	s_and_saveexec_b64 s[40:41], s[4:5]
	s_cbranch_execz .LBB313_178
; %bb.173:                              ;   in Loop: Header=BB313_10 Depth=1
	v_lshrrev_b32_e32 v12, 24, v12
	v_cmp_ne_u32_e64 s[4:5], s50, v12
	v_bfrev_b32_e32 v51, 1
	s_and_saveexec_b64 s[42:43], s[4:5]
	s_cbranch_execz .LBB313_177
; %bb.174:                              ;   in Loop: Header=BB313_10 Depth=1
	v_and_b32_e32 v52, 0x7f, v12
	v_cmp_ne_u32_e64 s[4:5], s51, v52
	v_mov_b32_e32 v51, 0x7fc02000
	s_and_saveexec_b64 s[44:45], s[4:5]
	s_cbranch_execz .LBB313_176
; %bb.175:                              ;   in Loop: Header=BB313_10 Depth=1
	v_and_b32_e32 v51, 7, v12
	v_ffbh_u32_e32 v54, v51
	v_min_u32_e32 v56, 32, v54
	v_subrev_u32_e32 v54, 28, v56
	v_lshlrev_b64 v[54:55], v54, v[12:13]
	v_lshrrev_b32_e32 v53, 3, v52
	v_sub_u32_e32 v55, 29, v56
	v_cmp_gt_u32_e64 s[4:5], 8, v52
	v_cndmask_b32_e64 v52, v53, v55, s[4:5]
	v_and_b32_e32 v54, 7, v54
	v_lshlrev_b32_e32 v12, 8, v12
	v_lshl_add_u32 v52, v52, 10, v21
	v_cndmask_b32_e64 v51, v51, v54, s[4:5]
	v_and_or_b32 v12, v12, s52, v52
	v_lshl_or_b32 v12, v51, 7, v12
	v_cvt_f32_f16_e32 v51, v12
.LBB313_176:                            ;   in Loop: Header=BB313_10 Depth=1
	s_or_b64 exec, exec, s[44:45]
.LBB313_177:                            ;   in Loop: Header=BB313_10 Depth=1
	s_or_b64 exec, exec, s[42:43]
.LBB313_178:                            ;   in Loop: Header=BB313_10 Depth=1
	s_or_b64 exec, exec, s[40:41]
	global_load_dword v10, v[10:11], off offset:1544
	s_waitcnt vmcnt(0)
	v_cmp_ne_u16_sdwa s[4:5], v10, v17 src0_sel:BYTE_0 src1_sel:DWORD
	s_and_saveexec_b64 s[40:41], s[4:5]
	s_cbranch_execz .LBB313_184
; %bb.179:                              ;   in Loop: Header=BB313_10 Depth=1
	v_cmp_ne_u16_sdwa s[4:5], v10, s50 src0_sel:BYTE_0 src1_sel:DWORD
	v_bfrev_b32_e32 v14, 1
	s_and_saveexec_b64 s[42:43], s[4:5]
	s_cbranch_execz .LBB313_183
; %bb.180:                              ;   in Loop: Header=BB313_10 Depth=1
	v_and_b32_e32 v11, 0x7f, v10
	v_cmp_ne_u32_e64 s[4:5], s51, v11
	v_mov_b32_e32 v14, 0x7fc02000
	s_and_saveexec_b64 s[44:45], s[4:5]
	s_cbranch_execz .LBB313_182
; %bb.181:                              ;   in Loop: Header=BB313_10 Depth=1
	v_and_b32_e32 v12, 7, v10
	v_ffbh_u32_e32 v52, v12
	v_min_u32_e32 v54, 32, v52
	v_subrev_u32_e32 v52, 28, v54
	v_lshlrev_b64 v[52:53], v52, v[10:11]
	v_lshrrev_b32_e32 v14, 3, v11
	v_sub_u32_e32 v53, 29, v54
	v_cmp_gt_u32_e64 s[4:5], 8, v11
	v_cndmask_b32_e64 v11, v14, v53, s[4:5]
	v_and_b32_e32 v52, 7, v52
	v_lshlrev_b32_e32 v14, 8, v10
	v_lshl_add_u32 v11, v11, 10, v21
	v_cndmask_b32_e64 v12, v12, v52, s[4:5]
	v_and_or_b32 v11, v14, s52, v11
	v_lshl_or_b32 v11, v12, 7, v11
	v_cvt_f32_f16_e32 v14, v11
.LBB313_182:                            ;   in Loop: Header=BB313_10 Depth=1
	s_or_b64 exec, exec, s[44:45]
.LBB313_183:                            ;   in Loop: Header=BB313_10 Depth=1
	s_or_b64 exec, exec, s[42:43]
.LBB313_184:                            ;   in Loop: Header=BB313_10 Depth=1
	s_or_b64 exec, exec, s[40:41]
	v_lshrrev_b16_e32 v12, 8, v10
	v_cmp_ne_u16_e64 s[4:5], 0, v12
	v_mov_b32_e32 v11, 0
	v_mov_b32_e32 v52, 0
	s_and_saveexec_b64 s[40:41], s[4:5]
	s_cbranch_execz .LBB313_190
; %bb.185:                              ;   in Loop: Header=BB313_10 Depth=1
	v_cmp_ne_u16_e64 s[4:5], s50, v12
	v_bfrev_b32_e32 v52, 1
	s_and_saveexec_b64 s[42:43], s[4:5]
	s_cbranch_execz .LBB313_189
; %bb.186:                              ;   in Loop: Header=BB313_10 Depth=1
	v_and_b32_e32 v53, 0x7f, v12
	v_cmp_ne_u32_e64 s[4:5], s51, v53
	v_mov_b32_e32 v52, 0x7fc02000
	s_and_saveexec_b64 s[44:45], s[4:5]
	s_cbranch_execz .LBB313_188
; %bb.187:                              ;   in Loop: Header=BB313_10 Depth=1
	v_and_b32_e32 v52, 7, v12
	v_ffbh_u32_e32 v54, v52
	v_min_u32_e32 v57, 32, v54
	v_subrev_u32_e32 v54, 28, v57
	v_lshlrev_b64 v[54:55], v54, v[12:13]
	v_lshrrev_b32_e32 v56, 3, v53
	v_sub_u32_e32 v55, 29, v57
	v_cmp_gt_u32_e64 s[4:5], 8, v53
	v_cndmask_b32_e64 v53, v56, v55, s[4:5]
	v_and_b32_e32 v54, 7, v54
	v_lshlrev_b32_e32 v12, 8, v12
	v_lshl_add_u32 v53, v53, 10, v21
	v_cndmask_b32_e64 v52, v52, v54, s[4:5]
	v_and_or_b32 v12, v12, s52, v53
	v_lshl_or_b32 v12, v52, 7, v12
	v_cvt_f32_f16_e32 v52, v12
.LBB313_188:                            ;   in Loop: Header=BB313_10 Depth=1
	s_or_b64 exec, exec, s[44:45]
.LBB313_189:                            ;   in Loop: Header=BB313_10 Depth=1
	s_or_b64 exec, exec, s[42:43]
.LBB313_190:                            ;   in Loop: Header=BB313_10 Depth=1
	s_or_b64 exec, exec, s[40:41]
	v_lshrrev_b32_e32 v12, 16, v10
	v_cmp_ne_u16_sdwa s[4:5], v12, v17 src0_sel:BYTE_0 src1_sel:DWORD
	s_and_saveexec_b64 s[40:41], s[4:5]
	s_cbranch_execz .LBB313_196
; %bb.191:                              ;   in Loop: Header=BB313_10 Depth=1
	v_cmp_ne_u16_sdwa s[4:5], v12, s50 src0_sel:BYTE_0 src1_sel:DWORD
	v_bfrev_b32_e32 v11, 1
	s_and_saveexec_b64 s[42:43], s[4:5]
	s_cbranch_execz .LBB313_195
; %bb.192:                              ;   in Loop: Header=BB313_10 Depth=1
	v_bfe_u32 v53, v10, 16, 7
	v_cmp_ne_u32_e64 s[4:5], s51, v53
	v_mov_b32_e32 v11, 0x7fc02000
	s_and_saveexec_b64 s[44:45], s[4:5]
	s_cbranch_execz .LBB313_194
; %bb.193:                              ;   in Loop: Header=BB313_10 Depth=1
	v_and_b32_e32 v11, 7, v12
	v_ffbh_u32_e32 v54, v11
	v_min_u32_e32 v57, 32, v54
	v_subrev_u32_e32 v54, 28, v57
	v_lshlrev_b64 v[54:55], v54, v[12:13]
	v_lshrrev_b32_e32 v56, 3, v53
	v_sub_u32_e32 v55, 29, v57
	v_cmp_gt_u32_e64 s[4:5], 8, v53
	v_cndmask_b32_e64 v53, v56, v55, s[4:5]
	v_and_b32_e32 v54, 7, v54
	v_lshlrev_b32_e32 v12, 8, v12
	v_lshl_add_u32 v53, v53, 10, v21
	v_cndmask_b32_e64 v11, v11, v54, s[4:5]
	v_and_or_b32 v12, v12, s52, v53
	v_lshl_or_b32 v11, v11, 7, v12
	v_cvt_f32_f16_e32 v11, v11
.LBB313_194:                            ;   in Loop: Header=BB313_10 Depth=1
	s_or_b64 exec, exec, s[44:45]
.LBB313_195:                            ;   in Loop: Header=BB313_10 Depth=1
	s_or_b64 exec, exec, s[42:43]
.LBB313_196:                            ;   in Loop: Header=BB313_10 Depth=1
	s_or_b64 exec, exec, s[40:41]
	v_cmp_lt_u32_e64 s[4:5], s53, v10
	v_mov_b32_e32 v12, 0
	s_and_saveexec_b64 s[40:41], s[4:5]
	s_cbranch_execz .LBB313_202
; %bb.197:                              ;   in Loop: Header=BB313_10 Depth=1
	v_lshrrev_b32_e32 v10, 24, v10
	v_cmp_ne_u32_e64 s[4:5], s50, v10
	v_bfrev_b32_e32 v12, 1
	s_and_saveexec_b64 s[42:43], s[4:5]
	s_cbranch_execz .LBB313_201
; %bb.198:                              ;   in Loop: Header=BB313_10 Depth=1
	v_and_b32_e32 v53, 0x7f, v10
	v_cmp_ne_u32_e64 s[4:5], s51, v53
	v_mov_b32_e32 v12, 0x7fc02000
	s_and_saveexec_b64 s[44:45], s[4:5]
	s_cbranch_execz .LBB313_200
; %bb.199:                              ;   in Loop: Header=BB313_10 Depth=1
	v_and_b32_e32 v12, 7, v10
	v_ffbh_u32_e32 v54, v12
	v_min_u32_e32 v57, 32, v54
	v_subrev_u32_e32 v54, 28, v57
	v_lshlrev_b64 v[54:55], v54, v[10:11]
	v_lshrrev_b32_e32 v56, 3, v53
	v_sub_u32_e32 v55, 29, v57
	v_cmp_gt_u32_e64 s[4:5], 8, v53
	v_cndmask_b32_e64 v53, v56, v55, s[4:5]
	v_and_b32_e32 v54, 7, v54
	v_lshlrev_b32_e32 v10, 8, v10
	v_lshl_add_u32 v53, v53, 10, v21
	v_cndmask_b32_e64 v12, v12, v54, s[4:5]
	v_and_or_b32 v10, v10, s52, v53
	v_lshl_or_b32 v10, v12, 7, v10
	v_cvt_f32_f16_e32 v12, v10
.LBB313_200:                            ;   in Loop: Header=BB313_10 Depth=1
	s_or_b64 exec, exec, s[44:45]
.LBB313_201:                            ;   in Loop: Header=BB313_10 Depth=1
	s_or_b64 exec, exec, s[42:43]
.LBB313_202:                            ;   in Loop: Header=BB313_10 Depth=1
	s_or_b64 exec, exec, s[40:41]
	v_fma_mixlo_f16 v10, v23, v30, 0
	v_fma_mixlo_f16 v30, v23, v28, 0
	;; [unrolled: 1-line block ×3, first 2 shown]
	ds_read_b64 v[28:29], v18
	v_fma_mixlo_f16 v24, v23, v24, 0
	v_fma_mixlo_f16 v26, v23, v26, 0
	v_and_b32_e32 v24, 0xffff, v24
	v_fma_mixlo_f16 v25, v23, v25, 0
	s_waitcnt lgkmcnt(0)
	v_lshrrev_b32_e32 v54, 16, v28
	v_and_b32_e32 v28, 0xffff, v28
	;;#ASMSTART
	v_cvt_f32_f16 v28, v28;
	;;#ASMEND
	;;#ASMSTART
	v_cvt_f32_f16 v54, v54;
	;;#ASMEND
	;; [unrolled: 3-line block ×3, first 2 shown]
	v_and_b32_e32 v24, 0xffff, v26
	;;#ASMSTART
	v_cvt_f32_f16 v26, v24;
	;;#ASMEND
	v_lshrrev_b32_e32 v24, 16, v29
	v_and_b32_e32 v29, 0xffff, v29
	v_fma_mixlo_f16 v27, v23, v27, 0
	;;#ASMSTART
	v_cvt_f32_f16 v29, v29;
	;;#ASMEND
	;;#ASMSTART
	v_cvt_f32_f16 v56, v24;
	;;#ASMEND
	v_and_b32_e32 v24, 0xffff, v25
	;;#ASMSTART
	v_cvt_f32_f16 v57, v24;
	;;#ASMEND
	v_and_b32_e32 v24, 0xffff, v27
	;;#ASMSTART
	v_cvt_f32_f16 v27, v24;
	;;#ASMEND
	ds_read_b64 v[24:25], v18 offset:8
	v_fma_mixlo_f16 v50, v23, v50, 0
	v_fma_mixlo_f16 v48, v23, v48, 0
	;; [unrolled: 1-line block ×25, first 2 shown]
	s_waitcnt lgkmcnt(0)
	v_lshrrev_b32_e32 v11, 16, v24
	v_and_b32_e32 v23, 0xffff, v24
	v_and_b32_e32 v24, 0xffff, v30
	;; [unrolled: 1-line block ×3, first 2 shown]
	;;#ASMSTART
	v_cvt_f32_f16 v23, v23;
	;;#ASMEND
	;;#ASMSTART
	v_cvt_f32_f16 v11, v11;
	;;#ASMEND
	;; [unrolled: 3-line block ×4, first 2 shown]
	v_mul_f32_e32 v23, v23, v24
	v_mul_f32_e32 v24, v11, v10
	v_lshrrev_b32_e32 v10, 16, v25
	v_fmac_f32_e32 v24, v54, v26
	v_and_b32_e32 v11, 0xffff, v25
	;;#ASMSTART
	v_cvt_f32_f16 v25, v11;
	;;#ASMEND
	;;#ASMSTART
	v_cvt_f32_f16 v26, v10;
	;;#ASMEND
	v_and_b32_e32 v10, 0xffff, v53
	v_fmac_f32_e32 v23, v28, v55
	;;#ASMSTART
	v_cvt_f32_f16 v28, v10;
	;;#ASMEND
	v_and_b32_e32 v10, 0xffff, v31
	;;#ASMSTART
	v_cvt_f32_f16 v30, v10;
	;;#ASMEND
	ds_read_b64 v[10:11], v18 offset:16
	v_mul_f32_e32 v26, v26, v30
	v_fmac_f32_e32 v26, v56, v27
	v_mul_f32_e32 v25, v25, v28
	v_fmac_f32_e32 v25, v29, v57
	s_waitcnt lgkmcnt(0)
	v_lshrrev_b32_e32 v27, 16, v10
	v_and_b32_e32 v10, 0xffff, v10
	;;#ASMSTART
	v_cvt_f32_f16 v28, v10;
	;;#ASMEND
	v_and_b32_e32 v10, 0xffff, v32
	;;#ASMSTART
	v_cvt_f32_f16 v27, v27;
	;;#ASMEND
	;;#ASMSTART
	v_cvt_f32_f16 v29, v10;
	;;#ASMEND
	v_and_b32_e32 v10, 0xffff, v34
	;;#ASMSTART
	v_cvt_f32_f16 v30, v10;
	;;#ASMEND
	v_lshrrev_b32_e32 v10, 16, v11
	v_and_b32_e32 v11, 0xffff, v11
	;;#ASMSTART
	v_cvt_f32_f16 v31, v11;
	;;#ASMEND
	;;#ASMSTART
	v_cvt_f32_f16 v32, v10;
	;;#ASMEND
	v_and_b32_e32 v10, 0xffff, v33
	;;#ASMSTART
	v_cvt_f32_f16 v33, v10;
	;;#ASMEND
	v_and_b32_e32 v10, 0xffff, v35
	;;#ASMSTART
	v_cvt_f32_f16 v34, v10;
	;;#ASMEND
	ds_read_b64 v[10:11], v18 offset:24
	v_fmac_f32_e32 v24, v27, v30
	v_fmac_f32_e32 v23, v28, v29
	v_fmac_f32_e32 v25, v31, v33
	v_fmac_f32_e32 v26, v32, v34
	s_waitcnt lgkmcnt(0)
	v_lshrrev_b32_e32 v27, 16, v10
	v_and_b32_e32 v10, 0xffff, v10
	;;#ASMSTART
	v_cvt_f32_f16 v28, v10;
	;;#ASMEND
	v_and_b32_e32 v10, 0xffff, v36
	;;#ASMSTART
	v_cvt_f32_f16 v27, v27;
	;;#ASMEND
	;;#ASMSTART
	v_cvt_f32_f16 v29, v10;
	;;#ASMEND
	v_and_b32_e32 v10, 0xffff, v38
	;;#ASMSTART
	v_cvt_f32_f16 v30, v10;
	;;#ASMEND
	v_lshrrev_b32_e32 v10, 16, v11
	v_and_b32_e32 v11, 0xffff, v11
	;;#ASMSTART
	v_cvt_f32_f16 v31, v11;
	;;#ASMEND
	;;#ASMSTART
	v_cvt_f32_f16 v32, v10;
	;;#ASMEND
	v_and_b32_e32 v10, 0xffff, v37
	;;#ASMSTART
	v_cvt_f32_f16 v33, v10;
	;;#ASMEND
	v_and_b32_e32 v10, 0xffff, v39
	;;#ASMSTART
	v_cvt_f32_f16 v34, v10;
	;;#ASMEND
	ds_read_b64 v[10:11], v18 offset:32
	v_fmac_f32_e32 v24, v27, v30
	v_fmac_f32_e32 v23, v28, v29
	v_fmac_f32_e32 v25, v31, v33
	;; [unrolled: 38-line block ×4, first 2 shown]
	v_fmac_f32_e32 v26, v32, v34
	s_waitcnt lgkmcnt(0)
	v_lshrrev_b32_e32 v27, 16, v10
	v_and_b32_e32 v10, 0xffff, v10
	;;#ASMSTART
	v_cvt_f32_f16 v28, v10;
	;;#ASMEND
	v_and_b32_e32 v10, 0xffff, v48
	;;#ASMSTART
	v_cvt_f32_f16 v27, v27;
	;;#ASMEND
	;;#ASMSTART
	v_cvt_f32_f16 v29, v10;
	;;#ASMEND
	v_and_b32_e32 v10, 0xffff, v50
	;;#ASMSTART
	v_cvt_f32_f16 v30, v10;
	;;#ASMEND
	v_lshrrev_b32_e32 v10, 16, v11
	v_and_b32_e32 v11, 0xffff, v11
	;;#ASMSTART
	v_cvt_f32_f16 v31, v11;
	;;#ASMEND
	;;#ASMSTART
	v_cvt_f32_f16 v32, v10;
	;;#ASMEND
	v_and_b32_e32 v10, 0xffff, v49
	;;#ASMSTART
	v_cvt_f32_f16 v33, v10;
	;;#ASMEND
	v_and_b32_e32 v10, 0xffff, v51
	;;#ASMSTART
	v_cvt_f32_f16 v34, v10;
	;;#ASMEND
	ds_read_b64 v[10:11], v18 offset:56
	v_fmac_f32_e32 v24, v27, v30
	v_fmac_f32_e32 v23, v28, v29
	v_and_b32_e32 v14, 0xffff, v14
	v_and_b32_e32 v28, 0xffff, v52
	s_waitcnt lgkmcnt(0)
	v_lshrrev_b32_e32 v27, 16, v10
	v_and_b32_e32 v10, 0xffff, v10
	;;#ASMSTART
	v_cvt_f32_f16 v10, v10;
	;;#ASMEND
	;;#ASMSTART
	v_cvt_f32_f16 v27, v27;
	;;#ASMEND
	;; [unrolled: 3-line block ×3, first 2 shown]
	v_fmac_f32_e32 v23, v10, v14
	v_lshrrev_b32_e32 v10, 16, v11
	v_and_b32_e32 v11, 0xffff, v11
	v_fmac_f32_e32 v25, v31, v33
	v_fmac_f32_e32 v26, v32, v34
	;;#ASMSTART
	v_cvt_f32_f16 v28, v28;
	;;#ASMEND
	v_fmac_f32_e32 v24, v27, v28
	;;#ASMSTART
	v_cvt_f32_f16 v11, v11;
	;;#ASMEND
	;;#ASMSTART
	v_cvt_f32_f16 v10, v10;
	;;#ASMEND
	v_and_b32_e32 v14, 0xffff, v58
	v_and_b32_e32 v12, 0xffff, v12
	;;#ASMSTART
	v_cvt_f32_f16 v14, v14;
	;;#ASMEND
	;;#ASMSTART
	v_cvt_f32_f16 v12, v12;
	;;#ASMEND
	v_fmac_f32_e32 v25, v11, v14
	v_fmac_f32_e32 v26, v10, v12
	v_add_f32_e32 v10, v23, v24
	v_add_f32_e32 v10, v10, v25
	;; [unrolled: 1-line block ×3, first 2 shown]
	v_and_b32_e32 v10, 64, v7
	v_xor_b32_e32 v12, 1, v7
	v_add_u32_e32 v10, 64, v10
	v_cmp_lt_i32_e64 s[4:5], v12, v10
	v_cndmask_b32_e64 v12, v7, v12, s[4:5]
	v_lshlrev_b32_e32 v12, 2, v12
	ds_bpermute_b32 v12, v12, v11
	s_and_saveexec_b64 s[40:41], vcc
	s_cbranch_execz .LBB313_9
; %bb.203:                              ;   in Loop: Header=BB313_10 Depth=1
	v_add_u32_e32 v14, s49, v19
	v_cvt_f32_i32_e32 v14, v14
	s_waitcnt lgkmcnt(0)
	v_add_f32_e32 v11, v11, v12
	v_cmp_gt_i32_e64 s[4:5], s29, v19
	v_max_f32_e32 v12, v16, v16
	v_mul_f32_e32 v14, s47, v14
	v_cndmask_b32_e64 v14, 0, v14, s[2:3]
	v_fmac_f32_e32 v14, s11, v11
	v_cndmask_b32_e64 v11, 0, v14, s[4:5]
	ds_write_b32 v20, v11
	v_max_f32_e32 v11, v12, v14
	v_cndmask_b32_e64 v16, v16, v11, s[4:5]
	s_branch .LBB313_9
.LBB313_204:
	s_or_b64 exec, exec, s[18:19]
.LBB313_205:
	s_or_b64 exec, exec, s[38:39]
	v_xor_b32_e32 v4, 32, v7
	v_cmp_lt_i32_e32 vcc, v4, v10
	v_cndmask_b32_e32 v4, v7, v4, vcc
	v_lshlrev_b32_e32 v4, 2, v4
	ds_bpermute_b32 v5, v4, v16
	v_xor_b32_e32 v8, 16, v7
	v_max_f32_e32 v6, v16, v16
	v_cmp_lt_i32_e32 vcc, v8, v10
	v_xor_b32_e32 v9, 8, v7
	s_waitcnt lgkmcnt(0)
	v_max_f32_e32 v5, v5, v5
	v_max_f32_e32 v6, v6, v5
	v_cndmask_b32_e32 v5, v7, v8, vcc
	v_lshlrev_b32_e32 v5, 2, v5
	ds_bpermute_b32 v8, v5, v6
	v_cmp_lt_i32_e32 vcc, v9, v10
	v_xor_b32_e32 v11, 4, v7
	v_xor_b32_e32 v12, 2, v7
	v_and_b32_e32 v17, 63, v0
	s_waitcnt lgkmcnt(0)
	v_max_f32_e32 v8, v8, v8
	v_max_f32_e32 v6, v6, v8
	v_cndmask_b32_e32 v8, v7, v9, vcc
	v_lshlrev_b32_e32 v8, 2, v8
	ds_bpermute_b32 v9, v8, v6
	v_cmp_lt_i32_e32 vcc, v11, v10
	s_waitcnt lgkmcnt(0)
	v_max_f32_e32 v9, v9, v9
	v_max_f32_e32 v6, v6, v9
	v_cndmask_b32_e32 v9, v7, v11, vcc
	v_lshlrev_b32_e32 v9, 2, v9
	ds_bpermute_b32 v11, v9, v6
	v_cmp_lt_i32_e32 vcc, v12, v10
	s_waitcnt lgkmcnt(0)
	v_max_f32_e32 v11, v11, v11
	v_max_f32_e32 v6, v6, v11
	v_cndmask_b32_e32 v11, v7, v12, vcc
	v_lshlrev_b32_e32 v24, 2, v11
	ds_bpermute_b32 v12, v24, v6
	v_cmp_eq_u32_e32 vcc, 0, v17
	v_lshlrev_b32_e32 v11, 2, v13
	s_and_saveexec_b64 s[2:3], vcc
	s_cbranch_execz .LBB313_207
; %bb.206:
	s_waitcnt lgkmcnt(0)
	v_max_f32_e32 v12, v12, v12
	v_max_f32_e32 v6, v6, v6
	;; [unrolled: 1-line block ×3, first 2 shown]
	ds_write_b32 v11, v6 offset:128
.LBB313_207:
	s_or_b64 exec, exec, s[2:3]
	v_cmp_gt_u32_e64 s[2:3], 2, v17
	v_mov_b32_e32 v6, 0xff7fffff
	s_waitcnt lgkmcnt(0)
	v_lshlrev_b32_e32 v12, 2, v17
	s_barrier
	s_and_saveexec_b64 s[4:5], s[2:3]
	s_cbranch_execz .LBB313_209
; %bb.208:
	ds_read_b32 v6, v12 offset:128
.LBB313_209:
	s_or_b64 exec, exec, s[4:5]
	v_xor_b32_e32 v14, 1, v7
	v_cmp_lt_i32_e64 s[4:5], v14, v10
	v_cndmask_b32_e64 v10, v7, v14, s[4:5]
	v_lshlrev_b32_e32 v25, 2, v10
	s_waitcnt lgkmcnt(0)
	ds_bpermute_b32 v10, v25, v6
	v_max_f32_e32 v6, v6, v6
	v_lshlrev_b32_e32 v7, 2, v7
	s_sub_i32 s4, s33, s10
	v_and_b32_e32 v7, 0xffffff00, v7
	s_waitcnt lgkmcnt(0)
	v_max_f32_e32 v10, v10, v10
	v_max_f32_e32 v6, v6, v10
	s_lshl_b32 s4, s4, 5
	ds_bpermute_b32 v6, v7, v6
	s_add_i32 s4, s4, s46
	s_min_i32 s39, s4, s29
	s_sub_i32 s38, s39, s46
	v_cmp_gt_i32_e64 s[4:5], s38, v0
	v_mov_b32_e32 v10, 0
	s_and_saveexec_b64 s[12:13], s[4:5]
	s_cbranch_execz .LBB313_213
; %bb.210:
	v_mov_b32_e32 v10, 0x90
	v_lshl_add_u32 v14, v0, 2, v10
	s_mov_b64 s[18:19], 0
	v_mov_b32_e32 v10, 0
	v_mov_b32_e32 v16, v0
.LBB313_211:                            ; =>This Inner Loop Header: Depth=1
	ds_read_b32 v18, v14
	v_add_u32_e32 v16, 0x80, v16
	v_cmp_le_i32_e64 s[10:11], s38, v16
	s_or_b64 s[18:19], s[10:11], s[18:19]
	s_waitcnt lgkmcnt(0)
	v_sub_f32_e32 v18, v18, v6
	v_mul_f32_e32 v18, 0x3fb8aa3b, v18
	v_exp_f32_e32 v18, v18
	ds_write_b32 v14, v18
	v_add_f32_e32 v10, v10, v18
	v_add_u32_e32 v14, 0x200, v14
	s_andn2_b64 exec, exec, s[18:19]
	s_cbranch_execnz .LBB313_211
; %bb.212:
	s_or_b64 exec, exec, s[18:19]
.LBB313_213:
	s_or_b64 exec, exec, s[12:13]
	ds_bpermute_b32 v4, v4, v10
	s_waitcnt lgkmcnt(0)
	v_add_f32_e32 v4, v10, v4
	ds_bpermute_b32 v5, v5, v4
	s_waitcnt lgkmcnt(0)
	v_add_f32_e32 v4, v4, v5
	;; [unrolled: 3-line block ×6, first 2 shown]
	s_and_saveexec_b64 s[10:11], vcc
	s_cbranch_execz .LBB313_215
; %bb.214:
	ds_write_b32 v11, v4 offset:136
.LBB313_215:
	s_or_b64 exec, exec, s[10:11]
	s_waitcnt lgkmcnt(0)
	s_barrier
	s_and_saveexec_b64 s[10:11], s[2:3]
	s_cbranch_execz .LBB313_217
; %bb.216:
	ds_read_b32 v4, v12 offset:136
.LBB313_217:
	s_or_b64 exec, exec, s[10:11]
	s_waitcnt lgkmcnt(0)
	ds_bpermute_b32 v5, v25, v4
	s_waitcnt lgkmcnt(0)
	v_add_f32_e32 v4, v4, v5
	ds_bpermute_b32 v7, v7, v4
	s_and_saveexec_b64 s[2:3], s[4:5]
	s_cbranch_execz .LBB313_230
; %bb.218:
	s_waitcnt lgkmcnt(0)
	v_add_f32_e32 v4, 0x358637bd, v7
	v_div_scale_f32 v5, s[4:5], v4, v4, 1.0
	v_rcp_f32_e32 v8, v5
	v_div_scale_f32 v9, vcc, 1.0, v4, 1.0
	s_movk_i32 s4, 0x7f
	v_fma_f32 v10, -v5, v8, 1.0
	v_fmac_f32_e32 v8, v10, v8
	v_mul_f32_e32 v10, v9, v8
	v_fma_f32 v11, -v5, v10, v9
	v_fmac_f32_e32 v10, v11, v8
	v_fma_f32 v5, -v5, v10, v9
	v_div_fmas_f32 v5, v5, v8, v10
	v_div_fixup_f32 v4, v5, v4, 1.0
	v_xad_u32 v5, v0, -1, s39
	v_subrev_u32_e32 v8, s46, v5
	v_cmp_lt_u32_e32 vcc, s4, v8
	s_mov_b64 s[10:11], -1
	v_mov_b32_e32 v5, v0
	s_and_saveexec_b64 s[4:5], vcc
	s_cbranch_execz .LBB313_227
; %bb.219:
	v_lshrrev_b32_e32 v8, 7, v8
	v_add_u32_e32 v10, -1, v8
	v_lshrrev_b32_e32 v9, 1, v10
	v_mov_b32_e32 v5, v4
	v_add_u32_e32 v9, 1, v9
	v_cmp_lt_u32_e32 vcc, 13, v10
	v_mov_b32_e32 v12, 0
	s_and_saveexec_b64 s[10:11], vcc
	s_cbranch_execz .LBB313_223
; %bb.220:
	v_mov_b32_e32 v11, 0x90
	v_and_b32_e32 v10, -8, v9
	v_lshl_add_u32 v11, v0, 2, v11
	s_mov_b32 s18, 0
	s_mov_b64 s[12:13], 0
.LBB313_221:                            ; =>This Inner Loop Header: Depth=1
	ds_read2st64_b32 v[18:19], v11 offset1:2
	ds_read2st64_b32 v[20:21], v11 offset0:4 offset1:6
	ds_read2st64_b32 v[22:23], v11 offset0:8 offset1:10
	;; [unrolled: 1-line block ×3, first 2 shown]
	v_add_u32_e32 v10, -8, v10
	s_waitcnt lgkmcnt(3)
	v_pk_mul_f32 v[18:19], v[4:5], v[18:19]
	s_waitcnt lgkmcnt(2)
	v_pk_mul_f32 v[20:21], v[4:5], v[20:21]
	ds_write2st64_b32 v11, v18, v19 offset1:2
	ds_write2st64_b32 v11, v20, v21 offset0:4 offset1:6
	ds_read2st64_b32 v[20:21], v11 offset0:16 offset1:18
	s_waitcnt lgkmcnt(4)
	v_pk_mul_f32 v[18:19], v[4:5], v[22:23]
	ds_write2st64_b32 v11, v18, v19 offset0:8 offset1:10
	s_waitcnt lgkmcnt(4)
	v_pk_mul_f32 v[18:19], v[4:5], v[26:27]
	ds_write2st64_b32 v11, v18, v19 offset0:12 offset1:14
	ds_read2st64_b32 v[18:19], v11 offset0:20 offset1:22
	s_waitcnt lgkmcnt(3)
	v_pk_mul_f32 v[20:21], v[4:5], v[20:21]
	ds_read2st64_b32 v[22:23], v11 offset0:24 offset1:26
	ds_write2st64_b32 v11, v20, v21 offset0:16 offset1:18
	ds_read2st64_b32 v[20:21], v11 offset0:28 offset1:30
	s_waitcnt lgkmcnt(3)
	v_pk_mul_f32 v[18:19], v[4:5], v[18:19]
	ds_write2st64_b32 v11, v18, v19 offset0:20 offset1:22
	s_waitcnt lgkmcnt(3)
	v_pk_mul_f32 v[18:19], v[4:5], v[22:23]
	ds_write2st64_b32 v11, v18, v19 offset0:24 offset1:26
	s_waitcnt lgkmcnt(2)
	v_pk_mul_f32 v[18:19], v[4:5], v[20:21]
	s_add_i32 s18, s18, 16
	v_cmp_eq_u32_e32 vcc, 0, v10
	ds_write2st64_b32 v11, v18, v19 offset0:28 offset1:30
	v_add_u32_e32 v11, 0x2000, v11
	s_or_b64 s[12:13], vcc, s[12:13]
	v_mov_b32_e32 v12, s18
	s_andn2_b64 exec, exec, s[12:13]
	s_cbranch_execnz .LBB313_221
; %bb.222:
	s_or_b64 exec, exec, s[12:13]
.LBB313_223:
	s_or_b64 exec, exec, s[10:11]
	v_and_b32_e32 v9, 7, v9
	v_cmp_ne_u32_e32 vcc, 0, v9
	s_and_saveexec_b64 s[10:11], vcc
	s_cbranch_execz .LBB313_226
; %bb.224:
	v_lshlrev_b32_e32 v10, 9, v12
	v_lshlrev_b32_e32 v11, 2, v0
	s_movk_i32 s12, 0x90
	v_add3_u32 v10, v10, v11, s12
	s_mov_b64 s[12:13], 0
.LBB313_225:                            ; =>This Inner Loop Header: Depth=1
	ds_read2st64_b32 v[18:19], v10 offset1:2
	v_add_u32_e32 v9, -1, v9
	v_cmp_eq_u32_e32 vcc, 0, v9
	s_or_b64 s[12:13], vcc, s[12:13]
	s_waitcnt lgkmcnt(0)
	v_pk_mul_f32 v[18:19], v[4:5], v[18:19]
	ds_write2st64_b32 v10, v18, v19 offset1:2
	v_add_u32_e32 v10, 0x400, v10
	s_andn2_b64 exec, exec, s[12:13]
	s_cbranch_execnz .LBB313_225
.LBB313_226:
	s_or_b64 exec, exec, s[10:11]
	v_add_u32_e32 v8, 1, v8
	v_and_b32_e32 v9, 0x3fffffe, v8
	v_cmp_ne_u32_e32 vcc, v8, v9
	v_lshl_add_u32 v5, v9, 7, v0
	s_orn2_b64 s[10:11], vcc, exec
.LBB313_227:
	s_or_b64 exec, exec, s[4:5]
	s_and_b64 exec, exec, s[10:11]
	s_cbranch_execz .LBB313_230
; %bb.228:
	v_mov_b32_e32 v8, 0x90
	v_lshl_add_u32 v8, v5, 2, v8
	s_mov_b64 s[4:5], 0
.LBB313_229:                            ; =>This Inner Loop Header: Depth=1
	ds_read_b32 v9, v8
	v_add_u32_e32 v5, 0x80, v5
	v_cmp_le_i32_e32 vcc, s38, v5
	s_or_b64 s[4:5], vcc, s[4:5]
	s_waitcnt lgkmcnt(0)
	v_mul_f32_e32 v9, v4, v9
	ds_write_b32 v8, v9
	v_add_u32_e32 v8, 0x200, v8
	s_andn2_b64 exec, exec, s[4:5]
	s_cbranch_execnz .LBB313_229
.LBB313_230:
	s_or_b64 exec, exec, s[2:3]
	s_mul_i32 s2, s25, s28
	v_cmp_eq_u32_e32 vcc, 0, v0
	s_mul_i32 s2, s2, s9
	s_waitcnt lgkmcnt(0)
	s_barrier
	s_and_saveexec_b64 s[4:5], vcc
	s_cbranch_execz .LBB313_232
; %bb.231:
	s_ashr_i32 s3, s2, 31
	s_lshl_b64 s[10:11], s[2:3], 2
	s_add_u32 s3, s22, s10
	s_mul_i32 s12, s25, s6
	s_addc_u32 s9, s23, s11
	s_ashr_i32 s13, s12, 31
	s_lshl_b64 s[12:13], s[12:13], 2
	s_add_u32 s3, s3, s12
	s_addc_u32 s6, s9, s13
	s_ashr_i32 s9, s8, 31
	s_lshl_b64 s[18:19], s[8:9], 2
	s_add_u32 s22, s3, s18
	s_addc_u32 s23, s6, s19
	s_add_u32 s3, s20, s10
	s_addc_u32 s6, s21, s11
	;; [unrolled: 2-line block ×3, first 2 shown]
	s_add_u32 s10, s3, s18
	v_mov_b32_e32 v4, 0
	s_addc_u32 s11, s6, s19
	global_store_dword v4, v6, s[22:23]
	global_store_dword v4, v7, s[10:11]
.LBB313_232:
	s_or_b64 exec, exec, s[4:5]
	v_mov_b32_e32 v7, 0
	v_and_b32_e32 v26, 3, v0
	v_mov_b32_e32 v6, 0
	v_mov_b32_e32 v5, 0
	;; [unrolled: 1-line block ×3, first 2 shown]
	s_and_saveexec_b64 s[4:5], s[0:1]
	s_cbranch_execz .LBB313_436
; %bb.233:
	s_ashr_i32 s0, s7, 31
	s_add_u32 s1, s36, s7
	v_and_b32_e32 v4, 24, v1
	s_addc_u32 s0, s37, s0
	v_and_b32_e32 v1, 0x1f8, v1
	s_add_i32 s9, s16, -1
	v_mov_b32_e32 v5, s0
	v_add_co_u32_e32 v10, vcc, s1, v1
	v_add3_u32 v1, s46, v15, v4
	v_lshlrev_b32_e32 v4, 5, v26
	s_lshl_b64 s[0:1], s[34:35], 2
	v_lshl_or_b32 v4, v13, 7, v4
	s_add_u32 s0, s30, s0
	v_addc_co_u32_e32 v11, vcc, 0, v5, vcc
	v_add_u32_e32 v27, 0x90, v4
	v_lshlrev_b64 v[4:5], 2, v[2:3]
	s_addc_u32 s1, s31, s1
	s_mov_b32 s6, -1
	v_mov_b32_e32 v3, s1
	v_add_co_u32_e32 v12, vcc, s0, v4
	v_mov_b32_e32 v4, 0
	s_mov_b32 s3, s17
	s_mov_b32 s7, 0xffffff
	v_mov_b32_e32 v9, 0
	s_mov_b32 s20, s29
	v_addc_co_u32_e32 v13, vcc, v3, v5, vcc
	s_mov_b64 s[10:11], 0
	s_movk_i32 s21, 0x80
	s_movk_i32 s22, 0x7f
	s_mov_b32 s23, 0x8000
	s_movk_i32 s28, 0x380
	s_mov_b32 s30, 0x3020706
	s_mov_b32 s31, 0x1000504
	;; [unrolled: 1-line block ×3, first 2 shown]
	v_mov_b32_e32 v3, 0x2000
	v_mov_b32_e32 v5, v4
	;; [unrolled: 1-line block ×4, first 2 shown]
	s_branch .LBB313_235
.LBB313_234:                            ;   in Loop: Header=BB313_235 Depth=1
	s_or_b64 exec, exec, s[0:1]
	;;#ASMSTART
	v_pk_mul_f16 v14, v35, v14;

	;;#ASMEND
	;;#ASMSTART
	v_pk_mul_f16 v8, v36, v8;

	;;#ASMEND
	;; [unrolled: 4-line block ×4, first 2 shown]
	;;#ASMSTART
	v_pk_add_f16 v8, v14, v8;

	;;#ASMEND
	;;#ASMSTART
	v_pk_add_f16 v8, v8, v15;

	;;#ASMEND
	;; [unrolled: 4-line block ×3, first 2 shown]
	v_add_f32_e32 v18, v39, v40
	v_lshrrev_b32_e32 v14, 16, v8
	v_and_b32_e32 v8, 0xffff, v8
	v_add_u32_e32 v2, 2, v2
	v_add_f32_e32 v4, v4, v18
	v_add_f32_e32 v18, v41, v42
	;;#ASMSTART
	v_cvt_f32_f16 v8, v8;
	;;#ASMEND
	v_cmp_le_i32_e32 vcc, s33, v2
	v_add_f32_e32 v5, v5, v18
	v_add_f32_e32 v18, v22, v23
	;;#ASMSTART
	v_cvt_f32_f16 v14, v14;
	;;#ASMEND
	v_add_f32_e32 v8, v8, v14
	s_or_b64 s[10:11], vcc, s[10:11]
	v_add_co_u32_e32 v12, vcc, 8, v12
	v_add_f32_e32 v6, v6, v18
	v_add_f32_e32 v7, v7, v8
	v_add_u32_e32 v1, 64, v1
	v_add_u32_e32 v27, 0x100, v27
	v_addc_co_u32_e32 v13, vcc, 0, v13, vcc
	s_andn2_b64 exec, exec, s[10:11]
	s_cbranch_execz .LBB313_435
.LBB313_235:                            ; =>This Inner Loop Header: Depth=1
	global_load_dword v8, v[12:13], off
	ds_read2_b64 v[18:21], v27 offset1:1
	ds_read2_b64 v[28:31], v27 offset0:2 offset1:3
	s_waitcnt lgkmcnt(1)
	;;#ASMSTART
	v_cvt_f16_f32 v35, v18;

	;;#ASMEND
	;;#ASMSTART
	v_cvt_f16_f32 v36, v19;

	;;#ASMEND
	;; [unrolled: 4-line block ×4, first 2 shown]
	s_waitcnt lgkmcnt(0)
	;;#ASMSTART
	v_cvt_f16_f32 v39, v28;

	;;#ASMEND
	;;#ASMSTART
	v_cvt_f16_f32 v40, v29;

	;;#ASMEND
	;; [unrolled: 4-line block ×4, first 2 shown]
	v_mov_b32_e32 v18, 0
	s_waitcnt vmcnt(0)
	v_mad_i64_i32 v[14:15], s[0:1], v8, s3, v[10:11]
	global_load_dwordx2 v[20:21], v[14:15], off
	global_load_dword v16, v9, s[14:15]
	s_waitcnt vmcnt(1)
	v_cmp_ne_u16_sdwa s[12:13], v20, v9 src0_sel:BYTE_0 src1_sel:DWORD
	s_and_saveexec_b64 s[0:1], s[12:13]
	s_cbranch_execz .LBB313_241
; %bb.236:                              ;   in Loop: Header=BB313_235 Depth=1
	v_cmp_ne_u16_sdwa s[16:17], v20, s21 src0_sel:BYTE_0 src1_sel:DWORD
	v_bfrev_b32_e32 v18, 1
	s_and_saveexec_b64 s[12:13], s[16:17]
	s_cbranch_execz .LBB313_240
; %bb.237:                              ;   in Loop: Header=BB313_235 Depth=1
	v_and_b32_e32 v8, 0x7f, v20
	v_cmp_ne_u32_e32 vcc, s22, v8
	v_mov_b32_e32 v18, 0x7fc02000
	s_and_saveexec_b64 s[16:17], vcc
	s_cbranch_execz .LBB313_239
; %bb.238:                              ;   in Loop: Header=BB313_235 Depth=1
	v_and_b32_e32 v18, 7, v20
	v_ffbh_u32_e32 v18, v18
	v_min_u32_e32 v18, 32, v18
	v_subrev_u32_e32 v19, 28, v18
	v_cmp_gt_u32_e32 vcc, 8, v8
	v_lshrrev_b32_e32 v22, 3, v8
	v_sub_u32_e32 v23, 29, v18
	v_cndmask_b32_e32 v8, 0, v19, vcc
	v_lshlrev_b64 v[18:19], v8, v[20:21]
	v_cndmask_b32_e32 v8, v22, v23, vcc
	v_lshlrev_b32_e32 v19, 8, v20
	v_lshl_add_u32 v8, v8, 10, v3
	v_lshlrev_b32_e32 v18, 7, v18
	v_and_or_b32 v8, v19, s23, v8
	v_and_or_b32 v8, v18, s28, v8
	v_cvt_f32_f16_e32 v18, v8
.LBB313_239:                            ;   in Loop: Header=BB313_235 Depth=1
	s_or_b64 exec, exec, s[16:17]
.LBB313_240:                            ;   in Loop: Header=BB313_235 Depth=1
	s_or_b64 exec, exec, s[12:13]
.LBB313_241:                            ;   in Loop: Header=BB313_235 Depth=1
	s_or_b64 exec, exec, s[0:1]
	v_lshrrev_b16_e32 v8, 8, v20
	v_cmp_ne_u16_e32 vcc, 0, v8
	v_mov_b32_e32 v19, 0
	v_mov_b32_e32 v22, 0
	s_and_saveexec_b64 s[0:1], vcc
	s_cbranch_execz .LBB313_247
; %bb.242:                              ;   in Loop: Header=BB313_235 Depth=1
	v_cmp_ne_u16_e32 vcc, s21, v8
	v_bfrev_b32_e32 v22, 1
	s_and_saveexec_b64 s[12:13], vcc
	s_cbranch_execz .LBB313_246
; %bb.243:                              ;   in Loop: Header=BB313_235 Depth=1
	v_and_b32_e32 v23, 0x7f, v8
	v_cmp_ne_u32_e32 vcc, s22, v23
	v_mov_b32_e32 v22, 0x7fc02000
	s_and_saveexec_b64 s[16:17], vcc
	s_cbranch_execz .LBB313_245
; %bb.244:                              ;   in Loop: Header=BB313_235 Depth=1
	v_and_b32_e32 v22, 7, v8
	v_ffbh_u32_e32 v28, v22
	v_min_u32_e32 v31, 32, v28
	v_subrev_u32_e32 v28, 28, v31
	v_lshlrev_b64 v[28:29], v28, v[8:9]
	v_lshrrev_b32_e32 v30, 3, v23
	v_sub_u32_e32 v29, 29, v31
	v_cmp_gt_u32_e32 vcc, 8, v23
	v_cndmask_b32_e32 v23, v30, v29, vcc
	v_and_b32_e32 v28, 7, v28
	v_lshlrev_b32_e32 v8, 8, v8
	v_lshl_add_u32 v23, v23, 10, v3
	v_cndmask_b32_e32 v22, v22, v28, vcc
	v_and_or_b32 v8, v8, s23, v23
	v_lshl_or_b32 v8, v22, 7, v8
	v_cvt_f32_f16_e32 v22, v8
.LBB313_245:                            ;   in Loop: Header=BB313_235 Depth=1
	s_or_b64 exec, exec, s[16:17]
.LBB313_246:                            ;   in Loop: Header=BB313_235 Depth=1
	s_or_b64 exec, exec, s[12:13]
.LBB313_247:                            ;   in Loop: Header=BB313_235 Depth=1
	s_or_b64 exec, exec, s[0:1]
	v_lshrrev_b32_e32 v8, 16, v20
	v_cmp_ne_u16_sdwa s[12:13], v8, v9 src0_sel:BYTE_0 src1_sel:DWORD
	s_and_saveexec_b64 s[0:1], s[12:13]
	s_cbranch_execz .LBB313_253
; %bb.248:                              ;   in Loop: Header=BB313_235 Depth=1
	v_cmp_ne_u16_sdwa s[16:17], v8, s21 src0_sel:BYTE_0 src1_sel:DWORD
	v_bfrev_b32_e32 v19, 1
	s_and_saveexec_b64 s[12:13], s[16:17]
	s_cbranch_execz .LBB313_252
; %bb.249:                              ;   in Loop: Header=BB313_235 Depth=1
	v_bfe_u32 v23, v20, 16, 7
	v_cmp_ne_u32_e32 vcc, s22, v23
	v_mov_b32_e32 v19, 0x7fc02000
	s_and_saveexec_b64 s[16:17], vcc
	s_cbranch_execz .LBB313_251
; %bb.250:                              ;   in Loop: Header=BB313_235 Depth=1
	v_and_b32_e32 v19, 7, v8
	v_ffbh_u32_e32 v28, v19
	v_min_u32_e32 v31, 32, v28
	v_subrev_u32_e32 v28, 28, v31
	v_lshlrev_b64 v[28:29], v28, v[8:9]
	v_lshrrev_b32_e32 v30, 3, v23
	v_sub_u32_e32 v29, 29, v31
	v_cmp_gt_u32_e32 vcc, 8, v23
	v_cndmask_b32_e32 v23, v30, v29, vcc
	v_and_b32_e32 v28, 7, v28
	v_lshlrev_b32_e32 v8, 8, v8
	v_lshl_add_u32 v23, v23, 10, v3
	v_cndmask_b32_e32 v19, v19, v28, vcc
	v_and_or_b32 v8, v8, s23, v23
	v_lshl_or_b32 v8, v19, 7, v8
	v_cvt_f32_f16_e32 v19, v8
.LBB313_251:                            ;   in Loop: Header=BB313_235 Depth=1
	s_or_b64 exec, exec, s[16:17]
.LBB313_252:                            ;   in Loop: Header=BB313_235 Depth=1
	s_or_b64 exec, exec, s[12:13]
.LBB313_253:                            ;   in Loop: Header=BB313_235 Depth=1
	s_or_b64 exec, exec, s[0:1]
	v_cmp_lt_u32_e32 vcc, s7, v20
	v_mov_b32_e32 v28, 0
	v_mov_b32_e32 v23, 0
	s_and_saveexec_b64 s[0:1], vcc
	s_cbranch_execz .LBB313_259
; %bb.254:                              ;   in Loop: Header=BB313_235 Depth=1
	v_lshrrev_b32_e32 v8, 24, v20
	v_cmp_ne_u32_e32 vcc, s21, v8
	v_bfrev_b32_e32 v23, 1
	s_and_saveexec_b64 s[12:13], vcc
	s_cbranch_execz .LBB313_258
; %bb.255:                              ;   in Loop: Header=BB313_235 Depth=1
	v_and_b32_e32 v29, 0x7f, v8
	v_cmp_ne_u32_e32 vcc, s22, v29
	v_mov_b32_e32 v23, 0x7fc02000
	s_and_saveexec_b64 s[16:17], vcc
	s_cbranch_execz .LBB313_257
; %bb.256:                              ;   in Loop: Header=BB313_235 Depth=1
	v_and_b32_e32 v23, 7, v8
	v_ffbh_u32_e32 v30, v23
	v_min_u32_e32 v33, 32, v30
	v_subrev_u32_e32 v30, 28, v33
	v_lshlrev_b64 v[30:31], v30, v[8:9]
	v_lshrrev_b32_e32 v32, 3, v29
	v_sub_u32_e32 v31, 29, v33
	v_cmp_gt_u32_e32 vcc, 8, v29
	v_cndmask_b32_e32 v29, v32, v31, vcc
	v_and_b32_e32 v30, 7, v30
	v_lshlrev_b32_e32 v8, 8, v8
	v_lshl_add_u32 v29, v29, 10, v3
	v_cndmask_b32_e32 v23, v23, v30, vcc
	v_and_or_b32 v8, v8, s23, v29
	v_lshl_or_b32 v8, v23, 7, v8
	v_cvt_f32_f16_e32 v23, v8
.LBB313_257:                            ;   in Loop: Header=BB313_235 Depth=1
	s_or_b64 exec, exec, s[16:17]
.LBB313_258:                            ;   in Loop: Header=BB313_235 Depth=1
	s_or_b64 exec, exec, s[12:13]
.LBB313_259:                            ;   in Loop: Header=BB313_235 Depth=1
	s_or_b64 exec, exec, s[0:1]
	v_mov_b32_e32 v8, v21
	v_cmp_ne_u16_sdwa s[12:13], v21, v9 src0_sel:BYTE_0 src1_sel:DWORD
	s_and_saveexec_b64 s[0:1], s[12:13]
	s_cbranch_execz .LBB313_265
; %bb.260:                              ;   in Loop: Header=BB313_235 Depth=1
	v_cmp_ne_u16_sdwa s[16:17], v21, s21 src0_sel:BYTE_0 src1_sel:DWORD
	v_bfrev_b32_e32 v28, 1
	s_and_saveexec_b64 s[12:13], s[16:17]
	s_cbranch_execz .LBB313_264
; %bb.261:                              ;   in Loop: Header=BB313_235 Depth=1
	v_and_b32_e32 v29, 0x7f, v21
	v_cmp_ne_u32_e32 vcc, s22, v29
	v_mov_b32_e32 v28, 0x7fc02000
	s_and_saveexec_b64 s[16:17], vcc
	s_cbranch_execz .LBB313_263
; %bb.262:                              ;   in Loop: Header=BB313_235 Depth=1
	v_and_b32_e32 v28, 7, v21
	v_ffbh_u32_e32 v28, v28
	v_min_u32_e32 v28, 32, v28
	v_subrev_u32_e32 v31, 28, v28
	v_cmp_gt_u32_e32 vcc, 8, v29
	v_sub_u32_e32 v32, 29, v28
	v_cndmask_b32_e32 v28, 0, v31, vcc
	v_lshrrev_b32_e32 v30, 3, v29
	v_lshlrev_b64 v[28:29], v28, v[8:9]
	v_cndmask_b32_e32 v29, v30, v32, vcc
	v_lshlrev_b32_e32 v30, 8, v21
	v_lshl_add_u32 v29, v29, 10, v3
	v_lshlrev_b32_e32 v28, 7, v28
	v_and_or_b32 v29, v30, s23, v29
	v_and_or_b32 v28, v28, s28, v29
	v_cvt_f32_f16_e32 v28, v28
.LBB313_263:                            ;   in Loop: Header=BB313_235 Depth=1
	s_or_b64 exec, exec, s[16:17]
.LBB313_264:                            ;   in Loop: Header=BB313_235 Depth=1
	s_or_b64 exec, exec, s[12:13]
.LBB313_265:                            ;   in Loop: Header=BB313_235 Depth=1
	s_or_b64 exec, exec, s[0:1]
	v_lshrrev_b16_e32 v8, 8, v8
	v_cmp_ne_u16_e32 vcc, 0, v8
	v_mov_b32_e32 v29, 0
	v_mov_b32_e32 v30, 0
	s_and_saveexec_b64 s[0:1], vcc
	s_cbranch_execz .LBB313_271
; %bb.266:                              ;   in Loop: Header=BB313_235 Depth=1
	v_cmp_ne_u16_e32 vcc, s21, v8
	v_bfrev_b32_e32 v30, 1
	s_and_saveexec_b64 s[12:13], vcc
	s_cbranch_execz .LBB313_270
; %bb.267:                              ;   in Loop: Header=BB313_235 Depth=1
	v_and_b32_e32 v31, 0x7f, v8
	v_cmp_ne_u32_e32 vcc, s22, v31
	v_mov_b32_e32 v30, 0x7fc02000
	s_and_saveexec_b64 s[16:17], vcc
	s_cbranch_execz .LBB313_269
; %bb.268:                              ;   in Loop: Header=BB313_235 Depth=1
	v_and_b32_e32 v30, 7, v8
	v_ffbh_u32_e32 v32, v30
	v_min_u32_e32 v43, 32, v32
	v_subrev_u32_e32 v32, 28, v43
	v_lshlrev_b64 v[32:33], v32, v[8:9]
	v_lshrrev_b32_e32 v34, 3, v31
	v_sub_u32_e32 v33, 29, v43
	v_cmp_gt_u32_e32 vcc, 8, v31
	v_cndmask_b32_e32 v31, v34, v33, vcc
	v_and_b32_e32 v32, 7, v32
	v_lshlrev_b32_e32 v8, 8, v8
	v_lshl_add_u32 v31, v31, 10, v3
	v_cndmask_b32_e32 v30, v30, v32, vcc
	v_and_or_b32 v8, v8, s23, v31
	v_lshl_or_b32 v8, v30, 7, v8
	v_cvt_f32_f16_e32 v30, v8
.LBB313_269:                            ;   in Loop: Header=BB313_235 Depth=1
	s_or_b64 exec, exec, s[16:17]
.LBB313_270:                            ;   in Loop: Header=BB313_235 Depth=1
	s_or_b64 exec, exec, s[12:13]
.LBB313_271:                            ;   in Loop: Header=BB313_235 Depth=1
	s_or_b64 exec, exec, s[0:1]
	v_lshrrev_b32_e32 v8, 16, v21
	v_cmp_ne_u16_sdwa s[12:13], v8, v9 src0_sel:BYTE_0 src1_sel:DWORD
	s_and_saveexec_b64 s[0:1], s[12:13]
	s_cbranch_execz .LBB313_277
; %bb.272:                              ;   in Loop: Header=BB313_235 Depth=1
	v_cmp_ne_u16_sdwa s[16:17], v8, s21 src0_sel:BYTE_0 src1_sel:DWORD
	v_bfrev_b32_e32 v29, 1
	s_and_saveexec_b64 s[12:13], s[16:17]
	s_cbranch_execz .LBB313_276
; %bb.273:                              ;   in Loop: Header=BB313_235 Depth=1
	v_bfe_u32 v31, v21, 16, 7
	v_cmp_ne_u32_e32 vcc, s22, v31
	v_mov_b32_e32 v29, 0x7fc02000
	s_and_saveexec_b64 s[16:17], vcc
	s_cbranch_execz .LBB313_275
; %bb.274:                              ;   in Loop: Header=BB313_235 Depth=1
	v_and_b32_e32 v29, 7, v8
	v_ffbh_u32_e32 v32, v29
	v_min_u32_e32 v43, 32, v32
	v_subrev_u32_e32 v32, 28, v43
	v_lshlrev_b64 v[32:33], v32, v[8:9]
	v_lshrrev_b32_e32 v34, 3, v31
	v_sub_u32_e32 v33, 29, v43
	v_cmp_gt_u32_e32 vcc, 8, v31
	v_cndmask_b32_e32 v31, v34, v33, vcc
	v_and_b32_e32 v32, 7, v32
	v_lshlrev_b32_e32 v8, 8, v8
	v_lshl_add_u32 v31, v31, 10, v3
	v_cndmask_b32_e32 v29, v29, v32, vcc
	v_and_or_b32 v8, v8, s23, v31
	v_lshl_or_b32 v8, v29, 7, v8
	v_cvt_f32_f16_e32 v29, v8
.LBB313_275:                            ;   in Loop: Header=BB313_235 Depth=1
	s_or_b64 exec, exec, s[16:17]
.LBB313_276:                            ;   in Loop: Header=BB313_235 Depth=1
	s_or_b64 exec, exec, s[12:13]
.LBB313_277:                            ;   in Loop: Header=BB313_235 Depth=1
	s_or_b64 exec, exec, s[0:1]
	v_cmp_lt_u64_e32 vcc, s[6:7], v[20:21]
	v_mov_b32_e32 v20, 0
	s_and_saveexec_b64 s[0:1], vcc
	s_cbranch_execz .LBB313_283
; %bb.278:                              ;   in Loop: Header=BB313_235 Depth=1
	v_lshrrev_b32_e32 v8, 24, v21
	v_cmp_ne_u32_e32 vcc, s21, v8
	v_bfrev_b32_e32 v20, 1
	s_and_saveexec_b64 s[12:13], vcc
	s_cbranch_execz .LBB313_282
; %bb.279:                              ;   in Loop: Header=BB313_235 Depth=1
	v_and_b32_e32 v21, 0x7f, v8
	v_cmp_ne_u32_e32 vcc, s22, v21
	v_mov_b32_e32 v20, 0x7fc02000
	s_and_saveexec_b64 s[16:17], vcc
	s_cbranch_execz .LBB313_281
; %bb.280:                              ;   in Loop: Header=BB313_235 Depth=1
	v_and_b32_e32 v20, 7, v8
	v_ffbh_u32_e32 v32, v20
	v_min_u32_e32 v34, 32, v32
	v_subrev_u32_e32 v32, 28, v34
	v_lshlrev_b64 v[32:33], v32, v[8:9]
	v_lshrrev_b32_e32 v31, 3, v21
	v_sub_u32_e32 v33, 29, v34
	v_cmp_gt_u32_e32 vcc, 8, v21
	v_cndmask_b32_e32 v21, v31, v33, vcc
	v_and_b32_e32 v32, 7, v32
	v_lshlrev_b32_e32 v8, 8, v8
	v_lshl_add_u32 v21, v21, 10, v3
	v_cndmask_b32_e32 v20, v20, v32, vcc
	v_and_or_b32 v8, v8, s23, v21
	v_lshl_or_b32 v8, v20, 7, v8
	v_cvt_f32_f16_e32 v20, v8
.LBB313_281:                            ;   in Loop: Header=BB313_235 Depth=1
	s_or_b64 exec, exec, s[16:17]
.LBB313_282:                            ;   in Loop: Header=BB313_235 Depth=1
	s_or_b64 exec, exec, s[12:13]
.LBB313_283:                            ;   in Loop: Header=BB313_235 Depth=1
	s_or_b64 exec, exec, s[0:1]
	s_waitcnt vmcnt(0)
	v_pk_mul_f32 v[22:23], v[16:17], v[22:23] op_sel_hi:[0,1]
	v_pk_mul_f32 v[18:19], v[16:17], v[18:19] op_sel_hi:[0,1]
	v_cvt_f16_f32_e32 v8, v23
	v_cvt_f16_f32_e32 v21, v22
	;; [unrolled: 1-line block ×4, first 2 shown]
	v_cmp_eq_u32_e32 vcc, s9, v2
	v_pack_b32_f16 v21, v21, v8
	v_add_u32_e32 v34, 1, v1
	v_pack_b32_f16 v18, v18, v19
	v_fma_mixlo_f16 v19, v16, v30, 0
	v_perm_b32 v8, v18, v21, s30
	v_perm_b32 v18, v18, v21, s31
	v_lshlrev_b32_e32 v19, 16, v19
	v_fma_mixlo_f16 v21, v16, v28, 0
	v_or_b32_sdwa v19, v19, v21 dst_sel:DWORD dst_unused:UNUSED_PAD src0_sel:DWORD src1_sel:WORD_0
	v_fma_mixlo_f16 v21, v16, v29, 0
	v_fma_mixlo_f16 v16, v16, v20, 0
	v_lshlrev_b32_e32 v16, 16, v16
	v_or_b32_sdwa v16, v16, v21 dst_sel:DWORD dst_unused:UNUSED_PAD src0_sel:DWORD src1_sel:WORD_0
	v_or_b32_e32 v33, 3, v1
	v_or_b32_e32 v32, 2, v1
	;; [unrolled: 1-line block ×6, first 2 shown]
	s_and_saveexec_b64 s[12:13], vcc
	s_cbranch_execz .LBB313_285
; %bb.284:                              ;   in Loop: Header=BB313_235 Depth=1
	v_lshrrev_b32_e32 v20, 16, v18
	v_cmp_gt_i32_e64 s[0:1], s20, v34
	v_cndmask_b32_e64 v20, 0, v20, s[0:1]
	v_cmp_gt_i32_e64 s[0:1], s29, v1
	v_cndmask_b32_e64 v18, 0, v18, s[0:1]
	v_perm_b32 v18, v20, v18, s34
	v_lshrrev_b32_e32 v20, 16, v8
	v_cmp_gt_i32_e64 s[0:1], s20, v33
	v_cndmask_b32_e64 v20, 0, v20, s[0:1]
	v_cmp_gt_i32_e64 s[0:1], s29, v32
	v_cndmask_b32_e64 v8, 0, v8, s[0:1]
	v_perm_b32 v8, v20, v8, s34
	v_lshrrev_b32_e32 v20, 16, v19
	v_cmp_gt_i32_e64 s[0:1], s20, v31
	v_cndmask_b32_e64 v20, 0, v20, s[0:1]
	v_cmp_gt_i32_e64 s[0:1], s29, v30
	v_cndmask_b32_e64 v19, 0, v19, s[0:1]
	v_lshrrev_b32_e32 v16, 16, v16
	v_cmp_gt_i32_e64 s[0:1], s20, v29
	v_cndmask_b32_e64 v16, 0, v16, s[0:1]
	v_cmp_gt_i32_e64 s[0:1], s29, v28
	v_perm_b32 v19, v20, v19, s34
	v_cndmask_b32_e64 v20, 0, v21, s[0:1]
	v_perm_b32 v16, v16, v20, s34
.LBB313_285:                            ;   in Loop: Header=BB313_235 Depth=1
	s_or_b64 exec, exec, s[12:13]
	v_and_b32_e32 v20, 0xffff, v35
	v_lshl_or_b32 v35, v36, 16, v20
	v_and_b32_e32 v20, 0xffff, v37
	v_lshl_or_b32 v36, v38, 16, v20
	;; [unrolled: 2-line block ×3, first 2 shown]
	v_and_b32_e32 v20, 0xffff, v41
	;;#ASMSTART
	v_pk_mul_f16 v18, v35, v18;

	;;#ASMEND
	;;#ASMSTART
	v_pk_mul_f16 v8, v36, v8;

	;;#ASMEND
	v_lshl_or_b32 v38, v42, 16, v20
	;;#ASMSTART
	v_pk_mul_f16 v19, v37, v19;

	;;#ASMEND
	;;#ASMSTART
	v_pk_mul_f16 v16, v38, v16;

	;;#ASMEND
	;;#ASMSTART
	v_pk_add_f16 v8, v18, v8;

	;;#ASMEND
	;;#ASMSTART
	v_pk_add_f16 v8, v8, v19;
	;; [unrolled: 4-line block ×3, first 2 shown]

	;;#ASMEND
	v_lshrrev_b32_e32 v16, 16, v8
	v_and_b32_e32 v8, 0xffff, v8
	;;#ASMSTART
	v_cvt_f32_f16 v39, v8;
	;;#ASMEND
	;;#ASMSTART
	v_cvt_f32_f16 v40, v16;
	;;#ASMEND
	global_load_dwordx2 v[22:23], v[14:15], off offset:512
	global_load_dword v16, v9, s[14:15]
	v_mov_b32_e32 v20, 0
	v_mov_b32_e32 v18, 0
	s_waitcnt vmcnt(1)
	v_cmp_ne_u16_sdwa s[0:1], v22, v9 src0_sel:BYTE_0 src1_sel:DWORD
	s_and_saveexec_b64 s[12:13], s[0:1]
	s_cbranch_execz .LBB313_291
; %bb.286:                              ;   in Loop: Header=BB313_235 Depth=1
	v_cmp_ne_u16_sdwa s[0:1], v22, s21 src0_sel:BYTE_0 src1_sel:DWORD
	v_bfrev_b32_e32 v18, 1
	s_and_saveexec_b64 s[16:17], s[0:1]
	s_cbranch_execz .LBB313_290
; %bb.287:                              ;   in Loop: Header=BB313_235 Depth=1
	v_and_b32_e32 v8, 0x7f, v22
	v_cmp_ne_u32_e64 s[0:1], s22, v8
	v_mov_b32_e32 v18, 0x7fc02000
	s_and_saveexec_b64 s[18:19], s[0:1]
	s_cbranch_execz .LBB313_289
; %bb.288:                              ;   in Loop: Header=BB313_235 Depth=1
	v_and_b32_e32 v18, 7, v22
	v_ffbh_u32_e32 v18, v18
	v_min_u32_e32 v18, 32, v18
	v_subrev_u32_e32 v19, 28, v18
	v_cmp_gt_u32_e64 s[0:1], 8, v8
	v_lshrrev_b32_e32 v21, 3, v8
	v_sub_u32_e32 v41, 29, v18
	v_cndmask_b32_e64 v8, 0, v19, s[0:1]
	v_lshlrev_b64 v[18:19], v8, v[22:23]
	v_cndmask_b32_e64 v8, v21, v41, s[0:1]
	v_lshlrev_b32_e32 v19, 8, v22
	v_lshl_add_u32 v8, v8, 10, v3
	v_lshlrev_b32_e32 v18, 7, v18
	v_and_or_b32 v8, v19, s23, v8
	v_and_or_b32 v8, v18, s28, v8
	v_cvt_f32_f16_e32 v18, v8
.LBB313_289:                            ;   in Loop: Header=BB313_235 Depth=1
	s_or_b64 exec, exec, s[18:19]
.LBB313_290:                            ;   in Loop: Header=BB313_235 Depth=1
	s_or_b64 exec, exec, s[16:17]
.LBB313_291:                            ;   in Loop: Header=BB313_235 Depth=1
	s_or_b64 exec, exec, s[12:13]
	v_lshrrev_b16_e32 v8, 8, v22
	v_cmp_ne_u16_e64 s[0:1], 0, v8
	s_and_saveexec_b64 s[12:13], s[0:1]
	s_cbranch_execz .LBB313_297
; %bb.292:                              ;   in Loop: Header=BB313_235 Depth=1
	v_cmp_ne_u16_e64 s[0:1], s21, v8
	v_bfrev_b32_e32 v20, 1
	s_and_saveexec_b64 s[16:17], s[0:1]
	s_cbranch_execz .LBB313_296
; %bb.293:                              ;   in Loop: Header=BB313_235 Depth=1
	v_and_b32_e32 v19, 0x7f, v8
	v_cmp_ne_u32_e64 s[0:1], s22, v19
	v_mov_b32_e32 v20, 0x7fc02000
	s_and_saveexec_b64 s[18:19], s[0:1]
	s_cbranch_execz .LBB313_295
; %bb.294:                              ;   in Loop: Header=BB313_235 Depth=1
	v_and_b32_e32 v41, 7, v8
	v_ffbh_u32_e32 v20, v41
	v_min_u32_e32 v43, 32, v20
	v_subrev_u32_e32 v20, 28, v43
	v_lshlrev_b64 v[20:21], v20, v[8:9]
	v_lshrrev_b32_e32 v42, 3, v19
	v_sub_u32_e32 v21, 29, v43
	v_cmp_gt_u32_e64 s[0:1], 8, v19
	v_cndmask_b32_e64 v19, v42, v21, s[0:1]
	v_and_b32_e32 v20, 7, v20
	v_lshlrev_b32_e32 v8, 8, v8
	v_lshl_add_u32 v19, v19, 10, v3
	v_cndmask_b32_e64 v20, v41, v20, s[0:1]
	v_and_or_b32 v8, v8, s23, v19
	v_lshl_or_b32 v8, v20, 7, v8
	v_cvt_f32_f16_e32 v20, v8
.LBB313_295:                            ;   in Loop: Header=BB313_235 Depth=1
	s_or_b64 exec, exec, s[18:19]
.LBB313_296:                            ;   in Loop: Header=BB313_235 Depth=1
	s_or_b64 exec, exec, s[16:17]
.LBB313_297:                            ;   in Loop: Header=BB313_235 Depth=1
	s_or_b64 exec, exec, s[12:13]
	v_lshrrev_b32_e32 v8, 16, v22
	v_cmp_ne_u16_sdwa s[0:1], v8, v9 src0_sel:BYTE_0 src1_sel:DWORD
	v_mov_b32_e32 v21, 0
	v_mov_b32_e32 v19, 0
	s_and_saveexec_b64 s[12:13], s[0:1]
	s_cbranch_execz .LBB313_303
; %bb.298:                              ;   in Loop: Header=BB313_235 Depth=1
	v_cmp_ne_u16_sdwa s[0:1], v8, s21 src0_sel:BYTE_0 src1_sel:DWORD
	v_bfrev_b32_e32 v19, 1
	s_and_saveexec_b64 s[16:17], s[0:1]
	s_cbranch_execz .LBB313_302
; %bb.299:                              ;   in Loop: Header=BB313_235 Depth=1
	v_bfe_u32 v41, v22, 16, 7
	v_cmp_ne_u32_e64 s[0:1], s22, v41
	v_mov_b32_e32 v19, 0x7fc02000
	s_and_saveexec_b64 s[18:19], s[0:1]
	s_cbranch_execz .LBB313_301
; %bb.300:                              ;   in Loop: Header=BB313_235 Depth=1
	v_and_b32_e32 v19, 7, v8
	v_ffbh_u32_e32 v42, v19
	v_min_u32_e32 v45, 32, v42
	v_subrev_u32_e32 v42, 28, v45
	v_lshlrev_b64 v[42:43], v42, v[8:9]
	v_lshrrev_b32_e32 v44, 3, v41
	v_sub_u32_e32 v43, 29, v45
	v_cmp_gt_u32_e64 s[0:1], 8, v41
	v_cndmask_b32_e64 v41, v44, v43, s[0:1]
	v_and_b32_e32 v42, 7, v42
	v_lshlrev_b32_e32 v8, 8, v8
	v_lshl_add_u32 v41, v41, 10, v3
	v_cndmask_b32_e64 v19, v19, v42, s[0:1]
	v_and_or_b32 v8, v8, s23, v41
	v_lshl_or_b32 v8, v19, 7, v8
	v_cvt_f32_f16_e32 v19, v8
.LBB313_301:                            ;   in Loop: Header=BB313_235 Depth=1
	s_or_b64 exec, exec, s[18:19]
.LBB313_302:                            ;   in Loop: Header=BB313_235 Depth=1
	s_or_b64 exec, exec, s[16:17]
.LBB313_303:                            ;   in Loop: Header=BB313_235 Depth=1
	s_or_b64 exec, exec, s[12:13]
	v_cmp_lt_u32_e64 s[0:1], s7, v22
	s_and_saveexec_b64 s[12:13], s[0:1]
	s_cbranch_execz .LBB313_309
; %bb.304:                              ;   in Loop: Header=BB313_235 Depth=1
	v_lshrrev_b32_e32 v8, 24, v22
	v_cmp_ne_u32_e64 s[0:1], s21, v8
	v_bfrev_b32_e32 v21, 1
	s_and_saveexec_b64 s[16:17], s[0:1]
	s_cbranch_execz .LBB313_308
; %bb.305:                              ;   in Loop: Header=BB313_235 Depth=1
	v_and_b32_e32 v41, 0x7f, v8
	v_cmp_ne_u32_e64 s[0:1], s22, v41
	v_mov_b32_e32 v21, 0x7fc02000
	s_and_saveexec_b64 s[18:19], s[0:1]
	s_cbranch_execz .LBB313_307
; %bb.306:                              ;   in Loop: Header=BB313_235 Depth=1
	v_and_b32_e32 v21, 7, v8
	v_ffbh_u32_e32 v42, v21
	v_min_u32_e32 v45, 32, v42
	v_subrev_u32_e32 v42, 28, v45
	v_lshlrev_b64 v[42:43], v42, v[8:9]
	v_lshrrev_b32_e32 v44, 3, v41
	v_sub_u32_e32 v43, 29, v45
	v_cmp_gt_u32_e64 s[0:1], 8, v41
	v_cndmask_b32_e64 v41, v44, v43, s[0:1]
	v_and_b32_e32 v42, 7, v42
	v_lshlrev_b32_e32 v8, 8, v8
	v_lshl_add_u32 v41, v41, 10, v3
	v_cndmask_b32_e64 v21, v21, v42, s[0:1]
	v_and_or_b32 v8, v8, s23, v41
	v_lshl_or_b32 v8, v21, 7, v8
	v_cvt_f32_f16_e32 v21, v8
.LBB313_307:                            ;   in Loop: Header=BB313_235 Depth=1
	s_or_b64 exec, exec, s[18:19]
.LBB313_308:                            ;   in Loop: Header=BB313_235 Depth=1
	s_or_b64 exec, exec, s[16:17]
.LBB313_309:                            ;   in Loop: Header=BB313_235 Depth=1
	s_or_b64 exec, exec, s[12:13]
	v_mov_b32_e32 v8, v23
	v_cmp_ne_u16_sdwa s[0:1], v23, v9 src0_sel:BYTE_0 src1_sel:DWORD
	v_mov_b32_e32 v42, 0
	v_mov_b32_e32 v41, 0
	s_and_saveexec_b64 s[12:13], s[0:1]
	s_cbranch_execz .LBB313_315
; %bb.310:                              ;   in Loop: Header=BB313_235 Depth=1
	v_cmp_ne_u16_sdwa s[0:1], v23, s21 src0_sel:BYTE_0 src1_sel:DWORD
	v_bfrev_b32_e32 v41, 1
	s_and_saveexec_b64 s[16:17], s[0:1]
	s_cbranch_execz .LBB313_314
; %bb.311:                              ;   in Loop: Header=BB313_235 Depth=1
	v_and_b32_e32 v43, 0x7f, v23
	v_cmp_ne_u32_e64 s[0:1], s22, v43
	v_mov_b32_e32 v41, 0x7fc02000
	s_and_saveexec_b64 s[18:19], s[0:1]
	s_cbranch_execz .LBB313_313
; %bb.312:                              ;   in Loop: Header=BB313_235 Depth=1
	v_and_b32_e32 v41, 7, v23
	v_ffbh_u32_e32 v41, v41
	v_min_u32_e32 v41, 32, v41
	v_subrev_u32_e32 v44, 28, v41
	v_cmp_gt_u32_e64 s[0:1], 8, v43
	v_lshrrev_b32_e32 v46, 3, v43
	v_sub_u32_e32 v41, 29, v41
	v_cndmask_b32_e64 v43, 0, v44, s[0:1]
	v_lshlrev_b64 v[44:45], v43, v[8:9]
	v_cndmask_b32_e64 v41, v46, v41, s[0:1]
	v_lshlrev_b32_e32 v43, 7, v44
	v_lshlrev_b32_e32 v44, 8, v23
	v_lshl_add_u32 v41, v41, 10, v3
	v_and_or_b32 v41, v44, s23, v41
	v_and_or_b32 v41, v43, s28, v41
	v_cvt_f32_f16_e32 v41, v41
.LBB313_313:                            ;   in Loop: Header=BB313_235 Depth=1
	s_or_b64 exec, exec, s[18:19]
.LBB313_314:                            ;   in Loop: Header=BB313_235 Depth=1
	s_or_b64 exec, exec, s[16:17]
.LBB313_315:                            ;   in Loop: Header=BB313_235 Depth=1
	s_or_b64 exec, exec, s[12:13]
	v_lshrrev_b16_e32 v8, 8, v8
	v_cmp_ne_u16_e64 s[0:1], 0, v8
	s_and_saveexec_b64 s[12:13], s[0:1]
	s_cbranch_execz .LBB313_321
; %bb.316:                              ;   in Loop: Header=BB313_235 Depth=1
	v_cmp_ne_u16_e64 s[0:1], s21, v8
	v_bfrev_b32_e32 v42, 1
	s_and_saveexec_b64 s[16:17], s[0:1]
	s_cbranch_execz .LBB313_320
; %bb.317:                              ;   in Loop: Header=BB313_235 Depth=1
	v_and_b32_e32 v43, 0x7f, v8
	v_cmp_ne_u32_e64 s[0:1], s22, v43
	v_mov_b32_e32 v42, 0x7fc02000
	s_and_saveexec_b64 s[18:19], s[0:1]
	s_cbranch_execz .LBB313_319
; %bb.318:                              ;   in Loop: Header=BB313_235 Depth=1
	v_and_b32_e32 v42, 7, v8
	v_ffbh_u32_e32 v44, v42
	v_min_u32_e32 v47, 32, v44
	v_subrev_u32_e32 v44, 28, v47
	v_lshlrev_b64 v[44:45], v44, v[8:9]
	v_lshrrev_b32_e32 v46, 3, v43
	v_sub_u32_e32 v45, 29, v47
	v_cmp_gt_u32_e64 s[0:1], 8, v43
	v_cndmask_b32_e64 v43, v46, v45, s[0:1]
	v_and_b32_e32 v44, 7, v44
	v_lshlrev_b32_e32 v8, 8, v8
	v_lshl_add_u32 v43, v43, 10, v3
	v_cndmask_b32_e64 v42, v42, v44, s[0:1]
	v_and_or_b32 v8, v8, s23, v43
	v_lshl_or_b32 v8, v42, 7, v8
	v_cvt_f32_f16_e32 v42, v8
.LBB313_319:                            ;   in Loop: Header=BB313_235 Depth=1
	s_or_b64 exec, exec, s[18:19]
.LBB313_320:                            ;   in Loop: Header=BB313_235 Depth=1
	s_or_b64 exec, exec, s[16:17]
.LBB313_321:                            ;   in Loop: Header=BB313_235 Depth=1
	s_or_b64 exec, exec, s[12:13]
	v_lshrrev_b32_e32 v8, 16, v23
	v_cmp_ne_u16_sdwa s[0:1], v8, v9 src0_sel:BYTE_0 src1_sel:DWORD
	v_mov_b32_e32 v43, 0
	v_mov_b32_e32 v44, 0
	s_and_saveexec_b64 s[12:13], s[0:1]
	s_cbranch_execz .LBB313_327
; %bb.322:                              ;   in Loop: Header=BB313_235 Depth=1
	v_cmp_ne_u16_sdwa s[0:1], v8, s21 src0_sel:BYTE_0 src1_sel:DWORD
	v_bfrev_b32_e32 v44, 1
	s_and_saveexec_b64 s[16:17], s[0:1]
	s_cbranch_execz .LBB313_326
; %bb.323:                              ;   in Loop: Header=BB313_235 Depth=1
	v_bfe_u32 v45, v23, 16, 7
	v_cmp_ne_u32_e64 s[0:1], s22, v45
	v_mov_b32_e32 v44, 0x7fc02000
	s_and_saveexec_b64 s[18:19], s[0:1]
	s_cbranch_execz .LBB313_325
; %bb.324:                              ;   in Loop: Header=BB313_235 Depth=1
	v_and_b32_e32 v44, 7, v8
	v_ffbh_u32_e32 v46, v44
	v_min_u32_e32 v49, 32, v46
	v_subrev_u32_e32 v46, 28, v49
	v_lshlrev_b64 v[46:47], v46, v[8:9]
	v_lshrrev_b32_e32 v48, 3, v45
	v_sub_u32_e32 v47, 29, v49
	v_cmp_gt_u32_e64 s[0:1], 8, v45
	v_cndmask_b32_e64 v45, v48, v47, s[0:1]
	v_and_b32_e32 v46, 7, v46
	v_lshlrev_b32_e32 v8, 8, v8
	v_lshl_add_u32 v45, v45, 10, v3
	v_cndmask_b32_e64 v44, v44, v46, s[0:1]
	v_and_or_b32 v8, v8, s23, v45
	v_lshl_or_b32 v8, v44, 7, v8
	v_cvt_f32_f16_e32 v44, v8
.LBB313_325:                            ;   in Loop: Header=BB313_235 Depth=1
	s_or_b64 exec, exec, s[18:19]
.LBB313_326:                            ;   in Loop: Header=BB313_235 Depth=1
	s_or_b64 exec, exec, s[16:17]
.LBB313_327:                            ;   in Loop: Header=BB313_235 Depth=1
	s_or_b64 exec, exec, s[12:13]
	v_cmp_lt_u64_e64 s[0:1], s[6:7], v[22:23]
	s_and_saveexec_b64 s[12:13], s[0:1]
	s_cbranch_execz .LBB313_333
; %bb.328:                              ;   in Loop: Header=BB313_235 Depth=1
	v_lshrrev_b32_e32 v8, 24, v23
	v_cmp_ne_u32_e64 s[0:1], s21, v8
	v_bfrev_b32_e32 v43, 1
	s_and_saveexec_b64 s[16:17], s[0:1]
	s_cbranch_execz .LBB313_332
; %bb.329:                              ;   in Loop: Header=BB313_235 Depth=1
	v_and_b32_e32 v22, 0x7f, v8
	v_cmp_ne_u32_e64 s[0:1], s22, v22
	v_mov_b32_e32 v43, 0x7fc02000
	s_and_saveexec_b64 s[18:19], s[0:1]
	s_cbranch_execz .LBB313_331
; %bb.330:                              ;   in Loop: Header=BB313_235 Depth=1
	v_and_b32_e32 v23, 7, v8
	v_ffbh_u32_e32 v45, v23
	v_min_u32_e32 v45, 32, v45
	v_lshrrev_b32_e32 v43, 3, v22
	v_subrev_u32_e32 v46, 28, v45
	v_sub_u32_e32 v45, 29, v45
	v_cmp_gt_u32_e64 s[0:1], 8, v22
	v_lshlrev_b64 v[46:47], v46, v[8:9]
	v_cndmask_b32_e64 v22, v43, v45, s[0:1]
	v_and_b32_e32 v46, 7, v46
	v_lshlrev_b32_e32 v8, 8, v8
	v_lshl_add_u32 v22, v22, 10, v3
	v_cndmask_b32_e64 v23, v23, v46, s[0:1]
	v_and_or_b32 v8, v8, s23, v22
	v_lshl_or_b32 v8, v23, 7, v8
	v_cvt_f32_f16_e32 v43, v8
.LBB313_331:                            ;   in Loop: Header=BB313_235 Depth=1
	s_or_b64 exec, exec, s[18:19]
.LBB313_332:                            ;   in Loop: Header=BB313_235 Depth=1
	s_or_b64 exec, exec, s[16:17]
.LBB313_333:                            ;   in Loop: Header=BB313_235 Depth=1
	s_or_b64 exec, exec, s[12:13]
	s_waitcnt vmcnt(0)
	v_pk_mul_f32 v[20:21], v[16:17], v[20:21] op_sel_hi:[0,1]
	v_pk_mul_f32 v[18:19], v[16:17], v[18:19] op_sel_hi:[0,1]
	v_cvt_f16_f32_e32 v8, v21
	v_cvt_f16_f32_e32 v20, v20
	;; [unrolled: 1-line block ×4, first 2 shown]
	v_pack_b32_f16 v20, v20, v8
	v_pack_b32_f16 v18, v18, v19
	v_fma_mixlo_f16 v19, v16, v42, 0
	v_perm_b32 v8, v18, v20, s30
	v_perm_b32 v18, v18, v20, s31
	v_lshlrev_b32_e32 v19, 16, v19
	v_fma_mixlo_f16 v20, v16, v41, 0
	v_or_b32_sdwa v19, v19, v20 dst_sel:DWORD dst_unused:UNUSED_PAD src0_sel:DWORD src1_sel:WORD_0
	v_fma_mixlo_f16 v20, v16, v44, 0
	v_fma_mixlo_f16 v16, v16, v43, 0
	v_lshlrev_b32_e32 v16, 16, v16
	v_or_b32_sdwa v16, v16, v20 dst_sel:DWORD dst_unused:UNUSED_PAD src0_sel:DWORD src1_sel:WORD_0
	s_and_saveexec_b64 s[12:13], vcc
	s_cbranch_execz .LBB313_335
; %bb.334:                              ;   in Loop: Header=BB313_235 Depth=1
	v_lshrrev_b32_e32 v21, 16, v18
	v_cmp_gt_i32_e64 s[0:1], s20, v34
	v_cndmask_b32_e64 v21, 0, v21, s[0:1]
	v_cmp_gt_i32_e64 s[0:1], s29, v1
	v_cndmask_b32_e64 v18, 0, v18, s[0:1]
	v_perm_b32 v18, v21, v18, s34
	v_lshrrev_b32_e32 v21, 16, v8
	v_cmp_gt_i32_e64 s[0:1], s20, v33
	v_cndmask_b32_e64 v21, 0, v21, s[0:1]
	v_cmp_gt_i32_e64 s[0:1], s29, v32
	v_cndmask_b32_e64 v8, 0, v8, s[0:1]
	v_perm_b32 v8, v21, v8, s34
	v_lshrrev_b32_e32 v21, 16, v19
	v_cmp_gt_i32_e64 s[0:1], s20, v31
	v_cndmask_b32_e64 v21, 0, v21, s[0:1]
	v_cmp_gt_i32_e64 s[0:1], s29, v30
	v_cndmask_b32_e64 v19, 0, v19, s[0:1]
	v_lshrrev_b32_e32 v16, 16, v16
	v_cmp_gt_i32_e64 s[0:1], s20, v29
	v_cndmask_b32_e64 v16, 0, v16, s[0:1]
	v_cmp_gt_i32_e64 s[0:1], s29, v28
	v_cndmask_b32_e64 v20, 0, v20, s[0:1]
	v_perm_b32 v19, v21, v19, s34
	v_perm_b32 v16, v16, v20, s34
.LBB313_335:                            ;   in Loop: Header=BB313_235 Depth=1
	s_or_b64 exec, exec, s[12:13]
	;;#ASMSTART
	v_pk_mul_f16 v18, v35, v18;

	;;#ASMEND
	;;#ASMSTART
	v_pk_mul_f16 v8, v36, v8;

	;;#ASMEND
	;; [unrolled: 4-line block ×4, first 2 shown]
	;;#ASMSTART
	v_pk_add_f16 v8, v18, v8;

	;;#ASMEND
	;;#ASMSTART
	v_pk_add_f16 v8, v8, v19;

	;;#ASMEND
	;; [unrolled: 4-line block ×3, first 2 shown]
	v_lshrrev_b32_e32 v16, 16, v8
	v_and_b32_e32 v8, 0xffff, v8
	;;#ASMSTART
	v_cvt_f32_f16 v41, v8;
	;;#ASMEND
	;;#ASMSTART
	v_cvt_f32_f16 v42, v16;
	;;#ASMEND
	global_load_dwordx2 v[22:23], v[14:15], off offset:1024
	global_load_dword v16, v9, s[14:15]
	v_mov_b32_e32 v20, 0
	v_mov_b32_e32 v18, 0
	s_waitcnt vmcnt(1)
	v_cmp_ne_u16_sdwa s[0:1], v22, v9 src0_sel:BYTE_0 src1_sel:DWORD
	s_and_saveexec_b64 s[12:13], s[0:1]
	s_cbranch_execz .LBB313_341
; %bb.336:                              ;   in Loop: Header=BB313_235 Depth=1
	v_cmp_ne_u16_sdwa s[0:1], v22, s21 src0_sel:BYTE_0 src1_sel:DWORD
	v_bfrev_b32_e32 v18, 1
	s_and_saveexec_b64 s[16:17], s[0:1]
	s_cbranch_execz .LBB313_340
; %bb.337:                              ;   in Loop: Header=BB313_235 Depth=1
	v_and_b32_e32 v8, 0x7f, v22
	v_cmp_ne_u32_e64 s[0:1], s22, v8
	v_mov_b32_e32 v18, 0x7fc02000
	s_and_saveexec_b64 s[18:19], s[0:1]
	s_cbranch_execz .LBB313_339
; %bb.338:                              ;   in Loop: Header=BB313_235 Depth=1
	v_and_b32_e32 v18, 7, v22
	v_ffbh_u32_e32 v18, v18
	v_min_u32_e32 v18, 32, v18
	v_subrev_u32_e32 v19, 28, v18
	v_cmp_gt_u32_e64 s[0:1], 8, v8
	v_lshrrev_b32_e32 v21, 3, v8
	v_sub_u32_e32 v43, 29, v18
	v_cndmask_b32_e64 v8, 0, v19, s[0:1]
	v_lshlrev_b64 v[18:19], v8, v[22:23]
	v_cndmask_b32_e64 v8, v21, v43, s[0:1]
	v_lshlrev_b32_e32 v19, 8, v22
	v_lshl_add_u32 v8, v8, 10, v3
	v_lshlrev_b32_e32 v18, 7, v18
	v_and_or_b32 v8, v19, s23, v8
	v_and_or_b32 v8, v18, s28, v8
	v_cvt_f32_f16_e32 v18, v8
.LBB313_339:                            ;   in Loop: Header=BB313_235 Depth=1
	s_or_b64 exec, exec, s[18:19]
.LBB313_340:                            ;   in Loop: Header=BB313_235 Depth=1
	s_or_b64 exec, exec, s[16:17]
.LBB313_341:                            ;   in Loop: Header=BB313_235 Depth=1
	s_or_b64 exec, exec, s[12:13]
	v_lshrrev_b16_e32 v8, 8, v22
	v_cmp_ne_u16_e64 s[0:1], 0, v8
	s_and_saveexec_b64 s[12:13], s[0:1]
	s_cbranch_execz .LBB313_347
; %bb.342:                              ;   in Loop: Header=BB313_235 Depth=1
	v_cmp_ne_u16_e64 s[0:1], s21, v8
	v_bfrev_b32_e32 v20, 1
	s_and_saveexec_b64 s[16:17], s[0:1]
	s_cbranch_execz .LBB313_346
; %bb.343:                              ;   in Loop: Header=BB313_235 Depth=1
	v_and_b32_e32 v19, 0x7f, v8
	v_cmp_ne_u32_e64 s[0:1], s22, v19
	v_mov_b32_e32 v20, 0x7fc02000
	s_and_saveexec_b64 s[18:19], s[0:1]
	s_cbranch_execz .LBB313_345
; %bb.344:                              ;   in Loop: Header=BB313_235 Depth=1
	v_and_b32_e32 v43, 7, v8
	v_ffbh_u32_e32 v20, v43
	v_min_u32_e32 v45, 32, v20
	v_subrev_u32_e32 v20, 28, v45
	v_lshlrev_b64 v[20:21], v20, v[8:9]
	v_lshrrev_b32_e32 v44, 3, v19
	v_sub_u32_e32 v21, 29, v45
	v_cmp_gt_u32_e64 s[0:1], 8, v19
	v_cndmask_b32_e64 v19, v44, v21, s[0:1]
	v_and_b32_e32 v20, 7, v20
	v_lshlrev_b32_e32 v8, 8, v8
	v_lshl_add_u32 v19, v19, 10, v3
	v_cndmask_b32_e64 v20, v43, v20, s[0:1]
	v_and_or_b32 v8, v8, s23, v19
	v_lshl_or_b32 v8, v20, 7, v8
	v_cvt_f32_f16_e32 v20, v8
.LBB313_345:                            ;   in Loop: Header=BB313_235 Depth=1
	s_or_b64 exec, exec, s[18:19]
.LBB313_346:                            ;   in Loop: Header=BB313_235 Depth=1
	s_or_b64 exec, exec, s[16:17]
.LBB313_347:                            ;   in Loop: Header=BB313_235 Depth=1
	s_or_b64 exec, exec, s[12:13]
	v_lshrrev_b32_e32 v8, 16, v22
	v_cmp_ne_u16_sdwa s[0:1], v8, v9 src0_sel:BYTE_0 src1_sel:DWORD
	v_mov_b32_e32 v21, 0
	v_mov_b32_e32 v19, 0
	s_and_saveexec_b64 s[12:13], s[0:1]
	s_cbranch_execz .LBB313_353
; %bb.348:                              ;   in Loop: Header=BB313_235 Depth=1
	v_cmp_ne_u16_sdwa s[0:1], v8, s21 src0_sel:BYTE_0 src1_sel:DWORD
	v_bfrev_b32_e32 v19, 1
	s_and_saveexec_b64 s[16:17], s[0:1]
	s_cbranch_execz .LBB313_352
; %bb.349:                              ;   in Loop: Header=BB313_235 Depth=1
	v_bfe_u32 v43, v22, 16, 7
	v_cmp_ne_u32_e64 s[0:1], s22, v43
	v_mov_b32_e32 v19, 0x7fc02000
	s_and_saveexec_b64 s[18:19], s[0:1]
	s_cbranch_execz .LBB313_351
; %bb.350:                              ;   in Loop: Header=BB313_235 Depth=1
	v_and_b32_e32 v19, 7, v8
	v_ffbh_u32_e32 v44, v19
	v_min_u32_e32 v47, 32, v44
	v_subrev_u32_e32 v44, 28, v47
	v_lshlrev_b64 v[44:45], v44, v[8:9]
	v_lshrrev_b32_e32 v46, 3, v43
	v_sub_u32_e32 v45, 29, v47
	v_cmp_gt_u32_e64 s[0:1], 8, v43
	v_cndmask_b32_e64 v43, v46, v45, s[0:1]
	v_and_b32_e32 v44, 7, v44
	v_lshlrev_b32_e32 v8, 8, v8
	v_lshl_add_u32 v43, v43, 10, v3
	v_cndmask_b32_e64 v19, v19, v44, s[0:1]
	v_and_or_b32 v8, v8, s23, v43
	v_lshl_or_b32 v8, v19, 7, v8
	v_cvt_f32_f16_e32 v19, v8
.LBB313_351:                            ;   in Loop: Header=BB313_235 Depth=1
	s_or_b64 exec, exec, s[18:19]
.LBB313_352:                            ;   in Loop: Header=BB313_235 Depth=1
	s_or_b64 exec, exec, s[16:17]
.LBB313_353:                            ;   in Loop: Header=BB313_235 Depth=1
	s_or_b64 exec, exec, s[12:13]
	v_cmp_lt_u32_e64 s[0:1], s7, v22
	s_and_saveexec_b64 s[12:13], s[0:1]
	s_cbranch_execz .LBB313_359
; %bb.354:                              ;   in Loop: Header=BB313_235 Depth=1
	v_lshrrev_b32_e32 v8, 24, v22
	v_cmp_ne_u32_e64 s[0:1], s21, v8
	v_bfrev_b32_e32 v21, 1
	s_and_saveexec_b64 s[16:17], s[0:1]
	s_cbranch_execz .LBB313_358
; %bb.355:                              ;   in Loop: Header=BB313_235 Depth=1
	v_and_b32_e32 v43, 0x7f, v8
	v_cmp_ne_u32_e64 s[0:1], s22, v43
	v_mov_b32_e32 v21, 0x7fc02000
	s_and_saveexec_b64 s[18:19], s[0:1]
	s_cbranch_execz .LBB313_357
; %bb.356:                              ;   in Loop: Header=BB313_235 Depth=1
	v_and_b32_e32 v21, 7, v8
	v_ffbh_u32_e32 v44, v21
	v_min_u32_e32 v47, 32, v44
	v_subrev_u32_e32 v44, 28, v47
	v_lshlrev_b64 v[44:45], v44, v[8:9]
	v_lshrrev_b32_e32 v46, 3, v43
	v_sub_u32_e32 v45, 29, v47
	v_cmp_gt_u32_e64 s[0:1], 8, v43
	v_cndmask_b32_e64 v43, v46, v45, s[0:1]
	v_and_b32_e32 v44, 7, v44
	v_lshlrev_b32_e32 v8, 8, v8
	v_lshl_add_u32 v43, v43, 10, v3
	v_cndmask_b32_e64 v21, v21, v44, s[0:1]
	v_and_or_b32 v8, v8, s23, v43
	v_lshl_or_b32 v8, v21, 7, v8
	v_cvt_f32_f16_e32 v21, v8
.LBB313_357:                            ;   in Loop: Header=BB313_235 Depth=1
	s_or_b64 exec, exec, s[18:19]
.LBB313_358:                            ;   in Loop: Header=BB313_235 Depth=1
	s_or_b64 exec, exec, s[16:17]
.LBB313_359:                            ;   in Loop: Header=BB313_235 Depth=1
	s_or_b64 exec, exec, s[12:13]
	v_mov_b32_e32 v8, v23
	v_cmp_ne_u16_sdwa s[0:1], v23, v9 src0_sel:BYTE_0 src1_sel:DWORD
	v_mov_b32_e32 v44, 0
	v_mov_b32_e32 v43, 0
	s_and_saveexec_b64 s[12:13], s[0:1]
	s_cbranch_execz .LBB313_365
; %bb.360:                              ;   in Loop: Header=BB313_235 Depth=1
	v_cmp_ne_u16_sdwa s[0:1], v23, s21 src0_sel:BYTE_0 src1_sel:DWORD
	v_bfrev_b32_e32 v43, 1
	s_and_saveexec_b64 s[16:17], s[0:1]
	s_cbranch_execz .LBB313_364
; %bb.361:                              ;   in Loop: Header=BB313_235 Depth=1
	v_and_b32_e32 v45, 0x7f, v23
	v_cmp_ne_u32_e64 s[0:1], s22, v45
	v_mov_b32_e32 v43, 0x7fc02000
	s_and_saveexec_b64 s[18:19], s[0:1]
	s_cbranch_execz .LBB313_363
; %bb.362:                              ;   in Loop: Header=BB313_235 Depth=1
	v_and_b32_e32 v43, 7, v23
	v_ffbh_u32_e32 v43, v43
	v_min_u32_e32 v43, 32, v43
	v_subrev_u32_e32 v46, 28, v43
	v_cmp_gt_u32_e64 s[0:1], 8, v45
	v_lshrrev_b32_e32 v48, 3, v45
	v_sub_u32_e32 v43, 29, v43
	v_cndmask_b32_e64 v45, 0, v46, s[0:1]
	v_lshlrev_b64 v[46:47], v45, v[8:9]
	v_cndmask_b32_e64 v43, v48, v43, s[0:1]
	v_lshlrev_b32_e32 v45, 7, v46
	v_lshlrev_b32_e32 v46, 8, v23
	v_lshl_add_u32 v43, v43, 10, v3
	v_and_or_b32 v43, v46, s23, v43
	v_and_or_b32 v43, v45, s28, v43
	v_cvt_f32_f16_e32 v43, v43
.LBB313_363:                            ;   in Loop: Header=BB313_235 Depth=1
	s_or_b64 exec, exec, s[18:19]
.LBB313_364:                            ;   in Loop: Header=BB313_235 Depth=1
	s_or_b64 exec, exec, s[16:17]
.LBB313_365:                            ;   in Loop: Header=BB313_235 Depth=1
	s_or_b64 exec, exec, s[12:13]
	v_lshrrev_b16_e32 v8, 8, v8
	v_cmp_ne_u16_e64 s[0:1], 0, v8
	s_and_saveexec_b64 s[12:13], s[0:1]
	s_cbranch_execz .LBB313_371
; %bb.366:                              ;   in Loop: Header=BB313_235 Depth=1
	v_cmp_ne_u16_e64 s[0:1], s21, v8
	v_bfrev_b32_e32 v44, 1
	s_and_saveexec_b64 s[16:17], s[0:1]
	s_cbranch_execz .LBB313_370
; %bb.367:                              ;   in Loop: Header=BB313_235 Depth=1
	v_and_b32_e32 v45, 0x7f, v8
	v_cmp_ne_u32_e64 s[0:1], s22, v45
	v_mov_b32_e32 v44, 0x7fc02000
	s_and_saveexec_b64 s[18:19], s[0:1]
	s_cbranch_execz .LBB313_369
; %bb.368:                              ;   in Loop: Header=BB313_235 Depth=1
	v_and_b32_e32 v44, 7, v8
	v_ffbh_u32_e32 v46, v44
	v_min_u32_e32 v49, 32, v46
	v_subrev_u32_e32 v46, 28, v49
	v_lshlrev_b64 v[46:47], v46, v[8:9]
	v_lshrrev_b32_e32 v48, 3, v45
	v_sub_u32_e32 v47, 29, v49
	v_cmp_gt_u32_e64 s[0:1], 8, v45
	v_cndmask_b32_e64 v45, v48, v47, s[0:1]
	v_and_b32_e32 v46, 7, v46
	v_lshlrev_b32_e32 v8, 8, v8
	v_lshl_add_u32 v45, v45, 10, v3
	v_cndmask_b32_e64 v44, v44, v46, s[0:1]
	v_and_or_b32 v8, v8, s23, v45
	v_lshl_or_b32 v8, v44, 7, v8
	v_cvt_f32_f16_e32 v44, v8
.LBB313_369:                            ;   in Loop: Header=BB313_235 Depth=1
	s_or_b64 exec, exec, s[18:19]
.LBB313_370:                            ;   in Loop: Header=BB313_235 Depth=1
	s_or_b64 exec, exec, s[16:17]
.LBB313_371:                            ;   in Loop: Header=BB313_235 Depth=1
	s_or_b64 exec, exec, s[12:13]
	v_lshrrev_b32_e32 v8, 16, v23
	v_cmp_ne_u16_sdwa s[0:1], v8, v9 src0_sel:BYTE_0 src1_sel:DWORD
	v_mov_b32_e32 v45, 0
	v_mov_b32_e32 v46, 0
	s_and_saveexec_b64 s[12:13], s[0:1]
	s_cbranch_execz .LBB313_377
; %bb.372:                              ;   in Loop: Header=BB313_235 Depth=1
	v_cmp_ne_u16_sdwa s[0:1], v8, s21 src0_sel:BYTE_0 src1_sel:DWORD
	v_bfrev_b32_e32 v46, 1
	s_and_saveexec_b64 s[16:17], s[0:1]
	s_cbranch_execz .LBB313_376
; %bb.373:                              ;   in Loop: Header=BB313_235 Depth=1
	v_bfe_u32 v47, v23, 16, 7
	v_cmp_ne_u32_e64 s[0:1], s22, v47
	v_mov_b32_e32 v46, 0x7fc02000
	s_and_saveexec_b64 s[18:19], s[0:1]
	s_cbranch_execz .LBB313_375
; %bb.374:                              ;   in Loop: Header=BB313_235 Depth=1
	v_and_b32_e32 v46, 7, v8
	v_ffbh_u32_e32 v48, v46
	v_min_u32_e32 v51, 32, v48
	v_subrev_u32_e32 v48, 28, v51
	v_lshlrev_b64 v[48:49], v48, v[8:9]
	v_lshrrev_b32_e32 v50, 3, v47
	v_sub_u32_e32 v49, 29, v51
	v_cmp_gt_u32_e64 s[0:1], 8, v47
	v_cndmask_b32_e64 v47, v50, v49, s[0:1]
	v_and_b32_e32 v48, 7, v48
	v_lshlrev_b32_e32 v8, 8, v8
	v_lshl_add_u32 v47, v47, 10, v3
	v_cndmask_b32_e64 v46, v46, v48, s[0:1]
	v_and_or_b32 v8, v8, s23, v47
	v_lshl_or_b32 v8, v46, 7, v8
	v_cvt_f32_f16_e32 v46, v8
.LBB313_375:                            ;   in Loop: Header=BB313_235 Depth=1
	s_or_b64 exec, exec, s[18:19]
.LBB313_376:                            ;   in Loop: Header=BB313_235 Depth=1
	s_or_b64 exec, exec, s[16:17]
.LBB313_377:                            ;   in Loop: Header=BB313_235 Depth=1
	s_or_b64 exec, exec, s[12:13]
	v_cmp_lt_u64_e64 s[0:1], s[6:7], v[22:23]
	s_and_saveexec_b64 s[12:13], s[0:1]
	s_cbranch_execz .LBB313_383
; %bb.378:                              ;   in Loop: Header=BB313_235 Depth=1
	v_lshrrev_b32_e32 v8, 24, v23
	v_cmp_ne_u32_e64 s[0:1], s21, v8
	v_bfrev_b32_e32 v45, 1
	s_and_saveexec_b64 s[16:17], s[0:1]
	s_cbranch_execz .LBB313_382
; %bb.379:                              ;   in Loop: Header=BB313_235 Depth=1
	v_and_b32_e32 v22, 0x7f, v8
	v_cmp_ne_u32_e64 s[0:1], s22, v22
	v_mov_b32_e32 v45, 0x7fc02000
	s_and_saveexec_b64 s[18:19], s[0:1]
	s_cbranch_execz .LBB313_381
; %bb.380:                              ;   in Loop: Header=BB313_235 Depth=1
	v_and_b32_e32 v23, 7, v8
	v_ffbh_u32_e32 v47, v23
	v_min_u32_e32 v47, 32, v47
	v_lshrrev_b32_e32 v45, 3, v22
	v_subrev_u32_e32 v48, 28, v47
	v_sub_u32_e32 v47, 29, v47
	v_cmp_gt_u32_e64 s[0:1], 8, v22
	v_lshlrev_b64 v[48:49], v48, v[8:9]
	v_cndmask_b32_e64 v22, v45, v47, s[0:1]
	v_and_b32_e32 v48, 7, v48
	v_lshlrev_b32_e32 v8, 8, v8
	v_lshl_add_u32 v22, v22, 10, v3
	v_cndmask_b32_e64 v23, v23, v48, s[0:1]
	v_and_or_b32 v8, v8, s23, v22
	v_lshl_or_b32 v8, v23, 7, v8
	v_cvt_f32_f16_e32 v45, v8
.LBB313_381:                            ;   in Loop: Header=BB313_235 Depth=1
	s_or_b64 exec, exec, s[18:19]
.LBB313_382:                            ;   in Loop: Header=BB313_235 Depth=1
	s_or_b64 exec, exec, s[16:17]
.LBB313_383:                            ;   in Loop: Header=BB313_235 Depth=1
	s_or_b64 exec, exec, s[12:13]
	s_waitcnt vmcnt(0)
	v_pk_mul_f32 v[20:21], v[16:17], v[20:21] op_sel_hi:[0,1]
	v_pk_mul_f32 v[18:19], v[16:17], v[18:19] op_sel_hi:[0,1]
	v_cvt_f16_f32_e32 v8, v21
	v_cvt_f16_f32_e32 v20, v20
	v_cvt_f16_f32_e32 v19, v19
	v_cvt_f16_f32_e32 v18, v18
	v_pack_b32_f16 v20, v20, v8
	v_pack_b32_f16 v18, v18, v19
	v_fma_mixlo_f16 v19, v16, v44, 0
	v_perm_b32 v8, v18, v20, s30
	v_perm_b32 v18, v18, v20, s31
	v_lshlrev_b32_e32 v19, 16, v19
	v_fma_mixlo_f16 v20, v16, v43, 0
	v_or_b32_sdwa v19, v19, v20 dst_sel:DWORD dst_unused:UNUSED_PAD src0_sel:DWORD src1_sel:WORD_0
	v_fma_mixlo_f16 v20, v16, v46, 0
	v_fma_mixlo_f16 v16, v16, v45, 0
	v_lshlrev_b32_e32 v16, 16, v16
	v_or_b32_sdwa v16, v16, v20 dst_sel:DWORD dst_unused:UNUSED_PAD src0_sel:DWORD src1_sel:WORD_0
	s_and_saveexec_b64 s[12:13], vcc
	s_cbranch_execz .LBB313_385
; %bb.384:                              ;   in Loop: Header=BB313_235 Depth=1
	v_lshrrev_b32_e32 v21, 16, v18
	v_cmp_gt_i32_e64 s[0:1], s20, v34
	v_cndmask_b32_e64 v21, 0, v21, s[0:1]
	v_cmp_gt_i32_e64 s[0:1], s29, v1
	v_cndmask_b32_e64 v18, 0, v18, s[0:1]
	v_perm_b32 v18, v21, v18, s34
	v_lshrrev_b32_e32 v21, 16, v8
	v_cmp_gt_i32_e64 s[0:1], s20, v33
	v_cndmask_b32_e64 v21, 0, v21, s[0:1]
	v_cmp_gt_i32_e64 s[0:1], s29, v32
	v_cndmask_b32_e64 v8, 0, v8, s[0:1]
	v_perm_b32 v8, v21, v8, s34
	v_lshrrev_b32_e32 v21, 16, v19
	v_cmp_gt_i32_e64 s[0:1], s20, v31
	v_cndmask_b32_e64 v21, 0, v21, s[0:1]
	v_cmp_gt_i32_e64 s[0:1], s29, v30
	v_cndmask_b32_e64 v19, 0, v19, s[0:1]
	v_lshrrev_b32_e32 v16, 16, v16
	v_cmp_gt_i32_e64 s[0:1], s20, v29
	v_cndmask_b32_e64 v16, 0, v16, s[0:1]
	v_cmp_gt_i32_e64 s[0:1], s29, v28
	v_cndmask_b32_e64 v20, 0, v20, s[0:1]
	v_perm_b32 v19, v21, v19, s34
	v_perm_b32 v16, v16, v20, s34
.LBB313_385:                            ;   in Loop: Header=BB313_235 Depth=1
	s_or_b64 exec, exec, s[12:13]
	;;#ASMSTART
	v_pk_mul_f16 v18, v35, v18;

	;;#ASMEND
	;;#ASMSTART
	v_pk_mul_f16 v8, v36, v8;

	;;#ASMEND
	;; [unrolled: 4-line block ×4, first 2 shown]
	;;#ASMSTART
	v_pk_add_f16 v8, v18, v8;

	;;#ASMEND
	;;#ASMSTART
	v_pk_add_f16 v8, v8, v19;

	;;#ASMEND
	;; [unrolled: 4-line block ×3, first 2 shown]
	v_lshrrev_b32_e32 v16, 16, v8
	v_and_b32_e32 v8, 0xffff, v8
	;;#ASMSTART
	v_cvt_f32_f16 v22, v8;
	;;#ASMEND
	;;#ASMSTART
	v_cvt_f32_f16 v23, v16;
	;;#ASMEND
	global_load_dwordx2 v[20:21], v[14:15], off offset:1536
	global_load_dword v16, v9, s[14:15]
	v_mov_b32_e32 v18, 0
	v_mov_b32_e32 v14, 0
	s_waitcnt vmcnt(1)
	v_cmp_ne_u16_sdwa s[0:1], v20, v9 src0_sel:BYTE_0 src1_sel:DWORD
	s_and_saveexec_b64 s[12:13], s[0:1]
	s_cbranch_execz .LBB313_391
; %bb.386:                              ;   in Loop: Header=BB313_235 Depth=1
	v_cmp_ne_u16_sdwa s[0:1], v20, s21 src0_sel:BYTE_0 src1_sel:DWORD
	v_bfrev_b32_e32 v14, 1
	s_and_saveexec_b64 s[16:17], s[0:1]
	s_cbranch_execz .LBB313_390
; %bb.387:                              ;   in Loop: Header=BB313_235 Depth=1
	v_and_b32_e32 v8, 0x7f, v20
	v_cmp_ne_u32_e64 s[0:1], s22, v8
	v_mov_b32_e32 v14, 0x7fc02000
	s_and_saveexec_b64 s[18:19], s[0:1]
	s_cbranch_execz .LBB313_389
; %bb.388:                              ;   in Loop: Header=BB313_235 Depth=1
	v_and_b32_e32 v14, 7, v20
	v_ffbh_u32_e32 v14, v14
	v_min_u32_e32 v14, 32, v14
	v_subrev_u32_e32 v15, 28, v14
	v_cmp_gt_u32_e64 s[0:1], 8, v8
	v_lshrrev_b32_e32 v19, 3, v8
	v_sub_u32_e32 v43, 29, v14
	v_cndmask_b32_e64 v8, 0, v15, s[0:1]
	v_lshlrev_b64 v[14:15], v8, v[20:21]
	v_cndmask_b32_e64 v8, v19, v43, s[0:1]
	v_lshlrev_b32_e32 v15, 8, v20
	v_lshl_add_u32 v8, v8, 10, v3
	v_lshlrev_b32_e32 v14, 7, v14
	v_and_or_b32 v8, v15, s23, v8
	v_and_or_b32 v8, v14, s28, v8
	v_cvt_f32_f16_e32 v14, v8
.LBB313_389:                            ;   in Loop: Header=BB313_235 Depth=1
	s_or_b64 exec, exec, s[18:19]
.LBB313_390:                            ;   in Loop: Header=BB313_235 Depth=1
	s_or_b64 exec, exec, s[16:17]
.LBB313_391:                            ;   in Loop: Header=BB313_235 Depth=1
	s_or_b64 exec, exec, s[12:13]
	v_lshrrev_b16_e32 v8, 8, v20
	v_cmp_ne_u16_e64 s[0:1], 0, v8
	s_and_saveexec_b64 s[12:13], s[0:1]
	s_cbranch_execz .LBB313_397
; %bb.392:                              ;   in Loop: Header=BB313_235 Depth=1
	v_cmp_ne_u16_e64 s[0:1], s21, v8
	v_bfrev_b32_e32 v18, 1
	s_and_saveexec_b64 s[16:17], s[0:1]
	s_cbranch_execz .LBB313_396
; %bb.393:                              ;   in Loop: Header=BB313_235 Depth=1
	v_and_b32_e32 v15, 0x7f, v8
	v_cmp_ne_u32_e64 s[0:1], s22, v15
	v_mov_b32_e32 v18, 0x7fc02000
	s_and_saveexec_b64 s[18:19], s[0:1]
	s_cbranch_execz .LBB313_395
; %bb.394:                              ;   in Loop: Header=BB313_235 Depth=1
	v_and_b32_e32 v43, 7, v8
	v_ffbh_u32_e32 v18, v43
	v_min_u32_e32 v45, 32, v18
	v_subrev_u32_e32 v18, 28, v45
	v_lshlrev_b64 v[18:19], v18, v[8:9]
	v_lshrrev_b32_e32 v44, 3, v15
	v_sub_u32_e32 v19, 29, v45
	v_cmp_gt_u32_e64 s[0:1], 8, v15
	v_cndmask_b32_e64 v15, v44, v19, s[0:1]
	v_and_b32_e32 v18, 7, v18
	v_lshlrev_b32_e32 v8, 8, v8
	v_lshl_add_u32 v15, v15, 10, v3
	v_cndmask_b32_e64 v18, v43, v18, s[0:1]
	v_and_or_b32 v8, v8, s23, v15
	v_lshl_or_b32 v8, v18, 7, v8
	v_cvt_f32_f16_e32 v18, v8
.LBB313_395:                            ;   in Loop: Header=BB313_235 Depth=1
	s_or_b64 exec, exec, s[18:19]
.LBB313_396:                            ;   in Loop: Header=BB313_235 Depth=1
	s_or_b64 exec, exec, s[16:17]
.LBB313_397:                            ;   in Loop: Header=BB313_235 Depth=1
	s_or_b64 exec, exec, s[12:13]
	v_lshrrev_b32_e32 v8, 16, v20
	v_cmp_ne_u16_sdwa s[0:1], v8, v9 src0_sel:BYTE_0 src1_sel:DWORD
	v_mov_b32_e32 v19, 0
	v_mov_b32_e32 v15, 0
	s_and_saveexec_b64 s[12:13], s[0:1]
	s_cbranch_execz .LBB313_403
; %bb.398:                              ;   in Loop: Header=BB313_235 Depth=1
	v_cmp_ne_u16_sdwa s[0:1], v8, s21 src0_sel:BYTE_0 src1_sel:DWORD
	v_bfrev_b32_e32 v15, 1
	s_and_saveexec_b64 s[16:17], s[0:1]
	s_cbranch_execz .LBB313_402
; %bb.399:                              ;   in Loop: Header=BB313_235 Depth=1
	v_bfe_u32 v43, v20, 16, 7
	v_cmp_ne_u32_e64 s[0:1], s22, v43
	v_mov_b32_e32 v15, 0x7fc02000
	s_and_saveexec_b64 s[18:19], s[0:1]
	s_cbranch_execz .LBB313_401
; %bb.400:                              ;   in Loop: Header=BB313_235 Depth=1
	v_and_b32_e32 v15, 7, v8
	v_ffbh_u32_e32 v44, v15
	v_min_u32_e32 v47, 32, v44
	v_subrev_u32_e32 v44, 28, v47
	v_lshlrev_b64 v[44:45], v44, v[8:9]
	v_lshrrev_b32_e32 v46, 3, v43
	v_sub_u32_e32 v45, 29, v47
	v_cmp_gt_u32_e64 s[0:1], 8, v43
	v_cndmask_b32_e64 v43, v46, v45, s[0:1]
	v_and_b32_e32 v44, 7, v44
	v_lshlrev_b32_e32 v8, 8, v8
	v_lshl_add_u32 v43, v43, 10, v3
	v_cndmask_b32_e64 v15, v15, v44, s[0:1]
	v_and_or_b32 v8, v8, s23, v43
	v_lshl_or_b32 v8, v15, 7, v8
	v_cvt_f32_f16_e32 v15, v8
.LBB313_401:                            ;   in Loop: Header=BB313_235 Depth=1
	s_or_b64 exec, exec, s[18:19]
.LBB313_402:                            ;   in Loop: Header=BB313_235 Depth=1
	s_or_b64 exec, exec, s[16:17]
.LBB313_403:                            ;   in Loop: Header=BB313_235 Depth=1
	s_or_b64 exec, exec, s[12:13]
	v_cmp_lt_u32_e64 s[0:1], s7, v20
	s_and_saveexec_b64 s[12:13], s[0:1]
	s_cbranch_execz .LBB313_409
; %bb.404:                              ;   in Loop: Header=BB313_235 Depth=1
	v_lshrrev_b32_e32 v8, 24, v20
	v_cmp_ne_u32_e64 s[0:1], s21, v8
	v_bfrev_b32_e32 v19, 1
	s_and_saveexec_b64 s[16:17], s[0:1]
	s_cbranch_execz .LBB313_408
; %bb.405:                              ;   in Loop: Header=BB313_235 Depth=1
	v_and_b32_e32 v43, 0x7f, v8
	v_cmp_ne_u32_e64 s[0:1], s22, v43
	v_mov_b32_e32 v19, 0x7fc02000
	s_and_saveexec_b64 s[18:19], s[0:1]
	s_cbranch_execz .LBB313_407
; %bb.406:                              ;   in Loop: Header=BB313_235 Depth=1
	v_and_b32_e32 v19, 7, v8
	v_ffbh_u32_e32 v44, v19
	v_min_u32_e32 v47, 32, v44
	v_subrev_u32_e32 v44, 28, v47
	v_lshlrev_b64 v[44:45], v44, v[8:9]
	v_lshrrev_b32_e32 v46, 3, v43
	v_sub_u32_e32 v45, 29, v47
	v_cmp_gt_u32_e64 s[0:1], 8, v43
	v_cndmask_b32_e64 v43, v46, v45, s[0:1]
	v_and_b32_e32 v44, 7, v44
	v_lshlrev_b32_e32 v8, 8, v8
	v_lshl_add_u32 v43, v43, 10, v3
	v_cndmask_b32_e64 v19, v19, v44, s[0:1]
	v_and_or_b32 v8, v8, s23, v43
	v_lshl_or_b32 v8, v19, 7, v8
	v_cvt_f32_f16_e32 v19, v8
.LBB313_407:                            ;   in Loop: Header=BB313_235 Depth=1
	s_or_b64 exec, exec, s[18:19]
.LBB313_408:                            ;   in Loop: Header=BB313_235 Depth=1
	s_or_b64 exec, exec, s[16:17]
.LBB313_409:                            ;   in Loop: Header=BB313_235 Depth=1
	s_or_b64 exec, exec, s[12:13]
	v_mov_b32_e32 v8, v21
	v_cmp_ne_u16_sdwa s[0:1], v21, v9 src0_sel:BYTE_0 src1_sel:DWORD
	v_mov_b32_e32 v44, 0
	v_mov_b32_e32 v43, 0
	s_and_saveexec_b64 s[12:13], s[0:1]
	s_cbranch_execz .LBB313_415
; %bb.410:                              ;   in Loop: Header=BB313_235 Depth=1
	v_cmp_ne_u16_sdwa s[0:1], v21, s21 src0_sel:BYTE_0 src1_sel:DWORD
	v_bfrev_b32_e32 v43, 1
	s_and_saveexec_b64 s[16:17], s[0:1]
	s_cbranch_execz .LBB313_414
; %bb.411:                              ;   in Loop: Header=BB313_235 Depth=1
	v_and_b32_e32 v45, 0x7f, v21
	v_cmp_ne_u32_e64 s[0:1], s22, v45
	v_mov_b32_e32 v43, 0x7fc02000
	s_and_saveexec_b64 s[18:19], s[0:1]
	s_cbranch_execz .LBB313_413
; %bb.412:                              ;   in Loop: Header=BB313_235 Depth=1
	v_and_b32_e32 v43, 7, v21
	v_ffbh_u32_e32 v43, v43
	v_min_u32_e32 v43, 32, v43
	v_subrev_u32_e32 v46, 28, v43
	v_cmp_gt_u32_e64 s[0:1], 8, v45
	v_lshrrev_b32_e32 v48, 3, v45
	v_sub_u32_e32 v43, 29, v43
	v_cndmask_b32_e64 v45, 0, v46, s[0:1]
	v_lshlrev_b64 v[46:47], v45, v[8:9]
	v_cndmask_b32_e64 v43, v48, v43, s[0:1]
	v_lshlrev_b32_e32 v45, 7, v46
	v_lshlrev_b32_e32 v46, 8, v21
	v_lshl_add_u32 v43, v43, 10, v3
	v_and_or_b32 v43, v46, s23, v43
	v_and_or_b32 v43, v45, s28, v43
	v_cvt_f32_f16_e32 v43, v43
.LBB313_413:                            ;   in Loop: Header=BB313_235 Depth=1
	s_or_b64 exec, exec, s[18:19]
.LBB313_414:                            ;   in Loop: Header=BB313_235 Depth=1
	s_or_b64 exec, exec, s[16:17]
.LBB313_415:                            ;   in Loop: Header=BB313_235 Depth=1
	s_or_b64 exec, exec, s[12:13]
	v_lshrrev_b16_e32 v8, 8, v8
	v_cmp_ne_u16_e64 s[0:1], 0, v8
	s_and_saveexec_b64 s[12:13], s[0:1]
	s_cbranch_execz .LBB313_421
; %bb.416:                              ;   in Loop: Header=BB313_235 Depth=1
	v_cmp_ne_u16_e64 s[0:1], s21, v8
	v_bfrev_b32_e32 v44, 1
	s_and_saveexec_b64 s[16:17], s[0:1]
	s_cbranch_execz .LBB313_420
; %bb.417:                              ;   in Loop: Header=BB313_235 Depth=1
	v_and_b32_e32 v45, 0x7f, v8
	v_cmp_ne_u32_e64 s[0:1], s22, v45
	v_mov_b32_e32 v44, 0x7fc02000
	s_and_saveexec_b64 s[18:19], s[0:1]
	s_cbranch_execz .LBB313_419
; %bb.418:                              ;   in Loop: Header=BB313_235 Depth=1
	v_and_b32_e32 v44, 7, v8
	v_ffbh_u32_e32 v46, v44
	v_min_u32_e32 v49, 32, v46
	v_subrev_u32_e32 v46, 28, v49
	v_lshlrev_b64 v[46:47], v46, v[8:9]
	v_lshrrev_b32_e32 v48, 3, v45
	v_sub_u32_e32 v47, 29, v49
	v_cmp_gt_u32_e64 s[0:1], 8, v45
	v_cndmask_b32_e64 v45, v48, v47, s[0:1]
	v_and_b32_e32 v46, 7, v46
	v_lshlrev_b32_e32 v8, 8, v8
	v_lshl_add_u32 v45, v45, 10, v3
	v_cndmask_b32_e64 v44, v44, v46, s[0:1]
	v_and_or_b32 v8, v8, s23, v45
	v_lshl_or_b32 v8, v44, 7, v8
	v_cvt_f32_f16_e32 v44, v8
.LBB313_419:                            ;   in Loop: Header=BB313_235 Depth=1
	s_or_b64 exec, exec, s[18:19]
.LBB313_420:                            ;   in Loop: Header=BB313_235 Depth=1
	s_or_b64 exec, exec, s[16:17]
.LBB313_421:                            ;   in Loop: Header=BB313_235 Depth=1
	s_or_b64 exec, exec, s[12:13]
	v_lshrrev_b32_e32 v8, 16, v21
	v_cmp_ne_u16_sdwa s[0:1], v8, v9 src0_sel:BYTE_0 src1_sel:DWORD
	v_mov_b32_e32 v45, 0
	v_mov_b32_e32 v46, 0
	s_and_saveexec_b64 s[12:13], s[0:1]
	s_cbranch_execz .LBB313_427
; %bb.422:                              ;   in Loop: Header=BB313_235 Depth=1
	v_cmp_ne_u16_sdwa s[0:1], v8, s21 src0_sel:BYTE_0 src1_sel:DWORD
	v_bfrev_b32_e32 v46, 1
	s_and_saveexec_b64 s[16:17], s[0:1]
	s_cbranch_execz .LBB313_426
; %bb.423:                              ;   in Loop: Header=BB313_235 Depth=1
	v_bfe_u32 v47, v21, 16, 7
	v_cmp_ne_u32_e64 s[0:1], s22, v47
	v_mov_b32_e32 v46, 0x7fc02000
	s_and_saveexec_b64 s[18:19], s[0:1]
	s_cbranch_execz .LBB313_425
; %bb.424:                              ;   in Loop: Header=BB313_235 Depth=1
	v_and_b32_e32 v46, 7, v8
	v_ffbh_u32_e32 v48, v46
	v_min_u32_e32 v51, 32, v48
	v_subrev_u32_e32 v48, 28, v51
	v_lshlrev_b64 v[48:49], v48, v[8:9]
	v_lshrrev_b32_e32 v50, 3, v47
	v_sub_u32_e32 v49, 29, v51
	v_cmp_gt_u32_e64 s[0:1], 8, v47
	v_cndmask_b32_e64 v47, v50, v49, s[0:1]
	v_and_b32_e32 v48, 7, v48
	v_lshlrev_b32_e32 v8, 8, v8
	v_lshl_add_u32 v47, v47, 10, v3
	v_cndmask_b32_e64 v46, v46, v48, s[0:1]
	v_and_or_b32 v8, v8, s23, v47
	v_lshl_or_b32 v8, v46, 7, v8
	v_cvt_f32_f16_e32 v46, v8
.LBB313_425:                            ;   in Loop: Header=BB313_235 Depth=1
	s_or_b64 exec, exec, s[18:19]
.LBB313_426:                            ;   in Loop: Header=BB313_235 Depth=1
	s_or_b64 exec, exec, s[16:17]
.LBB313_427:                            ;   in Loop: Header=BB313_235 Depth=1
	s_or_b64 exec, exec, s[12:13]
	v_cmp_lt_u64_e64 s[0:1], s[6:7], v[20:21]
	s_and_saveexec_b64 s[12:13], s[0:1]
	s_cbranch_execz .LBB313_433
; %bb.428:                              ;   in Loop: Header=BB313_235 Depth=1
	v_lshrrev_b32_e32 v8, 24, v21
	v_cmp_ne_u32_e64 s[0:1], s21, v8
	v_bfrev_b32_e32 v45, 1
	s_and_saveexec_b64 s[16:17], s[0:1]
	s_cbranch_execz .LBB313_432
; %bb.429:                              ;   in Loop: Header=BB313_235 Depth=1
	v_and_b32_e32 v20, 0x7f, v8
	v_cmp_ne_u32_e64 s[0:1], s22, v20
	v_mov_b32_e32 v45, 0x7fc02000
	s_and_saveexec_b64 s[18:19], s[0:1]
	s_cbranch_execz .LBB313_431
; %bb.430:                              ;   in Loop: Header=BB313_235 Depth=1
	v_and_b32_e32 v21, 7, v8
	v_ffbh_u32_e32 v47, v21
	v_min_u32_e32 v47, 32, v47
	v_lshrrev_b32_e32 v45, 3, v20
	v_subrev_u32_e32 v48, 28, v47
	v_sub_u32_e32 v47, 29, v47
	v_cmp_gt_u32_e64 s[0:1], 8, v20
	v_lshlrev_b64 v[48:49], v48, v[8:9]
	v_cndmask_b32_e64 v20, v45, v47, s[0:1]
	v_and_b32_e32 v48, 7, v48
	v_lshlrev_b32_e32 v8, 8, v8
	v_lshl_add_u32 v20, v20, 10, v3
	v_cndmask_b32_e64 v21, v21, v48, s[0:1]
	v_and_or_b32 v8, v8, s23, v20
	v_lshl_or_b32 v8, v21, 7, v8
	v_cvt_f32_f16_e32 v45, v8
.LBB313_431:                            ;   in Loop: Header=BB313_235 Depth=1
	s_or_b64 exec, exec, s[18:19]
.LBB313_432:                            ;   in Loop: Header=BB313_235 Depth=1
	s_or_b64 exec, exec, s[16:17]
.LBB313_433:                            ;   in Loop: Header=BB313_235 Depth=1
	s_or_b64 exec, exec, s[12:13]
	s_waitcnt vmcnt(0)
	v_pk_mul_f32 v[18:19], v[16:17], v[18:19] op_sel_hi:[0,1]
	v_pk_mul_f32 v[14:15], v[16:17], v[14:15] op_sel_hi:[0,1]
	v_cvt_f16_f32_e32 v8, v19
	v_cvt_f16_f32_e32 v18, v18
	;; [unrolled: 1-line block ×4, first 2 shown]
	v_pack_b32_f16 v18, v18, v8
	v_pack_b32_f16 v14, v14, v15
	v_fma_mixlo_f16 v15, v16, v44, 0
	v_perm_b32 v8, v14, v18, s30
	v_perm_b32 v14, v14, v18, s31
	v_lshlrev_b32_e32 v15, 16, v15
	v_fma_mixlo_f16 v18, v16, v43, 0
	v_or_b32_sdwa v15, v15, v18 dst_sel:DWORD dst_unused:UNUSED_PAD src0_sel:DWORD src1_sel:WORD_0
	v_fma_mixlo_f16 v18, v16, v46, 0
	v_fma_mixlo_f16 v16, v16, v45, 0
	v_lshlrev_b32_e32 v16, 16, v16
	v_or_b32_sdwa v16, v16, v18 dst_sel:DWORD dst_unused:UNUSED_PAD src0_sel:DWORD src1_sel:WORD_0
	s_and_saveexec_b64 s[0:1], vcc
	s_cbranch_execz .LBB313_234
; %bb.434:                              ;   in Loop: Header=BB313_235 Depth=1
	v_lshrrev_b32_e32 v19, 16, v14
	v_cmp_gt_i32_e32 vcc, s20, v34
	v_cndmask_b32_e32 v19, 0, v19, vcc
	v_cmp_gt_i32_e32 vcc, s29, v1
	v_cndmask_b32_e32 v14, 0, v14, vcc
	v_perm_b32 v14, v19, v14, s34
	v_lshrrev_b32_e32 v19, 16, v8
	v_cmp_gt_i32_e32 vcc, s20, v33
	v_cndmask_b32_e32 v19, 0, v19, vcc
	v_cmp_gt_i32_e32 vcc, s29, v32
	v_cndmask_b32_e32 v8, 0, v8, vcc
	v_perm_b32 v8, v19, v8, s34
	v_lshrrev_b32_e32 v19, 16, v15
	v_cmp_gt_i32_e32 vcc, s20, v31
	v_cndmask_b32_e32 v19, 0, v19, vcc
	v_cmp_gt_i32_e32 vcc, s29, v30
	v_cndmask_b32_e32 v15, 0, v15, vcc
	v_lshrrev_b32_e32 v16, 16, v16
	v_cmp_gt_i32_e32 vcc, s20, v29
	v_cndmask_b32_e32 v16, 0, v16, vcc
	v_cmp_gt_i32_e32 vcc, s29, v28
	v_cndmask_b32_e32 v18, 0, v18, vcc
	v_perm_b32 v15, v19, v15, s34
	v_perm_b32 v16, v16, v18, s34
	s_branch .LBB313_234
.LBB313_435:
	s_or_b64 exec, exec, s[10:11]
.LBB313_436:
	s_or_b64 exec, exec, s[4:5]
	ds_bpermute_b32 v2, v24, v4
	ds_bpermute_b32 v3, v24, v5
	;; [unrolled: 1-line block ×4, first 2 shown]
	v_and_b32_e32 v1, 0x3c3, v0
	v_cmp_eq_u32_e32 vcc, 64, v1
	s_waitcnt lgkmcnt(2)
	v_pk_add_f32 v[2:3], v[4:5], v[2:3]
	ds_bpermute_b32 v4, v25, v2
	s_waitcnt lgkmcnt(1)
	v_pk_add_f32 v[6:7], v[6:7], v[8:9]
	ds_bpermute_b32 v5, v25, v3
	ds_bpermute_b32 v8, v25, v6
	ds_bpermute_b32 v9, v25, v7
	s_waitcnt lgkmcnt(0)
	s_barrier
	v_pk_add_f32 v[4:5], v[2:3], v[4:5]
	v_pk_add_f32 v[2:3], v[6:7], v[8:9]
	s_and_saveexec_b64 s[0:1], vcc
	s_cbranch_execz .LBB313_438
; %bb.437:
	v_add_u32_e32 v6, 0x90, v17
	ds_write2_b32 v6, v4, v5 offset1:16
	ds_write2_b32 v6, v2, v3 offset0:32 offset1:48
.LBB313_438:
	s_or_b64 exec, exec, s[0:1]
	v_cmp_gt_u32_e32 vcc, 64, v0
	s_waitcnt lgkmcnt(0)
	s_barrier
	s_and_saveexec_b64 s[0:1], vcc
	s_cbranch_execz .LBB313_445
; %bb.439:
	v_cmp_eq_u32_e32 vcc, 0, v26
	v_lshrrev_b32_e32 v6, 2, v0
	s_and_saveexec_b64 s[4:5], vcc
	s_cbranch_execnz .LBB313_448
; %bb.440:
	s_or_b64 exec, exec, s[4:5]
	s_and_saveexec_b64 s[4:5], vcc
	s_cbranch_execnz .LBB313_449
.LBB313_441:
	s_or_b64 exec, exec, s[4:5]
	s_and_saveexec_b64 s[4:5], vcc
	s_cbranch_execnz .LBB313_450
.LBB313_442:
	s_or_b64 exec, exec, s[4:5]
	s_and_saveexec_b64 s[4:5], vcc
	s_cbranch_execz .LBB313_444
.LBB313_443:
	v_mov_b32_e32 v7, 0x90
	v_lshl_add_u32 v6, v6, 2, v7
	ds_read_b32 v6, v6 offset:192
	s_waitcnt lgkmcnt(0)
	v_add_f32_e32 v3, v3, v6
.LBB313_444:
	s_or_b64 exec, exec, s[4:5]
.LBB313_445:
	s_or_b64 exec, exec, s[0:1]
	v_cmp_eq_u32_e32 vcc, 0, v1
	s_barrier
	s_and_saveexec_b64 s[0:1], vcc
	s_cbranch_execz .LBB313_447
; %bb.446:
	s_lshl_b32 s0, s2, 6
	s_ashr_i32 s1, s0, 31
	s_lshl_b64 s[0:1], s[0:1], 1
	s_add_u32 s2, s26, s0
	s_mul_i32 s0, s25, s24
	s_addc_u32 s3, s27, s1
	s_ashr_i32 s1, s0, 31
	s_lshl_b64 s[0:1], s[0:1], 1
	s_add_u32 s2, s2, s0
	s_addc_u32 s3, s3, s1
	s_lshl_b32 s0, s8, 6
	s_ashr_i32 s1, s0, 31
	s_lshl_b64 s[0:1], s[0:1], 1
	s_add_u32 s0, s2, s0
	s_addc_u32 s1, s3, s1
	v_lshrrev_b32_e32 v0, 1, v0
	;;#ASMSTART
	v_cvt_f16_f32 v1, v4;

	;;#ASMEND
	global_store_short v0, v1, s[0:1]
	;;#ASMSTART
	v_cvt_f16_f32 v1, v5;

	;;#ASMEND
	global_store_short v0, v1, s[0:1] offset:32
	;;#ASMSTART
	v_cvt_f16_f32 v1, v2;

	;;#ASMEND
	global_store_short v0, v1, s[0:1] offset:64
	;; [unrolled: 5-line block ×3, first 2 shown]
.LBB313_447:
	s_endpgm
.LBB313_448:
	v_mov_b32_e32 v7, 0x90
	v_lshl_add_u32 v7, v6, 2, v7
	ds_read_b32 v7, v7
	s_waitcnt lgkmcnt(0)
	v_add_f32_e32 v4, v4, v7
	s_or_b64 exec, exec, s[4:5]
	s_and_saveexec_b64 s[4:5], vcc
	s_cbranch_execz .LBB313_441
.LBB313_449:
	v_mov_b32_e32 v7, 0x90
	v_lshl_add_u32 v7, v6, 2, v7
	ds_read_b32 v7, v7 offset:64
	s_waitcnt lgkmcnt(0)
	v_add_f32_e32 v5, v5, v7
	s_or_b64 exec, exec, s[4:5]
	s_and_saveexec_b64 s[4:5], vcc
	s_cbranch_execz .LBB313_442
.LBB313_450:
	v_mov_b32_e32 v7, 0x90
	v_lshl_add_u32 v7, v6, 2, v7
	ds_read_b32 v7, v7 offset:128
	s_waitcnt lgkmcnt(0)
	v_add_f32_e32 v2, v2, v7
	s_or_b64 exec, exec, s[4:5]
	s_and_saveexec_b64 s[4:5], vcc
	s_cbranch_execnz .LBB313_443
	s_branch .LBB313_444
	.section	.rodata,"a",@progbits
	.p2align	6, 0x0
	.amdhsa_kernel _ZN4vllm25paged_attention_v2_kernelIthLi64ELi32ELi128ELNS_18Fp8KVCacheDataTypeE1ELb0ELi512EEEvPfS2_PT_PKS3_PKT0_S9_ifPKiSB_iPKfiiiSD_SD_iiiii
		.amdhsa_group_segment_fixed_size 144
		.amdhsa_private_segment_fixed_size 0
		.amdhsa_kernarg_size 400
		.amdhsa_user_sgpr_count 6
		.amdhsa_user_sgpr_private_segment_buffer 1
		.amdhsa_user_sgpr_dispatch_ptr 0
		.amdhsa_user_sgpr_queue_ptr 0
		.amdhsa_user_sgpr_kernarg_segment_ptr 1
		.amdhsa_user_sgpr_dispatch_id 0
		.amdhsa_user_sgpr_flat_scratch_init 0
		.amdhsa_user_sgpr_kernarg_preload_length 0
		.amdhsa_user_sgpr_kernarg_preload_offset 0
		.amdhsa_user_sgpr_private_segment_size 0
		.amdhsa_uses_dynamic_stack 0
		.amdhsa_system_sgpr_private_segment_wavefront_offset 0
		.amdhsa_system_sgpr_workgroup_id_x 1
		.amdhsa_system_sgpr_workgroup_id_y 1
		.amdhsa_system_sgpr_workgroup_id_z 1
		.amdhsa_system_sgpr_workgroup_info 0
		.amdhsa_system_vgpr_workitem_id 0
		.amdhsa_next_free_vgpr 59
		.amdhsa_next_free_sgpr 54
		.amdhsa_accum_offset 60
		.amdhsa_reserve_vcc 1
		.amdhsa_reserve_flat_scratch 0
		.amdhsa_float_round_mode_32 0
		.amdhsa_float_round_mode_16_64 0
		.amdhsa_float_denorm_mode_32 3
		.amdhsa_float_denorm_mode_16_64 3
		.amdhsa_dx10_clamp 1
		.amdhsa_ieee_mode 1
		.amdhsa_fp16_overflow 0
		.amdhsa_tg_split 0
		.amdhsa_exception_fp_ieee_invalid_op 0
		.amdhsa_exception_fp_denorm_src 0
		.amdhsa_exception_fp_ieee_div_zero 0
		.amdhsa_exception_fp_ieee_overflow 0
		.amdhsa_exception_fp_ieee_underflow 0
		.amdhsa_exception_fp_ieee_inexact 0
		.amdhsa_exception_int_div_zero 0
	.end_amdhsa_kernel
	.section	.text._ZN4vllm25paged_attention_v2_kernelIthLi64ELi32ELi128ELNS_18Fp8KVCacheDataTypeE1ELb0ELi512EEEvPfS2_PT_PKS3_PKT0_S9_ifPKiSB_iPKfiiiSD_SD_iiiii,"axG",@progbits,_ZN4vllm25paged_attention_v2_kernelIthLi64ELi32ELi128ELNS_18Fp8KVCacheDataTypeE1ELb0ELi512EEEvPfS2_PT_PKS3_PKT0_S9_ifPKiSB_iPKfiiiSD_SD_iiiii,comdat
.Lfunc_end313:
	.size	_ZN4vllm25paged_attention_v2_kernelIthLi64ELi32ELi128ELNS_18Fp8KVCacheDataTypeE1ELb0ELi512EEEvPfS2_PT_PKS3_PKT0_S9_ifPKiSB_iPKfiiiSD_SD_iiiii, .Lfunc_end313-_ZN4vllm25paged_attention_v2_kernelIthLi64ELi32ELi128ELNS_18Fp8KVCacheDataTypeE1ELb0ELi512EEEvPfS2_PT_PKS3_PKT0_S9_ifPKiSB_iPKfiiiSD_SD_iiiii
                                        ; -- End function
	.section	.AMDGPU.csdata,"",@progbits
; Kernel info:
; codeLenInByte = 18116
; NumSgprs: 58
; NumVgprs: 59
; NumAgprs: 0
; TotalNumVgprs: 59
; ScratchSize: 0
; MemoryBound: 0
; FloatMode: 240
; IeeeMode: 1
; LDSByteSize: 144 bytes/workgroup (compile time only)
; SGPRBlocks: 7
; VGPRBlocks: 7
; NumSGPRsForWavesPerEU: 58
; NumVGPRsForWavesPerEU: 59
; AccumOffset: 60
; Occupancy: 8
; WaveLimiterHint : 1
; COMPUTE_PGM_RSRC2:SCRATCH_EN: 0
; COMPUTE_PGM_RSRC2:USER_SGPR: 6
; COMPUTE_PGM_RSRC2:TRAP_HANDLER: 0
; COMPUTE_PGM_RSRC2:TGID_X_EN: 1
; COMPUTE_PGM_RSRC2:TGID_Y_EN: 1
; COMPUTE_PGM_RSRC2:TGID_Z_EN: 1
; COMPUTE_PGM_RSRC2:TIDIG_COMP_CNT: 0
; COMPUTE_PGM_RSRC3_GFX90A:ACCUM_OFFSET: 14
; COMPUTE_PGM_RSRC3_GFX90A:TG_SPLIT: 0
	.section	.text._ZN4vllm25paged_attention_v2_kernelIthLi80ELi32ELi128ELNS_18Fp8KVCacheDataTypeE1ELb0ELi512EEEvPfS2_PT_PKS3_PKT0_S9_ifPKiSB_iPKfiiiSD_SD_iiiii,"axG",@progbits,_ZN4vllm25paged_attention_v2_kernelIthLi80ELi32ELi128ELNS_18Fp8KVCacheDataTypeE1ELb0ELi512EEEvPfS2_PT_PKS3_PKT0_S9_ifPKiSB_iPKfiiiSD_SD_iiiii,comdat
	.protected	_ZN4vllm25paged_attention_v2_kernelIthLi80ELi32ELi128ELNS_18Fp8KVCacheDataTypeE1ELb0ELi512EEEvPfS2_PT_PKS3_PKT0_S9_ifPKiSB_iPKfiiiSD_SD_iiiii ; -- Begin function _ZN4vllm25paged_attention_v2_kernelIthLi80ELi32ELi128ELNS_18Fp8KVCacheDataTypeE1ELb0ELi512EEEvPfS2_PT_PKS3_PKT0_S9_ifPKiSB_iPKfiiiSD_SD_iiiii
	.globl	_ZN4vllm25paged_attention_v2_kernelIthLi80ELi32ELi128ELNS_18Fp8KVCacheDataTypeE1ELb0ELi512EEEvPfS2_PT_PKS3_PKT0_S9_ifPKiSB_iPKfiiiSD_SD_iiiii
	.p2align	8
	.type	_ZN4vllm25paged_attention_v2_kernelIthLi80ELi32ELi128ELNS_18Fp8KVCacheDataTypeE1ELb0ELi512EEEvPfS2_PT_PKS3_PKT0_S9_ifPKiSB_iPKfiiiSD_SD_iiiii,@function
_ZN4vllm25paged_attention_v2_kernelIthLi80ELi32ELi128ELNS_18Fp8KVCacheDataTypeE1ELb0ELi512EEEvPfS2_PT_PKS3_PKT0_S9_ifPKiSB_iPKfiiiSD_SD_iiiii: ; @_ZN4vllm25paged_attention_v2_kernelIthLi80ELi32ELi128ELNS_18Fp8KVCacheDataTypeE1ELb0ELi512EEEvPfS2_PT_PKS3_PKT0_S9_ifPKiSB_iPKfiiiSD_SD_iiiii
; %bb.0:
	s_load_dwordx2 s[0:1], s[4:5], 0x40
	s_mov_b32 s28, s7
	s_ashr_i32 s29, s7, 31
	s_lshl_b64 s[2:3], s[28:29], 2
	s_waitcnt lgkmcnt(0)
	s_add_u32 s0, s0, s2
	s_addc_u32 s1, s1, s3
	s_load_dword s29, s[0:1], 0x0
	s_lshl_b32 s46, s8, 9
	s_waitcnt lgkmcnt(0)
	s_cmp_ge_i32 s46, s29
	s_cbranch_scc1 .LBB314_546
; %bb.1:
	s_load_dword s9, s[4:5], 0x90
	s_load_dwordx2 s[10:11], s[4:5], 0x30
	s_mov_b32 s47, 0
	s_waitcnt lgkmcnt(0)
	s_abs_i32 s2, s9
	s_abs_i32 s0, s10
	v_cvt_f32_u32_e32 v1, s0
	s_sub_i32 s3, 0, s0
	s_xor_b32 s1, s9, s10
	s_ashr_i32 s1, s1, 31
	v_rcp_iflag_f32_e32 v1, v1
	v_mul_f32_e32 v1, 0x4f7ffffe, v1
	v_cvt_u32_f32_e32 v1, v1
	v_readfirstlane_b32 s7, v1
	s_mul_i32 s3, s3, s7
	s_mul_hi_u32 s3, s7, s3
	s_add_i32 s7, s7, s3
	s_mul_hi_u32 s3, s2, s7
	s_mul_i32 s7, s3, s0
	s_sub_i32 s2, s2, s7
	s_add_i32 s10, s3, 1
	s_sub_i32 s7, s2, s0
	s_cmp_ge_u32 s2, s0
	s_cselect_b32 s3, s10, s3
	s_cselect_b32 s2, s7, s2
	s_add_i32 s7, s3, 1
	s_cmp_ge_u32 s2, s0
	s_cselect_b32 s0, s7, s3
	s_xor_b32 s0, s0, s1
	s_sub_i32 s10, s0, s1
	s_abs_i32 s2, s10
	v_cvt_f32_u32_e32 v1, s2
	s_load_dwordx2 s[0:1], s[4:5], 0x50
	s_sub_i32 s7, 0, s2
	s_abs_i32 s3, s6
	v_rcp_iflag_f32_e32 v1, v1
	v_mul_f32_e32 v1, 0x4f7ffffe, v1
	v_cvt_u32_f32_e32 v1, v1
	v_readfirstlane_b32 s12, v1
	s_mul_i32 s7, s7, s12
	s_mul_hi_u32 s7, s12, s7
	s_add_i32 s12, s12, s7
	s_waitcnt lgkmcnt(0)
	s_cmp_eq_u64 s[0:1], 0
	s_mul_hi_u32 s12, s3, s12
	s_cbranch_scc1 .LBB314_3
; %bb.2:
	s_ashr_i32 s7, s6, 31
	s_lshl_b64 s[14:15], s[6:7], 2
	s_add_u32 s0, s0, s14
	s_addc_u32 s1, s1, s15
	s_load_dword s47, s[0:1], 0x0
.LBB314_3:
	s_load_dwordx4 s[16:19], s[4:5], 0x58
	s_ashr_i32 s7, s6, 31
	s_ashr_i32 s13, s10, 31
	v_and_b32_e32 v8, 1, v0
	s_movk_i32 s10, 0x50
	s_mul_i32 s24, s6, 0x50
	v_cmp_gt_u32_e32 vcc, 20, v0
	v_lshlrev_b32_e32 v13, 3, v0
	s_and_saveexec_b64 s[0:1], vcc
	s_cbranch_execz .LBB314_5
; %bb.4:
	s_load_dwordx2 s[14:15], s[4:5], 0x18
	s_waitcnt lgkmcnt(0)
	s_mul_i32 s20, s28, s16
	s_ashr_i32 s21, s20, 31
	s_lshl_b64 s[20:21], s[20:21], 1
	v_lshlrev_b32_e32 v1, 2, v0
	s_add_u32 s16, s14, s20
	s_addc_u32 s19, s15, s21
	s_ashr_i32 s25, s24, 31
	s_lshl_b64 s[14:15], s[24:25], 1
	s_add_u32 s14, s16, s14
	s_addc_u32 s15, s19, s15
	global_load_dwordx2 v[2:3], v13, s[14:15]
	v_and_b32_e32 v1, 0xff8, v1
	v_mad_u32_u24 v1, v8, s10, v1
	s_waitcnt vmcnt(0)
	ds_write_b64 v1, v[2:3]
.LBB314_5:
	s_or_b64 exec, exec, s[0:1]
	s_add_i32 s0, s29, 31
	s_ashr_i32 s1, s0, 31
	s_lshr_b32 s1, s1, 27
	s_add_i32 s0, s0, s1
	s_lshl_b32 s10, s8, 4
	s_mul_i32 s1, s12, s2
	s_waitcnt lgkmcnt(0)
	s_ashr_i32 s16, s0, 5
	s_add_i32 s0, s10, 16
	s_sub_i32 s1, s3, s1
	s_min_i32 s33, s0, s16
	s_xor_b32 s0, s7, s13
	s_add_i32 s3, s12, 1
	s_sub_i32 s7, s1, s2
	s_cmp_ge_u32 s1, s2
	s_cselect_b32 s3, s3, s12
	s_cselect_b32 s1, s7, s1
	s_add_i32 s7, s3, 1
	s_cmp_ge_u32 s1, s2
	s_load_dwordx2 s[30:31], s[4:5], 0x38
	s_load_dword s2, s[4:5], 0x48
	v_lshrrev_b32_e32 v15, 6, v0
	s_cselect_b32 s1, s7, s3
	s_xor_b32 s1, s1, s0
	v_or_b32_e32 v2, s10, v15
	s_waitcnt lgkmcnt(0)
	s_mul_i32 s34, s28, s2
	s_sub_i32 s7, s1, s0
	s_ashr_i32 s35, s34, 31
	v_cmp_gt_i32_e64 s[0:1], s33, v2
	v_cmp_le_i32_e32 vcc, s33, v2
	v_mbcnt_lo_u32_b32 v11, -1, 0
	s_barrier
	s_waitcnt lgkmcnt(0)
                                        ; implicit-def: $sgpr19
                                        ; implicit-def: $vgpr7
                                        ; implicit-def: $vgpr10
	s_and_saveexec_b64 s[2:3], vcc
	s_xor_b64 s[2:3], exec, s[2:3]
; %bb.6:
	v_mbcnt_hi_u32_b32 v7, -1, v11
	v_and_b32_e32 v1, 64, v7
	v_add_u32_e32 v10, 64, v1
	s_mov_b32 s19, 0xff7fffff
                                        ; implicit-def: $vgpr8
                                        ; implicit-def: $vgpr11
; %bb.7:
	s_or_saveexec_b64 s[38:39], s[2:3]
	s_load_dwordx4 s[20:23], s[4:5], 0x0
	s_load_dwordx2 s[26:27], s[4:5], 0x10
	s_load_dword s25, s[4:5], 0x98
	s_load_dwordx2 s[36:37], s[4:5], 0x28
	s_load_dwordx4 s[12:15], s[4:5], 0x68
	v_mov_b32_e32 v1, s19
	s_mul_i32 s7, s7, s18
	v_ashrrev_i32_e32 v3, 31, v2
	v_lshlrev_b32_e32 v16, 5, v15
	s_xor_b64 exec, exec, s[38:39]
	s_cbranch_execz .LBB314_253
; %bb.8:
	s_load_dwordx2 s[2:3], s[4:5], 0x20
	s_ashr_i32 s4, s7, 31
	v_bfe_u32 v1, v0, 1, 5
	v_lshlrev_b32_e32 v4, 4, v1
	v_add3_u32 v19, s46, v16, v1
	s_waitcnt lgkmcnt(0)
	s_add_u32 s2, s2, s7
	s_addc_u32 s3, s3, s4
	v_mov_b32_e32 v5, s3
	v_add_co_u32_e32 v4, vcc, s2, v4
	s_sub_i32 s49, 1, s29
	s_lshl_b64 s[4:5], s[34:35], 2
	v_addc_co_u32_e32 v5, vcc, 0, v5, vcc
	v_lshlrev_b32_e32 v1, 2, v1
	s_add_u32 s4, s30, s4
	v_lshlrev_b32_e32 v6, 2, v8
	v_mul_u32_u24_e32 v18, 0x50, v8
	v_cmp_eq_u32_e32 vcc, 0, v8
	v_lshl_or_b32 v1, v15, 7, v1
	v_lshlrev_b64 v[8:9], 2, v[2:3]
	s_addc_u32 s5, s31, s5
	v_add_u32_e32 v20, 0xb0, v1
	v_mov_b32_e32 v1, s5
	v_add_co_u32_e64 v8, s[4:5], s4, v8
	s_mov_b32 s48, s17
	v_mov_b32_e32 v17, 0
	v_cmp_neq_f32_e64 s[2:3], s47, 0
	v_addc_co_u32_e64 v9, s[4:5], v1, v9, s[4:5]
	s_mov_b64 s[18:19], 0
	v_mov_b32_e32 v1, 0xff7fffff
	s_movk_i32 s50, 0x80
	s_movk_i32 s51, 0x7f
	s_mov_b32 s52, 0x8000
	s_mov_b32 s53, 0xffffff
	v_mbcnt_hi_u32_b32 v7, -1, v11
	v_mov_b32_e32 v21, 0x2000
	v_mov_b32_e32 v22, v2
	s_branch .LBB314_10
.LBB314_9:                              ;   in Loop: Header=BB314_10 Depth=1
	s_or_b64 exec, exec, s[40:41]
	v_add_u32_e32 v22, 2, v22
	v_cmp_le_i32_e64 s[4:5], s33, v22
	s_or_b64 s[18:19], s[4:5], s[18:19]
	v_add_co_u32_e64 v8, s[4:5], 8, v8
	v_add_u32_e32 v19, 64, v19
	v_add_u32_e32 v20, 0x100, v20
	v_addc_co_u32_e64 v9, s[4:5], 0, v9, s[4:5]
	s_andn2_b64 exec, exec, s[18:19]
	s_cbranch_execz .LBB314_252
.LBB314_10:                             ; =>This Inner Loop Header: Depth=1
	global_load_dword v10, v[8:9], off
	v_mov_b32_e32 v24, 0
	s_waitcnt vmcnt(0)
	v_mad_i64_i32 v[10:11], s[4:5], v10, s48, v[4:5]
	v_add_co_u32_e64 v10, s[4:5], v10, v6
	v_addc_co_u32_e64 v11, s[4:5], 0, v11, s[4:5]
	s_waitcnt lgkmcnt(0)
	global_load_dword v12, v[10:11], off
	global_load_dword v23, v17, s[12:13]
	s_waitcnt vmcnt(1)
	v_cmp_ne_u16_sdwa s[4:5], v12, v17 src0_sel:BYTE_0 src1_sel:DWORD
	s_and_saveexec_b64 s[40:41], s[4:5]
	s_cbranch_execz .LBB314_16
; %bb.11:                               ;   in Loop: Header=BB314_10 Depth=1
	v_cmp_ne_u16_sdwa s[4:5], v12, s50 src0_sel:BYTE_0 src1_sel:DWORD
	v_bfrev_b32_e32 v24, 1
	s_and_saveexec_b64 s[42:43], s[4:5]
	s_cbranch_execz .LBB314_15
; %bb.12:                               ;   in Loop: Header=BB314_10 Depth=1
	v_and_b32_e32 v14, 0x7f, v12
	v_cmp_ne_u32_e64 s[4:5], s51, v14
	v_mov_b32_e32 v24, 0x7fc02000
	s_and_saveexec_b64 s[44:45], s[4:5]
	s_cbranch_execz .LBB314_14
; %bb.13:                               ;   in Loop: Header=BB314_10 Depth=1
	v_and_b32_e32 v26, 7, v12
	v_ffbh_u32_e32 v24, v26
	v_min_u32_e32 v28, 32, v24
	v_subrev_u32_e32 v24, 28, v28
	v_lshlrev_b64 v[24:25], v24, v[12:13]
	v_lshrrev_b32_e32 v27, 3, v14
	v_sub_u32_e32 v25, 29, v28
	v_cmp_gt_u32_e64 s[4:5], 8, v14
	v_cndmask_b32_e64 v14, v27, v25, s[4:5]
	v_and_b32_e32 v24, 7, v24
	v_lshlrev_b32_e32 v25, 8, v12
	v_lshl_add_u32 v14, v14, 10, v21
	v_cndmask_b32_e64 v24, v26, v24, s[4:5]
	v_and_or_b32 v14, v25, s52, v14
	v_lshl_or_b32 v14, v24, 7, v14
	v_cvt_f32_f16_e32 v24, v14
.LBB314_14:                             ;   in Loop: Header=BB314_10 Depth=1
	s_or_b64 exec, exec, s[44:45]
.LBB314_15:                             ;   in Loop: Header=BB314_10 Depth=1
	s_or_b64 exec, exec, s[42:43]
.LBB314_16:                             ;   in Loop: Header=BB314_10 Depth=1
	s_or_b64 exec, exec, s[40:41]
	v_lshrrev_b16_e32 v14, 8, v12
	v_cmp_ne_u16_e64 s[4:5], 0, v14
	v_mov_b32_e32 v25, 0
	v_mov_b32_e32 v26, 0
	s_and_saveexec_b64 s[40:41], s[4:5]
	s_cbranch_execz .LBB314_22
; %bb.17:                               ;   in Loop: Header=BB314_10 Depth=1
	v_cmp_ne_u16_e64 s[4:5], s50, v14
	v_bfrev_b32_e32 v26, 1
	s_and_saveexec_b64 s[42:43], s[4:5]
	s_cbranch_execz .LBB314_21
; %bb.18:                               ;   in Loop: Header=BB314_10 Depth=1
	v_and_b32_e32 v27, 0x7f, v14
	v_cmp_ne_u32_e64 s[4:5], s51, v27
	v_mov_b32_e32 v26, 0x7fc02000
	s_and_saveexec_b64 s[44:45], s[4:5]
	s_cbranch_execz .LBB314_20
; %bb.19:                               ;   in Loop: Header=BB314_10 Depth=1
	v_and_b32_e32 v26, 7, v14
	v_ffbh_u32_e32 v28, v26
	v_min_u32_e32 v31, 32, v28
	v_subrev_u32_e32 v28, 28, v31
	v_lshlrev_b64 v[28:29], v28, v[14:15]
	v_lshrrev_b32_e32 v30, 3, v27
	v_sub_u32_e32 v29, 29, v31
	v_cmp_gt_u32_e64 s[4:5], 8, v27
	v_cndmask_b32_e64 v27, v30, v29, s[4:5]
	v_and_b32_e32 v28, 7, v28
	v_lshlrev_b32_e32 v14, 8, v14
	v_lshl_add_u32 v27, v27, 10, v21
	v_cndmask_b32_e64 v26, v26, v28, s[4:5]
	v_and_or_b32 v14, v14, s52, v27
	v_lshl_or_b32 v14, v26, 7, v14
	v_cvt_f32_f16_e32 v26, v14
.LBB314_20:                             ;   in Loop: Header=BB314_10 Depth=1
	s_or_b64 exec, exec, s[44:45]
.LBB314_21:                             ;   in Loop: Header=BB314_10 Depth=1
	s_or_b64 exec, exec, s[42:43]
.LBB314_22:                             ;   in Loop: Header=BB314_10 Depth=1
	s_or_b64 exec, exec, s[40:41]
	v_lshrrev_b32_e32 v14, 16, v12
	v_cmp_ne_u16_sdwa s[4:5], v14, v17 src0_sel:BYTE_0 src1_sel:DWORD
	s_and_saveexec_b64 s[40:41], s[4:5]
	s_cbranch_execz .LBB314_28
; %bb.23:                               ;   in Loop: Header=BB314_10 Depth=1
	v_cmp_ne_u16_sdwa s[4:5], v14, s50 src0_sel:BYTE_0 src1_sel:DWORD
	v_bfrev_b32_e32 v25, 1
	s_and_saveexec_b64 s[42:43], s[4:5]
	s_cbranch_execz .LBB314_27
; %bb.24:                               ;   in Loop: Header=BB314_10 Depth=1
	v_bfe_u32 v27, v12, 16, 7
	v_cmp_ne_u32_e64 s[4:5], s51, v27
	v_mov_b32_e32 v25, 0x7fc02000
	s_and_saveexec_b64 s[44:45], s[4:5]
	s_cbranch_execz .LBB314_26
; %bb.25:                               ;   in Loop: Header=BB314_10 Depth=1
	v_and_b32_e32 v25, 7, v14
	v_ffbh_u32_e32 v28, v25
	v_min_u32_e32 v31, 32, v28
	v_subrev_u32_e32 v28, 28, v31
	v_lshlrev_b64 v[28:29], v28, v[14:15]
	v_lshrrev_b32_e32 v30, 3, v27
	v_sub_u32_e32 v29, 29, v31
	v_cmp_gt_u32_e64 s[4:5], 8, v27
	v_cndmask_b32_e64 v27, v30, v29, s[4:5]
	v_and_b32_e32 v28, 7, v28
	v_lshlrev_b32_e32 v14, 8, v14
	v_lshl_add_u32 v27, v27, 10, v21
	v_cndmask_b32_e64 v25, v25, v28, s[4:5]
	v_and_or_b32 v14, v14, s52, v27
	v_lshl_or_b32 v14, v25, 7, v14
	v_cvt_f32_f16_e32 v25, v14
.LBB314_26:                             ;   in Loop: Header=BB314_10 Depth=1
	s_or_b64 exec, exec, s[44:45]
.LBB314_27:                             ;   in Loop: Header=BB314_10 Depth=1
	s_or_b64 exec, exec, s[42:43]
.LBB314_28:                             ;   in Loop: Header=BB314_10 Depth=1
	s_or_b64 exec, exec, s[40:41]
	v_cmp_lt_u32_e64 s[4:5], s53, v12
	v_mov_b32_e32 v28, 0
	v_mov_b32_e32 v27, 0
	s_and_saveexec_b64 s[40:41], s[4:5]
	s_cbranch_execz .LBB314_34
; %bb.29:                               ;   in Loop: Header=BB314_10 Depth=1
	v_lshrrev_b32_e32 v12, 24, v12
	v_cmp_ne_u32_e64 s[4:5], s50, v12
	v_bfrev_b32_e32 v27, 1
	s_and_saveexec_b64 s[42:43], s[4:5]
	s_cbranch_execz .LBB314_33
; %bb.30:                               ;   in Loop: Header=BB314_10 Depth=1
	v_and_b32_e32 v14, 0x7f, v12
	v_cmp_ne_u32_e64 s[4:5], s51, v14
	v_mov_b32_e32 v27, 0x7fc02000
	s_and_saveexec_b64 s[44:45], s[4:5]
	s_cbranch_execz .LBB314_32
; %bb.31:                               ;   in Loop: Header=BB314_10 Depth=1
	v_and_b32_e32 v27, 7, v12
	v_ffbh_u32_e32 v30, v27
	v_min_u32_e32 v32, 32, v30
	v_subrev_u32_e32 v30, 28, v32
	v_lshlrev_b64 v[30:31], v30, v[12:13]
	v_lshrrev_b32_e32 v29, 3, v14
	v_sub_u32_e32 v31, 29, v32
	v_cmp_gt_u32_e64 s[4:5], 8, v14
	v_cndmask_b32_e64 v14, v29, v31, s[4:5]
	v_and_b32_e32 v30, 7, v30
	v_lshlrev_b32_e32 v12, 8, v12
	v_lshl_add_u32 v14, v14, 10, v21
	v_cndmask_b32_e64 v27, v27, v30, s[4:5]
	v_and_or_b32 v12, v12, s52, v14
	v_lshl_or_b32 v12, v27, 7, v12
	v_cvt_f32_f16_e32 v27, v12
.LBB314_32:                             ;   in Loop: Header=BB314_10 Depth=1
	s_or_b64 exec, exec, s[44:45]
.LBB314_33:                             ;   in Loop: Header=BB314_10 Depth=1
	s_or_b64 exec, exec, s[42:43]
.LBB314_34:                             ;   in Loop: Header=BB314_10 Depth=1
	s_or_b64 exec, exec, s[40:41]
	global_load_dword v12, v[10:11], off offset:8
	s_waitcnt vmcnt(0)
	v_cmp_ne_u16_sdwa s[4:5], v12, v17 src0_sel:BYTE_0 src1_sel:DWORD
	s_and_saveexec_b64 s[40:41], s[4:5]
	s_cbranch_execz .LBB314_40
; %bb.35:                               ;   in Loop: Header=BB314_10 Depth=1
	v_cmp_ne_u16_sdwa s[4:5], v12, s50 src0_sel:BYTE_0 src1_sel:DWORD
	v_bfrev_b32_e32 v28, 1
	s_and_saveexec_b64 s[42:43], s[4:5]
	s_cbranch_execz .LBB314_39
; %bb.36:                               ;   in Loop: Header=BB314_10 Depth=1
	v_and_b32_e32 v14, 0x7f, v12
	v_cmp_ne_u32_e64 s[4:5], s51, v14
	v_mov_b32_e32 v28, 0x7fc02000
	s_and_saveexec_b64 s[44:45], s[4:5]
	s_cbranch_execz .LBB314_38
; %bb.37:                               ;   in Loop: Header=BB314_10 Depth=1
	v_and_b32_e32 v30, 7, v12
	v_ffbh_u32_e32 v28, v30
	v_min_u32_e32 v32, 32, v28
	v_subrev_u32_e32 v28, 28, v32
	v_lshlrev_b64 v[28:29], v28, v[12:13]
	v_lshrrev_b32_e32 v31, 3, v14
	v_sub_u32_e32 v29, 29, v32
	v_cmp_gt_u32_e64 s[4:5], 8, v14
	v_cndmask_b32_e64 v14, v31, v29, s[4:5]
	v_and_b32_e32 v28, 7, v28
	v_lshlrev_b32_e32 v29, 8, v12
	v_lshl_add_u32 v14, v14, 10, v21
	v_cndmask_b32_e64 v28, v30, v28, s[4:5]
	v_and_or_b32 v14, v29, s52, v14
	v_lshl_or_b32 v14, v28, 7, v14
	v_cvt_f32_f16_e32 v28, v14
.LBB314_38:                             ;   in Loop: Header=BB314_10 Depth=1
	s_or_b64 exec, exec, s[44:45]
.LBB314_39:                             ;   in Loop: Header=BB314_10 Depth=1
	s_or_b64 exec, exec, s[42:43]
.LBB314_40:                             ;   in Loop: Header=BB314_10 Depth=1
	s_or_b64 exec, exec, s[40:41]
	v_lshrrev_b16_e32 v14, 8, v12
	v_cmp_ne_u16_e64 s[4:5], 0, v14
	v_mov_b32_e32 v29, 0
	v_mov_b32_e32 v30, 0
	s_and_saveexec_b64 s[40:41], s[4:5]
	s_cbranch_execz .LBB314_46
; %bb.41:                               ;   in Loop: Header=BB314_10 Depth=1
	v_cmp_ne_u16_e64 s[4:5], s50, v14
	v_bfrev_b32_e32 v30, 1
	s_and_saveexec_b64 s[42:43], s[4:5]
	s_cbranch_execz .LBB314_45
; %bb.42:                               ;   in Loop: Header=BB314_10 Depth=1
	v_and_b32_e32 v31, 0x7f, v14
	v_cmp_ne_u32_e64 s[4:5], s51, v31
	v_mov_b32_e32 v30, 0x7fc02000
	s_and_saveexec_b64 s[44:45], s[4:5]
	s_cbranch_execz .LBB314_44
; %bb.43:                               ;   in Loop: Header=BB314_10 Depth=1
	v_and_b32_e32 v30, 7, v14
	v_ffbh_u32_e32 v32, v30
	v_min_u32_e32 v35, 32, v32
	v_subrev_u32_e32 v32, 28, v35
	v_lshlrev_b64 v[32:33], v32, v[14:15]
	v_lshrrev_b32_e32 v34, 3, v31
	v_sub_u32_e32 v33, 29, v35
	v_cmp_gt_u32_e64 s[4:5], 8, v31
	v_cndmask_b32_e64 v31, v34, v33, s[4:5]
	v_and_b32_e32 v32, 7, v32
	v_lshlrev_b32_e32 v14, 8, v14
	v_lshl_add_u32 v31, v31, 10, v21
	v_cndmask_b32_e64 v30, v30, v32, s[4:5]
	v_and_or_b32 v14, v14, s52, v31
	v_lshl_or_b32 v14, v30, 7, v14
	v_cvt_f32_f16_e32 v30, v14
.LBB314_44:                             ;   in Loop: Header=BB314_10 Depth=1
	s_or_b64 exec, exec, s[44:45]
.LBB314_45:                             ;   in Loop: Header=BB314_10 Depth=1
	s_or_b64 exec, exec, s[42:43]
.LBB314_46:                             ;   in Loop: Header=BB314_10 Depth=1
	s_or_b64 exec, exec, s[40:41]
	v_lshrrev_b32_e32 v14, 16, v12
	v_cmp_ne_u16_sdwa s[4:5], v14, v17 src0_sel:BYTE_0 src1_sel:DWORD
	s_and_saveexec_b64 s[40:41], s[4:5]
	s_cbranch_execz .LBB314_52
; %bb.47:                               ;   in Loop: Header=BB314_10 Depth=1
	v_cmp_ne_u16_sdwa s[4:5], v14, s50 src0_sel:BYTE_0 src1_sel:DWORD
	v_bfrev_b32_e32 v29, 1
	s_and_saveexec_b64 s[42:43], s[4:5]
	s_cbranch_execz .LBB314_51
; %bb.48:                               ;   in Loop: Header=BB314_10 Depth=1
	v_bfe_u32 v31, v12, 16, 7
	v_cmp_ne_u32_e64 s[4:5], s51, v31
	v_mov_b32_e32 v29, 0x7fc02000
	s_and_saveexec_b64 s[44:45], s[4:5]
	s_cbranch_execz .LBB314_50
; %bb.49:                               ;   in Loop: Header=BB314_10 Depth=1
	v_and_b32_e32 v29, 7, v14
	v_ffbh_u32_e32 v32, v29
	v_min_u32_e32 v35, 32, v32
	v_subrev_u32_e32 v32, 28, v35
	v_lshlrev_b64 v[32:33], v32, v[14:15]
	v_lshrrev_b32_e32 v34, 3, v31
	v_sub_u32_e32 v33, 29, v35
	v_cmp_gt_u32_e64 s[4:5], 8, v31
	v_cndmask_b32_e64 v31, v34, v33, s[4:5]
	v_and_b32_e32 v32, 7, v32
	v_lshlrev_b32_e32 v14, 8, v14
	v_lshl_add_u32 v31, v31, 10, v21
	v_cndmask_b32_e64 v29, v29, v32, s[4:5]
	v_and_or_b32 v14, v14, s52, v31
	v_lshl_or_b32 v14, v29, 7, v14
	v_cvt_f32_f16_e32 v29, v14
.LBB314_50:                             ;   in Loop: Header=BB314_10 Depth=1
	s_or_b64 exec, exec, s[44:45]
.LBB314_51:                             ;   in Loop: Header=BB314_10 Depth=1
	s_or_b64 exec, exec, s[42:43]
.LBB314_52:                             ;   in Loop: Header=BB314_10 Depth=1
	s_or_b64 exec, exec, s[40:41]
	v_cmp_lt_u32_e64 s[4:5], s53, v12
	v_mov_b32_e32 v32, 0
	v_mov_b32_e32 v31, 0
	s_and_saveexec_b64 s[40:41], s[4:5]
	s_cbranch_execz .LBB314_58
; %bb.53:                               ;   in Loop: Header=BB314_10 Depth=1
	v_lshrrev_b32_e32 v12, 24, v12
	v_cmp_ne_u32_e64 s[4:5], s50, v12
	v_bfrev_b32_e32 v31, 1
	s_and_saveexec_b64 s[42:43], s[4:5]
	s_cbranch_execz .LBB314_57
; %bb.54:                               ;   in Loop: Header=BB314_10 Depth=1
	v_and_b32_e32 v14, 0x7f, v12
	v_cmp_ne_u32_e64 s[4:5], s51, v14
	v_mov_b32_e32 v31, 0x7fc02000
	s_and_saveexec_b64 s[44:45], s[4:5]
	s_cbranch_execz .LBB314_56
; %bb.55:                               ;   in Loop: Header=BB314_10 Depth=1
	v_and_b32_e32 v31, 7, v12
	v_ffbh_u32_e32 v34, v31
	v_min_u32_e32 v36, 32, v34
	v_subrev_u32_e32 v34, 28, v36
	v_lshlrev_b64 v[34:35], v34, v[12:13]
	v_lshrrev_b32_e32 v33, 3, v14
	v_sub_u32_e32 v35, 29, v36
	v_cmp_gt_u32_e64 s[4:5], 8, v14
	v_cndmask_b32_e64 v14, v33, v35, s[4:5]
	v_and_b32_e32 v34, 7, v34
	v_lshlrev_b32_e32 v12, 8, v12
	v_lshl_add_u32 v14, v14, 10, v21
	v_cndmask_b32_e64 v31, v31, v34, s[4:5]
	v_and_or_b32 v12, v12, s52, v14
	v_lshl_or_b32 v12, v31, 7, v12
	v_cvt_f32_f16_e32 v31, v12
.LBB314_56:                             ;   in Loop: Header=BB314_10 Depth=1
	s_or_b64 exec, exec, s[44:45]
.LBB314_57:                             ;   in Loop: Header=BB314_10 Depth=1
	s_or_b64 exec, exec, s[42:43]
.LBB314_58:                             ;   in Loop: Header=BB314_10 Depth=1
	s_or_b64 exec, exec, s[40:41]
	global_load_dword v12, v[10:11], off offset:512
	s_waitcnt vmcnt(0)
	v_cmp_ne_u16_sdwa s[4:5], v12, v17 src0_sel:BYTE_0 src1_sel:DWORD
	s_and_saveexec_b64 s[40:41], s[4:5]
	s_cbranch_execz .LBB314_64
; %bb.59:                               ;   in Loop: Header=BB314_10 Depth=1
	v_cmp_ne_u16_sdwa s[4:5], v12, s50 src0_sel:BYTE_0 src1_sel:DWORD
	v_bfrev_b32_e32 v32, 1
	s_and_saveexec_b64 s[42:43], s[4:5]
	s_cbranch_execz .LBB314_63
; %bb.60:                               ;   in Loop: Header=BB314_10 Depth=1
	v_and_b32_e32 v14, 0x7f, v12
	v_cmp_ne_u32_e64 s[4:5], s51, v14
	v_mov_b32_e32 v32, 0x7fc02000
	s_and_saveexec_b64 s[44:45], s[4:5]
	s_cbranch_execz .LBB314_62
; %bb.61:                               ;   in Loop: Header=BB314_10 Depth=1
	v_and_b32_e32 v34, 7, v12
	v_ffbh_u32_e32 v32, v34
	v_min_u32_e32 v36, 32, v32
	v_subrev_u32_e32 v32, 28, v36
	v_lshlrev_b64 v[32:33], v32, v[12:13]
	v_lshrrev_b32_e32 v35, 3, v14
	v_sub_u32_e32 v33, 29, v36
	v_cmp_gt_u32_e64 s[4:5], 8, v14
	v_cndmask_b32_e64 v14, v35, v33, s[4:5]
	v_and_b32_e32 v32, 7, v32
	v_lshlrev_b32_e32 v33, 8, v12
	v_lshl_add_u32 v14, v14, 10, v21
	v_cndmask_b32_e64 v32, v34, v32, s[4:5]
	v_and_or_b32 v14, v33, s52, v14
	v_lshl_or_b32 v14, v32, 7, v14
	v_cvt_f32_f16_e32 v32, v14
.LBB314_62:                             ;   in Loop: Header=BB314_10 Depth=1
	s_or_b64 exec, exec, s[44:45]
.LBB314_63:                             ;   in Loop: Header=BB314_10 Depth=1
	s_or_b64 exec, exec, s[42:43]
.LBB314_64:                             ;   in Loop: Header=BB314_10 Depth=1
	s_or_b64 exec, exec, s[40:41]
	v_lshrrev_b16_e32 v14, 8, v12
	v_cmp_ne_u16_e64 s[4:5], 0, v14
	v_mov_b32_e32 v33, 0
	v_mov_b32_e32 v34, 0
	s_and_saveexec_b64 s[40:41], s[4:5]
	s_cbranch_execz .LBB314_70
; %bb.65:                               ;   in Loop: Header=BB314_10 Depth=1
	v_cmp_ne_u16_e64 s[4:5], s50, v14
	v_bfrev_b32_e32 v34, 1
	s_and_saveexec_b64 s[42:43], s[4:5]
	s_cbranch_execz .LBB314_69
; %bb.66:                               ;   in Loop: Header=BB314_10 Depth=1
	v_and_b32_e32 v35, 0x7f, v14
	v_cmp_ne_u32_e64 s[4:5], s51, v35
	v_mov_b32_e32 v34, 0x7fc02000
	s_and_saveexec_b64 s[44:45], s[4:5]
	s_cbranch_execz .LBB314_68
; %bb.67:                               ;   in Loop: Header=BB314_10 Depth=1
	v_and_b32_e32 v34, 7, v14
	v_ffbh_u32_e32 v36, v34
	v_min_u32_e32 v39, 32, v36
	v_subrev_u32_e32 v36, 28, v39
	v_lshlrev_b64 v[36:37], v36, v[14:15]
	v_lshrrev_b32_e32 v38, 3, v35
	v_sub_u32_e32 v37, 29, v39
	v_cmp_gt_u32_e64 s[4:5], 8, v35
	v_cndmask_b32_e64 v35, v38, v37, s[4:5]
	v_and_b32_e32 v36, 7, v36
	v_lshlrev_b32_e32 v14, 8, v14
	v_lshl_add_u32 v35, v35, 10, v21
	v_cndmask_b32_e64 v34, v34, v36, s[4:5]
	v_and_or_b32 v14, v14, s52, v35
	v_lshl_or_b32 v14, v34, 7, v14
	v_cvt_f32_f16_e32 v34, v14
.LBB314_68:                             ;   in Loop: Header=BB314_10 Depth=1
	s_or_b64 exec, exec, s[44:45]
.LBB314_69:                             ;   in Loop: Header=BB314_10 Depth=1
	s_or_b64 exec, exec, s[42:43]
.LBB314_70:                             ;   in Loop: Header=BB314_10 Depth=1
	s_or_b64 exec, exec, s[40:41]
	v_lshrrev_b32_e32 v14, 16, v12
	v_cmp_ne_u16_sdwa s[4:5], v14, v17 src0_sel:BYTE_0 src1_sel:DWORD
	s_and_saveexec_b64 s[40:41], s[4:5]
	s_cbranch_execz .LBB314_76
; %bb.71:                               ;   in Loop: Header=BB314_10 Depth=1
	v_cmp_ne_u16_sdwa s[4:5], v14, s50 src0_sel:BYTE_0 src1_sel:DWORD
	v_bfrev_b32_e32 v33, 1
	s_and_saveexec_b64 s[42:43], s[4:5]
	s_cbranch_execz .LBB314_75
; %bb.72:                               ;   in Loop: Header=BB314_10 Depth=1
	v_bfe_u32 v35, v12, 16, 7
	v_cmp_ne_u32_e64 s[4:5], s51, v35
	v_mov_b32_e32 v33, 0x7fc02000
	s_and_saveexec_b64 s[44:45], s[4:5]
	s_cbranch_execz .LBB314_74
; %bb.73:                               ;   in Loop: Header=BB314_10 Depth=1
	v_and_b32_e32 v33, 7, v14
	v_ffbh_u32_e32 v36, v33
	v_min_u32_e32 v39, 32, v36
	v_subrev_u32_e32 v36, 28, v39
	v_lshlrev_b64 v[36:37], v36, v[14:15]
	v_lshrrev_b32_e32 v38, 3, v35
	v_sub_u32_e32 v37, 29, v39
	v_cmp_gt_u32_e64 s[4:5], 8, v35
	v_cndmask_b32_e64 v35, v38, v37, s[4:5]
	v_and_b32_e32 v36, 7, v36
	v_lshlrev_b32_e32 v14, 8, v14
	v_lshl_add_u32 v35, v35, 10, v21
	v_cndmask_b32_e64 v33, v33, v36, s[4:5]
	v_and_or_b32 v14, v14, s52, v35
	v_lshl_or_b32 v14, v33, 7, v14
	v_cvt_f32_f16_e32 v33, v14
.LBB314_74:                             ;   in Loop: Header=BB314_10 Depth=1
	s_or_b64 exec, exec, s[44:45]
.LBB314_75:                             ;   in Loop: Header=BB314_10 Depth=1
	s_or_b64 exec, exec, s[42:43]
.LBB314_76:                             ;   in Loop: Header=BB314_10 Depth=1
	s_or_b64 exec, exec, s[40:41]
	v_cmp_lt_u32_e64 s[4:5], s53, v12
	v_mov_b32_e32 v36, 0
	v_mov_b32_e32 v35, 0
	s_and_saveexec_b64 s[40:41], s[4:5]
	s_cbranch_execz .LBB314_82
; %bb.77:                               ;   in Loop: Header=BB314_10 Depth=1
	v_lshrrev_b32_e32 v12, 24, v12
	v_cmp_ne_u32_e64 s[4:5], s50, v12
	v_bfrev_b32_e32 v35, 1
	s_and_saveexec_b64 s[42:43], s[4:5]
	s_cbranch_execz .LBB314_81
; %bb.78:                               ;   in Loop: Header=BB314_10 Depth=1
	v_and_b32_e32 v14, 0x7f, v12
	v_cmp_ne_u32_e64 s[4:5], s51, v14
	v_mov_b32_e32 v35, 0x7fc02000
	s_and_saveexec_b64 s[44:45], s[4:5]
	s_cbranch_execz .LBB314_80
; %bb.79:                               ;   in Loop: Header=BB314_10 Depth=1
	v_and_b32_e32 v35, 7, v12
	v_ffbh_u32_e32 v38, v35
	v_min_u32_e32 v40, 32, v38
	v_subrev_u32_e32 v38, 28, v40
	v_lshlrev_b64 v[38:39], v38, v[12:13]
	v_lshrrev_b32_e32 v37, 3, v14
	v_sub_u32_e32 v39, 29, v40
	v_cmp_gt_u32_e64 s[4:5], 8, v14
	v_cndmask_b32_e64 v14, v37, v39, s[4:5]
	v_and_b32_e32 v38, 7, v38
	v_lshlrev_b32_e32 v12, 8, v12
	v_lshl_add_u32 v14, v14, 10, v21
	v_cndmask_b32_e64 v35, v35, v38, s[4:5]
	v_and_or_b32 v12, v12, s52, v14
	v_lshl_or_b32 v12, v35, 7, v12
	v_cvt_f32_f16_e32 v35, v12
.LBB314_80:                             ;   in Loop: Header=BB314_10 Depth=1
	s_or_b64 exec, exec, s[44:45]
.LBB314_81:                             ;   in Loop: Header=BB314_10 Depth=1
	s_or_b64 exec, exec, s[42:43]
.LBB314_82:                             ;   in Loop: Header=BB314_10 Depth=1
	s_or_b64 exec, exec, s[40:41]
	global_load_dword v12, v[10:11], off offset:520
	s_waitcnt vmcnt(0)
	v_cmp_ne_u16_sdwa s[4:5], v12, v17 src0_sel:BYTE_0 src1_sel:DWORD
	s_and_saveexec_b64 s[40:41], s[4:5]
	s_cbranch_execz .LBB314_88
; %bb.83:                               ;   in Loop: Header=BB314_10 Depth=1
	v_cmp_ne_u16_sdwa s[4:5], v12, s50 src0_sel:BYTE_0 src1_sel:DWORD
	v_bfrev_b32_e32 v36, 1
	s_and_saveexec_b64 s[42:43], s[4:5]
	s_cbranch_execz .LBB314_87
; %bb.84:                               ;   in Loop: Header=BB314_10 Depth=1
	v_and_b32_e32 v14, 0x7f, v12
	v_cmp_ne_u32_e64 s[4:5], s51, v14
	v_mov_b32_e32 v36, 0x7fc02000
	s_and_saveexec_b64 s[44:45], s[4:5]
	s_cbranch_execz .LBB314_86
; %bb.85:                               ;   in Loop: Header=BB314_10 Depth=1
	v_and_b32_e32 v38, 7, v12
	v_ffbh_u32_e32 v36, v38
	v_min_u32_e32 v40, 32, v36
	v_subrev_u32_e32 v36, 28, v40
	v_lshlrev_b64 v[36:37], v36, v[12:13]
	v_lshrrev_b32_e32 v39, 3, v14
	v_sub_u32_e32 v37, 29, v40
	v_cmp_gt_u32_e64 s[4:5], 8, v14
	v_cndmask_b32_e64 v14, v39, v37, s[4:5]
	v_and_b32_e32 v36, 7, v36
	v_lshlrev_b32_e32 v37, 8, v12
	v_lshl_add_u32 v14, v14, 10, v21
	v_cndmask_b32_e64 v36, v38, v36, s[4:5]
	v_and_or_b32 v14, v37, s52, v14
	v_lshl_or_b32 v14, v36, 7, v14
	v_cvt_f32_f16_e32 v36, v14
.LBB314_86:                             ;   in Loop: Header=BB314_10 Depth=1
	s_or_b64 exec, exec, s[44:45]
.LBB314_87:                             ;   in Loop: Header=BB314_10 Depth=1
	s_or_b64 exec, exec, s[42:43]
.LBB314_88:                             ;   in Loop: Header=BB314_10 Depth=1
	s_or_b64 exec, exec, s[40:41]
	v_lshrrev_b16_e32 v14, 8, v12
	v_cmp_ne_u16_e64 s[4:5], 0, v14
	v_mov_b32_e32 v37, 0
	v_mov_b32_e32 v38, 0
	s_and_saveexec_b64 s[40:41], s[4:5]
	s_cbranch_execz .LBB314_94
; %bb.89:                               ;   in Loop: Header=BB314_10 Depth=1
	v_cmp_ne_u16_e64 s[4:5], s50, v14
	v_bfrev_b32_e32 v38, 1
	s_and_saveexec_b64 s[42:43], s[4:5]
	s_cbranch_execz .LBB314_93
; %bb.90:                               ;   in Loop: Header=BB314_10 Depth=1
	v_and_b32_e32 v39, 0x7f, v14
	v_cmp_ne_u32_e64 s[4:5], s51, v39
	v_mov_b32_e32 v38, 0x7fc02000
	s_and_saveexec_b64 s[44:45], s[4:5]
	s_cbranch_execz .LBB314_92
; %bb.91:                               ;   in Loop: Header=BB314_10 Depth=1
	v_and_b32_e32 v38, 7, v14
	v_ffbh_u32_e32 v40, v38
	v_min_u32_e32 v43, 32, v40
	v_subrev_u32_e32 v40, 28, v43
	v_lshlrev_b64 v[40:41], v40, v[14:15]
	v_lshrrev_b32_e32 v42, 3, v39
	v_sub_u32_e32 v41, 29, v43
	v_cmp_gt_u32_e64 s[4:5], 8, v39
	v_cndmask_b32_e64 v39, v42, v41, s[4:5]
	v_and_b32_e32 v40, 7, v40
	v_lshlrev_b32_e32 v14, 8, v14
	v_lshl_add_u32 v39, v39, 10, v21
	v_cndmask_b32_e64 v38, v38, v40, s[4:5]
	v_and_or_b32 v14, v14, s52, v39
	v_lshl_or_b32 v14, v38, 7, v14
	v_cvt_f32_f16_e32 v38, v14
.LBB314_92:                             ;   in Loop: Header=BB314_10 Depth=1
	s_or_b64 exec, exec, s[44:45]
.LBB314_93:                             ;   in Loop: Header=BB314_10 Depth=1
	s_or_b64 exec, exec, s[42:43]
.LBB314_94:                             ;   in Loop: Header=BB314_10 Depth=1
	s_or_b64 exec, exec, s[40:41]
	v_lshrrev_b32_e32 v14, 16, v12
	v_cmp_ne_u16_sdwa s[4:5], v14, v17 src0_sel:BYTE_0 src1_sel:DWORD
	s_and_saveexec_b64 s[40:41], s[4:5]
	s_cbranch_execz .LBB314_100
; %bb.95:                               ;   in Loop: Header=BB314_10 Depth=1
	v_cmp_ne_u16_sdwa s[4:5], v14, s50 src0_sel:BYTE_0 src1_sel:DWORD
	v_bfrev_b32_e32 v37, 1
	s_and_saveexec_b64 s[42:43], s[4:5]
	s_cbranch_execz .LBB314_99
; %bb.96:                               ;   in Loop: Header=BB314_10 Depth=1
	v_bfe_u32 v39, v12, 16, 7
	v_cmp_ne_u32_e64 s[4:5], s51, v39
	v_mov_b32_e32 v37, 0x7fc02000
	s_and_saveexec_b64 s[44:45], s[4:5]
	s_cbranch_execz .LBB314_98
; %bb.97:                               ;   in Loop: Header=BB314_10 Depth=1
	v_and_b32_e32 v37, 7, v14
	v_ffbh_u32_e32 v40, v37
	v_min_u32_e32 v43, 32, v40
	v_subrev_u32_e32 v40, 28, v43
	v_lshlrev_b64 v[40:41], v40, v[14:15]
	v_lshrrev_b32_e32 v42, 3, v39
	v_sub_u32_e32 v41, 29, v43
	v_cmp_gt_u32_e64 s[4:5], 8, v39
	v_cndmask_b32_e64 v39, v42, v41, s[4:5]
	v_and_b32_e32 v40, 7, v40
	v_lshlrev_b32_e32 v14, 8, v14
	v_lshl_add_u32 v39, v39, 10, v21
	v_cndmask_b32_e64 v37, v37, v40, s[4:5]
	v_and_or_b32 v14, v14, s52, v39
	v_lshl_or_b32 v14, v37, 7, v14
	v_cvt_f32_f16_e32 v37, v14
.LBB314_98:                             ;   in Loop: Header=BB314_10 Depth=1
	s_or_b64 exec, exec, s[44:45]
.LBB314_99:                             ;   in Loop: Header=BB314_10 Depth=1
	s_or_b64 exec, exec, s[42:43]
.LBB314_100:                            ;   in Loop: Header=BB314_10 Depth=1
	s_or_b64 exec, exec, s[40:41]
	v_cmp_lt_u32_e64 s[4:5], s53, v12
	v_mov_b32_e32 v40, 0
	v_mov_b32_e32 v39, 0
	s_and_saveexec_b64 s[40:41], s[4:5]
	s_cbranch_execz .LBB314_106
; %bb.101:                              ;   in Loop: Header=BB314_10 Depth=1
	v_lshrrev_b32_e32 v12, 24, v12
	v_cmp_ne_u32_e64 s[4:5], s50, v12
	v_bfrev_b32_e32 v39, 1
	s_and_saveexec_b64 s[42:43], s[4:5]
	s_cbranch_execz .LBB314_105
; %bb.102:                              ;   in Loop: Header=BB314_10 Depth=1
	v_and_b32_e32 v14, 0x7f, v12
	v_cmp_ne_u32_e64 s[4:5], s51, v14
	v_mov_b32_e32 v39, 0x7fc02000
	s_and_saveexec_b64 s[44:45], s[4:5]
	s_cbranch_execz .LBB314_104
; %bb.103:                              ;   in Loop: Header=BB314_10 Depth=1
	v_and_b32_e32 v39, 7, v12
	v_ffbh_u32_e32 v42, v39
	v_min_u32_e32 v44, 32, v42
	v_subrev_u32_e32 v42, 28, v44
	v_lshlrev_b64 v[42:43], v42, v[12:13]
	v_lshrrev_b32_e32 v41, 3, v14
	v_sub_u32_e32 v43, 29, v44
	v_cmp_gt_u32_e64 s[4:5], 8, v14
	v_cndmask_b32_e64 v14, v41, v43, s[4:5]
	v_and_b32_e32 v42, 7, v42
	v_lshlrev_b32_e32 v12, 8, v12
	v_lshl_add_u32 v14, v14, 10, v21
	v_cndmask_b32_e64 v39, v39, v42, s[4:5]
	v_and_or_b32 v12, v12, s52, v14
	v_lshl_or_b32 v12, v39, 7, v12
	v_cvt_f32_f16_e32 v39, v12
.LBB314_104:                            ;   in Loop: Header=BB314_10 Depth=1
	s_or_b64 exec, exec, s[44:45]
.LBB314_105:                            ;   in Loop: Header=BB314_10 Depth=1
	s_or_b64 exec, exec, s[42:43]
.LBB314_106:                            ;   in Loop: Header=BB314_10 Depth=1
	s_or_b64 exec, exec, s[40:41]
	global_load_dword v12, v[10:11], off offset:1024
	s_waitcnt vmcnt(0)
	v_cmp_ne_u16_sdwa s[4:5], v12, v17 src0_sel:BYTE_0 src1_sel:DWORD
	s_and_saveexec_b64 s[40:41], s[4:5]
	s_cbranch_execz .LBB314_112
; %bb.107:                              ;   in Loop: Header=BB314_10 Depth=1
	v_cmp_ne_u16_sdwa s[4:5], v12, s50 src0_sel:BYTE_0 src1_sel:DWORD
	v_bfrev_b32_e32 v40, 1
	s_and_saveexec_b64 s[42:43], s[4:5]
	s_cbranch_execz .LBB314_111
; %bb.108:                              ;   in Loop: Header=BB314_10 Depth=1
	v_and_b32_e32 v14, 0x7f, v12
	v_cmp_ne_u32_e64 s[4:5], s51, v14
	v_mov_b32_e32 v40, 0x7fc02000
	s_and_saveexec_b64 s[44:45], s[4:5]
	s_cbranch_execz .LBB314_110
; %bb.109:                              ;   in Loop: Header=BB314_10 Depth=1
	v_and_b32_e32 v42, 7, v12
	v_ffbh_u32_e32 v40, v42
	v_min_u32_e32 v44, 32, v40
	v_subrev_u32_e32 v40, 28, v44
	v_lshlrev_b64 v[40:41], v40, v[12:13]
	v_lshrrev_b32_e32 v43, 3, v14
	v_sub_u32_e32 v41, 29, v44
	v_cmp_gt_u32_e64 s[4:5], 8, v14
	v_cndmask_b32_e64 v14, v43, v41, s[4:5]
	v_and_b32_e32 v40, 7, v40
	v_lshlrev_b32_e32 v41, 8, v12
	v_lshl_add_u32 v14, v14, 10, v21
	v_cndmask_b32_e64 v40, v42, v40, s[4:5]
	v_and_or_b32 v14, v41, s52, v14
	v_lshl_or_b32 v14, v40, 7, v14
	v_cvt_f32_f16_e32 v40, v14
.LBB314_110:                            ;   in Loop: Header=BB314_10 Depth=1
	s_or_b64 exec, exec, s[44:45]
.LBB314_111:                            ;   in Loop: Header=BB314_10 Depth=1
	s_or_b64 exec, exec, s[42:43]
.LBB314_112:                            ;   in Loop: Header=BB314_10 Depth=1
	s_or_b64 exec, exec, s[40:41]
	v_lshrrev_b16_e32 v14, 8, v12
	v_cmp_ne_u16_e64 s[4:5], 0, v14
	v_mov_b32_e32 v41, 0
	v_mov_b32_e32 v42, 0
	s_and_saveexec_b64 s[40:41], s[4:5]
	s_cbranch_execz .LBB314_118
; %bb.113:                              ;   in Loop: Header=BB314_10 Depth=1
	v_cmp_ne_u16_e64 s[4:5], s50, v14
	v_bfrev_b32_e32 v42, 1
	s_and_saveexec_b64 s[42:43], s[4:5]
	s_cbranch_execz .LBB314_117
; %bb.114:                              ;   in Loop: Header=BB314_10 Depth=1
	v_and_b32_e32 v43, 0x7f, v14
	v_cmp_ne_u32_e64 s[4:5], s51, v43
	v_mov_b32_e32 v42, 0x7fc02000
	s_and_saveexec_b64 s[44:45], s[4:5]
	s_cbranch_execz .LBB314_116
; %bb.115:                              ;   in Loop: Header=BB314_10 Depth=1
	v_and_b32_e32 v42, 7, v14
	v_ffbh_u32_e32 v44, v42
	v_min_u32_e32 v47, 32, v44
	v_subrev_u32_e32 v44, 28, v47
	v_lshlrev_b64 v[44:45], v44, v[14:15]
	v_lshrrev_b32_e32 v46, 3, v43
	v_sub_u32_e32 v45, 29, v47
	v_cmp_gt_u32_e64 s[4:5], 8, v43
	v_cndmask_b32_e64 v43, v46, v45, s[4:5]
	v_and_b32_e32 v44, 7, v44
	v_lshlrev_b32_e32 v14, 8, v14
	v_lshl_add_u32 v43, v43, 10, v21
	v_cndmask_b32_e64 v42, v42, v44, s[4:5]
	v_and_or_b32 v14, v14, s52, v43
	v_lshl_or_b32 v14, v42, 7, v14
	v_cvt_f32_f16_e32 v42, v14
.LBB314_116:                            ;   in Loop: Header=BB314_10 Depth=1
	s_or_b64 exec, exec, s[44:45]
.LBB314_117:                            ;   in Loop: Header=BB314_10 Depth=1
	s_or_b64 exec, exec, s[42:43]
.LBB314_118:                            ;   in Loop: Header=BB314_10 Depth=1
	s_or_b64 exec, exec, s[40:41]
	v_lshrrev_b32_e32 v14, 16, v12
	v_cmp_ne_u16_sdwa s[4:5], v14, v17 src0_sel:BYTE_0 src1_sel:DWORD
	s_and_saveexec_b64 s[40:41], s[4:5]
	s_cbranch_execz .LBB314_124
; %bb.119:                              ;   in Loop: Header=BB314_10 Depth=1
	v_cmp_ne_u16_sdwa s[4:5], v14, s50 src0_sel:BYTE_0 src1_sel:DWORD
	v_bfrev_b32_e32 v41, 1
	s_and_saveexec_b64 s[42:43], s[4:5]
	s_cbranch_execz .LBB314_123
; %bb.120:                              ;   in Loop: Header=BB314_10 Depth=1
	v_bfe_u32 v43, v12, 16, 7
	v_cmp_ne_u32_e64 s[4:5], s51, v43
	v_mov_b32_e32 v41, 0x7fc02000
	s_and_saveexec_b64 s[44:45], s[4:5]
	s_cbranch_execz .LBB314_122
; %bb.121:                              ;   in Loop: Header=BB314_10 Depth=1
	v_and_b32_e32 v41, 7, v14
	v_ffbh_u32_e32 v44, v41
	v_min_u32_e32 v47, 32, v44
	v_subrev_u32_e32 v44, 28, v47
	v_lshlrev_b64 v[44:45], v44, v[14:15]
	v_lshrrev_b32_e32 v46, 3, v43
	v_sub_u32_e32 v45, 29, v47
	v_cmp_gt_u32_e64 s[4:5], 8, v43
	v_cndmask_b32_e64 v43, v46, v45, s[4:5]
	v_and_b32_e32 v44, 7, v44
	v_lshlrev_b32_e32 v14, 8, v14
	v_lshl_add_u32 v43, v43, 10, v21
	v_cndmask_b32_e64 v41, v41, v44, s[4:5]
	v_and_or_b32 v14, v14, s52, v43
	v_lshl_or_b32 v14, v41, 7, v14
	v_cvt_f32_f16_e32 v41, v14
.LBB314_122:                            ;   in Loop: Header=BB314_10 Depth=1
	s_or_b64 exec, exec, s[44:45]
.LBB314_123:                            ;   in Loop: Header=BB314_10 Depth=1
	s_or_b64 exec, exec, s[42:43]
.LBB314_124:                            ;   in Loop: Header=BB314_10 Depth=1
	s_or_b64 exec, exec, s[40:41]
	v_cmp_lt_u32_e64 s[4:5], s53, v12
	v_mov_b32_e32 v44, 0
	v_mov_b32_e32 v43, 0
	s_and_saveexec_b64 s[40:41], s[4:5]
	s_cbranch_execz .LBB314_130
; %bb.125:                              ;   in Loop: Header=BB314_10 Depth=1
	v_lshrrev_b32_e32 v12, 24, v12
	v_cmp_ne_u32_e64 s[4:5], s50, v12
	v_bfrev_b32_e32 v43, 1
	s_and_saveexec_b64 s[42:43], s[4:5]
	s_cbranch_execz .LBB314_129
; %bb.126:                              ;   in Loop: Header=BB314_10 Depth=1
	v_and_b32_e32 v14, 0x7f, v12
	v_cmp_ne_u32_e64 s[4:5], s51, v14
	v_mov_b32_e32 v43, 0x7fc02000
	s_and_saveexec_b64 s[44:45], s[4:5]
	s_cbranch_execz .LBB314_128
; %bb.127:                              ;   in Loop: Header=BB314_10 Depth=1
	v_and_b32_e32 v43, 7, v12
	v_ffbh_u32_e32 v46, v43
	v_min_u32_e32 v48, 32, v46
	v_subrev_u32_e32 v46, 28, v48
	v_lshlrev_b64 v[46:47], v46, v[12:13]
	v_lshrrev_b32_e32 v45, 3, v14
	v_sub_u32_e32 v47, 29, v48
	v_cmp_gt_u32_e64 s[4:5], 8, v14
	v_cndmask_b32_e64 v14, v45, v47, s[4:5]
	v_and_b32_e32 v46, 7, v46
	v_lshlrev_b32_e32 v12, 8, v12
	v_lshl_add_u32 v14, v14, 10, v21
	v_cndmask_b32_e64 v43, v43, v46, s[4:5]
	v_and_or_b32 v12, v12, s52, v14
	v_lshl_or_b32 v12, v43, 7, v12
	v_cvt_f32_f16_e32 v43, v12
.LBB314_128:                            ;   in Loop: Header=BB314_10 Depth=1
	s_or_b64 exec, exec, s[44:45]
.LBB314_129:                            ;   in Loop: Header=BB314_10 Depth=1
	s_or_b64 exec, exec, s[42:43]
.LBB314_130:                            ;   in Loop: Header=BB314_10 Depth=1
	s_or_b64 exec, exec, s[40:41]
	global_load_dword v12, v[10:11], off offset:1032
	s_waitcnt vmcnt(0)
	v_cmp_ne_u16_sdwa s[4:5], v12, v17 src0_sel:BYTE_0 src1_sel:DWORD
	s_and_saveexec_b64 s[40:41], s[4:5]
	s_cbranch_execz .LBB314_136
; %bb.131:                              ;   in Loop: Header=BB314_10 Depth=1
	v_cmp_ne_u16_sdwa s[4:5], v12, s50 src0_sel:BYTE_0 src1_sel:DWORD
	v_bfrev_b32_e32 v44, 1
	s_and_saveexec_b64 s[42:43], s[4:5]
	s_cbranch_execz .LBB314_135
; %bb.132:                              ;   in Loop: Header=BB314_10 Depth=1
	v_and_b32_e32 v14, 0x7f, v12
	v_cmp_ne_u32_e64 s[4:5], s51, v14
	v_mov_b32_e32 v44, 0x7fc02000
	s_and_saveexec_b64 s[44:45], s[4:5]
	s_cbranch_execz .LBB314_134
; %bb.133:                              ;   in Loop: Header=BB314_10 Depth=1
	v_and_b32_e32 v46, 7, v12
	v_ffbh_u32_e32 v44, v46
	v_min_u32_e32 v48, 32, v44
	v_subrev_u32_e32 v44, 28, v48
	v_lshlrev_b64 v[44:45], v44, v[12:13]
	v_lshrrev_b32_e32 v47, 3, v14
	v_sub_u32_e32 v45, 29, v48
	v_cmp_gt_u32_e64 s[4:5], 8, v14
	v_cndmask_b32_e64 v14, v47, v45, s[4:5]
	v_and_b32_e32 v44, 7, v44
	v_lshlrev_b32_e32 v45, 8, v12
	v_lshl_add_u32 v14, v14, 10, v21
	v_cndmask_b32_e64 v44, v46, v44, s[4:5]
	v_and_or_b32 v14, v45, s52, v14
	v_lshl_or_b32 v14, v44, 7, v14
	v_cvt_f32_f16_e32 v44, v14
.LBB314_134:                            ;   in Loop: Header=BB314_10 Depth=1
	s_or_b64 exec, exec, s[44:45]
.LBB314_135:                            ;   in Loop: Header=BB314_10 Depth=1
	s_or_b64 exec, exec, s[42:43]
.LBB314_136:                            ;   in Loop: Header=BB314_10 Depth=1
	s_or_b64 exec, exec, s[40:41]
	v_lshrrev_b16_e32 v14, 8, v12
	v_cmp_ne_u16_e64 s[4:5], 0, v14
	v_mov_b32_e32 v45, 0
	v_mov_b32_e32 v46, 0
	s_and_saveexec_b64 s[40:41], s[4:5]
	s_cbranch_execz .LBB314_142
; %bb.137:                              ;   in Loop: Header=BB314_10 Depth=1
	v_cmp_ne_u16_e64 s[4:5], s50, v14
	v_bfrev_b32_e32 v46, 1
	s_and_saveexec_b64 s[42:43], s[4:5]
	s_cbranch_execz .LBB314_141
; %bb.138:                              ;   in Loop: Header=BB314_10 Depth=1
	v_and_b32_e32 v47, 0x7f, v14
	v_cmp_ne_u32_e64 s[4:5], s51, v47
	v_mov_b32_e32 v46, 0x7fc02000
	s_and_saveexec_b64 s[44:45], s[4:5]
	s_cbranch_execz .LBB314_140
; %bb.139:                              ;   in Loop: Header=BB314_10 Depth=1
	v_and_b32_e32 v46, 7, v14
	v_ffbh_u32_e32 v48, v46
	v_min_u32_e32 v51, 32, v48
	v_subrev_u32_e32 v48, 28, v51
	v_lshlrev_b64 v[48:49], v48, v[14:15]
	v_lshrrev_b32_e32 v50, 3, v47
	v_sub_u32_e32 v49, 29, v51
	v_cmp_gt_u32_e64 s[4:5], 8, v47
	v_cndmask_b32_e64 v47, v50, v49, s[4:5]
	v_and_b32_e32 v48, 7, v48
	v_lshlrev_b32_e32 v14, 8, v14
	v_lshl_add_u32 v47, v47, 10, v21
	v_cndmask_b32_e64 v46, v46, v48, s[4:5]
	v_and_or_b32 v14, v14, s52, v47
	v_lshl_or_b32 v14, v46, 7, v14
	v_cvt_f32_f16_e32 v46, v14
.LBB314_140:                            ;   in Loop: Header=BB314_10 Depth=1
	s_or_b64 exec, exec, s[44:45]
.LBB314_141:                            ;   in Loop: Header=BB314_10 Depth=1
	s_or_b64 exec, exec, s[42:43]
.LBB314_142:                            ;   in Loop: Header=BB314_10 Depth=1
	s_or_b64 exec, exec, s[40:41]
	v_lshrrev_b32_e32 v14, 16, v12
	v_cmp_ne_u16_sdwa s[4:5], v14, v17 src0_sel:BYTE_0 src1_sel:DWORD
	s_and_saveexec_b64 s[40:41], s[4:5]
	s_cbranch_execz .LBB314_148
; %bb.143:                              ;   in Loop: Header=BB314_10 Depth=1
	v_cmp_ne_u16_sdwa s[4:5], v14, s50 src0_sel:BYTE_0 src1_sel:DWORD
	v_bfrev_b32_e32 v45, 1
	s_and_saveexec_b64 s[42:43], s[4:5]
	s_cbranch_execz .LBB314_147
; %bb.144:                              ;   in Loop: Header=BB314_10 Depth=1
	v_bfe_u32 v47, v12, 16, 7
	v_cmp_ne_u32_e64 s[4:5], s51, v47
	v_mov_b32_e32 v45, 0x7fc02000
	s_and_saveexec_b64 s[44:45], s[4:5]
	s_cbranch_execz .LBB314_146
; %bb.145:                              ;   in Loop: Header=BB314_10 Depth=1
	v_and_b32_e32 v45, 7, v14
	v_ffbh_u32_e32 v48, v45
	v_min_u32_e32 v51, 32, v48
	v_subrev_u32_e32 v48, 28, v51
	v_lshlrev_b64 v[48:49], v48, v[14:15]
	v_lshrrev_b32_e32 v50, 3, v47
	v_sub_u32_e32 v49, 29, v51
	v_cmp_gt_u32_e64 s[4:5], 8, v47
	v_cndmask_b32_e64 v47, v50, v49, s[4:5]
	v_and_b32_e32 v48, 7, v48
	v_lshlrev_b32_e32 v14, 8, v14
	v_lshl_add_u32 v47, v47, 10, v21
	v_cndmask_b32_e64 v45, v45, v48, s[4:5]
	v_and_or_b32 v14, v14, s52, v47
	v_lshl_or_b32 v14, v45, 7, v14
	v_cvt_f32_f16_e32 v45, v14
.LBB314_146:                            ;   in Loop: Header=BB314_10 Depth=1
	s_or_b64 exec, exec, s[44:45]
.LBB314_147:                            ;   in Loop: Header=BB314_10 Depth=1
	s_or_b64 exec, exec, s[42:43]
.LBB314_148:                            ;   in Loop: Header=BB314_10 Depth=1
	s_or_b64 exec, exec, s[40:41]
	v_cmp_lt_u32_e64 s[4:5], s53, v12
	v_mov_b32_e32 v48, 0
	v_mov_b32_e32 v47, 0
	s_and_saveexec_b64 s[40:41], s[4:5]
	s_cbranch_execz .LBB314_154
; %bb.149:                              ;   in Loop: Header=BB314_10 Depth=1
	v_lshrrev_b32_e32 v12, 24, v12
	v_cmp_ne_u32_e64 s[4:5], s50, v12
	v_bfrev_b32_e32 v47, 1
	s_and_saveexec_b64 s[42:43], s[4:5]
	s_cbranch_execz .LBB314_153
; %bb.150:                              ;   in Loop: Header=BB314_10 Depth=1
	v_and_b32_e32 v14, 0x7f, v12
	v_cmp_ne_u32_e64 s[4:5], s51, v14
	v_mov_b32_e32 v47, 0x7fc02000
	s_and_saveexec_b64 s[44:45], s[4:5]
	s_cbranch_execz .LBB314_152
; %bb.151:                              ;   in Loop: Header=BB314_10 Depth=1
	v_and_b32_e32 v47, 7, v12
	v_ffbh_u32_e32 v50, v47
	v_min_u32_e32 v52, 32, v50
	v_subrev_u32_e32 v50, 28, v52
	v_lshlrev_b64 v[50:51], v50, v[12:13]
	v_lshrrev_b32_e32 v49, 3, v14
	v_sub_u32_e32 v51, 29, v52
	v_cmp_gt_u32_e64 s[4:5], 8, v14
	v_cndmask_b32_e64 v14, v49, v51, s[4:5]
	v_and_b32_e32 v50, 7, v50
	v_lshlrev_b32_e32 v12, 8, v12
	v_lshl_add_u32 v14, v14, 10, v21
	v_cndmask_b32_e64 v47, v47, v50, s[4:5]
	v_and_or_b32 v12, v12, s52, v14
	v_lshl_or_b32 v12, v47, 7, v12
	v_cvt_f32_f16_e32 v47, v12
.LBB314_152:                            ;   in Loop: Header=BB314_10 Depth=1
	s_or_b64 exec, exec, s[44:45]
.LBB314_153:                            ;   in Loop: Header=BB314_10 Depth=1
	s_or_b64 exec, exec, s[42:43]
.LBB314_154:                            ;   in Loop: Header=BB314_10 Depth=1
	s_or_b64 exec, exec, s[40:41]
	global_load_dword v12, v[10:11], off offset:1536
	s_waitcnt vmcnt(0)
	v_cmp_ne_u16_sdwa s[4:5], v12, v17 src0_sel:BYTE_0 src1_sel:DWORD
	s_and_saveexec_b64 s[40:41], s[4:5]
	s_cbranch_execz .LBB314_160
; %bb.155:                              ;   in Loop: Header=BB314_10 Depth=1
	v_cmp_ne_u16_sdwa s[4:5], v12, s50 src0_sel:BYTE_0 src1_sel:DWORD
	v_bfrev_b32_e32 v48, 1
	s_and_saveexec_b64 s[42:43], s[4:5]
	s_cbranch_execz .LBB314_159
; %bb.156:                              ;   in Loop: Header=BB314_10 Depth=1
	v_and_b32_e32 v14, 0x7f, v12
	v_cmp_ne_u32_e64 s[4:5], s51, v14
	v_mov_b32_e32 v48, 0x7fc02000
	s_and_saveexec_b64 s[44:45], s[4:5]
	s_cbranch_execz .LBB314_158
; %bb.157:                              ;   in Loop: Header=BB314_10 Depth=1
	v_and_b32_e32 v50, 7, v12
	v_ffbh_u32_e32 v48, v50
	v_min_u32_e32 v52, 32, v48
	v_subrev_u32_e32 v48, 28, v52
	v_lshlrev_b64 v[48:49], v48, v[12:13]
	v_lshrrev_b32_e32 v51, 3, v14
	v_sub_u32_e32 v49, 29, v52
	v_cmp_gt_u32_e64 s[4:5], 8, v14
	v_cndmask_b32_e64 v14, v51, v49, s[4:5]
	v_and_b32_e32 v48, 7, v48
	v_lshlrev_b32_e32 v49, 8, v12
	v_lshl_add_u32 v14, v14, 10, v21
	v_cndmask_b32_e64 v48, v50, v48, s[4:5]
	v_and_or_b32 v14, v49, s52, v14
	v_lshl_or_b32 v14, v48, 7, v14
	v_cvt_f32_f16_e32 v48, v14
.LBB314_158:                            ;   in Loop: Header=BB314_10 Depth=1
	s_or_b64 exec, exec, s[44:45]
.LBB314_159:                            ;   in Loop: Header=BB314_10 Depth=1
	s_or_b64 exec, exec, s[42:43]
.LBB314_160:                            ;   in Loop: Header=BB314_10 Depth=1
	s_or_b64 exec, exec, s[40:41]
	v_lshrrev_b16_e32 v14, 8, v12
	v_cmp_ne_u16_e64 s[4:5], 0, v14
	v_mov_b32_e32 v49, 0
	v_mov_b32_e32 v50, 0
	s_and_saveexec_b64 s[40:41], s[4:5]
	s_cbranch_execz .LBB314_166
; %bb.161:                              ;   in Loop: Header=BB314_10 Depth=1
	v_cmp_ne_u16_e64 s[4:5], s50, v14
	v_bfrev_b32_e32 v50, 1
	s_and_saveexec_b64 s[42:43], s[4:5]
	s_cbranch_execz .LBB314_165
; %bb.162:                              ;   in Loop: Header=BB314_10 Depth=1
	v_and_b32_e32 v51, 0x7f, v14
	v_cmp_ne_u32_e64 s[4:5], s51, v51
	v_mov_b32_e32 v50, 0x7fc02000
	s_and_saveexec_b64 s[44:45], s[4:5]
	s_cbranch_execz .LBB314_164
; %bb.163:                              ;   in Loop: Header=BB314_10 Depth=1
	v_and_b32_e32 v50, 7, v14
	v_ffbh_u32_e32 v52, v50
	v_min_u32_e32 v55, 32, v52
	v_subrev_u32_e32 v52, 28, v55
	v_lshlrev_b64 v[52:53], v52, v[14:15]
	v_lshrrev_b32_e32 v54, 3, v51
	v_sub_u32_e32 v53, 29, v55
	v_cmp_gt_u32_e64 s[4:5], 8, v51
	v_cndmask_b32_e64 v51, v54, v53, s[4:5]
	v_and_b32_e32 v52, 7, v52
	v_lshlrev_b32_e32 v14, 8, v14
	v_lshl_add_u32 v51, v51, 10, v21
	v_cndmask_b32_e64 v50, v50, v52, s[4:5]
	v_and_or_b32 v14, v14, s52, v51
	v_lshl_or_b32 v14, v50, 7, v14
	v_cvt_f32_f16_e32 v50, v14
.LBB314_164:                            ;   in Loop: Header=BB314_10 Depth=1
	s_or_b64 exec, exec, s[44:45]
.LBB314_165:                            ;   in Loop: Header=BB314_10 Depth=1
	s_or_b64 exec, exec, s[42:43]
.LBB314_166:                            ;   in Loop: Header=BB314_10 Depth=1
	s_or_b64 exec, exec, s[40:41]
	v_lshrrev_b32_e32 v14, 16, v12
	v_cmp_ne_u16_sdwa s[4:5], v14, v17 src0_sel:BYTE_0 src1_sel:DWORD
	s_and_saveexec_b64 s[40:41], s[4:5]
	s_cbranch_execz .LBB314_172
; %bb.167:                              ;   in Loop: Header=BB314_10 Depth=1
	v_cmp_ne_u16_sdwa s[4:5], v14, s50 src0_sel:BYTE_0 src1_sel:DWORD
	v_bfrev_b32_e32 v49, 1
	s_and_saveexec_b64 s[42:43], s[4:5]
	s_cbranch_execz .LBB314_171
; %bb.168:                              ;   in Loop: Header=BB314_10 Depth=1
	v_bfe_u32 v51, v12, 16, 7
	v_cmp_ne_u32_e64 s[4:5], s51, v51
	v_mov_b32_e32 v49, 0x7fc02000
	s_and_saveexec_b64 s[44:45], s[4:5]
	s_cbranch_execz .LBB314_170
; %bb.169:                              ;   in Loop: Header=BB314_10 Depth=1
	v_and_b32_e32 v49, 7, v14
	v_ffbh_u32_e32 v52, v49
	v_min_u32_e32 v55, 32, v52
	v_subrev_u32_e32 v52, 28, v55
	v_lshlrev_b64 v[52:53], v52, v[14:15]
	v_lshrrev_b32_e32 v54, 3, v51
	v_sub_u32_e32 v53, 29, v55
	v_cmp_gt_u32_e64 s[4:5], 8, v51
	v_cndmask_b32_e64 v51, v54, v53, s[4:5]
	v_and_b32_e32 v52, 7, v52
	v_lshlrev_b32_e32 v14, 8, v14
	v_lshl_add_u32 v51, v51, 10, v21
	v_cndmask_b32_e64 v49, v49, v52, s[4:5]
	v_and_or_b32 v14, v14, s52, v51
	v_lshl_or_b32 v14, v49, 7, v14
	v_cvt_f32_f16_e32 v49, v14
.LBB314_170:                            ;   in Loop: Header=BB314_10 Depth=1
	s_or_b64 exec, exec, s[44:45]
.LBB314_171:                            ;   in Loop: Header=BB314_10 Depth=1
	s_or_b64 exec, exec, s[42:43]
.LBB314_172:                            ;   in Loop: Header=BB314_10 Depth=1
	s_or_b64 exec, exec, s[40:41]
	v_cmp_lt_u32_e64 s[4:5], s53, v12
	v_mov_b32_e32 v52, 0
	v_mov_b32_e32 v51, 0
	s_and_saveexec_b64 s[40:41], s[4:5]
	s_cbranch_execz .LBB314_178
; %bb.173:                              ;   in Loop: Header=BB314_10 Depth=1
	v_lshrrev_b32_e32 v12, 24, v12
	v_cmp_ne_u32_e64 s[4:5], s50, v12
	v_bfrev_b32_e32 v51, 1
	s_and_saveexec_b64 s[42:43], s[4:5]
	s_cbranch_execz .LBB314_177
; %bb.174:                              ;   in Loop: Header=BB314_10 Depth=1
	v_and_b32_e32 v14, 0x7f, v12
	v_cmp_ne_u32_e64 s[4:5], s51, v14
	v_mov_b32_e32 v51, 0x7fc02000
	s_and_saveexec_b64 s[44:45], s[4:5]
	s_cbranch_execz .LBB314_176
; %bb.175:                              ;   in Loop: Header=BB314_10 Depth=1
	v_and_b32_e32 v51, 7, v12
	v_ffbh_u32_e32 v54, v51
	v_min_u32_e32 v56, 32, v54
	v_subrev_u32_e32 v54, 28, v56
	v_lshlrev_b64 v[54:55], v54, v[12:13]
	v_lshrrev_b32_e32 v53, 3, v14
	v_sub_u32_e32 v55, 29, v56
	v_cmp_gt_u32_e64 s[4:5], 8, v14
	v_cndmask_b32_e64 v14, v53, v55, s[4:5]
	v_and_b32_e32 v54, 7, v54
	v_lshlrev_b32_e32 v12, 8, v12
	v_lshl_add_u32 v14, v14, 10, v21
	v_cndmask_b32_e64 v51, v51, v54, s[4:5]
	v_and_or_b32 v12, v12, s52, v14
	v_lshl_or_b32 v12, v51, 7, v12
	v_cvt_f32_f16_e32 v51, v12
.LBB314_176:                            ;   in Loop: Header=BB314_10 Depth=1
	s_or_b64 exec, exec, s[44:45]
.LBB314_177:                            ;   in Loop: Header=BB314_10 Depth=1
	s_or_b64 exec, exec, s[42:43]
.LBB314_178:                            ;   in Loop: Header=BB314_10 Depth=1
	s_or_b64 exec, exec, s[40:41]
	global_load_dword v12, v[10:11], off offset:1544
	s_waitcnt vmcnt(0)
	v_cmp_ne_u16_sdwa s[4:5], v12, v17 src0_sel:BYTE_0 src1_sel:DWORD
	s_and_saveexec_b64 s[40:41], s[4:5]
	s_cbranch_execz .LBB314_184
; %bb.179:                              ;   in Loop: Header=BB314_10 Depth=1
	v_cmp_ne_u16_sdwa s[4:5], v12, s50 src0_sel:BYTE_0 src1_sel:DWORD
	v_bfrev_b32_e32 v52, 1
	s_and_saveexec_b64 s[42:43], s[4:5]
	s_cbranch_execz .LBB314_183
; %bb.180:                              ;   in Loop: Header=BB314_10 Depth=1
	v_and_b32_e32 v14, 0x7f, v12
	v_cmp_ne_u32_e64 s[4:5], s51, v14
	v_mov_b32_e32 v52, 0x7fc02000
	s_and_saveexec_b64 s[44:45], s[4:5]
	s_cbranch_execz .LBB314_182
; %bb.181:                              ;   in Loop: Header=BB314_10 Depth=1
	v_and_b32_e32 v54, 7, v12
	v_ffbh_u32_e32 v52, v54
	v_min_u32_e32 v56, 32, v52
	v_subrev_u32_e32 v52, 28, v56
	v_lshlrev_b64 v[52:53], v52, v[12:13]
	v_lshrrev_b32_e32 v55, 3, v14
	v_sub_u32_e32 v53, 29, v56
	v_cmp_gt_u32_e64 s[4:5], 8, v14
	v_cndmask_b32_e64 v14, v55, v53, s[4:5]
	v_and_b32_e32 v52, 7, v52
	v_lshlrev_b32_e32 v53, 8, v12
	v_lshl_add_u32 v14, v14, 10, v21
	v_cndmask_b32_e64 v52, v54, v52, s[4:5]
	v_and_or_b32 v14, v53, s52, v14
	v_lshl_or_b32 v14, v52, 7, v14
	v_cvt_f32_f16_e32 v52, v14
.LBB314_182:                            ;   in Loop: Header=BB314_10 Depth=1
	s_or_b64 exec, exec, s[44:45]
.LBB314_183:                            ;   in Loop: Header=BB314_10 Depth=1
	s_or_b64 exec, exec, s[42:43]
.LBB314_184:                            ;   in Loop: Header=BB314_10 Depth=1
	s_or_b64 exec, exec, s[40:41]
	v_lshrrev_b16_e32 v14, 8, v12
	v_cmp_ne_u16_e64 s[4:5], 0, v14
	v_mov_b32_e32 v53, 0
	v_mov_b32_e32 v54, 0
	s_and_saveexec_b64 s[40:41], s[4:5]
	s_cbranch_execz .LBB314_190
; %bb.185:                              ;   in Loop: Header=BB314_10 Depth=1
	v_cmp_ne_u16_e64 s[4:5], s50, v14
	v_bfrev_b32_e32 v54, 1
	s_and_saveexec_b64 s[42:43], s[4:5]
	s_cbranch_execz .LBB314_189
; %bb.186:                              ;   in Loop: Header=BB314_10 Depth=1
	v_and_b32_e32 v55, 0x7f, v14
	v_cmp_ne_u32_e64 s[4:5], s51, v55
	v_mov_b32_e32 v54, 0x7fc02000
	s_and_saveexec_b64 s[44:45], s[4:5]
	s_cbranch_execz .LBB314_188
; %bb.187:                              ;   in Loop: Header=BB314_10 Depth=1
	v_and_b32_e32 v54, 7, v14
	v_ffbh_u32_e32 v56, v54
	v_min_u32_e32 v59, 32, v56
	v_subrev_u32_e32 v56, 28, v59
	v_lshlrev_b64 v[56:57], v56, v[14:15]
	v_lshrrev_b32_e32 v58, 3, v55
	v_sub_u32_e32 v57, 29, v59
	v_cmp_gt_u32_e64 s[4:5], 8, v55
	v_cndmask_b32_e64 v55, v58, v57, s[4:5]
	v_and_b32_e32 v56, 7, v56
	v_lshlrev_b32_e32 v14, 8, v14
	v_lshl_add_u32 v55, v55, 10, v21
	v_cndmask_b32_e64 v54, v54, v56, s[4:5]
	v_and_or_b32 v14, v14, s52, v55
	v_lshl_or_b32 v14, v54, 7, v14
	v_cvt_f32_f16_e32 v54, v14
.LBB314_188:                            ;   in Loop: Header=BB314_10 Depth=1
	s_or_b64 exec, exec, s[44:45]
.LBB314_189:                            ;   in Loop: Header=BB314_10 Depth=1
	s_or_b64 exec, exec, s[42:43]
.LBB314_190:                            ;   in Loop: Header=BB314_10 Depth=1
	s_or_b64 exec, exec, s[40:41]
	v_lshrrev_b32_e32 v14, 16, v12
	v_cmp_ne_u16_sdwa s[4:5], v14, v17 src0_sel:BYTE_0 src1_sel:DWORD
	s_and_saveexec_b64 s[40:41], s[4:5]
	s_cbranch_execz .LBB314_196
; %bb.191:                              ;   in Loop: Header=BB314_10 Depth=1
	v_cmp_ne_u16_sdwa s[4:5], v14, s50 src0_sel:BYTE_0 src1_sel:DWORD
	v_bfrev_b32_e32 v53, 1
	s_and_saveexec_b64 s[42:43], s[4:5]
	s_cbranch_execz .LBB314_195
; %bb.192:                              ;   in Loop: Header=BB314_10 Depth=1
	v_bfe_u32 v55, v12, 16, 7
	v_cmp_ne_u32_e64 s[4:5], s51, v55
	v_mov_b32_e32 v53, 0x7fc02000
	s_and_saveexec_b64 s[44:45], s[4:5]
	s_cbranch_execz .LBB314_194
; %bb.193:                              ;   in Loop: Header=BB314_10 Depth=1
	v_and_b32_e32 v53, 7, v14
	v_ffbh_u32_e32 v56, v53
	v_min_u32_e32 v59, 32, v56
	v_subrev_u32_e32 v56, 28, v59
	v_lshlrev_b64 v[56:57], v56, v[14:15]
	v_lshrrev_b32_e32 v58, 3, v55
	v_sub_u32_e32 v57, 29, v59
	v_cmp_gt_u32_e64 s[4:5], 8, v55
	v_cndmask_b32_e64 v55, v58, v57, s[4:5]
	v_and_b32_e32 v56, 7, v56
	v_lshlrev_b32_e32 v14, 8, v14
	v_lshl_add_u32 v55, v55, 10, v21
	v_cndmask_b32_e64 v53, v53, v56, s[4:5]
	v_and_or_b32 v14, v14, s52, v55
	v_lshl_or_b32 v14, v53, 7, v14
	v_cvt_f32_f16_e32 v53, v14
.LBB314_194:                            ;   in Loop: Header=BB314_10 Depth=1
	s_or_b64 exec, exec, s[44:45]
.LBB314_195:                            ;   in Loop: Header=BB314_10 Depth=1
	s_or_b64 exec, exec, s[42:43]
.LBB314_196:                            ;   in Loop: Header=BB314_10 Depth=1
	s_or_b64 exec, exec, s[40:41]
	v_cmp_lt_u32_e64 s[4:5], s53, v12
	v_mov_b32_e32 v56, 0
	v_mov_b32_e32 v55, 0
	s_and_saveexec_b64 s[40:41], s[4:5]
	s_cbranch_execz .LBB314_202
; %bb.197:                              ;   in Loop: Header=BB314_10 Depth=1
	v_lshrrev_b32_e32 v12, 24, v12
	v_cmp_ne_u32_e64 s[4:5], s50, v12
	v_bfrev_b32_e32 v55, 1
	s_and_saveexec_b64 s[42:43], s[4:5]
	s_cbranch_execz .LBB314_201
; %bb.198:                              ;   in Loop: Header=BB314_10 Depth=1
	v_and_b32_e32 v14, 0x7f, v12
	v_cmp_ne_u32_e64 s[4:5], s51, v14
	v_mov_b32_e32 v55, 0x7fc02000
	s_and_saveexec_b64 s[44:45], s[4:5]
	s_cbranch_execz .LBB314_200
; %bb.199:                              ;   in Loop: Header=BB314_10 Depth=1
	v_and_b32_e32 v55, 7, v12
	v_ffbh_u32_e32 v58, v55
	v_min_u32_e32 v60, 32, v58
	v_subrev_u32_e32 v58, 28, v60
	v_lshlrev_b64 v[58:59], v58, v[12:13]
	v_lshrrev_b32_e32 v57, 3, v14
	v_sub_u32_e32 v59, 29, v60
	v_cmp_gt_u32_e64 s[4:5], 8, v14
	v_cndmask_b32_e64 v14, v57, v59, s[4:5]
	v_and_b32_e32 v58, 7, v58
	v_lshlrev_b32_e32 v12, 8, v12
	v_lshl_add_u32 v14, v14, 10, v21
	v_cndmask_b32_e64 v55, v55, v58, s[4:5]
	v_and_or_b32 v12, v12, s52, v14
	v_lshl_or_b32 v12, v55, 7, v12
	v_cvt_f32_f16_e32 v55, v12
.LBB314_200:                            ;   in Loop: Header=BB314_10 Depth=1
	s_or_b64 exec, exec, s[44:45]
.LBB314_201:                            ;   in Loop: Header=BB314_10 Depth=1
	s_or_b64 exec, exec, s[42:43]
.LBB314_202:                            ;   in Loop: Header=BB314_10 Depth=1
	s_or_b64 exec, exec, s[40:41]
	global_load_dword v12, v[10:11], off offset:2048
	s_waitcnt vmcnt(0)
	v_cmp_ne_u16_sdwa s[4:5], v12, v17 src0_sel:BYTE_0 src1_sel:DWORD
	s_and_saveexec_b64 s[40:41], s[4:5]
	s_cbranch_execz .LBB314_208
; %bb.203:                              ;   in Loop: Header=BB314_10 Depth=1
	v_cmp_ne_u16_sdwa s[4:5], v12, s50 src0_sel:BYTE_0 src1_sel:DWORD
	v_bfrev_b32_e32 v56, 1
	s_and_saveexec_b64 s[42:43], s[4:5]
	s_cbranch_execz .LBB314_207
; %bb.204:                              ;   in Loop: Header=BB314_10 Depth=1
	v_and_b32_e32 v14, 0x7f, v12
	v_cmp_ne_u32_e64 s[4:5], s51, v14
	v_mov_b32_e32 v56, 0x7fc02000
	s_and_saveexec_b64 s[44:45], s[4:5]
	s_cbranch_execz .LBB314_206
; %bb.205:                              ;   in Loop: Header=BB314_10 Depth=1
	v_and_b32_e32 v58, 7, v12
	v_ffbh_u32_e32 v56, v58
	v_min_u32_e32 v60, 32, v56
	v_subrev_u32_e32 v56, 28, v60
	v_lshlrev_b64 v[56:57], v56, v[12:13]
	v_lshrrev_b32_e32 v59, 3, v14
	v_sub_u32_e32 v57, 29, v60
	v_cmp_gt_u32_e64 s[4:5], 8, v14
	v_cndmask_b32_e64 v14, v59, v57, s[4:5]
	v_and_b32_e32 v56, 7, v56
	v_lshlrev_b32_e32 v57, 8, v12
	v_lshl_add_u32 v14, v14, 10, v21
	v_cndmask_b32_e64 v56, v58, v56, s[4:5]
	v_and_or_b32 v14, v57, s52, v14
	v_lshl_or_b32 v14, v56, 7, v14
	v_cvt_f32_f16_e32 v56, v14
.LBB314_206:                            ;   in Loop: Header=BB314_10 Depth=1
	s_or_b64 exec, exec, s[44:45]
.LBB314_207:                            ;   in Loop: Header=BB314_10 Depth=1
	s_or_b64 exec, exec, s[42:43]
.LBB314_208:                            ;   in Loop: Header=BB314_10 Depth=1
	s_or_b64 exec, exec, s[40:41]
	v_lshrrev_b16_e32 v14, 8, v12
	v_cmp_ne_u16_e64 s[4:5], 0, v14
	v_mov_b32_e32 v57, 0
	v_mov_b32_e32 v58, 0
	s_and_saveexec_b64 s[40:41], s[4:5]
	s_cbranch_execz .LBB314_214
; %bb.209:                              ;   in Loop: Header=BB314_10 Depth=1
	v_cmp_ne_u16_e64 s[4:5], s50, v14
	v_bfrev_b32_e32 v58, 1
	s_and_saveexec_b64 s[42:43], s[4:5]
	s_cbranch_execz .LBB314_213
; %bb.210:                              ;   in Loop: Header=BB314_10 Depth=1
	v_and_b32_e32 v59, 0x7f, v14
	v_cmp_ne_u32_e64 s[4:5], s51, v59
	v_mov_b32_e32 v58, 0x7fc02000
	s_and_saveexec_b64 s[44:45], s[4:5]
	s_cbranch_execz .LBB314_212
; %bb.211:                              ;   in Loop: Header=BB314_10 Depth=1
	v_and_b32_e32 v58, 7, v14
	v_ffbh_u32_e32 v60, v58
	v_min_u32_e32 v63, 32, v60
	v_subrev_u32_e32 v60, 28, v63
	v_lshlrev_b64 v[60:61], v60, v[14:15]
	v_lshrrev_b32_e32 v62, 3, v59
	v_sub_u32_e32 v61, 29, v63
	v_cmp_gt_u32_e64 s[4:5], 8, v59
	v_cndmask_b32_e64 v59, v62, v61, s[4:5]
	v_and_b32_e32 v60, 7, v60
	v_lshlrev_b32_e32 v14, 8, v14
	v_lshl_add_u32 v59, v59, 10, v21
	v_cndmask_b32_e64 v58, v58, v60, s[4:5]
	v_and_or_b32 v14, v14, s52, v59
	v_lshl_or_b32 v14, v58, 7, v14
	v_cvt_f32_f16_e32 v58, v14
.LBB314_212:                            ;   in Loop: Header=BB314_10 Depth=1
	s_or_b64 exec, exec, s[44:45]
.LBB314_213:                            ;   in Loop: Header=BB314_10 Depth=1
	s_or_b64 exec, exec, s[42:43]
.LBB314_214:                            ;   in Loop: Header=BB314_10 Depth=1
	s_or_b64 exec, exec, s[40:41]
	v_lshrrev_b32_e32 v14, 16, v12
	v_cmp_ne_u16_sdwa s[4:5], v14, v17 src0_sel:BYTE_0 src1_sel:DWORD
	s_and_saveexec_b64 s[40:41], s[4:5]
	s_cbranch_execz .LBB314_220
; %bb.215:                              ;   in Loop: Header=BB314_10 Depth=1
	v_cmp_ne_u16_sdwa s[4:5], v14, s50 src0_sel:BYTE_0 src1_sel:DWORD
	v_bfrev_b32_e32 v57, 1
	s_and_saveexec_b64 s[42:43], s[4:5]
	s_cbranch_execz .LBB314_219
; %bb.216:                              ;   in Loop: Header=BB314_10 Depth=1
	v_bfe_u32 v59, v12, 16, 7
	v_cmp_ne_u32_e64 s[4:5], s51, v59
	v_mov_b32_e32 v57, 0x7fc02000
	s_and_saveexec_b64 s[44:45], s[4:5]
	s_cbranch_execz .LBB314_218
; %bb.217:                              ;   in Loop: Header=BB314_10 Depth=1
	v_and_b32_e32 v57, 7, v14
	v_ffbh_u32_e32 v60, v57
	v_min_u32_e32 v63, 32, v60
	v_subrev_u32_e32 v60, 28, v63
	v_lshlrev_b64 v[60:61], v60, v[14:15]
	v_lshrrev_b32_e32 v62, 3, v59
	v_sub_u32_e32 v61, 29, v63
	v_cmp_gt_u32_e64 s[4:5], 8, v59
	v_cndmask_b32_e64 v59, v62, v61, s[4:5]
	v_and_b32_e32 v60, 7, v60
	v_lshlrev_b32_e32 v14, 8, v14
	v_lshl_add_u32 v59, v59, 10, v21
	v_cndmask_b32_e64 v57, v57, v60, s[4:5]
	v_and_or_b32 v14, v14, s52, v59
	v_lshl_or_b32 v14, v57, 7, v14
	v_cvt_f32_f16_e32 v57, v14
.LBB314_218:                            ;   in Loop: Header=BB314_10 Depth=1
	s_or_b64 exec, exec, s[44:45]
.LBB314_219:                            ;   in Loop: Header=BB314_10 Depth=1
	s_or_b64 exec, exec, s[42:43]
.LBB314_220:                            ;   in Loop: Header=BB314_10 Depth=1
	s_or_b64 exec, exec, s[40:41]
	v_cmp_lt_u32_e64 s[4:5], s53, v12
	v_mov_b32_e32 v14, 0
	v_mov_b32_e32 v59, 0
	s_and_saveexec_b64 s[40:41], s[4:5]
	s_cbranch_execz .LBB314_226
; %bb.221:                              ;   in Loop: Header=BB314_10 Depth=1
	v_lshrrev_b32_e32 v12, 24, v12
	v_cmp_ne_u32_e64 s[4:5], s50, v12
	v_bfrev_b32_e32 v59, 1
	s_and_saveexec_b64 s[42:43], s[4:5]
	s_cbranch_execz .LBB314_225
; %bb.222:                              ;   in Loop: Header=BB314_10 Depth=1
	v_and_b32_e32 v60, 0x7f, v12
	v_cmp_ne_u32_e64 s[4:5], s51, v60
	v_mov_b32_e32 v59, 0x7fc02000
	s_and_saveexec_b64 s[44:45], s[4:5]
	s_cbranch_execz .LBB314_224
; %bb.223:                              ;   in Loop: Header=BB314_10 Depth=1
	v_and_b32_e32 v59, 7, v12
	v_ffbh_u32_e32 v62, v59
	v_min_u32_e32 v64, 32, v62
	v_subrev_u32_e32 v62, 28, v64
	v_lshlrev_b64 v[62:63], v62, v[12:13]
	v_lshrrev_b32_e32 v61, 3, v60
	v_sub_u32_e32 v63, 29, v64
	v_cmp_gt_u32_e64 s[4:5], 8, v60
	v_cndmask_b32_e64 v60, v61, v63, s[4:5]
	v_and_b32_e32 v62, 7, v62
	v_lshlrev_b32_e32 v12, 8, v12
	v_lshl_add_u32 v60, v60, 10, v21
	v_cndmask_b32_e64 v59, v59, v62, s[4:5]
	v_and_or_b32 v12, v12, s52, v60
	v_lshl_or_b32 v12, v59, 7, v12
	v_cvt_f32_f16_e32 v59, v12
.LBB314_224:                            ;   in Loop: Header=BB314_10 Depth=1
	s_or_b64 exec, exec, s[44:45]
.LBB314_225:                            ;   in Loop: Header=BB314_10 Depth=1
	s_or_b64 exec, exec, s[42:43]
.LBB314_226:                            ;   in Loop: Header=BB314_10 Depth=1
	s_or_b64 exec, exec, s[40:41]
	global_load_dword v10, v[10:11], off offset:2056
	s_waitcnt vmcnt(0)
	v_cmp_ne_u16_sdwa s[4:5], v10, v17 src0_sel:BYTE_0 src1_sel:DWORD
	s_and_saveexec_b64 s[40:41], s[4:5]
	s_cbranch_execz .LBB314_232
; %bb.227:                              ;   in Loop: Header=BB314_10 Depth=1
	v_cmp_ne_u16_sdwa s[4:5], v10, s50 src0_sel:BYTE_0 src1_sel:DWORD
	v_bfrev_b32_e32 v14, 1
	s_and_saveexec_b64 s[42:43], s[4:5]
	s_cbranch_execz .LBB314_231
; %bb.228:                              ;   in Loop: Header=BB314_10 Depth=1
	v_and_b32_e32 v11, 0x7f, v10
	v_cmp_ne_u32_e64 s[4:5], s51, v11
	v_mov_b32_e32 v14, 0x7fc02000
	s_and_saveexec_b64 s[44:45], s[4:5]
	s_cbranch_execz .LBB314_230
; %bb.229:                              ;   in Loop: Header=BB314_10 Depth=1
	v_and_b32_e32 v12, 7, v10
	v_ffbh_u32_e32 v60, v12
	v_min_u32_e32 v62, 32, v60
	v_subrev_u32_e32 v60, 28, v62
	v_lshlrev_b64 v[60:61], v60, v[10:11]
	v_lshrrev_b32_e32 v14, 3, v11
	v_sub_u32_e32 v61, 29, v62
	v_cmp_gt_u32_e64 s[4:5], 8, v11
	v_cndmask_b32_e64 v11, v14, v61, s[4:5]
	v_and_b32_e32 v60, 7, v60
	v_lshlrev_b32_e32 v14, 8, v10
	v_lshl_add_u32 v11, v11, 10, v21
	v_cndmask_b32_e64 v12, v12, v60, s[4:5]
	v_and_or_b32 v11, v14, s52, v11
	v_lshl_or_b32 v11, v12, 7, v11
	v_cvt_f32_f16_e32 v14, v11
.LBB314_230:                            ;   in Loop: Header=BB314_10 Depth=1
	s_or_b64 exec, exec, s[44:45]
.LBB314_231:                            ;   in Loop: Header=BB314_10 Depth=1
	s_or_b64 exec, exec, s[42:43]
.LBB314_232:                            ;   in Loop: Header=BB314_10 Depth=1
	s_or_b64 exec, exec, s[40:41]
	v_lshrrev_b16_e32 v12, 8, v10
	v_cmp_ne_u16_e64 s[4:5], 0, v12
	v_mov_b32_e32 v60, 0
	v_mov_b32_e32 v61, 0
	s_and_saveexec_b64 s[40:41], s[4:5]
	s_cbranch_execz .LBB314_238
; %bb.233:                              ;   in Loop: Header=BB314_10 Depth=1
	v_cmp_ne_u16_e64 s[4:5], s50, v12
	v_bfrev_b32_e32 v61, 1
	s_and_saveexec_b64 s[42:43], s[4:5]
	s_cbranch_execz .LBB314_237
; %bb.234:                              ;   in Loop: Header=BB314_10 Depth=1
	v_and_b32_e32 v11, 0x7f, v12
	v_cmp_ne_u32_e64 s[4:5], s51, v11
	v_mov_b32_e32 v61, 0x7fc02000
	s_and_saveexec_b64 s[44:45], s[4:5]
	s_cbranch_execz .LBB314_236
; %bb.235:                              ;   in Loop: Header=BB314_10 Depth=1
	v_and_b32_e32 v61, 7, v12
	v_ffbh_u32_e32 v62, v61
	v_min_u32_e32 v65, 32, v62
	v_subrev_u32_e32 v62, 28, v65
	v_lshlrev_b64 v[62:63], v62, v[12:13]
	v_lshrrev_b32_e32 v64, 3, v11
	v_sub_u32_e32 v63, 29, v65
	v_cmp_gt_u32_e64 s[4:5], 8, v11
	v_cndmask_b32_e64 v11, v64, v63, s[4:5]
	v_and_b32_e32 v62, 7, v62
	v_lshlrev_b32_e32 v12, 8, v12
	v_lshl_add_u32 v11, v11, 10, v21
	v_cndmask_b32_e64 v61, v61, v62, s[4:5]
	v_and_or_b32 v11, v12, s52, v11
	v_lshl_or_b32 v11, v61, 7, v11
	v_cvt_f32_f16_e32 v61, v11
.LBB314_236:                            ;   in Loop: Header=BB314_10 Depth=1
	s_or_b64 exec, exec, s[44:45]
.LBB314_237:                            ;   in Loop: Header=BB314_10 Depth=1
	s_or_b64 exec, exec, s[42:43]
.LBB314_238:                            ;   in Loop: Header=BB314_10 Depth=1
	s_or_b64 exec, exec, s[40:41]
	v_lshrrev_b32_e32 v12, 16, v10
	v_cmp_ne_u16_sdwa s[4:5], v12, v17 src0_sel:BYTE_0 src1_sel:DWORD
	s_and_saveexec_b64 s[40:41], s[4:5]
	s_cbranch_execz .LBB314_244
; %bb.239:                              ;   in Loop: Header=BB314_10 Depth=1
	v_cmp_ne_u16_sdwa s[4:5], v12, s50 src0_sel:BYTE_0 src1_sel:DWORD
	v_bfrev_b32_e32 v60, 1
	s_and_saveexec_b64 s[42:43], s[4:5]
	s_cbranch_execz .LBB314_243
; %bb.240:                              ;   in Loop: Header=BB314_10 Depth=1
	v_bfe_u32 v11, v10, 16, 7
	v_cmp_ne_u32_e64 s[4:5], s51, v11
	v_mov_b32_e32 v60, 0x7fc02000
	s_and_saveexec_b64 s[44:45], s[4:5]
	s_cbranch_execz .LBB314_242
; %bb.241:                              ;   in Loop: Header=BB314_10 Depth=1
	v_and_b32_e32 v60, 7, v12
	v_ffbh_u32_e32 v62, v60
	v_min_u32_e32 v65, 32, v62
	v_subrev_u32_e32 v62, 28, v65
	v_lshlrev_b64 v[62:63], v62, v[12:13]
	v_lshrrev_b32_e32 v64, 3, v11
	v_sub_u32_e32 v63, 29, v65
	v_cmp_gt_u32_e64 s[4:5], 8, v11
	v_cndmask_b32_e64 v11, v64, v63, s[4:5]
	v_and_b32_e32 v62, 7, v62
	v_lshlrev_b32_e32 v12, 8, v12
	v_lshl_add_u32 v11, v11, 10, v21
	v_cndmask_b32_e64 v60, v60, v62, s[4:5]
	v_and_or_b32 v11, v12, s52, v11
	v_lshl_or_b32 v11, v60, 7, v11
	v_cvt_f32_f16_e32 v60, v11
.LBB314_242:                            ;   in Loop: Header=BB314_10 Depth=1
	s_or_b64 exec, exec, s[44:45]
.LBB314_243:                            ;   in Loop: Header=BB314_10 Depth=1
	s_or_b64 exec, exec, s[42:43]
.LBB314_244:                            ;   in Loop: Header=BB314_10 Depth=1
	s_or_b64 exec, exec, s[40:41]
	v_cmp_lt_u32_e64 s[4:5], s53, v10
	v_mov_b32_e32 v62, 0
	s_and_saveexec_b64 s[40:41], s[4:5]
	s_cbranch_execz .LBB314_250
; %bb.245:                              ;   in Loop: Header=BB314_10 Depth=1
	v_lshrrev_b32_e32 v10, 24, v10
	v_cmp_ne_u32_e64 s[4:5], s50, v10
	v_bfrev_b32_e32 v62, 1
	s_and_saveexec_b64 s[42:43], s[4:5]
	s_cbranch_execz .LBB314_249
; %bb.246:                              ;   in Loop: Header=BB314_10 Depth=1
	v_and_b32_e32 v11, 0x7f, v10
	v_cmp_ne_u32_e64 s[4:5], s51, v11
	v_mov_b32_e32 v62, 0x7fc02000
	s_and_saveexec_b64 s[44:45], s[4:5]
	s_cbranch_execz .LBB314_248
; %bb.247:                              ;   in Loop: Header=BB314_10 Depth=1
	v_and_b32_e32 v12, 7, v10
	v_ffbh_u32_e32 v62, v12
	v_min_u32_e32 v65, 32, v62
	v_subrev_u32_e32 v62, 28, v65
	v_lshlrev_b64 v[62:63], v62, v[10:11]
	v_lshrrev_b32_e32 v64, 3, v11
	v_sub_u32_e32 v63, 29, v65
	v_cmp_gt_u32_e64 s[4:5], 8, v11
	v_cndmask_b32_e64 v11, v64, v63, s[4:5]
	v_and_b32_e32 v62, 7, v62
	v_lshlrev_b32_e32 v10, 8, v10
	v_lshl_add_u32 v11, v11, 10, v21
	v_cndmask_b32_e64 v12, v12, v62, s[4:5]
	v_and_or_b32 v10, v10, s52, v11
	v_lshl_or_b32 v10, v12, 7, v10
	v_cvt_f32_f16_e32 v62, v10
.LBB314_248:                            ;   in Loop: Header=BB314_10 Depth=1
	s_or_b64 exec, exec, s[44:45]
.LBB314_249:                            ;   in Loop: Header=BB314_10 Depth=1
	s_or_b64 exec, exec, s[42:43]
.LBB314_250:                            ;   in Loop: Header=BB314_10 Depth=1
	s_or_b64 exec, exec, s[40:41]
	v_fma_mixlo_f16 v12, v23, v58, 0
	v_fma_mixlo_f16 v11, v23, v57, 0
	;; [unrolled: 1-line block ×4, first 2 shown]
	ds_read_b64 v[28:29], v18
	v_fma_mixlo_f16 v24, v23, v24, 0
	v_fma_mixlo_f16 v10, v23, v59, 0
	;; [unrolled: 1-line block ×3, first 2 shown]
	v_and_b32_e32 v24, 0xffff, v24
	s_waitcnt lgkmcnt(0)
	v_lshrrev_b32_e32 v59, 16, v28
	v_and_b32_e32 v28, 0xffff, v28
	;;#ASMSTART
	v_cvt_f32_f16 v28, v28;
	;;#ASMEND
	;;#ASMSTART
	v_cvt_f32_f16 v59, v59;
	;;#ASMEND
	;; [unrolled: 3-line block ×3, first 2 shown]
	v_and_b32_e32 v24, 0xffff, v26
	v_fma_mixlo_f16 v25, v23, v25, 0
	;;#ASMSTART
	v_cvt_f32_f16 v26, v24;
	;;#ASMEND
	v_lshrrev_b32_e32 v24, 16, v29
	v_and_b32_e32 v29, 0xffff, v29
	v_fma_mixlo_f16 v27, v23, v27, 0
	;;#ASMSTART
	v_cvt_f32_f16 v29, v29;
	;;#ASMEND
	;;#ASMSTART
	v_cvt_f32_f16 v64, v24;
	;;#ASMEND
	v_and_b32_e32 v24, 0xffff, v25
	;;#ASMSTART
	v_cvt_f32_f16 v65, v24;
	;;#ASMEND
	v_and_b32_e32 v24, 0xffff, v27
	;;#ASMSTART
	v_cvt_f32_f16 v27, v24;
	;;#ASMEND
	ds_read_b64 v[24:25], v18 offset:8
	v_fma_mixlo_f16 v56, v23, v56, 0
	v_fma_mixlo_f16 v54, v23, v54, 0
	;; [unrolled: 1-line block ×31, first 2 shown]
	s_waitcnt lgkmcnt(0)
	v_lshrrev_b32_e32 v62, 16, v24
	v_and_b32_e32 v24, 0xffff, v24
	v_and_b32_e32 v57, 0xffff, v57
	;;#ASMSTART
	v_cvt_f32_f16 v24, v24;
	;;#ASMEND
	;;#ASMSTART
	v_cvt_f32_f16 v62, v62;
	;;#ASMEND
	;; [unrolled: 3-line block ×3, first 2 shown]
	v_and_b32_e32 v30, 0xffff, v30
	v_mul_f32_e32 v57, v24, v57
	;;#ASMSTART
	v_cvt_f32_f16 v30, v30;
	;;#ASMEND
	v_fmac_f32_e32 v57, v28, v63
	v_mul_f32_e32 v28, v62, v30
	v_lshrrev_b32_e32 v24, 16, v25
	v_fmac_f32_e32 v28, v59, v26
	v_and_b32_e32 v25, 0xffff, v25
	;;#ASMSTART
	v_cvt_f32_f16 v26, v25;
	;;#ASMEND
	;;#ASMSTART
	v_cvt_f32_f16 v30, v24;
	;;#ASMEND
	v_and_b32_e32 v24, 0xffff, v58
	;;#ASMSTART
	v_cvt_f32_f16 v58, v24;
	;;#ASMEND
	v_and_b32_e32 v24, 0xffff, v31
	;;#ASMSTART
	v_cvt_f32_f16 v31, v24;
	;;#ASMEND
	ds_read_b64 v[24:25], v18 offset:16
	v_mul_f32_e32 v26, v26, v58
	v_fmac_f32_e32 v26, v29, v65
	v_mul_f32_e32 v29, v30, v31
	v_fmac_f32_e32 v29, v64, v27
	s_waitcnt lgkmcnt(0)
	v_lshrrev_b32_e32 v27, 16, v24
	v_and_b32_e32 v24, 0xffff, v24
	;;#ASMSTART
	v_cvt_f32_f16 v30, v24;
	;;#ASMEND
	v_and_b32_e32 v24, 0xffff, v32
	;;#ASMSTART
	v_cvt_f32_f16 v27, v27;
	;;#ASMEND
	;;#ASMSTART
	v_cvt_f32_f16 v31, v24;
	;;#ASMEND
	v_and_b32_e32 v24, 0xffff, v34
	;;#ASMSTART
	v_cvt_f32_f16 v32, v24;
	;;#ASMEND
	v_lshrrev_b32_e32 v24, 16, v25
	v_and_b32_e32 v25, 0xffff, v25
	;;#ASMSTART
	v_cvt_f32_f16 v34, v25;
	;;#ASMEND
	;;#ASMSTART
	v_cvt_f32_f16 v58, v24;
	;;#ASMEND
	v_and_b32_e32 v24, 0xffff, v33
	;;#ASMSTART
	v_cvt_f32_f16 v33, v24;
	;;#ASMEND
	v_and_b32_e32 v24, 0xffff, v35
	;;#ASMSTART
	v_cvt_f32_f16 v35, v24;
	;;#ASMEND
	ds_read_b64 v[24:25], v18 offset:24
	v_fmac_f32_e32 v28, v27, v32
	v_fmac_f32_e32 v57, v30, v31
	v_fmac_f32_e32 v26, v34, v33
	v_fmac_f32_e32 v29, v58, v35
	s_waitcnt lgkmcnt(0)
	v_lshrrev_b32_e32 v27, 16, v24
	v_and_b32_e32 v24, 0xffff, v24
	;;#ASMSTART
	v_cvt_f32_f16 v30, v24;
	;;#ASMEND
	v_and_b32_e32 v24, 0xffff, v36
	;;#ASMSTART
	v_cvt_f32_f16 v27, v27;
	;;#ASMEND
	;;#ASMSTART
	v_cvt_f32_f16 v31, v24;
	;;#ASMEND
	v_and_b32_e32 v24, 0xffff, v38
	;;#ASMSTART
	v_cvt_f32_f16 v32, v24;
	;;#ASMEND
	v_lshrrev_b32_e32 v24, 16, v25
	v_and_b32_e32 v25, 0xffff, v25
	;;#ASMSTART
	v_cvt_f32_f16 v33, v25;
	;;#ASMEND
	;;#ASMSTART
	v_cvt_f32_f16 v34, v24;
	;;#ASMEND
	v_and_b32_e32 v24, 0xffff, v37
	;;#ASMSTART
	v_cvt_f32_f16 v35, v24;
	;;#ASMEND
	v_and_b32_e32 v24, 0xffff, v39
	;;#ASMSTART
	v_cvt_f32_f16 v36, v24;
	;;#ASMEND
	ds_read_b64 v[24:25], v18 offset:32
	v_fmac_f32_e32 v28, v27, v32
	v_fmac_f32_e32 v57, v30, v31
	v_fmac_f32_e32 v26, v33, v35
	;; [unrolled: 38-line block ×5, first 2 shown]
	v_fmac_f32_e32 v29, v34, v36
	s_waitcnt lgkmcnt(0)
	v_lshrrev_b32_e32 v27, 16, v24
	v_and_b32_e32 v24, 0xffff, v24
	;;#ASMSTART
	v_cvt_f32_f16 v30, v24;
	;;#ASMEND
	v_and_b32_e32 v24, 0xffff, v52
	;;#ASMSTART
	v_cvt_f32_f16 v27, v27;
	;;#ASMEND
	;;#ASMSTART
	v_cvt_f32_f16 v31, v24;
	;;#ASMEND
	v_and_b32_e32 v24, 0xffff, v54
	;;#ASMSTART
	v_cvt_f32_f16 v32, v24;
	;;#ASMEND
	v_lshrrev_b32_e32 v24, 16, v25
	v_and_b32_e32 v25, 0xffff, v25
	;;#ASMSTART
	v_cvt_f32_f16 v33, v25;
	;;#ASMEND
	;;#ASMSTART
	v_cvt_f32_f16 v34, v24;
	;;#ASMEND
	v_and_b32_e32 v24, 0xffff, v53
	;;#ASMSTART
	v_cvt_f32_f16 v35, v24;
	;;#ASMEND
	v_and_b32_e32 v24, 0xffff, v55
	;;#ASMSTART
	v_cvt_f32_f16 v36, v24;
	;;#ASMEND
	ds_read_b64 v[24:25], v18 offset:64
	v_fmac_f32_e32 v57, v30, v31
	v_fmac_f32_e32 v28, v27, v32
	v_and_b32_e32 v30, 0xffff, v56
	v_and_b32_e32 v12, 0xffff, v12
	s_waitcnt lgkmcnt(0)
	v_lshrrev_b32_e32 v27, 16, v24
	v_and_b32_e32 v24, 0xffff, v24
	v_lshrrev_b32_e32 v31, 16, v25
	v_and_b32_e32 v25, 0xffff, v25
	v_and_b32_e32 v11, 0xffff, v11
	;; [unrolled: 1-line block ×3, first 2 shown]
	v_fmac_f32_e32 v26, v33, v35
	;;#ASMSTART
	v_cvt_f32_f16 v24, v24;
	;;#ASMEND
	;;#ASMSTART
	v_cvt_f32_f16 v27, v27;
	;;#ASMEND
	;; [unrolled: 3-line block ×8, first 2 shown]
	ds_read_b64 v[10:11], v18 offset:72
	v_fmac_f32_e32 v28, v27, v12
	v_fmac_f32_e32 v57, v24, v30
	v_and_b32_e32 v14, 0xffff, v14
	v_fmac_f32_e32 v29, v34, v36
	s_waitcnt lgkmcnt(0)
	v_lshrrev_b32_e32 v12, 16, v10
	v_and_b32_e32 v10, 0xffff, v10
	;;#ASMSTART
	v_cvt_f32_f16 v10, v10;
	;;#ASMEND
	;;#ASMSTART
	v_cvt_f32_f16 v12, v12;
	;;#ASMEND
	;; [unrolled: 3-line block ×3, first 2 shown]
	v_and_b32_e32 v24, 0xffff, v61
	v_fmac_f32_e32 v57, v10, v14
	v_lshrrev_b32_e32 v10, 16, v11
	v_and_b32_e32 v11, 0xffff, v11
	v_fmac_f32_e32 v26, v25, v32
	v_fmac_f32_e32 v29, v31, v33
	;;#ASMSTART
	v_cvt_f32_f16 v24, v24;
	;;#ASMEND
	v_fmac_f32_e32 v28, v12, v24
	;;#ASMSTART
	v_cvt_f32_f16 v11, v11;
	;;#ASMEND
	;;#ASMSTART
	v_cvt_f32_f16 v10, v10;
	;;#ASMEND
	v_and_b32_e32 v12, 0xffff, v60
	v_and_b32_e32 v14, 0xffff, v23
	;;#ASMSTART
	v_cvt_f32_f16 v12, v12;
	;;#ASMEND
	;;#ASMSTART
	v_cvt_f32_f16 v14, v14;
	;;#ASMEND
	v_fmac_f32_e32 v26, v11, v12
	v_fmac_f32_e32 v29, v10, v14
	v_add_f32_e32 v10, v57, v28
	v_add_f32_e32 v10, v10, v26
	;; [unrolled: 1-line block ×3, first 2 shown]
	v_and_b32_e32 v10, 64, v7
	v_xor_b32_e32 v12, 1, v7
	v_add_u32_e32 v10, 64, v10
	v_cmp_lt_i32_e64 s[4:5], v12, v10
	v_cndmask_b32_e64 v12, v7, v12, s[4:5]
	v_lshlrev_b32_e32 v12, 2, v12
	ds_bpermute_b32 v12, v12, v11
	s_and_saveexec_b64 s[40:41], vcc
	s_cbranch_execz .LBB314_9
; %bb.251:                              ;   in Loop: Header=BB314_10 Depth=1
	v_add_u32_e32 v14, s49, v19
	v_cvt_f32_i32_e32 v14, v14
	s_waitcnt lgkmcnt(0)
	v_add_f32_e32 v11, v11, v12
	v_cmp_gt_i32_e64 s[4:5], s29, v19
	v_max_f32_e32 v12, v1, v1
	v_mul_f32_e32 v14, s47, v14
	v_cndmask_b32_e64 v14, 0, v14, s[2:3]
	v_fmac_f32_e32 v14, s11, v11
	v_cndmask_b32_e64 v11, 0, v14, s[4:5]
	ds_write_b32 v20, v11
	v_max_f32_e32 v11, v12, v14
	v_cndmask_b32_e64 v1, v1, v11, s[4:5]
	s_branch .LBB314_9
.LBB314_252:
	s_or_b64 exec, exec, s[18:19]
.LBB314_253:
	s_or_b64 exec, exec, s[38:39]
	v_xor_b32_e32 v4, 32, v7
	v_cmp_lt_i32_e32 vcc, v4, v10
	v_cndmask_b32_e32 v4, v7, v4, vcc
	v_lshlrev_b32_e32 v4, 2, v4
	ds_bpermute_b32 v5, v4, v1
	v_xor_b32_e32 v6, 16, v7
	v_max_f32_e32 v1, v1, v1
	v_cmp_lt_i32_e32 vcc, v6, v10
	v_xor_b32_e32 v8, 8, v7
	s_waitcnt lgkmcnt(0)
	v_max_f32_e32 v5, v5, v5
	v_max_f32_e32 v1, v1, v5
	v_cndmask_b32_e32 v5, v7, v6, vcc
	v_lshlrev_b32_e32 v5, 2, v5
	ds_bpermute_b32 v6, v5, v1
	v_cmp_lt_i32_e32 vcc, v8, v10
	v_xor_b32_e32 v9, 4, v7
	v_xor_b32_e32 v11, 2, v7
	s_waitcnt lgkmcnt(0)
	v_max_f32_e32 v6, v6, v6
	v_max_f32_e32 v1, v1, v6
	v_cndmask_b32_e32 v6, v7, v8, vcc
	v_lshlrev_b32_e32 v8, 2, v6
	ds_bpermute_b32 v6, v8, v1
	v_cmp_lt_i32_e32 vcc, v9, v10
	s_waitcnt lgkmcnt(0)
	v_max_f32_e32 v6, v6, v6
	v_max_f32_e32 v1, v1, v6
	v_cndmask_b32_e32 v6, v7, v9, vcc
	v_lshlrev_b32_e32 v9, 2, v6
	ds_bpermute_b32 v6, v9, v1
	v_cmp_lt_i32_e32 vcc, v11, v10
	s_waitcnt lgkmcnt(0)
	v_max_f32_e32 v6, v6, v6
	v_max_f32_e32 v6, v1, v6
	v_cndmask_b32_e32 v1, v7, v11, vcc
	v_lshlrev_b32_e32 v17, 2, v1
	ds_bpermute_b32 v12, v17, v6
	v_and_b32_e32 v1, 63, v0
	v_cmp_eq_u32_e32 vcc, 0, v1
	v_lshlrev_b32_e32 v11, 2, v15
	s_and_saveexec_b64 s[2:3], vcc
	s_cbranch_execz .LBB314_255
; %bb.254:
	s_waitcnt lgkmcnt(0)
	v_max_f32_e32 v12, v12, v12
	v_max_f32_e32 v6, v6, v6
	;; [unrolled: 1-line block ×3, first 2 shown]
	ds_write_b32 v11, v6 offset:160
.LBB314_255:
	s_or_b64 exec, exec, s[2:3]
	v_cmp_gt_u32_e64 s[2:3], 2, v1
	v_mov_b32_e32 v6, 0xff7fffff
	s_waitcnt lgkmcnt(0)
	v_lshlrev_b32_e32 v12, 2, v1
	s_barrier
	s_and_saveexec_b64 s[4:5], s[2:3]
	s_cbranch_execz .LBB314_257
; %bb.256:
	ds_read_b32 v6, v12 offset:160
.LBB314_257:
	s_or_b64 exec, exec, s[4:5]
	v_xor_b32_e32 v14, 1, v7
	v_cmp_lt_i32_e64 s[4:5], v14, v10
	v_cndmask_b32_e64 v10, v7, v14, s[4:5]
	v_lshlrev_b32_e32 v24, 2, v10
	s_waitcnt lgkmcnt(0)
	ds_bpermute_b32 v10, v24, v6
	v_max_f32_e32 v6, v6, v6
	v_lshlrev_b32_e32 v7, 2, v7
	s_sub_i32 s4, s33, s10
	v_and_b32_e32 v7, 0xffffff00, v7
	s_waitcnt lgkmcnt(0)
	v_max_f32_e32 v10, v10, v10
	v_max_f32_e32 v6, v6, v10
	s_lshl_b32 s4, s4, 5
	ds_bpermute_b32 v6, v7, v6
	s_add_i32 s4, s4, s46
	s_min_i32 s39, s4, s29
	s_sub_i32 s38, s39, s46
	v_cmp_gt_i32_e64 s[4:5], s38, v0
	v_mov_b32_e32 v10, 0
	s_and_saveexec_b64 s[12:13], s[4:5]
	s_cbranch_execz .LBB314_261
; %bb.258:
	v_mov_b32_e32 v10, 0xb0
	v_lshl_add_u32 v14, v0, 2, v10
	s_mov_b64 s[18:19], 0
	v_mov_b32_e32 v10, 0
	v_mov_b32_e32 v18, v0
.LBB314_259:                            ; =>This Inner Loop Header: Depth=1
	ds_read_b32 v19, v14
	v_add_u32_e32 v18, 0x80, v18
	v_cmp_le_i32_e64 s[10:11], s38, v18
	s_or_b64 s[18:19], s[10:11], s[18:19]
	s_waitcnt lgkmcnt(0)
	v_sub_f32_e32 v19, v19, v6
	v_mul_f32_e32 v19, 0x3fb8aa3b, v19
	v_exp_f32_e32 v19, v19
	ds_write_b32 v14, v19
	v_add_f32_e32 v10, v10, v19
	v_add_u32_e32 v14, 0x200, v14
	s_andn2_b64 exec, exec, s[18:19]
	s_cbranch_execnz .LBB314_259
; %bb.260:
	s_or_b64 exec, exec, s[18:19]
.LBB314_261:
	s_or_b64 exec, exec, s[12:13]
	ds_bpermute_b32 v4, v4, v10
	s_waitcnt lgkmcnt(0)
	v_add_f32_e32 v4, v10, v4
	ds_bpermute_b32 v5, v5, v4
	s_waitcnt lgkmcnt(0)
	v_add_f32_e32 v4, v4, v5
	;; [unrolled: 3-line block ×6, first 2 shown]
	s_and_saveexec_b64 s[10:11], vcc
	s_cbranch_execz .LBB314_263
; %bb.262:
	ds_write_b32 v11, v4 offset:168
.LBB314_263:
	s_or_b64 exec, exec, s[10:11]
	s_waitcnt lgkmcnt(0)
	s_barrier
	s_and_saveexec_b64 s[10:11], s[2:3]
	s_cbranch_execz .LBB314_265
; %bb.264:
	ds_read_b32 v4, v12 offset:168
.LBB314_265:
	s_or_b64 exec, exec, s[10:11]
	s_waitcnt lgkmcnt(0)
	ds_bpermute_b32 v5, v24, v4
	s_waitcnt lgkmcnt(0)
	v_add_f32_e32 v4, v4, v5
	ds_bpermute_b32 v7, v7, v4
	s_and_saveexec_b64 s[2:3], s[4:5]
	s_cbranch_execz .LBB314_278
; %bb.266:
	s_waitcnt lgkmcnt(0)
	v_add_f32_e32 v4, 0x358637bd, v7
	v_div_scale_f32 v5, s[4:5], v4, v4, 1.0
	v_rcp_f32_e32 v8, v5
	v_div_scale_f32 v9, vcc, 1.0, v4, 1.0
	s_movk_i32 s4, 0x7f
	v_fma_f32 v10, -v5, v8, 1.0
	v_fmac_f32_e32 v8, v10, v8
	v_mul_f32_e32 v10, v9, v8
	v_fma_f32 v11, -v5, v10, v9
	v_fmac_f32_e32 v10, v11, v8
	v_fma_f32 v5, -v5, v10, v9
	v_div_fmas_f32 v5, v5, v8, v10
	v_div_fixup_f32 v4, v5, v4, 1.0
	v_xad_u32 v5, v0, -1, s39
	v_subrev_u32_e32 v8, s46, v5
	v_cmp_lt_u32_e32 vcc, s4, v8
	s_mov_b64 s[10:11], -1
	v_mov_b32_e32 v5, v0
	s_and_saveexec_b64 s[4:5], vcc
	s_cbranch_execz .LBB314_275
; %bb.267:
	v_lshrrev_b32_e32 v8, 7, v8
	v_add_u32_e32 v10, -1, v8
	v_lshrrev_b32_e32 v9, 1, v10
	v_mov_b32_e32 v5, v4
	v_add_u32_e32 v9, 1, v9
	v_cmp_lt_u32_e32 vcc, 13, v10
	v_mov_b32_e32 v12, 0
	s_and_saveexec_b64 s[10:11], vcc
	s_cbranch_execz .LBB314_271
; %bb.268:
	v_mov_b32_e32 v11, 0xb0
	v_and_b32_e32 v10, -8, v9
	v_lshl_add_u32 v11, v0, 2, v11
	s_mov_b32 s18, 0
	s_mov_b64 s[12:13], 0
.LBB314_269:                            ; =>This Inner Loop Header: Depth=1
	ds_read2st64_b32 v[18:19], v11 offset1:2
	ds_read2st64_b32 v[20:21], v11 offset0:4 offset1:6
	ds_read2st64_b32 v[22:23], v11 offset0:8 offset1:10
	ds_read2st64_b32 v[26:27], v11 offset0:12 offset1:14
	v_add_u32_e32 v10, -8, v10
	s_waitcnt lgkmcnt(3)
	v_pk_mul_f32 v[18:19], v[4:5], v[18:19]
	s_waitcnt lgkmcnt(2)
	v_pk_mul_f32 v[20:21], v[4:5], v[20:21]
	ds_write2st64_b32 v11, v18, v19 offset1:2
	ds_write2st64_b32 v11, v20, v21 offset0:4 offset1:6
	ds_read2st64_b32 v[20:21], v11 offset0:16 offset1:18
	s_waitcnt lgkmcnt(4)
	v_pk_mul_f32 v[18:19], v[4:5], v[22:23]
	ds_write2st64_b32 v11, v18, v19 offset0:8 offset1:10
	s_waitcnt lgkmcnt(4)
	v_pk_mul_f32 v[18:19], v[4:5], v[26:27]
	ds_write2st64_b32 v11, v18, v19 offset0:12 offset1:14
	ds_read2st64_b32 v[18:19], v11 offset0:20 offset1:22
	s_waitcnt lgkmcnt(3)
	v_pk_mul_f32 v[20:21], v[4:5], v[20:21]
	ds_read2st64_b32 v[22:23], v11 offset0:24 offset1:26
	ds_write2st64_b32 v11, v20, v21 offset0:16 offset1:18
	ds_read2st64_b32 v[20:21], v11 offset0:28 offset1:30
	s_waitcnt lgkmcnt(3)
	v_pk_mul_f32 v[18:19], v[4:5], v[18:19]
	ds_write2st64_b32 v11, v18, v19 offset0:20 offset1:22
	s_waitcnt lgkmcnt(3)
	v_pk_mul_f32 v[18:19], v[4:5], v[22:23]
	ds_write2st64_b32 v11, v18, v19 offset0:24 offset1:26
	s_waitcnt lgkmcnt(2)
	v_pk_mul_f32 v[18:19], v[4:5], v[20:21]
	s_add_i32 s18, s18, 16
	v_cmp_eq_u32_e32 vcc, 0, v10
	ds_write2st64_b32 v11, v18, v19 offset0:28 offset1:30
	v_add_u32_e32 v11, 0x2000, v11
	s_or_b64 s[12:13], vcc, s[12:13]
	v_mov_b32_e32 v12, s18
	s_andn2_b64 exec, exec, s[12:13]
	s_cbranch_execnz .LBB314_269
; %bb.270:
	s_or_b64 exec, exec, s[12:13]
.LBB314_271:
	s_or_b64 exec, exec, s[10:11]
	v_and_b32_e32 v9, 7, v9
	v_cmp_ne_u32_e32 vcc, 0, v9
	s_and_saveexec_b64 s[10:11], vcc
	s_cbranch_execz .LBB314_274
; %bb.272:
	v_lshlrev_b32_e32 v10, 9, v12
	v_lshlrev_b32_e32 v11, 2, v0
	s_movk_i32 s12, 0xb0
	v_add3_u32 v10, v10, v11, s12
	s_mov_b64 s[12:13], 0
.LBB314_273:                            ; =>This Inner Loop Header: Depth=1
	ds_read2st64_b32 v[18:19], v10 offset1:2
	v_add_u32_e32 v9, -1, v9
	v_cmp_eq_u32_e32 vcc, 0, v9
	s_or_b64 s[12:13], vcc, s[12:13]
	s_waitcnt lgkmcnt(0)
	v_pk_mul_f32 v[18:19], v[4:5], v[18:19]
	ds_write2st64_b32 v10, v18, v19 offset1:2
	v_add_u32_e32 v10, 0x400, v10
	s_andn2_b64 exec, exec, s[12:13]
	s_cbranch_execnz .LBB314_273
.LBB314_274:
	s_or_b64 exec, exec, s[10:11]
	v_add_u32_e32 v8, 1, v8
	v_and_b32_e32 v9, 0x3fffffe, v8
	v_cmp_ne_u32_e32 vcc, v8, v9
	v_lshl_add_u32 v5, v9, 7, v0
	s_orn2_b64 s[10:11], vcc, exec
.LBB314_275:
	s_or_b64 exec, exec, s[4:5]
	s_and_b64 exec, exec, s[10:11]
	s_cbranch_execz .LBB314_278
; %bb.276:
	v_mov_b32_e32 v8, 0xb0
	v_lshl_add_u32 v8, v5, 2, v8
	s_mov_b64 s[4:5], 0
.LBB314_277:                            ; =>This Inner Loop Header: Depth=1
	ds_read_b32 v9, v8
	v_add_u32_e32 v5, 0x80, v5
	v_cmp_le_i32_e32 vcc, s38, v5
	s_or_b64 s[4:5], vcc, s[4:5]
	s_waitcnt lgkmcnt(0)
	v_mul_f32_e32 v9, v4, v9
	ds_write_b32 v8, v9
	v_add_u32_e32 v8, 0x200, v8
	s_andn2_b64 exec, exec, s[4:5]
	s_cbranch_execnz .LBB314_277
.LBB314_278:
	s_or_b64 exec, exec, s[2:3]
	s_mul_i32 s2, s25, s28
	v_cmp_eq_u32_e32 vcc, 0, v0
	s_mul_i32 s2, s2, s9
	s_waitcnt lgkmcnt(0)
	s_barrier
	s_and_saveexec_b64 s[4:5], vcc
	s_cbranch_execz .LBB314_280
; %bb.279:
	s_ashr_i32 s3, s2, 31
	s_lshl_b64 s[10:11], s[2:3], 2
	s_add_u32 s3, s22, s10
	s_mul_i32 s12, s25, s6
	s_addc_u32 s9, s23, s11
	s_ashr_i32 s13, s12, 31
	s_lshl_b64 s[12:13], s[12:13], 2
	s_add_u32 s3, s3, s12
	s_addc_u32 s6, s9, s13
	s_ashr_i32 s9, s8, 31
	s_lshl_b64 s[18:19], s[8:9], 2
	s_add_u32 s22, s3, s18
	s_addc_u32 s23, s6, s19
	s_add_u32 s3, s20, s10
	s_addc_u32 s6, s21, s11
	;; [unrolled: 2-line block ×3, first 2 shown]
	s_add_u32 s10, s3, s18
	v_mov_b32_e32 v4, 0
	s_addc_u32 s11, s6, s19
	global_store_dword v4, v6, s[22:23]
	global_store_dword v4, v7, s[10:11]
.LBB314_280:
	s_or_b64 exec, exec, s[4:5]
	v_mov_b32_e32 v26, 0
	v_and_b32_e32 v25, 3, v0
	v_mov_b32_e32 v7, 0
	v_mov_b32_e32 v6, 0
	v_mov_b32_e32 v5, 0
	v_mov_b32_e32 v4, 0
	s_and_saveexec_b64 s[4:5], s[0:1]
	s_cbranch_execz .LBB314_534
; %bb.281:
	s_ashr_i32 s0, s7, 31
	s_add_u32 s1, s36, s7
	v_and_b32_e32 v4, 24, v13
	s_addc_u32 s0, s37, s0
	v_and_b32_e32 v5, 0x1f8, v13
	s_add_i32 s9, s16, -1
	v_mov_b32_e32 v6, s0
	v_add_co_u32_e32 v10, vcc, s1, v5
	v_add3_u32 v27, s46, v16, v4
	v_lshlrev_b32_e32 v4, 5, v25
	s_lshl_b64 s[0:1], s[34:35], 2
	v_lshl_or_b32 v4, v15, 7, v4
	s_add_u32 s0, s30, s0
	v_addc_co_u32_e32 v11, vcc, 0, v6, vcc
	v_add_u32_e32 v28, 0xb0, v4
	v_lshlrev_b64 v[4:5], 2, v[2:3]
	s_addc_u32 s1, s31, s1
	s_mov_b32 s6, -1
	v_mov_b32_e32 v3, s1
	v_add_co_u32_e32 v12, vcc, s0, v4
	v_mov_b32_e32 v4, 0
	s_mov_b32 s3, s17
	s_mov_b32 s7, 0xffffff
	v_mov_b32_e32 v9, 0
	s_mov_b32 s20, s29
	v_addc_co_u32_e32 v13, vcc, v3, v5, vcc
	s_mov_b64 s[10:11], 0
	s_movk_i32 s21, 0x80
	s_movk_i32 s22, 0x7f
	s_mov_b32 s23, 0x8000
	s_movk_i32 s28, 0x380
	s_mov_b32 s30, 0x3020706
	s_mov_b32 s31, 0x1000504
	;; [unrolled: 1-line block ×3, first 2 shown]
	v_mov_b32_e32 v3, 0x2000
	v_mov_b32_e32 v5, v4
	;; [unrolled: 1-line block ×5, first 2 shown]
	s_branch .LBB314_283
.LBB314_282:                            ;   in Loop: Header=BB314_283 Depth=1
	s_or_b64 exec, exec, s[0:1]
	;;#ASMSTART
	v_pk_mul_f16 v14, v36, v14;

	;;#ASMEND
	;;#ASMSTART
	v_pk_mul_f16 v8, v37, v8;

	;;#ASMEND
	;; [unrolled: 4-line block ×4, first 2 shown]
	;;#ASMSTART
	v_pk_add_f16 v8, v14, v8;

	;;#ASMEND
	;;#ASMSTART
	v_pk_add_f16 v8, v8, v15;

	;;#ASMEND
	v_add_f32_e32 v18, v40, v41
	;;#ASMSTART
	v_pk_add_f16 v8, v8, v16;

	;;#ASMEND
	v_add_f32_e32 v4, v4, v18
	v_add_f32_e32 v18, v42, v43
	v_lshrrev_b32_e32 v14, 16, v8
	v_and_b32_e32 v8, 0xffff, v8
	v_add_u32_e32 v2, 2, v2
	v_add_f32_e32 v5, v5, v18
	v_add_f32_e32 v18, v44, v45
	;;#ASMSTART
	v_cvt_f32_f16 v8, v8;
	;;#ASMEND
	v_cmp_le_i32_e32 vcc, s33, v2
	v_add_f32_e32 v6, v6, v18
	v_add_f32_e32 v18, v22, v23
	;;#ASMSTART
	v_cvt_f32_f16 v14, v14;
	;;#ASMEND
	v_add_f32_e32 v8, v8, v14
	s_or_b64 s[10:11], vcc, s[10:11]
	v_add_co_u32_e32 v12, vcc, 8, v12
	v_add_f32_e32 v7, v7, v18
	v_add_f32_e32 v26, v26, v8
	v_add_u32_e32 v27, 64, v27
	v_add_u32_e32 v28, 0x100, v28
	v_addc_co_u32_e32 v13, vcc, 0, v13, vcc
	s_andn2_b64 exec, exec, s[10:11]
	s_cbranch_execz .LBB314_533
.LBB314_283:                            ; =>This Inner Loop Header: Depth=1
	global_load_dword v8, v[12:13], off
	ds_read2_b64 v[18:21], v28 offset1:1
	ds_read2_b64 v[30:33], v28 offset0:2 offset1:3
	s_waitcnt lgkmcnt(1)
	;;#ASMSTART
	v_cvt_f16_f32 v36, v18;

	;;#ASMEND
	;;#ASMSTART
	v_cvt_f16_f32 v37, v19;

	;;#ASMEND
	;; [unrolled: 4-line block ×4, first 2 shown]
	s_waitcnt lgkmcnt(0)
	;;#ASMSTART
	v_cvt_f16_f32 v40, v30;

	;;#ASMEND
	;;#ASMSTART
	v_cvt_f16_f32 v41, v31;

	;;#ASMEND
	;;#ASMSTART
	v_cvt_f16_f32 v42, v32;

	;;#ASMEND
	;;#ASMSTART
	v_cvt_f16_f32 v43, v33;

	;;#ASMEND
	v_mov_b32_e32 v18, 0
	s_waitcnt vmcnt(0)
	v_mad_i64_i32 v[14:15], s[0:1], v8, s3, v[10:11]
	global_load_dwordx2 v[20:21], v[14:15], off
	global_load_dword v16, v9, s[14:15]
	s_waitcnt vmcnt(1)
	v_cmp_ne_u16_sdwa s[12:13], v20, v9 src0_sel:BYTE_0 src1_sel:DWORD
	s_and_saveexec_b64 s[0:1], s[12:13]
	s_cbranch_execz .LBB314_289
; %bb.284:                              ;   in Loop: Header=BB314_283 Depth=1
	v_cmp_ne_u16_sdwa s[16:17], v20, s21 src0_sel:BYTE_0 src1_sel:DWORD
	v_bfrev_b32_e32 v18, 1
	s_and_saveexec_b64 s[12:13], s[16:17]
	s_cbranch_execz .LBB314_288
; %bb.285:                              ;   in Loop: Header=BB314_283 Depth=1
	v_and_b32_e32 v8, 0x7f, v20
	v_cmp_ne_u32_e32 vcc, s22, v8
	v_mov_b32_e32 v18, 0x7fc02000
	s_and_saveexec_b64 s[16:17], vcc
	s_cbranch_execz .LBB314_287
; %bb.286:                              ;   in Loop: Header=BB314_283 Depth=1
	v_and_b32_e32 v18, 7, v20
	v_ffbh_u32_e32 v18, v18
	v_min_u32_e32 v18, 32, v18
	v_subrev_u32_e32 v19, 28, v18
	v_cmp_gt_u32_e32 vcc, 8, v8
	v_lshrrev_b32_e32 v22, 3, v8
	v_sub_u32_e32 v23, 29, v18
	v_cndmask_b32_e32 v8, 0, v19, vcc
	v_lshlrev_b64 v[18:19], v8, v[20:21]
	v_cndmask_b32_e32 v8, v22, v23, vcc
	v_lshlrev_b32_e32 v19, 8, v20
	v_lshl_add_u32 v8, v8, 10, v3
	v_lshlrev_b32_e32 v18, 7, v18
	v_and_or_b32 v8, v19, s23, v8
	v_and_or_b32 v8, v18, s28, v8
	v_cvt_f32_f16_e32 v18, v8
.LBB314_287:                            ;   in Loop: Header=BB314_283 Depth=1
	s_or_b64 exec, exec, s[16:17]
.LBB314_288:                            ;   in Loop: Header=BB314_283 Depth=1
	s_or_b64 exec, exec, s[12:13]
.LBB314_289:                            ;   in Loop: Header=BB314_283 Depth=1
	s_or_b64 exec, exec, s[0:1]
	v_lshrrev_b16_e32 v8, 8, v20
	v_cmp_ne_u16_e32 vcc, 0, v8
	v_mov_b32_e32 v19, 0
	v_mov_b32_e32 v22, 0
	s_and_saveexec_b64 s[0:1], vcc
	s_cbranch_execz .LBB314_295
; %bb.290:                              ;   in Loop: Header=BB314_283 Depth=1
	v_cmp_ne_u16_e32 vcc, s21, v8
	v_bfrev_b32_e32 v22, 1
	s_and_saveexec_b64 s[12:13], vcc
	s_cbranch_execz .LBB314_294
; %bb.291:                              ;   in Loop: Header=BB314_283 Depth=1
	v_and_b32_e32 v23, 0x7f, v8
	v_cmp_ne_u32_e32 vcc, s22, v23
	v_mov_b32_e32 v22, 0x7fc02000
	s_and_saveexec_b64 s[16:17], vcc
	s_cbranch_execz .LBB314_293
; %bb.292:                              ;   in Loop: Header=BB314_283 Depth=1
	v_and_b32_e32 v22, 7, v8
	v_ffbh_u32_e32 v30, v22
	v_min_u32_e32 v32, 32, v30
	v_subrev_u32_e32 v30, 28, v32
	v_lshlrev_b64 v[30:31], v30, v[8:9]
	v_lshrrev_b32_e32 v29, 3, v23
	v_sub_u32_e32 v31, 29, v32
	v_cmp_gt_u32_e32 vcc, 8, v23
	v_cndmask_b32_e32 v23, v29, v31, vcc
	v_and_b32_e32 v30, 7, v30
	v_lshlrev_b32_e32 v8, 8, v8
	v_lshl_add_u32 v23, v23, 10, v3
	v_cndmask_b32_e32 v22, v22, v30, vcc
	v_and_or_b32 v8, v8, s23, v23
	v_lshl_or_b32 v8, v22, 7, v8
	v_cvt_f32_f16_e32 v22, v8
.LBB314_293:                            ;   in Loop: Header=BB314_283 Depth=1
	s_or_b64 exec, exec, s[16:17]
.LBB314_294:                            ;   in Loop: Header=BB314_283 Depth=1
	s_or_b64 exec, exec, s[12:13]
.LBB314_295:                            ;   in Loop: Header=BB314_283 Depth=1
	s_or_b64 exec, exec, s[0:1]
	v_lshrrev_b32_e32 v8, 16, v20
	v_cmp_ne_u16_sdwa s[12:13], v8, v9 src0_sel:BYTE_0 src1_sel:DWORD
	s_and_saveexec_b64 s[0:1], s[12:13]
	s_cbranch_execz .LBB314_301
; %bb.296:                              ;   in Loop: Header=BB314_283 Depth=1
	v_cmp_ne_u16_sdwa s[16:17], v8, s21 src0_sel:BYTE_0 src1_sel:DWORD
	v_bfrev_b32_e32 v19, 1
	s_and_saveexec_b64 s[12:13], s[16:17]
	s_cbranch_execz .LBB314_300
; %bb.297:                              ;   in Loop: Header=BB314_283 Depth=1
	v_bfe_u32 v23, v20, 16, 7
	v_cmp_ne_u32_e32 vcc, s22, v23
	v_mov_b32_e32 v19, 0x7fc02000
	s_and_saveexec_b64 s[16:17], vcc
	s_cbranch_execz .LBB314_299
; %bb.298:                              ;   in Loop: Header=BB314_283 Depth=1
	v_and_b32_e32 v19, 7, v8
	v_ffbh_u32_e32 v30, v19
	v_min_u32_e32 v32, 32, v30
	v_subrev_u32_e32 v30, 28, v32
	v_lshlrev_b64 v[30:31], v30, v[8:9]
	v_lshrrev_b32_e32 v29, 3, v23
	v_sub_u32_e32 v31, 29, v32
	v_cmp_gt_u32_e32 vcc, 8, v23
	v_cndmask_b32_e32 v23, v29, v31, vcc
	v_and_b32_e32 v30, 7, v30
	v_lshlrev_b32_e32 v8, 8, v8
	v_lshl_add_u32 v23, v23, 10, v3
	v_cndmask_b32_e32 v19, v19, v30, vcc
	v_and_or_b32 v8, v8, s23, v23
	v_lshl_or_b32 v8, v19, 7, v8
	v_cvt_f32_f16_e32 v19, v8
.LBB314_299:                            ;   in Loop: Header=BB314_283 Depth=1
	s_or_b64 exec, exec, s[16:17]
.LBB314_300:                            ;   in Loop: Header=BB314_283 Depth=1
	s_or_b64 exec, exec, s[12:13]
.LBB314_301:                            ;   in Loop: Header=BB314_283 Depth=1
	s_or_b64 exec, exec, s[0:1]
	v_cmp_lt_u32_e32 vcc, s7, v20
	v_mov_b32_e32 v29, 0
	v_mov_b32_e32 v23, 0
	s_and_saveexec_b64 s[0:1], vcc
	s_cbranch_execz .LBB314_307
; %bb.302:                              ;   in Loop: Header=BB314_283 Depth=1
	v_lshrrev_b32_e32 v8, 24, v20
	v_cmp_ne_u32_e32 vcc, s21, v8
	v_bfrev_b32_e32 v23, 1
	s_and_saveexec_b64 s[12:13], vcc
	s_cbranch_execz .LBB314_306
; %bb.303:                              ;   in Loop: Header=BB314_283 Depth=1
	v_and_b32_e32 v30, 0x7f, v8
	v_cmp_ne_u32_e32 vcc, s22, v30
	v_mov_b32_e32 v23, 0x7fc02000
	s_and_saveexec_b64 s[16:17], vcc
	s_cbranch_execz .LBB314_305
; %bb.304:                              ;   in Loop: Header=BB314_283 Depth=1
	v_and_b32_e32 v23, 7, v8
	v_ffbh_u32_e32 v32, v23
	v_min_u32_e32 v34, 32, v32
	v_subrev_u32_e32 v32, 28, v34
	v_lshlrev_b64 v[32:33], v32, v[8:9]
	v_lshrrev_b32_e32 v31, 3, v30
	v_sub_u32_e32 v33, 29, v34
	v_cmp_gt_u32_e32 vcc, 8, v30
	v_cndmask_b32_e32 v30, v31, v33, vcc
	v_and_b32_e32 v32, 7, v32
	v_lshlrev_b32_e32 v8, 8, v8
	v_lshl_add_u32 v30, v30, 10, v3
	v_cndmask_b32_e32 v23, v23, v32, vcc
	v_and_or_b32 v8, v8, s23, v30
	v_lshl_or_b32 v8, v23, 7, v8
	v_cvt_f32_f16_e32 v23, v8
.LBB314_305:                            ;   in Loop: Header=BB314_283 Depth=1
	s_or_b64 exec, exec, s[16:17]
.LBB314_306:                            ;   in Loop: Header=BB314_283 Depth=1
	s_or_b64 exec, exec, s[12:13]
.LBB314_307:                            ;   in Loop: Header=BB314_283 Depth=1
	s_or_b64 exec, exec, s[0:1]
	v_mov_b32_e32 v8, v21
	v_cmp_ne_u16_sdwa s[12:13], v21, v9 src0_sel:BYTE_0 src1_sel:DWORD
	s_and_saveexec_b64 s[0:1], s[12:13]
	s_cbranch_execz .LBB314_313
; %bb.308:                              ;   in Loop: Header=BB314_283 Depth=1
	v_cmp_ne_u16_sdwa s[16:17], v21, s21 src0_sel:BYTE_0 src1_sel:DWORD
	v_bfrev_b32_e32 v29, 1
	s_and_saveexec_b64 s[12:13], s[16:17]
	s_cbranch_execz .LBB314_312
; %bb.309:                              ;   in Loop: Header=BB314_283 Depth=1
	v_and_b32_e32 v30, 0x7f, v21
	v_cmp_ne_u32_e32 vcc, s22, v30
	v_mov_b32_e32 v29, 0x7fc02000
	s_and_saveexec_b64 s[16:17], vcc
	s_cbranch_execz .LBB314_311
; %bb.310:                              ;   in Loop: Header=BB314_283 Depth=1
	v_and_b32_e32 v29, 7, v21
	v_ffbh_u32_e32 v29, v29
	v_min_u32_e32 v29, 32, v29
	v_subrev_u32_e32 v31, 28, v29
	v_cmp_gt_u32_e32 vcc, 8, v30
	v_lshrrev_b32_e32 v32, 3, v30
	v_sub_u32_e32 v29, 29, v29
	v_cndmask_b32_e32 v30, 0, v31, vcc
	v_lshlrev_b64 v[30:31], v30, v[8:9]
	v_cndmask_b32_e32 v29, v32, v29, vcc
	v_lshlrev_b32_e32 v31, 8, v21
	v_lshl_add_u32 v29, v29, 10, v3
	v_lshlrev_b32_e32 v30, 7, v30
	v_and_or_b32 v29, v31, s23, v29
	v_and_or_b32 v29, v30, s28, v29
	v_cvt_f32_f16_e32 v29, v29
.LBB314_311:                            ;   in Loop: Header=BB314_283 Depth=1
	s_or_b64 exec, exec, s[16:17]
.LBB314_312:                            ;   in Loop: Header=BB314_283 Depth=1
	s_or_b64 exec, exec, s[12:13]
.LBB314_313:                            ;   in Loop: Header=BB314_283 Depth=1
	s_or_b64 exec, exec, s[0:1]
	v_lshrrev_b16_e32 v8, 8, v8
	v_cmp_ne_u16_e32 vcc, 0, v8
	v_mov_b32_e32 v30, 0
	v_mov_b32_e32 v31, 0
	s_and_saveexec_b64 s[0:1], vcc
	s_cbranch_execz .LBB314_319
; %bb.314:                              ;   in Loop: Header=BB314_283 Depth=1
	v_cmp_ne_u16_e32 vcc, s21, v8
	v_bfrev_b32_e32 v31, 1
	s_and_saveexec_b64 s[12:13], vcc
	s_cbranch_execz .LBB314_318
; %bb.315:                              ;   in Loop: Header=BB314_283 Depth=1
	v_and_b32_e32 v32, 0x7f, v8
	v_cmp_ne_u32_e32 vcc, s22, v32
	v_mov_b32_e32 v31, 0x7fc02000
	s_and_saveexec_b64 s[16:17], vcc
	s_cbranch_execz .LBB314_317
; %bb.316:                              ;   in Loop: Header=BB314_283 Depth=1
	v_and_b32_e32 v31, 7, v8
	v_ffbh_u32_e32 v34, v31
	v_min_u32_e32 v44, 32, v34
	v_subrev_u32_e32 v34, 28, v44
	v_lshlrev_b64 v[34:35], v34, v[8:9]
	v_lshrrev_b32_e32 v33, 3, v32
	v_sub_u32_e32 v35, 29, v44
	v_cmp_gt_u32_e32 vcc, 8, v32
	v_cndmask_b32_e32 v32, v33, v35, vcc
	v_and_b32_e32 v34, 7, v34
	v_lshlrev_b32_e32 v8, 8, v8
	v_lshl_add_u32 v32, v32, 10, v3
	v_cndmask_b32_e32 v31, v31, v34, vcc
	v_and_or_b32 v8, v8, s23, v32
	v_lshl_or_b32 v8, v31, 7, v8
	v_cvt_f32_f16_e32 v31, v8
.LBB314_317:                            ;   in Loop: Header=BB314_283 Depth=1
	s_or_b64 exec, exec, s[16:17]
.LBB314_318:                            ;   in Loop: Header=BB314_283 Depth=1
	s_or_b64 exec, exec, s[12:13]
.LBB314_319:                            ;   in Loop: Header=BB314_283 Depth=1
	s_or_b64 exec, exec, s[0:1]
	v_lshrrev_b32_e32 v8, 16, v21
	v_cmp_ne_u16_sdwa s[12:13], v8, v9 src0_sel:BYTE_0 src1_sel:DWORD
	s_and_saveexec_b64 s[0:1], s[12:13]
	s_cbranch_execz .LBB314_325
; %bb.320:                              ;   in Loop: Header=BB314_283 Depth=1
	v_cmp_ne_u16_sdwa s[16:17], v8, s21 src0_sel:BYTE_0 src1_sel:DWORD
	v_bfrev_b32_e32 v30, 1
	s_and_saveexec_b64 s[12:13], s[16:17]
	s_cbranch_execz .LBB314_324
; %bb.321:                              ;   in Loop: Header=BB314_283 Depth=1
	v_bfe_u32 v32, v21, 16, 7
	v_cmp_ne_u32_e32 vcc, s22, v32
	v_mov_b32_e32 v30, 0x7fc02000
	s_and_saveexec_b64 s[16:17], vcc
	s_cbranch_execz .LBB314_323
; %bb.322:                              ;   in Loop: Header=BB314_283 Depth=1
	v_and_b32_e32 v30, 7, v8
	v_ffbh_u32_e32 v34, v30
	v_min_u32_e32 v44, 32, v34
	v_subrev_u32_e32 v34, 28, v44
	v_lshlrev_b64 v[34:35], v34, v[8:9]
	v_lshrrev_b32_e32 v33, 3, v32
	v_sub_u32_e32 v35, 29, v44
	v_cmp_gt_u32_e32 vcc, 8, v32
	v_cndmask_b32_e32 v32, v33, v35, vcc
	v_and_b32_e32 v34, 7, v34
	v_lshlrev_b32_e32 v8, 8, v8
	v_lshl_add_u32 v32, v32, 10, v3
	v_cndmask_b32_e32 v30, v30, v34, vcc
	v_and_or_b32 v8, v8, s23, v32
	v_lshl_or_b32 v8, v30, 7, v8
	v_cvt_f32_f16_e32 v30, v8
.LBB314_323:                            ;   in Loop: Header=BB314_283 Depth=1
	s_or_b64 exec, exec, s[16:17]
.LBB314_324:                            ;   in Loop: Header=BB314_283 Depth=1
	s_or_b64 exec, exec, s[12:13]
.LBB314_325:                            ;   in Loop: Header=BB314_283 Depth=1
	s_or_b64 exec, exec, s[0:1]
	v_cmp_lt_u64_e32 vcc, s[6:7], v[20:21]
	v_mov_b32_e32 v20, 0
	s_and_saveexec_b64 s[0:1], vcc
	s_cbranch_execz .LBB314_331
; %bb.326:                              ;   in Loop: Header=BB314_283 Depth=1
	v_lshrrev_b32_e32 v8, 24, v21
	v_cmp_ne_u32_e32 vcc, s21, v8
	v_bfrev_b32_e32 v20, 1
	s_and_saveexec_b64 s[12:13], vcc
	s_cbranch_execz .LBB314_330
; %bb.327:                              ;   in Loop: Header=BB314_283 Depth=1
	v_and_b32_e32 v21, 0x7f, v8
	v_cmp_ne_u32_e32 vcc, s22, v21
	v_mov_b32_e32 v20, 0x7fc02000
	s_and_saveexec_b64 s[16:17], vcc
	s_cbranch_execz .LBB314_329
; %bb.328:                              ;   in Loop: Header=BB314_283 Depth=1
	v_and_b32_e32 v20, 7, v8
	v_ffbh_u32_e32 v32, v20
	v_min_u32_e32 v35, 32, v32
	v_subrev_u32_e32 v32, 28, v35
	v_lshlrev_b64 v[32:33], v32, v[8:9]
	v_lshrrev_b32_e32 v34, 3, v21
	v_sub_u32_e32 v33, 29, v35
	v_cmp_gt_u32_e32 vcc, 8, v21
	v_cndmask_b32_e32 v21, v34, v33, vcc
	v_and_b32_e32 v32, 7, v32
	v_lshlrev_b32_e32 v8, 8, v8
	v_lshl_add_u32 v21, v21, 10, v3
	v_cndmask_b32_e32 v20, v20, v32, vcc
	v_and_or_b32 v8, v8, s23, v21
	v_lshl_or_b32 v8, v20, 7, v8
	v_cvt_f32_f16_e32 v20, v8
.LBB314_329:                            ;   in Loop: Header=BB314_283 Depth=1
	s_or_b64 exec, exec, s[16:17]
.LBB314_330:                            ;   in Loop: Header=BB314_283 Depth=1
	s_or_b64 exec, exec, s[12:13]
.LBB314_331:                            ;   in Loop: Header=BB314_283 Depth=1
	s_or_b64 exec, exec, s[0:1]
	s_waitcnt vmcnt(0)
	v_pk_mul_f32 v[22:23], v[16:17], v[22:23] op_sel_hi:[0,1]
	v_pk_mul_f32 v[18:19], v[16:17], v[18:19] op_sel_hi:[0,1]
	v_cvt_f16_f32_e32 v8, v23
	v_cvt_f16_f32_e32 v21, v22
	;; [unrolled: 1-line block ×4, first 2 shown]
	v_cmp_eq_u32_e32 vcc, s9, v2
	v_pack_b32_f16 v21, v21, v8
	v_add_u32_e32 v35, 1, v27
	v_pack_b32_f16 v18, v18, v19
	v_fma_mixlo_f16 v19, v16, v31, 0
	v_perm_b32 v8, v18, v21, s30
	v_perm_b32 v18, v18, v21, s31
	v_lshlrev_b32_e32 v19, 16, v19
	v_fma_mixlo_f16 v21, v16, v29, 0
	v_or_b32_sdwa v19, v19, v21 dst_sel:DWORD dst_unused:UNUSED_PAD src0_sel:DWORD src1_sel:WORD_0
	v_fma_mixlo_f16 v21, v16, v30, 0
	v_fma_mixlo_f16 v16, v16, v20, 0
	v_lshlrev_b32_e32 v16, 16, v16
	v_or_b32_sdwa v16, v16, v21 dst_sel:DWORD dst_unused:UNUSED_PAD src0_sel:DWORD src1_sel:WORD_0
	v_or_b32_e32 v34, 3, v27
	v_or_b32_e32 v33, 2, v27
	;; [unrolled: 1-line block ×6, first 2 shown]
	s_and_saveexec_b64 s[12:13], vcc
	s_cbranch_execz .LBB314_333
; %bb.332:                              ;   in Loop: Header=BB314_283 Depth=1
	v_lshrrev_b32_e32 v20, 16, v18
	v_cmp_gt_i32_e64 s[0:1], s20, v35
	v_cndmask_b32_e64 v20, 0, v20, s[0:1]
	v_cmp_gt_i32_e64 s[0:1], s29, v27
	v_cndmask_b32_e64 v18, 0, v18, s[0:1]
	v_perm_b32 v18, v20, v18, s34
	v_lshrrev_b32_e32 v20, 16, v8
	v_cmp_gt_i32_e64 s[0:1], s20, v34
	v_cndmask_b32_e64 v20, 0, v20, s[0:1]
	v_cmp_gt_i32_e64 s[0:1], s29, v33
	v_cndmask_b32_e64 v8, 0, v8, s[0:1]
	v_perm_b32 v8, v20, v8, s34
	v_lshrrev_b32_e32 v20, 16, v19
	v_cmp_gt_i32_e64 s[0:1], s20, v32
	v_cndmask_b32_e64 v20, 0, v20, s[0:1]
	v_cmp_gt_i32_e64 s[0:1], s29, v31
	v_cndmask_b32_e64 v19, 0, v19, s[0:1]
	v_lshrrev_b32_e32 v16, 16, v16
	v_cmp_gt_i32_e64 s[0:1], s20, v30
	v_cndmask_b32_e64 v16, 0, v16, s[0:1]
	v_cmp_gt_i32_e64 s[0:1], s29, v29
	v_perm_b32 v19, v20, v19, s34
	v_cndmask_b32_e64 v20, 0, v21, s[0:1]
	v_perm_b32 v16, v16, v20, s34
.LBB314_333:                            ;   in Loop: Header=BB314_283 Depth=1
	s_or_b64 exec, exec, s[12:13]
	v_and_b32_e32 v20, 0xffff, v36
	v_lshl_or_b32 v36, v37, 16, v20
	v_and_b32_e32 v20, 0xffff, v38
	v_lshl_or_b32 v37, v39, 16, v20
	;; [unrolled: 2-line block ×3, first 2 shown]
	v_and_b32_e32 v20, 0xffff, v42
	;;#ASMSTART
	v_pk_mul_f16 v18, v36, v18;

	;;#ASMEND
	;;#ASMSTART
	v_pk_mul_f16 v8, v37, v8;

	;;#ASMEND
	v_lshl_or_b32 v39, v43, 16, v20
	;;#ASMSTART
	v_pk_mul_f16 v19, v38, v19;

	;;#ASMEND
	;;#ASMSTART
	v_pk_mul_f16 v16, v39, v16;

	;;#ASMEND
	;;#ASMSTART
	v_pk_add_f16 v8, v18, v8;

	;;#ASMEND
	;;#ASMSTART
	v_pk_add_f16 v8, v8, v19;
	;; [unrolled: 4-line block ×3, first 2 shown]

	;;#ASMEND
	v_lshrrev_b32_e32 v16, 16, v8
	v_and_b32_e32 v8, 0xffff, v8
	;;#ASMSTART
	v_cvt_f32_f16 v40, v8;
	;;#ASMEND
	;;#ASMSTART
	v_cvt_f32_f16 v41, v16;
	;;#ASMEND
	global_load_dwordx2 v[22:23], v[14:15], off offset:512
	global_load_dword v16, v9, s[14:15]
	v_mov_b32_e32 v20, 0
	v_mov_b32_e32 v18, 0
	s_waitcnt vmcnt(1)
	v_cmp_ne_u16_sdwa s[0:1], v22, v9 src0_sel:BYTE_0 src1_sel:DWORD
	s_and_saveexec_b64 s[12:13], s[0:1]
	s_cbranch_execz .LBB314_339
; %bb.334:                              ;   in Loop: Header=BB314_283 Depth=1
	v_cmp_ne_u16_sdwa s[0:1], v22, s21 src0_sel:BYTE_0 src1_sel:DWORD
	v_bfrev_b32_e32 v18, 1
	s_and_saveexec_b64 s[16:17], s[0:1]
	s_cbranch_execz .LBB314_338
; %bb.335:                              ;   in Loop: Header=BB314_283 Depth=1
	v_and_b32_e32 v8, 0x7f, v22
	v_cmp_ne_u32_e64 s[0:1], s22, v8
	v_mov_b32_e32 v18, 0x7fc02000
	s_and_saveexec_b64 s[18:19], s[0:1]
	s_cbranch_execz .LBB314_337
; %bb.336:                              ;   in Loop: Header=BB314_283 Depth=1
	v_and_b32_e32 v18, 7, v22
	v_ffbh_u32_e32 v18, v18
	v_min_u32_e32 v18, 32, v18
	v_subrev_u32_e32 v19, 28, v18
	v_cmp_gt_u32_e64 s[0:1], 8, v8
	v_lshrrev_b32_e32 v21, 3, v8
	v_sub_u32_e32 v42, 29, v18
	v_cndmask_b32_e64 v8, 0, v19, s[0:1]
	v_lshlrev_b64 v[18:19], v8, v[22:23]
	v_cndmask_b32_e64 v8, v21, v42, s[0:1]
	v_lshlrev_b32_e32 v19, 8, v22
	v_lshl_add_u32 v8, v8, 10, v3
	v_lshlrev_b32_e32 v18, 7, v18
	v_and_or_b32 v8, v19, s23, v8
	v_and_or_b32 v8, v18, s28, v8
	v_cvt_f32_f16_e32 v18, v8
.LBB314_337:                            ;   in Loop: Header=BB314_283 Depth=1
	s_or_b64 exec, exec, s[18:19]
.LBB314_338:                            ;   in Loop: Header=BB314_283 Depth=1
	s_or_b64 exec, exec, s[16:17]
.LBB314_339:                            ;   in Loop: Header=BB314_283 Depth=1
	s_or_b64 exec, exec, s[12:13]
	v_lshrrev_b16_e32 v8, 8, v22
	v_cmp_ne_u16_e64 s[0:1], 0, v8
	s_and_saveexec_b64 s[12:13], s[0:1]
	s_cbranch_execz .LBB314_345
; %bb.340:                              ;   in Loop: Header=BB314_283 Depth=1
	v_cmp_ne_u16_e64 s[0:1], s21, v8
	v_bfrev_b32_e32 v20, 1
	s_and_saveexec_b64 s[16:17], s[0:1]
	s_cbranch_execz .LBB314_344
; %bb.341:                              ;   in Loop: Header=BB314_283 Depth=1
	v_and_b32_e32 v19, 0x7f, v8
	v_cmp_ne_u32_e64 s[0:1], s22, v19
	v_mov_b32_e32 v20, 0x7fc02000
	s_and_saveexec_b64 s[18:19], s[0:1]
	s_cbranch_execz .LBB314_343
; %bb.342:                              ;   in Loop: Header=BB314_283 Depth=1
	v_and_b32_e32 v42, 7, v8
	v_ffbh_u32_e32 v20, v42
	v_min_u32_e32 v44, 32, v20
	v_subrev_u32_e32 v20, 28, v44
	v_lshlrev_b64 v[20:21], v20, v[8:9]
	v_lshrrev_b32_e32 v43, 3, v19
	v_sub_u32_e32 v21, 29, v44
	v_cmp_gt_u32_e64 s[0:1], 8, v19
	v_cndmask_b32_e64 v19, v43, v21, s[0:1]
	v_and_b32_e32 v20, 7, v20
	v_lshlrev_b32_e32 v8, 8, v8
	v_lshl_add_u32 v19, v19, 10, v3
	v_cndmask_b32_e64 v20, v42, v20, s[0:1]
	v_and_or_b32 v8, v8, s23, v19
	v_lshl_or_b32 v8, v20, 7, v8
	v_cvt_f32_f16_e32 v20, v8
.LBB314_343:                            ;   in Loop: Header=BB314_283 Depth=1
	s_or_b64 exec, exec, s[18:19]
.LBB314_344:                            ;   in Loop: Header=BB314_283 Depth=1
	s_or_b64 exec, exec, s[16:17]
.LBB314_345:                            ;   in Loop: Header=BB314_283 Depth=1
	s_or_b64 exec, exec, s[12:13]
	v_lshrrev_b32_e32 v8, 16, v22
	v_cmp_ne_u16_sdwa s[0:1], v8, v9 src0_sel:BYTE_0 src1_sel:DWORD
	v_mov_b32_e32 v21, 0
	v_mov_b32_e32 v19, 0
	s_and_saveexec_b64 s[12:13], s[0:1]
	s_cbranch_execz .LBB314_351
; %bb.346:                              ;   in Loop: Header=BB314_283 Depth=1
	v_cmp_ne_u16_sdwa s[0:1], v8, s21 src0_sel:BYTE_0 src1_sel:DWORD
	v_bfrev_b32_e32 v19, 1
	s_and_saveexec_b64 s[16:17], s[0:1]
	s_cbranch_execz .LBB314_350
; %bb.347:                              ;   in Loop: Header=BB314_283 Depth=1
	v_bfe_u32 v42, v22, 16, 7
	v_cmp_ne_u32_e64 s[0:1], s22, v42
	v_mov_b32_e32 v19, 0x7fc02000
	s_and_saveexec_b64 s[18:19], s[0:1]
	s_cbranch_execz .LBB314_349
; %bb.348:                              ;   in Loop: Header=BB314_283 Depth=1
	v_and_b32_e32 v19, 7, v8
	v_ffbh_u32_e32 v44, v19
	v_min_u32_e32 v46, 32, v44
	v_subrev_u32_e32 v44, 28, v46
	v_lshlrev_b64 v[44:45], v44, v[8:9]
	v_lshrrev_b32_e32 v43, 3, v42
	v_sub_u32_e32 v45, 29, v46
	v_cmp_gt_u32_e64 s[0:1], 8, v42
	v_cndmask_b32_e64 v42, v43, v45, s[0:1]
	v_and_b32_e32 v44, 7, v44
	v_lshlrev_b32_e32 v8, 8, v8
	v_lshl_add_u32 v42, v42, 10, v3
	v_cndmask_b32_e64 v19, v19, v44, s[0:1]
	v_and_or_b32 v8, v8, s23, v42
	v_lshl_or_b32 v8, v19, 7, v8
	v_cvt_f32_f16_e32 v19, v8
.LBB314_349:                            ;   in Loop: Header=BB314_283 Depth=1
	s_or_b64 exec, exec, s[18:19]
.LBB314_350:                            ;   in Loop: Header=BB314_283 Depth=1
	s_or_b64 exec, exec, s[16:17]
.LBB314_351:                            ;   in Loop: Header=BB314_283 Depth=1
	s_or_b64 exec, exec, s[12:13]
	v_cmp_lt_u32_e64 s[0:1], s7, v22
	s_and_saveexec_b64 s[12:13], s[0:1]
	s_cbranch_execz .LBB314_357
; %bb.352:                              ;   in Loop: Header=BB314_283 Depth=1
	v_lshrrev_b32_e32 v8, 24, v22
	v_cmp_ne_u32_e64 s[0:1], s21, v8
	v_bfrev_b32_e32 v21, 1
	s_and_saveexec_b64 s[16:17], s[0:1]
	s_cbranch_execz .LBB314_356
; %bb.353:                              ;   in Loop: Header=BB314_283 Depth=1
	v_and_b32_e32 v42, 0x7f, v8
	v_cmp_ne_u32_e64 s[0:1], s22, v42
	v_mov_b32_e32 v21, 0x7fc02000
	s_and_saveexec_b64 s[18:19], s[0:1]
	s_cbranch_execz .LBB314_355
; %bb.354:                              ;   in Loop: Header=BB314_283 Depth=1
	v_and_b32_e32 v21, 7, v8
	v_ffbh_u32_e32 v44, v21
	v_min_u32_e32 v46, 32, v44
	v_subrev_u32_e32 v44, 28, v46
	v_lshlrev_b64 v[44:45], v44, v[8:9]
	v_lshrrev_b32_e32 v43, 3, v42
	v_sub_u32_e32 v45, 29, v46
	v_cmp_gt_u32_e64 s[0:1], 8, v42
	v_cndmask_b32_e64 v42, v43, v45, s[0:1]
	v_and_b32_e32 v44, 7, v44
	v_lshlrev_b32_e32 v8, 8, v8
	v_lshl_add_u32 v42, v42, 10, v3
	v_cndmask_b32_e64 v21, v21, v44, s[0:1]
	v_and_or_b32 v8, v8, s23, v42
	v_lshl_or_b32 v8, v21, 7, v8
	v_cvt_f32_f16_e32 v21, v8
.LBB314_355:                            ;   in Loop: Header=BB314_283 Depth=1
	s_or_b64 exec, exec, s[18:19]
.LBB314_356:                            ;   in Loop: Header=BB314_283 Depth=1
	s_or_b64 exec, exec, s[16:17]
.LBB314_357:                            ;   in Loop: Header=BB314_283 Depth=1
	s_or_b64 exec, exec, s[12:13]
	v_mov_b32_e32 v8, v23
	v_cmp_ne_u16_sdwa s[0:1], v23, v9 src0_sel:BYTE_0 src1_sel:DWORD
	v_mov_b32_e32 v43, 0
	v_mov_b32_e32 v42, 0
	s_and_saveexec_b64 s[12:13], s[0:1]
	s_cbranch_execz .LBB314_363
; %bb.358:                              ;   in Loop: Header=BB314_283 Depth=1
	v_cmp_ne_u16_sdwa s[0:1], v23, s21 src0_sel:BYTE_0 src1_sel:DWORD
	v_bfrev_b32_e32 v42, 1
	s_and_saveexec_b64 s[16:17], s[0:1]
	s_cbranch_execz .LBB314_362
; %bb.359:                              ;   in Loop: Header=BB314_283 Depth=1
	v_and_b32_e32 v44, 0x7f, v23
	v_cmp_ne_u32_e64 s[0:1], s22, v44
	v_mov_b32_e32 v42, 0x7fc02000
	s_and_saveexec_b64 s[18:19], s[0:1]
	s_cbranch_execz .LBB314_361
; %bb.360:                              ;   in Loop: Header=BB314_283 Depth=1
	v_and_b32_e32 v42, 7, v23
	v_ffbh_u32_e32 v42, v42
	v_min_u32_e32 v42, 32, v42
	v_subrev_u32_e32 v45, 28, v42
	v_cmp_gt_u32_e64 s[0:1], 8, v44
	v_lshrrev_b32_e32 v46, 3, v44
	v_sub_u32_e32 v42, 29, v42
	v_cndmask_b32_e64 v44, 0, v45, s[0:1]
	v_lshlrev_b64 v[44:45], v44, v[8:9]
	v_cndmask_b32_e64 v42, v46, v42, s[0:1]
	v_lshlrev_b32_e32 v45, 8, v23
	v_lshl_add_u32 v42, v42, 10, v3
	v_lshlrev_b32_e32 v44, 7, v44
	v_and_or_b32 v42, v45, s23, v42
	v_and_or_b32 v42, v44, s28, v42
	v_cvt_f32_f16_e32 v42, v42
.LBB314_361:                            ;   in Loop: Header=BB314_283 Depth=1
	s_or_b64 exec, exec, s[18:19]
.LBB314_362:                            ;   in Loop: Header=BB314_283 Depth=1
	s_or_b64 exec, exec, s[16:17]
.LBB314_363:                            ;   in Loop: Header=BB314_283 Depth=1
	s_or_b64 exec, exec, s[12:13]
	v_lshrrev_b16_e32 v8, 8, v8
	v_cmp_ne_u16_e64 s[0:1], 0, v8
	s_and_saveexec_b64 s[12:13], s[0:1]
	s_cbranch_execz .LBB314_369
; %bb.364:                              ;   in Loop: Header=BB314_283 Depth=1
	v_cmp_ne_u16_e64 s[0:1], s21, v8
	v_bfrev_b32_e32 v43, 1
	s_and_saveexec_b64 s[16:17], s[0:1]
	s_cbranch_execz .LBB314_368
; %bb.365:                              ;   in Loop: Header=BB314_283 Depth=1
	v_and_b32_e32 v44, 0x7f, v8
	v_cmp_ne_u32_e64 s[0:1], s22, v44
	v_mov_b32_e32 v43, 0x7fc02000
	s_and_saveexec_b64 s[18:19], s[0:1]
	s_cbranch_execz .LBB314_367
; %bb.366:                              ;   in Loop: Header=BB314_283 Depth=1
	v_and_b32_e32 v43, 7, v8
	v_ffbh_u32_e32 v46, v43
	v_min_u32_e32 v48, 32, v46
	v_subrev_u32_e32 v46, 28, v48
	v_lshlrev_b64 v[46:47], v46, v[8:9]
	v_lshrrev_b32_e32 v45, 3, v44
	v_sub_u32_e32 v47, 29, v48
	v_cmp_gt_u32_e64 s[0:1], 8, v44
	v_cndmask_b32_e64 v44, v45, v47, s[0:1]
	v_and_b32_e32 v46, 7, v46
	v_lshlrev_b32_e32 v8, 8, v8
	v_lshl_add_u32 v44, v44, 10, v3
	v_cndmask_b32_e64 v43, v43, v46, s[0:1]
	v_and_or_b32 v8, v8, s23, v44
	v_lshl_or_b32 v8, v43, 7, v8
	v_cvt_f32_f16_e32 v43, v8
.LBB314_367:                            ;   in Loop: Header=BB314_283 Depth=1
	s_or_b64 exec, exec, s[18:19]
.LBB314_368:                            ;   in Loop: Header=BB314_283 Depth=1
	s_or_b64 exec, exec, s[16:17]
.LBB314_369:                            ;   in Loop: Header=BB314_283 Depth=1
	s_or_b64 exec, exec, s[12:13]
	v_lshrrev_b32_e32 v8, 16, v23
	v_cmp_ne_u16_sdwa s[0:1], v8, v9 src0_sel:BYTE_0 src1_sel:DWORD
	v_mov_b32_e32 v44, 0
	v_mov_b32_e32 v45, 0
	s_and_saveexec_b64 s[12:13], s[0:1]
	s_cbranch_execz .LBB314_375
; %bb.370:                              ;   in Loop: Header=BB314_283 Depth=1
	v_cmp_ne_u16_sdwa s[0:1], v8, s21 src0_sel:BYTE_0 src1_sel:DWORD
	v_bfrev_b32_e32 v45, 1
	s_and_saveexec_b64 s[16:17], s[0:1]
	s_cbranch_execz .LBB314_374
; %bb.371:                              ;   in Loop: Header=BB314_283 Depth=1
	v_bfe_u32 v46, v23, 16, 7
	v_cmp_ne_u32_e64 s[0:1], s22, v46
	v_mov_b32_e32 v45, 0x7fc02000
	s_and_saveexec_b64 s[18:19], s[0:1]
	s_cbranch_execz .LBB314_373
; %bb.372:                              ;   in Loop: Header=BB314_283 Depth=1
	v_and_b32_e32 v45, 7, v8
	v_ffbh_u32_e32 v48, v45
	v_min_u32_e32 v50, 32, v48
	v_subrev_u32_e32 v48, 28, v50
	v_lshlrev_b64 v[48:49], v48, v[8:9]
	v_lshrrev_b32_e32 v47, 3, v46
	v_sub_u32_e32 v49, 29, v50
	v_cmp_gt_u32_e64 s[0:1], 8, v46
	v_cndmask_b32_e64 v46, v47, v49, s[0:1]
	v_and_b32_e32 v48, 7, v48
	v_lshlrev_b32_e32 v8, 8, v8
	v_lshl_add_u32 v46, v46, 10, v3
	v_cndmask_b32_e64 v45, v45, v48, s[0:1]
	v_and_or_b32 v8, v8, s23, v46
	v_lshl_or_b32 v8, v45, 7, v8
	v_cvt_f32_f16_e32 v45, v8
.LBB314_373:                            ;   in Loop: Header=BB314_283 Depth=1
	s_or_b64 exec, exec, s[18:19]
.LBB314_374:                            ;   in Loop: Header=BB314_283 Depth=1
	s_or_b64 exec, exec, s[16:17]
.LBB314_375:                            ;   in Loop: Header=BB314_283 Depth=1
	s_or_b64 exec, exec, s[12:13]
	v_cmp_lt_u64_e64 s[0:1], s[6:7], v[22:23]
	s_and_saveexec_b64 s[12:13], s[0:1]
	s_cbranch_execz .LBB314_381
; %bb.376:                              ;   in Loop: Header=BB314_283 Depth=1
	v_lshrrev_b32_e32 v8, 24, v23
	v_cmp_ne_u32_e64 s[0:1], s21, v8
	v_bfrev_b32_e32 v44, 1
	s_and_saveexec_b64 s[16:17], s[0:1]
	s_cbranch_execz .LBB314_380
; %bb.377:                              ;   in Loop: Header=BB314_283 Depth=1
	v_and_b32_e32 v22, 0x7f, v8
	v_cmp_ne_u32_e64 s[0:1], s22, v22
	v_mov_b32_e32 v44, 0x7fc02000
	s_and_saveexec_b64 s[18:19], s[0:1]
	s_cbranch_execz .LBB314_379
; %bb.378:                              ;   in Loop: Header=BB314_283 Depth=1
	v_and_b32_e32 v23, 7, v8
	v_ffbh_u32_e32 v46, v23
	v_min_u32_e32 v48, 32, v46
	v_subrev_u32_e32 v46, 28, v48
	v_lshlrev_b64 v[46:47], v46, v[8:9]
	v_lshrrev_b32_e32 v44, 3, v22
	v_sub_u32_e32 v47, 29, v48
	v_cmp_gt_u32_e64 s[0:1], 8, v22
	v_cndmask_b32_e64 v22, v44, v47, s[0:1]
	v_and_b32_e32 v46, 7, v46
	v_lshlrev_b32_e32 v8, 8, v8
	v_lshl_add_u32 v22, v22, 10, v3
	v_cndmask_b32_e64 v23, v23, v46, s[0:1]
	v_and_or_b32 v8, v8, s23, v22
	v_lshl_or_b32 v8, v23, 7, v8
	v_cvt_f32_f16_e32 v44, v8
.LBB314_379:                            ;   in Loop: Header=BB314_283 Depth=1
	s_or_b64 exec, exec, s[18:19]
.LBB314_380:                            ;   in Loop: Header=BB314_283 Depth=1
	s_or_b64 exec, exec, s[16:17]
.LBB314_381:                            ;   in Loop: Header=BB314_283 Depth=1
	s_or_b64 exec, exec, s[12:13]
	s_waitcnt vmcnt(0)
	v_pk_mul_f32 v[20:21], v[16:17], v[20:21] op_sel_hi:[0,1]
	v_pk_mul_f32 v[18:19], v[16:17], v[18:19] op_sel_hi:[0,1]
	v_cvt_f16_f32_e32 v8, v21
	v_cvt_f16_f32_e32 v20, v20
	;; [unrolled: 1-line block ×4, first 2 shown]
	v_pack_b32_f16 v20, v20, v8
	v_pack_b32_f16 v18, v18, v19
	v_fma_mixlo_f16 v19, v16, v43, 0
	v_perm_b32 v8, v18, v20, s30
	v_perm_b32 v18, v18, v20, s31
	v_lshlrev_b32_e32 v19, 16, v19
	v_fma_mixlo_f16 v20, v16, v42, 0
	v_or_b32_sdwa v19, v19, v20 dst_sel:DWORD dst_unused:UNUSED_PAD src0_sel:DWORD src1_sel:WORD_0
	v_fma_mixlo_f16 v20, v16, v45, 0
	v_fma_mixlo_f16 v16, v16, v44, 0
	v_lshlrev_b32_e32 v16, 16, v16
	v_or_b32_sdwa v16, v16, v20 dst_sel:DWORD dst_unused:UNUSED_PAD src0_sel:DWORD src1_sel:WORD_0
	s_and_saveexec_b64 s[12:13], vcc
	s_cbranch_execz .LBB314_383
; %bb.382:                              ;   in Loop: Header=BB314_283 Depth=1
	v_lshrrev_b32_e32 v21, 16, v18
	v_cmp_gt_i32_e64 s[0:1], s20, v35
	v_cndmask_b32_e64 v21, 0, v21, s[0:1]
	v_cmp_gt_i32_e64 s[0:1], s29, v27
	v_cndmask_b32_e64 v18, 0, v18, s[0:1]
	v_perm_b32 v18, v21, v18, s34
	v_lshrrev_b32_e32 v21, 16, v8
	v_cmp_gt_i32_e64 s[0:1], s20, v34
	v_cndmask_b32_e64 v21, 0, v21, s[0:1]
	v_cmp_gt_i32_e64 s[0:1], s29, v33
	v_cndmask_b32_e64 v8, 0, v8, s[0:1]
	v_perm_b32 v8, v21, v8, s34
	v_lshrrev_b32_e32 v21, 16, v19
	v_cmp_gt_i32_e64 s[0:1], s20, v32
	v_cndmask_b32_e64 v21, 0, v21, s[0:1]
	v_cmp_gt_i32_e64 s[0:1], s29, v31
	v_cndmask_b32_e64 v19, 0, v19, s[0:1]
	v_lshrrev_b32_e32 v16, 16, v16
	v_cmp_gt_i32_e64 s[0:1], s20, v30
	v_cndmask_b32_e64 v16, 0, v16, s[0:1]
	v_cmp_gt_i32_e64 s[0:1], s29, v29
	v_cndmask_b32_e64 v20, 0, v20, s[0:1]
	v_perm_b32 v19, v21, v19, s34
	v_perm_b32 v16, v16, v20, s34
.LBB314_383:                            ;   in Loop: Header=BB314_283 Depth=1
	s_or_b64 exec, exec, s[12:13]
	;;#ASMSTART
	v_pk_mul_f16 v18, v36, v18;

	;;#ASMEND
	;;#ASMSTART
	v_pk_mul_f16 v8, v37, v8;

	;;#ASMEND
	;; [unrolled: 4-line block ×4, first 2 shown]
	;;#ASMSTART
	v_pk_add_f16 v8, v18, v8;

	;;#ASMEND
	;;#ASMSTART
	v_pk_add_f16 v8, v8, v19;

	;;#ASMEND
	;; [unrolled: 4-line block ×3, first 2 shown]
	v_lshrrev_b32_e32 v16, 16, v8
	v_and_b32_e32 v8, 0xffff, v8
	;;#ASMSTART
	v_cvt_f32_f16 v42, v8;
	;;#ASMEND
	;;#ASMSTART
	v_cvt_f32_f16 v43, v16;
	;;#ASMEND
	global_load_dwordx2 v[22:23], v[14:15], off offset:1024
	global_load_dword v16, v9, s[14:15]
	v_mov_b32_e32 v20, 0
	v_mov_b32_e32 v18, 0
	s_waitcnt vmcnt(1)
	v_cmp_ne_u16_sdwa s[0:1], v22, v9 src0_sel:BYTE_0 src1_sel:DWORD
	s_and_saveexec_b64 s[12:13], s[0:1]
	s_cbranch_execz .LBB314_389
; %bb.384:                              ;   in Loop: Header=BB314_283 Depth=1
	v_cmp_ne_u16_sdwa s[0:1], v22, s21 src0_sel:BYTE_0 src1_sel:DWORD
	v_bfrev_b32_e32 v18, 1
	s_and_saveexec_b64 s[16:17], s[0:1]
	s_cbranch_execz .LBB314_388
; %bb.385:                              ;   in Loop: Header=BB314_283 Depth=1
	v_and_b32_e32 v8, 0x7f, v22
	v_cmp_ne_u32_e64 s[0:1], s22, v8
	v_mov_b32_e32 v18, 0x7fc02000
	s_and_saveexec_b64 s[18:19], s[0:1]
	s_cbranch_execz .LBB314_387
; %bb.386:                              ;   in Loop: Header=BB314_283 Depth=1
	v_and_b32_e32 v18, 7, v22
	v_ffbh_u32_e32 v18, v18
	v_min_u32_e32 v18, 32, v18
	v_subrev_u32_e32 v19, 28, v18
	v_cmp_gt_u32_e64 s[0:1], 8, v8
	v_lshrrev_b32_e32 v21, 3, v8
	v_sub_u32_e32 v44, 29, v18
	v_cndmask_b32_e64 v8, 0, v19, s[0:1]
	v_lshlrev_b64 v[18:19], v8, v[22:23]
	v_cndmask_b32_e64 v8, v21, v44, s[0:1]
	v_lshlrev_b32_e32 v19, 8, v22
	v_lshl_add_u32 v8, v8, 10, v3
	v_lshlrev_b32_e32 v18, 7, v18
	v_and_or_b32 v8, v19, s23, v8
	v_and_or_b32 v8, v18, s28, v8
	v_cvt_f32_f16_e32 v18, v8
.LBB314_387:                            ;   in Loop: Header=BB314_283 Depth=1
	s_or_b64 exec, exec, s[18:19]
.LBB314_388:                            ;   in Loop: Header=BB314_283 Depth=1
	s_or_b64 exec, exec, s[16:17]
.LBB314_389:                            ;   in Loop: Header=BB314_283 Depth=1
	s_or_b64 exec, exec, s[12:13]
	v_lshrrev_b16_e32 v8, 8, v22
	v_cmp_ne_u16_e64 s[0:1], 0, v8
	s_and_saveexec_b64 s[12:13], s[0:1]
	s_cbranch_execz .LBB314_395
; %bb.390:                              ;   in Loop: Header=BB314_283 Depth=1
	v_cmp_ne_u16_e64 s[0:1], s21, v8
	v_bfrev_b32_e32 v20, 1
	s_and_saveexec_b64 s[16:17], s[0:1]
	s_cbranch_execz .LBB314_394
; %bb.391:                              ;   in Loop: Header=BB314_283 Depth=1
	v_and_b32_e32 v19, 0x7f, v8
	v_cmp_ne_u32_e64 s[0:1], s22, v19
	v_mov_b32_e32 v20, 0x7fc02000
	s_and_saveexec_b64 s[18:19], s[0:1]
	s_cbranch_execz .LBB314_393
; %bb.392:                              ;   in Loop: Header=BB314_283 Depth=1
	v_and_b32_e32 v44, 7, v8
	v_ffbh_u32_e32 v20, v44
	v_min_u32_e32 v46, 32, v20
	v_subrev_u32_e32 v20, 28, v46
	v_lshlrev_b64 v[20:21], v20, v[8:9]
	v_lshrrev_b32_e32 v45, 3, v19
	v_sub_u32_e32 v21, 29, v46
	v_cmp_gt_u32_e64 s[0:1], 8, v19
	v_cndmask_b32_e64 v19, v45, v21, s[0:1]
	v_and_b32_e32 v20, 7, v20
	v_lshlrev_b32_e32 v8, 8, v8
	v_lshl_add_u32 v19, v19, 10, v3
	v_cndmask_b32_e64 v20, v44, v20, s[0:1]
	v_and_or_b32 v8, v8, s23, v19
	v_lshl_or_b32 v8, v20, 7, v8
	v_cvt_f32_f16_e32 v20, v8
.LBB314_393:                            ;   in Loop: Header=BB314_283 Depth=1
	s_or_b64 exec, exec, s[18:19]
.LBB314_394:                            ;   in Loop: Header=BB314_283 Depth=1
	s_or_b64 exec, exec, s[16:17]
.LBB314_395:                            ;   in Loop: Header=BB314_283 Depth=1
	s_or_b64 exec, exec, s[12:13]
	v_lshrrev_b32_e32 v8, 16, v22
	v_cmp_ne_u16_sdwa s[0:1], v8, v9 src0_sel:BYTE_0 src1_sel:DWORD
	v_mov_b32_e32 v21, 0
	v_mov_b32_e32 v19, 0
	s_and_saveexec_b64 s[12:13], s[0:1]
	s_cbranch_execz .LBB314_401
; %bb.396:                              ;   in Loop: Header=BB314_283 Depth=1
	v_cmp_ne_u16_sdwa s[0:1], v8, s21 src0_sel:BYTE_0 src1_sel:DWORD
	v_bfrev_b32_e32 v19, 1
	s_and_saveexec_b64 s[16:17], s[0:1]
	s_cbranch_execz .LBB314_400
; %bb.397:                              ;   in Loop: Header=BB314_283 Depth=1
	v_bfe_u32 v44, v22, 16, 7
	v_cmp_ne_u32_e64 s[0:1], s22, v44
	v_mov_b32_e32 v19, 0x7fc02000
	s_and_saveexec_b64 s[18:19], s[0:1]
	s_cbranch_execz .LBB314_399
; %bb.398:                              ;   in Loop: Header=BB314_283 Depth=1
	v_and_b32_e32 v19, 7, v8
	v_ffbh_u32_e32 v46, v19
	v_min_u32_e32 v48, 32, v46
	v_subrev_u32_e32 v46, 28, v48
	v_lshlrev_b64 v[46:47], v46, v[8:9]
	v_lshrrev_b32_e32 v45, 3, v44
	v_sub_u32_e32 v47, 29, v48
	v_cmp_gt_u32_e64 s[0:1], 8, v44
	v_cndmask_b32_e64 v44, v45, v47, s[0:1]
	v_and_b32_e32 v46, 7, v46
	v_lshlrev_b32_e32 v8, 8, v8
	v_lshl_add_u32 v44, v44, 10, v3
	v_cndmask_b32_e64 v19, v19, v46, s[0:1]
	v_and_or_b32 v8, v8, s23, v44
	v_lshl_or_b32 v8, v19, 7, v8
	v_cvt_f32_f16_e32 v19, v8
.LBB314_399:                            ;   in Loop: Header=BB314_283 Depth=1
	s_or_b64 exec, exec, s[18:19]
.LBB314_400:                            ;   in Loop: Header=BB314_283 Depth=1
	s_or_b64 exec, exec, s[16:17]
.LBB314_401:                            ;   in Loop: Header=BB314_283 Depth=1
	s_or_b64 exec, exec, s[12:13]
	v_cmp_lt_u32_e64 s[0:1], s7, v22
	s_and_saveexec_b64 s[12:13], s[0:1]
	s_cbranch_execz .LBB314_407
; %bb.402:                              ;   in Loop: Header=BB314_283 Depth=1
	v_lshrrev_b32_e32 v8, 24, v22
	v_cmp_ne_u32_e64 s[0:1], s21, v8
	v_bfrev_b32_e32 v21, 1
	s_and_saveexec_b64 s[16:17], s[0:1]
	s_cbranch_execz .LBB314_406
; %bb.403:                              ;   in Loop: Header=BB314_283 Depth=1
	v_and_b32_e32 v44, 0x7f, v8
	v_cmp_ne_u32_e64 s[0:1], s22, v44
	v_mov_b32_e32 v21, 0x7fc02000
	s_and_saveexec_b64 s[18:19], s[0:1]
	s_cbranch_execz .LBB314_405
; %bb.404:                              ;   in Loop: Header=BB314_283 Depth=1
	v_and_b32_e32 v21, 7, v8
	v_ffbh_u32_e32 v46, v21
	v_min_u32_e32 v48, 32, v46
	v_subrev_u32_e32 v46, 28, v48
	v_lshlrev_b64 v[46:47], v46, v[8:9]
	v_lshrrev_b32_e32 v45, 3, v44
	v_sub_u32_e32 v47, 29, v48
	v_cmp_gt_u32_e64 s[0:1], 8, v44
	v_cndmask_b32_e64 v44, v45, v47, s[0:1]
	v_and_b32_e32 v46, 7, v46
	v_lshlrev_b32_e32 v8, 8, v8
	v_lshl_add_u32 v44, v44, 10, v3
	v_cndmask_b32_e64 v21, v21, v46, s[0:1]
	v_and_or_b32 v8, v8, s23, v44
	v_lshl_or_b32 v8, v21, 7, v8
	v_cvt_f32_f16_e32 v21, v8
.LBB314_405:                            ;   in Loop: Header=BB314_283 Depth=1
	s_or_b64 exec, exec, s[18:19]
.LBB314_406:                            ;   in Loop: Header=BB314_283 Depth=1
	s_or_b64 exec, exec, s[16:17]
.LBB314_407:                            ;   in Loop: Header=BB314_283 Depth=1
	s_or_b64 exec, exec, s[12:13]
	v_mov_b32_e32 v8, v23
	v_cmp_ne_u16_sdwa s[0:1], v23, v9 src0_sel:BYTE_0 src1_sel:DWORD
	v_mov_b32_e32 v45, 0
	v_mov_b32_e32 v44, 0
	s_and_saveexec_b64 s[12:13], s[0:1]
	s_cbranch_execz .LBB314_413
; %bb.408:                              ;   in Loop: Header=BB314_283 Depth=1
	v_cmp_ne_u16_sdwa s[0:1], v23, s21 src0_sel:BYTE_0 src1_sel:DWORD
	v_bfrev_b32_e32 v44, 1
	s_and_saveexec_b64 s[16:17], s[0:1]
	s_cbranch_execz .LBB314_412
; %bb.409:                              ;   in Loop: Header=BB314_283 Depth=1
	v_and_b32_e32 v46, 0x7f, v23
	v_cmp_ne_u32_e64 s[0:1], s22, v46
	v_mov_b32_e32 v44, 0x7fc02000
	s_and_saveexec_b64 s[18:19], s[0:1]
	s_cbranch_execz .LBB314_411
; %bb.410:                              ;   in Loop: Header=BB314_283 Depth=1
	v_and_b32_e32 v44, 7, v23
	v_ffbh_u32_e32 v44, v44
	v_min_u32_e32 v44, 32, v44
	v_subrev_u32_e32 v47, 28, v44
	v_cmp_gt_u32_e64 s[0:1], 8, v46
	v_lshrrev_b32_e32 v48, 3, v46
	v_sub_u32_e32 v44, 29, v44
	v_cndmask_b32_e64 v46, 0, v47, s[0:1]
	v_lshlrev_b64 v[46:47], v46, v[8:9]
	v_cndmask_b32_e64 v44, v48, v44, s[0:1]
	v_lshlrev_b32_e32 v47, 8, v23
	v_lshl_add_u32 v44, v44, 10, v3
	v_lshlrev_b32_e32 v46, 7, v46
	v_and_or_b32 v44, v47, s23, v44
	v_and_or_b32 v44, v46, s28, v44
	v_cvt_f32_f16_e32 v44, v44
.LBB314_411:                            ;   in Loop: Header=BB314_283 Depth=1
	s_or_b64 exec, exec, s[18:19]
.LBB314_412:                            ;   in Loop: Header=BB314_283 Depth=1
	s_or_b64 exec, exec, s[16:17]
.LBB314_413:                            ;   in Loop: Header=BB314_283 Depth=1
	s_or_b64 exec, exec, s[12:13]
	v_lshrrev_b16_e32 v8, 8, v8
	v_cmp_ne_u16_e64 s[0:1], 0, v8
	s_and_saveexec_b64 s[12:13], s[0:1]
	s_cbranch_execz .LBB314_419
; %bb.414:                              ;   in Loop: Header=BB314_283 Depth=1
	v_cmp_ne_u16_e64 s[0:1], s21, v8
	v_bfrev_b32_e32 v45, 1
	s_and_saveexec_b64 s[16:17], s[0:1]
	s_cbranch_execz .LBB314_418
; %bb.415:                              ;   in Loop: Header=BB314_283 Depth=1
	v_and_b32_e32 v46, 0x7f, v8
	v_cmp_ne_u32_e64 s[0:1], s22, v46
	v_mov_b32_e32 v45, 0x7fc02000
	s_and_saveexec_b64 s[18:19], s[0:1]
	s_cbranch_execz .LBB314_417
; %bb.416:                              ;   in Loop: Header=BB314_283 Depth=1
	v_and_b32_e32 v45, 7, v8
	v_ffbh_u32_e32 v48, v45
	v_min_u32_e32 v50, 32, v48
	v_subrev_u32_e32 v48, 28, v50
	v_lshlrev_b64 v[48:49], v48, v[8:9]
	v_lshrrev_b32_e32 v47, 3, v46
	v_sub_u32_e32 v49, 29, v50
	v_cmp_gt_u32_e64 s[0:1], 8, v46
	v_cndmask_b32_e64 v46, v47, v49, s[0:1]
	v_and_b32_e32 v48, 7, v48
	v_lshlrev_b32_e32 v8, 8, v8
	v_lshl_add_u32 v46, v46, 10, v3
	v_cndmask_b32_e64 v45, v45, v48, s[0:1]
	v_and_or_b32 v8, v8, s23, v46
	v_lshl_or_b32 v8, v45, 7, v8
	v_cvt_f32_f16_e32 v45, v8
.LBB314_417:                            ;   in Loop: Header=BB314_283 Depth=1
	s_or_b64 exec, exec, s[18:19]
.LBB314_418:                            ;   in Loop: Header=BB314_283 Depth=1
	s_or_b64 exec, exec, s[16:17]
.LBB314_419:                            ;   in Loop: Header=BB314_283 Depth=1
	s_or_b64 exec, exec, s[12:13]
	v_lshrrev_b32_e32 v8, 16, v23
	v_cmp_ne_u16_sdwa s[0:1], v8, v9 src0_sel:BYTE_0 src1_sel:DWORD
	v_mov_b32_e32 v46, 0
	v_mov_b32_e32 v47, 0
	s_and_saveexec_b64 s[12:13], s[0:1]
	s_cbranch_execz .LBB314_425
; %bb.420:                              ;   in Loop: Header=BB314_283 Depth=1
	v_cmp_ne_u16_sdwa s[0:1], v8, s21 src0_sel:BYTE_0 src1_sel:DWORD
	v_bfrev_b32_e32 v47, 1
	s_and_saveexec_b64 s[16:17], s[0:1]
	s_cbranch_execz .LBB314_424
; %bb.421:                              ;   in Loop: Header=BB314_283 Depth=1
	v_bfe_u32 v48, v23, 16, 7
	v_cmp_ne_u32_e64 s[0:1], s22, v48
	v_mov_b32_e32 v47, 0x7fc02000
	s_and_saveexec_b64 s[18:19], s[0:1]
	s_cbranch_execz .LBB314_423
; %bb.422:                              ;   in Loop: Header=BB314_283 Depth=1
	v_and_b32_e32 v47, 7, v8
	v_ffbh_u32_e32 v50, v47
	v_min_u32_e32 v52, 32, v50
	v_subrev_u32_e32 v50, 28, v52
	v_lshlrev_b64 v[50:51], v50, v[8:9]
	v_lshrrev_b32_e32 v49, 3, v48
	v_sub_u32_e32 v51, 29, v52
	v_cmp_gt_u32_e64 s[0:1], 8, v48
	v_cndmask_b32_e64 v48, v49, v51, s[0:1]
	v_and_b32_e32 v50, 7, v50
	v_lshlrev_b32_e32 v8, 8, v8
	v_lshl_add_u32 v48, v48, 10, v3
	v_cndmask_b32_e64 v47, v47, v50, s[0:1]
	v_and_or_b32 v8, v8, s23, v48
	v_lshl_or_b32 v8, v47, 7, v8
	v_cvt_f32_f16_e32 v47, v8
.LBB314_423:                            ;   in Loop: Header=BB314_283 Depth=1
	s_or_b64 exec, exec, s[18:19]
.LBB314_424:                            ;   in Loop: Header=BB314_283 Depth=1
	s_or_b64 exec, exec, s[16:17]
.LBB314_425:                            ;   in Loop: Header=BB314_283 Depth=1
	s_or_b64 exec, exec, s[12:13]
	v_cmp_lt_u64_e64 s[0:1], s[6:7], v[22:23]
	s_and_saveexec_b64 s[12:13], s[0:1]
	s_cbranch_execz .LBB314_431
; %bb.426:                              ;   in Loop: Header=BB314_283 Depth=1
	v_lshrrev_b32_e32 v8, 24, v23
	v_cmp_ne_u32_e64 s[0:1], s21, v8
	v_bfrev_b32_e32 v46, 1
	s_and_saveexec_b64 s[16:17], s[0:1]
	s_cbranch_execz .LBB314_430
; %bb.427:                              ;   in Loop: Header=BB314_283 Depth=1
	v_and_b32_e32 v22, 0x7f, v8
	v_cmp_ne_u32_e64 s[0:1], s22, v22
	v_mov_b32_e32 v46, 0x7fc02000
	s_and_saveexec_b64 s[18:19], s[0:1]
	s_cbranch_execz .LBB314_429
; %bb.428:                              ;   in Loop: Header=BB314_283 Depth=1
	v_and_b32_e32 v23, 7, v8
	v_ffbh_u32_e32 v48, v23
	v_min_u32_e32 v50, 32, v48
	v_subrev_u32_e32 v48, 28, v50
	v_lshlrev_b64 v[48:49], v48, v[8:9]
	v_lshrrev_b32_e32 v46, 3, v22
	v_sub_u32_e32 v49, 29, v50
	v_cmp_gt_u32_e64 s[0:1], 8, v22
	v_cndmask_b32_e64 v22, v46, v49, s[0:1]
	v_and_b32_e32 v48, 7, v48
	v_lshlrev_b32_e32 v8, 8, v8
	v_lshl_add_u32 v22, v22, 10, v3
	v_cndmask_b32_e64 v23, v23, v48, s[0:1]
	v_and_or_b32 v8, v8, s23, v22
	v_lshl_or_b32 v8, v23, 7, v8
	v_cvt_f32_f16_e32 v46, v8
.LBB314_429:                            ;   in Loop: Header=BB314_283 Depth=1
	s_or_b64 exec, exec, s[18:19]
.LBB314_430:                            ;   in Loop: Header=BB314_283 Depth=1
	s_or_b64 exec, exec, s[16:17]
.LBB314_431:                            ;   in Loop: Header=BB314_283 Depth=1
	s_or_b64 exec, exec, s[12:13]
	s_waitcnt vmcnt(0)
	v_pk_mul_f32 v[20:21], v[16:17], v[20:21] op_sel_hi:[0,1]
	v_pk_mul_f32 v[18:19], v[16:17], v[18:19] op_sel_hi:[0,1]
	v_cvt_f16_f32_e32 v8, v21
	v_cvt_f16_f32_e32 v20, v20
	;; [unrolled: 1-line block ×4, first 2 shown]
	v_pack_b32_f16 v20, v20, v8
	v_pack_b32_f16 v18, v18, v19
	v_fma_mixlo_f16 v19, v16, v45, 0
	v_perm_b32 v8, v18, v20, s30
	v_perm_b32 v18, v18, v20, s31
	v_lshlrev_b32_e32 v19, 16, v19
	v_fma_mixlo_f16 v20, v16, v44, 0
	v_or_b32_sdwa v19, v19, v20 dst_sel:DWORD dst_unused:UNUSED_PAD src0_sel:DWORD src1_sel:WORD_0
	v_fma_mixlo_f16 v20, v16, v47, 0
	v_fma_mixlo_f16 v16, v16, v46, 0
	v_lshlrev_b32_e32 v16, 16, v16
	v_or_b32_sdwa v16, v16, v20 dst_sel:DWORD dst_unused:UNUSED_PAD src0_sel:DWORD src1_sel:WORD_0
	s_and_saveexec_b64 s[12:13], vcc
	s_cbranch_execz .LBB314_433
; %bb.432:                              ;   in Loop: Header=BB314_283 Depth=1
	v_lshrrev_b32_e32 v21, 16, v18
	v_cmp_gt_i32_e64 s[0:1], s20, v35
	v_cndmask_b32_e64 v21, 0, v21, s[0:1]
	v_cmp_gt_i32_e64 s[0:1], s29, v27
	v_cndmask_b32_e64 v18, 0, v18, s[0:1]
	v_perm_b32 v18, v21, v18, s34
	v_lshrrev_b32_e32 v21, 16, v8
	v_cmp_gt_i32_e64 s[0:1], s20, v34
	v_cndmask_b32_e64 v21, 0, v21, s[0:1]
	v_cmp_gt_i32_e64 s[0:1], s29, v33
	v_cndmask_b32_e64 v8, 0, v8, s[0:1]
	v_perm_b32 v8, v21, v8, s34
	v_lshrrev_b32_e32 v21, 16, v19
	v_cmp_gt_i32_e64 s[0:1], s20, v32
	v_cndmask_b32_e64 v21, 0, v21, s[0:1]
	v_cmp_gt_i32_e64 s[0:1], s29, v31
	v_cndmask_b32_e64 v19, 0, v19, s[0:1]
	v_lshrrev_b32_e32 v16, 16, v16
	v_cmp_gt_i32_e64 s[0:1], s20, v30
	v_cndmask_b32_e64 v16, 0, v16, s[0:1]
	v_cmp_gt_i32_e64 s[0:1], s29, v29
	v_cndmask_b32_e64 v20, 0, v20, s[0:1]
	v_perm_b32 v19, v21, v19, s34
	v_perm_b32 v16, v16, v20, s34
.LBB314_433:                            ;   in Loop: Header=BB314_283 Depth=1
	s_or_b64 exec, exec, s[12:13]
	;;#ASMSTART
	v_pk_mul_f16 v18, v36, v18;

	;;#ASMEND
	;;#ASMSTART
	v_pk_mul_f16 v8, v37, v8;

	;;#ASMEND
	;; [unrolled: 4-line block ×4, first 2 shown]
	;;#ASMSTART
	v_pk_add_f16 v8, v18, v8;

	;;#ASMEND
	;;#ASMSTART
	v_pk_add_f16 v8, v8, v19;

	;;#ASMEND
	;; [unrolled: 4-line block ×3, first 2 shown]
	v_lshrrev_b32_e32 v16, 16, v8
	v_and_b32_e32 v8, 0xffff, v8
	;;#ASMSTART
	v_cvt_f32_f16 v44, v8;
	;;#ASMEND
	;;#ASMSTART
	v_cvt_f32_f16 v45, v16;
	;;#ASMEND
	global_load_dwordx2 v[22:23], v[14:15], off offset:1536
	global_load_dword v16, v9, s[14:15]
	v_mov_b32_e32 v20, 0
	v_mov_b32_e32 v18, 0
	s_waitcnt vmcnt(1)
	v_cmp_ne_u16_sdwa s[0:1], v22, v9 src0_sel:BYTE_0 src1_sel:DWORD
	s_and_saveexec_b64 s[12:13], s[0:1]
	s_cbranch_execz .LBB314_439
; %bb.434:                              ;   in Loop: Header=BB314_283 Depth=1
	v_cmp_ne_u16_sdwa s[0:1], v22, s21 src0_sel:BYTE_0 src1_sel:DWORD
	v_bfrev_b32_e32 v18, 1
	s_and_saveexec_b64 s[16:17], s[0:1]
	s_cbranch_execz .LBB314_438
; %bb.435:                              ;   in Loop: Header=BB314_283 Depth=1
	v_and_b32_e32 v8, 0x7f, v22
	v_cmp_ne_u32_e64 s[0:1], s22, v8
	v_mov_b32_e32 v18, 0x7fc02000
	s_and_saveexec_b64 s[18:19], s[0:1]
	s_cbranch_execz .LBB314_437
; %bb.436:                              ;   in Loop: Header=BB314_283 Depth=1
	v_and_b32_e32 v18, 7, v22
	v_ffbh_u32_e32 v18, v18
	v_min_u32_e32 v18, 32, v18
	v_subrev_u32_e32 v19, 28, v18
	v_cmp_gt_u32_e64 s[0:1], 8, v8
	v_lshrrev_b32_e32 v21, 3, v8
	v_sub_u32_e32 v46, 29, v18
	v_cndmask_b32_e64 v8, 0, v19, s[0:1]
	v_lshlrev_b64 v[18:19], v8, v[22:23]
	v_cndmask_b32_e64 v8, v21, v46, s[0:1]
	v_lshlrev_b32_e32 v19, 8, v22
	v_lshl_add_u32 v8, v8, 10, v3
	v_lshlrev_b32_e32 v18, 7, v18
	v_and_or_b32 v8, v19, s23, v8
	v_and_or_b32 v8, v18, s28, v8
	v_cvt_f32_f16_e32 v18, v8
.LBB314_437:                            ;   in Loop: Header=BB314_283 Depth=1
	s_or_b64 exec, exec, s[18:19]
.LBB314_438:                            ;   in Loop: Header=BB314_283 Depth=1
	s_or_b64 exec, exec, s[16:17]
.LBB314_439:                            ;   in Loop: Header=BB314_283 Depth=1
	s_or_b64 exec, exec, s[12:13]
	v_lshrrev_b16_e32 v8, 8, v22
	v_cmp_ne_u16_e64 s[0:1], 0, v8
	s_and_saveexec_b64 s[12:13], s[0:1]
	s_cbranch_execz .LBB314_445
; %bb.440:                              ;   in Loop: Header=BB314_283 Depth=1
	v_cmp_ne_u16_e64 s[0:1], s21, v8
	v_bfrev_b32_e32 v20, 1
	s_and_saveexec_b64 s[16:17], s[0:1]
	s_cbranch_execz .LBB314_444
; %bb.441:                              ;   in Loop: Header=BB314_283 Depth=1
	v_and_b32_e32 v19, 0x7f, v8
	v_cmp_ne_u32_e64 s[0:1], s22, v19
	v_mov_b32_e32 v20, 0x7fc02000
	s_and_saveexec_b64 s[18:19], s[0:1]
	s_cbranch_execz .LBB314_443
; %bb.442:                              ;   in Loop: Header=BB314_283 Depth=1
	v_and_b32_e32 v46, 7, v8
	v_ffbh_u32_e32 v20, v46
	v_min_u32_e32 v48, 32, v20
	v_subrev_u32_e32 v20, 28, v48
	v_lshlrev_b64 v[20:21], v20, v[8:9]
	v_lshrrev_b32_e32 v47, 3, v19
	v_sub_u32_e32 v21, 29, v48
	v_cmp_gt_u32_e64 s[0:1], 8, v19
	v_cndmask_b32_e64 v19, v47, v21, s[0:1]
	v_and_b32_e32 v20, 7, v20
	v_lshlrev_b32_e32 v8, 8, v8
	v_lshl_add_u32 v19, v19, 10, v3
	v_cndmask_b32_e64 v20, v46, v20, s[0:1]
	v_and_or_b32 v8, v8, s23, v19
	v_lshl_or_b32 v8, v20, 7, v8
	v_cvt_f32_f16_e32 v20, v8
.LBB314_443:                            ;   in Loop: Header=BB314_283 Depth=1
	s_or_b64 exec, exec, s[18:19]
.LBB314_444:                            ;   in Loop: Header=BB314_283 Depth=1
	s_or_b64 exec, exec, s[16:17]
.LBB314_445:                            ;   in Loop: Header=BB314_283 Depth=1
	s_or_b64 exec, exec, s[12:13]
	v_lshrrev_b32_e32 v8, 16, v22
	v_cmp_ne_u16_sdwa s[0:1], v8, v9 src0_sel:BYTE_0 src1_sel:DWORD
	v_mov_b32_e32 v21, 0
	v_mov_b32_e32 v19, 0
	s_and_saveexec_b64 s[12:13], s[0:1]
	s_cbranch_execz .LBB314_451
; %bb.446:                              ;   in Loop: Header=BB314_283 Depth=1
	v_cmp_ne_u16_sdwa s[0:1], v8, s21 src0_sel:BYTE_0 src1_sel:DWORD
	v_bfrev_b32_e32 v19, 1
	s_and_saveexec_b64 s[16:17], s[0:1]
	s_cbranch_execz .LBB314_450
; %bb.447:                              ;   in Loop: Header=BB314_283 Depth=1
	v_bfe_u32 v46, v22, 16, 7
	v_cmp_ne_u32_e64 s[0:1], s22, v46
	v_mov_b32_e32 v19, 0x7fc02000
	s_and_saveexec_b64 s[18:19], s[0:1]
	s_cbranch_execz .LBB314_449
; %bb.448:                              ;   in Loop: Header=BB314_283 Depth=1
	v_and_b32_e32 v19, 7, v8
	v_ffbh_u32_e32 v48, v19
	v_min_u32_e32 v50, 32, v48
	v_subrev_u32_e32 v48, 28, v50
	v_lshlrev_b64 v[48:49], v48, v[8:9]
	v_lshrrev_b32_e32 v47, 3, v46
	v_sub_u32_e32 v49, 29, v50
	v_cmp_gt_u32_e64 s[0:1], 8, v46
	v_cndmask_b32_e64 v46, v47, v49, s[0:1]
	v_and_b32_e32 v48, 7, v48
	v_lshlrev_b32_e32 v8, 8, v8
	v_lshl_add_u32 v46, v46, 10, v3
	v_cndmask_b32_e64 v19, v19, v48, s[0:1]
	v_and_or_b32 v8, v8, s23, v46
	v_lshl_or_b32 v8, v19, 7, v8
	v_cvt_f32_f16_e32 v19, v8
.LBB314_449:                            ;   in Loop: Header=BB314_283 Depth=1
	s_or_b64 exec, exec, s[18:19]
.LBB314_450:                            ;   in Loop: Header=BB314_283 Depth=1
	s_or_b64 exec, exec, s[16:17]
.LBB314_451:                            ;   in Loop: Header=BB314_283 Depth=1
	s_or_b64 exec, exec, s[12:13]
	v_cmp_lt_u32_e64 s[0:1], s7, v22
	s_and_saveexec_b64 s[12:13], s[0:1]
	s_cbranch_execz .LBB314_457
; %bb.452:                              ;   in Loop: Header=BB314_283 Depth=1
	v_lshrrev_b32_e32 v8, 24, v22
	v_cmp_ne_u32_e64 s[0:1], s21, v8
	v_bfrev_b32_e32 v21, 1
	s_and_saveexec_b64 s[16:17], s[0:1]
	s_cbranch_execz .LBB314_456
; %bb.453:                              ;   in Loop: Header=BB314_283 Depth=1
	v_and_b32_e32 v46, 0x7f, v8
	v_cmp_ne_u32_e64 s[0:1], s22, v46
	v_mov_b32_e32 v21, 0x7fc02000
	s_and_saveexec_b64 s[18:19], s[0:1]
	s_cbranch_execz .LBB314_455
; %bb.454:                              ;   in Loop: Header=BB314_283 Depth=1
	v_and_b32_e32 v21, 7, v8
	v_ffbh_u32_e32 v48, v21
	v_min_u32_e32 v50, 32, v48
	v_subrev_u32_e32 v48, 28, v50
	v_lshlrev_b64 v[48:49], v48, v[8:9]
	v_lshrrev_b32_e32 v47, 3, v46
	v_sub_u32_e32 v49, 29, v50
	v_cmp_gt_u32_e64 s[0:1], 8, v46
	v_cndmask_b32_e64 v46, v47, v49, s[0:1]
	v_and_b32_e32 v48, 7, v48
	v_lshlrev_b32_e32 v8, 8, v8
	v_lshl_add_u32 v46, v46, 10, v3
	v_cndmask_b32_e64 v21, v21, v48, s[0:1]
	v_and_or_b32 v8, v8, s23, v46
	v_lshl_or_b32 v8, v21, 7, v8
	v_cvt_f32_f16_e32 v21, v8
.LBB314_455:                            ;   in Loop: Header=BB314_283 Depth=1
	s_or_b64 exec, exec, s[18:19]
.LBB314_456:                            ;   in Loop: Header=BB314_283 Depth=1
	s_or_b64 exec, exec, s[16:17]
.LBB314_457:                            ;   in Loop: Header=BB314_283 Depth=1
	s_or_b64 exec, exec, s[12:13]
	v_mov_b32_e32 v8, v23
	v_cmp_ne_u16_sdwa s[0:1], v23, v9 src0_sel:BYTE_0 src1_sel:DWORD
	v_mov_b32_e32 v47, 0
	v_mov_b32_e32 v46, 0
	s_and_saveexec_b64 s[12:13], s[0:1]
	s_cbranch_execz .LBB314_463
; %bb.458:                              ;   in Loop: Header=BB314_283 Depth=1
	v_cmp_ne_u16_sdwa s[0:1], v23, s21 src0_sel:BYTE_0 src1_sel:DWORD
	v_bfrev_b32_e32 v46, 1
	s_and_saveexec_b64 s[16:17], s[0:1]
	s_cbranch_execz .LBB314_462
; %bb.459:                              ;   in Loop: Header=BB314_283 Depth=1
	v_and_b32_e32 v48, 0x7f, v23
	v_cmp_ne_u32_e64 s[0:1], s22, v48
	v_mov_b32_e32 v46, 0x7fc02000
	s_and_saveexec_b64 s[18:19], s[0:1]
	s_cbranch_execz .LBB314_461
; %bb.460:                              ;   in Loop: Header=BB314_283 Depth=1
	v_and_b32_e32 v46, 7, v23
	v_ffbh_u32_e32 v46, v46
	v_min_u32_e32 v46, 32, v46
	v_subrev_u32_e32 v49, 28, v46
	v_cmp_gt_u32_e64 s[0:1], 8, v48
	v_lshrrev_b32_e32 v50, 3, v48
	v_sub_u32_e32 v46, 29, v46
	v_cndmask_b32_e64 v48, 0, v49, s[0:1]
	v_lshlrev_b64 v[48:49], v48, v[8:9]
	v_cndmask_b32_e64 v46, v50, v46, s[0:1]
	v_lshlrev_b32_e32 v49, 8, v23
	v_lshl_add_u32 v46, v46, 10, v3
	v_lshlrev_b32_e32 v48, 7, v48
	v_and_or_b32 v46, v49, s23, v46
	v_and_or_b32 v46, v48, s28, v46
	v_cvt_f32_f16_e32 v46, v46
.LBB314_461:                            ;   in Loop: Header=BB314_283 Depth=1
	s_or_b64 exec, exec, s[18:19]
.LBB314_462:                            ;   in Loop: Header=BB314_283 Depth=1
	s_or_b64 exec, exec, s[16:17]
.LBB314_463:                            ;   in Loop: Header=BB314_283 Depth=1
	s_or_b64 exec, exec, s[12:13]
	v_lshrrev_b16_e32 v8, 8, v8
	v_cmp_ne_u16_e64 s[0:1], 0, v8
	s_and_saveexec_b64 s[12:13], s[0:1]
	s_cbranch_execz .LBB314_469
; %bb.464:                              ;   in Loop: Header=BB314_283 Depth=1
	v_cmp_ne_u16_e64 s[0:1], s21, v8
	v_bfrev_b32_e32 v47, 1
	s_and_saveexec_b64 s[16:17], s[0:1]
	s_cbranch_execz .LBB314_468
; %bb.465:                              ;   in Loop: Header=BB314_283 Depth=1
	v_and_b32_e32 v48, 0x7f, v8
	v_cmp_ne_u32_e64 s[0:1], s22, v48
	v_mov_b32_e32 v47, 0x7fc02000
	s_and_saveexec_b64 s[18:19], s[0:1]
	s_cbranch_execz .LBB314_467
; %bb.466:                              ;   in Loop: Header=BB314_283 Depth=1
	v_and_b32_e32 v47, 7, v8
	v_ffbh_u32_e32 v50, v47
	v_min_u32_e32 v52, 32, v50
	v_subrev_u32_e32 v50, 28, v52
	v_lshlrev_b64 v[50:51], v50, v[8:9]
	v_lshrrev_b32_e32 v49, 3, v48
	v_sub_u32_e32 v51, 29, v52
	v_cmp_gt_u32_e64 s[0:1], 8, v48
	v_cndmask_b32_e64 v48, v49, v51, s[0:1]
	v_and_b32_e32 v50, 7, v50
	v_lshlrev_b32_e32 v8, 8, v8
	v_lshl_add_u32 v48, v48, 10, v3
	v_cndmask_b32_e64 v47, v47, v50, s[0:1]
	v_and_or_b32 v8, v8, s23, v48
	v_lshl_or_b32 v8, v47, 7, v8
	v_cvt_f32_f16_e32 v47, v8
.LBB314_467:                            ;   in Loop: Header=BB314_283 Depth=1
	s_or_b64 exec, exec, s[18:19]
.LBB314_468:                            ;   in Loop: Header=BB314_283 Depth=1
	s_or_b64 exec, exec, s[16:17]
.LBB314_469:                            ;   in Loop: Header=BB314_283 Depth=1
	s_or_b64 exec, exec, s[12:13]
	v_lshrrev_b32_e32 v8, 16, v23
	v_cmp_ne_u16_sdwa s[0:1], v8, v9 src0_sel:BYTE_0 src1_sel:DWORD
	v_mov_b32_e32 v48, 0
	v_mov_b32_e32 v49, 0
	s_and_saveexec_b64 s[12:13], s[0:1]
	s_cbranch_execz .LBB314_475
; %bb.470:                              ;   in Loop: Header=BB314_283 Depth=1
	v_cmp_ne_u16_sdwa s[0:1], v8, s21 src0_sel:BYTE_0 src1_sel:DWORD
	v_bfrev_b32_e32 v49, 1
	s_and_saveexec_b64 s[16:17], s[0:1]
	s_cbranch_execz .LBB314_474
; %bb.471:                              ;   in Loop: Header=BB314_283 Depth=1
	v_bfe_u32 v50, v23, 16, 7
	v_cmp_ne_u32_e64 s[0:1], s22, v50
	v_mov_b32_e32 v49, 0x7fc02000
	s_and_saveexec_b64 s[18:19], s[0:1]
	s_cbranch_execz .LBB314_473
; %bb.472:                              ;   in Loop: Header=BB314_283 Depth=1
	v_and_b32_e32 v49, 7, v8
	v_ffbh_u32_e32 v52, v49
	v_min_u32_e32 v54, 32, v52
	v_subrev_u32_e32 v52, 28, v54
	v_lshlrev_b64 v[52:53], v52, v[8:9]
	v_lshrrev_b32_e32 v51, 3, v50
	v_sub_u32_e32 v53, 29, v54
	v_cmp_gt_u32_e64 s[0:1], 8, v50
	v_cndmask_b32_e64 v50, v51, v53, s[0:1]
	v_and_b32_e32 v52, 7, v52
	v_lshlrev_b32_e32 v8, 8, v8
	v_lshl_add_u32 v50, v50, 10, v3
	v_cndmask_b32_e64 v49, v49, v52, s[0:1]
	v_and_or_b32 v8, v8, s23, v50
	v_lshl_or_b32 v8, v49, 7, v8
	v_cvt_f32_f16_e32 v49, v8
.LBB314_473:                            ;   in Loop: Header=BB314_283 Depth=1
	s_or_b64 exec, exec, s[18:19]
.LBB314_474:                            ;   in Loop: Header=BB314_283 Depth=1
	s_or_b64 exec, exec, s[16:17]
.LBB314_475:                            ;   in Loop: Header=BB314_283 Depth=1
	s_or_b64 exec, exec, s[12:13]
	v_cmp_lt_u64_e64 s[0:1], s[6:7], v[22:23]
	s_and_saveexec_b64 s[12:13], s[0:1]
	s_cbranch_execz .LBB314_481
; %bb.476:                              ;   in Loop: Header=BB314_283 Depth=1
	v_lshrrev_b32_e32 v8, 24, v23
	v_cmp_ne_u32_e64 s[0:1], s21, v8
	v_bfrev_b32_e32 v48, 1
	s_and_saveexec_b64 s[16:17], s[0:1]
	s_cbranch_execz .LBB314_480
; %bb.477:                              ;   in Loop: Header=BB314_283 Depth=1
	v_and_b32_e32 v22, 0x7f, v8
	v_cmp_ne_u32_e64 s[0:1], s22, v22
	v_mov_b32_e32 v48, 0x7fc02000
	s_and_saveexec_b64 s[18:19], s[0:1]
	s_cbranch_execz .LBB314_479
; %bb.478:                              ;   in Loop: Header=BB314_283 Depth=1
	v_and_b32_e32 v23, 7, v8
	v_ffbh_u32_e32 v50, v23
	v_min_u32_e32 v52, 32, v50
	v_subrev_u32_e32 v50, 28, v52
	v_lshlrev_b64 v[50:51], v50, v[8:9]
	v_lshrrev_b32_e32 v48, 3, v22
	v_sub_u32_e32 v51, 29, v52
	v_cmp_gt_u32_e64 s[0:1], 8, v22
	v_cndmask_b32_e64 v22, v48, v51, s[0:1]
	v_and_b32_e32 v50, 7, v50
	v_lshlrev_b32_e32 v8, 8, v8
	v_lshl_add_u32 v22, v22, 10, v3
	v_cndmask_b32_e64 v23, v23, v50, s[0:1]
	v_and_or_b32 v8, v8, s23, v22
	v_lshl_or_b32 v8, v23, 7, v8
	v_cvt_f32_f16_e32 v48, v8
.LBB314_479:                            ;   in Loop: Header=BB314_283 Depth=1
	s_or_b64 exec, exec, s[18:19]
.LBB314_480:                            ;   in Loop: Header=BB314_283 Depth=1
	s_or_b64 exec, exec, s[16:17]
.LBB314_481:                            ;   in Loop: Header=BB314_283 Depth=1
	s_or_b64 exec, exec, s[12:13]
	s_waitcnt vmcnt(0)
	v_pk_mul_f32 v[20:21], v[16:17], v[20:21] op_sel_hi:[0,1]
	v_pk_mul_f32 v[18:19], v[16:17], v[18:19] op_sel_hi:[0,1]
	v_cvt_f16_f32_e32 v8, v21
	v_cvt_f16_f32_e32 v20, v20
	v_cvt_f16_f32_e32 v19, v19
	v_cvt_f16_f32_e32 v18, v18
	v_pack_b32_f16 v20, v20, v8
	v_pack_b32_f16 v18, v18, v19
	v_fma_mixlo_f16 v19, v16, v47, 0
	v_perm_b32 v8, v18, v20, s30
	v_perm_b32 v18, v18, v20, s31
	v_lshlrev_b32_e32 v19, 16, v19
	v_fma_mixlo_f16 v20, v16, v46, 0
	v_or_b32_sdwa v19, v19, v20 dst_sel:DWORD dst_unused:UNUSED_PAD src0_sel:DWORD src1_sel:WORD_0
	v_fma_mixlo_f16 v20, v16, v49, 0
	v_fma_mixlo_f16 v16, v16, v48, 0
	v_lshlrev_b32_e32 v16, 16, v16
	v_or_b32_sdwa v16, v16, v20 dst_sel:DWORD dst_unused:UNUSED_PAD src0_sel:DWORD src1_sel:WORD_0
	s_and_saveexec_b64 s[12:13], vcc
	s_cbranch_execz .LBB314_483
; %bb.482:                              ;   in Loop: Header=BB314_283 Depth=1
	v_lshrrev_b32_e32 v21, 16, v18
	v_cmp_gt_i32_e64 s[0:1], s20, v35
	v_cndmask_b32_e64 v21, 0, v21, s[0:1]
	v_cmp_gt_i32_e64 s[0:1], s29, v27
	v_cndmask_b32_e64 v18, 0, v18, s[0:1]
	v_perm_b32 v18, v21, v18, s34
	v_lshrrev_b32_e32 v21, 16, v8
	v_cmp_gt_i32_e64 s[0:1], s20, v34
	v_cndmask_b32_e64 v21, 0, v21, s[0:1]
	v_cmp_gt_i32_e64 s[0:1], s29, v33
	v_cndmask_b32_e64 v8, 0, v8, s[0:1]
	v_perm_b32 v8, v21, v8, s34
	v_lshrrev_b32_e32 v21, 16, v19
	v_cmp_gt_i32_e64 s[0:1], s20, v32
	v_cndmask_b32_e64 v21, 0, v21, s[0:1]
	v_cmp_gt_i32_e64 s[0:1], s29, v31
	v_cndmask_b32_e64 v19, 0, v19, s[0:1]
	v_lshrrev_b32_e32 v16, 16, v16
	v_cmp_gt_i32_e64 s[0:1], s20, v30
	v_cndmask_b32_e64 v16, 0, v16, s[0:1]
	v_cmp_gt_i32_e64 s[0:1], s29, v29
	v_cndmask_b32_e64 v20, 0, v20, s[0:1]
	v_perm_b32 v19, v21, v19, s34
	v_perm_b32 v16, v16, v20, s34
.LBB314_483:                            ;   in Loop: Header=BB314_283 Depth=1
	s_or_b64 exec, exec, s[12:13]
	;;#ASMSTART
	v_pk_mul_f16 v18, v36, v18;

	;;#ASMEND
	;;#ASMSTART
	v_pk_mul_f16 v8, v37, v8;

	;;#ASMEND
	;; [unrolled: 4-line block ×4, first 2 shown]
	;;#ASMSTART
	v_pk_add_f16 v8, v18, v8;

	;;#ASMEND
	;;#ASMSTART
	v_pk_add_f16 v8, v8, v19;

	;;#ASMEND
	;; [unrolled: 4-line block ×3, first 2 shown]
	v_lshrrev_b32_e32 v16, 16, v8
	v_and_b32_e32 v8, 0xffff, v8
	;;#ASMSTART
	v_cvt_f32_f16 v22, v8;
	;;#ASMEND
	;;#ASMSTART
	v_cvt_f32_f16 v23, v16;
	;;#ASMEND
	global_load_dwordx2 v[20:21], v[14:15], off offset:2048
	global_load_dword v16, v9, s[14:15]
	v_mov_b32_e32 v18, 0
	v_mov_b32_e32 v14, 0
	s_waitcnt vmcnt(1)
	v_cmp_ne_u16_sdwa s[0:1], v20, v9 src0_sel:BYTE_0 src1_sel:DWORD
	s_and_saveexec_b64 s[12:13], s[0:1]
	s_cbranch_execz .LBB314_489
; %bb.484:                              ;   in Loop: Header=BB314_283 Depth=1
	v_cmp_ne_u16_sdwa s[0:1], v20, s21 src0_sel:BYTE_0 src1_sel:DWORD
	v_bfrev_b32_e32 v14, 1
	s_and_saveexec_b64 s[16:17], s[0:1]
	s_cbranch_execz .LBB314_488
; %bb.485:                              ;   in Loop: Header=BB314_283 Depth=1
	v_and_b32_e32 v8, 0x7f, v20
	v_cmp_ne_u32_e64 s[0:1], s22, v8
	v_mov_b32_e32 v14, 0x7fc02000
	s_and_saveexec_b64 s[18:19], s[0:1]
	s_cbranch_execz .LBB314_487
; %bb.486:                              ;   in Loop: Header=BB314_283 Depth=1
	v_and_b32_e32 v14, 7, v20
	v_ffbh_u32_e32 v14, v14
	v_min_u32_e32 v14, 32, v14
	v_subrev_u32_e32 v15, 28, v14
	v_cmp_gt_u32_e64 s[0:1], 8, v8
	v_lshrrev_b32_e32 v19, 3, v8
	v_sub_u32_e32 v46, 29, v14
	v_cndmask_b32_e64 v8, 0, v15, s[0:1]
	v_lshlrev_b64 v[14:15], v8, v[20:21]
	v_cndmask_b32_e64 v8, v19, v46, s[0:1]
	v_lshlrev_b32_e32 v15, 8, v20
	v_lshl_add_u32 v8, v8, 10, v3
	v_lshlrev_b32_e32 v14, 7, v14
	v_and_or_b32 v8, v15, s23, v8
	v_and_or_b32 v8, v14, s28, v8
	v_cvt_f32_f16_e32 v14, v8
.LBB314_487:                            ;   in Loop: Header=BB314_283 Depth=1
	s_or_b64 exec, exec, s[18:19]
.LBB314_488:                            ;   in Loop: Header=BB314_283 Depth=1
	s_or_b64 exec, exec, s[16:17]
.LBB314_489:                            ;   in Loop: Header=BB314_283 Depth=1
	s_or_b64 exec, exec, s[12:13]
	v_lshrrev_b16_e32 v8, 8, v20
	v_cmp_ne_u16_e64 s[0:1], 0, v8
	s_and_saveexec_b64 s[12:13], s[0:1]
	s_cbranch_execz .LBB314_495
; %bb.490:                              ;   in Loop: Header=BB314_283 Depth=1
	v_cmp_ne_u16_e64 s[0:1], s21, v8
	v_bfrev_b32_e32 v18, 1
	s_and_saveexec_b64 s[16:17], s[0:1]
	s_cbranch_execz .LBB314_494
; %bb.491:                              ;   in Loop: Header=BB314_283 Depth=1
	v_and_b32_e32 v15, 0x7f, v8
	v_cmp_ne_u32_e64 s[0:1], s22, v15
	v_mov_b32_e32 v18, 0x7fc02000
	s_and_saveexec_b64 s[18:19], s[0:1]
	s_cbranch_execz .LBB314_493
; %bb.492:                              ;   in Loop: Header=BB314_283 Depth=1
	v_and_b32_e32 v46, 7, v8
	v_ffbh_u32_e32 v18, v46
	v_min_u32_e32 v48, 32, v18
	v_subrev_u32_e32 v18, 28, v48
	v_lshlrev_b64 v[18:19], v18, v[8:9]
	v_lshrrev_b32_e32 v47, 3, v15
	v_sub_u32_e32 v19, 29, v48
	v_cmp_gt_u32_e64 s[0:1], 8, v15
	v_cndmask_b32_e64 v15, v47, v19, s[0:1]
	v_and_b32_e32 v18, 7, v18
	v_lshlrev_b32_e32 v8, 8, v8
	v_lshl_add_u32 v15, v15, 10, v3
	v_cndmask_b32_e64 v18, v46, v18, s[0:1]
	v_and_or_b32 v8, v8, s23, v15
	v_lshl_or_b32 v8, v18, 7, v8
	v_cvt_f32_f16_e32 v18, v8
.LBB314_493:                            ;   in Loop: Header=BB314_283 Depth=1
	s_or_b64 exec, exec, s[18:19]
.LBB314_494:                            ;   in Loop: Header=BB314_283 Depth=1
	s_or_b64 exec, exec, s[16:17]
.LBB314_495:                            ;   in Loop: Header=BB314_283 Depth=1
	s_or_b64 exec, exec, s[12:13]
	v_lshrrev_b32_e32 v8, 16, v20
	v_cmp_ne_u16_sdwa s[0:1], v8, v9 src0_sel:BYTE_0 src1_sel:DWORD
	v_mov_b32_e32 v19, 0
	v_mov_b32_e32 v15, 0
	s_and_saveexec_b64 s[12:13], s[0:1]
	s_cbranch_execz .LBB314_501
; %bb.496:                              ;   in Loop: Header=BB314_283 Depth=1
	v_cmp_ne_u16_sdwa s[0:1], v8, s21 src0_sel:BYTE_0 src1_sel:DWORD
	v_bfrev_b32_e32 v15, 1
	s_and_saveexec_b64 s[16:17], s[0:1]
	s_cbranch_execz .LBB314_500
; %bb.497:                              ;   in Loop: Header=BB314_283 Depth=1
	v_bfe_u32 v46, v20, 16, 7
	v_cmp_ne_u32_e64 s[0:1], s22, v46
	v_mov_b32_e32 v15, 0x7fc02000
	s_and_saveexec_b64 s[18:19], s[0:1]
	s_cbranch_execz .LBB314_499
; %bb.498:                              ;   in Loop: Header=BB314_283 Depth=1
	v_and_b32_e32 v15, 7, v8
	v_ffbh_u32_e32 v48, v15
	v_min_u32_e32 v50, 32, v48
	v_subrev_u32_e32 v48, 28, v50
	v_lshlrev_b64 v[48:49], v48, v[8:9]
	v_lshrrev_b32_e32 v47, 3, v46
	v_sub_u32_e32 v49, 29, v50
	v_cmp_gt_u32_e64 s[0:1], 8, v46
	v_cndmask_b32_e64 v46, v47, v49, s[0:1]
	v_and_b32_e32 v48, 7, v48
	v_lshlrev_b32_e32 v8, 8, v8
	v_lshl_add_u32 v46, v46, 10, v3
	v_cndmask_b32_e64 v15, v15, v48, s[0:1]
	v_and_or_b32 v8, v8, s23, v46
	v_lshl_or_b32 v8, v15, 7, v8
	v_cvt_f32_f16_e32 v15, v8
.LBB314_499:                            ;   in Loop: Header=BB314_283 Depth=1
	s_or_b64 exec, exec, s[18:19]
.LBB314_500:                            ;   in Loop: Header=BB314_283 Depth=1
	s_or_b64 exec, exec, s[16:17]
.LBB314_501:                            ;   in Loop: Header=BB314_283 Depth=1
	s_or_b64 exec, exec, s[12:13]
	v_cmp_lt_u32_e64 s[0:1], s7, v20
	s_and_saveexec_b64 s[12:13], s[0:1]
	s_cbranch_execz .LBB314_507
; %bb.502:                              ;   in Loop: Header=BB314_283 Depth=1
	v_lshrrev_b32_e32 v8, 24, v20
	v_cmp_ne_u32_e64 s[0:1], s21, v8
	v_bfrev_b32_e32 v19, 1
	s_and_saveexec_b64 s[16:17], s[0:1]
	s_cbranch_execz .LBB314_506
; %bb.503:                              ;   in Loop: Header=BB314_283 Depth=1
	v_and_b32_e32 v46, 0x7f, v8
	v_cmp_ne_u32_e64 s[0:1], s22, v46
	v_mov_b32_e32 v19, 0x7fc02000
	s_and_saveexec_b64 s[18:19], s[0:1]
	s_cbranch_execz .LBB314_505
; %bb.504:                              ;   in Loop: Header=BB314_283 Depth=1
	v_and_b32_e32 v19, 7, v8
	v_ffbh_u32_e32 v48, v19
	v_min_u32_e32 v50, 32, v48
	v_subrev_u32_e32 v48, 28, v50
	v_lshlrev_b64 v[48:49], v48, v[8:9]
	v_lshrrev_b32_e32 v47, 3, v46
	v_sub_u32_e32 v49, 29, v50
	v_cmp_gt_u32_e64 s[0:1], 8, v46
	v_cndmask_b32_e64 v46, v47, v49, s[0:1]
	v_and_b32_e32 v48, 7, v48
	v_lshlrev_b32_e32 v8, 8, v8
	v_lshl_add_u32 v46, v46, 10, v3
	v_cndmask_b32_e64 v19, v19, v48, s[0:1]
	v_and_or_b32 v8, v8, s23, v46
	v_lshl_or_b32 v8, v19, 7, v8
	v_cvt_f32_f16_e32 v19, v8
.LBB314_505:                            ;   in Loop: Header=BB314_283 Depth=1
	s_or_b64 exec, exec, s[18:19]
.LBB314_506:                            ;   in Loop: Header=BB314_283 Depth=1
	s_or_b64 exec, exec, s[16:17]
.LBB314_507:                            ;   in Loop: Header=BB314_283 Depth=1
	s_or_b64 exec, exec, s[12:13]
	v_mov_b32_e32 v8, v21
	v_cmp_ne_u16_sdwa s[0:1], v21, v9 src0_sel:BYTE_0 src1_sel:DWORD
	v_mov_b32_e32 v47, 0
	v_mov_b32_e32 v46, 0
	s_and_saveexec_b64 s[12:13], s[0:1]
	s_cbranch_execz .LBB314_513
; %bb.508:                              ;   in Loop: Header=BB314_283 Depth=1
	v_cmp_ne_u16_sdwa s[0:1], v21, s21 src0_sel:BYTE_0 src1_sel:DWORD
	v_bfrev_b32_e32 v46, 1
	s_and_saveexec_b64 s[16:17], s[0:1]
	s_cbranch_execz .LBB314_512
; %bb.509:                              ;   in Loop: Header=BB314_283 Depth=1
	v_and_b32_e32 v48, 0x7f, v21
	v_cmp_ne_u32_e64 s[0:1], s22, v48
	v_mov_b32_e32 v46, 0x7fc02000
	s_and_saveexec_b64 s[18:19], s[0:1]
	s_cbranch_execz .LBB314_511
; %bb.510:                              ;   in Loop: Header=BB314_283 Depth=1
	v_and_b32_e32 v46, 7, v21
	v_ffbh_u32_e32 v46, v46
	v_min_u32_e32 v46, 32, v46
	v_subrev_u32_e32 v49, 28, v46
	v_cmp_gt_u32_e64 s[0:1], 8, v48
	v_lshrrev_b32_e32 v50, 3, v48
	v_sub_u32_e32 v46, 29, v46
	v_cndmask_b32_e64 v48, 0, v49, s[0:1]
	v_lshlrev_b64 v[48:49], v48, v[8:9]
	v_cndmask_b32_e64 v46, v50, v46, s[0:1]
	v_lshlrev_b32_e32 v49, 8, v21
	v_lshl_add_u32 v46, v46, 10, v3
	v_lshlrev_b32_e32 v48, 7, v48
	v_and_or_b32 v46, v49, s23, v46
	v_and_or_b32 v46, v48, s28, v46
	v_cvt_f32_f16_e32 v46, v46
.LBB314_511:                            ;   in Loop: Header=BB314_283 Depth=1
	s_or_b64 exec, exec, s[18:19]
.LBB314_512:                            ;   in Loop: Header=BB314_283 Depth=1
	s_or_b64 exec, exec, s[16:17]
.LBB314_513:                            ;   in Loop: Header=BB314_283 Depth=1
	s_or_b64 exec, exec, s[12:13]
	v_lshrrev_b16_e32 v8, 8, v8
	v_cmp_ne_u16_e64 s[0:1], 0, v8
	s_and_saveexec_b64 s[12:13], s[0:1]
	s_cbranch_execz .LBB314_519
; %bb.514:                              ;   in Loop: Header=BB314_283 Depth=1
	v_cmp_ne_u16_e64 s[0:1], s21, v8
	v_bfrev_b32_e32 v47, 1
	s_and_saveexec_b64 s[16:17], s[0:1]
	s_cbranch_execz .LBB314_518
; %bb.515:                              ;   in Loop: Header=BB314_283 Depth=1
	v_and_b32_e32 v48, 0x7f, v8
	v_cmp_ne_u32_e64 s[0:1], s22, v48
	v_mov_b32_e32 v47, 0x7fc02000
	s_and_saveexec_b64 s[18:19], s[0:1]
	s_cbranch_execz .LBB314_517
; %bb.516:                              ;   in Loop: Header=BB314_283 Depth=1
	v_and_b32_e32 v47, 7, v8
	v_ffbh_u32_e32 v50, v47
	v_min_u32_e32 v52, 32, v50
	v_subrev_u32_e32 v50, 28, v52
	v_lshlrev_b64 v[50:51], v50, v[8:9]
	v_lshrrev_b32_e32 v49, 3, v48
	v_sub_u32_e32 v51, 29, v52
	v_cmp_gt_u32_e64 s[0:1], 8, v48
	v_cndmask_b32_e64 v48, v49, v51, s[0:1]
	v_and_b32_e32 v50, 7, v50
	v_lshlrev_b32_e32 v8, 8, v8
	v_lshl_add_u32 v48, v48, 10, v3
	v_cndmask_b32_e64 v47, v47, v50, s[0:1]
	v_and_or_b32 v8, v8, s23, v48
	v_lshl_or_b32 v8, v47, 7, v8
	v_cvt_f32_f16_e32 v47, v8
.LBB314_517:                            ;   in Loop: Header=BB314_283 Depth=1
	s_or_b64 exec, exec, s[18:19]
.LBB314_518:                            ;   in Loop: Header=BB314_283 Depth=1
	s_or_b64 exec, exec, s[16:17]
.LBB314_519:                            ;   in Loop: Header=BB314_283 Depth=1
	s_or_b64 exec, exec, s[12:13]
	v_lshrrev_b32_e32 v8, 16, v21
	v_cmp_ne_u16_sdwa s[0:1], v8, v9 src0_sel:BYTE_0 src1_sel:DWORD
	v_mov_b32_e32 v48, 0
	v_mov_b32_e32 v49, 0
	s_and_saveexec_b64 s[12:13], s[0:1]
	s_cbranch_execz .LBB314_525
; %bb.520:                              ;   in Loop: Header=BB314_283 Depth=1
	v_cmp_ne_u16_sdwa s[0:1], v8, s21 src0_sel:BYTE_0 src1_sel:DWORD
	v_bfrev_b32_e32 v49, 1
	s_and_saveexec_b64 s[16:17], s[0:1]
	s_cbranch_execz .LBB314_524
; %bb.521:                              ;   in Loop: Header=BB314_283 Depth=1
	v_bfe_u32 v50, v21, 16, 7
	v_cmp_ne_u32_e64 s[0:1], s22, v50
	v_mov_b32_e32 v49, 0x7fc02000
	s_and_saveexec_b64 s[18:19], s[0:1]
	s_cbranch_execz .LBB314_523
; %bb.522:                              ;   in Loop: Header=BB314_283 Depth=1
	v_and_b32_e32 v49, 7, v8
	v_ffbh_u32_e32 v52, v49
	v_min_u32_e32 v54, 32, v52
	v_subrev_u32_e32 v52, 28, v54
	v_lshlrev_b64 v[52:53], v52, v[8:9]
	v_lshrrev_b32_e32 v51, 3, v50
	v_sub_u32_e32 v53, 29, v54
	v_cmp_gt_u32_e64 s[0:1], 8, v50
	v_cndmask_b32_e64 v50, v51, v53, s[0:1]
	v_and_b32_e32 v52, 7, v52
	v_lshlrev_b32_e32 v8, 8, v8
	v_lshl_add_u32 v50, v50, 10, v3
	v_cndmask_b32_e64 v49, v49, v52, s[0:1]
	v_and_or_b32 v8, v8, s23, v50
	v_lshl_or_b32 v8, v49, 7, v8
	v_cvt_f32_f16_e32 v49, v8
.LBB314_523:                            ;   in Loop: Header=BB314_283 Depth=1
	s_or_b64 exec, exec, s[18:19]
.LBB314_524:                            ;   in Loop: Header=BB314_283 Depth=1
	s_or_b64 exec, exec, s[16:17]
.LBB314_525:                            ;   in Loop: Header=BB314_283 Depth=1
	s_or_b64 exec, exec, s[12:13]
	v_cmp_lt_u64_e64 s[0:1], s[6:7], v[20:21]
	s_and_saveexec_b64 s[12:13], s[0:1]
	s_cbranch_execz .LBB314_531
; %bb.526:                              ;   in Loop: Header=BB314_283 Depth=1
	v_lshrrev_b32_e32 v8, 24, v21
	v_cmp_ne_u32_e64 s[0:1], s21, v8
	v_bfrev_b32_e32 v48, 1
	s_and_saveexec_b64 s[16:17], s[0:1]
	s_cbranch_execz .LBB314_530
; %bb.527:                              ;   in Loop: Header=BB314_283 Depth=1
	v_and_b32_e32 v20, 0x7f, v8
	v_cmp_ne_u32_e64 s[0:1], s22, v20
	v_mov_b32_e32 v48, 0x7fc02000
	s_and_saveexec_b64 s[18:19], s[0:1]
	s_cbranch_execz .LBB314_529
; %bb.528:                              ;   in Loop: Header=BB314_283 Depth=1
	v_and_b32_e32 v21, 7, v8
	v_ffbh_u32_e32 v50, v21
	v_min_u32_e32 v52, 32, v50
	v_subrev_u32_e32 v50, 28, v52
	v_lshlrev_b64 v[50:51], v50, v[8:9]
	v_lshrrev_b32_e32 v48, 3, v20
	v_sub_u32_e32 v51, 29, v52
	v_cmp_gt_u32_e64 s[0:1], 8, v20
	v_cndmask_b32_e64 v20, v48, v51, s[0:1]
	v_and_b32_e32 v50, 7, v50
	v_lshlrev_b32_e32 v8, 8, v8
	v_lshl_add_u32 v20, v20, 10, v3
	v_cndmask_b32_e64 v21, v21, v50, s[0:1]
	v_and_or_b32 v8, v8, s23, v20
	v_lshl_or_b32 v8, v21, 7, v8
	v_cvt_f32_f16_e32 v48, v8
.LBB314_529:                            ;   in Loop: Header=BB314_283 Depth=1
	s_or_b64 exec, exec, s[18:19]
.LBB314_530:                            ;   in Loop: Header=BB314_283 Depth=1
	s_or_b64 exec, exec, s[16:17]
.LBB314_531:                            ;   in Loop: Header=BB314_283 Depth=1
	s_or_b64 exec, exec, s[12:13]
	s_waitcnt vmcnt(0)
	v_pk_mul_f32 v[18:19], v[16:17], v[18:19] op_sel_hi:[0,1]
	v_pk_mul_f32 v[14:15], v[16:17], v[14:15] op_sel_hi:[0,1]
	v_cvt_f16_f32_e32 v8, v19
	v_cvt_f16_f32_e32 v18, v18
	;; [unrolled: 1-line block ×4, first 2 shown]
	v_pack_b32_f16 v18, v18, v8
	v_pack_b32_f16 v14, v14, v15
	v_fma_mixlo_f16 v15, v16, v47, 0
	v_perm_b32 v8, v14, v18, s30
	v_perm_b32 v14, v14, v18, s31
	v_lshlrev_b32_e32 v15, 16, v15
	v_fma_mixlo_f16 v18, v16, v46, 0
	v_or_b32_sdwa v15, v15, v18 dst_sel:DWORD dst_unused:UNUSED_PAD src0_sel:DWORD src1_sel:WORD_0
	v_fma_mixlo_f16 v18, v16, v49, 0
	v_fma_mixlo_f16 v16, v16, v48, 0
	v_lshlrev_b32_e32 v16, 16, v16
	v_or_b32_sdwa v16, v16, v18 dst_sel:DWORD dst_unused:UNUSED_PAD src0_sel:DWORD src1_sel:WORD_0
	s_and_saveexec_b64 s[0:1], vcc
	s_cbranch_execz .LBB314_282
; %bb.532:                              ;   in Loop: Header=BB314_283 Depth=1
	v_lshrrev_b32_e32 v19, 16, v14
	v_cmp_gt_i32_e32 vcc, s20, v35
	v_cndmask_b32_e32 v19, 0, v19, vcc
	v_cmp_gt_i32_e32 vcc, s29, v27
	v_cndmask_b32_e32 v14, 0, v14, vcc
	v_perm_b32 v14, v19, v14, s34
	v_lshrrev_b32_e32 v19, 16, v8
	v_cmp_gt_i32_e32 vcc, s20, v34
	v_cndmask_b32_e32 v19, 0, v19, vcc
	v_cmp_gt_i32_e32 vcc, s29, v33
	v_cndmask_b32_e32 v8, 0, v8, vcc
	v_perm_b32 v8, v19, v8, s34
	v_lshrrev_b32_e32 v19, 16, v15
	v_cmp_gt_i32_e32 vcc, s20, v32
	v_cndmask_b32_e32 v19, 0, v19, vcc
	v_cmp_gt_i32_e32 vcc, s29, v31
	v_cndmask_b32_e32 v15, 0, v15, vcc
	v_lshrrev_b32_e32 v16, 16, v16
	v_cmp_gt_i32_e32 vcc, s20, v30
	v_cndmask_b32_e32 v16, 0, v16, vcc
	v_cmp_gt_i32_e32 vcc, s29, v29
	v_cndmask_b32_e32 v18, 0, v18, vcc
	v_perm_b32 v15, v19, v15, s34
	v_perm_b32 v16, v16, v18, s34
	s_branch .LBB314_282
.LBB314_533:
	s_or_b64 exec, exec, s[10:11]
.LBB314_534:
	s_or_b64 exec, exec, s[4:5]
	ds_bpermute_b32 v2, v17, v4
	ds_bpermute_b32 v3, v17, v5
	;; [unrolled: 1-line block ×5, first 2 shown]
	s_waitcnt lgkmcnt(0)
	v_pk_add_f32 v[2:3], v[4:5], v[2:3]
	ds_bpermute_b32 v4, v24, v2
	ds_bpermute_b32 v5, v24, v3
	v_pk_add_f32 v[8:9], v[6:7], v[8:9]
	v_add_f32_e32 v12, v26, v12
	ds_bpermute_b32 v10, v24, v8
	ds_bpermute_b32 v11, v24, v9
	ds_bpermute_b32 v13, v24, v12
	s_waitcnt lgkmcnt(3)
	v_pk_add_f32 v[6:7], v[2:3], v[4:5]
	v_and_b32_e32 v5, 0x3c3, v0
	v_cmp_eq_u32_e32 vcc, 64, v5
	s_waitcnt lgkmcnt(1)
	v_pk_add_f32 v[2:3], v[8:9], v[10:11]
	s_waitcnt lgkmcnt(0)
	v_add_f32_e32 v4, v12, v13
	s_barrier
	s_and_saveexec_b64 s[0:1], vcc
	s_cbranch_execz .LBB314_536
; %bb.535:
	v_add_u32_e32 v1, 0xb0, v1
	ds_write2_b32 v1, v6, v7 offset1:16
	ds_write2_b32 v1, v2, v3 offset0:32 offset1:48
	ds_write_b32 v1, v4 offset:256
.LBB314_536:
	s_or_b64 exec, exec, s[0:1]
	v_cmp_gt_u32_e32 vcc, 64, v0
	s_waitcnt lgkmcnt(0)
	s_barrier
	s_and_saveexec_b64 s[0:1], vcc
	s_cbranch_execz .LBB314_544
; %bb.537:
	v_cmp_eq_u32_e32 vcc, 0, v25
	v_lshrrev_b32_e32 v1, 2, v0
	s_and_saveexec_b64 s[4:5], vcc
	s_cbranch_execnz .LBB314_547
; %bb.538:
	s_or_b64 exec, exec, s[4:5]
	s_and_saveexec_b64 s[4:5], vcc
	s_cbranch_execnz .LBB314_548
.LBB314_539:
	s_or_b64 exec, exec, s[4:5]
	s_and_saveexec_b64 s[4:5], vcc
	s_cbranch_execnz .LBB314_549
.LBB314_540:
	s_or_b64 exec, exec, s[4:5]
	s_and_saveexec_b64 s[4:5], vcc
	s_cbranch_execnz .LBB314_550
.LBB314_541:
	s_or_b64 exec, exec, s[4:5]
	s_and_saveexec_b64 s[4:5], vcc
	s_cbranch_execz .LBB314_543
.LBB314_542:
	v_mov_b32_e32 v8, 0xb0
	v_lshl_add_u32 v1, v1, 2, v8
	ds_read_b32 v1, v1 offset:256
	s_waitcnt lgkmcnt(0)
	v_add_f32_e32 v4, v4, v1
.LBB314_543:
	s_or_b64 exec, exec, s[4:5]
.LBB314_544:
	s_or_b64 exec, exec, s[0:1]
	v_cmp_eq_u32_e32 vcc, 0, v5
	s_barrier
	s_and_saveexec_b64 s[0:1], vcc
	s_cbranch_execz .LBB314_546
; %bb.545:
	s_mul_i32 s0, s2, 0x50
	s_ashr_i32 s1, s0, 31
	s_lshl_b64 s[0:1], s[0:1], 1
	s_add_u32 s2, s26, s0
	s_mul_i32 s0, s25, s24
	s_addc_u32 s3, s27, s1
	s_ashr_i32 s1, s0, 31
	s_lshl_b64 s[0:1], s[0:1], 1
	s_add_u32 s2, s2, s0
	s_mul_i32 s0, s8, 0x50
	s_addc_u32 s3, s3, s1
	s_ashr_i32 s1, s0, 31
	s_lshl_b64 s[0:1], s[0:1], 1
	s_add_u32 s0, s2, s0
	s_addc_u32 s1, s3, s1
	v_lshrrev_b32_e32 v0, 1, v0
	;;#ASMSTART
	v_cvt_f16_f32 v1, v6;

	;;#ASMEND
	global_store_short v0, v1, s[0:1]
	;;#ASMSTART
	v_cvt_f16_f32 v1, v7;

	;;#ASMEND
	global_store_short v0, v1, s[0:1] offset:32
	;;#ASMSTART
	v_cvt_f16_f32 v1, v2;

	;;#ASMEND
	global_store_short v0, v1, s[0:1] offset:64
	;; [unrolled: 5-line block ×4, first 2 shown]
.LBB314_546:
	s_endpgm
.LBB314_547:
	v_mov_b32_e32 v8, 0xb0
	v_lshl_add_u32 v8, v1, 2, v8
	ds_read_b32 v8, v8
	s_waitcnt lgkmcnt(0)
	v_add_f32_e32 v6, v6, v8
	s_or_b64 exec, exec, s[4:5]
	s_and_saveexec_b64 s[4:5], vcc
	s_cbranch_execz .LBB314_539
.LBB314_548:
	v_mov_b32_e32 v8, 0xb0
	v_lshl_add_u32 v8, v1, 2, v8
	ds_read_b32 v8, v8 offset:64
	s_waitcnt lgkmcnt(0)
	v_add_f32_e32 v7, v7, v8
	s_or_b64 exec, exec, s[4:5]
	s_and_saveexec_b64 s[4:5], vcc
	s_cbranch_execz .LBB314_540
.LBB314_549:
	v_mov_b32_e32 v8, 0xb0
	v_lshl_add_u32 v8, v1, 2, v8
	ds_read_b32 v8, v8 offset:128
	s_waitcnt lgkmcnt(0)
	v_add_f32_e32 v2, v2, v8
	s_or_b64 exec, exec, s[4:5]
	s_and_saveexec_b64 s[4:5], vcc
	s_cbranch_execz .LBB314_541
.LBB314_550:
	v_mov_b32_e32 v8, 0xb0
	v_lshl_add_u32 v8, v1, 2, v8
	ds_read_b32 v8, v8 offset:192
	s_waitcnt lgkmcnt(0)
	v_add_f32_e32 v3, v3, v8
	s_or_b64 exec, exec, s[4:5]
	s_and_saveexec_b64 s[4:5], vcc
	s_cbranch_execnz .LBB314_542
	s_branch .LBB314_543
	.section	.rodata,"a",@progbits
	.p2align	6, 0x0
	.amdhsa_kernel _ZN4vllm25paged_attention_v2_kernelIthLi80ELi32ELi128ELNS_18Fp8KVCacheDataTypeE1ELb0ELi512EEEvPfS2_PT_PKS3_PKT0_S9_ifPKiSB_iPKfiiiSD_SD_iiiii
		.amdhsa_group_segment_fixed_size 176
		.amdhsa_private_segment_fixed_size 0
		.amdhsa_kernarg_size 400
		.amdhsa_user_sgpr_count 6
		.amdhsa_user_sgpr_private_segment_buffer 1
		.amdhsa_user_sgpr_dispatch_ptr 0
		.amdhsa_user_sgpr_queue_ptr 0
		.amdhsa_user_sgpr_kernarg_segment_ptr 1
		.amdhsa_user_sgpr_dispatch_id 0
		.amdhsa_user_sgpr_flat_scratch_init 0
		.amdhsa_user_sgpr_kernarg_preload_length 0
		.amdhsa_user_sgpr_kernarg_preload_offset 0
		.amdhsa_user_sgpr_private_segment_size 0
		.amdhsa_uses_dynamic_stack 0
		.amdhsa_system_sgpr_private_segment_wavefront_offset 0
		.amdhsa_system_sgpr_workgroup_id_x 1
		.amdhsa_system_sgpr_workgroup_id_y 1
		.amdhsa_system_sgpr_workgroup_id_z 1
		.amdhsa_system_sgpr_workgroup_info 0
		.amdhsa_system_vgpr_workitem_id 0
		.amdhsa_next_free_vgpr 66
		.amdhsa_next_free_sgpr 54
		.amdhsa_accum_offset 68
		.amdhsa_reserve_vcc 1
		.amdhsa_reserve_flat_scratch 0
		.amdhsa_float_round_mode_32 0
		.amdhsa_float_round_mode_16_64 0
		.amdhsa_float_denorm_mode_32 3
		.amdhsa_float_denorm_mode_16_64 3
		.amdhsa_dx10_clamp 1
		.amdhsa_ieee_mode 1
		.amdhsa_fp16_overflow 0
		.amdhsa_tg_split 0
		.amdhsa_exception_fp_ieee_invalid_op 0
		.amdhsa_exception_fp_denorm_src 0
		.amdhsa_exception_fp_ieee_div_zero 0
		.amdhsa_exception_fp_ieee_overflow 0
		.amdhsa_exception_fp_ieee_underflow 0
		.amdhsa_exception_fp_ieee_inexact 0
		.amdhsa_exception_int_div_zero 0
	.end_amdhsa_kernel
	.section	.text._ZN4vllm25paged_attention_v2_kernelIthLi80ELi32ELi128ELNS_18Fp8KVCacheDataTypeE1ELb0ELi512EEEvPfS2_PT_PKS3_PKT0_S9_ifPKiSB_iPKfiiiSD_SD_iiiii,"axG",@progbits,_ZN4vllm25paged_attention_v2_kernelIthLi80ELi32ELi128ELNS_18Fp8KVCacheDataTypeE1ELb0ELi512EEEvPfS2_PT_PKS3_PKT0_S9_ifPKiSB_iPKfiiiSD_SD_iiiii,comdat
.Lfunc_end314:
	.size	_ZN4vllm25paged_attention_v2_kernelIthLi80ELi32ELi128ELNS_18Fp8KVCacheDataTypeE1ELb0ELi512EEEvPfS2_PT_PKS3_PKT0_S9_ifPKiSB_iPKfiiiSD_SD_iiiii, .Lfunc_end314-_ZN4vllm25paged_attention_v2_kernelIthLi80ELi32ELi128ELNS_18Fp8KVCacheDataTypeE1ELb0ELi512EEEvPfS2_PT_PKS3_PKT0_S9_ifPKiSB_iPKfiiiSD_SD_iiiii
                                        ; -- End function
	.section	.AMDGPU.csdata,"",@progbits
; Kernel info:
; codeLenInByte = 21928
; NumSgprs: 58
; NumVgprs: 66
; NumAgprs: 0
; TotalNumVgprs: 66
; ScratchSize: 0
; MemoryBound: 0
; FloatMode: 240
; IeeeMode: 1
; LDSByteSize: 176 bytes/workgroup (compile time only)
; SGPRBlocks: 7
; VGPRBlocks: 8
; NumSGPRsForWavesPerEU: 58
; NumVGPRsForWavesPerEU: 66
; AccumOffset: 68
; Occupancy: 7
; WaveLimiterHint : 1
; COMPUTE_PGM_RSRC2:SCRATCH_EN: 0
; COMPUTE_PGM_RSRC2:USER_SGPR: 6
; COMPUTE_PGM_RSRC2:TRAP_HANDLER: 0
; COMPUTE_PGM_RSRC2:TGID_X_EN: 1
; COMPUTE_PGM_RSRC2:TGID_Y_EN: 1
; COMPUTE_PGM_RSRC2:TGID_Z_EN: 1
; COMPUTE_PGM_RSRC2:TIDIG_COMP_CNT: 0
; COMPUTE_PGM_RSRC3_GFX90A:ACCUM_OFFSET: 16
; COMPUTE_PGM_RSRC3_GFX90A:TG_SPLIT: 0
	.text
	.p2align	2                               ; -- Begin function _ZN4vllm22paged_attention_kernelIthLi96ELi32ELi128ELNS_18Fp8KVCacheDataTypeE1ELb0ELi512EEEvPfS2_PT_PKS3_PKT0_S9_ifPKiSB_iPKfiiiSD_SD_iiiii
	.type	_ZN4vllm22paged_attention_kernelIthLi96ELi32ELi128ELNS_18Fp8KVCacheDataTypeE1ELb0ELi512EEEvPfS2_PT_PKS3_PKT0_S9_ifPKiSB_iPKfiiiSD_SD_iiiii,@function
_ZN4vllm22paged_attention_kernelIthLi96ELi32ELi128ELNS_18Fp8KVCacheDataTypeE1ELb0ELi512EEEvPfS2_PT_PKS3_PKT0_S9_ifPKiSB_iPKfiiiSD_SD_iiiii: ; @_ZN4vllm22paged_attention_kernelIthLi96ELi32ELi128ELNS_18Fp8KVCacheDataTypeE1ELb0ELi512EEEvPfS2_PT_PKS3_PKT0_S9_ifPKiSB_iPKfiiiSD_SD_iiiii
; %bb.0:
	s_waitcnt vmcnt(0) expcnt(0) lgkmcnt(0)
	s_or_saveexec_b64 s[4:5], -1
	buffer_store_dword v63, off, s[0:3], s32 offset:92 ; 4-byte Folded Spill
	s_mov_b64 exec, s[4:5]
	buffer_store_dword v40, off, s[0:3], s32 offset:80 ; 4-byte Folded Spill
	buffer_store_dword v41, off, s[0:3], s32 offset:76 ; 4-byte Folded Spill
	;; [unrolled: 1-line block ×20, first 2 shown]
	buffer_store_dword a37, off, s[0:3], s32 ; 4-byte Folded Spill
	v_writelane_b32 v63, s34, 0
	v_writelane_b32 v63, s35, 1
	;; [unrolled: 1-line block ×8, first 2 shown]
	s_mov_b32 s22, s13
	s_ashr_i32 s23, s13, 31
	v_accvgpr_write_b32 a27, v25
	s_lshl_b64 s[4:5], s[22:23], 2
	v_accvgpr_write_b32 a26, v24
	v_mov_b32_e32 v24, v1
	v_mov_b32_e32 v25, v0
	;; [unrolled: 1-line block ×3, first 2 shown]
	v_add_co_u32_e32 v0, vcc, s4, v16
	v_addc_co_u32_e32 v1, vcc, v17, v1, vcc
	flat_load_dword v0, v[0:1]
	v_accvgpr_write_b32 a4, v26
	s_lshl_b32 s23, s14, 9
	v_accvgpr_write_b32 a5, v27
	v_accvgpr_write_b32 a6, v22
	v_mov_b32_e32 v29, v20
	v_mov_b32_e32 v28, v19
	v_accvgpr_write_b32 a28, v13
	v_mov_b32_e32 v26, v3
	v_mov_b32_e32 v27, v2
	s_waitcnt vmcnt(0) lgkmcnt(0)
	v_accvgpr_write_b32 a8, v0
	v_cmp_lt_i32_e32 vcc, s23, v0
	s_and_saveexec_b64 s[16:17], vcc
	s_cbranch_execz .LBB315_645
; %bb.1:
	v_sub_u32_e32 v0, 0, v12
	v_max_i32_e32 v0, v12, v0
	v_cvt_f32_u32_e32 v1, v0
	s_load_dword s4, s[8:9], 0x10
	s_load_dword s6, s[8:9], 0x0
	v_sub_u32_e32 v3, 0, v0
	s_mov_b32 s18, s15
	v_rcp_iflag_f32_e32 v1, v1
	s_waitcnt lgkmcnt(0)
	s_lshr_b32 s4, s4, 16
	s_cmp_lg_u32 s4, 0
	s_cselect_b64 s[4:5], -1, 0
	v_mul_f32_e32 v1, 0x4f7ffffe, v1
	v_cvt_u32_f32_e32 v1, v1
	s_cmp_lg_u64 s[4:5], 0
	s_addc_u32 s15, s6, 0
	s_abs_i32 s4, s15
	v_mul_lo_u32 v3, v3, v1
	v_mul_hi_u32 v3, v1, v3
	v_add_u32_e32 v1, v1, v3
	v_mul_hi_u32 v1, s4, v1
	v_mul_lo_u32 v3, v1, v0
	v_sub_u32_e32 v3, s4, v3
	v_accvgpr_write_b32 a1, v4
	v_add_u32_e32 v4, 1, v1
	v_cmp_ge_u32_e32 vcc, v3, v0
	v_cndmask_b32_e32 v1, v1, v4, vcc
	v_sub_u32_e32 v4, v3, v0
	v_cndmask_b32_e32 v3, v3, v4, vcc
	v_xor_b32_e32 v2, s15, v12
	v_add_u32_e32 v4, 1, v1
	v_cmp_ge_u32_e32 vcc, v3, v0
	v_ashrrev_i32_e32 v2, 31, v2
	v_cndmask_b32_e32 v0, v1, v4, vcc
	v_xor_b32_e32 v0, v0, v2
	v_sub_u32_e32 v1, v0, v2
	v_sub_u32_e32 v0, 0, v1
	v_max_i32_e32 v0, v1, v0
	v_cvt_f32_u32_e32 v2, v0
	v_sub_u32_e32 v3, 0, v0
	s_abs_i32 s6, s12
	v_accvgpr_write_b32 a0, v5
	v_rcp_iflag_f32_e32 v2, v2
	v_cmp_ne_u64_e32 vcc, 0, v[28:29]
	v_mul_f32_e32 v2, 0x4f7ffffe, v2
	v_cvt_u32_f32_e32 v2, v2
	v_mul_lo_u32 v3, v3, v2
	v_mul_hi_u32 v3, v2, v3
	v_add_u32_e32 v2, v2, v3
	v_mad_u64_u32 v[32:33], s[4:5], s6, v2, 0
	v_mov_b32_e32 v2, 0
	buffer_store_dword v2, off, s[0:3], s32 offset:88 ; 4-byte Folded Spill
	s_and_saveexec_b64 s[4:5], vcc
	s_cbranch_execz .LBB315_3
; %bb.2:
	s_ashr_i32 s13, s12, 31
	s_lshl_b64 s[10:11], s[12:13], 2
	v_mov_b32_e32 v3, s11
	v_add_co_u32_e32 v2, vcc, s10, v28
	v_addc_co_u32_e32 v3, vcc, v29, v3, vcc
	flat_load_dword v2, v[2:3]
	s_waitcnt vmcnt(0) lgkmcnt(0)
	buffer_store_dword v2, off, s[0:3], s32 offset:88 ; 4-byte Folded Spill
.LBB315_3:
	s_or_b64 exec, exec, s[4:5]
	v_and_b32_e32 v16, 0x3ff, v31
	s_ashr_i32 s7, s12, 31
	v_ashrrev_i32_e32 v2, 31, v1
	v_and_b32_e32 v1, 1, v16
	s_movk_i32 s10, 0x60
	s_mul_i32 s20, s12, 0x60
	v_cmp_gt_u32_e32 vcc, 24, v16
	v_lshlrev_b32_e32 v28, 3, v16
	s_and_saveexec_b64 s[4:5], vcc
	s_cbranch_execz .LBB315_5
; %bb.4:
	v_mul_lo_u32 v4, s22, v21
	v_ashrrev_i32_e32 v5, 31, v4
	v_lshlrev_b64 v[4:5], 1, v[4:5]
	v_add_co_u32_e32 v3, vcc, v6, v4
	s_ashr_i32 s21, s20, 31
	v_addc_co_u32_e32 v4, vcc, v7, v5, vcc
	s_lshl_b64 s[24:25], s[20:21], 1
	v_mov_b32_e32 v5, s25
	v_add_co_u32_e32 v3, vcc, s24, v3
	v_addc_co_u32_e32 v5, vcc, v4, v5, vcc
	v_add_co_u32_e32 v4, vcc, v3, v28
	v_addc_co_u32_e32 v5, vcc, 0, v5, vcc
	flat_load_dwordx2 v[4:5], v[4:5]
	v_lshlrev_b32_e32 v3, 2, v16
	v_and_b32_e32 v3, 0xff8, v3
	v_mad_u32_u24 v3, v1, s10, v3
	s_waitcnt vmcnt(0) lgkmcnt(0)
	ds_write_b64 v3, v[4:5]
.LBB315_5:
	s_or_b64 exec, exec, s[4:5]
	v_accvgpr_read_b32 v4, a8
	v_add_u32_e32 v3, 31, v4
	v_ashrrev_i32_e32 v4, 31, v3
	v_lshrrev_b32_e32 v4, 27, v4
	v_add_u32_e32 v3, v3, v4
	v_ashrrev_i32_e32 v30, 5, v3
	v_mul_lo_u32 v3, v33, v0
	v_sub_u32_e32 v3, s6, v3
	v_add_u32_e32 v4, 1, v33
	v_cmp_ge_u32_e32 vcc, v3, v0
	v_sub_u32_e32 v5, v3, v0
	v_cndmask_b32_e32 v4, v33, v4, vcc
	v_cndmask_b32_e32 v3, v3, v5, vcc
	v_add_u32_e32 v5, 1, v4
	v_cmp_ge_u32_e32 vcc, v3, v0
	s_lshl_b32 s21, s14, 4
	v_xor_b32_e32 v2, s7, v2
	v_cndmask_b32_e32 v0, v4, v5, vcc
	s_add_i32 s4, s21, 16
	v_lshrrev_b32_e32 v29, 6, v16
	v_xor_b32_e32 v0, v0, v2
	v_min_i32_e32 v6, s4, v30
	v_sub_u32_e32 v3, v0, v2
	v_mul_lo_u32 v18, s22, v18
	v_or_b32_e32 v0, s21, v29
	v_ashrrev_i32_e32 v19, 31, v18
	v_cmp_lt_i32_e64 s[4:5], v0, v6
	v_accvgpr_write_b32 a3, v6
	v_mov_b32_e32 v4, v0
	v_cmp_ge_i32_e32 vcc, v0, v6
	v_mbcnt_lo_u32_b32 v2, -1, 0
	s_waitcnt lgkmcnt(0)
	s_barrier
	s_waitcnt lgkmcnt(0)
                                        ; implicit-def: $sgpr19
                                        ; implicit-def: $agpr29
                                        ; implicit-def: $vgpr0
	s_and_saveexec_b64 s[6:7], vcc
	s_xor_b64 s[6:7], exec, s[6:7]
; %bb.6:
	v_mbcnt_hi_u32_b32 v0, -1, v2
	v_accvgpr_write_b32 a29, v0
	v_and_b32_e32 v0, 64, v0
	v_add_u32_e32 v0, 64, v0
	s_mov_b32 s19, 0xff7fffff
                                        ; implicit-def: $vgpr1
                                        ; kill: killed $vgpr1
                                        ; implicit-def: $agpr28
                                        ; implicit-def: $agpr26
                                        ; implicit-def: $vgpr8
                                        ; implicit-def: $vgpr9
                                        ; implicit-def: $vgpr1
                                        ; implicit-def: $vgpr2
; %bb.7:
	s_or_saveexec_b64 s[10:11], s[6:7]
	s_load_dword s36, s[8:9], 0x14
	s_load_dword s13, s[8:9], 0x8
	v_ashrrev_i32_e32 v5, 31, v4
	v_mul_lo_u32 v36, v3, v23
	v_accvgpr_write_b32 a11, v5
	v_mov_b32_e32 v7, s19
	v_accvgpr_write_b32 a10, v4
	v_ashrrev_i32_e32 v37, 31, v36
	v_lshlrev_b64 v[34:35], 2, v[18:19]
	v_lshlrev_b32_e32 v31, 5, v29
	s_xor_b64 exec, exec, s[10:11]
	s_cbranch_execz .LBB315_301
; %bb.8:
	v_bfe_u32 v3, v16, 1, 5
	v_add_co_u32_e32 v0, vcc, v8, v36
	v_addc_co_u32_e32 v4, vcc, v9, v37, vcc
	v_lshlrev_b32_e32 v5, 4, v3
	v_add_co_u32_e32 v6, vcc, v0, v5
	v_lshlrev_b32_e32 v0, 2, v1
	v_accvgpr_write_b32 a32, v0
	v_mul_u32_u24_e32 v0, 0x60, v1
	v_accvgpr_write_b32 a33, v0
	buffer_load_dword v0, off, s[0:3], s32 offset:88 ; 4-byte Folded Reload
	s_ashr_i32 s19, s18, 31
	v_addc_co_u32_e32 v7, vcc, 0, v4, vcc
	s_lshl_b64 s[8:9], s[18:19], 2
	v_accvgpr_read_b32 v4, a10
	s_getpc_b64 s[24:25]
	s_add_u32 s24, s24, llvm.amdgcn.dynlds.offset.table@rel32@lo+4
	s_addc_u32 s25, s25, llvm.amdgcn.dynlds.offset.table@rel32@hi+12
	v_accvgpr_read_b32 v5, a11
	v_cmp_eq_u32_e32 vcc, 0, v1
	s_add_u32 s24, s8, s24
	s_addc_u32 s25, s9, s25
	v_accvgpr_write_b32 a31, v7
	v_accvgpr_write_b32 a22, v34
	;; [unrolled: 1-line block ×13, first 2 shown]
	v_mov_b32_e32 v23, 0
	v_accvgpr_write_b32 a30, v6
	v_accvgpr_write_b32 a23, v35
	;; [unrolled: 1-line block ×6, first 2 shown]
	s_mov_b64 s[26:27], 0
	s_movk_i32 s19, 0x80
	s_movk_i32 s37, 0x7f
	s_mov_b32 s38, 0x8000
	s_mov_b32 s39, 0xffffff
	v_mov_b32_e32 v6, v4
	s_waitcnt vmcnt(0)
	v_cmp_neq_f32_e64 s[6:7], 0, v0
	v_lshlrev_b64 v[0:1], 2, v[4:5]
	v_add_co_u32_e64 v0, s[8:9], v34, v0
	v_addc_co_u32_e64 v1, s[8:9], v35, v1, s[8:9]
	v_add_co_u32_e64 v20, s[8:9], v14, v0
	v_accvgpr_read_b32 v0, a8
	v_sub_u32_e32 v0, 1, v0
	v_accvgpr_write_b32 a34, v0
	v_add3_u32 v0, s23, v31, v3
	v_accvgpr_write_b32 a35, v0
	v_lshlrev_b32_e32 v0, 2, v3
	v_lshl_or_b32 v0, v29, 7, v0
	v_accvgpr_write_b32 a36, v0
	v_mov_b32_e32 v0, 0xff7fffff
	buffer_store_dword v0, off, s[0:3], s32 offset:84 ; 4-byte Folded Spill
	v_mbcnt_hi_u32_b32 v0, -1, v2
	v_addc_co_u32_e64 v21, s[8:9], v15, v1, s[8:9]
	v_accvgpr_write_b32 a29, v0
	s_branch .LBB315_10
.LBB315_9:                              ;   in Loop: Header=BB315_10 Depth=1
	s_or_b64 exec, exec, s[28:29]
	v_accvgpr_read_b32 v1, a35
	v_add_co_u32_e64 v20, s[8:9], 8, v20
	v_add_u32_e32 v1, 64, v1
	v_add_u32_e32 v6, 2, v6
	v_addc_co_u32_e64 v21, s[8:9], 0, v21, s[8:9]
	v_accvgpr_write_b32 a35, v1
	v_accvgpr_read_b32 v1, a3
	v_cmp_ge_i32_e64 s[8:9], v6, v1
	v_accvgpr_read_b32 v1, a36
	v_add_u32_e32 v1, 0x100, v1
	s_or_b64 s[26:27], s[8:9], s[26:27]
	v_accvgpr_write_b32 a36, v1
	s_andn2_b64 exec, exec, s[26:27]
	s_cbranch_execz .LBB315_300
.LBB315_10:                             ; =>This Inner Loop Header: Depth=1
	flat_load_dword v0, v[20:21]
	v_accvgpr_read_b32 v4, a30
	s_waitcnt lgkmcnt(0)
	v_accvgpr_read_b32 v2, a6
	v_accvgpr_read_b32 v5, a31
	v_accvgpr_write_b32 a37, v6
	v_mov_b32_e32 v7, 0
	s_waitcnt vmcnt(0) lgkmcnt(0)
	v_mad_i64_i32 v[0:1], s[8:9], v0, v2, v[4:5]
	v_accvgpr_read_b32 v2, a32
	v_add_co_u32_e64 v28, s[8:9], v0, v2
	v_addc_co_u32_e64 v29, s[8:9], 0, v1, s[8:9]
	v_accvgpr_read_b32 v0, a26
	flat_load_dword v30, v[28:29]
	v_accvgpr_read_b32 v1, a27
	flat_load_dword v40, v[0:1]
	s_waitcnt vmcnt(0) lgkmcnt(0)
	v_cmp_ne_u16_sdwa s[8:9], v30, v23 src0_sel:BYTE_0 src1_sel:DWORD
	s_and_saveexec_b64 s[28:29], s[8:9]
	s_cbranch_execz .LBB315_16
; %bb.11:                               ;   in Loop: Header=BB315_10 Depth=1
	v_cmp_ne_u16_sdwa s[8:9], v30, s19 src0_sel:BYTE_0 src1_sel:DWORD
	v_bfrev_b32_e32 v7, 1
	s_and_saveexec_b64 s[30:31], s[8:9]
	s_cbranch_execz .LBB315_15
; %bb.12:                               ;   in Loop: Header=BB315_10 Depth=1
	v_and_b32_e32 v0, 0x7f, v30
	v_cmp_ne_u32_e64 s[8:9], s37, v0
	v_mov_b32_e32 v7, 0x7fc02000
	s_and_saveexec_b64 s[34:35], s[8:9]
	s_cbranch_execz .LBB315_14
; %bb.13:                               ;   in Loop: Header=BB315_10 Depth=1
	v_and_b32_e32 v1, 7, v30
	v_ffbh_u32_e32 v2, v1
	v_min_u32_e32 v5, 32, v2
	v_subrev_u32_e32 v2, 28, v5
	v_lshlrev_b64 v[2:3], v2, v[30:31]
	v_lshrrev_b32_e32 v4, 3, v0
	v_sub_u32_e32 v3, 29, v5
	v_cmp_gt_u32_e64 s[8:9], 8, v0
	v_and_b32_e32 v2, 7, v2
	v_cndmask_b32_e64 v0, v4, v3, s[8:9]
	v_mov_b32_e32 v3, 0x2000
	v_cndmask_b32_e64 v1, v1, v2, s[8:9]
	v_lshlrev_b32_e32 v2, 8, v30
	v_lshl_add_u32 v0, v0, 10, v3
	v_and_or_b32 v0, v2, s38, v0
	v_lshl_or_b32 v0, v1, 7, v0
	v_cvt_f32_f16_e32 v7, v0
.LBB315_14:                             ;   in Loop: Header=BB315_10 Depth=1
	s_or_b64 exec, exec, s[34:35]
.LBB315_15:                             ;   in Loop: Header=BB315_10 Depth=1
	s_or_b64 exec, exec, s[30:31]
.LBB315_16:                             ;   in Loop: Header=BB315_10 Depth=1
	s_or_b64 exec, exec, s[28:29]
	v_lshrrev_b16_e32 v32, 8, v30
	v_cmp_ne_u16_e64 s[8:9], 0, v32
	v_mov_b32_e32 v16, 0
	s_and_saveexec_b64 s[28:29], s[8:9]
	s_cbranch_execz .LBB315_22
; %bb.17:                               ;   in Loop: Header=BB315_10 Depth=1
	v_cmp_ne_u16_e64 s[8:9], s19, v32
	v_bfrev_b32_e32 v16, 1
	s_and_saveexec_b64 s[30:31], s[8:9]
	s_cbranch_execz .LBB315_21
; %bb.18:                               ;   in Loop: Header=BB315_10 Depth=1
	v_and_b32_e32 v0, 0x7f, v32
	v_cmp_ne_u32_e64 s[8:9], s37, v0
	v_mov_b32_e32 v16, 0x7fc02000
	s_and_saveexec_b64 s[34:35], s[8:9]
	s_cbranch_execz .LBB315_20
; %bb.19:                               ;   in Loop: Header=BB315_10 Depth=1
	v_and_b32_e32 v1, 7, v32
	v_ffbh_u32_e32 v2, v1
	v_min_u32_e32 v5, 32, v2
	v_subrev_u32_e32 v2, 28, v5
	v_lshlrev_b64 v[2:3], v2, v[32:33]
	v_lshrrev_b32_e32 v4, 3, v0
	v_sub_u32_e32 v3, 29, v5
	v_cmp_gt_u32_e64 s[8:9], 8, v0
	v_and_b32_e32 v2, 7, v2
	v_cndmask_b32_e64 v0, v4, v3, s[8:9]
	v_mov_b32_e32 v3, 0x2000
	v_cndmask_b32_e64 v1, v1, v2, s[8:9]
	v_lshlrev_b32_e32 v2, 8, v32
	v_lshl_add_u32 v0, v0, 10, v3
	v_and_or_b32 v0, v2, s38, v0
	v_lshl_or_b32 v0, v1, 7, v0
	v_cvt_f32_f16_e32 v16, v0
.LBB315_20:                             ;   in Loop: Header=BB315_10 Depth=1
	s_or_b64 exec, exec, s[34:35]
.LBB315_21:                             ;   in Loop: Header=BB315_10 Depth=1
	s_or_b64 exec, exec, s[30:31]
.LBB315_22:                             ;   in Loop: Header=BB315_10 Depth=1
	s_or_b64 exec, exec, s[28:29]
	v_lshrrev_b32_e32 v32, 16, v30
	v_cmp_ne_u16_sdwa s[8:9], v32, v23 src0_sel:BYTE_0 src1_sel:DWORD
	v_mov_b32_e32 v50, 0
	v_mov_b32_e32 v52, 0
	s_and_saveexec_b64 s[28:29], s[8:9]
	s_cbranch_execz .LBB315_28
; %bb.23:                               ;   in Loop: Header=BB315_10 Depth=1
	v_cmp_ne_u16_sdwa s[8:9], v32, s19 src0_sel:BYTE_0 src1_sel:DWORD
	v_bfrev_b32_e32 v52, 1
	s_and_saveexec_b64 s[30:31], s[8:9]
	s_cbranch_execz .LBB315_27
; %bb.24:                               ;   in Loop: Header=BB315_10 Depth=1
	v_bfe_u32 v0, v30, 16, 7
	v_cmp_ne_u32_e64 s[8:9], s37, v0
	v_mov_b32_e32 v52, 0x7fc02000
	s_and_saveexec_b64 s[34:35], s[8:9]
	s_cbranch_execz .LBB315_26
; %bb.25:                               ;   in Loop: Header=BB315_10 Depth=1
	v_and_b32_e32 v1, 7, v32
	v_ffbh_u32_e32 v2, v1
	v_min_u32_e32 v5, 32, v2
	v_subrev_u32_e32 v2, 28, v5
	v_lshlrev_b64 v[2:3], v2, v[32:33]
	v_lshrrev_b32_e32 v4, 3, v0
	v_sub_u32_e32 v3, 29, v5
	v_cmp_gt_u32_e64 s[8:9], 8, v0
	v_and_b32_e32 v2, 7, v2
	v_cndmask_b32_e64 v0, v4, v3, s[8:9]
	v_mov_b32_e32 v3, 0x2000
	v_cndmask_b32_e64 v1, v1, v2, s[8:9]
	v_lshlrev_b32_e32 v2, 8, v32
	v_lshl_add_u32 v0, v0, 10, v3
	v_and_or_b32 v0, v2, s38, v0
	v_lshl_or_b32 v0, v1, 7, v0
	v_cvt_f32_f16_e32 v52, v0
.LBB315_26:                             ;   in Loop: Header=BB315_10 Depth=1
	s_or_b64 exec, exec, s[34:35]
.LBB315_27:                             ;   in Loop: Header=BB315_10 Depth=1
	s_or_b64 exec, exec, s[30:31]
.LBB315_28:                             ;   in Loop: Header=BB315_10 Depth=1
	s_or_b64 exec, exec, s[28:29]
	v_cmp_lt_u32_e64 s[8:9], s39, v30
	s_and_saveexec_b64 s[28:29], s[8:9]
	s_cbranch_execz .LBB315_34
; %bb.29:                               ;   in Loop: Header=BB315_10 Depth=1
	v_lshrrev_b32_e32 v30, 24, v30
	v_cmp_ne_u32_e64 s[8:9], s19, v30
	v_bfrev_b32_e32 v50, 1
	s_and_saveexec_b64 s[30:31], s[8:9]
	s_cbranch_execz .LBB315_33
; %bb.30:                               ;   in Loop: Header=BB315_10 Depth=1
	v_and_b32_e32 v0, 0x7f, v30
	v_cmp_ne_u32_e64 s[8:9], s37, v0
	v_mov_b32_e32 v50, 0x7fc02000
	s_and_saveexec_b64 s[34:35], s[8:9]
	s_cbranch_execz .LBB315_32
; %bb.31:                               ;   in Loop: Header=BB315_10 Depth=1
	v_and_b32_e32 v1, 7, v30
	v_ffbh_u32_e32 v2, v1
	v_min_u32_e32 v5, 32, v2
	v_subrev_u32_e32 v2, 28, v5
	v_lshlrev_b64 v[2:3], v2, v[30:31]
	v_lshrrev_b32_e32 v4, 3, v0
	v_sub_u32_e32 v3, 29, v5
	v_cmp_gt_u32_e64 s[8:9], 8, v0
	v_and_b32_e32 v2, 7, v2
	v_cndmask_b32_e64 v0, v4, v3, s[8:9]
	v_mov_b32_e32 v3, 0x2000
	v_cndmask_b32_e64 v1, v1, v2, s[8:9]
	v_lshlrev_b32_e32 v2, 8, v30
	v_lshl_add_u32 v0, v0, 10, v3
	v_and_or_b32 v0, v2, s38, v0
	v_lshl_or_b32 v0, v1, 7, v0
	v_cvt_f32_f16_e32 v50, v0
.LBB315_32:                             ;   in Loop: Header=BB315_10 Depth=1
	s_or_b64 exec, exec, s[34:35]
.LBB315_33:                             ;   in Loop: Header=BB315_10 Depth=1
	s_or_b64 exec, exec, s[30:31]
.LBB315_34:                             ;   in Loop: Header=BB315_10 Depth=1
	s_or_b64 exec, exec, s[28:29]
	flat_load_dword v30, v[28:29] offset:8
	v_mov_b32_e32 v53, 0
	v_mov_b32_e32 v55, 0
	s_waitcnt vmcnt(0) lgkmcnt(0)
	v_cmp_ne_u16_sdwa s[8:9], v30, v23 src0_sel:BYTE_0 src1_sel:DWORD
	s_and_saveexec_b64 s[28:29], s[8:9]
	s_cbranch_execz .LBB315_40
; %bb.35:                               ;   in Loop: Header=BB315_10 Depth=1
	v_cmp_ne_u16_sdwa s[8:9], v30, s19 src0_sel:BYTE_0 src1_sel:DWORD
	v_bfrev_b32_e32 v55, 1
	s_and_saveexec_b64 s[30:31], s[8:9]
	s_cbranch_execz .LBB315_39
; %bb.36:                               ;   in Loop: Header=BB315_10 Depth=1
	v_and_b32_e32 v0, 0x7f, v30
	v_cmp_ne_u32_e64 s[8:9], s37, v0
	v_mov_b32_e32 v55, 0x7fc02000
	s_and_saveexec_b64 s[34:35], s[8:9]
	s_cbranch_execz .LBB315_38
; %bb.37:                               ;   in Loop: Header=BB315_10 Depth=1
	v_and_b32_e32 v1, 7, v30
	v_ffbh_u32_e32 v2, v1
	v_min_u32_e32 v5, 32, v2
	v_subrev_u32_e32 v2, 28, v5
	v_lshlrev_b64 v[2:3], v2, v[30:31]
	v_lshrrev_b32_e32 v4, 3, v0
	v_sub_u32_e32 v3, 29, v5
	v_cmp_gt_u32_e64 s[8:9], 8, v0
	v_and_b32_e32 v2, 7, v2
	v_cndmask_b32_e64 v0, v4, v3, s[8:9]
	v_mov_b32_e32 v3, 0x2000
	v_cndmask_b32_e64 v1, v1, v2, s[8:9]
	v_lshlrev_b32_e32 v2, 8, v30
	v_lshl_add_u32 v0, v0, 10, v3
	v_and_or_b32 v0, v2, s38, v0
	v_lshl_or_b32 v0, v1, 7, v0
	v_cvt_f32_f16_e32 v55, v0
.LBB315_38:                             ;   in Loop: Header=BB315_10 Depth=1
	s_or_b64 exec, exec, s[34:35]
.LBB315_39:                             ;   in Loop: Header=BB315_10 Depth=1
	s_or_b64 exec, exec, s[30:31]
.LBB315_40:                             ;   in Loop: Header=BB315_10 Depth=1
	s_or_b64 exec, exec, s[28:29]
	v_lshrrev_b16_e32 v32, 8, v30
	v_cmp_ne_u16_e64 s[8:9], 0, v32
	s_and_saveexec_b64 s[28:29], s[8:9]
	s_cbranch_execz .LBB315_46
; %bb.41:                               ;   in Loop: Header=BB315_10 Depth=1
	v_cmp_ne_u16_e64 s[8:9], s19, v32
	v_bfrev_b32_e32 v53, 1
	s_and_saveexec_b64 s[30:31], s[8:9]
	s_cbranch_execz .LBB315_45
; %bb.42:                               ;   in Loop: Header=BB315_10 Depth=1
	v_and_b32_e32 v0, 0x7f, v32
	v_cmp_ne_u32_e64 s[8:9], s37, v0
	v_mov_b32_e32 v53, 0x7fc02000
	s_and_saveexec_b64 s[34:35], s[8:9]
	s_cbranch_execz .LBB315_44
; %bb.43:                               ;   in Loop: Header=BB315_10 Depth=1
	v_and_b32_e32 v1, 7, v32
	v_ffbh_u32_e32 v2, v1
	v_min_u32_e32 v5, 32, v2
	v_subrev_u32_e32 v2, 28, v5
	v_lshlrev_b64 v[2:3], v2, v[32:33]
	v_lshrrev_b32_e32 v4, 3, v0
	v_sub_u32_e32 v3, 29, v5
	v_cmp_gt_u32_e64 s[8:9], 8, v0
	v_and_b32_e32 v2, 7, v2
	v_cndmask_b32_e64 v0, v4, v3, s[8:9]
	v_mov_b32_e32 v3, 0x2000
	v_cndmask_b32_e64 v1, v1, v2, s[8:9]
	v_lshlrev_b32_e32 v2, 8, v32
	v_lshl_add_u32 v0, v0, 10, v3
	v_and_or_b32 v0, v2, s38, v0
	v_lshl_or_b32 v0, v1, 7, v0
	v_cvt_f32_f16_e32 v53, v0
.LBB315_44:                             ;   in Loop: Header=BB315_10 Depth=1
	s_or_b64 exec, exec, s[34:35]
.LBB315_45:                             ;   in Loop: Header=BB315_10 Depth=1
	s_or_b64 exec, exec, s[30:31]
.LBB315_46:                             ;   in Loop: Header=BB315_10 Depth=1
	s_or_b64 exec, exec, s[28:29]
	v_lshrrev_b32_e32 v32, 16, v30
	v_cmp_ne_u16_sdwa s[8:9], v32, v23 src0_sel:BYTE_0 src1_sel:DWORD
	v_mov_b32_e32 v47, 0
	v_mov_b32_e32 v56, 0
	s_and_saveexec_b64 s[28:29], s[8:9]
	s_cbranch_execz .LBB315_52
; %bb.47:                               ;   in Loop: Header=BB315_10 Depth=1
	v_cmp_ne_u16_sdwa s[8:9], v32, s19 src0_sel:BYTE_0 src1_sel:DWORD
	v_bfrev_b32_e32 v56, 1
	s_and_saveexec_b64 s[30:31], s[8:9]
	s_cbranch_execz .LBB315_51
; %bb.48:                               ;   in Loop: Header=BB315_10 Depth=1
	v_bfe_u32 v0, v30, 16, 7
	v_cmp_ne_u32_e64 s[8:9], s37, v0
	v_mov_b32_e32 v56, 0x7fc02000
	s_and_saveexec_b64 s[34:35], s[8:9]
	s_cbranch_execz .LBB315_50
; %bb.49:                               ;   in Loop: Header=BB315_10 Depth=1
	v_and_b32_e32 v1, 7, v32
	v_ffbh_u32_e32 v2, v1
	v_min_u32_e32 v5, 32, v2
	v_subrev_u32_e32 v2, 28, v5
	v_lshlrev_b64 v[2:3], v2, v[32:33]
	v_lshrrev_b32_e32 v4, 3, v0
	v_sub_u32_e32 v3, 29, v5
	v_cmp_gt_u32_e64 s[8:9], 8, v0
	v_and_b32_e32 v2, 7, v2
	v_cndmask_b32_e64 v0, v4, v3, s[8:9]
	v_mov_b32_e32 v3, 0x2000
	v_cndmask_b32_e64 v1, v1, v2, s[8:9]
	v_lshlrev_b32_e32 v2, 8, v32
	v_lshl_add_u32 v0, v0, 10, v3
	v_and_or_b32 v0, v2, s38, v0
	v_lshl_or_b32 v0, v1, 7, v0
	v_cvt_f32_f16_e32 v56, v0
.LBB315_50:                             ;   in Loop: Header=BB315_10 Depth=1
	s_or_b64 exec, exec, s[34:35]
.LBB315_51:                             ;   in Loop: Header=BB315_10 Depth=1
	s_or_b64 exec, exec, s[30:31]
.LBB315_52:                             ;   in Loop: Header=BB315_10 Depth=1
	s_or_b64 exec, exec, s[28:29]
	v_cmp_lt_u32_e64 s[8:9], s39, v30
	s_and_saveexec_b64 s[28:29], s[8:9]
	s_cbranch_execz .LBB315_58
; %bb.53:                               ;   in Loop: Header=BB315_10 Depth=1
	v_lshrrev_b32_e32 v30, 24, v30
	v_cmp_ne_u32_e64 s[8:9], s19, v30
	v_bfrev_b32_e32 v47, 1
	s_and_saveexec_b64 s[30:31], s[8:9]
	s_cbranch_execz .LBB315_57
; %bb.54:                               ;   in Loop: Header=BB315_10 Depth=1
	v_and_b32_e32 v0, 0x7f, v30
	v_cmp_ne_u32_e64 s[8:9], s37, v0
	v_mov_b32_e32 v47, 0x7fc02000
	s_and_saveexec_b64 s[34:35], s[8:9]
	s_cbranch_execz .LBB315_56
; %bb.55:                               ;   in Loop: Header=BB315_10 Depth=1
	v_and_b32_e32 v1, 7, v30
	v_ffbh_u32_e32 v2, v1
	v_min_u32_e32 v5, 32, v2
	v_subrev_u32_e32 v2, 28, v5
	v_lshlrev_b64 v[2:3], v2, v[30:31]
	v_lshrrev_b32_e32 v4, 3, v0
	v_sub_u32_e32 v3, 29, v5
	v_cmp_gt_u32_e64 s[8:9], 8, v0
	v_and_b32_e32 v2, 7, v2
	v_cndmask_b32_e64 v0, v4, v3, s[8:9]
	v_mov_b32_e32 v3, 0x2000
	v_cndmask_b32_e64 v1, v1, v2, s[8:9]
	v_lshlrev_b32_e32 v2, 8, v30
	v_lshl_add_u32 v0, v0, 10, v3
	v_and_or_b32 v0, v2, s38, v0
	v_lshl_or_b32 v0, v1, 7, v0
	v_cvt_f32_f16_e32 v47, v0
.LBB315_56:                             ;   in Loop: Header=BB315_10 Depth=1
	s_or_b64 exec, exec, s[34:35]
.LBB315_57:                             ;   in Loop: Header=BB315_10 Depth=1
	s_or_b64 exec, exec, s[30:31]
.LBB315_58:                             ;   in Loop: Header=BB315_10 Depth=1
	s_or_b64 exec, exec, s[28:29]
	flat_load_dword v30, v[28:29] offset:512
	v_mov_b32_e32 v58, 0
	v_mov_b32_e32 v57, 0
	s_waitcnt vmcnt(0) lgkmcnt(0)
	v_cmp_ne_u16_sdwa s[8:9], v30, v23 src0_sel:BYTE_0 src1_sel:DWORD
	s_and_saveexec_b64 s[28:29], s[8:9]
	s_cbranch_execz .LBB315_64
; %bb.59:                               ;   in Loop: Header=BB315_10 Depth=1
	v_cmp_ne_u16_sdwa s[8:9], v30, s19 src0_sel:BYTE_0 src1_sel:DWORD
	v_bfrev_b32_e32 v57, 1
	s_and_saveexec_b64 s[30:31], s[8:9]
	s_cbranch_execz .LBB315_63
; %bb.60:                               ;   in Loop: Header=BB315_10 Depth=1
	v_and_b32_e32 v0, 0x7f, v30
	v_cmp_ne_u32_e64 s[8:9], s37, v0
	v_mov_b32_e32 v57, 0x7fc02000
	s_and_saveexec_b64 s[34:35], s[8:9]
	s_cbranch_execz .LBB315_62
; %bb.61:                               ;   in Loop: Header=BB315_10 Depth=1
	v_and_b32_e32 v1, 7, v30
	v_ffbh_u32_e32 v2, v1
	v_min_u32_e32 v5, 32, v2
	v_subrev_u32_e32 v2, 28, v5
	v_lshlrev_b64 v[2:3], v2, v[30:31]
	v_lshrrev_b32_e32 v4, 3, v0
	v_sub_u32_e32 v3, 29, v5
	v_cmp_gt_u32_e64 s[8:9], 8, v0
	v_and_b32_e32 v2, 7, v2
	v_cndmask_b32_e64 v0, v4, v3, s[8:9]
	v_mov_b32_e32 v3, 0x2000
	v_cndmask_b32_e64 v1, v1, v2, s[8:9]
	v_lshlrev_b32_e32 v2, 8, v30
	v_lshl_add_u32 v0, v0, 10, v3
	v_and_or_b32 v0, v2, s38, v0
	v_lshl_or_b32 v0, v1, 7, v0
	v_cvt_f32_f16_e32 v57, v0
.LBB315_62:                             ;   in Loop: Header=BB315_10 Depth=1
	s_or_b64 exec, exec, s[34:35]
.LBB315_63:                             ;   in Loop: Header=BB315_10 Depth=1
	s_or_b64 exec, exec, s[30:31]
.LBB315_64:                             ;   in Loop: Header=BB315_10 Depth=1
	s_or_b64 exec, exec, s[28:29]
	v_lshrrev_b16_e32 v32, 8, v30
	v_cmp_ne_u16_e64 s[8:9], 0, v32
	s_and_saveexec_b64 s[28:29], s[8:9]
	s_cbranch_execz .LBB315_70
; %bb.65:                               ;   in Loop: Header=BB315_10 Depth=1
	v_cmp_ne_u16_e64 s[8:9], s19, v32
	v_bfrev_b32_e32 v58, 1
	s_and_saveexec_b64 s[30:31], s[8:9]
	s_cbranch_execz .LBB315_69
; %bb.66:                               ;   in Loop: Header=BB315_10 Depth=1
	v_and_b32_e32 v0, 0x7f, v32
	v_cmp_ne_u32_e64 s[8:9], s37, v0
	v_mov_b32_e32 v58, 0x7fc02000
	s_and_saveexec_b64 s[34:35], s[8:9]
	s_cbranch_execz .LBB315_68
; %bb.67:                               ;   in Loop: Header=BB315_10 Depth=1
	v_and_b32_e32 v2, 7, v32
	v_lshrrev_b32_e32 v3, 3, v0
	v_cmp_gt_u32_e64 s[8:9], 8, v0
	v_ffbh_u32_e32 v0, v2
	v_min_u32_e32 v4, 32, v0
	v_subrev_u32_e32 v0, 28, v4
	v_lshlrev_b64 v[0:1], v0, v[32:33]
	v_sub_u32_e32 v1, 29, v4
	v_and_b32_e32 v0, 7, v0
	v_cndmask_b32_e64 v1, v3, v1, s[8:9]
	v_mov_b32_e32 v3, 0x2000
	v_cndmask_b32_e64 v0, v2, v0, s[8:9]
	v_lshlrev_b32_e32 v2, 8, v32
	v_lshl_add_u32 v1, v1, 10, v3
	v_and_or_b32 v1, v2, s38, v1
	v_lshl_or_b32 v0, v0, 7, v1
	v_cvt_f32_f16_e32 v58, v0
.LBB315_68:                             ;   in Loop: Header=BB315_10 Depth=1
	s_or_b64 exec, exec, s[34:35]
.LBB315_69:                             ;   in Loop: Header=BB315_10 Depth=1
	s_or_b64 exec, exec, s[30:31]
.LBB315_70:                             ;   in Loop: Header=BB315_10 Depth=1
	s_or_b64 exec, exec, s[28:29]
	v_lshrrev_b32_e32 v32, 16, v30
	v_cmp_ne_u16_sdwa s[8:9], v32, v23 src0_sel:BYTE_0 src1_sel:DWORD
	v_mov_b32_e32 v59, 0
	v_mov_b32_e32 v60, 0
	s_and_saveexec_b64 s[28:29], s[8:9]
	s_cbranch_execz .LBB315_76
; %bb.71:                               ;   in Loop: Header=BB315_10 Depth=1
	v_cmp_ne_u16_sdwa s[8:9], v32, s19 src0_sel:BYTE_0 src1_sel:DWORD
	v_bfrev_b32_e32 v60, 1
	s_and_saveexec_b64 s[30:31], s[8:9]
	s_cbranch_execz .LBB315_75
; %bb.72:                               ;   in Loop: Header=BB315_10 Depth=1
	v_bfe_u32 v0, v30, 16, 7
	v_cmp_ne_u32_e64 s[8:9], s37, v0
	v_mov_b32_e32 v60, 0x7fc02000
	s_and_saveexec_b64 s[34:35], s[8:9]
	s_cbranch_execz .LBB315_74
; %bb.73:                               ;   in Loop: Header=BB315_10 Depth=1
	v_and_b32_e32 v1, 7, v32
	v_ffbh_u32_e32 v2, v1
	v_min_u32_e32 v5, 32, v2
	v_subrev_u32_e32 v2, 28, v5
	v_lshlrev_b64 v[2:3], v2, v[32:33]
	v_lshrrev_b32_e32 v4, 3, v0
	v_sub_u32_e32 v3, 29, v5
	v_cmp_gt_u32_e64 s[8:9], 8, v0
	v_and_b32_e32 v2, 7, v2
	v_cndmask_b32_e64 v0, v4, v3, s[8:9]
	v_mov_b32_e32 v3, 0x2000
	v_cndmask_b32_e64 v1, v1, v2, s[8:9]
	v_lshlrev_b32_e32 v2, 8, v32
	v_lshl_add_u32 v0, v0, 10, v3
	v_and_or_b32 v0, v2, s38, v0
	v_lshl_or_b32 v0, v1, 7, v0
	v_cvt_f32_f16_e32 v60, v0
.LBB315_74:                             ;   in Loop: Header=BB315_10 Depth=1
	s_or_b64 exec, exec, s[34:35]
.LBB315_75:                             ;   in Loop: Header=BB315_10 Depth=1
	s_or_b64 exec, exec, s[30:31]
.LBB315_76:                             ;   in Loop: Header=BB315_10 Depth=1
	s_or_b64 exec, exec, s[28:29]
	v_cmp_lt_u32_e64 s[8:9], s39, v30
	s_and_saveexec_b64 s[28:29], s[8:9]
	s_cbranch_execz .LBB315_82
; %bb.77:                               ;   in Loop: Header=BB315_10 Depth=1
	v_lshrrev_b32_e32 v30, 24, v30
	v_cmp_ne_u32_e64 s[8:9], s19, v30
	v_bfrev_b32_e32 v59, 1
	s_and_saveexec_b64 s[30:31], s[8:9]
	s_cbranch_execz .LBB315_81
; %bb.78:                               ;   in Loop: Header=BB315_10 Depth=1
	v_and_b32_e32 v0, 0x7f, v30
	v_cmp_ne_u32_e64 s[8:9], s37, v0
	v_mov_b32_e32 v59, 0x7fc02000
	s_and_saveexec_b64 s[34:35], s[8:9]
	s_cbranch_execz .LBB315_80
; %bb.79:                               ;   in Loop: Header=BB315_10 Depth=1
	v_and_b32_e32 v1, 7, v30
	v_ffbh_u32_e32 v2, v1
	v_min_u32_e32 v5, 32, v2
	v_subrev_u32_e32 v2, 28, v5
	v_lshlrev_b64 v[2:3], v2, v[30:31]
	v_lshrrev_b32_e32 v4, 3, v0
	v_sub_u32_e32 v3, 29, v5
	v_cmp_gt_u32_e64 s[8:9], 8, v0
	v_and_b32_e32 v2, 7, v2
	v_cndmask_b32_e64 v0, v4, v3, s[8:9]
	v_mov_b32_e32 v3, 0x2000
	v_cndmask_b32_e64 v1, v1, v2, s[8:9]
	v_lshlrev_b32_e32 v2, 8, v30
	v_lshl_add_u32 v0, v0, 10, v3
	v_and_or_b32 v0, v2, s38, v0
	v_lshl_or_b32 v0, v1, 7, v0
	v_cvt_f32_f16_e32 v59, v0
.LBB315_80:                             ;   in Loop: Header=BB315_10 Depth=1
	s_or_b64 exec, exec, s[34:35]
.LBB315_81:                             ;   in Loop: Header=BB315_10 Depth=1
	s_or_b64 exec, exec, s[30:31]
.LBB315_82:                             ;   in Loop: Header=BB315_10 Depth=1
	s_or_b64 exec, exec, s[28:29]
	flat_load_dword v30, v[28:29] offset:520
	v_mov_b32_e32 v61, 0
	v_mov_b32_e32 v62, 0
	s_waitcnt vmcnt(0) lgkmcnt(0)
	v_cmp_ne_u16_sdwa s[8:9], v30, v23 src0_sel:BYTE_0 src1_sel:DWORD
	s_and_saveexec_b64 s[28:29], s[8:9]
	s_cbranch_execz .LBB315_88
; %bb.83:                               ;   in Loop: Header=BB315_10 Depth=1
	v_cmp_ne_u16_sdwa s[8:9], v30, s19 src0_sel:BYTE_0 src1_sel:DWORD
	v_bfrev_b32_e32 v62, 1
	s_and_saveexec_b64 s[30:31], s[8:9]
	s_cbranch_execz .LBB315_87
; %bb.84:                               ;   in Loop: Header=BB315_10 Depth=1
	v_and_b32_e32 v0, 0x7f, v30
	v_cmp_ne_u32_e64 s[8:9], s37, v0
	v_mov_b32_e32 v62, 0x7fc02000
	s_and_saveexec_b64 s[34:35], s[8:9]
	s_cbranch_execz .LBB315_86
; %bb.85:                               ;   in Loop: Header=BB315_10 Depth=1
	v_and_b32_e32 v1, 7, v30
	v_ffbh_u32_e32 v2, v1
	v_min_u32_e32 v5, 32, v2
	v_subrev_u32_e32 v2, 28, v5
	v_lshlrev_b64 v[2:3], v2, v[30:31]
	v_lshrrev_b32_e32 v4, 3, v0
	v_sub_u32_e32 v3, 29, v5
	v_cmp_gt_u32_e64 s[8:9], 8, v0
	v_and_b32_e32 v2, 7, v2
	v_cndmask_b32_e64 v0, v4, v3, s[8:9]
	v_mov_b32_e32 v3, 0x2000
	v_cndmask_b32_e64 v1, v1, v2, s[8:9]
	v_lshlrev_b32_e32 v2, 8, v30
	v_lshl_add_u32 v0, v0, 10, v3
	v_and_or_b32 v0, v2, s38, v0
	v_lshl_or_b32 v0, v1, 7, v0
	v_cvt_f32_f16_e32 v62, v0
.LBB315_86:                             ;   in Loop: Header=BB315_10 Depth=1
	s_or_b64 exec, exec, s[34:35]
.LBB315_87:                             ;   in Loop: Header=BB315_10 Depth=1
	s_or_b64 exec, exec, s[30:31]
.LBB315_88:                             ;   in Loop: Header=BB315_10 Depth=1
	s_or_b64 exec, exec, s[28:29]
	v_lshrrev_b16_e32 v32, 8, v30
	v_cmp_ne_u16_e64 s[8:9], 0, v32
	s_and_saveexec_b64 s[28:29], s[8:9]
	s_cbranch_execz .LBB315_94
; %bb.89:                               ;   in Loop: Header=BB315_10 Depth=1
	v_cmp_ne_u16_e64 s[8:9], s19, v32
	v_bfrev_b32_e32 v61, 1
	s_and_saveexec_b64 s[30:31], s[8:9]
	s_cbranch_execz .LBB315_93
; %bb.90:                               ;   in Loop: Header=BB315_10 Depth=1
	v_and_b32_e32 v0, 0x7f, v32
	v_cmp_ne_u32_e64 s[8:9], s37, v0
	v_mov_b32_e32 v61, 0x7fc02000
	s_and_saveexec_b64 s[34:35], s[8:9]
	s_cbranch_execz .LBB315_92
; %bb.91:                               ;   in Loop: Header=BB315_10 Depth=1
	v_and_b32_e32 v1, 7, v32
	v_ffbh_u32_e32 v2, v1
	v_min_u32_e32 v5, 32, v2
	v_subrev_u32_e32 v2, 28, v5
	v_lshlrev_b64 v[2:3], v2, v[32:33]
	v_lshrrev_b32_e32 v4, 3, v0
	v_sub_u32_e32 v3, 29, v5
	v_cmp_gt_u32_e64 s[8:9], 8, v0
	v_and_b32_e32 v2, 7, v2
	v_cndmask_b32_e64 v0, v4, v3, s[8:9]
	v_mov_b32_e32 v3, 0x2000
	v_cndmask_b32_e64 v1, v1, v2, s[8:9]
	v_lshlrev_b32_e32 v2, 8, v32
	v_lshl_add_u32 v0, v0, 10, v3
	v_and_or_b32 v0, v2, s38, v0
	v_lshl_or_b32 v0, v1, 7, v0
	v_cvt_f32_f16_e32 v61, v0
.LBB315_92:                             ;   in Loop: Header=BB315_10 Depth=1
	s_or_b64 exec, exec, s[34:35]
.LBB315_93:                             ;   in Loop: Header=BB315_10 Depth=1
	s_or_b64 exec, exec, s[30:31]
.LBB315_94:                             ;   in Loop: Header=BB315_10 Depth=1
	s_or_b64 exec, exec, s[28:29]
	v_lshrrev_b32_e32 v32, 16, v30
	v_cmp_ne_u16_sdwa s[8:9], v32, v23 src0_sel:BYTE_0 src1_sel:DWORD
	v_mov_b32_e32 v37, 0
	v_mov_b32_e32 v39, 0
	s_and_saveexec_b64 s[28:29], s[8:9]
	s_cbranch_execz .LBB315_100
; %bb.95:                               ;   in Loop: Header=BB315_10 Depth=1
	v_cmp_ne_u16_sdwa s[8:9], v32, s19 src0_sel:BYTE_0 src1_sel:DWORD
	v_bfrev_b32_e32 v39, 1
	s_and_saveexec_b64 s[30:31], s[8:9]
	s_cbranch_execz .LBB315_99
; %bb.96:                               ;   in Loop: Header=BB315_10 Depth=1
	v_bfe_u32 v0, v30, 16, 7
	v_cmp_ne_u32_e64 s[8:9], s37, v0
	v_mov_b32_e32 v39, 0x7fc02000
	s_and_saveexec_b64 s[34:35], s[8:9]
	s_cbranch_execz .LBB315_98
; %bb.97:                               ;   in Loop: Header=BB315_10 Depth=1
	v_and_b32_e32 v1, 7, v32
	v_ffbh_u32_e32 v2, v1
	v_min_u32_e32 v5, 32, v2
	v_subrev_u32_e32 v2, 28, v5
	v_lshlrev_b64 v[2:3], v2, v[32:33]
	v_lshrrev_b32_e32 v4, 3, v0
	v_sub_u32_e32 v3, 29, v5
	v_cmp_gt_u32_e64 s[8:9], 8, v0
	v_and_b32_e32 v2, 7, v2
	v_cndmask_b32_e64 v0, v4, v3, s[8:9]
	v_mov_b32_e32 v3, 0x2000
	v_cndmask_b32_e64 v1, v1, v2, s[8:9]
	v_lshlrev_b32_e32 v2, 8, v32
	v_lshl_add_u32 v0, v0, 10, v3
	v_and_or_b32 v0, v2, s38, v0
	v_lshl_or_b32 v0, v1, 7, v0
	v_cvt_f32_f16_e32 v39, v0
.LBB315_98:                             ;   in Loop: Header=BB315_10 Depth=1
	s_or_b64 exec, exec, s[34:35]
.LBB315_99:                             ;   in Loop: Header=BB315_10 Depth=1
	s_or_b64 exec, exec, s[30:31]
.LBB315_100:                            ;   in Loop: Header=BB315_10 Depth=1
	s_or_b64 exec, exec, s[28:29]
	v_cmp_lt_u32_e64 s[8:9], s39, v30
	s_and_saveexec_b64 s[28:29], s[8:9]
	s_cbranch_execz .LBB315_106
; %bb.101:                              ;   in Loop: Header=BB315_10 Depth=1
	v_lshrrev_b32_e32 v30, 24, v30
	v_cmp_ne_u32_e64 s[8:9], s19, v30
	v_bfrev_b32_e32 v37, 1
	s_and_saveexec_b64 s[30:31], s[8:9]
	s_cbranch_execz .LBB315_105
; %bb.102:                              ;   in Loop: Header=BB315_10 Depth=1
	v_and_b32_e32 v0, 0x7f, v30
	v_cmp_ne_u32_e64 s[8:9], s37, v0
	v_mov_b32_e32 v37, 0x7fc02000
	s_and_saveexec_b64 s[34:35], s[8:9]
	s_cbranch_execz .LBB315_104
; %bb.103:                              ;   in Loop: Header=BB315_10 Depth=1
	v_and_b32_e32 v1, 7, v30
	v_ffbh_u32_e32 v2, v1
	v_min_u32_e32 v5, 32, v2
	v_subrev_u32_e32 v2, 28, v5
	v_lshlrev_b64 v[2:3], v2, v[30:31]
	v_lshrrev_b32_e32 v4, 3, v0
	v_sub_u32_e32 v3, 29, v5
	v_cmp_gt_u32_e64 s[8:9], 8, v0
	v_and_b32_e32 v2, 7, v2
	v_cndmask_b32_e64 v0, v4, v3, s[8:9]
	v_mov_b32_e32 v3, 0x2000
	v_cndmask_b32_e64 v1, v1, v2, s[8:9]
	v_lshlrev_b32_e32 v2, 8, v30
	v_lshl_add_u32 v0, v0, 10, v3
	v_and_or_b32 v0, v2, s38, v0
	v_lshl_or_b32 v0, v1, 7, v0
	v_cvt_f32_f16_e32 v37, v0
.LBB315_104:                            ;   in Loop: Header=BB315_10 Depth=1
	s_or_b64 exec, exec, s[34:35]
.LBB315_105:                            ;   in Loop: Header=BB315_10 Depth=1
	s_or_b64 exec, exec, s[30:31]
.LBB315_106:                            ;   in Loop: Header=BB315_10 Depth=1
	s_or_b64 exec, exec, s[28:29]
	flat_load_dword v30, v[28:29] offset:1024
	v_mov_b32_e32 v36, 0
	v_mov_b32_e32 v31, 0
	s_waitcnt vmcnt(0) lgkmcnt(0)
	v_cmp_ne_u16_sdwa s[8:9], v30, v23 src0_sel:BYTE_0 src1_sel:DWORD
	s_and_saveexec_b64 s[28:29], s[8:9]
	s_cbranch_execz .LBB315_112
; %bb.107:                              ;   in Loop: Header=BB315_10 Depth=1
	v_cmp_ne_u16_sdwa s[8:9], v30, s19 src0_sel:BYTE_0 src1_sel:DWORD
	v_bfrev_b32_e32 v31, 1
	s_and_saveexec_b64 s[30:31], s[8:9]
	s_cbranch_execz .LBB315_111
; %bb.108:                              ;   in Loop: Header=BB315_10 Depth=1
	v_and_b32_e32 v0, 0x7f, v30
	v_cmp_ne_u32_e64 s[8:9], s37, v0
	v_mov_b32_e32 v31, 0x7fc02000
	s_and_saveexec_b64 s[34:35], s[8:9]
	s_cbranch_execz .LBB315_110
; %bb.109:                              ;   in Loop: Header=BB315_10 Depth=1
	v_and_b32_e32 v1, 7, v30
	v_ffbh_u32_e32 v2, v1
	v_min_u32_e32 v5, 32, v2
	v_subrev_u32_e32 v2, 28, v5
	v_lshlrev_b64 v[2:3], v2, v[30:31]
	v_lshrrev_b32_e32 v4, 3, v0
	v_sub_u32_e32 v3, 29, v5
	v_cmp_gt_u32_e64 s[8:9], 8, v0
	v_and_b32_e32 v2, 7, v2
	v_cndmask_b32_e64 v0, v4, v3, s[8:9]
	v_mov_b32_e32 v3, 0x2000
	v_cndmask_b32_e64 v1, v1, v2, s[8:9]
	v_lshlrev_b32_e32 v2, 8, v30
	v_lshl_add_u32 v0, v0, 10, v3
	v_and_or_b32 v0, v2, s38, v0
	v_lshl_or_b32 v0, v1, 7, v0
	v_cvt_f32_f16_e32 v31, v0
.LBB315_110:                            ;   in Loop: Header=BB315_10 Depth=1
	s_or_b64 exec, exec, s[34:35]
.LBB315_111:                            ;   in Loop: Header=BB315_10 Depth=1
	s_or_b64 exec, exec, s[30:31]
.LBB315_112:                            ;   in Loop: Header=BB315_10 Depth=1
	s_or_b64 exec, exec, s[28:29]
	v_lshrrev_b16_e32 v32, 8, v30
	v_cmp_ne_u16_e64 s[8:9], 0, v32
	s_and_saveexec_b64 s[28:29], s[8:9]
	s_cbranch_execz .LBB315_118
; %bb.113:                              ;   in Loop: Header=BB315_10 Depth=1
	v_cmp_ne_u16_e64 s[8:9], s19, v32
	v_bfrev_b32_e32 v36, 1
	s_and_saveexec_b64 s[30:31], s[8:9]
	s_cbranch_execz .LBB315_117
; %bb.114:                              ;   in Loop: Header=BB315_10 Depth=1
	v_and_b32_e32 v0, 0x7f, v32
	v_cmp_ne_u32_e64 s[8:9], s37, v0
	v_mov_b32_e32 v36, 0x7fc02000
	s_and_saveexec_b64 s[34:35], s[8:9]
	s_cbranch_execz .LBB315_116
; %bb.115:                              ;   in Loop: Header=BB315_10 Depth=1
	v_and_b32_e32 v2, 7, v32
	v_lshrrev_b32_e32 v3, 3, v0
	v_cmp_gt_u32_e64 s[8:9], 8, v0
	v_ffbh_u32_e32 v0, v2
	v_min_u32_e32 v4, 32, v0
	v_subrev_u32_e32 v0, 28, v4
	v_lshlrev_b64 v[0:1], v0, v[32:33]
	v_sub_u32_e32 v1, 29, v4
	v_and_b32_e32 v0, 7, v0
	v_cndmask_b32_e64 v1, v3, v1, s[8:9]
	v_mov_b32_e32 v3, 0x2000
	v_cndmask_b32_e64 v0, v2, v0, s[8:9]
	v_lshlrev_b32_e32 v2, 8, v32
	v_lshl_add_u32 v1, v1, 10, v3
	v_and_or_b32 v1, v2, s38, v1
	v_lshl_or_b32 v0, v0, 7, v1
	v_cvt_f32_f16_e32 v36, v0
.LBB315_116:                            ;   in Loop: Header=BB315_10 Depth=1
	s_or_b64 exec, exec, s[34:35]
.LBB315_117:                            ;   in Loop: Header=BB315_10 Depth=1
	s_or_b64 exec, exec, s[30:31]
.LBB315_118:                            ;   in Loop: Header=BB315_10 Depth=1
	s_or_b64 exec, exec, s[28:29]
	v_lshrrev_b32_e32 v32, 16, v30
	v_cmp_ne_u16_sdwa s[8:9], v32, v23 src0_sel:BYTE_0 src1_sel:DWORD
	v_mov_b32_e32 v18, 0
	v_mov_b32_e32 v19, 0
	s_and_saveexec_b64 s[28:29], s[8:9]
	s_cbranch_execz .LBB315_124
; %bb.119:                              ;   in Loop: Header=BB315_10 Depth=1
	v_cmp_ne_u16_sdwa s[8:9], v32, s19 src0_sel:BYTE_0 src1_sel:DWORD
	v_bfrev_b32_e32 v19, 1
	s_and_saveexec_b64 s[30:31], s[8:9]
	s_cbranch_execz .LBB315_123
; %bb.120:                              ;   in Loop: Header=BB315_10 Depth=1
	v_bfe_u32 v0, v30, 16, 7
	v_cmp_ne_u32_e64 s[8:9], s37, v0
	v_mov_b32_e32 v19, 0x7fc02000
	s_and_saveexec_b64 s[34:35], s[8:9]
	s_cbranch_execz .LBB315_122
; %bb.121:                              ;   in Loop: Header=BB315_10 Depth=1
	v_and_b32_e32 v1, 7, v32
	v_ffbh_u32_e32 v2, v1
	v_min_u32_e32 v5, 32, v2
	v_subrev_u32_e32 v2, 28, v5
	v_lshlrev_b64 v[2:3], v2, v[32:33]
	v_lshrrev_b32_e32 v4, 3, v0
	v_sub_u32_e32 v3, 29, v5
	v_cmp_gt_u32_e64 s[8:9], 8, v0
	v_and_b32_e32 v2, 7, v2
	v_cndmask_b32_e64 v0, v4, v3, s[8:9]
	v_mov_b32_e32 v3, 0x2000
	v_cndmask_b32_e64 v1, v1, v2, s[8:9]
	v_lshlrev_b32_e32 v2, 8, v32
	v_lshl_add_u32 v0, v0, 10, v3
	v_and_or_b32 v0, v2, s38, v0
	v_lshl_or_b32 v0, v1, 7, v0
	v_cvt_f32_f16_e32 v19, v0
.LBB315_122:                            ;   in Loop: Header=BB315_10 Depth=1
	s_or_b64 exec, exec, s[34:35]
.LBB315_123:                            ;   in Loop: Header=BB315_10 Depth=1
	s_or_b64 exec, exec, s[30:31]
.LBB315_124:                            ;   in Loop: Header=BB315_10 Depth=1
	s_or_b64 exec, exec, s[28:29]
	v_cmp_lt_u32_e64 s[8:9], s39, v30
	s_and_saveexec_b64 s[28:29], s[8:9]
	s_cbranch_execz .LBB315_130
; %bb.125:                              ;   in Loop: Header=BB315_10 Depth=1
	v_lshrrev_b32_e32 v30, 24, v30
	v_cmp_ne_u32_e64 s[8:9], s19, v30
	v_bfrev_b32_e32 v18, 1
	s_and_saveexec_b64 s[30:31], s[8:9]
	s_cbranch_execz .LBB315_129
; %bb.126:                              ;   in Loop: Header=BB315_10 Depth=1
	v_and_b32_e32 v0, 0x7f, v30
	v_cmp_ne_u32_e64 s[8:9], s37, v0
	v_mov_b32_e32 v18, 0x7fc02000
	s_and_saveexec_b64 s[34:35], s[8:9]
	s_cbranch_execz .LBB315_128
; %bb.127:                              ;   in Loop: Header=BB315_10 Depth=1
	v_and_b32_e32 v1, 7, v30
	v_ffbh_u32_e32 v2, v1
	v_min_u32_e32 v5, 32, v2
	v_subrev_u32_e32 v2, 28, v5
	v_lshlrev_b64 v[2:3], v2, v[30:31]
	v_lshrrev_b32_e32 v4, 3, v0
	v_sub_u32_e32 v3, 29, v5
	v_cmp_gt_u32_e64 s[8:9], 8, v0
	v_and_b32_e32 v2, 7, v2
	v_cndmask_b32_e64 v0, v4, v3, s[8:9]
	v_mov_b32_e32 v3, 0x2000
	v_cndmask_b32_e64 v1, v1, v2, s[8:9]
	v_lshlrev_b32_e32 v2, 8, v30
	v_lshl_add_u32 v0, v0, 10, v3
	v_and_or_b32 v0, v2, s38, v0
	v_lshl_or_b32 v0, v1, 7, v0
	v_cvt_f32_f16_e32 v18, v0
.LBB315_128:                            ;   in Loop: Header=BB315_10 Depth=1
	s_or_b64 exec, exec, s[34:35]
.LBB315_129:                            ;   in Loop: Header=BB315_10 Depth=1
	s_or_b64 exec, exec, s[30:31]
.LBB315_130:                            ;   in Loop: Header=BB315_10 Depth=1
	s_or_b64 exec, exec, s[28:29]
	flat_load_dword v30, v[28:29] offset:1032
	v_mov_b32_e32 v4, 0
	v_mov_b32_e32 v5, 0
	s_waitcnt vmcnt(0) lgkmcnt(0)
	v_cmp_ne_u16_sdwa s[8:9], v30, v23 src0_sel:BYTE_0 src1_sel:DWORD
	s_and_saveexec_b64 s[28:29], s[8:9]
	s_cbranch_execz .LBB315_136
; %bb.131:                              ;   in Loop: Header=BB315_10 Depth=1
	v_cmp_ne_u16_sdwa s[8:9], v30, s19 src0_sel:BYTE_0 src1_sel:DWORD
	v_bfrev_b32_e32 v5, 1
	s_and_saveexec_b64 s[30:31], s[8:9]
	s_cbranch_execz .LBB315_135
; %bb.132:                              ;   in Loop: Header=BB315_10 Depth=1
	v_and_b32_e32 v0, 0x7f, v30
	v_cmp_ne_u32_e64 s[8:9], s37, v0
	v_mov_b32_e32 v5, 0x7fc02000
	s_and_saveexec_b64 s[34:35], s[8:9]
	s_cbranch_execz .LBB315_134
; %bb.133:                              ;   in Loop: Header=BB315_10 Depth=1
	v_and_b32_e32 v1, 7, v30
	v_ffbh_u32_e32 v2, v1
	v_min_u32_e32 v8, 32, v2
	v_subrev_u32_e32 v2, 28, v8
	v_lshlrev_b64 v[2:3], v2, v[30:31]
	v_lshrrev_b32_e32 v5, 3, v0
	v_sub_u32_e32 v3, 29, v8
	v_cmp_gt_u32_e64 s[8:9], 8, v0
	v_and_b32_e32 v2, 7, v2
	v_cndmask_b32_e64 v0, v5, v3, s[8:9]
	v_mov_b32_e32 v3, 0x2000
	v_cndmask_b32_e64 v1, v1, v2, s[8:9]
	v_lshlrev_b32_e32 v2, 8, v30
	v_lshl_add_u32 v0, v0, 10, v3
	v_and_or_b32 v0, v2, s38, v0
	v_lshl_or_b32 v0, v1, 7, v0
	v_cvt_f32_f16_e32 v5, v0
.LBB315_134:                            ;   in Loop: Header=BB315_10 Depth=1
	s_or_b64 exec, exec, s[34:35]
.LBB315_135:                            ;   in Loop: Header=BB315_10 Depth=1
	s_or_b64 exec, exec, s[30:31]
.LBB315_136:                            ;   in Loop: Header=BB315_10 Depth=1
	s_or_b64 exec, exec, s[28:29]
	v_lshrrev_b16_e32 v32, 8, v30
	v_cmp_ne_u16_e64 s[8:9], 0, v32
	s_and_saveexec_b64 s[28:29], s[8:9]
	s_cbranch_execz .LBB315_142
; %bb.137:                              ;   in Loop: Header=BB315_10 Depth=1
	v_cmp_ne_u16_e64 s[8:9], s19, v32
	v_bfrev_b32_e32 v4, 1
	s_and_saveexec_b64 s[30:31], s[8:9]
	s_cbranch_execz .LBB315_141
; %bb.138:                              ;   in Loop: Header=BB315_10 Depth=1
	v_and_b32_e32 v0, 0x7f, v32
	v_cmp_ne_u32_e64 s[8:9], s37, v0
	v_mov_b32_e32 v4, 0x7fc02000
	s_and_saveexec_b64 s[34:35], s[8:9]
	s_cbranch_execz .LBB315_140
; %bb.139:                              ;   in Loop: Header=BB315_10 Depth=1
	v_and_b32_e32 v1, 7, v32
	v_ffbh_u32_e32 v2, v1
	v_min_u32_e32 v8, 32, v2
	v_subrev_u32_e32 v2, 28, v8
	v_lshlrev_b64 v[2:3], v2, v[32:33]
	v_lshrrev_b32_e32 v4, 3, v0
	v_sub_u32_e32 v3, 29, v8
	v_cmp_gt_u32_e64 s[8:9], 8, v0
	v_and_b32_e32 v2, 7, v2
	v_cndmask_b32_e64 v0, v4, v3, s[8:9]
	v_mov_b32_e32 v3, 0x2000
	v_cndmask_b32_e64 v1, v1, v2, s[8:9]
	v_lshlrev_b32_e32 v2, 8, v32
	v_lshl_add_u32 v0, v0, 10, v3
	v_and_or_b32 v0, v2, s38, v0
	v_lshl_or_b32 v0, v1, 7, v0
	v_cvt_f32_f16_e32 v4, v0
.LBB315_140:                            ;   in Loop: Header=BB315_10 Depth=1
	s_or_b64 exec, exec, s[34:35]
.LBB315_141:                            ;   in Loop: Header=BB315_10 Depth=1
	s_or_b64 exec, exec, s[30:31]
.LBB315_142:                            ;   in Loop: Header=BB315_10 Depth=1
	s_or_b64 exec, exec, s[28:29]
	v_lshrrev_b32_e32 v32, 16, v30
	v_cmp_ne_u16_sdwa s[8:9], v32, v23 src0_sel:BYTE_0 src1_sel:DWORD
	v_mov_b32_e32 v38, 0
	v_mov_b32_e32 v35, 0
	s_and_saveexec_b64 s[28:29], s[8:9]
	s_cbranch_execz .LBB315_148
; %bb.143:                              ;   in Loop: Header=BB315_10 Depth=1
	v_cmp_ne_u16_sdwa s[8:9], v32, s19 src0_sel:BYTE_0 src1_sel:DWORD
	v_bfrev_b32_e32 v35, 1
	s_and_saveexec_b64 s[30:31], s[8:9]
	s_cbranch_execz .LBB315_147
; %bb.144:                              ;   in Loop: Header=BB315_10 Depth=1
	v_bfe_u32 v0, v30, 16, 7
	v_cmp_ne_u32_e64 s[8:9], s37, v0
	v_mov_b32_e32 v35, 0x7fc02000
	s_and_saveexec_b64 s[34:35], s[8:9]
	s_cbranch_execz .LBB315_146
; %bb.145:                              ;   in Loop: Header=BB315_10 Depth=1
	v_and_b32_e32 v1, 7, v32
	v_ffbh_u32_e32 v2, v1
	v_min_u32_e32 v9, 32, v2
	v_subrev_u32_e32 v2, 28, v9
	v_lshlrev_b64 v[2:3], v2, v[32:33]
	v_lshrrev_b32_e32 v8, 3, v0
	v_sub_u32_e32 v3, 29, v9
	v_cmp_gt_u32_e64 s[8:9], 8, v0
	v_and_b32_e32 v2, 7, v2
	v_cndmask_b32_e64 v0, v8, v3, s[8:9]
	v_mov_b32_e32 v3, 0x2000
	v_cndmask_b32_e64 v1, v1, v2, s[8:9]
	v_lshlrev_b32_e32 v2, 8, v32
	v_lshl_add_u32 v0, v0, 10, v3
	v_and_or_b32 v0, v2, s38, v0
	v_lshl_or_b32 v0, v1, 7, v0
	v_cvt_f32_f16_e32 v35, v0
.LBB315_146:                            ;   in Loop: Header=BB315_10 Depth=1
	s_or_b64 exec, exec, s[34:35]
.LBB315_147:                            ;   in Loop: Header=BB315_10 Depth=1
	s_or_b64 exec, exec, s[30:31]
.LBB315_148:                            ;   in Loop: Header=BB315_10 Depth=1
	s_or_b64 exec, exec, s[28:29]
	v_cmp_lt_u32_e64 s[8:9], s39, v30
	s_and_saveexec_b64 s[28:29], s[8:9]
	s_cbranch_execz .LBB315_154
; %bb.149:                              ;   in Loop: Header=BB315_10 Depth=1
	v_lshrrev_b32_e32 v30, 24, v30
	v_cmp_ne_u32_e64 s[8:9], s19, v30
	v_bfrev_b32_e32 v38, 1
	s_and_saveexec_b64 s[30:31], s[8:9]
	s_cbranch_execz .LBB315_153
; %bb.150:                              ;   in Loop: Header=BB315_10 Depth=1
	v_and_b32_e32 v0, 0x7f, v30
	v_cmp_ne_u32_e64 s[8:9], s37, v0
	v_mov_b32_e32 v38, 0x7fc02000
	s_and_saveexec_b64 s[34:35], s[8:9]
	s_cbranch_execz .LBB315_152
; %bb.151:                              ;   in Loop: Header=BB315_10 Depth=1
	v_and_b32_e32 v1, 7, v30
	v_ffbh_u32_e32 v2, v1
	v_min_u32_e32 v9, 32, v2
	v_subrev_u32_e32 v2, 28, v9
	v_lshlrev_b64 v[2:3], v2, v[30:31]
	v_lshrrev_b32_e32 v8, 3, v0
	v_sub_u32_e32 v3, 29, v9
	v_cmp_gt_u32_e64 s[8:9], 8, v0
	v_and_b32_e32 v2, 7, v2
	v_cndmask_b32_e64 v0, v8, v3, s[8:9]
	v_mov_b32_e32 v3, 0x2000
	v_cndmask_b32_e64 v1, v1, v2, s[8:9]
	v_lshlrev_b32_e32 v2, 8, v30
	v_lshl_add_u32 v0, v0, 10, v3
	v_and_or_b32 v0, v2, s38, v0
	v_lshl_or_b32 v0, v1, 7, v0
	v_cvt_f32_f16_e32 v38, v0
.LBB315_152:                            ;   in Loop: Header=BB315_10 Depth=1
	s_or_b64 exec, exec, s[34:35]
.LBB315_153:                            ;   in Loop: Header=BB315_10 Depth=1
	s_or_b64 exec, exec, s[30:31]
.LBB315_154:                            ;   in Loop: Header=BB315_10 Depth=1
	s_or_b64 exec, exec, s[28:29]
	flat_load_dword v30, v[28:29] offset:1536
	v_mov_b32_e32 v10, 0
	v_mov_b32_e32 v11, 0
	s_waitcnt vmcnt(0) lgkmcnt(0)
	v_cmp_ne_u16_sdwa s[8:9], v30, v23 src0_sel:BYTE_0 src1_sel:DWORD
	s_and_saveexec_b64 s[28:29], s[8:9]
	s_cbranch_execz .LBB315_160
; %bb.155:                              ;   in Loop: Header=BB315_10 Depth=1
	v_cmp_ne_u16_sdwa s[8:9], v30, s19 src0_sel:BYTE_0 src1_sel:DWORD
	v_bfrev_b32_e32 v11, 1
	s_and_saveexec_b64 s[30:31], s[8:9]
	s_cbranch_execz .LBB315_159
; %bb.156:                              ;   in Loop: Header=BB315_10 Depth=1
	v_and_b32_e32 v0, 0x7f, v30
	v_cmp_ne_u32_e64 s[8:9], s37, v0
	v_mov_b32_e32 v11, 0x7fc02000
	s_and_saveexec_b64 s[34:35], s[8:9]
	s_cbranch_execz .LBB315_158
; %bb.157:                              ;   in Loop: Header=BB315_10 Depth=1
	v_and_b32_e32 v1, 7, v30
	v_ffbh_u32_e32 v2, v1
	v_min_u32_e32 v9, 32, v2
	v_subrev_u32_e32 v2, 28, v9
	v_lshlrev_b64 v[2:3], v2, v[30:31]
	v_lshrrev_b32_e32 v8, 3, v0
	v_sub_u32_e32 v3, 29, v9
	v_cmp_gt_u32_e64 s[8:9], 8, v0
	v_and_b32_e32 v2, 7, v2
	v_cndmask_b32_e64 v0, v8, v3, s[8:9]
	v_mov_b32_e32 v3, 0x2000
	v_cndmask_b32_e64 v1, v1, v2, s[8:9]
	v_lshlrev_b32_e32 v2, 8, v30
	v_lshl_add_u32 v0, v0, 10, v3
	v_and_or_b32 v0, v2, s38, v0
	v_lshl_or_b32 v0, v1, 7, v0
	v_cvt_f32_f16_e32 v11, v0
.LBB315_158:                            ;   in Loop: Header=BB315_10 Depth=1
	s_or_b64 exec, exec, s[34:35]
.LBB315_159:                            ;   in Loop: Header=BB315_10 Depth=1
	s_or_b64 exec, exec, s[30:31]
.LBB315_160:                            ;   in Loop: Header=BB315_10 Depth=1
	s_or_b64 exec, exec, s[28:29]
	v_lshrrev_b16_e32 v32, 8, v30
	v_cmp_ne_u16_e64 s[8:9], 0, v32
	s_and_saveexec_b64 s[28:29], s[8:9]
	s_cbranch_execz .LBB315_166
; %bb.161:                              ;   in Loop: Header=BB315_10 Depth=1
	v_cmp_ne_u16_e64 s[8:9], s19, v32
	v_bfrev_b32_e32 v10, 1
	s_and_saveexec_b64 s[30:31], s[8:9]
	s_cbranch_execz .LBB315_165
; %bb.162:                              ;   in Loop: Header=BB315_10 Depth=1
	v_and_b32_e32 v0, 0x7f, v32
	v_cmp_ne_u32_e64 s[8:9], s37, v0
	v_mov_b32_e32 v10, 0x7fc02000
	s_and_saveexec_b64 s[34:35], s[8:9]
	s_cbranch_execz .LBB315_164
; %bb.163:                              ;   in Loop: Header=BB315_10 Depth=1
	v_and_b32_e32 v2, 7, v32
	v_lshrrev_b32_e32 v3, 3, v0
	v_cmp_gt_u32_e64 s[8:9], 8, v0
	v_ffbh_u32_e32 v0, v2
	v_min_u32_e32 v8, 32, v0
	v_subrev_u32_e32 v0, 28, v8
	v_lshlrev_b64 v[0:1], v0, v[32:33]
	v_sub_u32_e32 v1, 29, v8
	v_and_b32_e32 v0, 7, v0
	v_cndmask_b32_e64 v1, v3, v1, s[8:9]
	v_mov_b32_e32 v3, 0x2000
	v_cndmask_b32_e64 v0, v2, v0, s[8:9]
	v_lshlrev_b32_e32 v2, 8, v32
	v_lshl_add_u32 v1, v1, 10, v3
	v_and_or_b32 v1, v2, s38, v1
	v_lshl_or_b32 v0, v0, 7, v1
	v_cvt_f32_f16_e32 v10, v0
.LBB315_164:                            ;   in Loop: Header=BB315_10 Depth=1
	s_or_b64 exec, exec, s[34:35]
.LBB315_165:                            ;   in Loop: Header=BB315_10 Depth=1
	s_or_b64 exec, exec, s[30:31]
.LBB315_166:                            ;   in Loop: Header=BB315_10 Depth=1
	s_or_b64 exec, exec, s[28:29]
	v_lshrrev_b32_e32 v32, 16, v30
	v_cmp_ne_u16_sdwa s[8:9], v32, v23 src0_sel:BYTE_0 src1_sel:DWORD
	v_mov_b32_e32 v17, 0
	v_mov_b32_e32 v51, 0
	s_and_saveexec_b64 s[28:29], s[8:9]
	s_cbranch_execz .LBB315_172
; %bb.167:                              ;   in Loop: Header=BB315_10 Depth=1
	v_cmp_ne_u16_sdwa s[8:9], v32, s19 src0_sel:BYTE_0 src1_sel:DWORD
	v_bfrev_b32_e32 v51, 1
	s_and_saveexec_b64 s[30:31], s[8:9]
	s_cbranch_execz .LBB315_171
; %bb.168:                              ;   in Loop: Header=BB315_10 Depth=1
	v_bfe_u32 v0, v30, 16, 7
	v_cmp_ne_u32_e64 s[8:9], s37, v0
	v_mov_b32_e32 v51, 0x7fc02000
	s_and_saveexec_b64 s[34:35], s[8:9]
	s_cbranch_execz .LBB315_170
; %bb.169:                              ;   in Loop: Header=BB315_10 Depth=1
	v_and_b32_e32 v1, 7, v32
	v_ffbh_u32_e32 v2, v1
	v_min_u32_e32 v9, 32, v2
	v_subrev_u32_e32 v2, 28, v9
	v_lshlrev_b64 v[2:3], v2, v[32:33]
	v_lshrrev_b32_e32 v8, 3, v0
	v_sub_u32_e32 v3, 29, v9
	v_cmp_gt_u32_e64 s[8:9], 8, v0
	v_and_b32_e32 v2, 7, v2
	v_cndmask_b32_e64 v0, v8, v3, s[8:9]
	v_mov_b32_e32 v3, 0x2000
	v_cndmask_b32_e64 v1, v1, v2, s[8:9]
	v_lshlrev_b32_e32 v2, 8, v32
	v_lshl_add_u32 v0, v0, 10, v3
	v_and_or_b32 v0, v2, s38, v0
	v_lshl_or_b32 v0, v1, 7, v0
	v_cvt_f32_f16_e32 v51, v0
.LBB315_170:                            ;   in Loop: Header=BB315_10 Depth=1
	s_or_b64 exec, exec, s[34:35]
.LBB315_171:                            ;   in Loop: Header=BB315_10 Depth=1
	s_or_b64 exec, exec, s[30:31]
.LBB315_172:                            ;   in Loop: Header=BB315_10 Depth=1
	s_or_b64 exec, exec, s[28:29]
	v_cmp_lt_u32_e64 s[8:9], s39, v30
	s_and_saveexec_b64 s[28:29], s[8:9]
	s_cbranch_execz .LBB315_178
; %bb.173:                              ;   in Loop: Header=BB315_10 Depth=1
	v_lshrrev_b32_e32 v30, 24, v30
	v_cmp_ne_u32_e64 s[8:9], s19, v30
	v_bfrev_b32_e32 v17, 1
	s_and_saveexec_b64 s[30:31], s[8:9]
	s_cbranch_execz .LBB315_177
; %bb.174:                              ;   in Loop: Header=BB315_10 Depth=1
	v_and_b32_e32 v0, 0x7f, v30
	v_cmp_ne_u32_e64 s[8:9], s37, v0
	v_mov_b32_e32 v17, 0x7fc02000
	s_and_saveexec_b64 s[34:35], s[8:9]
	s_cbranch_execz .LBB315_176
; %bb.175:                              ;   in Loop: Header=BB315_10 Depth=1
	v_and_b32_e32 v1, 7, v30
	v_ffbh_u32_e32 v2, v1
	v_min_u32_e32 v9, 32, v2
	v_subrev_u32_e32 v2, 28, v9
	v_lshlrev_b64 v[2:3], v2, v[30:31]
	v_lshrrev_b32_e32 v8, 3, v0
	v_sub_u32_e32 v3, 29, v9
	v_cmp_gt_u32_e64 s[8:9], 8, v0
	v_and_b32_e32 v2, 7, v2
	v_cndmask_b32_e64 v0, v8, v3, s[8:9]
	v_mov_b32_e32 v3, 0x2000
	v_cndmask_b32_e64 v1, v1, v2, s[8:9]
	v_lshlrev_b32_e32 v2, 8, v30
	v_lshl_add_u32 v0, v0, 10, v3
	v_and_or_b32 v0, v2, s38, v0
	v_lshl_or_b32 v0, v1, 7, v0
	v_cvt_f32_f16_e32 v17, v0
.LBB315_176:                            ;   in Loop: Header=BB315_10 Depth=1
	s_or_b64 exec, exec, s[34:35]
.LBB315_177:                            ;   in Loop: Header=BB315_10 Depth=1
	s_or_b64 exec, exec, s[30:31]
.LBB315_178:                            ;   in Loop: Header=BB315_10 Depth=1
	s_or_b64 exec, exec, s[28:29]
	flat_load_dword v30, v[28:29] offset:1544
	v_mov_b32_e32 v1, 0
	v_mov_b32_e32 v0, 0
	s_waitcnt vmcnt(0) lgkmcnt(0)
	v_cmp_ne_u16_sdwa s[8:9], v30, v23 src0_sel:BYTE_0 src1_sel:DWORD
	s_and_saveexec_b64 s[28:29], s[8:9]
	s_cbranch_execz .LBB315_184
; %bb.179:                              ;   in Loop: Header=BB315_10 Depth=1
	v_cmp_ne_u16_sdwa s[8:9], v30, s19 src0_sel:BYTE_0 src1_sel:DWORD
	v_bfrev_b32_e32 v0, 1
	s_and_saveexec_b64 s[30:31], s[8:9]
	s_cbranch_execz .LBB315_183
; %bb.180:                              ;   in Loop: Header=BB315_10 Depth=1
	v_and_b32_e32 v2, 0x7f, v30
	v_cmp_ne_u32_e64 s[8:9], s37, v2
	v_mov_b32_e32 v0, 0x7fc02000
	s_and_saveexec_b64 s[34:35], s[8:9]
	s_cbranch_execz .LBB315_182
; %bb.181:                              ;   in Loop: Header=BB315_10 Depth=1
	v_and_b32_e32 v0, 7, v30
	v_ffbh_u32_e32 v8, v0
	v_min_u32_e32 v12, 32, v8
	v_subrev_u32_e32 v8, 28, v12
	v_lshlrev_b64 v[8:9], v8, v[30:31]
	v_lshrrev_b32_e32 v3, 3, v2
	v_sub_u32_e32 v9, 29, v12
	v_cmp_gt_u32_e64 s[8:9], 8, v2
	v_cndmask_b32_e64 v2, v3, v9, s[8:9]
	v_mov_b32_e32 v6, 0x2000
	v_and_b32_e32 v8, 7, v8
	v_lshlrev_b32_e32 v3, 8, v30
	v_lshl_add_u32 v2, v2, 10, v6
	v_cndmask_b32_e64 v0, v0, v8, s[8:9]
	v_and_or_b32 v2, v3, s38, v2
	v_lshl_or_b32 v0, v0, 7, v2
	v_cvt_f32_f16_e32 v0, v0
.LBB315_182:                            ;   in Loop: Header=BB315_10 Depth=1
	s_or_b64 exec, exec, s[34:35]
.LBB315_183:                            ;   in Loop: Header=BB315_10 Depth=1
	s_or_b64 exec, exec, s[30:31]
.LBB315_184:                            ;   in Loop: Header=BB315_10 Depth=1
	s_or_b64 exec, exec, s[28:29]
	v_lshrrev_b16_e32 v32, 8, v30
	v_cmp_ne_u16_e64 s[8:9], 0, v32
	s_and_saveexec_b64 s[28:29], s[8:9]
	s_cbranch_execz .LBB315_190
; %bb.185:                              ;   in Loop: Header=BB315_10 Depth=1
	v_cmp_ne_u16_e64 s[8:9], s19, v32
	v_bfrev_b32_e32 v1, 1
	s_and_saveexec_b64 s[30:31], s[8:9]
	s_cbranch_execz .LBB315_189
; %bb.186:                              ;   in Loop: Header=BB315_10 Depth=1
	v_and_b32_e32 v2, 0x7f, v32
	v_cmp_ne_u32_e64 s[8:9], s37, v2
	v_mov_b32_e32 v1, 0x7fc02000
	s_and_saveexec_b64 s[34:35], s[8:9]
	s_cbranch_execz .LBB315_188
; %bb.187:                              ;   in Loop: Header=BB315_10 Depth=1
	v_and_b32_e32 v1, 7, v32
	v_ffbh_u32_e32 v8, v1
	v_min_u32_e32 v12, 32, v8
	v_subrev_u32_e32 v8, 28, v12
	v_lshlrev_b64 v[8:9], v8, v[32:33]
	v_lshrrev_b32_e32 v3, 3, v2
	v_sub_u32_e32 v9, 29, v12
	v_cmp_gt_u32_e64 s[8:9], 8, v2
	v_cndmask_b32_e64 v2, v3, v9, s[8:9]
	v_mov_b32_e32 v6, 0x2000
	v_and_b32_e32 v8, 7, v8
	v_lshlrev_b32_e32 v3, 8, v32
	v_lshl_add_u32 v2, v2, 10, v6
	v_cndmask_b32_e64 v1, v1, v8, s[8:9]
	v_and_or_b32 v2, v3, s38, v2
	v_lshl_or_b32 v1, v1, 7, v2
	v_cvt_f32_f16_e32 v1, v1
.LBB315_188:                            ;   in Loop: Header=BB315_10 Depth=1
	s_or_b64 exec, exec, s[34:35]
.LBB315_189:                            ;   in Loop: Header=BB315_10 Depth=1
	s_or_b64 exec, exec, s[30:31]
.LBB315_190:                            ;   in Loop: Header=BB315_10 Depth=1
	s_or_b64 exec, exec, s[28:29]
	v_lshrrev_b32_e32 v32, 16, v30
	v_cmp_ne_u16_sdwa s[8:9], v32, v23 src0_sel:BYTE_0 src1_sel:DWORD
	v_mov_b32_e32 v3, 0
	v_mov_b32_e32 v2, 0
	s_and_saveexec_b64 s[28:29], s[8:9]
	s_cbranch_execz .LBB315_196
; %bb.191:                              ;   in Loop: Header=BB315_10 Depth=1
	v_cmp_ne_u16_sdwa s[8:9], v32, s19 src0_sel:BYTE_0 src1_sel:DWORD
	v_bfrev_b32_e32 v2, 1
	s_and_saveexec_b64 s[30:31], s[8:9]
	s_cbranch_execz .LBB315_195
; %bb.192:                              ;   in Loop: Header=BB315_10 Depth=1
	v_bfe_u32 v8, v30, 16, 7
	v_cmp_ne_u32_e64 s[8:9], s37, v8
	v_mov_b32_e32 v2, 0x7fc02000
	s_and_saveexec_b64 s[34:35], s[8:9]
	s_cbranch_execz .LBB315_194
; %bb.193:                              ;   in Loop: Header=BB315_10 Depth=1
	v_and_b32_e32 v2, 7, v32
	v_ffbh_u32_e32 v12, v2
	v_min_u32_e32 v14, 32, v12
	v_subrev_u32_e32 v12, 28, v14
	v_lshlrev_b64 v[12:13], v12, v[32:33]
	v_lshrrev_b32_e32 v9, 3, v8
	v_sub_u32_e32 v13, 29, v14
	v_cmp_gt_u32_e64 s[8:9], 8, v8
	v_cndmask_b32_e64 v8, v9, v13, s[8:9]
	v_mov_b32_e32 v6, 0x2000
	v_and_b32_e32 v12, 7, v12
	v_lshlrev_b32_e32 v9, 8, v32
	v_lshl_add_u32 v8, v8, 10, v6
	v_cndmask_b32_e64 v2, v2, v12, s[8:9]
	v_and_or_b32 v8, v9, s38, v8
	v_lshl_or_b32 v2, v2, 7, v8
	v_cvt_f32_f16_e32 v2, v2
.LBB315_194:                            ;   in Loop: Header=BB315_10 Depth=1
	s_or_b64 exec, exec, s[34:35]
.LBB315_195:                            ;   in Loop: Header=BB315_10 Depth=1
	s_or_b64 exec, exec, s[30:31]
.LBB315_196:                            ;   in Loop: Header=BB315_10 Depth=1
	s_or_b64 exec, exec, s[28:29]
	v_cmp_lt_u32_e64 s[8:9], s39, v30
	s_and_saveexec_b64 s[28:29], s[8:9]
	s_cbranch_execz .LBB315_202
; %bb.197:                              ;   in Loop: Header=BB315_10 Depth=1
	v_lshrrev_b32_e32 v30, 24, v30
	v_cmp_ne_u32_e64 s[8:9], s19, v30
	v_bfrev_b32_e32 v3, 1
	s_and_saveexec_b64 s[30:31], s[8:9]
	s_cbranch_execz .LBB315_201
; %bb.198:                              ;   in Loop: Header=BB315_10 Depth=1
	v_and_b32_e32 v8, 0x7f, v30
	v_cmp_ne_u32_e64 s[8:9], s37, v8
	v_mov_b32_e32 v3, 0x7fc02000
	s_and_saveexec_b64 s[34:35], s[8:9]
	s_cbranch_execz .LBB315_200
; %bb.199:                              ;   in Loop: Header=BB315_10 Depth=1
	v_and_b32_e32 v3, 7, v30
	v_ffbh_u32_e32 v12, v3
	v_min_u32_e32 v14, 32, v12
	v_subrev_u32_e32 v12, 28, v14
	v_lshlrev_b64 v[12:13], v12, v[30:31]
	v_lshrrev_b32_e32 v9, 3, v8
	v_sub_u32_e32 v13, 29, v14
	v_cmp_gt_u32_e64 s[8:9], 8, v8
	v_cndmask_b32_e64 v8, v9, v13, s[8:9]
	v_mov_b32_e32 v6, 0x2000
	v_and_b32_e32 v12, 7, v12
	v_lshlrev_b32_e32 v9, 8, v30
	v_lshl_add_u32 v8, v8, 10, v6
	v_cndmask_b32_e64 v3, v3, v12, s[8:9]
	v_and_or_b32 v8, v9, s38, v8
	v_lshl_or_b32 v3, v3, 7, v8
	v_cvt_f32_f16_e32 v3, v3
.LBB315_200:                            ;   in Loop: Header=BB315_10 Depth=1
	s_or_b64 exec, exec, s[34:35]
.LBB315_201:                            ;   in Loop: Header=BB315_10 Depth=1
	s_or_b64 exec, exec, s[30:31]
.LBB315_202:                            ;   in Loop: Header=BB315_10 Depth=1
	s_or_b64 exec, exec, s[28:29]
	flat_load_dword v30, v[28:29] offset:2048
	v_mov_b32_e32 v15, 0
	v_mov_b32_e32 v14, 0
	s_waitcnt vmcnt(0) lgkmcnt(0)
	v_cmp_ne_u16_sdwa s[8:9], v30, v23 src0_sel:BYTE_0 src1_sel:DWORD
	s_and_saveexec_b64 s[28:29], s[8:9]
	s_cbranch_execz .LBB315_208
; %bb.203:                              ;   in Loop: Header=BB315_10 Depth=1
	v_cmp_ne_u16_sdwa s[8:9], v30, s19 src0_sel:BYTE_0 src1_sel:DWORD
	v_bfrev_b32_e32 v14, 1
	s_and_saveexec_b64 s[30:31], s[8:9]
	s_cbranch_execz .LBB315_207
; %bb.204:                              ;   in Loop: Header=BB315_10 Depth=1
	v_and_b32_e32 v8, 0x7f, v30
	v_cmp_ne_u32_e64 s[8:9], s37, v8
	v_mov_b32_e32 v14, 0x7fc02000
	s_and_saveexec_b64 s[34:35], s[8:9]
	s_cbranch_execz .LBB315_206
; %bb.205:                              ;   in Loop: Header=BB315_10 Depth=1
	v_and_b32_e32 v9, 7, v30
	v_ffbh_u32_e32 v12, v9
	v_min_u32_e32 v22, 32, v12
	v_subrev_u32_e32 v12, 28, v22
	v_lshlrev_b64 v[12:13], v12, v[30:31]
	v_lshrrev_b32_e32 v14, 3, v8
	v_sub_u32_e32 v13, 29, v22
	v_cmp_gt_u32_e64 s[8:9], 8, v8
	v_and_b32_e32 v12, 7, v12
	v_cndmask_b32_e64 v8, v14, v13, s[8:9]
	v_mov_b32_e32 v6, 0x2000
	v_cndmask_b32_e64 v9, v9, v12, s[8:9]
	v_lshlrev_b32_e32 v12, 8, v30
	v_lshl_add_u32 v8, v8, 10, v6
	v_and_or_b32 v8, v12, s38, v8
	v_lshl_or_b32 v8, v9, 7, v8
	v_cvt_f32_f16_e32 v14, v8
.LBB315_206:                            ;   in Loop: Header=BB315_10 Depth=1
	s_or_b64 exec, exec, s[34:35]
.LBB315_207:                            ;   in Loop: Header=BB315_10 Depth=1
	s_or_b64 exec, exec, s[30:31]
.LBB315_208:                            ;   in Loop: Header=BB315_10 Depth=1
	s_or_b64 exec, exec, s[28:29]
	v_lshrrev_b16_e32 v32, 8, v30
	v_cmp_ne_u16_e64 s[8:9], 0, v32
	s_and_saveexec_b64 s[28:29], s[8:9]
	s_cbranch_execz .LBB315_214
; %bb.209:                              ;   in Loop: Header=BB315_10 Depth=1
	v_cmp_ne_u16_e64 s[8:9], s19, v32
	v_bfrev_b32_e32 v15, 1
	s_and_saveexec_b64 s[30:31], s[8:9]
	s_cbranch_execz .LBB315_213
; %bb.210:                              ;   in Loop: Header=BB315_10 Depth=1
	v_and_b32_e32 v8, 0x7f, v32
	v_cmp_ne_u32_e64 s[8:9], s37, v8
	v_mov_b32_e32 v15, 0x7fc02000
	s_and_saveexec_b64 s[34:35], s[8:9]
	s_cbranch_execz .LBB315_212
; %bb.211:                              ;   in Loop: Header=BB315_10 Depth=1
	v_and_b32_e32 v9, 7, v32
	v_ffbh_u32_e32 v12, v9
	v_min_u32_e32 v22, 32, v12
	v_subrev_u32_e32 v12, 28, v22
	v_lshlrev_b64 v[12:13], v12, v[32:33]
	v_lshrrev_b32_e32 v15, 3, v8
	v_sub_u32_e32 v13, 29, v22
	v_cmp_gt_u32_e64 s[8:9], 8, v8
	v_and_b32_e32 v12, 7, v12
	v_cndmask_b32_e64 v8, v15, v13, s[8:9]
	v_mov_b32_e32 v6, 0x2000
	v_cndmask_b32_e64 v9, v9, v12, s[8:9]
	v_lshlrev_b32_e32 v12, 8, v32
	v_lshl_add_u32 v8, v8, 10, v6
	v_and_or_b32 v8, v12, s38, v8
	v_lshl_or_b32 v8, v9, 7, v8
	v_cvt_f32_f16_e32 v15, v8
.LBB315_212:                            ;   in Loop: Header=BB315_10 Depth=1
	s_or_b64 exec, exec, s[34:35]
.LBB315_213:                            ;   in Loop: Header=BB315_10 Depth=1
	s_or_b64 exec, exec, s[30:31]
.LBB315_214:                            ;   in Loop: Header=BB315_10 Depth=1
	s_or_b64 exec, exec, s[28:29]
	v_lshrrev_b32_e32 v32, 16, v30
	v_cmp_ne_u16_sdwa s[8:9], v32, v23 src0_sel:BYTE_0 src1_sel:DWORD
	v_mov_b32_e32 v34, 0
	v_mov_b32_e32 v12, 0
	s_and_saveexec_b64 s[28:29], s[8:9]
	s_cbranch_execz .LBB315_220
; %bb.215:                              ;   in Loop: Header=BB315_10 Depth=1
	v_cmp_ne_u16_sdwa s[8:9], v32, s19 src0_sel:BYTE_0 src1_sel:DWORD
	v_bfrev_b32_e32 v12, 1
	s_and_saveexec_b64 s[30:31], s[8:9]
	s_cbranch_execz .LBB315_219
; %bb.216:                              ;   in Loop: Header=BB315_10 Depth=1
	v_bfe_u32 v8, v30, 16, 7
	v_cmp_ne_u32_e64 s[8:9], s37, v8
	v_mov_b32_e32 v12, 0x7fc02000
	s_and_saveexec_b64 s[34:35], s[8:9]
	s_cbranch_execz .LBB315_218
; %bb.217:                              ;   in Loop: Header=BB315_10 Depth=1
	v_and_b32_e32 v9, 7, v32
	v_ffbh_u32_e32 v12, v9
	v_min_u32_e32 v24, 32, v12
	v_subrev_u32_e32 v12, 28, v24
	v_lshlrev_b64 v[12:13], v12, v[32:33]
	v_lshrrev_b32_e32 v22, 3, v8
	v_sub_u32_e32 v13, 29, v24
	v_cmp_gt_u32_e64 s[8:9], 8, v8
	v_and_b32_e32 v12, 7, v12
	v_cndmask_b32_e64 v8, v22, v13, s[8:9]
	v_mov_b32_e32 v6, 0x2000
	v_cndmask_b32_e64 v9, v9, v12, s[8:9]
	v_lshlrev_b32_e32 v12, 8, v32
	v_lshl_add_u32 v8, v8, 10, v6
	v_and_or_b32 v8, v12, s38, v8
	v_lshl_or_b32 v8, v9, 7, v8
	v_cvt_f32_f16_e32 v12, v8
.LBB315_218:                            ;   in Loop: Header=BB315_10 Depth=1
	s_or_b64 exec, exec, s[34:35]
.LBB315_219:                            ;   in Loop: Header=BB315_10 Depth=1
	s_or_b64 exec, exec, s[30:31]
.LBB315_220:                            ;   in Loop: Header=BB315_10 Depth=1
	s_or_b64 exec, exec, s[28:29]
	v_cmp_lt_u32_e64 s[8:9], s39, v30
	s_and_saveexec_b64 s[28:29], s[8:9]
	s_cbranch_execz .LBB315_226
; %bb.221:                              ;   in Loop: Header=BB315_10 Depth=1
	v_lshrrev_b32_e32 v30, 24, v30
	v_cmp_ne_u32_e64 s[8:9], s19, v30
	v_bfrev_b32_e32 v34, 1
	s_and_saveexec_b64 s[30:31], s[8:9]
	s_cbranch_execz .LBB315_225
; %bb.222:                              ;   in Loop: Header=BB315_10 Depth=1
	v_and_b32_e32 v8, 0x7f, v30
	v_cmp_ne_u32_e64 s[8:9], s37, v8
	v_mov_b32_e32 v34, 0x7fc02000
	s_and_saveexec_b64 s[34:35], s[8:9]
	s_cbranch_execz .LBB315_224
; %bb.223:                              ;   in Loop: Header=BB315_10 Depth=1
	v_and_b32_e32 v9, 7, v30
	v_ffbh_u32_e32 v22, v9
	v_min_u32_e32 v22, 32, v22
	v_lshrrev_b32_e32 v13, 3, v8
	v_subrev_u32_e32 v24, 28, v22
	v_sub_u32_e32 v22, 29, v22
	v_cmp_gt_u32_e64 s[8:9], 8, v8
	v_lshlrev_b64 v[24:25], v24, v[30:31]
	v_cndmask_b32_e64 v8, v13, v22, s[8:9]
	v_mov_b32_e32 v6, 0x2000
	v_and_b32_e32 v24, 7, v24
	v_lshlrev_b32_e32 v13, 8, v30
	v_lshl_add_u32 v8, v8, 10, v6
	v_cndmask_b32_e64 v9, v9, v24, s[8:9]
	v_and_or_b32 v8, v13, s38, v8
	v_lshl_or_b32 v8, v9, 7, v8
	v_cvt_f32_f16_e32 v34, v8
.LBB315_224:                            ;   in Loop: Header=BB315_10 Depth=1
	s_or_b64 exec, exec, s[34:35]
.LBB315_225:                            ;   in Loop: Header=BB315_10 Depth=1
	s_or_b64 exec, exec, s[30:31]
.LBB315_226:                            ;   in Loop: Header=BB315_10 Depth=1
	s_or_b64 exec, exec, s[28:29]
	flat_load_dword v30, v[28:29] offset:2056
	v_mov_b32_e32 v48, 0
	v_mov_b32_e32 v13, 0
	s_waitcnt vmcnt(0) lgkmcnt(0)
	v_cmp_ne_u16_sdwa s[8:9], v30, v23 src0_sel:BYTE_0 src1_sel:DWORD
	s_and_saveexec_b64 s[28:29], s[8:9]
	s_cbranch_execz .LBB315_232
; %bb.227:                              ;   in Loop: Header=BB315_10 Depth=1
	v_cmp_ne_u16_sdwa s[8:9], v30, s19 src0_sel:BYTE_0 src1_sel:DWORD
	v_bfrev_b32_e32 v13, 1
	s_and_saveexec_b64 s[30:31], s[8:9]
	s_cbranch_execz .LBB315_231
; %bb.228:                              ;   in Loop: Header=BB315_10 Depth=1
	v_and_b32_e32 v8, 0x7f, v30
	v_cmp_ne_u32_e64 s[8:9], s37, v8
	v_mov_b32_e32 v13, 0x7fc02000
	s_and_saveexec_b64 s[34:35], s[8:9]
	s_cbranch_execz .LBB315_230
; %bb.229:                              ;   in Loop: Header=BB315_10 Depth=1
	v_and_b32_e32 v9, 7, v30
	v_ffbh_u32_e32 v22, v9
	v_min_u32_e32 v22, 32, v22
	v_lshrrev_b32_e32 v13, 3, v8
	v_subrev_u32_e32 v24, 28, v22
	v_sub_u32_e32 v22, 29, v22
	v_cmp_gt_u32_e64 s[8:9], 8, v8
	v_lshlrev_b64 v[24:25], v24, v[30:31]
	v_cndmask_b32_e64 v8, v13, v22, s[8:9]
	v_mov_b32_e32 v6, 0x2000
	v_and_b32_e32 v24, 7, v24
	v_lshlrev_b32_e32 v13, 8, v30
	v_lshl_add_u32 v8, v8, 10, v6
	v_cndmask_b32_e64 v9, v9, v24, s[8:9]
	v_and_or_b32 v8, v13, s38, v8
	v_lshl_or_b32 v8, v9, 7, v8
	v_cvt_f32_f16_e32 v13, v8
.LBB315_230:                            ;   in Loop: Header=BB315_10 Depth=1
	s_or_b64 exec, exec, s[34:35]
.LBB315_231:                            ;   in Loop: Header=BB315_10 Depth=1
	s_or_b64 exec, exec, s[30:31]
.LBB315_232:                            ;   in Loop: Header=BB315_10 Depth=1
	s_or_b64 exec, exec, s[28:29]
	v_lshrrev_b16_e32 v32, 8, v30
	v_cmp_ne_u16_e64 s[8:9], 0, v32
	s_and_saveexec_b64 s[28:29], s[8:9]
	s_cbranch_execz .LBB315_238
; %bb.233:                              ;   in Loop: Header=BB315_10 Depth=1
	v_cmp_ne_u16_e64 s[8:9], s19, v32
	v_bfrev_b32_e32 v48, 1
	s_and_saveexec_b64 s[30:31], s[8:9]
	s_cbranch_execz .LBB315_237
; %bb.234:                              ;   in Loop: Header=BB315_10 Depth=1
	v_and_b32_e32 v8, 0x7f, v32
	v_cmp_ne_u32_e64 s[8:9], s37, v8
	v_mov_b32_e32 v48, 0x7fc02000
	s_and_saveexec_b64 s[34:35], s[8:9]
	s_cbranch_execz .LBB315_236
; %bb.235:                              ;   in Loop: Header=BB315_10 Depth=1
	v_and_b32_e32 v9, 7, v32
	v_ffbh_u32_e32 v24, v9
	v_min_u32_e32 v26, 32, v24
	v_subrev_u32_e32 v24, 28, v26
	v_lshlrev_b64 v[24:25], v24, v[32:33]
	v_lshrrev_b32_e32 v22, 3, v8
	v_sub_u32_e32 v25, 29, v26
	v_cmp_gt_u32_e64 s[8:9], 8, v8
	v_cndmask_b32_e64 v8, v22, v25, s[8:9]
	v_mov_b32_e32 v6, 0x2000
	v_and_b32_e32 v24, 7, v24
	v_lshlrev_b32_e32 v22, 8, v32
	v_lshl_add_u32 v8, v8, 10, v6
	v_cndmask_b32_e64 v9, v9, v24, s[8:9]
	v_and_or_b32 v8, v22, s38, v8
	v_lshl_or_b32 v8, v9, 7, v8
	v_cvt_f32_f16_e32 v48, v8
.LBB315_236:                            ;   in Loop: Header=BB315_10 Depth=1
	s_or_b64 exec, exec, s[34:35]
.LBB315_237:                            ;   in Loop: Header=BB315_10 Depth=1
	s_or_b64 exec, exec, s[30:31]
.LBB315_238:                            ;   in Loop: Header=BB315_10 Depth=1
	s_or_b64 exec, exec, s[28:29]
	v_lshrrev_b32_e32 v32, 16, v30
	v_cmp_ne_u16_sdwa s[8:9], v32, v23 src0_sel:BYTE_0 src1_sel:DWORD
	v_mov_b32_e32 v8, 0
	v_mov_b32_e32 v9, 0
	s_and_saveexec_b64 s[28:29], s[8:9]
	s_cbranch_execz .LBB315_244
; %bb.239:                              ;   in Loop: Header=BB315_10 Depth=1
	v_cmp_ne_u16_sdwa s[8:9], v32, s19 src0_sel:BYTE_0 src1_sel:DWORD
	v_bfrev_b32_e32 v9, 1
	s_and_saveexec_b64 s[30:31], s[8:9]
	s_cbranch_execz .LBB315_243
; %bb.240:                              ;   in Loop: Header=BB315_10 Depth=1
	v_bfe_u32 v22, v30, 16, 7
	v_cmp_ne_u32_e64 s[8:9], s37, v22
	v_mov_b32_e32 v9, 0x7fc02000
	s_and_saveexec_b64 s[34:35], s[8:9]
	s_cbranch_execz .LBB315_242
; %bb.241:                              ;   in Loop: Header=BB315_10 Depth=1
	v_and_b32_e32 v9, 7, v32
	v_ffbh_u32_e32 v24, v9
	v_min_u32_e32 v27, 32, v24
	v_subrev_u32_e32 v24, 28, v27
	v_lshlrev_b64 v[24:25], v24, v[32:33]
	v_lshrrev_b32_e32 v26, 3, v22
	v_sub_u32_e32 v25, 29, v27
	v_cmp_gt_u32_e64 s[8:9], 8, v22
	v_and_b32_e32 v24, 7, v24
	v_cndmask_b32_e64 v22, v26, v25, s[8:9]
	v_mov_b32_e32 v6, 0x2000
	v_cndmask_b32_e64 v9, v9, v24, s[8:9]
	v_lshlrev_b32_e32 v24, 8, v32
	v_lshl_add_u32 v22, v22, 10, v6
	v_and_or_b32 v22, v24, s38, v22
	v_lshl_or_b32 v9, v9, 7, v22
	v_cvt_f32_f16_e32 v9, v9
.LBB315_242:                            ;   in Loop: Header=BB315_10 Depth=1
	s_or_b64 exec, exec, s[34:35]
.LBB315_243:                            ;   in Loop: Header=BB315_10 Depth=1
	s_or_b64 exec, exec, s[30:31]
.LBB315_244:                            ;   in Loop: Header=BB315_10 Depth=1
	s_or_b64 exec, exec, s[28:29]
	v_cmp_lt_u32_e64 s[8:9], s39, v30
	s_and_saveexec_b64 s[28:29], s[8:9]
	s_cbranch_execz .LBB315_250
; %bb.245:                              ;   in Loop: Header=BB315_10 Depth=1
	v_lshrrev_b32_e32 v30, 24, v30
	v_cmp_ne_u32_e64 s[8:9], s19, v30
	v_bfrev_b32_e32 v8, 1
	s_and_saveexec_b64 s[30:31], s[8:9]
	s_cbranch_execz .LBB315_249
; %bb.246:                              ;   in Loop: Header=BB315_10 Depth=1
	v_and_b32_e32 v22, 0x7f, v30
	v_cmp_ne_u32_e64 s[8:9], s37, v22
	v_mov_b32_e32 v8, 0x7fc02000
	s_and_saveexec_b64 s[34:35], s[8:9]
	s_cbranch_execz .LBB315_248
; %bb.247:                              ;   in Loop: Header=BB315_10 Depth=1
	v_and_b32_e32 v8, 7, v30
	v_ffbh_u32_e32 v24, v8
	v_min_u32_e32 v27, 32, v24
	v_subrev_u32_e32 v24, 28, v27
	v_lshlrev_b64 v[24:25], v24, v[30:31]
	v_lshrrev_b32_e32 v26, 3, v22
	v_sub_u32_e32 v25, 29, v27
	v_cmp_gt_u32_e64 s[8:9], 8, v22
	v_and_b32_e32 v24, 7, v24
	v_cndmask_b32_e64 v22, v26, v25, s[8:9]
	v_mov_b32_e32 v6, 0x2000
	v_cndmask_b32_e64 v8, v8, v24, s[8:9]
	v_lshlrev_b32_e32 v24, 8, v30
	v_lshl_add_u32 v22, v22, 10, v6
	v_and_or_b32 v22, v24, s38, v22
	v_lshl_or_b32 v8, v8, 7, v22
	v_cvt_f32_f16_e32 v8, v8
.LBB315_248:                            ;   in Loop: Header=BB315_10 Depth=1
	s_or_b64 exec, exec, s[34:35]
.LBB315_249:                            ;   in Loop: Header=BB315_10 Depth=1
	s_or_b64 exec, exec, s[30:31]
.LBB315_250:                            ;   in Loop: Header=BB315_10 Depth=1
	s_or_b64 exec, exec, s[28:29]
	flat_load_dword v30, v[28:29] offset:2560
	v_mov_b32_e32 v22, 0
	v_mov_b32_e32 v33, 0
	s_waitcnt vmcnt(0) lgkmcnt(0)
	v_cmp_ne_u16_sdwa s[8:9], v30, v23 src0_sel:BYTE_0 src1_sel:DWORD
	s_and_saveexec_b64 s[28:29], s[8:9]
	s_cbranch_execz .LBB315_256
; %bb.251:                              ;   in Loop: Header=BB315_10 Depth=1
	v_cmp_ne_u16_sdwa s[8:9], v30, s19 src0_sel:BYTE_0 src1_sel:DWORD
	v_bfrev_b32_e32 v33, 1
	s_and_saveexec_b64 s[30:31], s[8:9]
	s_cbranch_execz .LBB315_255
; %bb.252:                              ;   in Loop: Header=BB315_10 Depth=1
	v_and_b32_e32 v24, 0x7f, v30
	v_cmp_ne_u32_e64 s[8:9], s37, v24
	v_mov_b32_e32 v33, 0x7fc02000
	s_and_saveexec_b64 s[34:35], s[8:9]
	s_cbranch_execz .LBB315_254
; %bb.253:                              ;   in Loop: Header=BB315_10 Depth=1
	v_and_b32_e32 v25, 7, v30
	v_ffbh_u32_e32 v26, v25
	v_min_u32_e32 v33, 32, v26
	v_subrev_u32_e32 v26, 28, v33
	v_lshlrev_b64 v[26:27], v26, v[30:31]
	v_lshrrev_b32_e32 v32, 3, v24
	v_sub_u32_e32 v27, 29, v33
	v_cmp_gt_u32_e64 s[8:9], 8, v24
	v_and_b32_e32 v26, 7, v26
	v_cndmask_b32_e64 v24, v32, v27, s[8:9]
	v_mov_b32_e32 v6, 0x2000
	v_cndmask_b32_e64 v25, v25, v26, s[8:9]
	v_lshlrev_b32_e32 v26, 8, v30
	v_lshl_add_u32 v24, v24, 10, v6
	v_and_or_b32 v24, v26, s38, v24
	v_lshl_or_b32 v24, v25, 7, v24
	v_cvt_f32_f16_e32 v33, v24
.LBB315_254:                            ;   in Loop: Header=BB315_10 Depth=1
	s_or_b64 exec, exec, s[34:35]
.LBB315_255:                            ;   in Loop: Header=BB315_10 Depth=1
	s_or_b64 exec, exec, s[30:31]
.LBB315_256:                            ;   in Loop: Header=BB315_10 Depth=1
	s_or_b64 exec, exec, s[28:29]
	v_lshrrev_b16_e32 v32, 8, v30
	v_cmp_ne_u16_e64 s[8:9], 0, v32
	s_and_saveexec_b64 s[28:29], s[8:9]
	s_cbranch_execz .LBB315_262
; %bb.257:                              ;   in Loop: Header=BB315_10 Depth=1
	v_cmp_ne_u16_e64 s[8:9], s19, v32
	v_bfrev_b32_e32 v22, 1
	s_and_saveexec_b64 s[30:31], s[8:9]
	s_cbranch_execz .LBB315_261
; %bb.258:                              ;   in Loop: Header=BB315_10 Depth=1
	v_and_b32_e32 v24, 0x7f, v32
	v_cmp_ne_u32_e64 s[8:9], s37, v24
	v_mov_b32_e32 v22, 0x7fc02000
	s_and_saveexec_b64 s[34:35], s[8:9]
	s_cbranch_execz .LBB315_260
; %bb.259:                              ;   in Loop: Header=BB315_10 Depth=1
	v_and_b32_e32 v22, 7, v32
	v_lshrrev_b32_e32 v26, 3, v24
	v_cmp_gt_u32_e64 s[8:9], 8, v24
	v_ffbh_u32_e32 v24, v22
	v_min_u32_e32 v27, 32, v24
	v_subrev_u32_e32 v24, 28, v27
	v_lshlrev_b64 v[24:25], v24, v[32:33]
	v_sub_u32_e32 v25, 29, v27
	v_and_b32_e32 v24, 7, v24
	v_cndmask_b32_e64 v25, v26, v25, s[8:9]
	v_mov_b32_e32 v6, 0x2000
	v_cndmask_b32_e64 v22, v22, v24, s[8:9]
	v_lshlrev_b32_e32 v24, 8, v32
	v_lshl_add_u32 v25, v25, 10, v6
	v_and_or_b32 v24, v24, s38, v25
	v_lshl_or_b32 v22, v22, 7, v24
	v_cvt_f32_f16_e32 v22, v22
.LBB315_260:                            ;   in Loop: Header=BB315_10 Depth=1
	s_or_b64 exec, exec, s[34:35]
.LBB315_261:                            ;   in Loop: Header=BB315_10 Depth=1
	s_or_b64 exec, exec, s[30:31]
.LBB315_262:                            ;   in Loop: Header=BB315_10 Depth=1
	s_or_b64 exec, exec, s[28:29]
	v_lshrrev_b32_e32 v32, 16, v30
	v_cmp_ne_u16_sdwa s[8:9], v32, v23 src0_sel:BYTE_0 src1_sel:DWORD
	v_mov_b32_e32 v24, 0
	v_mov_b32_e32 v25, 0
	s_and_saveexec_b64 s[28:29], s[8:9]
	s_cbranch_execz .LBB315_268
; %bb.263:                              ;   in Loop: Header=BB315_10 Depth=1
	v_cmp_ne_u16_sdwa s[8:9], v32, s19 src0_sel:BYTE_0 src1_sel:DWORD
	v_bfrev_b32_e32 v25, 1
	s_and_saveexec_b64 s[30:31], s[8:9]
	s_cbranch_execz .LBB315_267
; %bb.264:                              ;   in Loop: Header=BB315_10 Depth=1
	v_bfe_u32 v26, v30, 16, 7
	v_cmp_ne_u32_e64 s[8:9], s37, v26
	v_mov_b32_e32 v25, 0x7fc02000
	s_and_saveexec_b64 s[34:35], s[8:9]
	s_cbranch_execz .LBB315_266
; %bb.265:                              ;   in Loop: Header=BB315_10 Depth=1
	v_and_b32_e32 v25, 7, v32
	v_ffbh_u32_e32 v54, v25
	v_min_u32_e32 v54, 32, v54
	v_lshrrev_b32_e32 v27, 3, v26
	v_subrev_u32_e32 v41, 28, v54
	v_sub_u32_e32 v54, 29, v54
	v_cmp_gt_u32_e64 s[8:9], 8, v26
	v_lshlrev_b64 v[42:43], v41, v[32:33]
	v_cndmask_b32_e64 v26, v27, v54, s[8:9]
	v_mov_b32_e32 v6, 0x2000
	v_and_b32_e32 v41, 7, v42
	v_lshlrev_b32_e32 v27, 8, v32
	v_lshl_add_u32 v26, v26, 10, v6
	v_cndmask_b32_e64 v25, v25, v41, s[8:9]
	v_and_or_b32 v26, v27, s38, v26
	v_lshl_or_b32 v25, v25, 7, v26
	v_cvt_f32_f16_e32 v25, v25
.LBB315_266:                            ;   in Loop: Header=BB315_10 Depth=1
	s_or_b64 exec, exec, s[34:35]
.LBB315_267:                            ;   in Loop: Header=BB315_10 Depth=1
	s_or_b64 exec, exec, s[30:31]
.LBB315_268:                            ;   in Loop: Header=BB315_10 Depth=1
	s_or_b64 exec, exec, s[28:29]
	v_cmp_lt_u32_e64 s[8:9], s39, v30
	s_and_saveexec_b64 s[28:29], s[8:9]
	s_cbranch_execz .LBB315_274
; %bb.269:                              ;   in Loop: Header=BB315_10 Depth=1
	v_lshrrev_b32_e32 v30, 24, v30
	v_cmp_ne_u32_e64 s[8:9], s19, v30
	v_bfrev_b32_e32 v24, 1
	s_and_saveexec_b64 s[30:31], s[8:9]
	s_cbranch_execz .LBB315_273
; %bb.270:                              ;   in Loop: Header=BB315_10 Depth=1
	v_and_b32_e32 v26, 0x7f, v30
	v_cmp_ne_u32_e64 s[8:9], s37, v26
	v_mov_b32_e32 v24, 0x7fc02000
	s_and_saveexec_b64 s[34:35], s[8:9]
	s_cbranch_execz .LBB315_272
; %bb.271:                              ;   in Loop: Header=BB315_10 Depth=1
	v_and_b32_e32 v24, 7, v30
	v_ffbh_u32_e32 v32, v24
	v_min_u32_e32 v32, 32, v32
	v_lshrrev_b32_e32 v27, 3, v26
	v_subrev_u32_e32 v54, 28, v32
	v_sub_u32_e32 v32, 29, v32
	v_cmp_gt_u32_e64 s[8:9], 8, v26
	v_lshlrev_b64 v[42:43], v54, v[30:31]
	v_cndmask_b32_e64 v26, v27, v32, s[8:9]
	v_mov_b32_e32 v6, 0x2000
	v_and_b32_e32 v54, 7, v42
	v_lshlrev_b32_e32 v27, 8, v30
	v_lshl_add_u32 v26, v26, 10, v6
	v_cndmask_b32_e64 v24, v24, v54, s[8:9]
	v_and_or_b32 v26, v27, s38, v26
	v_lshl_or_b32 v24, v24, 7, v26
	v_cvt_f32_f16_e32 v24, v24
.LBB315_272:                            ;   in Loop: Header=BB315_10 Depth=1
	s_or_b64 exec, exec, s[34:35]
.LBB315_273:                            ;   in Loop: Header=BB315_10 Depth=1
	s_or_b64 exec, exec, s[30:31]
.LBB315_274:                            ;   in Loop: Header=BB315_10 Depth=1
	s_or_b64 exec, exec, s[28:29]
	flat_load_dword v28, v[28:29] offset:2568
	v_mov_b32_e32 v32, 0
	v_mov_b32_e32 v54, 0
	s_waitcnt vmcnt(0) lgkmcnt(0)
	v_cmp_ne_u16_sdwa s[8:9], v28, v23 src0_sel:BYTE_0 src1_sel:DWORD
	s_and_saveexec_b64 s[28:29], s[8:9]
	s_cbranch_execz .LBB315_280
; %bb.275:                              ;   in Loop: Header=BB315_10 Depth=1
	v_cmp_ne_u16_sdwa s[8:9], v28, s19 src0_sel:BYTE_0 src1_sel:DWORD
	v_bfrev_b32_e32 v54, 1
	s_and_saveexec_b64 s[30:31], s[8:9]
	s_cbranch_execz .LBB315_279
; %bb.276:                              ;   in Loop: Header=BB315_10 Depth=1
	v_and_b32_e32 v26, 0x7f, v28
	v_cmp_ne_u32_e64 s[8:9], s37, v26
	v_mov_b32_e32 v54, 0x7fc02000
	s_and_saveexec_b64 s[34:35], s[8:9]
	s_cbranch_execz .LBB315_278
; %bb.277:                              ;   in Loop: Header=BB315_10 Depth=1
	v_and_b32_e32 v27, 7, v28
	v_ffbh_u32_e32 v30, v27
	v_min_u32_e32 v30, 32, v30
	v_lshrrev_b32_e32 v29, 3, v26
	v_subrev_u32_e32 v54, 28, v30
	v_sub_u32_e32 v30, 29, v30
	v_cmp_gt_u32_e64 s[8:9], 8, v26
	v_lshlrev_b64 v[42:43], v54, v[28:29]
	v_cndmask_b32_e64 v26, v29, v30, s[8:9]
	v_mov_b32_e32 v6, 0x2000
	v_and_b32_e32 v54, 7, v42
	v_lshlrev_b32_e32 v29, 8, v28
	v_lshl_add_u32 v26, v26, 10, v6
	v_cndmask_b32_e64 v27, v27, v54, s[8:9]
	v_and_or_b32 v26, v29, s38, v26
	v_lshl_or_b32 v26, v27, 7, v26
	v_cvt_f32_f16_e32 v54, v26
.LBB315_278:                            ;   in Loop: Header=BB315_10 Depth=1
	s_or_b64 exec, exec, s[34:35]
.LBB315_279:                            ;   in Loop: Header=BB315_10 Depth=1
	s_or_b64 exec, exec, s[30:31]
.LBB315_280:                            ;   in Loop: Header=BB315_10 Depth=1
	s_or_b64 exec, exec, s[28:29]
	v_lshrrev_b16_e32 v30, 8, v28
	v_cmp_ne_u16_e64 s[8:9], 0, v30
	s_and_saveexec_b64 s[28:29], s[8:9]
	s_cbranch_execz .LBB315_286
; %bb.281:                              ;   in Loop: Header=BB315_10 Depth=1
	v_cmp_ne_u16_e64 s[8:9], s19, v30
	v_bfrev_b32_e32 v32, 1
	s_and_saveexec_b64 s[30:31], s[8:9]
	s_cbranch_execz .LBB315_285
; %bb.282:                              ;   in Loop: Header=BB315_10 Depth=1
	v_and_b32_e32 v26, 0x7f, v30
	v_cmp_ne_u32_e64 s[8:9], s37, v26
	v_mov_b32_e32 v32, 0x7fc02000
	s_and_saveexec_b64 s[34:35], s[8:9]
	s_cbranch_execz .LBB315_284
; %bb.283:                              ;   in Loop: Header=BB315_10 Depth=1
	v_and_b32_e32 v27, 7, v30
	v_ffbh_u32_e32 v32, v27
	v_min_u32_e32 v32, 32, v32
	v_lshrrev_b32_e32 v29, 3, v26
	v_subrev_u32_e32 v41, 28, v32
	v_sub_u32_e32 v32, 29, v32
	v_cmp_gt_u32_e64 s[8:9], 8, v26
	v_lshlrev_b64 v[42:43], v41, v[30:31]
	v_cndmask_b32_e64 v26, v29, v32, s[8:9]
	v_mov_b32_e32 v6, 0x2000
	v_and_b32_e32 v41, 7, v42
	v_lshlrev_b32_e32 v29, 8, v30
	v_lshl_add_u32 v26, v26, 10, v6
	v_cndmask_b32_e64 v27, v27, v41, s[8:9]
	v_and_or_b32 v26, v29, s38, v26
	v_lshl_or_b32 v26, v27, 7, v26
	v_cvt_f32_f16_e32 v32, v26
.LBB315_284:                            ;   in Loop: Header=BB315_10 Depth=1
	s_or_b64 exec, exec, s[34:35]
.LBB315_285:                            ;   in Loop: Header=BB315_10 Depth=1
	s_or_b64 exec, exec, s[30:31]
.LBB315_286:                            ;   in Loop: Header=BB315_10 Depth=1
	s_or_b64 exec, exec, s[28:29]
	v_lshrrev_b32_e32 v30, 16, v28
	v_cmp_ne_u16_sdwa s[8:9], v30, v23 src0_sel:BYTE_0 src1_sel:DWORD
	v_mov_b32_e32 v45, 0
	v_mov_b32_e32 v46, 0
	s_and_saveexec_b64 s[28:29], s[8:9]
	s_cbranch_execz .LBB315_292
; %bb.287:                              ;   in Loop: Header=BB315_10 Depth=1
	v_cmp_ne_u16_sdwa s[8:9], v30, s19 src0_sel:BYTE_0 src1_sel:DWORD
	v_bfrev_b32_e32 v46, 1
	s_and_saveexec_b64 s[30:31], s[8:9]
	s_cbranch_execz .LBB315_291
; %bb.288:                              ;   in Loop: Header=BB315_10 Depth=1
	v_bfe_u32 v26, v28, 16, 7
	v_cmp_ne_u32_e64 s[8:9], s37, v26
	v_mov_b32_e32 v46, 0x7fc02000
	s_and_saveexec_b64 s[34:35], s[8:9]
	s_cbranch_execz .LBB315_290
; %bb.289:                              ;   in Loop: Header=BB315_10 Depth=1
	v_and_b32_e32 v27, 7, v30
	v_ffbh_u32_e32 v41, v27
	v_min_u32_e32 v41, 32, v41
	v_lshrrev_b32_e32 v29, 3, v26
	v_subrev_u32_e32 v42, 28, v41
	v_sub_u32_e32 v41, 29, v41
	v_cmp_gt_u32_e64 s[8:9], 8, v26
	v_lshlrev_b64 v[42:43], v42, v[30:31]
	v_cndmask_b32_e64 v26, v29, v41, s[8:9]
	v_mov_b32_e32 v6, 0x2000
	v_and_b32_e32 v42, 7, v42
	v_lshlrev_b32_e32 v29, 8, v30
	v_lshl_add_u32 v26, v26, 10, v6
	v_cndmask_b32_e64 v27, v27, v42, s[8:9]
	v_and_or_b32 v26, v29, s38, v26
	v_lshl_or_b32 v26, v27, 7, v26
	v_cvt_f32_f16_e32 v46, v26
.LBB315_290:                            ;   in Loop: Header=BB315_10 Depth=1
	s_or_b64 exec, exec, s[34:35]
.LBB315_291:                            ;   in Loop: Header=BB315_10 Depth=1
	s_or_b64 exec, exec, s[30:31]
.LBB315_292:                            ;   in Loop: Header=BB315_10 Depth=1
	s_or_b64 exec, exec, s[28:29]
	v_cmp_lt_u32_e64 s[8:9], s39, v28
	s_and_saveexec_b64 s[28:29], s[8:9]
	s_cbranch_execz .LBB315_298
; %bb.293:                              ;   in Loop: Header=BB315_10 Depth=1
	v_lshrrev_b32_e32 v28, 24, v28
	v_cmp_ne_u32_e64 s[8:9], s19, v28
	v_bfrev_b32_e32 v45, 1
	s_and_saveexec_b64 s[30:31], s[8:9]
	s_cbranch_execz .LBB315_297
; %bb.294:                              ;   in Loop: Header=BB315_10 Depth=1
	v_and_b32_e32 v26, 0x7f, v28
	v_cmp_ne_u32_e64 s[8:9], s37, v26
	v_mov_b32_e32 v45, 0x7fc02000
	s_and_saveexec_b64 s[34:35], s[8:9]
	s_cbranch_execz .LBB315_296
; %bb.295:                              ;   in Loop: Header=BB315_10 Depth=1
	v_and_b32_e32 v27, 7, v28
	v_ffbh_u32_e32 v30, v27
	v_min_u32_e32 v30, 32, v30
	v_lshrrev_b32_e32 v29, 3, v26
	v_subrev_u32_e32 v41, 28, v30
	v_sub_u32_e32 v30, 29, v30
	v_cmp_gt_u32_e64 s[8:9], 8, v26
	v_lshlrev_b64 v[42:43], v41, v[28:29]
	v_cndmask_b32_e64 v26, v29, v30, s[8:9]
	v_mov_b32_e32 v6, 0x2000
	v_and_b32_e32 v41, 7, v42
	v_lshlrev_b32_e32 v28, 8, v28
	v_lshl_add_u32 v26, v26, 10, v6
	v_cndmask_b32_e64 v27, v27, v41, s[8:9]
	v_and_or_b32 v26, v28, s38, v26
	v_lshl_or_b32 v26, v27, 7, v26
	v_cvt_f32_f16_e32 v45, v26
.LBB315_296:                            ;   in Loop: Header=BB315_10 Depth=1
	s_or_b64 exec, exec, s[34:35]
.LBB315_297:                            ;   in Loop: Header=BB315_10 Depth=1
	s_or_b64 exec, exec, s[30:31]
.LBB315_298:                            ;   in Loop: Header=BB315_10 Depth=1
	s_or_b64 exec, exec, s[28:29]
	v_fma_mixlo_f16 v30, v40, v3, 0
	v_fma_mixlo_f16 v3, v40, v55, 0
	v_accvgpr_read_b32 v55, a33
	v_fma_mixlo_f16 v28, v40, v22, 0
	v_fma_mixlo_f16 v22, v40, v24, 0
	;; [unrolled: 1-line block ×8, first 2 shown]
	ds_read_b64 v[0:1], v55
	v_fma_mixlo_f16 v44, v40, v5, 0
	v_fma_mixlo_f16 v49, v40, v39, 0
	;; [unrolled: 1-line block ×4, first 2 shown]
	s_waitcnt lgkmcnt(0)
	v_lshrrev_b32_e32 v47, 16, v0
	v_and_b32_e32 v0, 0xffff, v0
	v_fma_mixlo_f16 v43, v40, v4, 0
	v_fma_mixlo_f16 v42, v40, v35, 0
	;; [unrolled: 1-line block ×5, first 2 shown]
	;;#ASMSTART
	v_cvt_f32_f16 v56, v0;
	;;#ASMEND
	v_and_b32_e32 v0, 0xffff, v5
	;;#ASMSTART
	v_cvt_f32_f16 v47, v47;
	;;#ASMEND
	;;#ASMSTART
	v_cvt_f32_f16 v6, v0;
	;;#ASMEND
	v_and_b32_e32 v0, 0xffff, v4
	v_fma_mixlo_f16 v26, v40, v10, 0
	v_fma_mixlo_f16 v10, v40, v52, 0
	;;#ASMSTART
	v_cvt_f32_f16 v7, v0;
	;;#ASMEND
	v_lshrrev_b32_e32 v0, 16, v1
	v_fma_mixlo_f16 v41, v40, v11, 0
	v_fma_mixlo_f16 v11, v40, v50, 0
	v_and_b32_e32 v1, 0xffff, v1
	;;#ASMSTART
	v_cvt_f32_f16 v16, v1;
	;;#ASMEND
	;;#ASMSTART
	v_cvt_f32_f16 v50, v0;
	;;#ASMEND
	v_and_b32_e32 v0, 0xffff, v10
	v_fma_mixlo_f16 v29, v40, v33, 0
	v_fma_mixlo_f16 v33, v40, v2, 0
	;; [unrolled: 1-line block ×3, first 2 shown]
	;;#ASMSTART
	v_cvt_f32_f16 v53, v0;
	;;#ASMEND
	v_and_b32_e32 v0, 0xffff, v11
	;;#ASMSTART
	v_cvt_f32_f16 v52, v0;
	;;#ASMEND
	ds_read_b64 v[10:11], v55 offset:8
	v_fma_mixlo_f16 v4, v40, v32, 0
	v_and_b32_e32 v3, 0xffff, v3
	v_and_b32_e32 v2, 0xffff, v2
	v_fma_mixlo_f16 v5, v40, v54, 0
	s_waitcnt lgkmcnt(0)
	v_lshrrev_b32_e32 v32, 16, v10
	v_and_b32_e32 v10, 0xffff, v10
	;;#ASMSTART
	v_cvt_f32_f16 v10, v10;
	;;#ASMEND
	;;#ASMSTART
	v_cvt_f32_f16 v32, v32;
	;;#ASMEND
	;; [unrolled: 3-line block ×4, first 2 shown]
	v_mul_f32_e32 v2, v10, v3
	v_mul_f32_e32 v3, v32, v54
	v_fmac_f32_e32 v2, v56, v6
	v_fmac_f32_e32 v3, v47, v7
	v_lshrrev_b32_e32 v6, 16, v11
	v_and_b32_e32 v7, 0xffff, v11
	v_and_b32_e32 v10, 0xffff, v38
	;; [unrolled: 1-line block ×3, first 2 shown]
	;;#ASMSTART
	v_cvt_f32_f16 v7, v7;
	;;#ASMEND
	;;#ASMSTART
	v_cvt_f32_f16 v6, v6;
	;;#ASMEND
	;; [unrolled: 3-line block ×4, first 2 shown]
	ds_read_b64 v[38:39], v55 offset:16
	v_fma_mixlo_f16 v58, v40, v58, 0
	v_fma_mixlo_f16 v57, v40, v57, 0
	v_mul_f32_e32 v10, v7, v10
	v_fma_mixlo_f16 v60, v40, v60, 0
	v_fmac_f32_e32 v10, v16, v53
	v_mul_f32_e32 v11, v6, v11
	s_waitcnt lgkmcnt(0)
	v_lshrrev_b32_e32 v6, 16, v38
	v_and_b32_e32 v7, 0xffff, v38
	v_and_b32_e32 v16, 0xffff, v57
	v_and_b32_e32 v32, 0xffff, v58
	v_lshrrev_b32_e32 v38, 16, v39
	v_fma_mixlo_f16 v59, v40, v59, 0
	v_fmac_f32_e32 v11, v50, v52
	;;#ASMSTART
	v_cvt_f32_f16 v7, v7;
	;;#ASMEND
	;;#ASMSTART
	v_cvt_f32_f16 v6, v6;
	;;#ASMEND
	;; [unrolled: 3-line block ×4, first 2 shown]
	v_and_b32_e32 v39, 0xffff, v39
	;;#ASMSTART
	v_cvt_f32_f16 v50, v39;
	;;#ASMEND
	;;#ASMSTART
	v_cvt_f32_f16 v52, v38;
	;;#ASMEND
	v_and_b32_e32 v38, 0xffff, v60
	;;#ASMSTART
	v_cvt_f32_f16 v53, v38;
	;;#ASMEND
	v_and_b32_e32 v38, 0xffff, v59
	;;#ASMSTART
	v_cvt_f32_f16 v54, v38;
	;;#ASMEND
	ds_read_b64 v[38:39], v55 offset:24
	v_fma_mixlo_f16 v61, v40, v61, 0
	v_fma_mixlo_f16 v62, v40, v62, 0
	;; [unrolled: 1-line block ×3, first 2 shown]
	v_fmac_f32_e32 v2, v7, v16
	v_fmac_f32_e32 v3, v6, v32
	s_waitcnt lgkmcnt(0)
	v_lshrrev_b32_e32 v6, 16, v38
	v_and_b32_e32 v7, 0xffff, v38
	v_and_b32_e32 v16, 0xffff, v62
	;; [unrolled: 1-line block ×3, first 2 shown]
	v_lshrrev_b32_e32 v38, 16, v39
	v_fmac_f32_e32 v10, v50, v53
	v_fmac_f32_e32 v11, v52, v54
	;;#ASMSTART
	v_cvt_f32_f16 v7, v7;
	;;#ASMEND
	;;#ASMSTART
	v_cvt_f32_f16 v6, v6;
	;;#ASMEND
	;; [unrolled: 3-line block ×4, first 2 shown]
	v_and_b32_e32 v39, 0xffff, v39
	;;#ASMSTART
	v_cvt_f32_f16 v50, v39;
	;;#ASMEND
	;;#ASMSTART
	v_cvt_f32_f16 v52, v38;
	;;#ASMEND
	v_and_b32_e32 v38, 0xffff, v49
	v_and_b32_e32 v37, 0xffff, v37
	;;#ASMSTART
	v_cvt_f32_f16 v49, v38;
	;;#ASMEND
	;;#ASMSTART
	v_cvt_f32_f16 v37, v37;
	;;#ASMEND
	ds_read_b64 v[38:39], v55 offset:32
	v_fma_mixlo_f16 v36, v40, v36, 0
	v_fma_mixlo_f16 v31, v40, v31, 0
	;; [unrolled: 1-line block ×4, first 2 shown]
	v_fmac_f32_e32 v2, v7, v16
	v_fmac_f32_e32 v3, v6, v32
	s_waitcnt lgkmcnt(0)
	v_lshrrev_b32_e32 v6, 16, v38
	v_and_b32_e32 v7, 0xffff, v38
	v_and_b32_e32 v16, 0xffff, v31
	;; [unrolled: 1-line block ×3, first 2 shown]
	v_lshrrev_b32_e32 v32, 16, v39
	v_and_b32_e32 v36, 0xffff, v39
	v_and_b32_e32 v19, 0xffff, v19
	;; [unrolled: 1-line block ×3, first 2 shown]
	v_fmac_f32_e32 v11, v52, v37
	;;#ASMSTART
	v_cvt_f32_f16 v7, v7;
	;;#ASMEND
	;;#ASMSTART
	v_cvt_f32_f16 v6, v6;
	;;#ASMEND
	;; [unrolled: 3-line block ×8, first 2 shown]
	ds_read_b64 v[18:19], v55 offset:40
	v_fmac_f32_e32 v2, v7, v16
	v_fmac_f32_e32 v3, v6, v31
	v_and_b32_e32 v16, 0xffff, v44
	v_fmac_f32_e32 v10, v50, v49
	s_waitcnt lgkmcnt(0)
	v_lshrrev_b32_e32 v6, 16, v18
	v_and_b32_e32 v7, 0xffff, v18
	v_and_b32_e32 v18, 0xffff, v43
	;;#ASMSTART
	v_cvt_f32_f16 v7, v7;
	;;#ASMEND
	;;#ASMSTART
	v_cvt_f32_f16 v6, v6;
	;;#ASMEND
	;; [unrolled: 3-line block ×4, first 2 shown]
	v_lshrrev_b32_e32 v18, 16, v19
	v_fmac_f32_e32 v10, v36, v37
	v_fmac_f32_e32 v11, v32, v38
	v_and_b32_e32 v19, 0xffff, v19
	;;#ASMSTART
	v_cvt_f32_f16 v32, v19;
	;;#ASMEND
	;;#ASMSTART
	v_cvt_f32_f16 v36, v18;
	;;#ASMEND
	v_and_b32_e32 v18, 0xffff, v42
	;;#ASMSTART
	v_cvt_f32_f16 v37, v18;
	;;#ASMEND
	v_and_b32_e32 v18, 0xffff, v35
	;;#ASMSTART
	v_cvt_f32_f16 v35, v18;
	;;#ASMEND
	ds_read_b64 v[18:19], v55 offset:48
	v_fmac_f32_e32 v2, v7, v16
	v_fmac_f32_e32 v3, v6, v31
	v_and_b32_e32 v16, 0xffff, v41
	v_fma_mixlo_f16 v51, v40, v51, 0
	s_waitcnt lgkmcnt(0)
	v_lshrrev_b32_e32 v6, 16, v18
	v_and_b32_e32 v7, 0xffff, v18
	v_and_b32_e32 v18, 0xffff, v26
	v_fma_mixlo_f16 v17, v40, v17, 0
	;;#ASMSTART
	v_cvt_f32_f16 v7, v7;
	;;#ASMEND
	;;#ASMSTART
	v_cvt_f32_f16 v6, v6;
	;;#ASMEND
	;; [unrolled: 3-line block ×4, first 2 shown]
	v_lshrrev_b32_e32 v18, 16, v19
	v_fmac_f32_e32 v10, v32, v37
	v_and_b32_e32 v19, 0xffff, v19
	;;#ASMSTART
	v_cvt_f32_f16 v31, v19;
	;;#ASMEND
	;;#ASMSTART
	v_cvt_f32_f16 v32, v18;
	;;#ASMEND
	v_and_b32_e32 v18, 0xffff, v51
	v_and_b32_e32 v17, 0xffff, v17
	v_fmac_f32_e32 v11, v36, v35
	;;#ASMSTART
	v_cvt_f32_f16 v35, v18;
	;;#ASMEND
	;;#ASMSTART
	v_cvt_f32_f16 v17, v17;
	;;#ASMEND
	ds_read_b64 v[18:19], v55 offset:56
	v_fmac_f32_e32 v2, v7, v16
	v_fmac_f32_e32 v3, v6, v26
	;; [unrolled: 1-line block ×3, first 2 shown]
	v_and_b32_e32 v16, 0xffff, v48
	s_waitcnt lgkmcnt(0)
	v_lshrrev_b32_e32 v6, 16, v18
	v_and_b32_e32 v7, 0xffff, v18
	v_and_b32_e32 v17, 0xffff, v34
	v_lshrrev_b32_e32 v18, 16, v19
	v_fmac_f32_e32 v10, v31, v35
	;;#ASMSTART
	v_cvt_f32_f16 v7, v7;
	;;#ASMEND
	;;#ASMSTART
	v_cvt_f32_f16 v6, v6;
	;;#ASMEND
	;;#ASMSTART
	v_cvt_f32_f16 v16, v16;
	;;#ASMEND
	;;#ASMSTART
	v_cvt_f32_f16 v17, v17;
	;;#ASMEND
	v_and_b32_e32 v19, 0xffff, v19
	;;#ASMSTART
	v_cvt_f32_f16 v26, v19;
	;;#ASMEND
	;;#ASMSTART
	v_cvt_f32_f16 v31, v18;
	;;#ASMEND
	v_and_b32_e32 v18, 0xffff, v33
	;;#ASMSTART
	v_cvt_f32_f16 v32, v18;
	;;#ASMEND
	v_and_b32_e32 v18, 0xffff, v30
	;;#ASMSTART
	v_cvt_f32_f16 v30, v18;
	;;#ASMEND
	ds_read_b64 v[18:19], v55 offset:64
	v_fma_mixlo_f16 v15, v40, v15, 0
	v_fmac_f32_e32 v2, v7, v16
	v_fmac_f32_e32 v3, v6, v17
	v_and_b32_e32 v16, 0xffff, v27
	s_waitcnt lgkmcnt(0)
	v_lshrrev_b32_e32 v6, 16, v18
	v_and_b32_e32 v7, 0xffff, v18
	v_and_b32_e32 v15, 0xffff, v15
	;;#ASMSTART
	v_cvt_f32_f16 v7, v7;
	;;#ASMEND
	;;#ASMSTART
	v_cvt_f32_f16 v6, v6;
	;;#ASMEND
	;; [unrolled: 3-line block ×4, first 2 shown]
	v_lshrrev_b32_e32 v15, 16, v19
	v_and_b32_e32 v18, 0xffff, v19
	v_and_b32_e32 v14, 0xffff, v14
	;; [unrolled: 1-line block ×3, first 2 shown]
	v_fmac_f32_e32 v10, v26, v32
	;;#ASMSTART
	v_cvt_f32_f16 v18, v18;
	;;#ASMEND
	;;#ASMSTART
	v_cvt_f32_f16 v19, v15;
	;;#ASMEND
	;; [unrolled: 3-line block ×4, first 2 shown]
	ds_read_b64 v[14:15], v55 offset:72
	v_fma_mixlo_f16 v13, v40, v13, 0
	v_fma_mixlo_f16 v9, v40, v9, 0
	v_fma_mixlo_f16 v8, v40, v8, 0
	v_fmac_f32_e32 v11, v31, v30
	v_fmac_f32_e32 v2, v7, v16
	;; [unrolled: 1-line block ×4, first 2 shown]
	s_waitcnt lgkmcnt(0)
	v_lshrrev_b32_e32 v6, 16, v14
	v_and_b32_e32 v7, 0xffff, v14
	v_and_b32_e32 v12, 0xffff, v13
	;; [unrolled: 1-line block ×3, first 2 shown]
	v_lshrrev_b32_e32 v14, 16, v15
	v_and_b32_e32 v15, 0xffff, v15
	v_and_b32_e32 v9, 0xffff, v9
	;; [unrolled: 1-line block ×3, first 2 shown]
	;;#ASMSTART
	v_cvt_f32_f16 v7, v7;
	;;#ASMEND
	;;#ASMSTART
	v_cvt_f32_f16 v6, v6;
	;;#ASMEND
	;;#ASMSTART
	v_cvt_f32_f16 v12, v12;
	;;#ASMEND
	;;#ASMSTART
	v_cvt_f32_f16 v13, v13;
	;;#ASMEND
	;;#ASMSTART
	v_cvt_f32_f16 v15, v15;
	;;#ASMEND
	;;#ASMSTART
	v_cvt_f32_f16 v14, v14;
	;;#ASMEND
	;;#ASMSTART
	v_cvt_f32_f16 v16, v9;
	;;#ASMEND
	;;#ASMSTART
	v_cvt_f32_f16 v17, v8;
	;;#ASMEND
	ds_read_b64 v[8:9], v55 offset:80
	v_fmac_f32_e32 v2, v7, v12
	v_fmac_f32_e32 v3, v6, v13
	v_fma_mixlo_f16 v25, v40, v25, 0
	v_fmac_f32_e32 v10, v18, v26
	s_waitcnt lgkmcnt(0)
	v_lshrrev_b32_e32 v6, 16, v8
	v_and_b32_e32 v7, 0xffff, v8
	v_and_b32_e32 v8, 0xffff, v29
	;;#ASMSTART
	v_cvt_f32_f16 v7, v7;
	;;#ASMEND
	;;#ASMSTART
	v_cvt_f32_f16 v6, v6;
	;;#ASMEND
	;; [unrolled: 3-line block ×3, first 2 shown]
	v_and_b32_e32 v8, 0xffff, v28
	;;#ASMSTART
	v_cvt_f32_f16 v13, v8;
	;;#ASMEND
	v_lshrrev_b32_e32 v8, 16, v9
	v_fmac_f32_e32 v10, v15, v16
	v_fmac_f32_e32 v11, v14, v17
	v_and_b32_e32 v9, 0xffff, v9
	;;#ASMSTART
	v_cvt_f32_f16 v14, v9;
	;;#ASMEND
	;;#ASMSTART
	v_cvt_f32_f16 v15, v8;
	;;#ASMEND
	v_and_b32_e32 v8, 0xffff, v25
	;;#ASMSTART
	v_cvt_f32_f16 v16, v8;
	;;#ASMEND
	v_and_b32_e32 v8, 0xffff, v22
	;;#ASMSTART
	v_cvt_f32_f16 v17, v8;
	;;#ASMEND
	ds_read_b64 v[8:9], v55 offset:88
	v_fmac_f32_e32 v2, v7, v12
	v_fmac_f32_e32 v3, v6, v13
	v_and_b32_e32 v5, 0xffff, v5
	v_and_b32_e32 v4, 0xffff, v4
	s_waitcnt lgkmcnt(0)
	v_lshrrev_b32_e32 v6, 16, v8
	v_and_b32_e32 v7, 0xffff, v8
	v_fma_mixlo_f16 v1, v40, v46, 0
	v_fma_mixlo_f16 v0, v40, v45, 0
	;;#ASMSTART
	v_cvt_f32_f16 v7, v7;
	;;#ASMEND
	;;#ASMSTART
	v_cvt_f32_f16 v6, v6;
	;;#ASMEND
	;; [unrolled: 3-line block ×4, first 2 shown]
	v_fmac_f32_e32 v2, v7, v5
	v_fmac_f32_e32 v3, v6, v4
	v_lshrrev_b32_e32 v4, 16, v9
	v_and_b32_e32 v5, 0xffff, v9
	v_and_b32_e32 v1, 0xffff, v1
	;; [unrolled: 1-line block ×3, first 2 shown]
	v_fmac_f32_e32 v10, v14, v16
	v_fmac_f32_e32 v11, v15, v17
	;;#ASMSTART
	v_cvt_f32_f16 v5, v5;
	;;#ASMEND
	;;#ASMSTART
	v_cvt_f32_f16 v4, v4;
	;;#ASMEND
	;; [unrolled: 3-line block ×4, first 2 shown]
	v_fmac_f32_e32 v10, v5, v1
	v_fmac_f32_e32 v11, v4, v0
	v_add_f32_e32 v0, v2, v3
	v_add_f32_e32 v0, v0, v10
	v_accvgpr_read_b32 v3, a29
	v_add_f32_e32 v1, v11, v0
	v_and_b32_e32 v0, 64, v3
	v_xor_b32_e32 v2, 1, v3
	v_add_u32_e32 v0, 64, v0
	v_cmp_lt_i32_e64 s[8:9], v2, v0
	v_cndmask_b32_e64 v2, v3, v2, s[8:9]
	v_lshlrev_b32_e32 v2, 2, v2
	ds_bpermute_b32 v2, v2, v1
	s_mov_b64 s[28:29], exec
	s_and_b64 s[8:9], s[28:29], vcc
	v_accvgpr_read_b32 v6, a37
	s_mov_b64 exec, s[8:9]
	s_cbranch_execz .LBB315_9
; %bb.299:                              ;   in Loop: Header=BB315_10 Depth=1
	s_waitcnt lgkmcnt(0)
	v_add_f32_e32 v1, v1, v2
	buffer_load_dword v2, off, s[0:3], s32 offset:88 ; 4-byte Folded Reload
	v_accvgpr_read_b32 v3, a34
	v_accvgpr_read_b32 v5, a35
	v_add_u32_e32 v3, v3, v5
	v_cvt_f32_i32_e32 v3, v3
	s_load_dword s8, s[24:25], 0x0
	v_accvgpr_read_b32 v4, a28
	s_waitcnt vmcnt(0)
	v_mul_f32_e32 v2, v2, v3
	v_cndmask_b32_e64 v2, 0, v2, s[6:7]
	v_accvgpr_read_b32 v3, a36
	v_fmac_f32_e32 v2, v1, v4
	v_accvgpr_read_b32 v4, a8
	s_waitcnt lgkmcnt(0)
	v_add_u32_e32 v3, s8, v3
	v_cmp_lt_i32_e64 s[8:9], v5, v4
	v_cndmask_b32_e64 v1, 0, v2, s[8:9]
	ds_write_b32 v3, v1
	buffer_load_dword v3, off, s[0:3], s32 offset:84 ; 4-byte Folded Reload
	s_waitcnt vmcnt(0)
	v_max_f32_e32 v1, v3, v3
	v_max_f32_e32 v1, v1, v2
	v_cndmask_b32_e64 v3, v3, v1, s[8:9]
	buffer_store_dword v3, off, s[0:3], s32 offset:84 ; 4-byte Folded Spill
	s_branch .LBB315_9
.LBB315_300:
	s_or_b64 exec, exec, s[26:27]
	buffer_load_dword v7, off, s[0:3], s32 offset:84 ; 4-byte Folded Reload
	v_accvgpr_read_b32 v35, a23
	v_accvgpr_read_b32 v16, a2
	;; [unrolled: 1-line block ×17, first 2 shown]
.LBB315_301:
	s_or_b64 exec, exec, s[10:11]
	v_accvgpr_read_b32 v6, a29
	v_xor_b32_e32 v1, 32, v6
	v_cmp_lt_i32_e32 vcc, v1, v0
	v_cndmask_b32_e32 v1, v6, v1, vcc
	s_waitcnt lgkmcnt(0)
	v_lshlrev_b32_e32 v2, 2, v1
	s_waitcnt vmcnt(0)
	ds_bpermute_b32 v1, v2, v7
	v_xor_b32_e32 v4, 16, v6
	v_max_f32_e32 v3, v7, v7
	v_cmp_lt_i32_e32 vcc, v4, v0
	v_xor_b32_e32 v5, 8, v6
	s_waitcnt lgkmcnt(0)
	v_max_f32_e32 v1, v1, v1
	v_max_f32_e32 v1, v3, v1
	v_cndmask_b32_e32 v3, v6, v4, vcc
	v_lshlrev_b32_e32 v3, 2, v3
	ds_bpermute_b32 v4, v3, v1
	v_cmp_lt_i32_e32 vcc, v5, v0
	v_xor_b32_e32 v8, 4, v6
	v_xor_b32_e32 v9, 2, v6
	v_and_b32_e32 v23, 63, v16
	s_waitcnt lgkmcnt(0)
	v_max_f32_e32 v4, v4, v4
	v_max_f32_e32 v1, v1, v4
	v_cndmask_b32_e32 v4, v6, v5, vcc
	v_lshlrev_b32_e32 v4, 2, v4
	ds_bpermute_b32 v5, v4, v1
	v_cmp_lt_i32_e32 vcc, v8, v0
	s_lshr_b32 s28, s36, 16
	s_waitcnt lgkmcnt(0)
	v_max_f32_e32 v5, v5, v5
	v_max_f32_e32 v1, v1, v5
	v_cndmask_b32_e32 v5, v6, v8, vcc
	v_lshlrev_b32_e32 v5, 2, v5
	ds_bpermute_b32 v8, v5, v1
	v_cmp_lt_i32_e32 vcc, v9, v0
	s_waitcnt lgkmcnt(0)
	v_max_f32_e32 v8, v8, v8
	v_max_f32_e32 v1, v1, v8
	v_cndmask_b32_e32 v8, v6, v9, vcc
	v_lshlrev_b32_e32 v32, 2, v8
	ds_bpermute_b32 v9, v32, v1
	v_cmp_eq_u32_e32 vcc, 0, v23
	v_lshlrev_b32_e32 v8, 2, v29
	s_and_saveexec_b64 s[6:7], vcc
	s_cbranch_execz .LBB315_303
; %bb.302:
	s_waitcnt lgkmcnt(0)
	v_max_f32_e32 v6, v9, v9
	v_max_f32_e32 v1, v1, v1
	;; [unrolled: 1-line block ×3, first 2 shown]
	ds_write_b32 v8, v1 offset:192
.LBB315_303:
	s_or_b64 exec, exec, s[6:7]
	v_cmp_gt_u32_e64 s[6:7], 2, v23
	v_mov_b32_e32 v1, 0xff7fffff
	s_waitcnt lgkmcnt(0)
	v_lshlrev_b32_e32 v9, 2, v23
	s_barrier
	s_and_saveexec_b64 s[8:9], s[6:7]
	s_cbranch_execz .LBB315_305
; %bb.304:
	ds_read_b32 v1, v9 offset:192
.LBB315_305:
	s_or_b64 exec, exec, s[8:9]
	v_accvgpr_read_b32 v7, a29
	v_xor_b32_e32 v6, 1, v7
	v_cmp_lt_i32_e64 s[8:9], v6, v0
	v_cndmask_b32_e64 v0, v7, v6, s[8:9]
	v_lshlrev_b32_e32 v33, 2, v0
	s_waitcnt lgkmcnt(0)
	ds_bpermute_b32 v0, v33, v1
	v_max_f32_e32 v1, v1, v1
	v_accvgpr_read_b32 v6, a3
	v_subrev_u32_e32 v6, s21, v6
	v_lshl_add_u32 v6, v6, 5, s23
	s_waitcnt lgkmcnt(0)
	v_max_f32_e32 v0, v0, v0
	v_max_f32_e32 v0, v1, v0
	v_lshlrev_b32_e32 v1, 2, v7
	v_and_b32_e32 v17, 0xffffff00, v1
	ds_bpermute_b32 v0, v17, v0
	v_accvgpr_read_b32 v12, a8
	v_min_i32_e32 v18, v6, v12
	v_subrev_u32_e32 v1, s23, v18
	v_cmp_lt_i32_e64 s[8:9], v16, v1
	v_mov_b32_e32 v12, 0
	s_and_saveexec_b64 s[24:25], s[8:9]
	s_cbranch_execz .LBB315_309
; %bb.306:
	s_ashr_i32 s19, s18, 31
	s_lshl_b64 s[10:11], s[18:19], 2
	s_getpc_b64 s[26:27]
	s_add_u32 s26, s26, llvm.amdgcn.dynlds.offset.table@rel32@lo+4
	s_addc_u32 s27, s27, llvm.amdgcn.dynlds.offset.table@rel32@hi+12
	s_add_u32 s10, s10, s26
	s_addc_u32 s11, s11, s27
	s_load_dword s10, s[10:11], 0x0
	s_mov_b64 s[26:27], 0
	v_mov_b32_e32 v12, 0
	v_mov_b32_e32 v7, v16
	s_waitcnt lgkmcnt(0)
	v_lshl_add_u32 v13, v16, 2, s10
.LBB315_307:                            ; =>This Inner Loop Header: Depth=1
	ds_read_b32 v6, v13
	v_add_u32_e32 v7, 0x80, v7
	v_cmp_ge_i32_e64 s[10:11], v7, v1
	s_or_b64 s[26:27], s[10:11], s[26:27]
	s_waitcnt lgkmcnt(0)
	v_sub_f32_e32 v6, v6, v0
	v_mul_f32_e32 v6, 0x3fb8aa3b, v6
	v_exp_f32_e32 v6, v6
	ds_write_b32 v13, v6
	v_add_f32_e32 v12, v12, v6
	v_add_u32_e32 v13, 0x200, v13
	s_andn2_b64 exec, exec, s[26:27]
	s_cbranch_execnz .LBB315_307
; %bb.308:
	s_or_b64 exec, exec, s[26:27]
.LBB315_309:
	s_or_b64 exec, exec, s[24:25]
	ds_bpermute_b32 v2, v2, v12
	s_waitcnt lgkmcnt(0)
	v_add_f32_e32 v2, v12, v2
	ds_bpermute_b32 v3, v3, v2
	s_waitcnt lgkmcnt(0)
	v_add_f32_e32 v2, v2, v3
	;; [unrolled: 3-line block ×6, first 2 shown]
	s_and_saveexec_b64 s[10:11], vcc
	s_cbranch_execz .LBB315_311
; %bb.310:
	ds_write_b32 v8, v2 offset:200
.LBB315_311:
	s_or_b64 exec, exec, s[10:11]
	s_waitcnt lgkmcnt(0)
	s_barrier
	s_and_saveexec_b64 s[10:11], s[6:7]
	s_cbranch_execz .LBB315_313
; %bb.312:
	ds_read_b32 v2, v9 offset:200
.LBB315_313:
	s_or_b64 exec, exec, s[10:11]
	s_waitcnt lgkmcnt(0)
	ds_bpermute_b32 v3, v33, v2
	s_waitcnt lgkmcnt(0)
	v_add_f32_e32 v2, v2, v3
	ds_bpermute_b32 v2, v17, v2
	s_and_saveexec_b64 s[6:7], s[8:9]
	s_cbranch_execz .LBB315_326
; %bb.314:
	s_waitcnt lgkmcnt(0)
	v_add_f32_e32 v3, 0x358637bd, v2
	v_div_scale_f32 v4, s[8:9], v3, v3, 1.0
	v_rcp_f32_e32 v5, v4
	v_div_scale_f32 v6, vcc, 1.0, v3, 1.0
	s_movk_i32 s8, 0x7f
	v_fma_f32 v7, -v4, v5, 1.0
	v_fmac_f32_e32 v5, v7, v5
	v_mul_f32_e32 v7, v6, v5
	v_fma_f32 v8, -v4, v7, v6
	v_fmac_f32_e32 v7, v8, v5
	v_fma_f32 v4, -v4, v7, v6
	v_div_fmas_f32 v4, v4, v5, v7
	v_div_fixup_f32 v8, v4, v3, 1.0
	v_xad_u32 v3, v16, -1, v18
	v_subrev_u32_e32 v4, s23, v3
	v_cmp_lt_u32_e32 vcc, s8, v4
	s_mov_b64 s[10:11], -1
	v_mov_b32_e32 v3, v16
	s_and_saveexec_b64 s[8:9], vcc
	s_cbranch_execz .LBB315_323
; %bb.315:
	v_lshrrev_b32_e32 v3, 7, v4
	v_add_u32_e32 v5, -1, v3
	v_lshrrev_b32_e32 v4, 1, v5
	v_mov_b32_e32 v9, v8
	v_add_u32_e32 v4, 1, v4
	v_cmp_lt_u32_e32 vcc, 13, v5
	v_mov_b32_e32 v7, 0
	s_and_saveexec_b64 s[10:11], vcc
	s_cbranch_execz .LBB315_319
; %bb.316:
	s_ashr_i32 s19, s18, 31
	s_lshl_b64 s[24:25], s[18:19], 2
	s_getpc_b64 s[26:27]
	s_add_u32 s26, s26, llvm.amdgcn.dynlds.offset.table@rel32@lo+4
	s_addc_u32 s27, s27, llvm.amdgcn.dynlds.offset.table@rel32@hi+12
	s_add_u32 s24, s24, s26
	s_addc_u32 s25, s25, s27
	s_load_dword s21, s[24:25], 0x0
	v_and_b32_e32 v5, -8, v4
	s_mov_b32 s19, 0
	v_mov_b32_e32 v6, v16
	s_mov_b64 s[24:25], 0
	s_waitcnt lgkmcnt(0)
	v_lshl_add_u32 v22, v16, 2, s21
.LBB315_317:                            ; =>This Inner Loop Header: Depth=1
	ds_read2st64_b32 v[12:13], v22 offset1:2
	ds_read2st64_b32 v[16:17], v22 offset0:4 offset1:6
	ds_read2st64_b32 v[18:19], v22 offset0:8 offset1:10
	;; [unrolled: 1-line block ×3, first 2 shown]
	v_add_u32_e32 v5, -8, v5
	s_waitcnt lgkmcnt(3)
	v_pk_mul_f32 v[12:13], v[8:9], v[12:13]
	s_waitcnt lgkmcnt(2)
	v_pk_mul_f32 v[16:17], v[8:9], v[16:17]
	ds_write2st64_b32 v22, v12, v13 offset1:2
	ds_write2st64_b32 v22, v16, v17 offset0:4 offset1:6
	ds_read2st64_b32 v[16:17], v22 offset0:16 offset1:18
	s_waitcnt lgkmcnt(4)
	v_pk_mul_f32 v[12:13], v[8:9], v[18:19]
	ds_write2st64_b32 v22, v12, v13 offset0:8 offset1:10
	s_waitcnt lgkmcnt(4)
	v_pk_mul_f32 v[12:13], v[8:9], v[20:21]
	ds_write2st64_b32 v22, v12, v13 offset0:12 offset1:14
	ds_read2st64_b32 v[12:13], v22 offset0:20 offset1:22
	s_waitcnt lgkmcnt(3)
	v_pk_mul_f32 v[16:17], v[8:9], v[16:17]
	ds_read2st64_b32 v[18:19], v22 offset0:24 offset1:26
	ds_write2st64_b32 v22, v16, v17 offset0:16 offset1:18
	ds_read2st64_b32 v[16:17], v22 offset0:28 offset1:30
	s_waitcnt lgkmcnt(3)
	v_pk_mul_f32 v[12:13], v[8:9], v[12:13]
	ds_write2st64_b32 v22, v12, v13 offset0:20 offset1:22
	s_waitcnt lgkmcnt(3)
	v_pk_mul_f32 v[12:13], v[8:9], v[18:19]
	ds_write2st64_b32 v22, v12, v13 offset0:24 offset1:26
	s_waitcnt lgkmcnt(2)
	v_pk_mul_f32 v[12:13], v[8:9], v[16:17]
	s_add_i32 s19, s19, 16
	v_cmp_eq_u32_e32 vcc, 0, v5
	ds_write2st64_b32 v22, v12, v13 offset0:28 offset1:30
	v_add_u32_e32 v22, 0x2000, v22
	s_or_b64 s[24:25], vcc, s[24:25]
	v_mov_b32_e32 v7, s19
	s_andn2_b64 exec, exec, s[24:25]
	s_cbranch_execnz .LBB315_317
; %bb.318:
	s_or_b64 exec, exec, s[24:25]
	v_mov_b32_e32 v16, v6
.LBB315_319:
	s_or_b64 exec, exec, s[10:11]
	v_and_b32_e32 v4, 7, v4
	v_cmp_ne_u32_e32 vcc, 0, v4
	s_and_saveexec_b64 s[10:11], vcc
	s_cbranch_execz .LBB315_322
; %bb.320:
	s_ashr_i32 s19, s18, 31
	s_lshl_b64 s[24:25], s[18:19], 2
	s_getpc_b64 s[26:27]
	s_add_u32 s26, s26, llvm.amdgcn.dynlds.offset.table@rel32@lo+4
	s_addc_u32 s27, s27, llvm.amdgcn.dynlds.offset.table@rel32@hi+12
	s_add_u32 s24, s24, s26
	s_addc_u32 s25, s25, s27
	s_load_dword s19, s[24:25], 0x0
	v_lshlrev_b32_e32 v5, 9, v7
	v_lshlrev_b32_e32 v6, 2, v16
	s_mov_b64 s[24:25], 0
	s_waitcnt lgkmcnt(0)
	v_add3_u32 v5, v5, v6, s19
.LBB315_321:                            ; =>This Inner Loop Header: Depth=1
	ds_read2st64_b32 v[6:7], v5 offset1:2
	v_add_u32_e32 v4, -1, v4
	v_cmp_eq_u32_e32 vcc, 0, v4
	s_or_b64 s[24:25], vcc, s[24:25]
	s_waitcnt lgkmcnt(0)
	v_pk_mul_f32 v[6:7], v[8:9], v[6:7]
	ds_write2st64_b32 v5, v6, v7 offset1:2
	v_add_u32_e32 v5, 0x400, v5
	s_andn2_b64 exec, exec, s[24:25]
	s_cbranch_execnz .LBB315_321
.LBB315_322:
	s_or_b64 exec, exec, s[10:11]
	v_add_u32_e32 v4, 1, v3
	v_and_b32_e32 v5, 0x3fffffe, v4
	v_cmp_ne_u32_e32 vcc, v4, v5
	v_lshl_add_u32 v3, v5, 7, v16
	s_orn2_b64 s[10:11], vcc, exec
.LBB315_323:
	s_or_b64 exec, exec, s[8:9]
	s_and_b64 exec, exec, s[10:11]
	s_cbranch_execz .LBB315_326
; %bb.324:
	s_ashr_i32 s19, s18, 31
	s_lshl_b64 s[8:9], s[18:19], 2
	s_getpc_b64 s[10:11]
	s_add_u32 s10, s10, llvm.amdgcn.dynlds.offset.table@rel32@lo+4
	s_addc_u32 s11, s11, llvm.amdgcn.dynlds.offset.table@rel32@hi+12
	s_add_u32 s8, s8, s10
	s_addc_u32 s9, s9, s11
	s_load_dword s8, s[8:9], 0x0
	s_waitcnt lgkmcnt(0)
	v_lshl_add_u32 v4, v3, 2, s8
	s_mov_b64 s[8:9], 0
.LBB315_325:                            ; =>This Inner Loop Header: Depth=1
	ds_read_b32 v5, v4
	v_add_u32_e32 v3, 0x80, v3
	v_cmp_ge_i32_e32 vcc, v3, v1
	s_or_b64 s[8:9], vcc, s[8:9]
	s_waitcnt lgkmcnt(0)
	v_mul_f32_e32 v5, v8, v5
	ds_write_b32 v4, v5
	v_add_u32_e32 v4, 0x200, v4
	s_andn2_b64 exec, exec, s[8:9]
	s_cbranch_execnz .LBB315_325
.LBB315_326:
	s_or_b64 exec, exec, s[6:7]
	v_cmp_ne_u16_e64 s[6:7], s28, 0
	s_cmp_lg_u64 s[6:7], 0
	s_addc_u32 s21, s13, 0
	s_mul_i32 s6, s21, s22
	v_cmp_eq_u32_e32 vcc, 0, v16
	s_mul_i32 s6, s6, s15
	s_waitcnt lgkmcnt(0)
	s_barrier
	s_and_saveexec_b64 s[8:9], vcc
	s_cbranch_execz .LBB315_328
; %bb.327:
	s_mul_i32 s12, s21, s12
	s_ashr_i32 s7, s6, 31
	s_ashr_i32 s13, s12, 31
	;; [unrolled: 1-line block ×3, first 2 shown]
	s_lshl_b64 s[10:11], s[6:7], 2
	s_lshl_b64 s[12:13], s[12:13], 2
	;; [unrolled: 1-line block ×3, first 2 shown]
	s_add_u32 s7, s24, s12
	s_addc_u32 s12, s25, s13
	s_add_u32 s7, s7, s10
	s_addc_u32 s10, s12, s11
	v_mov_b32_e32 v1, s10
	v_add_co_u32_e32 v4, vcc, s7, v27
	v_addc_co_u32_e32 v5, vcc, v1, v26, vcc
	flat_store_dword v[4:5], v0
	v_add_co_u32_e32 v0, vcc, s7, v25
	v_addc_co_u32_e32 v1, vcc, v1, v24, vcc
	flat_store_dword v[0:1], v2
.LBB315_328:
	s_or_b64 exec, exec, s[8:9]
	v_mov_b32_e32 v3, 0
	v_and_b32_e32 v48, 3, v16
	v_mov_b32_e32 v2, 0
	v_mov_b32_e32 v9, 0
	;; [unrolled: 1-line block ×5, first 2 shown]
	s_and_saveexec_b64 s[8:9], s[4:5]
	s_cbranch_execz .LBB315_632
; %bb.329:
	s_ashr_i32 s19, s18, 31
	v_add_co_u32_e32 v0, vcc, v10, v36
	s_lshl_b64 s[4:5], s[18:19], 2
	v_addc_co_u32_e32 v1, vcc, v11, v37, vcc
	v_and_b32_e32 v3, 0x1f8, v28
	s_getpc_b64 s[10:11]
	s_add_u32 s10, s10, llvm.amdgcn.dynlds.offset.table@rel32@lo+4
	s_addc_u32 s11, s11, llvm.amdgcn.dynlds.offset.table@rel32@hi+12
	v_add_co_u32_e32 v20, vcc, v0, v3
	s_add_u32 s4, s4, s10
	v_addc_co_u32_e32 v21, vcc, 0, v1, vcc
	v_accvgpr_read_b32 v0, a10
	s_addc_u32 s5, s5, s11
	v_accvgpr_read_b32 v1, a11
	s_load_dword s4, s[4:5], 0x0
	v_lshlrev_b64 v[0:1], 2, v[0:1]
	v_add_co_u32_e32 v0, vcc, v34, v0
	v_addc_co_u32_e32 v1, vcc, v35, v1, vcc
	v_add_co_u32_e32 v14, vcc, v14, v0
	v_lshlrev_b32_e32 v0, 5, v48
	v_lshl_or_b32 v0, v29, 7, v0
	v_and_b32_e32 v2, 24, v28
	s_mov_b32 s10, -1
	s_waitcnt lgkmcnt(0)
	v_add_u32_e32 v35, s4, v0
	v_mov_b32_e32 v0, 0
	v_accvgpr_write_b32 a2, v16
	s_mov_b32 s11, 0xffffff
	v_add_u32_e32 v36, -1, v30
	v_mov_b32_e32 v11, 0
	v_accvgpr_read_b32 v13, a8
	v_addc_co_u32_e32 v15, vcc, v15, v1, vcc
	v_add3_u32 v7, s23, v31, v2
	s_mov_b64 s[12:13], 0
	s_movk_i32 s7, 0x80
	s_movk_i32 s15, 0x7f
	s_mov_b32 s19, 0x8000
	s_movk_i32 s28, 0x380
	s_mov_b32 s29, 0x3020706
	s_mov_b32 s30, 0x1000504
	;; [unrolled: 1-line block ×3, first 2 shown]
	v_mov_b32_e32 v37, 0x2000
	v_mov_b32_e32 v1, v0
	;; [unrolled: 1-line block ×6, first 2 shown]
	s_branch .LBB315_331
.LBB315_330:                            ;   in Loop: Header=BB315_331 Depth=1
	s_or_b64 exec, exec, s[4:5]
	v_add_f32_e32 v4, v4, v5
	v_add_f32_e32 v8, v8, v4
	;; [unrolled: 1-line block ×9, first 2 shown]
	;;#ASMSTART
	v_pk_mul_f16 v4, v54, v18;

	;;#ASMEND
	v_add_f32_e32 v1, v1, v6
	;;#ASMSTART
	v_pk_mul_f16 v5, v55, v10;

	;;#ASMEND
	;;#ASMSTART
	v_pk_mul_f16 v6, v40, v19;

	;;#ASMEND
	;; [unrolled: 4-line block ×3, first 2 shown]
	;;#ASMSTART
	v_pk_add_f16 v4, v4, v5;

	;;#ASMEND
	;;#ASMSTART
	v_pk_add_f16 v4, v4, v6;

	;;#ASMEND
	;; [unrolled: 4-line block ×3, first 2 shown]
	v_lshrrev_b32_e32 v5, 16, v4
	v_and_b32_e32 v4, 0xffff, v4
	;;#ASMSTART
	v_cvt_f32_f16 v4, v4;
	;;#ASMEND
	;;#ASMSTART
	v_cvt_f32_f16 v5, v5;
	;;#ASMEND
	v_add_f32_e32 v4, v4, v5
	v_accvgpr_read_b32 v6, a10
	v_add_co_u32_e32 v14, vcc, 8, v14
	v_add_f32_e32 v3, v3, v4
	v_add_u32_e32 v6, 2, v6
	v_addc_co_u32_e32 v15, vcc, 0, v15, vcc
	v_accvgpr_read_b32 v4, a3
	v_cmp_ge_i32_e32 vcc, v6, v4
	v_add_u32_e32 v7, 64, v7
	v_accvgpr_write_b32 a10, v6
	s_or_b64 s[12:13], vcc, s[12:13]
	v_add_u32_e32 v35, 0x100, v35
	s_andn2_b64 exec, exec, s[12:13]
	s_cbranch_execz .LBB315_631
.LBB315_331:                            ; =>This Inner Loop Header: Depth=1
	flat_load_dword v6, v[14:15]
	ds_read2_b64 v[24:27], v35 offset1:1
	ds_read2_b64 v[28:31], v35 offset0:2 offset1:3
	v_accvgpr_read_b32 v10, a6
	s_waitcnt lgkmcnt(0)
	;;#ASMSTART
	v_cvt_f16_f32 v4, v24;

	;;#ASMEND
	;;#ASMSTART
	v_cvt_f16_f32 v5, v25;

	;;#ASMEND
	v_accvgpr_read_b32 v25, a5
	;;#ASMSTART
	v_cvt_f16_f32 v17, v26;

	;;#ASMEND
	;;#ASMSTART
	v_cvt_f16_f32 v34, v27;

	;;#ASMEND
	;; [unrolled: 4-line block ×6, first 2 shown]
	v_accvgpr_read_b32 v24, a4
	flat_load_dword v12, v[24:25]
	v_mov_b32_e32 v24, 0
	s_waitcnt vmcnt(0)
	v_mad_i64_i32 v[18:19], s[4:5], v6, v10, v[20:21]
	flat_load_dwordx2 v[28:29], v[18:19]
	s_waitcnt vmcnt(0) lgkmcnt(0)
	v_cmp_ne_u16_sdwa s[22:23], v28, v11 src0_sel:BYTE_0 src1_sel:DWORD
	s_and_saveexec_b64 s[4:5], s[22:23]
	s_cbranch_execz .LBB315_337
; %bb.332:                              ;   in Loop: Header=BB315_331 Depth=1
	v_cmp_ne_u16_sdwa s[24:25], v28, s7 src0_sel:BYTE_0 src1_sel:DWORD
	v_bfrev_b32_e32 v24, 1
	s_and_saveexec_b64 s[22:23], s[24:25]
	s_cbranch_execz .LBB315_336
; %bb.333:                              ;   in Loop: Header=BB315_331 Depth=1
	v_and_b32_e32 v10, 0x7f, v28
	v_cmp_ne_u32_e32 vcc, s15, v10
	v_mov_b32_e32 v24, 0x7fc02000
	s_and_saveexec_b64 s[24:25], vcc
	s_cbranch_execz .LBB315_335
; %bb.334:                              ;   in Loop: Header=BB315_331 Depth=1
	v_and_b32_e32 v6, 7, v28
	v_ffbh_u32_e32 v6, v6
	v_min_u32_e32 v6, 32, v6
	v_lshrrev_b32_e32 v16, 3, v10
	v_subrev_u32_e32 v22, 28, v6
	v_sub_u32_e32 v6, 29, v6
	v_cmp_gt_u32_e32 vcc, 8, v10
	v_cndmask_b32_e32 v10, 0, v22, vcc
	v_cndmask_b32_e32 v6, v16, v6, vcc
	v_lshlrev_b64 v[24:25], v10, v[28:29]
	v_lshlrev_b32_e32 v16, 8, v28
	v_lshl_add_u32 v6, v6, 10, v37
	v_lshlrev_b32_e32 v10, 7, v24
	v_and_or_b32 v6, v16, s19, v6
	v_and_or_b32 v6, v10, s28, v6
	v_cvt_f32_f16_e32 v24, v6
.LBB315_335:                            ;   in Loop: Header=BB315_331 Depth=1
	s_or_b64 exec, exec, s[24:25]
.LBB315_336:                            ;   in Loop: Header=BB315_331 Depth=1
	s_or_b64 exec, exec, s[22:23]
.LBB315_337:                            ;   in Loop: Header=BB315_331 Depth=1
	s_or_b64 exec, exec, s[4:5]
	v_lshrrev_b16_e32 v10, 8, v28
	v_cmp_ne_u16_e32 vcc, 0, v10
	v_mov_b32_e32 v25, 0
	v_mov_b32_e32 v30, 0
	s_and_saveexec_b64 s[4:5], vcc
	s_cbranch_execz .LBB315_343
; %bb.338:                              ;   in Loop: Header=BB315_331 Depth=1
	v_cmp_ne_u16_e32 vcc, s7, v10
	v_bfrev_b32_e32 v30, 1
	s_and_saveexec_b64 s[22:23], vcc
	s_cbranch_execz .LBB315_342
; %bb.339:                              ;   in Loop: Header=BB315_331 Depth=1
	v_and_b32_e32 v22, 0x7f, v10
	v_cmp_ne_u32_e32 vcc, s15, v22
	v_mov_b32_e32 v30, 0x7fc02000
	s_and_saveexec_b64 s[24:25], vcc
	s_cbranch_execz .LBB315_341
; %bb.340:                              ;   in Loop: Header=BB315_331 Depth=1
	v_and_b32_e32 v6, 7, v10
	v_ffbh_u32_e32 v26, v6
	v_min_u32_e32 v30, 32, v26
	v_subrev_u32_e32 v26, 28, v30
	v_lshlrev_b64 v[26:27], v26, v[10:11]
	v_lshrrev_b32_e32 v16, 3, v22
	v_sub_u32_e32 v27, 29, v30
	v_cmp_gt_u32_e32 vcc, 8, v22
	v_cndmask_b32_e32 v16, v16, v27, vcc
	v_and_b32_e32 v26, 7, v26
	v_lshlrev_b32_e32 v10, 8, v10
	v_lshl_add_u32 v16, v16, 10, v37
	v_cndmask_b32_e32 v6, v6, v26, vcc
	v_and_or_b32 v10, v10, s19, v16
	v_lshl_or_b32 v6, v6, 7, v10
	v_cvt_f32_f16_e32 v30, v6
.LBB315_341:                            ;   in Loop: Header=BB315_331 Depth=1
	s_or_b64 exec, exec, s[24:25]
.LBB315_342:                            ;   in Loop: Header=BB315_331 Depth=1
	s_or_b64 exec, exec, s[22:23]
.LBB315_343:                            ;   in Loop: Header=BB315_331 Depth=1
	s_or_b64 exec, exec, s[4:5]
	v_lshrrev_b32_e32 v10, 16, v28
	v_cmp_ne_u16_sdwa s[22:23], v10, v11 src0_sel:BYTE_0 src1_sel:DWORD
	s_and_saveexec_b64 s[4:5], s[22:23]
	s_cbranch_execz .LBB315_349
; %bb.344:                              ;   in Loop: Header=BB315_331 Depth=1
	v_cmp_ne_u16_sdwa s[24:25], v10, s7 src0_sel:BYTE_0 src1_sel:DWORD
	v_bfrev_b32_e32 v25, 1
	s_and_saveexec_b64 s[22:23], s[24:25]
	s_cbranch_execz .LBB315_348
; %bb.345:                              ;   in Loop: Header=BB315_331 Depth=1
	v_bfe_u32 v22, v28, 16, 7
	v_cmp_ne_u32_e32 vcc, s15, v22
	v_mov_b32_e32 v25, 0x7fc02000
	s_and_saveexec_b64 s[24:25], vcc
	s_cbranch_execz .LBB315_347
; %bb.346:                              ;   in Loop: Header=BB315_331 Depth=1
	v_and_b32_e32 v6, 7, v10
	v_ffbh_u32_e32 v25, v6
	v_min_u32_e32 v25, 32, v25
	v_lshrrev_b32_e32 v16, 3, v22
	v_subrev_u32_e32 v26, 28, v25
	v_sub_u32_e32 v25, 29, v25
	v_cmp_gt_u32_e32 vcc, 8, v22
	v_lshlrev_b64 v[26:27], v26, v[10:11]
	v_cndmask_b32_e32 v16, v16, v25, vcc
	v_and_b32_e32 v26, 7, v26
	v_lshlrev_b32_e32 v10, 8, v10
	v_lshl_add_u32 v16, v16, 10, v37
	v_cndmask_b32_e32 v6, v6, v26, vcc
	v_and_or_b32 v10, v10, s19, v16
	v_lshl_or_b32 v6, v6, 7, v10
	v_cvt_f32_f16_e32 v25, v6
.LBB315_347:                            ;   in Loop: Header=BB315_331 Depth=1
	s_or_b64 exec, exec, s[24:25]
.LBB315_348:                            ;   in Loop: Header=BB315_331 Depth=1
	s_or_b64 exec, exec, s[22:23]
.LBB315_349:                            ;   in Loop: Header=BB315_331 Depth=1
	s_or_b64 exec, exec, s[4:5]
	v_cmp_lt_u32_e32 vcc, s11, v28
	v_mov_b32_e32 v22, 0
	v_mov_b32_e32 v31, 0
	s_and_saveexec_b64 s[4:5], vcc
	s_cbranch_execz .LBB315_355
; %bb.350:                              ;   in Loop: Header=BB315_331 Depth=1
	v_lshrrev_b32_e32 v10, 24, v28
	v_cmp_ne_u32_e32 vcc, s7, v10
	v_bfrev_b32_e32 v31, 1
	s_and_saveexec_b64 s[22:23], vcc
	s_cbranch_execz .LBB315_354
; %bb.351:                              ;   in Loop: Header=BB315_331 Depth=1
	v_and_b32_e32 v26, 0x7f, v10
	v_cmp_ne_u32_e32 vcc, s15, v26
	v_mov_b32_e32 v31, 0x7fc02000
	s_and_saveexec_b64 s[24:25], vcc
	s_cbranch_execz .LBB315_353
; %bb.352:                              ;   in Loop: Header=BB315_331 Depth=1
	v_and_b32_e32 v6, 7, v10
	v_ffbh_u32_e32 v27, v6
	v_min_u32_e32 v27, 32, v27
	v_lshrrev_b32_e32 v16, 3, v26
	v_subrev_u32_e32 v31, 28, v27
	v_sub_u32_e32 v27, 29, v27
	v_cmp_gt_u32_e32 vcc, 8, v26
	v_lshlrev_b64 v[38:39], v31, v[10:11]
	v_cndmask_b32_e32 v16, v16, v27, vcc
	v_and_b32_e32 v31, 7, v38
	v_lshlrev_b32_e32 v10, 8, v10
	v_lshl_add_u32 v16, v16, 10, v37
	v_cndmask_b32_e32 v6, v6, v31, vcc
	v_and_or_b32 v10, v10, s19, v16
	v_lshl_or_b32 v6, v6, 7, v10
	v_cvt_f32_f16_e32 v31, v6
.LBB315_353:                            ;   in Loop: Header=BB315_331 Depth=1
	s_or_b64 exec, exec, s[24:25]
.LBB315_354:                            ;   in Loop: Header=BB315_331 Depth=1
	s_or_b64 exec, exec, s[22:23]
.LBB315_355:                            ;   in Loop: Header=BB315_331 Depth=1
	s_or_b64 exec, exec, s[4:5]
	v_mov_b32_e32 v10, v29
	v_cmp_ne_u16_sdwa s[22:23], v29, v11 src0_sel:BYTE_0 src1_sel:DWORD
	s_and_saveexec_b64 s[4:5], s[22:23]
	s_cbranch_execz .LBB315_361
; %bb.356:                              ;   in Loop: Header=BB315_331 Depth=1
	v_cmp_ne_u16_sdwa s[24:25], v29, s7 src0_sel:BYTE_0 src1_sel:DWORD
	v_bfrev_b32_e32 v22, 1
	s_and_saveexec_b64 s[22:23], s[24:25]
	s_cbranch_execz .LBB315_360
; %bb.357:                              ;   in Loop: Header=BB315_331 Depth=1
	v_and_b32_e32 v26, 0x7f, v29
	v_cmp_ne_u32_e32 vcc, s15, v26
	v_mov_b32_e32 v22, 0x7fc02000
	s_and_saveexec_b64 s[24:25], vcc
	s_cbranch_execz .LBB315_359
; %bb.358:                              ;   in Loop: Header=BB315_331 Depth=1
	v_and_b32_e32 v6, 7, v29
	v_ffbh_u32_e32 v6, v6
	v_min_u32_e32 v6, 32, v6
	v_lshrrev_b32_e32 v16, 3, v26
	v_subrev_u32_e32 v22, 28, v6
	v_sub_u32_e32 v6, 29, v6
	v_cmp_gt_u32_e32 vcc, 8, v26
	v_cndmask_b32_e32 v22, 0, v22, vcc
	v_cndmask_b32_e32 v6, v16, v6, vcc
	v_lshlrev_b64 v[26:27], v22, v[10:11]
	v_lshlrev_b32_e32 v22, 8, v29
	v_lshl_add_u32 v6, v6, 10, v37
	v_lshlrev_b32_e32 v16, 7, v26
	v_and_or_b32 v6, v22, s19, v6
	v_and_or_b32 v6, v16, s28, v6
	v_cvt_f32_f16_e32 v22, v6
.LBB315_359:                            ;   in Loop: Header=BB315_331 Depth=1
	s_or_b64 exec, exec, s[24:25]
.LBB315_360:                            ;   in Loop: Header=BB315_331 Depth=1
	s_or_b64 exec, exec, s[22:23]
.LBB315_361:                            ;   in Loop: Header=BB315_331 Depth=1
	s_or_b64 exec, exec, s[4:5]
	v_lshrrev_b16_e32 v10, 8, v10
	v_cmp_ne_u16_e32 vcc, 0, v10
	v_mov_b32_e32 v26, 0
	v_mov_b32_e32 v27, 0
	s_and_saveexec_b64 s[4:5], vcc
	s_cbranch_execz .LBB315_367
; %bb.362:                              ;   in Loop: Header=BB315_331 Depth=1
	v_cmp_ne_u16_e32 vcc, s7, v10
	v_bfrev_b32_e32 v27, 1
	s_and_saveexec_b64 s[22:23], vcc
	s_cbranch_execz .LBB315_366
; %bb.363:                              ;   in Loop: Header=BB315_331 Depth=1
	v_and_b32_e32 v38, 0x7f, v10
	v_cmp_ne_u32_e32 vcc, s15, v38
	v_mov_b32_e32 v27, 0x7fc02000
	s_and_saveexec_b64 s[24:25], vcc
	s_cbranch_execz .LBB315_365
; %bb.364:                              ;   in Loop: Header=BB315_331 Depth=1
	v_and_b32_e32 v6, 7, v10
	v_ffbh_u32_e32 v27, v6
	v_min_u32_e32 v27, 32, v27
	v_lshrrev_b32_e32 v16, 3, v38
	v_subrev_u32_e32 v39, 28, v27
	v_sub_u32_e32 v27, 29, v27
	v_cmp_gt_u32_e32 vcc, 8, v38
	v_lshlrev_b64 v[50:51], v39, v[10:11]
	v_cndmask_b32_e32 v16, v16, v27, vcc
	v_and_b32_e32 v39, 7, v50
	v_lshlrev_b32_e32 v10, 8, v10
	v_lshl_add_u32 v16, v16, 10, v37
	v_cndmask_b32_e32 v6, v6, v39, vcc
	v_and_or_b32 v10, v10, s19, v16
	v_lshl_or_b32 v6, v6, 7, v10
	v_cvt_f32_f16_e32 v27, v6
.LBB315_365:                            ;   in Loop: Header=BB315_331 Depth=1
	s_or_b64 exec, exec, s[24:25]
.LBB315_366:                            ;   in Loop: Header=BB315_331 Depth=1
	s_or_b64 exec, exec, s[22:23]
.LBB315_367:                            ;   in Loop: Header=BB315_331 Depth=1
	s_or_b64 exec, exec, s[4:5]
	v_lshrrev_b32_e32 v10, 16, v29
	v_cmp_ne_u16_sdwa s[22:23], v10, v11 src0_sel:BYTE_0 src1_sel:DWORD
	s_and_saveexec_b64 s[4:5], s[22:23]
	s_cbranch_execz .LBB315_373
; %bb.368:                              ;   in Loop: Header=BB315_331 Depth=1
	v_cmp_ne_u16_sdwa s[24:25], v10, s7 src0_sel:BYTE_0 src1_sel:DWORD
	v_bfrev_b32_e32 v26, 1
	s_and_saveexec_b64 s[22:23], s[24:25]
	s_cbranch_execz .LBB315_372
; %bb.369:                              ;   in Loop: Header=BB315_331 Depth=1
	v_bfe_u32 v38, v29, 16, 7
	v_cmp_ne_u32_e32 vcc, s15, v38
	v_mov_b32_e32 v26, 0x7fc02000
	s_and_saveexec_b64 s[24:25], vcc
	s_cbranch_execz .LBB315_371
; %bb.370:                              ;   in Loop: Header=BB315_331 Depth=1
	v_and_b32_e32 v6, 7, v10
	v_ffbh_u32_e32 v26, v6
	v_min_u32_e32 v26, 32, v26
	v_lshrrev_b32_e32 v16, 3, v38
	v_subrev_u32_e32 v39, 28, v26
	v_sub_u32_e32 v26, 29, v26
	v_cmp_gt_u32_e32 vcc, 8, v38
	v_lshlrev_b64 v[50:51], v39, v[10:11]
	v_cndmask_b32_e32 v16, v16, v26, vcc
	v_and_b32_e32 v39, 7, v50
	v_lshlrev_b32_e32 v10, 8, v10
	v_lshl_add_u32 v16, v16, 10, v37
	v_cndmask_b32_e32 v6, v6, v39, vcc
	v_and_or_b32 v10, v10, s19, v16
	v_lshl_or_b32 v6, v6, 7, v10
	v_cvt_f32_f16_e32 v26, v6
.LBB315_371:                            ;   in Loop: Header=BB315_331 Depth=1
	s_or_b64 exec, exec, s[24:25]
.LBB315_372:                            ;   in Loop: Header=BB315_331 Depth=1
	s_or_b64 exec, exec, s[22:23]
.LBB315_373:                            ;   in Loop: Header=BB315_331 Depth=1
	s_or_b64 exec, exec, s[4:5]
	v_cmp_lt_u64_e32 vcc, s[10:11], v[28:29]
	v_mov_b32_e32 v28, 0
	s_and_saveexec_b64 s[4:5], vcc
	s_cbranch_execz .LBB315_379
; %bb.374:                              ;   in Loop: Header=BB315_331 Depth=1
	v_lshrrev_b32_e32 v10, 24, v29
	v_cmp_ne_u32_e32 vcc, s7, v10
	v_bfrev_b32_e32 v28, 1
	s_and_saveexec_b64 s[22:23], vcc
	s_cbranch_execz .LBB315_378
; %bb.375:                              ;   in Loop: Header=BB315_331 Depth=1
	v_and_b32_e32 v29, 0x7f, v10
	v_cmp_ne_u32_e32 vcc, s15, v29
	v_mov_b32_e32 v28, 0x7fc02000
	s_and_saveexec_b64 s[24:25], vcc
	s_cbranch_execz .LBB315_377
; %bb.376:                              ;   in Loop: Header=BB315_331 Depth=1
	v_and_b32_e32 v6, 7, v10
	v_ffbh_u32_e32 v28, v6
	v_min_u32_e32 v28, 32, v28
	v_lshrrev_b32_e32 v16, 3, v29
	v_subrev_u32_e32 v38, 28, v28
	v_sub_u32_e32 v28, 29, v28
	v_cmp_gt_u32_e32 vcc, 8, v29
	v_lshlrev_b64 v[38:39], v38, v[10:11]
	v_cndmask_b32_e32 v16, v16, v28, vcc
	v_and_b32_e32 v38, 7, v38
	v_lshlrev_b32_e32 v10, 8, v10
	v_lshl_add_u32 v16, v16, 10, v37
	v_cndmask_b32_e32 v6, v6, v38, vcc
	v_and_or_b32 v10, v10, s19, v16
	v_lshl_or_b32 v6, v6, 7, v10
	v_cvt_f32_f16_e32 v28, v6
.LBB315_377:                            ;   in Loop: Header=BB315_331 Depth=1
	s_or_b64 exec, exec, s[24:25]
.LBB315_378:                            ;   in Loop: Header=BB315_331 Depth=1
	s_or_b64 exec, exec, s[22:23]
.LBB315_379:                            ;   in Loop: Header=BB315_331 Depth=1
	s_or_b64 exec, exec, s[4:5]
	v_pk_mul_f32 v[30:31], v[12:13], v[30:31] op_sel_hi:[0,1]
	v_pk_mul_f32 v[24:25], v[12:13], v[24:25] op_sel_hi:[0,1]
	v_cvt_f16_f32_e32 v6, v31
	v_cvt_f16_f32_e32 v10, v30
	;; [unrolled: 1-line block ×4, first 2 shown]
	v_accvgpr_read_b32 v30, a10
	v_pack_b32_f16 v6, v10, v6
	v_fma_mixlo_f16 v25, v12, v26, 0
	v_pack_b32_f16 v16, v24, v16
	v_perm_b32 v10, v16, v6, s29
	v_perm_b32 v24, v16, v6, s30
	v_fma_mixlo_f16 v6, v12, v27, 0
	v_lshlrev_b32_e32 v6, 16, v6
	v_fma_mixlo_f16 v16, v12, v22, 0
	v_or_b32_sdwa v22, v6, v16 dst_sel:DWORD dst_unused:UNUSED_PAD src0_sel:DWORD src1_sel:WORD_0
	v_fma_mixlo_f16 v6, v12, v28, 0
	v_lshlrev_b32_e32 v6, 16, v6
	v_cmp_eq_u32_e32 vcc, v36, v30
	v_or_b32_sdwa v12, v6, v25 dst_sel:DWORD dst_unused:UNUSED_PAD src0_sel:DWORD src1_sel:WORD_0
	v_add_u32_e32 v53, 1, v7
	v_or_b32_e32 v52, 3, v7
	v_or_b32_e32 v51, 2, v7
	;; [unrolled: 1-line block ×6, first 2 shown]
	s_and_saveexec_b64 s[22:23], vcc
	s_cbranch_execz .LBB315_381
; %bb.380:                              ;   in Loop: Header=BB315_331 Depth=1
	v_lshrrev_b32_e32 v6, 16, v24
	v_cmp_lt_i32_e64 s[4:5], v53, v13
	v_accvgpr_read_b32 v26, a8
	v_cndmask_b32_e64 v6, 0, v6, s[4:5]
	v_cmp_lt_i32_e64 s[4:5], v7, v26
	v_cndmask_b32_e64 v16, 0, v24, s[4:5]
	v_perm_b32 v24, v6, v16, s31
	v_lshrrev_b32_e32 v6, 16, v10
	v_cmp_lt_i32_e64 s[4:5], v52, v13
	v_cndmask_b32_e64 v6, 0, v6, s[4:5]
	v_cmp_lt_i32_e64 s[4:5], v51, v26
	v_cndmask_b32_e64 v10, 0, v10, s[4:5]
	v_perm_b32 v10, v6, v10, s31
	v_lshrrev_b32_e32 v6, 16, v22
	v_cmp_lt_i32_e64 s[4:5], v50, v13
	v_cndmask_b32_e64 v6, 0, v6, s[4:5]
	v_cmp_lt_i32_e64 s[4:5], v49, v26
	v_cndmask_b32_e64 v16, 0, v22, s[4:5]
	v_perm_b32 v22, v6, v16, s31
	v_lshrrev_b32_e32 v6, 16, v12
	v_cmp_lt_i32_e64 s[4:5], v39, v13
	v_cndmask_b32_e64 v6, 0, v6, s[4:5]
	v_cmp_lt_i32_e64 s[4:5], v38, v26
	v_cndmask_b32_e64 v12, 0, v25, s[4:5]
	v_perm_b32 v12, v6, v12, s31
.LBB315_381:                            ;   in Loop: Header=BB315_331 Depth=1
	s_or_b64 exec, exec, s[22:23]
	v_and_b32_e32 v4, 0xffff, v4
	v_lshl_or_b32 v54, v5, 16, v4
	v_and_b32_e32 v4, 0xffff, v17
	v_lshl_or_b32 v55, v34, 16, v4
	;; [unrolled: 2-line block ×4, first 2 shown]
	;;#ASMSTART
	v_pk_mul_f16 v4, v54, v24;

	;;#ASMEND
	;;#ASMSTART
	v_pk_mul_f16 v5, v55, v10;

	;;#ASMEND
	;; [unrolled: 4-line block ×4, first 2 shown]
	;;#ASMSTART
	v_pk_add_f16 v4, v4, v5;

	;;#ASMEND
	;;#ASMSTART
	v_pk_add_f16 v4, v4, v6;

	;;#ASMEND
	;; [unrolled: 4-line block ×3, first 2 shown]
	v_lshrrev_b32_e32 v5, 16, v4
	v_and_b32_e32 v4, 0xffff, v4
	;;#ASMSTART
	v_cvt_f32_f16 v42, v4;
	;;#ASMEND
	;;#ASMSTART
	v_cvt_f32_f16 v43, v5;
	;;#ASMEND
	v_accvgpr_read_b32 v4, a4
	flat_load_dwordx2 v[30:31], v[18:19] offset:512
	v_accvgpr_read_b32 v5, a5
	flat_load_dword v12, v[4:5]
	v_mov_b32_e32 v28, 0
	v_mov_b32_e32 v24, 0
	s_waitcnt vmcnt(0) lgkmcnt(0)
	v_cmp_ne_u16_sdwa s[4:5], v30, v11 src0_sel:BYTE_0 src1_sel:DWORD
	s_and_saveexec_b64 s[22:23], s[4:5]
	s_cbranch_execz .LBB315_387
; %bb.382:                              ;   in Loop: Header=BB315_331 Depth=1
	v_cmp_ne_u16_sdwa s[4:5], v30, s7 src0_sel:BYTE_0 src1_sel:DWORD
	v_bfrev_b32_e32 v24, 1
	s_and_saveexec_b64 s[24:25], s[4:5]
	s_cbranch_execz .LBB315_386
; %bb.383:                              ;   in Loop: Header=BB315_331 Depth=1
	v_and_b32_e32 v4, 0x7f, v30
	v_cmp_ne_u32_e64 s[4:5], s15, v4
	v_mov_b32_e32 v24, 0x7fc02000
	s_and_saveexec_b64 s[26:27], s[4:5]
	s_cbranch_execz .LBB315_385
; %bb.384:                              ;   in Loop: Header=BB315_331 Depth=1
	v_and_b32_e32 v5, 7, v30
	v_ffbh_u32_e32 v5, v5
	v_min_u32_e32 v5, 32, v5
	v_subrev_u32_e32 v10, 28, v5
	v_cmp_gt_u32_e64 s[4:5], 8, v4
	v_lshrrev_b32_e32 v6, 3, v4
	v_cndmask_b32_e64 v4, 0, v10, s[4:5]
	v_sub_u32_e32 v16, 29, v5
	v_lshlrev_b64 v[4:5], v4, v[30:31]
	v_cndmask_b32_e64 v5, v6, v16, s[4:5]
	v_lshlrev_b32_e32 v6, 8, v30
	v_lshl_add_u32 v5, v5, 10, v37
	v_lshlrev_b32_e32 v4, 7, v4
	v_and_or_b32 v5, v6, s19, v5
	v_and_or_b32 v4, v4, s28, v5
	v_cvt_f32_f16_e32 v24, v4
.LBB315_385:                            ;   in Loop: Header=BB315_331 Depth=1
	s_or_b64 exec, exec, s[26:27]
.LBB315_386:                            ;   in Loop: Header=BB315_331 Depth=1
	s_or_b64 exec, exec, s[24:25]
.LBB315_387:                            ;   in Loop: Header=BB315_331 Depth=1
	s_or_b64 exec, exec, s[22:23]
	v_lshrrev_b16_e32 v10, 8, v30
	v_cmp_ne_u16_e64 s[4:5], 0, v10
	s_and_saveexec_b64 s[22:23], s[4:5]
	s_cbranch_execz .LBB315_393
; %bb.388:                              ;   in Loop: Header=BB315_331 Depth=1
	v_cmp_ne_u16_e64 s[4:5], s7, v10
	v_bfrev_b32_e32 v28, 1
	s_and_saveexec_b64 s[24:25], s[4:5]
	s_cbranch_execz .LBB315_392
; %bb.389:                              ;   in Loop: Header=BB315_331 Depth=1
	v_and_b32_e32 v4, 0x7f, v10
	v_cmp_ne_u32_e64 s[4:5], s15, v4
	v_mov_b32_e32 v28, 0x7fc02000
	s_and_saveexec_b64 s[26:27], s[4:5]
	s_cbranch_execz .LBB315_391
; %bb.390:                              ;   in Loop: Header=BB315_331 Depth=1
	v_and_b32_e32 v5, 7, v10
	v_ffbh_u32_e32 v16, v5
	v_min_u32_e32 v16, 32, v16
	v_lshrrev_b32_e32 v6, 3, v4
	v_subrev_u32_e32 v17, 28, v16
	v_sub_u32_e32 v16, 29, v16
	v_cmp_gt_u32_e64 s[4:5], 8, v4
	v_lshlrev_b64 v[26:27], v17, v[10:11]
	v_cndmask_b32_e64 v4, v6, v16, s[4:5]
	v_and_b32_e32 v17, 7, v26
	v_lshlrev_b32_e32 v6, 8, v10
	v_lshl_add_u32 v4, v4, 10, v37
	v_cndmask_b32_e64 v5, v5, v17, s[4:5]
	v_and_or_b32 v4, v6, s19, v4
	v_lshl_or_b32 v4, v5, 7, v4
	v_cvt_f32_f16_e32 v28, v4
.LBB315_391:                            ;   in Loop: Header=BB315_331 Depth=1
	s_or_b64 exec, exec, s[26:27]
.LBB315_392:                            ;   in Loop: Header=BB315_331 Depth=1
	s_or_b64 exec, exec, s[24:25]
.LBB315_393:                            ;   in Loop: Header=BB315_331 Depth=1
	s_or_b64 exec, exec, s[22:23]
	v_lshrrev_b32_e32 v10, 16, v30
	v_cmp_ne_u16_sdwa s[4:5], v10, v11 src0_sel:BYTE_0 src1_sel:DWORD
	v_mov_b32_e32 v29, 0
	v_mov_b32_e32 v25, 0
	s_and_saveexec_b64 s[22:23], s[4:5]
	s_cbranch_execz .LBB315_399
; %bb.394:                              ;   in Loop: Header=BB315_331 Depth=1
	v_cmp_ne_u16_sdwa s[4:5], v10, s7 src0_sel:BYTE_0 src1_sel:DWORD
	v_bfrev_b32_e32 v25, 1
	s_and_saveexec_b64 s[24:25], s[4:5]
	s_cbranch_execz .LBB315_398
; %bb.395:                              ;   in Loop: Header=BB315_331 Depth=1
	v_bfe_u32 v4, v30, 16, 7
	v_cmp_ne_u32_e64 s[4:5], s15, v4
	v_mov_b32_e32 v25, 0x7fc02000
	s_and_saveexec_b64 s[26:27], s[4:5]
	s_cbranch_execz .LBB315_397
; %bb.396:                              ;   in Loop: Header=BB315_331 Depth=1
	v_and_b32_e32 v5, 7, v10
	v_ffbh_u32_e32 v16, v5
	v_min_u32_e32 v16, 32, v16
	v_lshrrev_b32_e32 v6, 3, v4
	v_subrev_u32_e32 v17, 28, v16
	v_sub_u32_e32 v16, 29, v16
	v_cmp_gt_u32_e64 s[4:5], 8, v4
	v_lshlrev_b64 v[26:27], v17, v[10:11]
	v_cndmask_b32_e64 v4, v6, v16, s[4:5]
	v_and_b32_e32 v17, 7, v26
	v_lshlrev_b32_e32 v6, 8, v10
	v_lshl_add_u32 v4, v4, 10, v37
	v_cndmask_b32_e64 v5, v5, v17, s[4:5]
	v_and_or_b32 v4, v6, s19, v4
	v_lshl_or_b32 v4, v5, 7, v4
	v_cvt_f32_f16_e32 v25, v4
.LBB315_397:                            ;   in Loop: Header=BB315_331 Depth=1
	s_or_b64 exec, exec, s[26:27]
.LBB315_398:                            ;   in Loop: Header=BB315_331 Depth=1
	s_or_b64 exec, exec, s[24:25]
.LBB315_399:                            ;   in Loop: Header=BB315_331 Depth=1
	s_or_b64 exec, exec, s[22:23]
	v_cmp_lt_u32_e64 s[4:5], s11, v30
	s_and_saveexec_b64 s[22:23], s[4:5]
	s_cbranch_execz .LBB315_405
; %bb.400:                              ;   in Loop: Header=BB315_331 Depth=1
	v_lshrrev_b32_e32 v10, 24, v30
	v_cmp_ne_u32_e64 s[4:5], s7, v10
	v_bfrev_b32_e32 v29, 1
	s_and_saveexec_b64 s[24:25], s[4:5]
	s_cbranch_execz .LBB315_404
; %bb.401:                              ;   in Loop: Header=BB315_331 Depth=1
	v_and_b32_e32 v4, 0x7f, v10
	v_cmp_ne_u32_e64 s[4:5], s15, v4
	v_mov_b32_e32 v29, 0x7fc02000
	s_and_saveexec_b64 s[26:27], s[4:5]
	s_cbranch_execz .LBB315_403
; %bb.402:                              ;   in Loop: Header=BB315_331 Depth=1
	v_and_b32_e32 v5, 7, v10
	v_ffbh_u32_e32 v16, v5
	v_min_u32_e32 v16, 32, v16
	v_lshrrev_b32_e32 v6, 3, v4
	v_subrev_u32_e32 v17, 28, v16
	v_sub_u32_e32 v16, 29, v16
	v_cmp_gt_u32_e64 s[4:5], 8, v4
	v_lshlrev_b64 v[26:27], v17, v[10:11]
	v_cndmask_b32_e64 v4, v6, v16, s[4:5]
	v_and_b32_e32 v17, 7, v26
	v_lshlrev_b32_e32 v6, 8, v10
	v_lshl_add_u32 v4, v4, 10, v37
	v_cndmask_b32_e64 v5, v5, v17, s[4:5]
	v_and_or_b32 v4, v6, s19, v4
	v_lshl_or_b32 v4, v5, 7, v4
	v_cvt_f32_f16_e32 v29, v4
.LBB315_403:                            ;   in Loop: Header=BB315_331 Depth=1
	s_or_b64 exec, exec, s[26:27]
.LBB315_404:                            ;   in Loop: Header=BB315_331 Depth=1
	s_or_b64 exec, exec, s[24:25]
.LBB315_405:                            ;   in Loop: Header=BB315_331 Depth=1
	s_or_b64 exec, exec, s[22:23]
	v_mov_b32_e32 v10, v31
	v_cmp_ne_u16_sdwa s[4:5], v31, v11 src0_sel:BYTE_0 src1_sel:DWORD
	v_mov_b32_e32 v5, 0
	v_mov_b32_e32 v4, 0
	s_and_saveexec_b64 s[22:23], s[4:5]
	s_cbranch_execz .LBB315_411
; %bb.406:                              ;   in Loop: Header=BB315_331 Depth=1
	v_cmp_ne_u16_sdwa s[4:5], v31, s7 src0_sel:BYTE_0 src1_sel:DWORD
	v_bfrev_b32_e32 v4, 1
	s_and_saveexec_b64 s[24:25], s[4:5]
	s_cbranch_execz .LBB315_410
; %bb.407:                              ;   in Loop: Header=BB315_331 Depth=1
	v_and_b32_e32 v17, 0x7f, v31
	v_cmp_ne_u32_e64 s[4:5], s15, v17
	v_mov_b32_e32 v4, 0x7fc02000
	s_and_saveexec_b64 s[26:27], s[4:5]
	s_cbranch_execz .LBB315_409
; %bb.408:                              ;   in Loop: Header=BB315_331 Depth=1
	v_and_b32_e32 v4, 7, v31
	v_ffbh_u32_e32 v4, v4
	v_min_u32_e32 v4, 32, v4
	v_lshrrev_b32_e32 v6, 3, v17
	v_subrev_u32_e32 v16, 28, v4
	v_sub_u32_e32 v4, 29, v4
	v_cmp_gt_u32_e64 s[4:5], 8, v17
	v_cndmask_b32_e64 v16, 0, v16, s[4:5]
	v_cndmask_b32_e64 v4, v6, v4, s[4:5]
	v_lshlrev_b64 v[26:27], v16, v[10:11]
	v_lshlrev_b32_e32 v16, 8, v31
	v_lshl_add_u32 v4, v4, 10, v37
	v_lshlrev_b32_e32 v6, 7, v26
	v_and_or_b32 v4, v16, s19, v4
	v_and_or_b32 v4, v6, s28, v4
	v_cvt_f32_f16_e32 v4, v4
.LBB315_409:                            ;   in Loop: Header=BB315_331 Depth=1
	s_or_b64 exec, exec, s[26:27]
.LBB315_410:                            ;   in Loop: Header=BB315_331 Depth=1
	s_or_b64 exec, exec, s[24:25]
.LBB315_411:                            ;   in Loop: Header=BB315_331 Depth=1
	s_or_b64 exec, exec, s[22:23]
	v_lshrrev_b16_e32 v10, 8, v10
	v_cmp_ne_u16_e64 s[4:5], 0, v10
	s_and_saveexec_b64 s[22:23], s[4:5]
	s_cbranch_execz .LBB315_417
; %bb.412:                              ;   in Loop: Header=BB315_331 Depth=1
	v_cmp_ne_u16_e64 s[4:5], s7, v10
	v_bfrev_b32_e32 v5, 1
	s_and_saveexec_b64 s[24:25], s[4:5]
	s_cbranch_execz .LBB315_416
; %bb.413:                              ;   in Loop: Header=BB315_331 Depth=1
	v_and_b32_e32 v17, 0x7f, v10
	v_cmp_ne_u32_e64 s[4:5], s15, v17
	v_mov_b32_e32 v5, 0x7fc02000
	s_and_saveexec_b64 s[26:27], s[4:5]
	s_cbranch_execz .LBB315_415
; %bb.414:                              ;   in Loop: Header=BB315_331 Depth=1
	v_and_b32_e32 v5, 7, v10
	v_ffbh_u32_e32 v16, v5
	v_min_u32_e32 v16, 32, v16
	v_lshrrev_b32_e32 v6, 3, v17
	v_subrev_u32_e32 v22, 28, v16
	v_sub_u32_e32 v16, 29, v16
	v_cmp_gt_u32_e64 s[4:5], 8, v17
	v_lshlrev_b64 v[26:27], v22, v[10:11]
	v_cndmask_b32_e64 v6, v6, v16, s[4:5]
	v_and_b32_e32 v22, 7, v26
	v_lshlrev_b32_e32 v10, 8, v10
	v_lshl_add_u32 v6, v6, 10, v37
	v_cndmask_b32_e64 v5, v5, v22, s[4:5]
	v_and_or_b32 v6, v10, s19, v6
	v_lshl_or_b32 v5, v5, 7, v6
	v_cvt_f32_f16_e32 v5, v5
.LBB315_415:                            ;   in Loop: Header=BB315_331 Depth=1
	s_or_b64 exec, exec, s[26:27]
.LBB315_416:                            ;   in Loop: Header=BB315_331 Depth=1
	s_or_b64 exec, exec, s[24:25]
.LBB315_417:                            ;   in Loop: Header=BB315_331 Depth=1
	s_or_b64 exec, exec, s[22:23]
	v_lshrrev_b32_e32 v10, 16, v31
	v_cmp_ne_u16_sdwa s[4:5], v10, v11 src0_sel:BYTE_0 src1_sel:DWORD
	v_mov_b32_e32 v17, 0
	v_mov_b32_e32 v22, 0
	s_and_saveexec_b64 s[22:23], s[4:5]
	s_cbranch_execz .LBB315_423
; %bb.418:                              ;   in Loop: Header=BB315_331 Depth=1
	v_cmp_ne_u16_sdwa s[4:5], v10, s7 src0_sel:BYTE_0 src1_sel:DWORD
	v_bfrev_b32_e32 v22, 1
	s_and_saveexec_b64 s[24:25], s[4:5]
	s_cbranch_execz .LBB315_422
; %bb.419:                              ;   in Loop: Header=BB315_331 Depth=1
	v_bfe_u32 v26, v31, 16, 7
	v_cmp_ne_u32_e64 s[4:5], s15, v26
	v_mov_b32_e32 v22, 0x7fc02000
	s_and_saveexec_b64 s[26:27], s[4:5]
	s_cbranch_execz .LBB315_421
; %bb.420:                              ;   in Loop: Header=BB315_331 Depth=1
	v_and_b32_e32 v6, 7, v10
	v_ffbh_u32_e32 v22, v6
	v_min_u32_e32 v22, 32, v22
	v_lshrrev_b32_e32 v16, 3, v26
	v_subrev_u32_e32 v27, 28, v22
	v_sub_u32_e32 v22, 29, v22
	v_cmp_gt_u32_e64 s[4:5], 8, v26
	v_lshlrev_b64 v[44:45], v27, v[10:11]
	v_cndmask_b32_e64 v16, v16, v22, s[4:5]
	v_and_b32_e32 v27, 7, v44
	v_lshlrev_b32_e32 v10, 8, v10
	v_lshl_add_u32 v16, v16, 10, v37
	v_cndmask_b32_e64 v6, v6, v27, s[4:5]
	v_and_or_b32 v10, v10, s19, v16
	v_lshl_or_b32 v6, v6, 7, v10
	v_cvt_f32_f16_e32 v22, v6
.LBB315_421:                            ;   in Loop: Header=BB315_331 Depth=1
	s_or_b64 exec, exec, s[26:27]
.LBB315_422:                            ;   in Loop: Header=BB315_331 Depth=1
	s_or_b64 exec, exec, s[24:25]
.LBB315_423:                            ;   in Loop: Header=BB315_331 Depth=1
	s_or_b64 exec, exec, s[22:23]
	v_cmp_lt_u64_e64 s[4:5], s[10:11], v[30:31]
	s_and_saveexec_b64 s[22:23], s[4:5]
	s_cbranch_execz .LBB315_429
; %bb.424:                              ;   in Loop: Header=BB315_331 Depth=1
	v_lshrrev_b32_e32 v10, 24, v31
	v_cmp_ne_u32_e64 s[4:5], s7, v10
	v_bfrev_b32_e32 v17, 1
	s_and_saveexec_b64 s[24:25], s[4:5]
	s_cbranch_execz .LBB315_428
; %bb.425:                              ;   in Loop: Header=BB315_331 Depth=1
	v_and_b32_e32 v26, 0x7f, v10
	v_cmp_ne_u32_e64 s[4:5], s15, v26
	v_mov_b32_e32 v17, 0x7fc02000
	s_and_saveexec_b64 s[26:27], s[4:5]
	s_cbranch_execz .LBB315_427
; %bb.426:                              ;   in Loop: Header=BB315_331 Depth=1
	v_and_b32_e32 v6, 7, v10
	v_ffbh_u32_e32 v17, v6
	v_min_u32_e32 v17, 32, v17
	v_lshrrev_b32_e32 v16, 3, v26
	v_subrev_u32_e32 v27, 28, v17
	v_sub_u32_e32 v17, 29, v17
	v_cmp_gt_u32_e64 s[4:5], 8, v26
	v_lshlrev_b64 v[30:31], v27, v[10:11]
	v_cndmask_b32_e64 v16, v16, v17, s[4:5]
	v_and_b32_e32 v27, 7, v30
	v_lshlrev_b32_e32 v10, 8, v10
	v_lshl_add_u32 v16, v16, 10, v37
	v_cndmask_b32_e64 v6, v6, v27, s[4:5]
	v_and_or_b32 v10, v10, s19, v16
	v_lshl_or_b32 v6, v6, 7, v10
	v_cvt_f32_f16_e32 v17, v6
.LBB315_427:                            ;   in Loop: Header=BB315_331 Depth=1
	s_or_b64 exec, exec, s[26:27]
.LBB315_428:                            ;   in Loop: Header=BB315_331 Depth=1
	s_or_b64 exec, exec, s[24:25]
.LBB315_429:                            ;   in Loop: Header=BB315_331 Depth=1
	s_or_b64 exec, exec, s[22:23]
	v_pk_mul_f32 v[26:27], v[12:13], v[28:29] op_sel_hi:[0,1]
	v_pk_mul_f32 v[24:25], v[12:13], v[24:25] op_sel_hi:[0,1]
	v_cvt_f16_f32_e32 v6, v27
	v_cvt_f16_f32_e32 v10, v26
	v_cvt_f16_f32_e32 v16, v25
	v_cvt_f16_f32_e32 v24, v24
	v_fma_mixlo_f16 v5, v12, v5, 0
	v_lshlrev_b32_e32 v5, 16, v5
	v_fma_mixlo_f16 v4, v12, v4, 0
	v_or_b32_sdwa v4, v5, v4 dst_sel:DWORD dst_unused:UNUSED_PAD src0_sel:DWORD src1_sel:WORD_0
	v_fma_mixlo_f16 v5, v12, v17, 0
	v_pack_b32_f16 v6, v10, v6
	v_pack_b32_f16 v16, v24, v16
	v_fma_mixlo_f16 v22, v12, v22, 0
	v_lshlrev_b32_e32 v5, 16, v5
	v_perm_b32 v10, v16, v6, s29
	v_perm_b32 v24, v16, v6, s30
	v_or_b32_sdwa v5, v5, v22 dst_sel:DWORD dst_unused:UNUSED_PAD src0_sel:DWORD src1_sel:WORD_0
	s_and_saveexec_b64 s[22:23], vcc
	s_cbranch_execz .LBB315_431
; %bb.430:                              ;   in Loop: Header=BB315_331 Depth=1
	v_lshrrev_b32_e32 v6, 16, v24
	v_cmp_lt_i32_e64 s[4:5], v53, v13
	v_accvgpr_read_b32 v16, a8
	v_cndmask_b32_e64 v6, 0, v6, s[4:5]
	v_cmp_lt_i32_e64 s[4:5], v7, v16
	v_cndmask_b32_e64 v12, 0, v24, s[4:5]
	v_perm_b32 v24, v6, v12, s31
	v_lshrrev_b32_e32 v6, 16, v10
	v_cmp_lt_i32_e64 s[4:5], v52, v13
	v_cndmask_b32_e64 v6, 0, v6, s[4:5]
	v_cmp_lt_i32_e64 s[4:5], v51, v16
	v_cndmask_b32_e64 v10, 0, v10, s[4:5]
	v_perm_b32 v10, v6, v10, s31
	v_lshrrev_b32_e32 v6, 16, v4
	v_cmp_lt_i32_e64 s[4:5], v50, v13
	v_cndmask_b32_e64 v6, 0, v6, s[4:5]
	v_cmp_lt_i32_e64 s[4:5], v49, v16
	v_cndmask_b32_e64 v4, 0, v4, s[4:5]
	v_lshrrev_b32_e32 v5, 16, v5
	v_cmp_lt_i32_e64 s[4:5], v39, v13
	v_cndmask_b32_e64 v5, 0, v5, s[4:5]
	v_cmp_lt_i32_e64 s[4:5], v38, v16
	v_perm_b32 v4, v6, v4, s31
	v_cndmask_b32_e64 v6, 0, v22, s[4:5]
	v_perm_b32 v5, v5, v6, s31
.LBB315_431:                            ;   in Loop: Header=BB315_331 Depth=1
	s_or_b64 exec, exec, s[22:23]
	;;#ASMSTART
	v_pk_mul_f16 v6, v54, v24;

	;;#ASMEND
	;;#ASMSTART
	v_pk_mul_f16 v10, v55, v10;

	;;#ASMEND
	;; [unrolled: 4-line block ×4, first 2 shown]
	;;#ASMSTART
	v_pk_add_f16 v6, v6, v10;

	;;#ASMEND
	;;#ASMSTART
	v_pk_add_f16 v4, v6, v4;

	;;#ASMEND
	;; [unrolled: 4-line block ×3, first 2 shown]
	v_lshrrev_b32_e32 v5, 16, v4
	v_and_b32_e32 v4, 0xffff, v4
	;;#ASMSTART
	v_cvt_f32_f16 v44, v4;
	;;#ASMEND
	;;#ASMSTART
	v_cvt_f32_f16 v45, v5;
	;;#ASMEND
	v_accvgpr_read_b32 v4, a4
	flat_load_dwordx2 v[30:31], v[18:19] offset:1024
	v_accvgpr_read_b32 v5, a5
	flat_load_dword v12, v[4:5]
	v_mov_b32_e32 v28, 0
	v_mov_b32_e32 v24, 0
	s_waitcnt vmcnt(0) lgkmcnt(0)
	v_cmp_ne_u16_sdwa s[4:5], v30, v11 src0_sel:BYTE_0 src1_sel:DWORD
	s_and_saveexec_b64 s[22:23], s[4:5]
	s_cbranch_execz .LBB315_437
; %bb.432:                              ;   in Loop: Header=BB315_331 Depth=1
	v_cmp_ne_u16_sdwa s[4:5], v30, s7 src0_sel:BYTE_0 src1_sel:DWORD
	v_bfrev_b32_e32 v24, 1
	s_and_saveexec_b64 s[24:25], s[4:5]
	s_cbranch_execz .LBB315_436
; %bb.433:                              ;   in Loop: Header=BB315_331 Depth=1
	v_and_b32_e32 v4, 0x7f, v30
	v_cmp_ne_u32_e64 s[4:5], s15, v4
	v_mov_b32_e32 v24, 0x7fc02000
	s_and_saveexec_b64 s[26:27], s[4:5]
	s_cbranch_execz .LBB315_435
; %bb.434:                              ;   in Loop: Header=BB315_331 Depth=1
	v_and_b32_e32 v5, 7, v30
	v_ffbh_u32_e32 v5, v5
	v_min_u32_e32 v5, 32, v5
	v_subrev_u32_e32 v10, 28, v5
	v_cmp_gt_u32_e64 s[4:5], 8, v4
	v_lshrrev_b32_e32 v6, 3, v4
	v_cndmask_b32_e64 v4, 0, v10, s[4:5]
	v_sub_u32_e32 v16, 29, v5
	v_lshlrev_b64 v[4:5], v4, v[30:31]
	v_cndmask_b32_e64 v5, v6, v16, s[4:5]
	v_lshlrev_b32_e32 v6, 8, v30
	v_lshl_add_u32 v5, v5, 10, v37
	v_lshlrev_b32_e32 v4, 7, v4
	v_and_or_b32 v5, v6, s19, v5
	v_and_or_b32 v4, v4, s28, v5
	v_cvt_f32_f16_e32 v24, v4
.LBB315_435:                            ;   in Loop: Header=BB315_331 Depth=1
	s_or_b64 exec, exec, s[26:27]
.LBB315_436:                            ;   in Loop: Header=BB315_331 Depth=1
	s_or_b64 exec, exec, s[24:25]
.LBB315_437:                            ;   in Loop: Header=BB315_331 Depth=1
	s_or_b64 exec, exec, s[22:23]
	v_lshrrev_b16_e32 v10, 8, v30
	v_cmp_ne_u16_e64 s[4:5], 0, v10
	s_and_saveexec_b64 s[22:23], s[4:5]
	s_cbranch_execz .LBB315_443
; %bb.438:                              ;   in Loop: Header=BB315_331 Depth=1
	v_cmp_ne_u16_e64 s[4:5], s7, v10
	v_bfrev_b32_e32 v28, 1
	s_and_saveexec_b64 s[24:25], s[4:5]
	s_cbranch_execz .LBB315_442
; %bb.439:                              ;   in Loop: Header=BB315_331 Depth=1
	v_and_b32_e32 v4, 0x7f, v10
	v_cmp_ne_u32_e64 s[4:5], s15, v4
	v_mov_b32_e32 v28, 0x7fc02000
	s_and_saveexec_b64 s[26:27], s[4:5]
	s_cbranch_execz .LBB315_441
; %bb.440:                              ;   in Loop: Header=BB315_331 Depth=1
	v_and_b32_e32 v5, 7, v10
	v_ffbh_u32_e32 v16, v5
	v_min_u32_e32 v16, 32, v16
	v_lshrrev_b32_e32 v6, 3, v4
	v_subrev_u32_e32 v17, 28, v16
	v_sub_u32_e32 v16, 29, v16
	v_cmp_gt_u32_e64 s[4:5], 8, v4
	v_lshlrev_b64 v[26:27], v17, v[10:11]
	v_cndmask_b32_e64 v4, v6, v16, s[4:5]
	v_and_b32_e32 v17, 7, v26
	v_lshlrev_b32_e32 v6, 8, v10
	v_lshl_add_u32 v4, v4, 10, v37
	v_cndmask_b32_e64 v5, v5, v17, s[4:5]
	v_and_or_b32 v4, v6, s19, v4
	v_lshl_or_b32 v4, v5, 7, v4
	v_cvt_f32_f16_e32 v28, v4
.LBB315_441:                            ;   in Loop: Header=BB315_331 Depth=1
	s_or_b64 exec, exec, s[26:27]
.LBB315_442:                            ;   in Loop: Header=BB315_331 Depth=1
	s_or_b64 exec, exec, s[24:25]
.LBB315_443:                            ;   in Loop: Header=BB315_331 Depth=1
	s_or_b64 exec, exec, s[22:23]
	v_lshrrev_b32_e32 v10, 16, v30
	v_cmp_ne_u16_sdwa s[4:5], v10, v11 src0_sel:BYTE_0 src1_sel:DWORD
	v_mov_b32_e32 v29, 0
	v_mov_b32_e32 v25, 0
	s_and_saveexec_b64 s[22:23], s[4:5]
	s_cbranch_execz .LBB315_449
; %bb.444:                              ;   in Loop: Header=BB315_331 Depth=1
	v_cmp_ne_u16_sdwa s[4:5], v10, s7 src0_sel:BYTE_0 src1_sel:DWORD
	v_bfrev_b32_e32 v25, 1
	s_and_saveexec_b64 s[24:25], s[4:5]
	s_cbranch_execz .LBB315_448
; %bb.445:                              ;   in Loop: Header=BB315_331 Depth=1
	v_bfe_u32 v4, v30, 16, 7
	v_cmp_ne_u32_e64 s[4:5], s15, v4
	v_mov_b32_e32 v25, 0x7fc02000
	s_and_saveexec_b64 s[26:27], s[4:5]
	s_cbranch_execz .LBB315_447
; %bb.446:                              ;   in Loop: Header=BB315_331 Depth=1
	v_and_b32_e32 v5, 7, v10
	v_ffbh_u32_e32 v16, v5
	v_min_u32_e32 v16, 32, v16
	v_lshrrev_b32_e32 v6, 3, v4
	v_subrev_u32_e32 v17, 28, v16
	v_sub_u32_e32 v16, 29, v16
	v_cmp_gt_u32_e64 s[4:5], 8, v4
	v_lshlrev_b64 v[26:27], v17, v[10:11]
	v_cndmask_b32_e64 v4, v6, v16, s[4:5]
	v_and_b32_e32 v17, 7, v26
	v_lshlrev_b32_e32 v6, 8, v10
	v_lshl_add_u32 v4, v4, 10, v37
	v_cndmask_b32_e64 v5, v5, v17, s[4:5]
	v_and_or_b32 v4, v6, s19, v4
	v_lshl_or_b32 v4, v5, 7, v4
	v_cvt_f32_f16_e32 v25, v4
.LBB315_447:                            ;   in Loop: Header=BB315_331 Depth=1
	s_or_b64 exec, exec, s[26:27]
.LBB315_448:                            ;   in Loop: Header=BB315_331 Depth=1
	s_or_b64 exec, exec, s[24:25]
.LBB315_449:                            ;   in Loop: Header=BB315_331 Depth=1
	s_or_b64 exec, exec, s[22:23]
	v_cmp_lt_u32_e64 s[4:5], s11, v30
	s_and_saveexec_b64 s[22:23], s[4:5]
	s_cbranch_execz .LBB315_455
; %bb.450:                              ;   in Loop: Header=BB315_331 Depth=1
	v_lshrrev_b32_e32 v10, 24, v30
	v_cmp_ne_u32_e64 s[4:5], s7, v10
	v_bfrev_b32_e32 v29, 1
	s_and_saveexec_b64 s[24:25], s[4:5]
	s_cbranch_execz .LBB315_454
; %bb.451:                              ;   in Loop: Header=BB315_331 Depth=1
	v_and_b32_e32 v4, 0x7f, v10
	v_cmp_ne_u32_e64 s[4:5], s15, v4
	v_mov_b32_e32 v29, 0x7fc02000
	s_and_saveexec_b64 s[26:27], s[4:5]
	s_cbranch_execz .LBB315_453
; %bb.452:                              ;   in Loop: Header=BB315_331 Depth=1
	v_and_b32_e32 v5, 7, v10
	v_ffbh_u32_e32 v16, v5
	v_min_u32_e32 v16, 32, v16
	v_lshrrev_b32_e32 v6, 3, v4
	v_subrev_u32_e32 v17, 28, v16
	v_sub_u32_e32 v16, 29, v16
	v_cmp_gt_u32_e64 s[4:5], 8, v4
	v_lshlrev_b64 v[26:27], v17, v[10:11]
	v_cndmask_b32_e64 v4, v6, v16, s[4:5]
	v_and_b32_e32 v17, 7, v26
	v_lshlrev_b32_e32 v6, 8, v10
	v_lshl_add_u32 v4, v4, 10, v37
	v_cndmask_b32_e64 v5, v5, v17, s[4:5]
	v_and_or_b32 v4, v6, s19, v4
	v_lshl_or_b32 v4, v5, 7, v4
	v_cvt_f32_f16_e32 v29, v4
.LBB315_453:                            ;   in Loop: Header=BB315_331 Depth=1
	s_or_b64 exec, exec, s[26:27]
.LBB315_454:                            ;   in Loop: Header=BB315_331 Depth=1
	s_or_b64 exec, exec, s[24:25]
.LBB315_455:                            ;   in Loop: Header=BB315_331 Depth=1
	s_or_b64 exec, exec, s[22:23]
	v_mov_b32_e32 v10, v31
	v_cmp_ne_u16_sdwa s[4:5], v31, v11 src0_sel:BYTE_0 src1_sel:DWORD
	v_mov_b32_e32 v5, 0
	v_mov_b32_e32 v4, 0
	s_and_saveexec_b64 s[22:23], s[4:5]
	s_cbranch_execz .LBB315_461
; %bb.456:                              ;   in Loop: Header=BB315_331 Depth=1
	v_cmp_ne_u16_sdwa s[4:5], v31, s7 src0_sel:BYTE_0 src1_sel:DWORD
	v_bfrev_b32_e32 v4, 1
	s_and_saveexec_b64 s[24:25], s[4:5]
	s_cbranch_execz .LBB315_460
; %bb.457:                              ;   in Loop: Header=BB315_331 Depth=1
	v_and_b32_e32 v17, 0x7f, v31
	v_cmp_ne_u32_e64 s[4:5], s15, v17
	v_mov_b32_e32 v4, 0x7fc02000
	s_and_saveexec_b64 s[26:27], s[4:5]
	s_cbranch_execz .LBB315_459
; %bb.458:                              ;   in Loop: Header=BB315_331 Depth=1
	v_and_b32_e32 v4, 7, v31
	v_ffbh_u32_e32 v4, v4
	v_min_u32_e32 v4, 32, v4
	v_lshrrev_b32_e32 v6, 3, v17
	v_subrev_u32_e32 v16, 28, v4
	v_sub_u32_e32 v4, 29, v4
	v_cmp_gt_u32_e64 s[4:5], 8, v17
	v_cndmask_b32_e64 v16, 0, v16, s[4:5]
	v_cndmask_b32_e64 v4, v6, v4, s[4:5]
	v_lshlrev_b64 v[26:27], v16, v[10:11]
	v_lshlrev_b32_e32 v16, 8, v31
	v_lshl_add_u32 v4, v4, 10, v37
	v_lshlrev_b32_e32 v6, 7, v26
	v_and_or_b32 v4, v16, s19, v4
	v_and_or_b32 v4, v6, s28, v4
	v_cvt_f32_f16_e32 v4, v4
.LBB315_459:                            ;   in Loop: Header=BB315_331 Depth=1
	s_or_b64 exec, exec, s[26:27]
.LBB315_460:                            ;   in Loop: Header=BB315_331 Depth=1
	s_or_b64 exec, exec, s[24:25]
.LBB315_461:                            ;   in Loop: Header=BB315_331 Depth=1
	s_or_b64 exec, exec, s[22:23]
	v_lshrrev_b16_e32 v10, 8, v10
	v_cmp_ne_u16_e64 s[4:5], 0, v10
	s_and_saveexec_b64 s[22:23], s[4:5]
	s_cbranch_execz .LBB315_467
; %bb.462:                              ;   in Loop: Header=BB315_331 Depth=1
	v_cmp_ne_u16_e64 s[4:5], s7, v10
	v_bfrev_b32_e32 v5, 1
	s_and_saveexec_b64 s[24:25], s[4:5]
	s_cbranch_execz .LBB315_466
; %bb.463:                              ;   in Loop: Header=BB315_331 Depth=1
	v_and_b32_e32 v17, 0x7f, v10
	v_cmp_ne_u32_e64 s[4:5], s15, v17
	v_mov_b32_e32 v5, 0x7fc02000
	s_and_saveexec_b64 s[26:27], s[4:5]
	s_cbranch_execz .LBB315_465
; %bb.464:                              ;   in Loop: Header=BB315_331 Depth=1
	v_and_b32_e32 v5, 7, v10
	v_ffbh_u32_e32 v16, v5
	v_min_u32_e32 v16, 32, v16
	v_lshrrev_b32_e32 v6, 3, v17
	v_subrev_u32_e32 v22, 28, v16
	v_sub_u32_e32 v16, 29, v16
	v_cmp_gt_u32_e64 s[4:5], 8, v17
	v_lshlrev_b64 v[26:27], v22, v[10:11]
	v_cndmask_b32_e64 v6, v6, v16, s[4:5]
	v_and_b32_e32 v22, 7, v26
	v_lshlrev_b32_e32 v10, 8, v10
	v_lshl_add_u32 v6, v6, 10, v37
	v_cndmask_b32_e64 v5, v5, v22, s[4:5]
	v_and_or_b32 v6, v10, s19, v6
	v_lshl_or_b32 v5, v5, 7, v6
	v_cvt_f32_f16_e32 v5, v5
.LBB315_465:                            ;   in Loop: Header=BB315_331 Depth=1
	s_or_b64 exec, exec, s[26:27]
.LBB315_466:                            ;   in Loop: Header=BB315_331 Depth=1
	s_or_b64 exec, exec, s[24:25]
.LBB315_467:                            ;   in Loop: Header=BB315_331 Depth=1
	s_or_b64 exec, exec, s[22:23]
	v_lshrrev_b32_e32 v10, 16, v31
	v_cmp_ne_u16_sdwa s[4:5], v10, v11 src0_sel:BYTE_0 src1_sel:DWORD
	v_mov_b32_e32 v17, 0
	v_mov_b32_e32 v22, 0
	s_and_saveexec_b64 s[22:23], s[4:5]
	s_cbranch_execz .LBB315_473
; %bb.468:                              ;   in Loop: Header=BB315_331 Depth=1
	v_cmp_ne_u16_sdwa s[4:5], v10, s7 src0_sel:BYTE_0 src1_sel:DWORD
	v_bfrev_b32_e32 v22, 1
	s_and_saveexec_b64 s[24:25], s[4:5]
	s_cbranch_execz .LBB315_472
; %bb.469:                              ;   in Loop: Header=BB315_331 Depth=1
	v_bfe_u32 v26, v31, 16, 7
	v_cmp_ne_u32_e64 s[4:5], s15, v26
	v_mov_b32_e32 v22, 0x7fc02000
	s_and_saveexec_b64 s[26:27], s[4:5]
	s_cbranch_execz .LBB315_471
; %bb.470:                              ;   in Loop: Header=BB315_331 Depth=1
	v_and_b32_e32 v6, 7, v10
	v_ffbh_u32_e32 v22, v6
	v_min_u32_e32 v22, 32, v22
	v_lshrrev_b32_e32 v16, 3, v26
	v_subrev_u32_e32 v27, 28, v22
	v_sub_u32_e32 v22, 29, v22
	v_cmp_gt_u32_e64 s[4:5], 8, v26
	v_lshlrev_b64 v[46:47], v27, v[10:11]
	v_cndmask_b32_e64 v16, v16, v22, s[4:5]
	v_and_b32_e32 v27, 7, v46
	v_lshlrev_b32_e32 v10, 8, v10
	v_lshl_add_u32 v16, v16, 10, v37
	v_cndmask_b32_e64 v6, v6, v27, s[4:5]
	v_and_or_b32 v10, v10, s19, v16
	v_lshl_or_b32 v6, v6, 7, v10
	v_cvt_f32_f16_e32 v22, v6
.LBB315_471:                            ;   in Loop: Header=BB315_331 Depth=1
	s_or_b64 exec, exec, s[26:27]
.LBB315_472:                            ;   in Loop: Header=BB315_331 Depth=1
	s_or_b64 exec, exec, s[24:25]
.LBB315_473:                            ;   in Loop: Header=BB315_331 Depth=1
	s_or_b64 exec, exec, s[22:23]
	v_cmp_lt_u64_e64 s[4:5], s[10:11], v[30:31]
	s_and_saveexec_b64 s[22:23], s[4:5]
	s_cbranch_execz .LBB315_479
; %bb.474:                              ;   in Loop: Header=BB315_331 Depth=1
	v_lshrrev_b32_e32 v10, 24, v31
	v_cmp_ne_u32_e64 s[4:5], s7, v10
	v_bfrev_b32_e32 v17, 1
	s_and_saveexec_b64 s[24:25], s[4:5]
	s_cbranch_execz .LBB315_478
; %bb.475:                              ;   in Loop: Header=BB315_331 Depth=1
	v_and_b32_e32 v26, 0x7f, v10
	v_cmp_ne_u32_e64 s[4:5], s15, v26
	v_mov_b32_e32 v17, 0x7fc02000
	s_and_saveexec_b64 s[26:27], s[4:5]
	s_cbranch_execz .LBB315_477
; %bb.476:                              ;   in Loop: Header=BB315_331 Depth=1
	v_and_b32_e32 v6, 7, v10
	v_ffbh_u32_e32 v17, v6
	v_min_u32_e32 v17, 32, v17
	v_lshrrev_b32_e32 v16, 3, v26
	v_subrev_u32_e32 v27, 28, v17
	v_sub_u32_e32 v17, 29, v17
	v_cmp_gt_u32_e64 s[4:5], 8, v26
	v_lshlrev_b64 v[30:31], v27, v[10:11]
	v_cndmask_b32_e64 v16, v16, v17, s[4:5]
	v_and_b32_e32 v27, 7, v30
	v_lshlrev_b32_e32 v10, 8, v10
	v_lshl_add_u32 v16, v16, 10, v37
	v_cndmask_b32_e64 v6, v6, v27, s[4:5]
	v_and_or_b32 v10, v10, s19, v16
	v_lshl_or_b32 v6, v6, 7, v10
	v_cvt_f32_f16_e32 v17, v6
.LBB315_477:                            ;   in Loop: Header=BB315_331 Depth=1
	s_or_b64 exec, exec, s[26:27]
.LBB315_478:                            ;   in Loop: Header=BB315_331 Depth=1
	s_or_b64 exec, exec, s[24:25]
.LBB315_479:                            ;   in Loop: Header=BB315_331 Depth=1
	s_or_b64 exec, exec, s[22:23]
	v_pk_mul_f32 v[26:27], v[12:13], v[28:29] op_sel_hi:[0,1]
	v_pk_mul_f32 v[24:25], v[12:13], v[24:25] op_sel_hi:[0,1]
	v_cvt_f16_f32_e32 v6, v27
	v_cvt_f16_f32_e32 v10, v26
	;; [unrolled: 1-line block ×4, first 2 shown]
	v_fma_mixlo_f16 v5, v12, v5, 0
	v_lshlrev_b32_e32 v5, 16, v5
	v_fma_mixlo_f16 v4, v12, v4, 0
	v_or_b32_sdwa v4, v5, v4 dst_sel:DWORD dst_unused:UNUSED_PAD src0_sel:DWORD src1_sel:WORD_0
	v_fma_mixlo_f16 v5, v12, v17, 0
	v_pack_b32_f16 v6, v10, v6
	v_pack_b32_f16 v16, v24, v16
	v_fma_mixlo_f16 v22, v12, v22, 0
	v_lshlrev_b32_e32 v5, 16, v5
	v_perm_b32 v10, v16, v6, s29
	v_perm_b32 v24, v16, v6, s30
	v_or_b32_sdwa v5, v5, v22 dst_sel:DWORD dst_unused:UNUSED_PAD src0_sel:DWORD src1_sel:WORD_0
	s_and_saveexec_b64 s[22:23], vcc
	s_cbranch_execz .LBB315_481
; %bb.480:                              ;   in Loop: Header=BB315_331 Depth=1
	v_lshrrev_b32_e32 v6, 16, v24
	v_cmp_lt_i32_e64 s[4:5], v53, v13
	v_accvgpr_read_b32 v16, a8
	v_cndmask_b32_e64 v6, 0, v6, s[4:5]
	v_cmp_lt_i32_e64 s[4:5], v7, v16
	v_cndmask_b32_e64 v12, 0, v24, s[4:5]
	v_perm_b32 v24, v6, v12, s31
	v_lshrrev_b32_e32 v6, 16, v10
	v_cmp_lt_i32_e64 s[4:5], v52, v13
	v_cndmask_b32_e64 v6, 0, v6, s[4:5]
	v_cmp_lt_i32_e64 s[4:5], v51, v16
	v_cndmask_b32_e64 v10, 0, v10, s[4:5]
	v_perm_b32 v10, v6, v10, s31
	v_lshrrev_b32_e32 v6, 16, v4
	v_cmp_lt_i32_e64 s[4:5], v50, v13
	v_cndmask_b32_e64 v6, 0, v6, s[4:5]
	v_cmp_lt_i32_e64 s[4:5], v49, v16
	v_cndmask_b32_e64 v4, 0, v4, s[4:5]
	v_lshrrev_b32_e32 v5, 16, v5
	v_cmp_lt_i32_e64 s[4:5], v39, v13
	v_cndmask_b32_e64 v5, 0, v5, s[4:5]
	v_cmp_lt_i32_e64 s[4:5], v38, v16
	v_perm_b32 v4, v6, v4, s31
	v_cndmask_b32_e64 v6, 0, v22, s[4:5]
	v_perm_b32 v5, v5, v6, s31
.LBB315_481:                            ;   in Loop: Header=BB315_331 Depth=1
	s_or_b64 exec, exec, s[22:23]
	;;#ASMSTART
	v_pk_mul_f16 v6, v54, v24;

	;;#ASMEND
	;;#ASMSTART
	v_pk_mul_f16 v10, v55, v10;

	;;#ASMEND
	;; [unrolled: 4-line block ×4, first 2 shown]
	;;#ASMSTART
	v_pk_add_f16 v6, v6, v10;

	;;#ASMEND
	;;#ASMSTART
	v_pk_add_f16 v4, v6, v4;

	;;#ASMEND
	;; [unrolled: 4-line block ×3, first 2 shown]
	v_lshrrev_b32_e32 v5, 16, v4
	v_and_b32_e32 v4, 0xffff, v4
	v_accvgpr_read_b32 v17, a5
	;;#ASMSTART
	v_cvt_f32_f16 v4, v4;
	;;#ASMEND
	;;#ASMSTART
	v_cvt_f32_f16 v5, v5;
	;;#ASMEND
	flat_load_dwordx2 v[30:31], v[18:19] offset:1536
	v_accvgpr_read_b32 v16, a4
	flat_load_dword v12, v[16:17]
	v_mov_b32_e32 v28, 0
	v_mov_b32_e32 v24, 0
	s_waitcnt vmcnt(0) lgkmcnt(0)
	v_cmp_ne_u16_sdwa s[4:5], v30, v11 src0_sel:BYTE_0 src1_sel:DWORD
	s_and_saveexec_b64 s[22:23], s[4:5]
	s_cbranch_execz .LBB315_487
; %bb.482:                              ;   in Loop: Header=BB315_331 Depth=1
	v_cmp_ne_u16_sdwa s[4:5], v30, s7 src0_sel:BYTE_0 src1_sel:DWORD
	v_bfrev_b32_e32 v24, 1
	s_and_saveexec_b64 s[24:25], s[4:5]
	s_cbranch_execz .LBB315_486
; %bb.483:                              ;   in Loop: Header=BB315_331 Depth=1
	v_and_b32_e32 v10, 0x7f, v30
	v_cmp_ne_u32_e64 s[4:5], s15, v10
	v_mov_b32_e32 v24, 0x7fc02000
	s_and_saveexec_b64 s[26:27], s[4:5]
	s_cbranch_execz .LBB315_485
; %bb.484:                              ;   in Loop: Header=BB315_331 Depth=1
	v_and_b32_e32 v6, 7, v30
	v_ffbh_u32_e32 v6, v6
	v_min_u32_e32 v6, 32, v6
	v_lshrrev_b32_e32 v16, 3, v10
	v_subrev_u32_e32 v17, 28, v6
	v_sub_u32_e32 v6, 29, v6
	v_cmp_gt_u32_e64 s[4:5], 8, v10
	v_cndmask_b32_e64 v10, 0, v17, s[4:5]
	v_cndmask_b32_e64 v6, v16, v6, s[4:5]
	v_lshlrev_b64 v[24:25], v10, v[30:31]
	v_lshlrev_b32_e32 v16, 8, v30
	v_lshl_add_u32 v6, v6, 10, v37
	v_lshlrev_b32_e32 v10, 7, v24
	v_and_or_b32 v6, v16, s19, v6
	v_and_or_b32 v6, v10, s28, v6
	v_cvt_f32_f16_e32 v24, v6
.LBB315_485:                            ;   in Loop: Header=BB315_331 Depth=1
	s_or_b64 exec, exec, s[26:27]
.LBB315_486:                            ;   in Loop: Header=BB315_331 Depth=1
	s_or_b64 exec, exec, s[24:25]
.LBB315_487:                            ;   in Loop: Header=BB315_331 Depth=1
	s_or_b64 exec, exec, s[22:23]
	v_lshrrev_b16_e32 v10, 8, v30
	v_cmp_ne_u16_e64 s[4:5], 0, v10
	s_and_saveexec_b64 s[22:23], s[4:5]
	s_cbranch_execz .LBB315_493
; %bb.488:                              ;   in Loop: Header=BB315_331 Depth=1
	v_cmp_ne_u16_e64 s[4:5], s7, v10
	v_bfrev_b32_e32 v28, 1
	s_and_saveexec_b64 s[24:25], s[4:5]
	s_cbranch_execz .LBB315_492
; %bb.489:                              ;   in Loop: Header=BB315_331 Depth=1
	v_and_b32_e32 v17, 0x7f, v10
	v_cmp_ne_u32_e64 s[4:5], s15, v17
	v_mov_b32_e32 v28, 0x7fc02000
	s_and_saveexec_b64 s[26:27], s[4:5]
	s_cbranch_execz .LBB315_491
; %bb.490:                              ;   in Loop: Header=BB315_331 Depth=1
	v_and_b32_e32 v6, 7, v10
	v_ffbh_u32_e32 v22, v6
	v_min_u32_e32 v22, 32, v22
	v_lshrrev_b32_e32 v16, 3, v17
	v_subrev_u32_e32 v25, 28, v22
	v_sub_u32_e32 v22, 29, v22
	v_cmp_gt_u32_e64 s[4:5], 8, v17
	v_lshlrev_b64 v[26:27], v25, v[10:11]
	v_cndmask_b32_e64 v16, v16, v22, s[4:5]
	v_and_b32_e32 v25, 7, v26
	v_lshlrev_b32_e32 v10, 8, v10
	v_lshl_add_u32 v16, v16, 10, v37
	v_cndmask_b32_e64 v6, v6, v25, s[4:5]
	v_and_or_b32 v10, v10, s19, v16
	v_lshl_or_b32 v6, v6, 7, v10
	v_cvt_f32_f16_e32 v28, v6
.LBB315_491:                            ;   in Loop: Header=BB315_331 Depth=1
	s_or_b64 exec, exec, s[26:27]
.LBB315_492:                            ;   in Loop: Header=BB315_331 Depth=1
	s_or_b64 exec, exec, s[24:25]
.LBB315_493:                            ;   in Loop: Header=BB315_331 Depth=1
	s_or_b64 exec, exec, s[22:23]
	v_lshrrev_b32_e32 v10, 16, v30
	v_cmp_ne_u16_sdwa s[4:5], v10, v11 src0_sel:BYTE_0 src1_sel:DWORD
	v_mov_b32_e32 v29, 0
	v_mov_b32_e32 v25, 0
	s_and_saveexec_b64 s[22:23], s[4:5]
	s_cbranch_execz .LBB315_499
; %bb.494:                              ;   in Loop: Header=BB315_331 Depth=1
	v_cmp_ne_u16_sdwa s[4:5], v10, s7 src0_sel:BYTE_0 src1_sel:DWORD
	v_bfrev_b32_e32 v25, 1
	s_and_saveexec_b64 s[24:25], s[4:5]
	s_cbranch_execz .LBB315_498
; %bb.495:                              ;   in Loop: Header=BB315_331 Depth=1
	v_bfe_u32 v17, v30, 16, 7
	v_cmp_ne_u32_e64 s[4:5], s15, v17
	v_mov_b32_e32 v25, 0x7fc02000
	s_and_saveexec_b64 s[26:27], s[4:5]
	s_cbranch_execz .LBB315_497
; %bb.496:                              ;   in Loop: Header=BB315_331 Depth=1
	v_and_b32_e32 v6, 7, v10
	v_ffbh_u32_e32 v22, v6
	v_min_u32_e32 v22, 32, v22
	v_lshrrev_b32_e32 v16, 3, v17
	v_subrev_u32_e32 v25, 28, v22
	v_sub_u32_e32 v22, 29, v22
	v_cmp_gt_u32_e64 s[4:5], 8, v17
	v_lshlrev_b64 v[26:27], v25, v[10:11]
	v_cndmask_b32_e64 v16, v16, v22, s[4:5]
	v_and_b32_e32 v25, 7, v26
	v_lshlrev_b32_e32 v10, 8, v10
	v_lshl_add_u32 v16, v16, 10, v37
	v_cndmask_b32_e64 v6, v6, v25, s[4:5]
	v_and_or_b32 v10, v10, s19, v16
	v_lshl_or_b32 v6, v6, 7, v10
	v_cvt_f32_f16_e32 v25, v6
.LBB315_497:                            ;   in Loop: Header=BB315_331 Depth=1
	s_or_b64 exec, exec, s[26:27]
.LBB315_498:                            ;   in Loop: Header=BB315_331 Depth=1
	s_or_b64 exec, exec, s[24:25]
.LBB315_499:                            ;   in Loop: Header=BB315_331 Depth=1
	s_or_b64 exec, exec, s[22:23]
	v_cmp_lt_u32_e64 s[4:5], s11, v30
	s_and_saveexec_b64 s[22:23], s[4:5]
	s_cbranch_execz .LBB315_505
; %bb.500:                              ;   in Loop: Header=BB315_331 Depth=1
	v_lshrrev_b32_e32 v10, 24, v30
	v_cmp_ne_u32_e64 s[4:5], s7, v10
	v_bfrev_b32_e32 v29, 1
	s_and_saveexec_b64 s[24:25], s[4:5]
	s_cbranch_execz .LBB315_504
; %bb.501:                              ;   in Loop: Header=BB315_331 Depth=1
	v_and_b32_e32 v17, 0x7f, v10
	v_cmp_ne_u32_e64 s[4:5], s15, v17
	v_mov_b32_e32 v29, 0x7fc02000
	s_and_saveexec_b64 s[26:27], s[4:5]
	s_cbranch_execz .LBB315_503
; %bb.502:                              ;   in Loop: Header=BB315_331 Depth=1
	v_and_b32_e32 v6, 7, v10
	v_ffbh_u32_e32 v22, v6
	v_min_u32_e32 v22, 32, v22
	v_lshrrev_b32_e32 v16, 3, v17
	v_subrev_u32_e32 v26, 28, v22
	v_sub_u32_e32 v22, 29, v22
	v_cmp_gt_u32_e64 s[4:5], 8, v17
	v_lshlrev_b64 v[26:27], v26, v[10:11]
	v_cndmask_b32_e64 v16, v16, v22, s[4:5]
	v_and_b32_e32 v26, 7, v26
	v_lshlrev_b32_e32 v10, 8, v10
	v_lshl_add_u32 v16, v16, 10, v37
	v_cndmask_b32_e64 v6, v6, v26, s[4:5]
	v_and_or_b32 v10, v10, s19, v16
	v_lshl_or_b32 v6, v6, 7, v10
	v_cvt_f32_f16_e32 v29, v6
.LBB315_503:                            ;   in Loop: Header=BB315_331 Depth=1
	s_or_b64 exec, exec, s[26:27]
.LBB315_504:                            ;   in Loop: Header=BB315_331 Depth=1
	s_or_b64 exec, exec, s[24:25]
.LBB315_505:                            ;   in Loop: Header=BB315_331 Depth=1
	s_or_b64 exec, exec, s[22:23]
	v_mov_b32_e32 v10, v31
	v_cmp_ne_u16_sdwa s[4:5], v31, v11 src0_sel:BYTE_0 src1_sel:DWORD
	v_mov_b32_e32 v22, 0
	v_mov_b32_e32 v17, 0
	s_and_saveexec_b64 s[22:23], s[4:5]
	s_cbranch_execz .LBB315_511
; %bb.506:                              ;   in Loop: Header=BB315_331 Depth=1
	v_cmp_ne_u16_sdwa s[4:5], v31, s7 src0_sel:BYTE_0 src1_sel:DWORD
	v_bfrev_b32_e32 v17, 1
	s_and_saveexec_b64 s[24:25], s[4:5]
	s_cbranch_execz .LBB315_510
; %bb.507:                              ;   in Loop: Header=BB315_331 Depth=1
	v_and_b32_e32 v26, 0x7f, v31
	v_cmp_ne_u32_e64 s[4:5], s15, v26
	v_mov_b32_e32 v17, 0x7fc02000
	s_and_saveexec_b64 s[26:27], s[4:5]
	s_cbranch_execz .LBB315_509
; %bb.508:                              ;   in Loop: Header=BB315_331 Depth=1
	v_and_b32_e32 v6, 7, v31
	v_ffbh_u32_e32 v6, v6
	v_min_u32_e32 v6, 32, v6
	v_lshrrev_b32_e32 v16, 3, v26
	v_subrev_u32_e32 v17, 28, v6
	v_sub_u32_e32 v6, 29, v6
	v_cmp_gt_u32_e64 s[4:5], 8, v26
	v_cndmask_b32_e64 v17, 0, v17, s[4:5]
	v_cndmask_b32_e64 v6, v16, v6, s[4:5]
	v_lshlrev_b64 v[26:27], v17, v[10:11]
	v_lshlrev_b32_e32 v17, 8, v31
	v_lshl_add_u32 v6, v6, 10, v37
	v_lshlrev_b32_e32 v16, 7, v26
	v_and_or_b32 v6, v17, s19, v6
	v_and_or_b32 v6, v16, s28, v6
	v_cvt_f32_f16_e32 v17, v6
.LBB315_509:                            ;   in Loop: Header=BB315_331 Depth=1
	s_or_b64 exec, exec, s[26:27]
.LBB315_510:                            ;   in Loop: Header=BB315_331 Depth=1
	s_or_b64 exec, exec, s[24:25]
.LBB315_511:                            ;   in Loop: Header=BB315_331 Depth=1
	s_or_b64 exec, exec, s[22:23]
	v_lshrrev_b16_e32 v10, 8, v10
	v_cmp_ne_u16_e64 s[4:5], 0, v10
	s_and_saveexec_b64 s[22:23], s[4:5]
	s_cbranch_execz .LBB315_517
; %bb.512:                              ;   in Loop: Header=BB315_331 Depth=1
	v_cmp_ne_u16_e64 s[4:5], s7, v10
	v_bfrev_b32_e32 v22, 1
	s_and_saveexec_b64 s[24:25], s[4:5]
	s_cbranch_execz .LBB315_516
; %bb.513:                              ;   in Loop: Header=BB315_331 Depth=1
	v_and_b32_e32 v26, 0x7f, v10
	v_cmp_ne_u32_e64 s[4:5], s15, v26
	v_mov_b32_e32 v22, 0x7fc02000
	s_and_saveexec_b64 s[26:27], s[4:5]
	s_cbranch_execz .LBB315_515
; %bb.514:                              ;   in Loop: Header=BB315_331 Depth=1
	v_and_b32_e32 v6, 7, v10
	v_ffbh_u32_e32 v22, v6
	v_min_u32_e32 v22, 32, v22
	v_lshrrev_b32_e32 v16, 3, v26
	v_subrev_u32_e32 v27, 28, v22
	v_sub_u32_e32 v22, 29, v22
	v_cmp_gt_u32_e64 s[4:5], 8, v26
	v_lshlrev_b64 v[46:47], v27, v[10:11]
	v_cndmask_b32_e64 v16, v16, v22, s[4:5]
	v_and_b32_e32 v27, 7, v46
	v_lshlrev_b32_e32 v10, 8, v10
	v_lshl_add_u32 v16, v16, 10, v37
	v_cndmask_b32_e64 v6, v6, v27, s[4:5]
	v_and_or_b32 v10, v10, s19, v16
	v_lshl_or_b32 v6, v6, 7, v10
	v_cvt_f32_f16_e32 v22, v6
.LBB315_515:                            ;   in Loop: Header=BB315_331 Depth=1
	s_or_b64 exec, exec, s[26:27]
.LBB315_516:                            ;   in Loop: Header=BB315_331 Depth=1
	s_or_b64 exec, exec, s[24:25]
.LBB315_517:                            ;   in Loop: Header=BB315_331 Depth=1
	s_or_b64 exec, exec, s[22:23]
	v_lshrrev_b32_e32 v10, 16, v31
	v_cmp_ne_u16_sdwa s[4:5], v10, v11 src0_sel:BYTE_0 src1_sel:DWORD
	v_mov_b32_e32 v26, 0
	v_mov_b32_e32 v27, 0
	s_and_saveexec_b64 s[22:23], s[4:5]
	s_cbranch_execz .LBB315_523
; %bb.518:                              ;   in Loop: Header=BB315_331 Depth=1
	v_cmp_ne_u16_sdwa s[4:5], v10, s7 src0_sel:BYTE_0 src1_sel:DWORD
	v_bfrev_b32_e32 v27, 1
	s_and_saveexec_b64 s[24:25], s[4:5]
	s_cbranch_execz .LBB315_522
; %bb.519:                              ;   in Loop: Header=BB315_331 Depth=1
	v_bfe_u32 v34, v31, 16, 7
	v_cmp_ne_u32_e64 s[4:5], s15, v34
	v_mov_b32_e32 v27, 0x7fc02000
	s_and_saveexec_b64 s[26:27], s[4:5]
	s_cbranch_execz .LBB315_521
; %bb.520:                              ;   in Loop: Header=BB315_331 Depth=1
	v_and_b32_e32 v6, 7, v10
	v_ffbh_u32_e32 v27, v6
	v_min_u32_e32 v27, 32, v27
	v_lshrrev_b32_e32 v16, 3, v34
	v_subrev_u32_e32 v46, 28, v27
	v_sub_u32_e32 v27, 29, v27
	v_cmp_gt_u32_e64 s[4:5], 8, v34
	v_lshlrev_b64 v[46:47], v46, v[10:11]
	v_cndmask_b32_e64 v16, v16, v27, s[4:5]
	v_and_b32_e32 v46, 7, v46
	v_lshlrev_b32_e32 v10, 8, v10
	v_lshl_add_u32 v16, v16, 10, v37
	v_cndmask_b32_e64 v6, v6, v46, s[4:5]
	v_and_or_b32 v10, v10, s19, v16
	v_lshl_or_b32 v6, v6, 7, v10
	v_cvt_f32_f16_e32 v27, v6
.LBB315_521:                            ;   in Loop: Header=BB315_331 Depth=1
	s_or_b64 exec, exec, s[26:27]
.LBB315_522:                            ;   in Loop: Header=BB315_331 Depth=1
	s_or_b64 exec, exec, s[24:25]
.LBB315_523:                            ;   in Loop: Header=BB315_331 Depth=1
	s_or_b64 exec, exec, s[22:23]
	v_cmp_lt_u64_e64 s[4:5], s[10:11], v[30:31]
	s_and_saveexec_b64 s[22:23], s[4:5]
	s_cbranch_execz .LBB315_529
; %bb.524:                              ;   in Loop: Header=BB315_331 Depth=1
	v_lshrrev_b32_e32 v10, 24, v31
	v_cmp_ne_u32_e64 s[4:5], s7, v10
	v_bfrev_b32_e32 v26, 1
	s_and_saveexec_b64 s[24:25], s[4:5]
	s_cbranch_execz .LBB315_528
; %bb.525:                              ;   in Loop: Header=BB315_331 Depth=1
	v_and_b32_e32 v30, 0x7f, v10
	v_cmp_ne_u32_e64 s[4:5], s15, v30
	v_mov_b32_e32 v26, 0x7fc02000
	s_and_saveexec_b64 s[26:27], s[4:5]
	s_cbranch_execz .LBB315_527
; %bb.526:                              ;   in Loop: Header=BB315_331 Depth=1
	v_and_b32_e32 v6, 7, v10
	v_ffbh_u32_e32 v26, v6
	v_min_u32_e32 v26, 32, v26
	v_lshrrev_b32_e32 v16, 3, v30
	v_subrev_u32_e32 v31, 28, v26
	v_sub_u32_e32 v26, 29, v26
	v_cmp_gt_u32_e64 s[4:5], 8, v30
	v_lshlrev_b64 v[46:47], v31, v[10:11]
	v_cndmask_b32_e64 v16, v16, v26, s[4:5]
	v_and_b32_e32 v31, 7, v46
	v_lshlrev_b32_e32 v10, 8, v10
	v_lshl_add_u32 v16, v16, 10, v37
	v_cndmask_b32_e64 v6, v6, v31, s[4:5]
	v_and_or_b32 v10, v10, s19, v16
	v_lshl_or_b32 v6, v6, 7, v10
	v_cvt_f32_f16_e32 v26, v6
.LBB315_527:                            ;   in Loop: Header=BB315_331 Depth=1
	s_or_b64 exec, exec, s[26:27]
.LBB315_528:                            ;   in Loop: Header=BB315_331 Depth=1
	s_or_b64 exec, exec, s[24:25]
.LBB315_529:                            ;   in Loop: Header=BB315_331 Depth=1
	s_or_b64 exec, exec, s[22:23]
	v_pk_mul_f32 v[28:29], v[12:13], v[28:29] op_sel_hi:[0,1]
	v_pk_mul_f32 v[24:25], v[12:13], v[24:25] op_sel_hi:[0,1]
	v_cvt_f16_f32_e32 v6, v29
	v_cvt_f16_f32_e32 v10, v28
	;; [unrolled: 1-line block ×4, first 2 shown]
	v_pack_b32_f16 v6, v10, v6
	v_pack_b32_f16 v16, v24, v16
	v_perm_b32 v10, v16, v6, s29
	v_perm_b32 v24, v16, v6, s30
	v_fma_mixlo_f16 v6, v12, v22, 0
	v_lshlrev_b32_e32 v6, 16, v6
	v_fma_mixlo_f16 v16, v12, v17, 0
	v_or_b32_sdwa v17, v6, v16 dst_sel:DWORD dst_unused:UNUSED_PAD src0_sel:DWORD src1_sel:WORD_0
	v_fma_mixlo_f16 v6, v12, v26, 0
	v_fma_mixlo_f16 v22, v12, v27, 0
	v_lshlrev_b32_e32 v6, 16, v6
	v_or_b32_sdwa v12, v6, v22 dst_sel:DWORD dst_unused:UNUSED_PAD src0_sel:DWORD src1_sel:WORD_0
	s_and_saveexec_b64 s[22:23], vcc
	s_cbranch_execz .LBB315_531
; %bb.530:                              ;   in Loop: Header=BB315_331 Depth=1
	v_lshrrev_b32_e32 v6, 16, v24
	v_cmp_lt_i32_e64 s[4:5], v53, v13
	v_accvgpr_read_b32 v26, a8
	v_cndmask_b32_e64 v6, 0, v6, s[4:5]
	v_cmp_lt_i32_e64 s[4:5], v7, v26
	v_cndmask_b32_e64 v16, 0, v24, s[4:5]
	v_perm_b32 v24, v6, v16, s31
	v_lshrrev_b32_e32 v6, 16, v10
	v_cmp_lt_i32_e64 s[4:5], v52, v13
	v_cndmask_b32_e64 v6, 0, v6, s[4:5]
	v_cmp_lt_i32_e64 s[4:5], v51, v26
	v_cndmask_b32_e64 v10, 0, v10, s[4:5]
	v_perm_b32 v10, v6, v10, s31
	v_lshrrev_b32_e32 v6, 16, v17
	v_cmp_lt_i32_e64 s[4:5], v50, v13
	v_cndmask_b32_e64 v6, 0, v6, s[4:5]
	v_cmp_lt_i32_e64 s[4:5], v49, v26
	v_cndmask_b32_e64 v16, 0, v17, s[4:5]
	v_perm_b32 v17, v6, v16, s31
	v_lshrrev_b32_e32 v6, 16, v12
	v_cmp_lt_i32_e64 s[4:5], v39, v13
	v_cndmask_b32_e64 v6, 0, v6, s[4:5]
	v_cmp_lt_i32_e64 s[4:5], v38, v26
	v_cndmask_b32_e64 v12, 0, v22, s[4:5]
	v_perm_b32 v12, v6, v12, s31
.LBB315_531:                            ;   in Loop: Header=BB315_331 Depth=1
	s_or_b64 exec, exec, s[22:23]
	;;#ASMSTART
	v_pk_mul_f16 v6, v54, v24;

	;;#ASMEND
	;;#ASMSTART
	v_pk_mul_f16 v10, v55, v10;

	;;#ASMEND
	;; [unrolled: 4-line block ×4, first 2 shown]
	;;#ASMSTART
	v_pk_add_f16 v6, v6, v10;

	;;#ASMEND
	;;#ASMSTART
	v_pk_add_f16 v6, v6, v16;

	;;#ASMEND
	;; [unrolled: 4-line block ×3, first 2 shown]
	v_accvgpr_read_b32 v25, a5
	v_lshrrev_b32_e32 v10, 16, v6
	v_and_b32_e32 v6, 0xffff, v6
	;;#ASMSTART
	v_cvt_f32_f16 v17, v6;
	;;#ASMEND
	;;#ASMSTART
	v_cvt_f32_f16 v46, v10;
	;;#ASMEND
	flat_load_dwordx2 v[30:31], v[18:19] offset:2048
	v_accvgpr_read_b32 v24, a4
	flat_load_dword v12, v[24:25]
	v_mov_b32_e32 v28, 0
	v_mov_b32_e32 v24, 0
	s_waitcnt vmcnt(0) lgkmcnt(0)
	v_cmp_ne_u16_sdwa s[4:5], v30, v11 src0_sel:BYTE_0 src1_sel:DWORD
	s_and_saveexec_b64 s[22:23], s[4:5]
	s_cbranch_execz .LBB315_537
; %bb.532:                              ;   in Loop: Header=BB315_331 Depth=1
	v_cmp_ne_u16_sdwa s[4:5], v30, s7 src0_sel:BYTE_0 src1_sel:DWORD
	v_bfrev_b32_e32 v24, 1
	s_and_saveexec_b64 s[24:25], s[4:5]
	s_cbranch_execz .LBB315_536
; %bb.533:                              ;   in Loop: Header=BB315_331 Depth=1
	v_and_b32_e32 v10, 0x7f, v30
	v_cmp_ne_u32_e64 s[4:5], s15, v10
	v_mov_b32_e32 v24, 0x7fc02000
	s_and_saveexec_b64 s[26:27], s[4:5]
	s_cbranch_execz .LBB315_535
; %bb.534:                              ;   in Loop: Header=BB315_331 Depth=1
	v_and_b32_e32 v6, 7, v30
	v_ffbh_u32_e32 v6, v6
	v_min_u32_e32 v6, 32, v6
	v_lshrrev_b32_e32 v16, 3, v10
	v_subrev_u32_e32 v22, 28, v6
	v_sub_u32_e32 v6, 29, v6
	v_cmp_gt_u32_e64 s[4:5], 8, v10
	v_cndmask_b32_e64 v10, 0, v22, s[4:5]
	v_cndmask_b32_e64 v6, v16, v6, s[4:5]
	v_lshlrev_b64 v[24:25], v10, v[30:31]
	v_lshlrev_b32_e32 v16, 8, v30
	v_lshl_add_u32 v6, v6, 10, v37
	v_lshlrev_b32_e32 v10, 7, v24
	v_and_or_b32 v6, v16, s19, v6
	v_and_or_b32 v6, v10, s28, v6
	v_cvt_f32_f16_e32 v24, v6
.LBB315_535:                            ;   in Loop: Header=BB315_331 Depth=1
	s_or_b64 exec, exec, s[26:27]
.LBB315_536:                            ;   in Loop: Header=BB315_331 Depth=1
	s_or_b64 exec, exec, s[24:25]
.LBB315_537:                            ;   in Loop: Header=BB315_331 Depth=1
	s_or_b64 exec, exec, s[22:23]
	v_lshrrev_b16_e32 v10, 8, v30
	v_cmp_ne_u16_e64 s[4:5], 0, v10
	s_and_saveexec_b64 s[22:23], s[4:5]
	s_cbranch_execz .LBB315_543
; %bb.538:                              ;   in Loop: Header=BB315_331 Depth=1
	v_cmp_ne_u16_e64 s[4:5], s7, v10
	v_bfrev_b32_e32 v28, 1
	s_and_saveexec_b64 s[24:25], s[4:5]
	s_cbranch_execz .LBB315_542
; %bb.539:                              ;   in Loop: Header=BB315_331 Depth=1
	v_and_b32_e32 v22, 0x7f, v10
	v_cmp_ne_u32_e64 s[4:5], s15, v22
	v_mov_b32_e32 v28, 0x7fc02000
	s_and_saveexec_b64 s[26:27], s[4:5]
	s_cbranch_execz .LBB315_541
; %bb.540:                              ;   in Loop: Header=BB315_331 Depth=1
	v_and_b32_e32 v6, 7, v10
	v_ffbh_u32_e32 v25, v6
	v_min_u32_e32 v25, 32, v25
	v_lshrrev_b32_e32 v16, 3, v22
	v_subrev_u32_e32 v26, 28, v25
	v_sub_u32_e32 v25, 29, v25
	v_cmp_gt_u32_e64 s[4:5], 8, v22
	v_lshlrev_b64 v[26:27], v26, v[10:11]
	v_cndmask_b32_e64 v16, v16, v25, s[4:5]
	v_and_b32_e32 v26, 7, v26
	v_lshlrev_b32_e32 v10, 8, v10
	v_lshl_add_u32 v16, v16, 10, v37
	v_cndmask_b32_e64 v6, v6, v26, s[4:5]
	v_and_or_b32 v10, v10, s19, v16
	v_lshl_or_b32 v6, v6, 7, v10
	v_cvt_f32_f16_e32 v28, v6
.LBB315_541:                            ;   in Loop: Header=BB315_331 Depth=1
	s_or_b64 exec, exec, s[26:27]
.LBB315_542:                            ;   in Loop: Header=BB315_331 Depth=1
	s_or_b64 exec, exec, s[24:25]
.LBB315_543:                            ;   in Loop: Header=BB315_331 Depth=1
	s_or_b64 exec, exec, s[22:23]
	v_lshrrev_b32_e32 v10, 16, v30
	v_cmp_ne_u16_sdwa s[4:5], v10, v11 src0_sel:BYTE_0 src1_sel:DWORD
	v_mov_b32_e32 v29, 0
	v_mov_b32_e32 v25, 0
	s_and_saveexec_b64 s[22:23], s[4:5]
	s_cbranch_execz .LBB315_549
; %bb.544:                              ;   in Loop: Header=BB315_331 Depth=1
	v_cmp_ne_u16_sdwa s[4:5], v10, s7 src0_sel:BYTE_0 src1_sel:DWORD
	v_bfrev_b32_e32 v25, 1
	s_and_saveexec_b64 s[24:25], s[4:5]
	s_cbranch_execz .LBB315_548
; %bb.545:                              ;   in Loop: Header=BB315_331 Depth=1
	v_bfe_u32 v22, v30, 16, 7
	v_cmp_ne_u32_e64 s[4:5], s15, v22
	v_mov_b32_e32 v25, 0x7fc02000
	s_and_saveexec_b64 s[26:27], s[4:5]
	s_cbranch_execz .LBB315_547
; %bb.546:                              ;   in Loop: Header=BB315_331 Depth=1
	v_and_b32_e32 v6, 7, v10
	v_ffbh_u32_e32 v25, v6
	v_min_u32_e32 v25, 32, v25
	v_lshrrev_b32_e32 v16, 3, v22
	v_subrev_u32_e32 v26, 28, v25
	v_sub_u32_e32 v25, 29, v25
	v_cmp_gt_u32_e64 s[4:5], 8, v22
	v_lshlrev_b64 v[26:27], v26, v[10:11]
	v_cndmask_b32_e64 v16, v16, v25, s[4:5]
	v_and_b32_e32 v26, 7, v26
	v_lshlrev_b32_e32 v10, 8, v10
	v_lshl_add_u32 v16, v16, 10, v37
	v_cndmask_b32_e64 v6, v6, v26, s[4:5]
	v_and_or_b32 v10, v10, s19, v16
	v_lshl_or_b32 v6, v6, 7, v10
	v_cvt_f32_f16_e32 v25, v6
.LBB315_547:                            ;   in Loop: Header=BB315_331 Depth=1
	s_or_b64 exec, exec, s[26:27]
.LBB315_548:                            ;   in Loop: Header=BB315_331 Depth=1
	s_or_b64 exec, exec, s[24:25]
.LBB315_549:                            ;   in Loop: Header=BB315_331 Depth=1
	s_or_b64 exec, exec, s[22:23]
	v_cmp_lt_u32_e64 s[4:5], s11, v30
	s_and_saveexec_b64 s[22:23], s[4:5]
	s_cbranch_execz .LBB315_555
; %bb.550:                              ;   in Loop: Header=BB315_331 Depth=1
	v_lshrrev_b32_e32 v10, 24, v30
	v_cmp_ne_u32_e64 s[4:5], s7, v10
	v_bfrev_b32_e32 v29, 1
	s_and_saveexec_b64 s[24:25], s[4:5]
	s_cbranch_execz .LBB315_554
; %bb.551:                              ;   in Loop: Header=BB315_331 Depth=1
	v_and_b32_e32 v22, 0x7f, v10
	v_cmp_ne_u32_e64 s[4:5], s15, v22
	v_mov_b32_e32 v29, 0x7fc02000
	s_and_saveexec_b64 s[26:27], s[4:5]
	s_cbranch_execz .LBB315_553
; %bb.552:                              ;   in Loop: Header=BB315_331 Depth=1
	v_and_b32_e32 v6, 7, v10
	v_ffbh_u32_e32 v26, v6
	v_min_u32_e32 v29, 32, v26
	v_subrev_u32_e32 v26, 28, v29
	v_lshlrev_b64 v[26:27], v26, v[10:11]
	v_lshrrev_b32_e32 v16, 3, v22
	v_sub_u32_e32 v27, 29, v29
	v_cmp_gt_u32_e64 s[4:5], 8, v22
	v_cndmask_b32_e64 v16, v16, v27, s[4:5]
	v_and_b32_e32 v26, 7, v26
	v_lshlrev_b32_e32 v10, 8, v10
	v_lshl_add_u32 v16, v16, 10, v37
	v_cndmask_b32_e64 v6, v6, v26, s[4:5]
	v_and_or_b32 v10, v10, s19, v16
	v_lshl_or_b32 v6, v6, 7, v10
	v_cvt_f32_f16_e32 v29, v6
.LBB315_553:                            ;   in Loop: Header=BB315_331 Depth=1
	s_or_b64 exec, exec, s[26:27]
.LBB315_554:                            ;   in Loop: Header=BB315_331 Depth=1
	s_or_b64 exec, exec, s[24:25]
.LBB315_555:                            ;   in Loop: Header=BB315_331 Depth=1
	s_or_b64 exec, exec, s[22:23]
	v_mov_b32_e32 v10, v31
	v_cmp_ne_u16_sdwa s[4:5], v31, v11 src0_sel:BYTE_0 src1_sel:DWORD
	v_mov_b32_e32 v26, 0
	v_mov_b32_e32 v22, 0
	s_and_saveexec_b64 s[22:23], s[4:5]
	s_cbranch_execz .LBB315_561
; %bb.556:                              ;   in Loop: Header=BB315_331 Depth=1
	v_cmp_ne_u16_sdwa s[4:5], v31, s7 src0_sel:BYTE_0 src1_sel:DWORD
	v_bfrev_b32_e32 v22, 1
	s_and_saveexec_b64 s[24:25], s[4:5]
	s_cbranch_execz .LBB315_560
; %bb.557:                              ;   in Loop: Header=BB315_331 Depth=1
	v_and_b32_e32 v27, 0x7f, v31
	v_cmp_ne_u32_e64 s[4:5], s15, v27
	v_mov_b32_e32 v22, 0x7fc02000
	s_and_saveexec_b64 s[26:27], s[4:5]
	s_cbranch_execz .LBB315_559
; %bb.558:                              ;   in Loop: Header=BB315_331 Depth=1
	v_and_b32_e32 v6, 7, v31
	v_ffbh_u32_e32 v6, v6
	v_min_u32_e32 v6, 32, v6
	v_lshrrev_b32_e32 v16, 3, v27
	v_subrev_u32_e32 v22, 28, v6
	v_sub_u32_e32 v6, 29, v6
	v_cmp_gt_u32_e64 s[4:5], 8, v27
	v_cndmask_b32_e64 v22, 0, v22, s[4:5]
	v_cndmask_b32_e64 v6, v16, v6, s[4:5]
	v_lshlrev_b64 v[56:57], v22, v[10:11]
	v_lshlrev_b32_e32 v22, 8, v31
	v_lshl_add_u32 v6, v6, 10, v37
	v_lshlrev_b32_e32 v16, 7, v56
	v_and_or_b32 v6, v22, s19, v6
	v_and_or_b32 v6, v16, s28, v6
	v_cvt_f32_f16_e32 v22, v6
.LBB315_559:                            ;   in Loop: Header=BB315_331 Depth=1
	s_or_b64 exec, exec, s[26:27]
.LBB315_560:                            ;   in Loop: Header=BB315_331 Depth=1
	s_or_b64 exec, exec, s[24:25]
.LBB315_561:                            ;   in Loop: Header=BB315_331 Depth=1
	s_or_b64 exec, exec, s[22:23]
	v_lshrrev_b16_e32 v10, 8, v10
	v_cmp_ne_u16_e64 s[4:5], 0, v10
	s_and_saveexec_b64 s[22:23], s[4:5]
	s_cbranch_execz .LBB315_567
; %bb.562:                              ;   in Loop: Header=BB315_331 Depth=1
	v_cmp_ne_u16_e64 s[4:5], s7, v10
	v_bfrev_b32_e32 v26, 1
	s_and_saveexec_b64 s[24:25], s[4:5]
	s_cbranch_execz .LBB315_566
; %bb.563:                              ;   in Loop: Header=BB315_331 Depth=1
	v_and_b32_e32 v27, 0x7f, v10
	v_cmp_ne_u32_e64 s[4:5], s15, v27
	v_mov_b32_e32 v26, 0x7fc02000
	s_and_saveexec_b64 s[26:27], s[4:5]
	s_cbranch_execz .LBB315_565
; %bb.564:                              ;   in Loop: Header=BB315_331 Depth=1
	v_and_b32_e32 v6, 7, v10
	v_ffbh_u32_e32 v26, v6
	v_min_u32_e32 v26, 32, v26
	v_lshrrev_b32_e32 v16, 3, v27
	v_subrev_u32_e32 v34, 28, v26
	v_sub_u32_e32 v26, 29, v26
	v_cmp_gt_u32_e64 s[4:5], 8, v27
	v_lshlrev_b64 v[56:57], v34, v[10:11]
	v_cndmask_b32_e64 v16, v16, v26, s[4:5]
	v_and_b32_e32 v34, 7, v56
	v_lshlrev_b32_e32 v10, 8, v10
	v_lshl_add_u32 v16, v16, 10, v37
	v_cndmask_b32_e64 v6, v6, v34, s[4:5]
	v_and_or_b32 v10, v10, s19, v16
	v_lshl_or_b32 v6, v6, 7, v10
	v_cvt_f32_f16_e32 v26, v6
.LBB315_565:                            ;   in Loop: Header=BB315_331 Depth=1
	s_or_b64 exec, exec, s[26:27]
.LBB315_566:                            ;   in Loop: Header=BB315_331 Depth=1
	s_or_b64 exec, exec, s[24:25]
.LBB315_567:                            ;   in Loop: Header=BB315_331 Depth=1
	s_or_b64 exec, exec, s[22:23]
	v_lshrrev_b32_e32 v10, 16, v31
	v_cmp_ne_u16_sdwa s[4:5], v10, v11 src0_sel:BYTE_0 src1_sel:DWORD
	v_mov_b32_e32 v27, 0
	v_mov_b32_e32 v34, 0
	s_and_saveexec_b64 s[22:23], s[4:5]
	s_cbranch_execz .LBB315_573
; %bb.568:                              ;   in Loop: Header=BB315_331 Depth=1
	v_cmp_ne_u16_sdwa s[4:5], v10, s7 src0_sel:BYTE_0 src1_sel:DWORD
	v_bfrev_b32_e32 v34, 1
	s_and_saveexec_b64 s[24:25], s[4:5]
	s_cbranch_execz .LBB315_572
; %bb.569:                              ;   in Loop: Header=BB315_331 Depth=1
	v_bfe_u32 v47, v31, 16, 7
	v_cmp_ne_u32_e64 s[4:5], s15, v47
	v_mov_b32_e32 v34, 0x7fc02000
	s_and_saveexec_b64 s[26:27], s[4:5]
	s_cbranch_execz .LBB315_571
; %bb.570:                              ;   in Loop: Header=BB315_331 Depth=1
	v_and_b32_e32 v6, 7, v10
	v_ffbh_u32_e32 v34, v6
	v_min_u32_e32 v34, 32, v34
	v_lshrrev_b32_e32 v16, 3, v47
	v_subrev_u32_e32 v56, 28, v34
	v_sub_u32_e32 v34, 29, v34
	v_cmp_gt_u32_e64 s[4:5], 8, v47
	v_lshlrev_b64 v[56:57], v56, v[10:11]
	v_cndmask_b32_e64 v16, v16, v34, s[4:5]
	v_and_b32_e32 v56, 7, v56
	v_lshlrev_b32_e32 v10, 8, v10
	v_lshl_add_u32 v16, v16, 10, v37
	v_cndmask_b32_e64 v6, v6, v56, s[4:5]
	v_and_or_b32 v10, v10, s19, v16
	v_lshl_or_b32 v6, v6, 7, v10
	v_cvt_f32_f16_e32 v34, v6
.LBB315_571:                            ;   in Loop: Header=BB315_331 Depth=1
	s_or_b64 exec, exec, s[26:27]
.LBB315_572:                            ;   in Loop: Header=BB315_331 Depth=1
	s_or_b64 exec, exec, s[24:25]
.LBB315_573:                            ;   in Loop: Header=BB315_331 Depth=1
	s_or_b64 exec, exec, s[22:23]
	v_cmp_lt_u64_e64 s[4:5], s[10:11], v[30:31]
	s_and_saveexec_b64 s[22:23], s[4:5]
	s_cbranch_execz .LBB315_579
; %bb.574:                              ;   in Loop: Header=BB315_331 Depth=1
	v_lshrrev_b32_e32 v10, 24, v31
	v_cmp_ne_u32_e64 s[4:5], s7, v10
	v_bfrev_b32_e32 v27, 1
	s_and_saveexec_b64 s[24:25], s[4:5]
	s_cbranch_execz .LBB315_578
; %bb.575:                              ;   in Loop: Header=BB315_331 Depth=1
	v_and_b32_e32 v30, 0x7f, v10
	v_cmp_ne_u32_e64 s[4:5], s15, v30
	v_mov_b32_e32 v27, 0x7fc02000
	s_and_saveexec_b64 s[26:27], s[4:5]
	s_cbranch_execz .LBB315_577
; %bb.576:                              ;   in Loop: Header=BB315_331 Depth=1
	v_and_b32_e32 v6, 7, v10
	v_ffbh_u32_e32 v27, v6
	v_min_u32_e32 v27, 32, v27
	v_lshrrev_b32_e32 v16, 3, v30
	v_subrev_u32_e32 v31, 28, v27
	v_sub_u32_e32 v27, 29, v27
	v_cmp_gt_u32_e64 s[4:5], 8, v30
	v_lshlrev_b64 v[56:57], v31, v[10:11]
	v_cndmask_b32_e64 v16, v16, v27, s[4:5]
	v_and_b32_e32 v31, 7, v56
	v_lshlrev_b32_e32 v10, 8, v10
	v_lshl_add_u32 v16, v16, 10, v37
	v_cndmask_b32_e64 v6, v6, v31, s[4:5]
	v_and_or_b32 v10, v10, s19, v16
	v_lshl_or_b32 v6, v6, 7, v10
	v_cvt_f32_f16_e32 v27, v6
.LBB315_577:                            ;   in Loop: Header=BB315_331 Depth=1
	s_or_b64 exec, exec, s[26:27]
.LBB315_578:                            ;   in Loop: Header=BB315_331 Depth=1
	s_or_b64 exec, exec, s[24:25]
.LBB315_579:                            ;   in Loop: Header=BB315_331 Depth=1
	s_or_b64 exec, exec, s[22:23]
	v_pk_mul_f32 v[28:29], v[12:13], v[28:29] op_sel_hi:[0,1]
	v_pk_mul_f32 v[24:25], v[12:13], v[24:25] op_sel_hi:[0,1]
	v_cvt_f16_f32_e32 v6, v29
	v_cvt_f16_f32_e32 v10, v28
	;; [unrolled: 1-line block ×4, first 2 shown]
	v_fma_mixlo_f16 v25, v12, v34, 0
	v_pack_b32_f16 v6, v10, v6
	v_pack_b32_f16 v16, v24, v16
	v_perm_b32 v10, v16, v6, s29
	v_perm_b32 v24, v16, v6, s30
	v_fma_mixlo_f16 v6, v12, v26, 0
	v_lshlrev_b32_e32 v6, 16, v6
	v_fma_mixlo_f16 v16, v12, v22, 0
	v_or_b32_sdwa v22, v6, v16 dst_sel:DWORD dst_unused:UNUSED_PAD src0_sel:DWORD src1_sel:WORD_0
	v_fma_mixlo_f16 v6, v12, v27, 0
	v_lshlrev_b32_e32 v6, 16, v6
	v_or_b32_sdwa v12, v6, v25 dst_sel:DWORD dst_unused:UNUSED_PAD src0_sel:DWORD src1_sel:WORD_0
	s_and_saveexec_b64 s[22:23], vcc
	s_cbranch_execz .LBB315_581
; %bb.580:                              ;   in Loop: Header=BB315_331 Depth=1
	v_lshrrev_b32_e32 v6, 16, v24
	v_cmp_lt_i32_e64 s[4:5], v53, v13
	v_accvgpr_read_b32 v26, a8
	v_cndmask_b32_e64 v6, 0, v6, s[4:5]
	v_cmp_lt_i32_e64 s[4:5], v7, v26
	v_cndmask_b32_e64 v16, 0, v24, s[4:5]
	v_perm_b32 v24, v6, v16, s31
	v_lshrrev_b32_e32 v6, 16, v10
	v_cmp_lt_i32_e64 s[4:5], v52, v13
	v_cndmask_b32_e64 v6, 0, v6, s[4:5]
	v_cmp_lt_i32_e64 s[4:5], v51, v26
	v_cndmask_b32_e64 v10, 0, v10, s[4:5]
	v_perm_b32 v10, v6, v10, s31
	v_lshrrev_b32_e32 v6, 16, v22
	v_cmp_lt_i32_e64 s[4:5], v50, v13
	;; [unrolled: 6-line block ×3, first 2 shown]
	v_cndmask_b32_e64 v6, 0, v6, s[4:5]
	v_cmp_lt_i32_e64 s[4:5], v38, v26
	v_cndmask_b32_e64 v12, 0, v25, s[4:5]
	v_perm_b32 v12, v6, v12, s31
.LBB315_581:                            ;   in Loop: Header=BB315_331 Depth=1
	s_or_b64 exec, exec, s[22:23]
	;;#ASMSTART
	v_pk_mul_f16 v6, v54, v24;

	;;#ASMEND
	;;#ASMSTART
	v_pk_mul_f16 v10, v55, v10;

	;;#ASMEND
	;; [unrolled: 4-line block ×4, first 2 shown]
	;;#ASMSTART
	v_pk_add_f16 v6, v6, v10;

	;;#ASMEND
	;;#ASMSTART
	v_pk_add_f16 v6, v6, v16;

	;;#ASMEND
	;; [unrolled: 4-line block ×3, first 2 shown]
	v_lshrrev_b32_e32 v10, 16, v6
	v_and_b32_e32 v6, 0xffff, v6
	;;#ASMSTART
	v_cvt_f32_f16 v30, v6;
	;;#ASMEND
	;;#ASMSTART
	v_cvt_f32_f16 v31, v10;
	;;#ASMEND
	flat_load_dwordx2 v[28:29], v[18:19] offset:2560
	v_accvgpr_read_b32 v19, a5
	v_accvgpr_read_b32 v18, a4
	flat_load_dword v12, v[18:19]
	v_mov_b32_e32 v24, 0
	v_mov_b32_e32 v18, 0
	s_waitcnt vmcnt(0) lgkmcnt(0)
	v_cmp_ne_u16_sdwa s[4:5], v28, v11 src0_sel:BYTE_0 src1_sel:DWORD
	s_and_saveexec_b64 s[22:23], s[4:5]
	s_cbranch_execz .LBB315_587
; %bb.582:                              ;   in Loop: Header=BB315_331 Depth=1
	v_cmp_ne_u16_sdwa s[4:5], v28, s7 src0_sel:BYTE_0 src1_sel:DWORD
	v_bfrev_b32_e32 v18, 1
	s_and_saveexec_b64 s[24:25], s[4:5]
	s_cbranch_execz .LBB315_586
; %bb.583:                              ;   in Loop: Header=BB315_331 Depth=1
	v_and_b32_e32 v10, 0x7f, v28
	v_cmp_ne_u32_e64 s[4:5], s15, v10
	v_mov_b32_e32 v18, 0x7fc02000
	s_and_saveexec_b64 s[26:27], s[4:5]
	s_cbranch_execz .LBB315_585
; %bb.584:                              ;   in Loop: Header=BB315_331 Depth=1
	v_and_b32_e32 v6, 7, v28
	v_ffbh_u32_e32 v6, v6
	v_min_u32_e32 v6, 32, v6
	v_lshrrev_b32_e32 v16, 3, v10
	v_subrev_u32_e32 v18, 28, v6
	v_sub_u32_e32 v6, 29, v6
	v_cmp_gt_u32_e64 s[4:5], 8, v10
	v_cndmask_b32_e64 v10, 0, v18, s[4:5]
	v_cndmask_b32_e64 v6, v16, v6, s[4:5]
	v_lshlrev_b64 v[18:19], v10, v[28:29]
	v_lshlrev_b32_e32 v16, 8, v28
	v_lshl_add_u32 v6, v6, 10, v37
	v_lshlrev_b32_e32 v10, 7, v18
	v_and_or_b32 v6, v16, s19, v6
	v_and_or_b32 v6, v10, s28, v6
	v_cvt_f32_f16_e32 v18, v6
.LBB315_585:                            ;   in Loop: Header=BB315_331 Depth=1
	s_or_b64 exec, exec, s[26:27]
.LBB315_586:                            ;   in Loop: Header=BB315_331 Depth=1
	s_or_b64 exec, exec, s[24:25]
.LBB315_587:                            ;   in Loop: Header=BB315_331 Depth=1
	s_or_b64 exec, exec, s[22:23]
	v_lshrrev_b16_e32 v10, 8, v28
	v_cmp_ne_u16_e64 s[4:5], 0, v10
	s_and_saveexec_b64 s[22:23], s[4:5]
	s_cbranch_execz .LBB315_593
; %bb.588:                              ;   in Loop: Header=BB315_331 Depth=1
	v_cmp_ne_u16_e64 s[4:5], s7, v10
	v_bfrev_b32_e32 v24, 1
	s_and_saveexec_b64 s[24:25], s[4:5]
	s_cbranch_execz .LBB315_592
; %bb.589:                              ;   in Loop: Header=BB315_331 Depth=1
	v_and_b32_e32 v19, 0x7f, v10
	v_cmp_ne_u32_e64 s[4:5], s15, v19
	v_mov_b32_e32 v24, 0x7fc02000
	s_and_saveexec_b64 s[26:27], s[4:5]
	s_cbranch_execz .LBB315_591
; %bb.590:                              ;   in Loop: Header=BB315_331 Depth=1
	v_and_b32_e32 v6, 7, v10
	v_ffbh_u32_e32 v22, v6
	v_min_u32_e32 v22, 32, v22
	v_lshrrev_b32_e32 v16, 3, v19
	v_subrev_u32_e32 v24, 28, v22
	v_sub_u32_e32 v22, 29, v22
	v_cmp_gt_u32_e64 s[4:5], 8, v19
	v_lshlrev_b64 v[24:25], v24, v[10:11]
	v_cndmask_b32_e64 v16, v16, v22, s[4:5]
	v_and_b32_e32 v24, 7, v24
	v_lshlrev_b32_e32 v10, 8, v10
	v_lshl_add_u32 v16, v16, 10, v37
	v_cndmask_b32_e64 v6, v6, v24, s[4:5]
	v_and_or_b32 v10, v10, s19, v16
	v_lshl_or_b32 v6, v6, 7, v10
	v_cvt_f32_f16_e32 v24, v6
.LBB315_591:                            ;   in Loop: Header=BB315_331 Depth=1
	s_or_b64 exec, exec, s[26:27]
.LBB315_592:                            ;   in Loop: Header=BB315_331 Depth=1
	s_or_b64 exec, exec, s[24:25]
.LBB315_593:                            ;   in Loop: Header=BB315_331 Depth=1
	s_or_b64 exec, exec, s[22:23]
	v_lshrrev_b32_e32 v10, 16, v28
	v_cmp_ne_u16_sdwa s[4:5], v10, v11 src0_sel:BYTE_0 src1_sel:DWORD
	v_mov_b32_e32 v25, 0
	v_mov_b32_e32 v19, 0
	s_and_saveexec_b64 s[22:23], s[4:5]
	s_cbranch_execz .LBB315_599
; %bb.594:                              ;   in Loop: Header=BB315_331 Depth=1
	v_cmp_ne_u16_sdwa s[4:5], v10, s7 src0_sel:BYTE_0 src1_sel:DWORD
	v_bfrev_b32_e32 v19, 1
	s_and_saveexec_b64 s[24:25], s[4:5]
	s_cbranch_execz .LBB315_598
; %bb.595:                              ;   in Loop: Header=BB315_331 Depth=1
	v_bfe_u32 v22, v28, 16, 7
	v_cmp_ne_u32_e64 s[4:5], s15, v22
	v_mov_b32_e32 v19, 0x7fc02000
	s_and_saveexec_b64 s[26:27], s[4:5]
	s_cbranch_execz .LBB315_597
; %bb.596:                              ;   in Loop: Header=BB315_331 Depth=1
	v_and_b32_e32 v6, 7, v10
	v_ffbh_u32_e32 v19, v6
	v_min_u32_e32 v19, 32, v19
	v_lshrrev_b32_e32 v16, 3, v22
	v_subrev_u32_e32 v26, 28, v19
	v_sub_u32_e32 v19, 29, v19
	v_cmp_gt_u32_e64 s[4:5], 8, v22
	v_lshlrev_b64 v[26:27], v26, v[10:11]
	v_cndmask_b32_e64 v16, v16, v19, s[4:5]
	v_and_b32_e32 v26, 7, v26
	v_lshlrev_b32_e32 v10, 8, v10
	v_lshl_add_u32 v16, v16, 10, v37
	v_cndmask_b32_e64 v6, v6, v26, s[4:5]
	v_and_or_b32 v10, v10, s19, v16
	v_lshl_or_b32 v6, v6, 7, v10
	v_cvt_f32_f16_e32 v19, v6
.LBB315_597:                            ;   in Loop: Header=BB315_331 Depth=1
	s_or_b64 exec, exec, s[26:27]
.LBB315_598:                            ;   in Loop: Header=BB315_331 Depth=1
	s_or_b64 exec, exec, s[24:25]
.LBB315_599:                            ;   in Loop: Header=BB315_331 Depth=1
	s_or_b64 exec, exec, s[22:23]
	v_cmp_lt_u32_e64 s[4:5], s11, v28
	s_and_saveexec_b64 s[22:23], s[4:5]
	s_cbranch_execz .LBB315_605
; %bb.600:                              ;   in Loop: Header=BB315_331 Depth=1
	v_lshrrev_b32_e32 v10, 24, v28
	v_cmp_ne_u32_e64 s[4:5], s7, v10
	v_bfrev_b32_e32 v25, 1
	s_and_saveexec_b64 s[24:25], s[4:5]
	s_cbranch_execz .LBB315_604
; %bb.601:                              ;   in Loop: Header=BB315_331 Depth=1
	v_and_b32_e32 v22, 0x7f, v10
	v_cmp_ne_u32_e64 s[4:5], s15, v22
	v_mov_b32_e32 v25, 0x7fc02000
	s_and_saveexec_b64 s[26:27], s[4:5]
	s_cbranch_execz .LBB315_603
; %bb.602:                              ;   in Loop: Header=BB315_331 Depth=1
	v_and_b32_e32 v6, 7, v10
	v_ffbh_u32_e32 v25, v6
	v_min_u32_e32 v25, 32, v25
	v_lshrrev_b32_e32 v16, 3, v22
	v_subrev_u32_e32 v26, 28, v25
	v_sub_u32_e32 v25, 29, v25
	v_cmp_gt_u32_e64 s[4:5], 8, v22
	v_lshlrev_b64 v[26:27], v26, v[10:11]
	v_cndmask_b32_e64 v16, v16, v25, s[4:5]
	v_and_b32_e32 v26, 7, v26
	v_lshlrev_b32_e32 v10, 8, v10
	v_lshl_add_u32 v16, v16, 10, v37
	v_cndmask_b32_e64 v6, v6, v26, s[4:5]
	v_and_or_b32 v10, v10, s19, v16
	v_lshl_or_b32 v6, v6, 7, v10
	v_cvt_f32_f16_e32 v25, v6
.LBB315_603:                            ;   in Loop: Header=BB315_331 Depth=1
	s_or_b64 exec, exec, s[26:27]
.LBB315_604:                            ;   in Loop: Header=BB315_331 Depth=1
	s_or_b64 exec, exec, s[24:25]
.LBB315_605:                            ;   in Loop: Header=BB315_331 Depth=1
	s_or_b64 exec, exec, s[22:23]
	v_mov_b32_e32 v10, v29
	v_cmp_ne_u16_sdwa s[4:5], v29, v11 src0_sel:BYTE_0 src1_sel:DWORD
	v_mov_b32_e32 v26, 0
	v_mov_b32_e32 v22, 0
	s_and_saveexec_b64 s[22:23], s[4:5]
	s_cbranch_execz .LBB315_611
; %bb.606:                              ;   in Loop: Header=BB315_331 Depth=1
	v_cmp_ne_u16_sdwa s[4:5], v29, s7 src0_sel:BYTE_0 src1_sel:DWORD
	v_bfrev_b32_e32 v22, 1
	s_and_saveexec_b64 s[24:25], s[4:5]
	s_cbranch_execz .LBB315_610
; %bb.607:                              ;   in Loop: Header=BB315_331 Depth=1
	v_and_b32_e32 v27, 0x7f, v29
	v_cmp_ne_u32_e64 s[4:5], s15, v27
	v_mov_b32_e32 v22, 0x7fc02000
	s_and_saveexec_b64 s[26:27], s[4:5]
	s_cbranch_execz .LBB315_609
; %bb.608:                              ;   in Loop: Header=BB315_331 Depth=1
	v_and_b32_e32 v6, 7, v29
	v_ffbh_u32_e32 v6, v6
	v_min_u32_e32 v6, 32, v6
	v_lshrrev_b32_e32 v16, 3, v27
	v_subrev_u32_e32 v22, 28, v6
	v_sub_u32_e32 v6, 29, v6
	v_cmp_gt_u32_e64 s[4:5], 8, v27
	v_cndmask_b32_e64 v22, 0, v22, s[4:5]
	v_cndmask_b32_e64 v6, v16, v6, s[4:5]
	v_lshlrev_b64 v[56:57], v22, v[10:11]
	v_lshlrev_b32_e32 v22, 8, v29
	v_lshl_add_u32 v6, v6, 10, v37
	v_lshlrev_b32_e32 v16, 7, v56
	v_and_or_b32 v6, v22, s19, v6
	v_and_or_b32 v6, v16, s28, v6
	v_cvt_f32_f16_e32 v22, v6
.LBB315_609:                            ;   in Loop: Header=BB315_331 Depth=1
	s_or_b64 exec, exec, s[26:27]
.LBB315_610:                            ;   in Loop: Header=BB315_331 Depth=1
	s_or_b64 exec, exec, s[24:25]
.LBB315_611:                            ;   in Loop: Header=BB315_331 Depth=1
	s_or_b64 exec, exec, s[22:23]
	v_lshrrev_b16_e32 v10, 8, v10
	v_cmp_ne_u16_e64 s[4:5], 0, v10
	s_and_saveexec_b64 s[22:23], s[4:5]
	s_cbranch_execz .LBB315_617
; %bb.612:                              ;   in Loop: Header=BB315_331 Depth=1
	v_cmp_ne_u16_e64 s[4:5], s7, v10
	v_bfrev_b32_e32 v26, 1
	s_and_saveexec_b64 s[24:25], s[4:5]
	s_cbranch_execz .LBB315_616
; %bb.613:                              ;   in Loop: Header=BB315_331 Depth=1
	v_and_b32_e32 v27, 0x7f, v10
	v_cmp_ne_u32_e64 s[4:5], s15, v27
	v_mov_b32_e32 v26, 0x7fc02000
	s_and_saveexec_b64 s[26:27], s[4:5]
	s_cbranch_execz .LBB315_615
; %bb.614:                              ;   in Loop: Header=BB315_331 Depth=1
	v_and_b32_e32 v6, 7, v10
	v_ffbh_u32_e32 v26, v6
	v_min_u32_e32 v26, 32, v26
	v_lshrrev_b32_e32 v16, 3, v27
	v_subrev_u32_e32 v34, 28, v26
	v_sub_u32_e32 v26, 29, v26
	v_cmp_gt_u32_e64 s[4:5], 8, v27
	v_lshlrev_b64 v[56:57], v34, v[10:11]
	v_cndmask_b32_e64 v16, v16, v26, s[4:5]
	v_and_b32_e32 v34, 7, v56
	v_lshlrev_b32_e32 v10, 8, v10
	v_lshl_add_u32 v16, v16, 10, v37
	v_cndmask_b32_e64 v6, v6, v34, s[4:5]
	v_and_or_b32 v10, v10, s19, v16
	v_lshl_or_b32 v6, v6, 7, v10
	v_cvt_f32_f16_e32 v26, v6
.LBB315_615:                            ;   in Loop: Header=BB315_331 Depth=1
	s_or_b64 exec, exec, s[26:27]
.LBB315_616:                            ;   in Loop: Header=BB315_331 Depth=1
	s_or_b64 exec, exec, s[24:25]
.LBB315_617:                            ;   in Loop: Header=BB315_331 Depth=1
	s_or_b64 exec, exec, s[22:23]
	v_lshrrev_b32_e32 v10, 16, v29
	v_cmp_ne_u16_sdwa s[4:5], v10, v11 src0_sel:BYTE_0 src1_sel:DWORD
	v_mov_b32_e32 v27, 0
	v_mov_b32_e32 v34, 0
	s_and_saveexec_b64 s[22:23], s[4:5]
	s_cbranch_execz .LBB315_623
; %bb.618:                              ;   in Loop: Header=BB315_331 Depth=1
	v_cmp_ne_u16_sdwa s[4:5], v10, s7 src0_sel:BYTE_0 src1_sel:DWORD
	v_bfrev_b32_e32 v34, 1
	s_and_saveexec_b64 s[24:25], s[4:5]
	s_cbranch_execz .LBB315_622
; %bb.619:                              ;   in Loop: Header=BB315_331 Depth=1
	v_bfe_u32 v47, v29, 16, 7
	v_cmp_ne_u32_e64 s[4:5], s15, v47
	v_mov_b32_e32 v34, 0x7fc02000
	s_and_saveexec_b64 s[26:27], s[4:5]
	s_cbranch_execz .LBB315_621
; %bb.620:                              ;   in Loop: Header=BB315_331 Depth=1
	v_and_b32_e32 v6, 7, v10
	v_ffbh_u32_e32 v34, v6
	v_min_u32_e32 v34, 32, v34
	v_lshrrev_b32_e32 v16, 3, v47
	v_subrev_u32_e32 v56, 28, v34
	v_sub_u32_e32 v34, 29, v34
	v_cmp_gt_u32_e64 s[4:5], 8, v47
	v_lshlrev_b64 v[56:57], v56, v[10:11]
	v_cndmask_b32_e64 v16, v16, v34, s[4:5]
	v_and_b32_e32 v56, 7, v56
	v_lshlrev_b32_e32 v10, 8, v10
	v_lshl_add_u32 v16, v16, 10, v37
	v_cndmask_b32_e64 v6, v6, v56, s[4:5]
	v_and_or_b32 v10, v10, s19, v16
	v_lshl_or_b32 v6, v6, 7, v10
	v_cvt_f32_f16_e32 v34, v6
.LBB315_621:                            ;   in Loop: Header=BB315_331 Depth=1
	s_or_b64 exec, exec, s[26:27]
.LBB315_622:                            ;   in Loop: Header=BB315_331 Depth=1
	s_or_b64 exec, exec, s[24:25]
.LBB315_623:                            ;   in Loop: Header=BB315_331 Depth=1
	s_or_b64 exec, exec, s[22:23]
	v_cmp_lt_u64_e64 s[4:5], s[10:11], v[28:29]
	s_and_saveexec_b64 s[22:23], s[4:5]
	s_cbranch_execz .LBB315_629
; %bb.624:                              ;   in Loop: Header=BB315_331 Depth=1
	v_lshrrev_b32_e32 v10, 24, v29
	v_cmp_ne_u32_e64 s[4:5], s7, v10
	v_bfrev_b32_e32 v27, 1
	s_and_saveexec_b64 s[24:25], s[4:5]
	s_cbranch_execz .LBB315_628
; %bb.625:                              ;   in Loop: Header=BB315_331 Depth=1
	v_and_b32_e32 v28, 0x7f, v10
	v_cmp_ne_u32_e64 s[4:5], s15, v28
	v_mov_b32_e32 v27, 0x7fc02000
	s_and_saveexec_b64 s[26:27], s[4:5]
	s_cbranch_execz .LBB315_627
; %bb.626:                              ;   in Loop: Header=BB315_331 Depth=1
	v_and_b32_e32 v6, 7, v10
	v_ffbh_u32_e32 v27, v6
	v_min_u32_e32 v27, 32, v27
	v_lshrrev_b32_e32 v16, 3, v28
	v_subrev_u32_e32 v29, 28, v27
	v_sub_u32_e32 v27, 29, v27
	v_cmp_gt_u32_e64 s[4:5], 8, v28
	v_lshlrev_b64 v[56:57], v29, v[10:11]
	v_cndmask_b32_e64 v16, v16, v27, s[4:5]
	v_and_b32_e32 v29, 7, v56
	v_lshlrev_b32_e32 v10, 8, v10
	v_lshl_add_u32 v16, v16, 10, v37
	v_cndmask_b32_e64 v6, v6, v29, s[4:5]
	v_and_or_b32 v10, v10, s19, v16
	v_lshl_or_b32 v6, v6, 7, v10
	v_cvt_f32_f16_e32 v27, v6
.LBB315_627:                            ;   in Loop: Header=BB315_331 Depth=1
	s_or_b64 exec, exec, s[26:27]
.LBB315_628:                            ;   in Loop: Header=BB315_331 Depth=1
	s_or_b64 exec, exec, s[24:25]
.LBB315_629:                            ;   in Loop: Header=BB315_331 Depth=1
	s_or_b64 exec, exec, s[22:23]
	v_pk_mul_f32 v[24:25], v[12:13], v[24:25] op_sel_hi:[0,1]
	v_pk_mul_f32 v[18:19], v[12:13], v[18:19] op_sel_hi:[0,1]
	v_cvt_f16_f32_e32 v6, v25
	v_cvt_f16_f32_e32 v10, v24
	v_cvt_f16_f32_e32 v16, v19
	v_cvt_f16_f32_e32 v18, v18
	v_pack_b32_f16 v6, v10, v6
	v_pack_b32_f16 v16, v18, v16
	v_perm_b32 v10, v16, v6, s29
	v_perm_b32 v18, v16, v6, s30
	v_fma_mixlo_f16 v6, v12, v26, 0
	v_lshlrev_b32_e32 v6, 16, v6
	v_fma_mixlo_f16 v16, v12, v22, 0
	v_or_b32_sdwa v19, v6, v16 dst_sel:DWORD dst_unused:UNUSED_PAD src0_sel:DWORD src1_sel:WORD_0
	v_fma_mixlo_f16 v6, v12, v27, 0
	v_fma_mixlo_f16 v22, v12, v34, 0
	v_lshlrev_b32_e32 v6, 16, v6
	v_or_b32_sdwa v12, v6, v22 dst_sel:DWORD dst_unused:UNUSED_PAD src0_sel:DWORD src1_sel:WORD_0
	s_and_saveexec_b64 s[4:5], vcc
	s_cbranch_execz .LBB315_330
; %bb.630:                              ;   in Loop: Header=BB315_331 Depth=1
	v_lshrrev_b32_e32 v6, 16, v18
	v_cmp_lt_i32_e32 vcc, v53, v13
	v_accvgpr_read_b32 v24, a8
	v_cndmask_b32_e32 v6, 0, v6, vcc
	v_cmp_lt_i32_e32 vcc, v7, v24
	v_cndmask_b32_e32 v16, 0, v18, vcc
	v_perm_b32 v18, v6, v16, s31
	v_lshrrev_b32_e32 v6, 16, v10
	v_cmp_lt_i32_e32 vcc, v52, v13
	v_cndmask_b32_e32 v6, 0, v6, vcc
	v_cmp_lt_i32_e32 vcc, v51, v24
	v_cndmask_b32_e32 v10, 0, v10, vcc
	v_perm_b32 v10, v6, v10, s31
	v_lshrrev_b32_e32 v6, 16, v19
	v_cmp_lt_i32_e32 vcc, v50, v13
	;; [unrolled: 6-line block ×3, first 2 shown]
	v_cndmask_b32_e32 v6, 0, v6, vcc
	v_cmp_lt_i32_e32 vcc, v38, v24
	v_cndmask_b32_e32 v12, 0, v22, vcc
	v_perm_b32 v12, v6, v12, s31
	s_branch .LBB315_330
.LBB315_631:
	s_or_b64 exec, exec, s[12:13]
	v_accvgpr_read_b32 v16, a2
.LBB315_632:
	s_or_b64 exec, exec, s[8:9]
	ds_bpermute_b32 v4, v32, v0
	ds_bpermute_b32 v5, v32, v1
	;; [unrolled: 1-line block ×6, first 2 shown]
	s_waitcnt lgkmcnt(0)
	v_pk_add_f32 v[0:1], v[0:1], v[4:5]
	ds_bpermute_b32 v4, v33, v0
	ds_bpermute_b32 v5, v33, v1
	v_pk_add_f32 v[8:9], v[8:9], v[6:7]
	v_pk_add_f32 v[10:11], v[2:3], v[10:11]
	ds_bpermute_b32 v12, v33, v8
	ds_bpermute_b32 v13, v33, v9
	;; [unrolled: 1-line block ×4, first 2 shown]
	s_waitcnt lgkmcnt(0)
	v_pk_add_f32 v[6:7], v[0:1], v[4:5]
	v_and_b32_e32 v4, 0x3c3, v16
	v_pk_add_f32 v[2:3], v[8:9], v[12:13]
	v_cmp_eq_u32_e32 vcc, 64, v4
	v_pk_add_f32 v[0:1], v[10:11], v[14:15]
	s_barrier
	s_and_saveexec_b64 s[4:5], vcc
	s_cbranch_execz .LBB315_634
; %bb.633:
	s_ashr_i32 s19, s18, 31
	s_lshl_b64 s[8:9], s[18:19], 2
	s_getpc_b64 s[10:11]
	s_add_u32 s10, s10, llvm.amdgcn.dynlds.offset.table@rel32@lo+4
	s_addc_u32 s11, s11, llvm.amdgcn.dynlds.offset.table@rel32@hi+12
	s_add_u32 s8, s8, s10
	s_addc_u32 s9, s9, s11
	s_load_dword s7, s[8:9], 0x0
	s_waitcnt lgkmcnt(0)
	v_add_u32_e32 v5, s7, v23
	ds_write2_b32 v5, v6, v7 offset1:16
	ds_write2_b32 v5, v2, v3 offset0:32 offset1:48
	ds_write2_b32 v5, v0, v1 offset0:64 offset1:80
.LBB315_634:
	s_or_b64 exec, exec, s[4:5]
	s_waitcnt lgkmcnt(0)
	s_barrier
	v_cmp_gt_u32_e32 vcc, 64, v16
	s_mov_b64 s[4:5], exec
	s_and_b64 s[8:9], s[4:5], vcc
	v_accvgpr_read_b32 v9, a0
	v_accvgpr_read_b32 v10, a1
	s_mov_b64 exec, s[8:9]
	s_cbranch_execz .LBB315_643
; %bb.635:
	v_cmp_eq_u32_e32 vcc, 0, v48
	v_lshrrev_b32_e32 v5, 2, v16
	s_and_saveexec_b64 s[8:9], vcc
	s_cbranch_execnz .LBB315_646
; %bb.636:
	s_or_b64 exec, exec, s[8:9]
	s_and_saveexec_b64 s[8:9], vcc
	s_cbranch_execnz .LBB315_647
.LBB315_637:
	s_or_b64 exec, exec, s[8:9]
	s_and_saveexec_b64 s[8:9], vcc
	s_cbranch_execnz .LBB315_648
.LBB315_638:
	s_or_b64 exec, exec, s[8:9]
	s_and_saveexec_b64 s[8:9], vcc
	s_cbranch_execnz .LBB315_649
.LBB315_639:
	s_or_b64 exec, exec, s[8:9]
	s_and_saveexec_b64 s[8:9], vcc
	s_cbranch_execnz .LBB315_650
.LBB315_640:
	s_or_b64 exec, exec, s[8:9]
	s_and_saveexec_b64 s[8:9], vcc
	s_cbranch_execz .LBB315_642
.LBB315_641:
	s_ashr_i32 s19, s18, 31
	s_lshl_b64 s[10:11], s[18:19], 2
	s_getpc_b64 s[12:13]
	s_add_u32 s12, s12, llvm.amdgcn.dynlds.offset.table@rel32@lo+4
	s_addc_u32 s13, s13, llvm.amdgcn.dynlds.offset.table@rel32@hi+12
	s_add_u32 s10, s10, s12
	s_addc_u32 s11, s11, s13
	s_load_dword s7, s[10:11], 0x0
	s_waitcnt lgkmcnt(0)
	v_lshl_add_u32 v5, v5, 2, s7
	ds_read_b32 v5, v5 offset:320
	s_waitcnt lgkmcnt(0)
	v_add_f32_e32 v1, v1, v5
.LBB315_642:
	s_or_b64 exec, exec, s[8:9]
.LBB315_643:
	s_or_b64 exec, exec, s[4:5]
	v_cmp_eq_u32_e32 vcc, 0, v4
	s_barrier
	s_and_b64 exec, exec, vcc
	s_cbranch_execz .LBB315_645
; %bb.644:
	s_mul_i32 s4, s6, 0x60
	s_mul_i32 s6, s20, s21
	;; [unrolled: 1-line block ×3, first 2 shown]
	s_ashr_i32 s5, s4, 31
	s_ashr_i32 s7, s6, 31
	;; [unrolled: 1-line block ×3, first 2 shown]
	s_lshl_b64 s[4:5], s[4:5], 1
	s_lshl_b64 s[6:7], s[6:7], 1
	;; [unrolled: 1-line block ×3, first 2 shown]
	s_add_u32 s6, s8, s6
	s_addc_u32 s7, s9, s7
	s_add_u32 s4, s6, s4
	s_addc_u32 s5, s7, s5
	v_mov_b32_e32 v4, s5
	v_add_co_u32_e32 v5, vcc, s4, v10
	v_addc_co_u32_e32 v8, vcc, v4, v9, vcc
	v_lshrrev_b32_e32 v4, 1, v16
	v_add_co_u32_e32 v4, vcc, v5, v4
	v_addc_co_u32_e32 v5, vcc, 0, v8, vcc
	;;#ASMSTART
	v_cvt_f16_f32 v6, v6;

	;;#ASMEND
	flat_store_short v[4:5], v6
	;;#ASMSTART
	v_cvt_f16_f32 v6, v7;

	;;#ASMEND
	flat_store_short v[4:5], v6 offset:32
	;;#ASMSTART
	v_cvt_f16_f32 v2, v2;

	;;#ASMEND
	flat_store_short v[4:5], v2 offset:64
	;;#ASMSTART
	v_cvt_f16_f32 v2, v3;

	;;#ASMEND
	flat_store_short v[4:5], v2 offset:96
	;;#ASMSTART
	v_cvt_f16_f32 v0, v0;

	;;#ASMEND
	flat_store_short v[4:5], v0 offset:128
	;;#ASMSTART
	v_cvt_f16_f32 v0, v1;

	;;#ASMEND
	flat_store_short v[4:5], v0 offset:160
.LBB315_645:
	s_or_b64 exec, exec, s[16:17]
	buffer_load_dword a37, off, s[0:3], s32 ; 4-byte Folded Reload
	buffer_load_dword a36, off, s[0:3], s32 offset:4 ; 4-byte Folded Reload
	buffer_load_dword a35, off, s[0:3], s32 offset:8 ; 4-byte Folded Reload
	;; [unrolled: 1-line block ×20, first 2 shown]
	v_readlane_b32 s30, v63, 6
	v_readlane_b32 s31, v63, 7
	;; [unrolled: 1-line block ×8, first 2 shown]
	s_or_saveexec_b64 s[4:5], -1
	buffer_load_dword v63, off, s[0:3], s32 offset:92 ; 4-byte Folded Reload
	s_mov_b64 exec, s[4:5]
	s_waitcnt vmcnt(0) lgkmcnt(0)
	s_setpc_b64 s[30:31]
.LBB315_646:
	s_ashr_i32 s19, s18, 31
	s_lshl_b64 s[10:11], s[18:19], 2
	s_getpc_b64 s[12:13]
	s_add_u32 s12, s12, llvm.amdgcn.dynlds.offset.table@rel32@lo+4
	s_addc_u32 s13, s13, llvm.amdgcn.dynlds.offset.table@rel32@hi+12
	s_add_u32 s10, s10, s12
	s_addc_u32 s11, s11, s13
	s_load_dword s7, s[10:11], 0x0
	s_waitcnt lgkmcnt(0)
	v_lshl_add_u32 v8, v5, 2, s7
	ds_read_b32 v8, v8
	s_waitcnt lgkmcnt(0)
	v_add_f32_e32 v6, v6, v8
	s_or_b64 exec, exec, s[8:9]
	s_and_saveexec_b64 s[8:9], vcc
	s_cbranch_execz .LBB315_637
.LBB315_647:
	s_ashr_i32 s19, s18, 31
	s_lshl_b64 s[10:11], s[18:19], 2
	s_getpc_b64 s[12:13]
	s_add_u32 s12, s12, llvm.amdgcn.dynlds.offset.table@rel32@lo+4
	s_addc_u32 s13, s13, llvm.amdgcn.dynlds.offset.table@rel32@hi+12
	s_add_u32 s10, s10, s12
	s_addc_u32 s11, s11, s13
	s_load_dword s7, s[10:11], 0x0
	s_waitcnt lgkmcnt(0)
	v_lshl_add_u32 v8, v5, 2, s7
	ds_read_b32 v8, v8 offset:64
	s_waitcnt lgkmcnt(0)
	v_add_f32_e32 v7, v7, v8
	s_or_b64 exec, exec, s[8:9]
	s_and_saveexec_b64 s[8:9], vcc
	s_cbranch_execz .LBB315_638
.LBB315_648:
	s_ashr_i32 s19, s18, 31
	s_lshl_b64 s[10:11], s[18:19], 2
	s_getpc_b64 s[12:13]
	s_add_u32 s12, s12, llvm.amdgcn.dynlds.offset.table@rel32@lo+4
	s_addc_u32 s13, s13, llvm.amdgcn.dynlds.offset.table@rel32@hi+12
	s_add_u32 s10, s10, s12
	s_addc_u32 s11, s11, s13
	s_load_dword s7, s[10:11], 0x0
	s_waitcnt lgkmcnt(0)
	v_lshl_add_u32 v8, v5, 2, s7
	ds_read_b32 v8, v8 offset:128
	s_waitcnt lgkmcnt(0)
	v_add_f32_e32 v2, v2, v8
	s_or_b64 exec, exec, s[8:9]
	s_and_saveexec_b64 s[8:9], vcc
	s_cbranch_execz .LBB315_639
.LBB315_649:
	s_ashr_i32 s19, s18, 31
	s_lshl_b64 s[10:11], s[18:19], 2
	s_getpc_b64 s[12:13]
	s_add_u32 s12, s12, llvm.amdgcn.dynlds.offset.table@rel32@lo+4
	s_addc_u32 s13, s13, llvm.amdgcn.dynlds.offset.table@rel32@hi+12
	s_add_u32 s10, s10, s12
	s_addc_u32 s11, s11, s13
	s_load_dword s7, s[10:11], 0x0
	s_waitcnt lgkmcnt(0)
	v_lshl_add_u32 v8, v5, 2, s7
	ds_read_b32 v8, v8 offset:192
	s_waitcnt lgkmcnt(0)
	v_add_f32_e32 v3, v3, v8
	s_or_b64 exec, exec, s[8:9]
	s_and_saveexec_b64 s[8:9], vcc
	s_cbranch_execz .LBB315_640
.LBB315_650:
	s_ashr_i32 s19, s18, 31
	s_lshl_b64 s[10:11], s[18:19], 2
	s_getpc_b64 s[12:13]
	s_add_u32 s12, s12, llvm.amdgcn.dynlds.offset.table@rel32@lo+4
	s_addc_u32 s13, s13, llvm.amdgcn.dynlds.offset.table@rel32@hi+12
	s_add_u32 s10, s10, s12
	s_addc_u32 s11, s11, s13
	s_load_dword s7, s[10:11], 0x0
	s_waitcnt lgkmcnt(0)
	v_lshl_add_u32 v8, v5, 2, s7
	ds_read_b32 v8, v8 offset:256
	s_waitcnt lgkmcnt(0)
	v_add_f32_e32 v0, v0, v8
	s_or_b64 exec, exec, s[8:9]
	s_and_saveexec_b64 s[8:9], vcc
	s_cbranch_execnz .LBB315_641
	s_branch .LBB315_642
.Lfunc_end315:
	.size	_ZN4vllm22paged_attention_kernelIthLi96ELi32ELi128ELNS_18Fp8KVCacheDataTypeE1ELb0ELi512EEEvPfS2_PT_PKS3_PKT0_S9_ifPKiSB_iPKfiiiSD_SD_iiiii, .Lfunc_end315-_ZN4vllm22paged_attention_kernelIthLi96ELi32ELi128ELNS_18Fp8KVCacheDataTypeE1ELb0ELi512EEEvPfS2_PT_PKS3_PKT0_S9_ifPKiSB_iPKfiiiSD_SD_iiiii
                                        ; -- End function
	.section	.AMDGPU.csdata,"",@progbits
; Function info:
; codeLenInByte = 28140
; NumSgprs: 44
; NumVgprs: 64
; NumAgprs: 38
; TotalNumVgprs: 102
; ScratchSize: 100
; MemoryBound: 0
	.section	.text._ZN4vllm25paged_attention_v2_kernelIthLi96ELi32ELi128ELNS_18Fp8KVCacheDataTypeE1ELb0ELi512EEEvPfS2_PT_PKS3_PKT0_S9_ifPKiSB_iPKfiiiSD_SD_iiiii,"axG",@progbits,_ZN4vllm25paged_attention_v2_kernelIthLi96ELi32ELi128ELNS_18Fp8KVCacheDataTypeE1ELb0ELi512EEEvPfS2_PT_PKS3_PKT0_S9_ifPKiSB_iPKfiiiSD_SD_iiiii,comdat
	.protected	_ZN4vllm25paged_attention_v2_kernelIthLi96ELi32ELi128ELNS_18Fp8KVCacheDataTypeE1ELb0ELi512EEEvPfS2_PT_PKS3_PKT0_S9_ifPKiSB_iPKfiiiSD_SD_iiiii ; -- Begin function _ZN4vllm25paged_attention_v2_kernelIthLi96ELi32ELi128ELNS_18Fp8KVCacheDataTypeE1ELb0ELi512EEEvPfS2_PT_PKS3_PKT0_S9_ifPKiSB_iPKfiiiSD_SD_iiiii
	.globl	_ZN4vllm25paged_attention_v2_kernelIthLi96ELi32ELi128ELNS_18Fp8KVCacheDataTypeE1ELb0ELi512EEEvPfS2_PT_PKS3_PKT0_S9_ifPKiSB_iPKfiiiSD_SD_iiiii
	.p2align	8
	.type	_ZN4vllm25paged_attention_v2_kernelIthLi96ELi32ELi128ELNS_18Fp8KVCacheDataTypeE1ELb0ELi512EEEvPfS2_PT_PKS3_PKT0_S9_ifPKiSB_iPKfiiiSD_SD_iiiii,@function
_ZN4vllm25paged_attention_v2_kernelIthLi96ELi32ELi128ELNS_18Fp8KVCacheDataTypeE1ELb0ELi512EEEvPfS2_PT_PKS3_PKT0_S9_ifPKiSB_iPKfiiiSD_SD_iiiii: ; @_ZN4vllm25paged_attention_v2_kernelIthLi96ELi32ELi128ELNS_18Fp8KVCacheDataTypeE1ELb0ELi512EEEvPfS2_PT_PKS3_PKT0_S9_ifPKiSB_iPKfiiiSD_SD_iiiii
; %bb.0:
	s_add_u32 flat_scratch_lo, s6, s11
	s_addc_u32 flat_scratch_hi, s7, 0
	s_add_u32 s0, s0, s11
	s_load_dwordx8 s[24:31], s[4:5], 0x0
	s_load_dwordx8 s[16:23], s[4:5], 0x20
	s_load_dwordx2 s[6:7], s[4:5], 0x40
	s_load_dwordx2 s[34:35], s[4:5], 0x50
	s_load_dword s11, s[4:5], 0x48
	s_load_dwordx8 s[36:43], s[4:5], 0x58
	s_addc_u32 s1, s1, 0
	s_mov_b32 s12, s8
	s_add_u32 s8, s4, 0x90
	s_mov_b32 s13, s9
	s_addc_u32 s9, s5, 0
	s_mov_b32 s14, s10
	s_mov_b32 s15, 54
	v_mov_b32_e32 v31, v0
	s_waitcnt lgkmcnt(0)
	v_mov_b32_e32 v0, s24
	v_mov_b32_e32 v1, s25
	;; [unrolled: 1-line block ×28, first 2 shown]
	s_mov_b32 s32, 0
	s_getpc_b64 s[4:5]
	s_add_u32 s4, s4, _ZN4vllm22paged_attention_kernelIthLi96ELi32ELi128ELNS_18Fp8KVCacheDataTypeE1ELb0ELi512EEEvPfS2_PT_PKS3_PKT0_S9_ifPKiSB_iPKfiiiSD_SD_iiiii@rel32@lo+4
	s_addc_u32 s5, s5, _ZN4vllm22paged_attention_kernelIthLi96ELi32ELi128ELNS_18Fp8KVCacheDataTypeE1ELb0ELi512EEEvPfS2_PT_PKS3_PKT0_S9_ifPKiSB_iPKfiiiSD_SD_iiiii@rel32@hi+12
	s_swappc_b64 s[30:31], s[4:5]
	s_endpgm
	.section	.rodata,"a",@progbits
	.p2align	6, 0x0
	.amdhsa_kernel _ZN4vllm25paged_attention_v2_kernelIthLi96ELi32ELi128ELNS_18Fp8KVCacheDataTypeE1ELb0ELi512EEEvPfS2_PT_PKS3_PKT0_S9_ifPKiSB_iPKfiiiSD_SD_iiiii
		.amdhsa_group_segment_fixed_size 208
		.amdhsa_private_segment_fixed_size 100
		.amdhsa_kernarg_size 400
		.amdhsa_user_sgpr_count 8
		.amdhsa_user_sgpr_private_segment_buffer 1
		.amdhsa_user_sgpr_dispatch_ptr 0
		.amdhsa_user_sgpr_queue_ptr 0
		.amdhsa_user_sgpr_kernarg_segment_ptr 1
		.amdhsa_user_sgpr_dispatch_id 0
		.amdhsa_user_sgpr_flat_scratch_init 1
		.amdhsa_user_sgpr_kernarg_preload_length 0
		.amdhsa_user_sgpr_kernarg_preload_offset 0
		.amdhsa_user_sgpr_private_segment_size 0
		.amdhsa_uses_dynamic_stack 0
		.amdhsa_system_sgpr_private_segment_wavefront_offset 1
		.amdhsa_system_sgpr_workgroup_id_x 1
		.amdhsa_system_sgpr_workgroup_id_y 1
		.amdhsa_system_sgpr_workgroup_id_z 1
		.amdhsa_system_sgpr_workgroup_info 0
		.amdhsa_system_vgpr_workitem_id 0
		.amdhsa_next_free_vgpr 102
		.amdhsa_next_free_sgpr 44
		.amdhsa_accum_offset 64
		.amdhsa_reserve_vcc 1
		.amdhsa_reserve_flat_scratch 1
		.amdhsa_float_round_mode_32 0
		.amdhsa_float_round_mode_16_64 0
		.amdhsa_float_denorm_mode_32 3
		.amdhsa_float_denorm_mode_16_64 3
		.amdhsa_dx10_clamp 1
		.amdhsa_ieee_mode 1
		.amdhsa_fp16_overflow 0
		.amdhsa_tg_split 0
		.amdhsa_exception_fp_ieee_invalid_op 0
		.amdhsa_exception_fp_denorm_src 0
		.amdhsa_exception_fp_ieee_div_zero 0
		.amdhsa_exception_fp_ieee_overflow 0
		.amdhsa_exception_fp_ieee_underflow 0
		.amdhsa_exception_fp_ieee_inexact 0
		.amdhsa_exception_int_div_zero 0
	.end_amdhsa_kernel
	.section	.text._ZN4vllm25paged_attention_v2_kernelIthLi96ELi32ELi128ELNS_18Fp8KVCacheDataTypeE1ELb0ELi512EEEvPfS2_PT_PKS3_PKT0_S9_ifPKiSB_iPKfiiiSD_SD_iiiii,"axG",@progbits,_ZN4vllm25paged_attention_v2_kernelIthLi96ELi32ELi128ELNS_18Fp8KVCacheDataTypeE1ELb0ELi512EEEvPfS2_PT_PKS3_PKT0_S9_ifPKiSB_iPKfiiiSD_SD_iiiii,comdat
.Lfunc_end316:
	.size	_ZN4vllm25paged_attention_v2_kernelIthLi96ELi32ELi128ELNS_18Fp8KVCacheDataTypeE1ELb0ELi512EEEvPfS2_PT_PKS3_PKT0_S9_ifPKiSB_iPKfiiiSD_SD_iiiii, .Lfunc_end316-_ZN4vllm25paged_attention_v2_kernelIthLi96ELi32ELi128ELNS_18Fp8KVCacheDataTypeE1ELb0ELi512EEEvPfS2_PT_PKS3_PKT0_S9_ifPKiSB_iPKfiiiSD_SD_iiiii
                                        ; -- End function
	.section	.AMDGPU.csdata,"",@progbits
; Kernel info:
; codeLenInByte = 244
; NumSgprs: 50
; NumVgprs: 64
; NumAgprs: 38
; TotalNumVgprs: 102
; ScratchSize: 100
; MemoryBound: 0
; FloatMode: 240
; IeeeMode: 1
; LDSByteSize: 208 bytes/workgroup (compile time only)
; SGPRBlocks: 6
; VGPRBlocks: 12
; NumSGPRsForWavesPerEU: 50
; NumVGPRsForWavesPerEU: 102
; AccumOffset: 64
; Occupancy: 4
; WaveLimiterHint : 1
; COMPUTE_PGM_RSRC2:SCRATCH_EN: 1
; COMPUTE_PGM_RSRC2:USER_SGPR: 8
; COMPUTE_PGM_RSRC2:TRAP_HANDLER: 0
; COMPUTE_PGM_RSRC2:TGID_X_EN: 1
; COMPUTE_PGM_RSRC2:TGID_Y_EN: 1
; COMPUTE_PGM_RSRC2:TGID_Z_EN: 1
; COMPUTE_PGM_RSRC2:TIDIG_COMP_CNT: 0
; COMPUTE_PGM_RSRC3_GFX90A:ACCUM_OFFSET: 15
; COMPUTE_PGM_RSRC3_GFX90A:TG_SPLIT: 0
	.text
	.p2align	2                               ; -- Begin function _ZN4vllm22paged_attention_kernelIthLi112ELi32ELi128ELNS_18Fp8KVCacheDataTypeE1ELb0ELi512EEEvPfS2_PT_PKS3_PKT0_S9_ifPKiSB_iPKfiiiSD_SD_iiiii
	.type	_ZN4vllm22paged_attention_kernelIthLi112ELi32ELi128ELNS_18Fp8KVCacheDataTypeE1ELb0ELi512EEEvPfS2_PT_PKS3_PKT0_S9_ifPKiSB_iPKfiiiSD_SD_iiiii,@function
_ZN4vllm22paged_attention_kernelIthLi112ELi32ELi128ELNS_18Fp8KVCacheDataTypeE1ELb0ELi512EEEvPfS2_PT_PKS3_PKT0_S9_ifPKiSB_iPKfiiiSD_SD_iiiii: ; @_ZN4vllm22paged_attention_kernelIthLi112ELi32ELi128ELNS_18Fp8KVCacheDataTypeE1ELb0ELi512EEEvPfS2_PT_PKS3_PKT0_S9_ifPKiSB_iPKfiiiSD_SD_iiiii
; %bb.0:
	s_waitcnt vmcnt(0) expcnt(0) lgkmcnt(0)
	s_or_saveexec_b64 s[4:5], -1
	buffer_store_dword v63, off, s[0:3], s32 offset:136 ; 4-byte Folded Spill
	s_mov_b64 exec, s[4:5]
	buffer_store_dword v40, off, s[0:3], s32 offset:120 ; 4-byte Folded Spill
	buffer_store_dword v41, off, s[0:3], s32 offset:116 ; 4-byte Folded Spill
	;; [unrolled: 1-line block ×30, first 2 shown]
	buffer_store_dword a47, off, s[0:3], s32 ; 4-byte Folded Spill
	v_writelane_b32 v63, s34, 0
	v_writelane_b32 v63, s35, 1
	;; [unrolled: 1-line block ×8, first 2 shown]
	s_mov_b32 s22, s13
	s_ashr_i32 s23, s13, 31
	s_lshl_b64 s[4:5], s[22:23], 2
	v_accvgpr_write_b32 a26, v13
	v_mov_b32_e32 v13, s5
	v_add_co_u32_e32 v16, vcc, s4, v16
	v_addc_co_u32_e32 v17, vcc, v17, v13, vcc
	flat_load_dword v16, v[16:17]
	v_accvgpr_write_b32 a4, v26
	v_accvgpr_write_b32 a24, v24
	s_lshl_b32 s23, s14, 9
	v_accvgpr_write_b32 a5, v27
	v_accvgpr_write_b32 a25, v25
	;; [unrolled: 1-line block ×3, first 2 shown]
	v_mov_b32_e32 v29, v20
	v_mov_b32_e32 v28, v19
	v_accvgpr_write_b32 a27, v15
	v_accvgpr_write_b32 a29, v14
	s_waitcnt vmcnt(0) lgkmcnt(0)
	v_accvgpr_write_b32 a8, v16
	v_cmp_lt_i32_e32 vcc, s23, v16
	s_and_saveexec_b64 s[16:17], vcc
	s_cbranch_execz .LBB317_744
; %bb.1:
	v_accvgpr_write_b32 a13, v0
	v_sub_u32_e32 v0, 0, v12
	v_max_i32_e32 v0, v12, v0
	v_accvgpr_write_b32 a12, v1
	v_cvt_f32_u32_e32 v1, v0
	s_load_dword s4, s[8:9], 0x10
	s_load_dword s6, s[8:9], 0x0
	v_accvgpr_write_b32 a14, v3
	v_sub_u32_e32 v3, 0, v0
	v_rcp_iflag_f32_e32 v1, v1
	s_waitcnt lgkmcnt(0)
	s_lshr_b32 s4, s4, 16
	s_cmp_lg_u32 s4, 0
	s_cselect_b64 s[4:5], -1, 0
	v_mul_f32_e32 v1, 0x4f7ffffe, v1
	v_cvt_u32_f32_e32 v1, v1
	s_cmp_lg_u64 s[4:5], 0
	s_mov_b32 s18, s15
	s_addc_u32 s15, s6, 0
	v_mul_lo_u32 v3, v3, v1
	v_mul_hi_u32 v3, v1, v3
	s_abs_i32 s4, s15
	v_add_u32_e32 v1, v1, v3
	v_mul_hi_u32 v1, s4, v1
	v_mul_lo_u32 v3, v1, v0
	v_sub_u32_e32 v3, s4, v3
	v_accvgpr_write_b32 a1, v4
	v_add_u32_e32 v4, 1, v1
	v_cmp_ge_u32_e32 vcc, v3, v0
	v_cndmask_b32_e32 v1, v1, v4, vcc
	v_sub_u32_e32 v4, v3, v0
	v_cndmask_b32_e32 v3, v3, v4, vcc
	v_accvgpr_write_b32 a15, v2
	v_xor_b32_e32 v2, s15, v12
	v_add_u32_e32 v4, 1, v1
	v_cmp_ge_u32_e32 vcc, v3, v0
	v_ashrrev_i32_e32 v2, 31, v2
	v_cndmask_b32_e32 v0, v1, v4, vcc
	v_xor_b32_e32 v0, v0, v2
	v_sub_u32_e32 v1, v0, v2
	v_sub_u32_e32 v0, 0, v1
	v_max_i32_e32 v0, v1, v0
	v_cvt_f32_u32_e32 v2, v0
	v_sub_u32_e32 v3, 0, v0
	s_abs_i32 s6, s12
	v_accvgpr_write_b32 a9, v10
	v_rcp_iflag_f32_e32 v2, v2
	v_accvgpr_write_b32 a7, v11
	v_accvgpr_write_b32 a0, v5
	v_cmp_ne_u64_e32 vcc, 0, v[28:29]
	v_mul_f32_e32 v2, 0x4f7ffffe, v2
	v_cvt_u32_f32_e32 v2, v2
	v_mul_lo_u32 v3, v3, v2
	v_mul_hi_u32 v3, v2, v3
	v_add_u32_e32 v2, v2, v3
	v_mad_u64_u32 v[32:33], s[4:5], s6, v2, 0
	v_mov_b32_e32 v2, 0
	buffer_store_dword v2, off, s[0:3], s32 offset:132 ; 4-byte Folded Spill
	s_and_saveexec_b64 s[4:5], vcc
	s_cbranch_execz .LBB317_3
; %bb.2:
	s_ashr_i32 s13, s12, 31
	s_lshl_b64 s[10:11], s[12:13], 2
	v_mov_b32_e32 v3, s11
	v_add_co_u32_e32 v2, vcc, s10, v28
	v_addc_co_u32_e32 v3, vcc, v29, v3, vcc
	flat_load_dword v2, v[2:3]
	s_waitcnt vmcnt(0) lgkmcnt(0)
	buffer_store_dword v2, off, s[0:3], s32 offset:132 ; 4-byte Folded Spill
.LBB317_3:
	s_or_b64 exec, exec, s[4:5]
	v_and_b32_e32 v10, 0x3ff, v31
	v_lshlrev_b32_e32 v3, 3, v10
	s_ashr_i32 s7, s12, 31
	v_ashrrev_i32_e32 v2, 31, v1
	v_and_b32_e32 v1, 1, v10
	s_movk_i32 s10, 0x70
	s_mul_i32 s20, s12, 0x70
	v_cmp_gt_u32_e32 vcc, 28, v10
	v_accvgpr_write_b32 a16, v3
	s_and_saveexec_b64 s[4:5], vcc
	s_cbranch_execz .LBB317_5
; %bb.4:
	v_mul_lo_u32 v4, s22, v21
	v_ashrrev_i32_e32 v5, 31, v4
	v_lshlrev_b64 v[4:5], 1, v[4:5]
	v_add_co_u32_e32 v3, vcc, v6, v4
	s_ashr_i32 s21, s20, 31
	v_addc_co_u32_e32 v4, vcc, v7, v5, vcc
	s_lshl_b64 s[24:25], s[20:21], 1
	v_mov_b32_e32 v5, s25
	v_add_co_u32_e32 v3, vcc, s24, v3
	v_addc_co_u32_e32 v5, vcc, v4, v5, vcc
	v_accvgpr_read_b32 v4, a16
	v_add_co_u32_e32 v4, vcc, v3, v4
	v_addc_co_u32_e32 v5, vcc, 0, v5, vcc
	flat_load_dwordx2 v[4:5], v[4:5]
	v_lshlrev_b32_e32 v3, 2, v10
	v_and_b32_e32 v3, 0xff8, v3
	v_mad_u32_u24 v3, v1, s10, v3
	s_waitcnt vmcnt(0) lgkmcnt(0)
	ds_write_b64 v3, v[4:5]
.LBB317_5:
	s_or_b64 exec, exec, s[4:5]
	v_accvgpr_read_b32 v4, a8
	v_add_u32_e32 v3, 31, v4
	v_ashrrev_i32_e32 v4, 31, v3
	v_lshrrev_b32_e32 v4, 27, v4
	v_add_u32_e32 v3, v3, v4
	s_lshl_b32 s21, s14, 4
	v_ashrrev_i32_e32 v3, 5, v3
	s_add_i32 s4, s21, 16
	v_accvgpr_write_b32 a18, v3
	v_min_i32_e32 v6, s4, v3
	v_mul_lo_u32 v3, v33, v0
	v_sub_u32_e32 v3, s6, v3
	v_add_u32_e32 v4, 1, v33
	v_cmp_ge_u32_e32 vcc, v3, v0
	v_sub_u32_e32 v5, v3, v0
	v_cndmask_b32_e32 v4, v33, v4, vcc
	v_cndmask_b32_e32 v3, v3, v5, vcc
	v_add_u32_e32 v5, 1, v4
	v_cmp_ge_u32_e32 vcc, v3, v0
	v_xor_b32_e32 v2, s7, v2
	v_cndmask_b32_e32 v0, v4, v5, vcc
	v_lshrrev_b32_e32 v7, 6, v10
	v_xor_b32_e32 v0, v0, v2
	v_sub_u32_e32 v3, v0, v2
	v_mul_lo_u32 v18, s22, v18
	v_or_b32_e32 v0, s21, v7
	v_accvgpr_write_b32 a2, v10
	v_ashrrev_i32_e32 v19, 31, v18
	v_accvgpr_write_b32 a17, v7
	v_cmp_lt_i32_e64 s[4:5], v0, v6
	v_accvgpr_write_b32 a3, v6
	v_mov_b32_e32 v4, v0
	v_cmp_ge_i32_e32 vcc, v0, v6
	v_mbcnt_lo_u32_b32 v2, -1, 0
	s_waitcnt lgkmcnt(0)
	s_barrier
	s_waitcnt lgkmcnt(0)
                                        ; implicit-def: $sgpr19
                                        ; implicit-def: $agpr28
                                        ; implicit-def: $vgpr0
	s_and_saveexec_b64 s[6:7], vcc
	s_xor_b64 s[6:7], exec, s[6:7]
; %bb.6:
	v_mbcnt_hi_u32_b32 v0, -1, v2
	v_accvgpr_write_b32 a28, v0
	v_and_b32_e32 v0, 64, v0
	v_add_u32_e32 v0, 64, v0
	s_mov_b32 s19, 0xff7fffff
                                        ; implicit-def: $vgpr1
                                        ; kill: killed $vgpr1
                                        ; implicit-def: $agpr26
                                        ; implicit-def: $agpr24
                                        ; implicit-def: $vgpr8
                                        ; implicit-def: $vgpr9
                                        ; implicit-def: $vgpr1
                                        ; implicit-def: $vgpr2
; %bb.7:
	s_or_saveexec_b64 s[10:11], s[6:7]
	v_mov_b32_e32 v5, s19
	s_load_dword s36, s[8:9], 0x14
	s_load_dword s13, s[8:9], 0x8
	buffer_store_dword v5, off, s[0:3], s32 offset:128 ; 4-byte Folded Spill
	v_mul_lo_u32 v3, v3, v23
	v_ashrrev_i32_e32 v5, 31, v4
	v_accvgpr_write_b32 a11, v5
	v_accvgpr_write_b32 a22, v3
	v_ashrrev_i32_e32 v3, 31, v3
	v_accvgpr_write_b32 a10, v4
	v_accvgpr_write_b32 a23, v3
	v_lshlrev_b64 v[4:5], 2, v[18:19]
	v_accvgpr_read_b32 v3, a17
	v_accvgpr_write_b32 a21, v5
	v_lshlrev_b32_e32 v3, 5, v3
	v_accvgpr_write_b32 a20, v4
	v_accvgpr_write_b32 a19, v3
	s_xor_b64 exec, exec, s[10:11]
	s_cbranch_execz .LBB317_349
; %bb.8:
	v_accvgpr_read_b32 v0, a2
	v_bfe_u32 v3, v0, 1, 5
	v_accvgpr_read_b32 v0, a22
	v_add_co_u32_e32 v0, vcc, v8, v0
	v_accvgpr_read_b32 v4, a23
	v_addc_co_u32_e32 v4, vcc, v9, v4, vcc
	v_lshlrev_b32_e32 v5, 4, v3
	v_add_co_u32_e32 v6, vcc, v0, v5
	v_lshlrev_b32_e32 v0, 2, v1
	v_accvgpr_write_b32 a32, v0
	v_mul_u32_u24_e32 v0, 0x70, v1
	v_accvgpr_write_b32 a33, v0
	buffer_load_dword v0, off, s[0:3], s32 offset:132 ; 4-byte Folded Reload
	s_ashr_i32 s19, s18, 31
	v_addc_co_u32_e32 v7, vcc, 0, v4, vcc
	s_lshl_b64 s[8:9], s[18:19], 2
	v_accvgpr_read_b32 v4, a10
	v_accvgpr_write_b32 a31, v7
	s_getpc_b64 s[24:25]
	s_add_u32 s24, s24, llvm.amdgcn.dynlds.offset.table@rel32@lo+4
	s_addc_u32 s25, s25, llvm.amdgcn.dynlds.offset.table@rel32@hi+12
	v_accvgpr_read_b32 v5, a11
	v_accvgpr_write_b32 a30, v6
	v_cmp_eq_u32_e32 vcc, 0, v1
	s_add_u32 s24, s8, s24
	v_accvgpr_read_b32 v6, a20
	s_addc_u32 s25, s9, s25
	v_accvgpr_read_b32 v7, a21
	s_mov_b64 s[26:27], 0
	s_movk_i32 s19, 0x80
	s_movk_i32 s37, 0x7f
	s_mov_b32 s38, 0x8000
	s_mov_b32 s39, 0xffffff
	v_mov_b32_e32 v8, v4
	s_waitcnt vmcnt(0)
	v_cmp_neq_f32_e64 s[6:7], 0, v0
	v_lshlrev_b64 v[0:1], 2, v[4:5]
	v_add_co_u32_e64 v0, s[8:9], v6, v0
	v_addc_co_u32_e64 v1, s[8:9], v7, v1, s[8:9]
	v_accvgpr_read_b32 v5, a29
	v_add_co_u32_e64 v6, s[8:9], v5, v0
	v_accvgpr_read_b32 v0, a27
	v_addc_co_u32_e64 v7, s[8:9], v0, v1, s[8:9]
	v_accvgpr_read_b32 v0, a8
	v_sub_u32_e32 v0, 1, v0
	v_accvgpr_write_b32 a36, v0
	v_accvgpr_read_b32 v0, a19
	v_add3_u32 v0, s23, v0, v3
	v_accvgpr_write_b32 a37, v0
	v_lshlrev_b32_e32 v0, 2, v3
	v_accvgpr_read_b32 v1, a17
	v_lshl_or_b32 v0, v1, 7, v0
	v_accvgpr_write_b32 a38, v0
	v_mov_b32_e32 v0, 0xff7fffff
	buffer_store_dword v0, off, s[0:3], s32 offset:128 ; 4-byte Folded Spill
	v_mbcnt_hi_u32_b32 v0, -1, v2
	v_accvgpr_write_b32 a28, v0
	s_branch .LBB317_10
.LBB317_9:                              ;   in Loop: Header=BB317_10 Depth=1
	s_or_b64 exec, exec, s[28:29]
	v_accvgpr_read_b32 v6, a34
	v_accvgpr_read_b32 v1, a37
	;; [unrolled: 1-line block ×3, first 2 shown]
	v_add_co_u32_e64 v6, s[8:9], 8, v6
	v_add_u32_e32 v1, 64, v1
	v_add_u32_e32 v8, 2, v8
	v_addc_co_u32_e64 v7, s[8:9], 0, v7, s[8:9]
	v_accvgpr_write_b32 a37, v1
	v_accvgpr_read_b32 v1, a3
	v_cmp_ge_i32_e64 s[8:9], v8, v1
	v_accvgpr_read_b32 v1, a38
	v_add_u32_e32 v1, 0x100, v1
	s_or_b64 s[26:27], s[8:9], s[26:27]
	v_accvgpr_write_b32 a38, v1
	s_andn2_b64 exec, exec, s[26:27]
	s_cbranch_execz .LBB317_348
.LBB317_10:                             ; =>This Inner Loop Header: Depth=1
	flat_load_dword v0, v[6:7]
	v_accvgpr_read_b32 v4, a30
	s_waitcnt lgkmcnt(0)
	v_accvgpr_read_b32 v2, a6
	v_accvgpr_read_b32 v5, a31
	v_accvgpr_write_b32 a35, v7
	v_accvgpr_write_b32 a39, v8
	;; [unrolled: 1-line block ×3, first 2 shown]
	s_waitcnt vmcnt(0) lgkmcnt(0)
	v_mad_i64_i32 v[0:1], s[8:9], v0, v2, v[4:5]
	v_accvgpr_read_b32 v2, a32
	v_add_co_u32_e64 v28, s[8:9], v0, v2
	v_addc_co_u32_e64 v29, s[8:9], 0, v1, s[8:9]
	v_accvgpr_read_b32 v0, a24
	flat_load_dword v30, v[28:29]
	v_accvgpr_read_b32 v1, a25
	flat_load_dword v40, v[0:1]
	v_mov_b32_e32 v0, 0
	s_waitcnt vmcnt(0) lgkmcnt(0)
	v_cmp_ne_u16_sdwa s[8:9], v30, v0 src0_sel:BYTE_0 src1_sel:DWORD
	v_mov_b32_e32 v0, 0
	buffer_store_dword v0, off, s[0:3], s32 offset:124 ; 4-byte Folded Spill
	s_and_saveexec_b64 s[28:29], s[8:9]
	s_cbranch_execz .LBB317_16
; %bb.11:                               ;   in Loop: Header=BB317_10 Depth=1
	v_cmp_ne_u16_sdwa s[8:9], v30, s19 src0_sel:BYTE_0 src1_sel:DWORD
	v_bfrev_b32_e32 v0, 1
	buffer_store_dword v0, off, s[0:3], s32 offset:124 ; 4-byte Folded Spill
	s_and_saveexec_b64 s[30:31], s[8:9]
	s_cbranch_execz .LBB317_15
; %bb.12:                               ;   in Loop: Header=BB317_10 Depth=1
	v_and_b32_e32 v0, 0x7f, v30
	v_cmp_ne_u32_e64 s[8:9], s37, v0
	v_mov_b32_e32 v1, 0x7fc02000
	buffer_store_dword v1, off, s[0:3], s32 offset:124 ; 4-byte Folded Spill
	s_and_saveexec_b64 s[34:35], s[8:9]
	s_cbranch_execz .LBB317_14
; %bb.13:                               ;   in Loop: Header=BB317_10 Depth=1
	v_and_b32_e32 v1, 7, v30
	v_ffbh_u32_e32 v2, v1
	v_min_u32_e32 v5, 32, v2
	v_subrev_u32_e32 v2, 28, v5
	v_lshlrev_b64 v[2:3], v2, v[30:31]
	v_lshrrev_b32_e32 v4, 3, v0
	v_sub_u32_e32 v3, 29, v5
	v_cmp_gt_u32_e64 s[8:9], 8, v0
	v_and_b32_e32 v2, 7, v2
	v_cndmask_b32_e64 v0, v4, v3, s[8:9]
	v_mov_b32_e32 v3, 0x2000
	v_cndmask_b32_e64 v1, v1, v2, s[8:9]
	v_lshlrev_b32_e32 v2, 8, v30
	v_lshl_add_u32 v0, v0, 10, v3
	v_and_or_b32 v0, v2, s38, v0
	v_lshl_or_b32 v0, v1, 7, v0
	v_cvt_f32_f16_e32 v0, v0
	buffer_store_dword v0, off, s[0:3], s32 offset:124 ; 4-byte Folded Spill
.LBB317_14:                             ;   in Loop: Header=BB317_10 Depth=1
	s_or_b64 exec, exec, s[34:35]
.LBB317_15:                             ;   in Loop: Header=BB317_10 Depth=1
	s_or_b64 exec, exec, s[30:31]
.LBB317_16:                             ;   in Loop: Header=BB317_10 Depth=1
	s_or_b64 exec, exec, s[28:29]
	v_lshrrev_b16_e32 v32, 8, v30
	v_cmp_ne_u16_e64 s[8:9], 0, v32
	v_mov_b32_e32 v15, 0
	s_and_saveexec_b64 s[28:29], s[8:9]
	s_cbranch_execz .LBB317_22
; %bb.17:                               ;   in Loop: Header=BB317_10 Depth=1
	v_cmp_ne_u16_e64 s[8:9], s19, v32
	v_bfrev_b32_e32 v15, 1
	s_and_saveexec_b64 s[30:31], s[8:9]
	s_cbranch_execz .LBB317_21
; %bb.18:                               ;   in Loop: Header=BB317_10 Depth=1
	v_and_b32_e32 v0, 0x7f, v32
	v_cmp_ne_u32_e64 s[8:9], s37, v0
	v_mov_b32_e32 v15, 0x7fc02000
	s_and_saveexec_b64 s[34:35], s[8:9]
	s_cbranch_execz .LBB317_20
; %bb.19:                               ;   in Loop: Header=BB317_10 Depth=1
	v_and_b32_e32 v1, 7, v32
	v_ffbh_u32_e32 v2, v1
	v_min_u32_e32 v5, 32, v2
	v_subrev_u32_e32 v2, 28, v5
	v_lshlrev_b64 v[2:3], v2, v[32:33]
	v_lshrrev_b32_e32 v4, 3, v0
	v_sub_u32_e32 v3, 29, v5
	v_cmp_gt_u32_e64 s[8:9], 8, v0
	v_and_b32_e32 v2, 7, v2
	v_cndmask_b32_e64 v0, v4, v3, s[8:9]
	v_mov_b32_e32 v3, 0x2000
	v_cndmask_b32_e64 v1, v1, v2, s[8:9]
	v_lshlrev_b32_e32 v2, 8, v32
	v_lshl_add_u32 v0, v0, 10, v3
	v_and_or_b32 v0, v2, s38, v0
	v_lshl_or_b32 v0, v1, 7, v0
	v_cvt_f32_f16_e32 v15, v0
.LBB317_20:                             ;   in Loop: Header=BB317_10 Depth=1
	s_or_b64 exec, exec, s[34:35]
.LBB317_21:                             ;   in Loop: Header=BB317_10 Depth=1
	s_or_b64 exec, exec, s[30:31]
.LBB317_22:                             ;   in Loop: Header=BB317_10 Depth=1
	s_or_b64 exec, exec, s[28:29]
	v_lshrrev_b32_e32 v32, 16, v30
	v_mov_b32_e32 v0, 0
	v_cmp_ne_u16_sdwa s[8:9], v32, v0 src0_sel:BYTE_0 src1_sel:DWORD
	v_mov_b32_e32 v39, 0
	v_mov_b32_e32 v31, 0
	s_and_saveexec_b64 s[28:29], s[8:9]
	s_cbranch_execz .LBB317_28
; %bb.23:                               ;   in Loop: Header=BB317_10 Depth=1
	v_cmp_ne_u16_sdwa s[8:9], v32, s19 src0_sel:BYTE_0 src1_sel:DWORD
	v_bfrev_b32_e32 v31, 1
	s_and_saveexec_b64 s[30:31], s[8:9]
	s_cbranch_execz .LBB317_27
; %bb.24:                               ;   in Loop: Header=BB317_10 Depth=1
	v_bfe_u32 v0, v30, 16, 7
	v_cmp_ne_u32_e64 s[8:9], s37, v0
	v_mov_b32_e32 v31, 0x7fc02000
	s_and_saveexec_b64 s[34:35], s[8:9]
	s_cbranch_execz .LBB317_26
; %bb.25:                               ;   in Loop: Header=BB317_10 Depth=1
	v_and_b32_e32 v1, 7, v32
	v_ffbh_u32_e32 v2, v1
	v_min_u32_e32 v5, 32, v2
	v_subrev_u32_e32 v2, 28, v5
	v_lshlrev_b64 v[2:3], v2, v[32:33]
	v_lshrrev_b32_e32 v4, 3, v0
	v_sub_u32_e32 v3, 29, v5
	v_cmp_gt_u32_e64 s[8:9], 8, v0
	v_and_b32_e32 v2, 7, v2
	v_cndmask_b32_e64 v0, v4, v3, s[8:9]
	v_mov_b32_e32 v3, 0x2000
	v_cndmask_b32_e64 v1, v1, v2, s[8:9]
	v_lshlrev_b32_e32 v2, 8, v32
	v_lshl_add_u32 v0, v0, 10, v3
	v_and_or_b32 v0, v2, s38, v0
	v_lshl_or_b32 v0, v1, 7, v0
	v_cvt_f32_f16_e32 v31, v0
.LBB317_26:                             ;   in Loop: Header=BB317_10 Depth=1
	s_or_b64 exec, exec, s[34:35]
.LBB317_27:                             ;   in Loop: Header=BB317_10 Depth=1
	s_or_b64 exec, exec, s[30:31]
.LBB317_28:                             ;   in Loop: Header=BB317_10 Depth=1
	s_or_b64 exec, exec, s[28:29]
	v_cmp_lt_u32_e64 s[8:9], s39, v30
	s_and_saveexec_b64 s[28:29], s[8:9]
	s_cbranch_execz .LBB317_34
; %bb.29:                               ;   in Loop: Header=BB317_10 Depth=1
	v_lshrrev_b32_e32 v30, 24, v30
	v_cmp_ne_u32_e64 s[8:9], s19, v30
	v_bfrev_b32_e32 v39, 1
	s_and_saveexec_b64 s[30:31], s[8:9]
	s_cbranch_execz .LBB317_33
; %bb.30:                               ;   in Loop: Header=BB317_10 Depth=1
	v_and_b32_e32 v0, 0x7f, v30
	v_cmp_ne_u32_e64 s[8:9], s37, v0
	v_mov_b32_e32 v39, 0x7fc02000
	s_and_saveexec_b64 s[34:35], s[8:9]
	s_cbranch_execz .LBB317_32
; %bb.31:                               ;   in Loop: Header=BB317_10 Depth=1
	v_and_b32_e32 v1, 7, v30
	v_ffbh_u32_e32 v2, v1
	v_min_u32_e32 v5, 32, v2
	v_subrev_u32_e32 v2, 28, v5
	v_lshlrev_b64 v[2:3], v2, v[30:31]
	v_lshrrev_b32_e32 v4, 3, v0
	v_sub_u32_e32 v3, 29, v5
	v_cmp_gt_u32_e64 s[8:9], 8, v0
	v_and_b32_e32 v2, 7, v2
	v_cndmask_b32_e64 v0, v4, v3, s[8:9]
	v_mov_b32_e32 v3, 0x2000
	v_cndmask_b32_e64 v1, v1, v2, s[8:9]
	v_lshlrev_b32_e32 v2, 8, v30
	v_lshl_add_u32 v0, v0, 10, v3
	v_and_or_b32 v0, v2, s38, v0
	v_lshl_or_b32 v0, v1, 7, v0
	v_cvt_f32_f16_e32 v39, v0
.LBB317_32:                             ;   in Loop: Header=BB317_10 Depth=1
	s_or_b64 exec, exec, s[34:35]
.LBB317_33:                             ;   in Loop: Header=BB317_10 Depth=1
	s_or_b64 exec, exec, s[30:31]
.LBB317_34:                             ;   in Loop: Header=BB317_10 Depth=1
	s_or_b64 exec, exec, s[28:29]
	flat_load_dword v30, v[28:29] offset:8
	v_mov_b32_e32 v0, 0
	v_mov_b32_e32 v50, 0
	;; [unrolled: 1-line block ×3, first 2 shown]
	s_waitcnt vmcnt(0) lgkmcnt(0)
	v_cmp_ne_u16_sdwa s[8:9], v30, v0 src0_sel:BYTE_0 src1_sel:DWORD
	s_and_saveexec_b64 s[28:29], s[8:9]
	s_cbranch_execz .LBB317_40
; %bb.35:                               ;   in Loop: Header=BB317_10 Depth=1
	v_cmp_ne_u16_sdwa s[8:9], v30, s19 src0_sel:BYTE_0 src1_sel:DWORD
	v_bfrev_b32_e32 v37, 1
	s_and_saveexec_b64 s[30:31], s[8:9]
	s_cbranch_execz .LBB317_39
; %bb.36:                               ;   in Loop: Header=BB317_10 Depth=1
	v_and_b32_e32 v0, 0x7f, v30
	v_cmp_ne_u32_e64 s[8:9], s37, v0
	v_mov_b32_e32 v37, 0x7fc02000
	s_and_saveexec_b64 s[34:35], s[8:9]
	s_cbranch_execz .LBB317_38
; %bb.37:                               ;   in Loop: Header=BB317_10 Depth=1
	v_and_b32_e32 v1, 7, v30
	v_ffbh_u32_e32 v2, v1
	v_min_u32_e32 v5, 32, v2
	v_subrev_u32_e32 v2, 28, v5
	v_lshlrev_b64 v[2:3], v2, v[30:31]
	v_lshrrev_b32_e32 v4, 3, v0
	v_sub_u32_e32 v3, 29, v5
	v_cmp_gt_u32_e64 s[8:9], 8, v0
	v_and_b32_e32 v2, 7, v2
	v_cndmask_b32_e64 v0, v4, v3, s[8:9]
	v_mov_b32_e32 v3, 0x2000
	v_cndmask_b32_e64 v1, v1, v2, s[8:9]
	v_lshlrev_b32_e32 v2, 8, v30
	v_lshl_add_u32 v0, v0, 10, v3
	v_and_or_b32 v0, v2, s38, v0
	v_lshl_or_b32 v0, v1, 7, v0
	v_cvt_f32_f16_e32 v37, v0
.LBB317_38:                             ;   in Loop: Header=BB317_10 Depth=1
	s_or_b64 exec, exec, s[34:35]
.LBB317_39:                             ;   in Loop: Header=BB317_10 Depth=1
	s_or_b64 exec, exec, s[30:31]
.LBB317_40:                             ;   in Loop: Header=BB317_10 Depth=1
	s_or_b64 exec, exec, s[28:29]
	v_lshrrev_b16_e32 v32, 8, v30
	v_cmp_ne_u16_e64 s[8:9], 0, v32
	s_and_saveexec_b64 s[28:29], s[8:9]
	s_cbranch_execz .LBB317_46
; %bb.41:                               ;   in Loop: Header=BB317_10 Depth=1
	v_cmp_ne_u16_e64 s[8:9], s19, v32
	v_bfrev_b32_e32 v50, 1
	s_and_saveexec_b64 s[30:31], s[8:9]
	s_cbranch_execz .LBB317_45
; %bb.42:                               ;   in Loop: Header=BB317_10 Depth=1
	v_and_b32_e32 v0, 0x7f, v32
	v_cmp_ne_u32_e64 s[8:9], s37, v0
	v_mov_b32_e32 v50, 0x7fc02000
	s_and_saveexec_b64 s[34:35], s[8:9]
	s_cbranch_execz .LBB317_44
; %bb.43:                               ;   in Loop: Header=BB317_10 Depth=1
	v_and_b32_e32 v1, 7, v32
	v_ffbh_u32_e32 v2, v1
	v_min_u32_e32 v5, 32, v2
	v_subrev_u32_e32 v2, 28, v5
	v_lshlrev_b64 v[2:3], v2, v[32:33]
	v_lshrrev_b32_e32 v4, 3, v0
	v_sub_u32_e32 v3, 29, v5
	v_cmp_gt_u32_e64 s[8:9], 8, v0
	v_and_b32_e32 v2, 7, v2
	v_cndmask_b32_e64 v0, v4, v3, s[8:9]
	v_mov_b32_e32 v3, 0x2000
	v_cndmask_b32_e64 v1, v1, v2, s[8:9]
	v_lshlrev_b32_e32 v2, 8, v32
	v_lshl_add_u32 v0, v0, 10, v3
	v_and_or_b32 v0, v2, s38, v0
	v_lshl_or_b32 v0, v1, 7, v0
	v_cvt_f32_f16_e32 v50, v0
.LBB317_44:                             ;   in Loop: Header=BB317_10 Depth=1
	s_or_b64 exec, exec, s[34:35]
.LBB317_45:                             ;   in Loop: Header=BB317_10 Depth=1
	s_or_b64 exec, exec, s[30:31]
.LBB317_46:                             ;   in Loop: Header=BB317_10 Depth=1
	s_or_b64 exec, exec, s[28:29]
	v_lshrrev_b32_e32 v32, 16, v30
	v_mov_b32_e32 v0, 0
	v_cmp_ne_u16_sdwa s[8:9], v32, v0 src0_sel:BYTE_0 src1_sel:DWORD
	v_mov_b32_e32 v14, 0
	v_mov_b32_e32 v55, 0
	s_and_saveexec_b64 s[28:29], s[8:9]
	s_cbranch_execz .LBB317_52
; %bb.47:                               ;   in Loop: Header=BB317_10 Depth=1
	v_cmp_ne_u16_sdwa s[8:9], v32, s19 src0_sel:BYTE_0 src1_sel:DWORD
	v_bfrev_b32_e32 v55, 1
	s_and_saveexec_b64 s[30:31], s[8:9]
	s_cbranch_execz .LBB317_51
; %bb.48:                               ;   in Loop: Header=BB317_10 Depth=1
	v_bfe_u32 v0, v30, 16, 7
	v_cmp_ne_u32_e64 s[8:9], s37, v0
	v_mov_b32_e32 v55, 0x7fc02000
	s_and_saveexec_b64 s[34:35], s[8:9]
	s_cbranch_execz .LBB317_50
; %bb.49:                               ;   in Loop: Header=BB317_10 Depth=1
	v_and_b32_e32 v1, 7, v32
	v_ffbh_u32_e32 v2, v1
	v_min_u32_e32 v5, 32, v2
	v_subrev_u32_e32 v2, 28, v5
	v_lshlrev_b64 v[2:3], v2, v[32:33]
	v_lshrrev_b32_e32 v4, 3, v0
	v_sub_u32_e32 v3, 29, v5
	v_cmp_gt_u32_e64 s[8:9], 8, v0
	v_and_b32_e32 v2, 7, v2
	v_cndmask_b32_e64 v0, v4, v3, s[8:9]
	v_mov_b32_e32 v3, 0x2000
	v_cndmask_b32_e64 v1, v1, v2, s[8:9]
	v_lshlrev_b32_e32 v2, 8, v32
	v_lshl_add_u32 v0, v0, 10, v3
	v_and_or_b32 v0, v2, s38, v0
	v_lshl_or_b32 v0, v1, 7, v0
	v_cvt_f32_f16_e32 v55, v0
.LBB317_50:                             ;   in Loop: Header=BB317_10 Depth=1
	s_or_b64 exec, exec, s[34:35]
.LBB317_51:                             ;   in Loop: Header=BB317_10 Depth=1
	s_or_b64 exec, exec, s[30:31]
.LBB317_52:                             ;   in Loop: Header=BB317_10 Depth=1
	s_or_b64 exec, exec, s[28:29]
	v_cmp_lt_u32_e64 s[8:9], s39, v30
	s_and_saveexec_b64 s[28:29], s[8:9]
	s_cbranch_execz .LBB317_58
; %bb.53:                               ;   in Loop: Header=BB317_10 Depth=1
	v_lshrrev_b32_e32 v30, 24, v30
	v_cmp_ne_u32_e64 s[8:9], s19, v30
	v_bfrev_b32_e32 v14, 1
	s_and_saveexec_b64 s[30:31], s[8:9]
	s_cbranch_execz .LBB317_57
; %bb.54:                               ;   in Loop: Header=BB317_10 Depth=1
	v_and_b32_e32 v0, 0x7f, v30
	v_cmp_ne_u32_e64 s[8:9], s37, v0
	v_mov_b32_e32 v14, 0x7fc02000
	s_and_saveexec_b64 s[34:35], s[8:9]
	s_cbranch_execz .LBB317_56
; %bb.55:                               ;   in Loop: Header=BB317_10 Depth=1
	v_and_b32_e32 v1, 7, v30
	v_ffbh_u32_e32 v2, v1
	v_min_u32_e32 v5, 32, v2
	v_subrev_u32_e32 v2, 28, v5
	v_lshlrev_b64 v[2:3], v2, v[30:31]
	v_lshrrev_b32_e32 v4, 3, v0
	v_sub_u32_e32 v3, 29, v5
	v_cmp_gt_u32_e64 s[8:9], 8, v0
	v_and_b32_e32 v2, 7, v2
	v_cndmask_b32_e64 v0, v4, v3, s[8:9]
	v_mov_b32_e32 v3, 0x2000
	v_cndmask_b32_e64 v1, v1, v2, s[8:9]
	v_lshlrev_b32_e32 v2, 8, v30
	v_lshl_add_u32 v0, v0, 10, v3
	v_and_or_b32 v0, v2, s38, v0
	v_lshl_or_b32 v0, v1, 7, v0
	v_cvt_f32_f16_e32 v14, v0
.LBB317_56:                             ;   in Loop: Header=BB317_10 Depth=1
	s_or_b64 exec, exec, s[34:35]
.LBB317_57:                             ;   in Loop: Header=BB317_10 Depth=1
	s_or_b64 exec, exec, s[30:31]
.LBB317_58:                             ;   in Loop: Header=BB317_10 Depth=1
	s_or_b64 exec, exec, s[28:29]
	flat_load_dword v30, v[28:29] offset:512
	v_mov_b32_e32 v0, 0
	v_mov_b32_e32 v60, 0
	;; [unrolled: 1-line block ×3, first 2 shown]
	s_waitcnt vmcnt(0) lgkmcnt(0)
	v_cmp_ne_u16_sdwa s[8:9], v30, v0 src0_sel:BYTE_0 src1_sel:DWORD
	s_and_saveexec_b64 s[28:29], s[8:9]
	s_cbranch_execz .LBB317_64
; %bb.59:                               ;   in Loop: Header=BB317_10 Depth=1
	v_cmp_ne_u16_sdwa s[8:9], v30, s19 src0_sel:BYTE_0 src1_sel:DWORD
	v_bfrev_b32_e32 v56, 1
	s_and_saveexec_b64 s[30:31], s[8:9]
	s_cbranch_execz .LBB317_63
; %bb.60:                               ;   in Loop: Header=BB317_10 Depth=1
	v_and_b32_e32 v0, 0x7f, v30
	v_cmp_ne_u32_e64 s[8:9], s37, v0
	v_mov_b32_e32 v56, 0x7fc02000
	s_and_saveexec_b64 s[34:35], s[8:9]
	s_cbranch_execz .LBB317_62
; %bb.61:                               ;   in Loop: Header=BB317_10 Depth=1
	v_and_b32_e32 v1, 7, v30
	v_ffbh_u32_e32 v2, v1
	v_min_u32_e32 v5, 32, v2
	v_subrev_u32_e32 v2, 28, v5
	v_lshlrev_b64 v[2:3], v2, v[30:31]
	v_lshrrev_b32_e32 v4, 3, v0
	v_sub_u32_e32 v3, 29, v5
	v_cmp_gt_u32_e64 s[8:9], 8, v0
	v_and_b32_e32 v2, 7, v2
	v_cndmask_b32_e64 v0, v4, v3, s[8:9]
	v_mov_b32_e32 v3, 0x2000
	v_cndmask_b32_e64 v1, v1, v2, s[8:9]
	v_lshlrev_b32_e32 v2, 8, v30
	v_lshl_add_u32 v0, v0, 10, v3
	v_and_or_b32 v0, v2, s38, v0
	v_lshl_or_b32 v0, v1, 7, v0
	v_cvt_f32_f16_e32 v56, v0
.LBB317_62:                             ;   in Loop: Header=BB317_10 Depth=1
	s_or_b64 exec, exec, s[34:35]
.LBB317_63:                             ;   in Loop: Header=BB317_10 Depth=1
	s_or_b64 exec, exec, s[30:31]
.LBB317_64:                             ;   in Loop: Header=BB317_10 Depth=1
	s_or_b64 exec, exec, s[28:29]
	v_lshrrev_b16_e32 v32, 8, v30
	v_cmp_ne_u16_e64 s[8:9], 0, v32
	s_and_saveexec_b64 s[28:29], s[8:9]
	s_cbranch_execz .LBB317_70
; %bb.65:                               ;   in Loop: Header=BB317_10 Depth=1
	v_cmp_ne_u16_e64 s[8:9], s19, v32
	v_bfrev_b32_e32 v60, 1
	s_and_saveexec_b64 s[30:31], s[8:9]
	s_cbranch_execz .LBB317_69
; %bb.66:                               ;   in Loop: Header=BB317_10 Depth=1
	v_and_b32_e32 v0, 0x7f, v32
	v_cmp_ne_u32_e64 s[8:9], s37, v0
	v_mov_b32_e32 v60, 0x7fc02000
	s_and_saveexec_b64 s[34:35], s[8:9]
	s_cbranch_execz .LBB317_68
; %bb.67:                               ;   in Loop: Header=BB317_10 Depth=1
	v_and_b32_e32 v2, 7, v32
	v_lshrrev_b32_e32 v3, 3, v0
	v_cmp_gt_u32_e64 s[8:9], 8, v0
	v_ffbh_u32_e32 v0, v2
	v_min_u32_e32 v4, 32, v0
	v_subrev_u32_e32 v0, 28, v4
	v_lshlrev_b64 v[0:1], v0, v[32:33]
	v_sub_u32_e32 v1, 29, v4
	v_and_b32_e32 v0, 7, v0
	v_cndmask_b32_e64 v1, v3, v1, s[8:9]
	v_mov_b32_e32 v3, 0x2000
	v_cndmask_b32_e64 v0, v2, v0, s[8:9]
	v_lshlrev_b32_e32 v2, 8, v32
	v_lshl_add_u32 v1, v1, 10, v3
	v_and_or_b32 v1, v2, s38, v1
	v_lshl_or_b32 v0, v0, 7, v1
	v_cvt_f32_f16_e32 v60, v0
.LBB317_68:                             ;   in Loop: Header=BB317_10 Depth=1
	s_or_b64 exec, exec, s[34:35]
.LBB317_69:                             ;   in Loop: Header=BB317_10 Depth=1
	s_or_b64 exec, exec, s[30:31]
.LBB317_70:                             ;   in Loop: Header=BB317_10 Depth=1
	s_or_b64 exec, exec, s[28:29]
	v_lshrrev_b32_e32 v32, 16, v30
	v_mov_b32_e32 v0, 0
	v_cmp_ne_u16_sdwa s[8:9], v32, v0 src0_sel:BYTE_0 src1_sel:DWORD
	v_mov_b32_e32 v61, 0
	v_mov_b32_e32 v62, 0
	s_and_saveexec_b64 s[28:29], s[8:9]
	s_cbranch_execz .LBB317_76
; %bb.71:                               ;   in Loop: Header=BB317_10 Depth=1
	v_cmp_ne_u16_sdwa s[8:9], v32, s19 src0_sel:BYTE_0 src1_sel:DWORD
	v_bfrev_b32_e32 v62, 1
	s_and_saveexec_b64 s[30:31], s[8:9]
	s_cbranch_execz .LBB317_75
; %bb.72:                               ;   in Loop: Header=BB317_10 Depth=1
	v_bfe_u32 v0, v30, 16, 7
	v_cmp_ne_u32_e64 s[8:9], s37, v0
	v_mov_b32_e32 v62, 0x7fc02000
	s_and_saveexec_b64 s[34:35], s[8:9]
	s_cbranch_execz .LBB317_74
; %bb.73:                               ;   in Loop: Header=BB317_10 Depth=1
	v_and_b32_e32 v1, 7, v32
	v_ffbh_u32_e32 v2, v1
	v_min_u32_e32 v5, 32, v2
	v_subrev_u32_e32 v2, 28, v5
	v_lshlrev_b64 v[2:3], v2, v[32:33]
	v_lshrrev_b32_e32 v4, 3, v0
	v_sub_u32_e32 v3, 29, v5
	v_cmp_gt_u32_e64 s[8:9], 8, v0
	v_and_b32_e32 v2, 7, v2
	v_cndmask_b32_e64 v0, v4, v3, s[8:9]
	v_mov_b32_e32 v3, 0x2000
	v_cndmask_b32_e64 v1, v1, v2, s[8:9]
	v_lshlrev_b32_e32 v2, 8, v32
	v_lshl_add_u32 v0, v0, 10, v3
	v_and_or_b32 v0, v2, s38, v0
	v_lshl_or_b32 v0, v1, 7, v0
	v_cvt_f32_f16_e32 v62, v0
.LBB317_74:                             ;   in Loop: Header=BB317_10 Depth=1
	s_or_b64 exec, exec, s[34:35]
.LBB317_75:                             ;   in Loop: Header=BB317_10 Depth=1
	s_or_b64 exec, exec, s[30:31]
.LBB317_76:                             ;   in Loop: Header=BB317_10 Depth=1
	s_or_b64 exec, exec, s[28:29]
	v_cmp_lt_u32_e64 s[8:9], s39, v30
	s_and_saveexec_b64 s[28:29], s[8:9]
	s_cbranch_execz .LBB317_82
; %bb.77:                               ;   in Loop: Header=BB317_10 Depth=1
	v_lshrrev_b32_e32 v30, 24, v30
	v_cmp_ne_u32_e64 s[8:9], s19, v30
	v_bfrev_b32_e32 v61, 1
	s_and_saveexec_b64 s[30:31], s[8:9]
	s_cbranch_execz .LBB317_81
; %bb.78:                               ;   in Loop: Header=BB317_10 Depth=1
	v_and_b32_e32 v0, 0x7f, v30
	v_cmp_ne_u32_e64 s[8:9], s37, v0
	v_mov_b32_e32 v61, 0x7fc02000
	s_and_saveexec_b64 s[34:35], s[8:9]
	s_cbranch_execz .LBB317_80
; %bb.79:                               ;   in Loop: Header=BB317_10 Depth=1
	v_and_b32_e32 v1, 7, v30
	v_ffbh_u32_e32 v2, v1
	v_min_u32_e32 v5, 32, v2
	v_subrev_u32_e32 v2, 28, v5
	v_lshlrev_b64 v[2:3], v2, v[30:31]
	v_lshrrev_b32_e32 v4, 3, v0
	v_sub_u32_e32 v3, 29, v5
	v_cmp_gt_u32_e64 s[8:9], 8, v0
	v_and_b32_e32 v2, 7, v2
	v_cndmask_b32_e64 v0, v4, v3, s[8:9]
	v_mov_b32_e32 v3, 0x2000
	v_cndmask_b32_e64 v1, v1, v2, s[8:9]
	v_lshlrev_b32_e32 v2, 8, v30
	v_lshl_add_u32 v0, v0, 10, v3
	v_and_or_b32 v0, v2, s38, v0
	v_lshl_or_b32 v0, v1, 7, v0
	v_cvt_f32_f16_e32 v61, v0
.LBB317_80:                             ;   in Loop: Header=BB317_10 Depth=1
	s_or_b64 exec, exec, s[34:35]
.LBB317_81:                             ;   in Loop: Header=BB317_10 Depth=1
	s_or_b64 exec, exec, s[30:31]
.LBB317_82:                             ;   in Loop: Header=BB317_10 Depth=1
	s_or_b64 exec, exec, s[28:29]
	flat_load_dword v30, v[28:29] offset:520
	v_mov_b32_e32 v0, 0
	v_mov_b32_e32 v57, 0
	;; [unrolled: 1-line block ×3, first 2 shown]
	s_waitcnt vmcnt(0) lgkmcnt(0)
	v_cmp_ne_u16_sdwa s[8:9], v30, v0 src0_sel:BYTE_0 src1_sel:DWORD
	s_and_saveexec_b64 s[28:29], s[8:9]
	s_cbranch_execz .LBB317_88
; %bb.83:                               ;   in Loop: Header=BB317_10 Depth=1
	v_cmp_ne_u16_sdwa s[8:9], v30, s19 src0_sel:BYTE_0 src1_sel:DWORD
	v_bfrev_b32_e32 v58, 1
	s_and_saveexec_b64 s[30:31], s[8:9]
	s_cbranch_execz .LBB317_87
; %bb.84:                               ;   in Loop: Header=BB317_10 Depth=1
	v_and_b32_e32 v0, 0x7f, v30
	v_cmp_ne_u32_e64 s[8:9], s37, v0
	v_mov_b32_e32 v58, 0x7fc02000
	s_and_saveexec_b64 s[34:35], s[8:9]
	s_cbranch_execz .LBB317_86
; %bb.85:                               ;   in Loop: Header=BB317_10 Depth=1
	v_and_b32_e32 v1, 7, v30
	v_ffbh_u32_e32 v2, v1
	v_min_u32_e32 v5, 32, v2
	v_subrev_u32_e32 v2, 28, v5
	v_lshlrev_b64 v[2:3], v2, v[30:31]
	v_lshrrev_b32_e32 v4, 3, v0
	v_sub_u32_e32 v3, 29, v5
	v_cmp_gt_u32_e64 s[8:9], 8, v0
	v_and_b32_e32 v2, 7, v2
	v_cndmask_b32_e64 v0, v4, v3, s[8:9]
	v_mov_b32_e32 v3, 0x2000
	v_cndmask_b32_e64 v1, v1, v2, s[8:9]
	v_lshlrev_b32_e32 v2, 8, v30
	v_lshl_add_u32 v0, v0, 10, v3
	v_and_or_b32 v0, v2, s38, v0
	v_lshl_or_b32 v0, v1, 7, v0
	v_cvt_f32_f16_e32 v58, v0
.LBB317_86:                             ;   in Loop: Header=BB317_10 Depth=1
	s_or_b64 exec, exec, s[34:35]
.LBB317_87:                             ;   in Loop: Header=BB317_10 Depth=1
	s_or_b64 exec, exec, s[30:31]
.LBB317_88:                             ;   in Loop: Header=BB317_10 Depth=1
	s_or_b64 exec, exec, s[28:29]
	v_lshrrev_b16_e32 v32, 8, v30
	v_cmp_ne_u16_e64 s[8:9], 0, v32
	s_and_saveexec_b64 s[28:29], s[8:9]
	s_cbranch_execz .LBB317_94
; %bb.89:                               ;   in Loop: Header=BB317_10 Depth=1
	v_cmp_ne_u16_e64 s[8:9], s19, v32
	v_bfrev_b32_e32 v57, 1
	s_and_saveexec_b64 s[30:31], s[8:9]
	s_cbranch_execz .LBB317_93
; %bb.90:                               ;   in Loop: Header=BB317_10 Depth=1
	v_and_b32_e32 v0, 0x7f, v32
	v_cmp_ne_u32_e64 s[8:9], s37, v0
	v_mov_b32_e32 v57, 0x7fc02000
	s_and_saveexec_b64 s[34:35], s[8:9]
	s_cbranch_execz .LBB317_92
; %bb.91:                               ;   in Loop: Header=BB317_10 Depth=1
	v_and_b32_e32 v1, 7, v32
	v_ffbh_u32_e32 v2, v1
	v_min_u32_e32 v5, 32, v2
	v_subrev_u32_e32 v2, 28, v5
	v_lshlrev_b64 v[2:3], v2, v[32:33]
	v_lshrrev_b32_e32 v4, 3, v0
	v_sub_u32_e32 v3, 29, v5
	v_cmp_gt_u32_e64 s[8:9], 8, v0
	v_and_b32_e32 v2, 7, v2
	v_cndmask_b32_e64 v0, v4, v3, s[8:9]
	v_mov_b32_e32 v3, 0x2000
	v_cndmask_b32_e64 v1, v1, v2, s[8:9]
	v_lshlrev_b32_e32 v2, 8, v32
	v_lshl_add_u32 v0, v0, 10, v3
	v_and_or_b32 v0, v2, s38, v0
	v_lshl_or_b32 v0, v1, 7, v0
	v_cvt_f32_f16_e32 v57, v0
.LBB317_92:                             ;   in Loop: Header=BB317_10 Depth=1
	s_or_b64 exec, exec, s[34:35]
.LBB317_93:                             ;   in Loop: Header=BB317_10 Depth=1
	s_or_b64 exec, exec, s[30:31]
.LBB317_94:                             ;   in Loop: Header=BB317_10 Depth=1
	s_or_b64 exec, exec, s[28:29]
	v_lshrrev_b32_e32 v32, 16, v30
	v_mov_b32_e32 v0, 0
	v_cmp_ne_u16_sdwa s[8:9], v32, v0 src0_sel:BYTE_0 src1_sel:DWORD
	v_mov_b32_e32 v59, 0
	v_mov_b32_e32 v52, 0
	s_and_saveexec_b64 s[28:29], s[8:9]
	s_cbranch_execz .LBB317_100
; %bb.95:                               ;   in Loop: Header=BB317_10 Depth=1
	v_cmp_ne_u16_sdwa s[8:9], v32, s19 src0_sel:BYTE_0 src1_sel:DWORD
	v_bfrev_b32_e32 v52, 1
	s_and_saveexec_b64 s[30:31], s[8:9]
	s_cbranch_execz .LBB317_99
; %bb.96:                               ;   in Loop: Header=BB317_10 Depth=1
	v_bfe_u32 v0, v30, 16, 7
	v_cmp_ne_u32_e64 s[8:9], s37, v0
	v_mov_b32_e32 v52, 0x7fc02000
	s_and_saveexec_b64 s[34:35], s[8:9]
	s_cbranch_execz .LBB317_98
; %bb.97:                               ;   in Loop: Header=BB317_10 Depth=1
	v_and_b32_e32 v1, 7, v32
	v_ffbh_u32_e32 v2, v1
	v_min_u32_e32 v5, 32, v2
	v_subrev_u32_e32 v2, 28, v5
	v_lshlrev_b64 v[2:3], v2, v[32:33]
	v_lshrrev_b32_e32 v4, 3, v0
	v_sub_u32_e32 v3, 29, v5
	v_cmp_gt_u32_e64 s[8:9], 8, v0
	v_and_b32_e32 v2, 7, v2
	v_cndmask_b32_e64 v0, v4, v3, s[8:9]
	v_mov_b32_e32 v3, 0x2000
	v_cndmask_b32_e64 v1, v1, v2, s[8:9]
	v_lshlrev_b32_e32 v2, 8, v32
	v_lshl_add_u32 v0, v0, 10, v3
	v_and_or_b32 v0, v2, s38, v0
	v_lshl_or_b32 v0, v1, 7, v0
	v_cvt_f32_f16_e32 v52, v0
.LBB317_98:                             ;   in Loop: Header=BB317_10 Depth=1
	s_or_b64 exec, exec, s[34:35]
.LBB317_99:                             ;   in Loop: Header=BB317_10 Depth=1
	s_or_b64 exec, exec, s[30:31]
.LBB317_100:                            ;   in Loop: Header=BB317_10 Depth=1
	s_or_b64 exec, exec, s[28:29]
	v_cmp_lt_u32_e64 s[8:9], s39, v30
	s_and_saveexec_b64 s[28:29], s[8:9]
	s_cbranch_execz .LBB317_106
; %bb.101:                              ;   in Loop: Header=BB317_10 Depth=1
	v_lshrrev_b32_e32 v30, 24, v30
	v_cmp_ne_u32_e64 s[8:9], s19, v30
	v_bfrev_b32_e32 v59, 1
	s_and_saveexec_b64 s[30:31], s[8:9]
	s_cbranch_execz .LBB317_105
; %bb.102:                              ;   in Loop: Header=BB317_10 Depth=1
	v_and_b32_e32 v0, 0x7f, v30
	v_cmp_ne_u32_e64 s[8:9], s37, v0
	v_mov_b32_e32 v59, 0x7fc02000
	s_and_saveexec_b64 s[34:35], s[8:9]
	s_cbranch_execz .LBB317_104
; %bb.103:                              ;   in Loop: Header=BB317_10 Depth=1
	v_and_b32_e32 v1, 7, v30
	v_ffbh_u32_e32 v2, v1
	v_min_u32_e32 v5, 32, v2
	v_subrev_u32_e32 v2, 28, v5
	v_lshlrev_b64 v[2:3], v2, v[30:31]
	v_lshrrev_b32_e32 v4, 3, v0
	v_sub_u32_e32 v3, 29, v5
	v_cmp_gt_u32_e64 s[8:9], 8, v0
	v_and_b32_e32 v2, 7, v2
	v_cndmask_b32_e64 v0, v4, v3, s[8:9]
	v_mov_b32_e32 v3, 0x2000
	v_cndmask_b32_e64 v1, v1, v2, s[8:9]
	v_lshlrev_b32_e32 v2, 8, v30
	v_lshl_add_u32 v0, v0, 10, v3
	v_and_or_b32 v0, v2, s38, v0
	v_lshl_or_b32 v0, v1, 7, v0
	v_cvt_f32_f16_e32 v59, v0
.LBB317_104:                            ;   in Loop: Header=BB317_10 Depth=1
	s_or_b64 exec, exec, s[34:35]
.LBB317_105:                            ;   in Loop: Header=BB317_10 Depth=1
	s_or_b64 exec, exec, s[30:31]
.LBB317_106:                            ;   in Loop: Header=BB317_10 Depth=1
	s_or_b64 exec, exec, s[28:29]
	flat_load_dword v30, v[28:29] offset:1024
	v_mov_b32_e32 v0, 0
	v_mov_b32_e32 v36, 0
	;; [unrolled: 1-line block ×3, first 2 shown]
	s_waitcnt vmcnt(0) lgkmcnt(0)
	v_cmp_ne_u16_sdwa s[8:9], v30, v0 src0_sel:BYTE_0 src1_sel:DWORD
	s_and_saveexec_b64 s[28:29], s[8:9]
	s_cbranch_execz .LBB317_112
; %bb.107:                              ;   in Loop: Header=BB317_10 Depth=1
	v_cmp_ne_u16_sdwa s[8:9], v30, s19 src0_sel:BYTE_0 src1_sel:DWORD
	v_bfrev_b32_e32 v53, 1
	s_and_saveexec_b64 s[30:31], s[8:9]
	s_cbranch_execz .LBB317_111
; %bb.108:                              ;   in Loop: Header=BB317_10 Depth=1
	v_and_b32_e32 v0, 0x7f, v30
	v_cmp_ne_u32_e64 s[8:9], s37, v0
	v_mov_b32_e32 v53, 0x7fc02000
	s_and_saveexec_b64 s[34:35], s[8:9]
	s_cbranch_execz .LBB317_110
; %bb.109:                              ;   in Loop: Header=BB317_10 Depth=1
	v_and_b32_e32 v1, 7, v30
	v_ffbh_u32_e32 v2, v1
	v_min_u32_e32 v5, 32, v2
	v_subrev_u32_e32 v2, 28, v5
	v_lshlrev_b64 v[2:3], v2, v[30:31]
	v_lshrrev_b32_e32 v4, 3, v0
	v_sub_u32_e32 v3, 29, v5
	v_cmp_gt_u32_e64 s[8:9], 8, v0
	v_and_b32_e32 v2, 7, v2
	v_cndmask_b32_e64 v0, v4, v3, s[8:9]
	v_mov_b32_e32 v3, 0x2000
	v_cndmask_b32_e64 v1, v1, v2, s[8:9]
	v_lshlrev_b32_e32 v2, 8, v30
	v_lshl_add_u32 v0, v0, 10, v3
	v_and_or_b32 v0, v2, s38, v0
	v_lshl_or_b32 v0, v1, 7, v0
	v_cvt_f32_f16_e32 v53, v0
.LBB317_110:                            ;   in Loop: Header=BB317_10 Depth=1
	s_or_b64 exec, exec, s[34:35]
.LBB317_111:                            ;   in Loop: Header=BB317_10 Depth=1
	s_or_b64 exec, exec, s[30:31]
.LBB317_112:                            ;   in Loop: Header=BB317_10 Depth=1
	s_or_b64 exec, exec, s[28:29]
	v_lshrrev_b16_e32 v32, 8, v30
	v_cmp_ne_u16_e64 s[8:9], 0, v32
	s_and_saveexec_b64 s[28:29], s[8:9]
	s_cbranch_execz .LBB317_118
; %bb.113:                              ;   in Loop: Header=BB317_10 Depth=1
	v_cmp_ne_u16_e64 s[8:9], s19, v32
	v_bfrev_b32_e32 v36, 1
	s_and_saveexec_b64 s[30:31], s[8:9]
	s_cbranch_execz .LBB317_117
; %bb.114:                              ;   in Loop: Header=BB317_10 Depth=1
	v_and_b32_e32 v0, 0x7f, v32
	v_cmp_ne_u32_e64 s[8:9], s37, v0
	v_mov_b32_e32 v36, 0x7fc02000
	s_and_saveexec_b64 s[34:35], s[8:9]
	s_cbranch_execz .LBB317_116
; %bb.115:                              ;   in Loop: Header=BB317_10 Depth=1
	v_and_b32_e32 v2, 7, v32
	v_lshrrev_b32_e32 v3, 3, v0
	v_cmp_gt_u32_e64 s[8:9], 8, v0
	v_ffbh_u32_e32 v0, v2
	v_min_u32_e32 v4, 32, v0
	v_subrev_u32_e32 v0, 28, v4
	v_lshlrev_b64 v[0:1], v0, v[32:33]
	v_sub_u32_e32 v1, 29, v4
	v_and_b32_e32 v0, 7, v0
	v_cndmask_b32_e64 v1, v3, v1, s[8:9]
	v_mov_b32_e32 v3, 0x2000
	v_cndmask_b32_e64 v0, v2, v0, s[8:9]
	v_lshlrev_b32_e32 v2, 8, v32
	v_lshl_add_u32 v1, v1, 10, v3
	v_and_or_b32 v1, v2, s38, v1
	v_lshl_or_b32 v0, v0, 7, v1
	v_cvt_f32_f16_e32 v36, v0
.LBB317_116:                            ;   in Loop: Header=BB317_10 Depth=1
	s_or_b64 exec, exec, s[34:35]
.LBB317_117:                            ;   in Loop: Header=BB317_10 Depth=1
	s_or_b64 exec, exec, s[30:31]
.LBB317_118:                            ;   in Loop: Header=BB317_10 Depth=1
	s_or_b64 exec, exec, s[28:29]
	v_lshrrev_b32_e32 v32, 16, v30
	v_mov_b32_e32 v0, 0
	v_cmp_ne_u16_sdwa s[8:9], v32, v0 src0_sel:BYTE_0 src1_sel:DWORD
	v_mov_b32_e32 v18, 0
	v_mov_b32_e32 v19, 0
	s_and_saveexec_b64 s[28:29], s[8:9]
	s_cbranch_execz .LBB317_124
; %bb.119:                              ;   in Loop: Header=BB317_10 Depth=1
	v_cmp_ne_u16_sdwa s[8:9], v32, s19 src0_sel:BYTE_0 src1_sel:DWORD
	v_bfrev_b32_e32 v19, 1
	s_and_saveexec_b64 s[30:31], s[8:9]
	s_cbranch_execz .LBB317_123
; %bb.120:                              ;   in Loop: Header=BB317_10 Depth=1
	v_bfe_u32 v0, v30, 16, 7
	v_cmp_ne_u32_e64 s[8:9], s37, v0
	v_mov_b32_e32 v19, 0x7fc02000
	s_and_saveexec_b64 s[34:35], s[8:9]
	s_cbranch_execz .LBB317_122
; %bb.121:                              ;   in Loop: Header=BB317_10 Depth=1
	v_and_b32_e32 v1, 7, v32
	v_ffbh_u32_e32 v2, v1
	v_min_u32_e32 v5, 32, v2
	v_subrev_u32_e32 v2, 28, v5
	v_lshlrev_b64 v[2:3], v2, v[32:33]
	v_lshrrev_b32_e32 v4, 3, v0
	v_sub_u32_e32 v3, 29, v5
	v_cmp_gt_u32_e64 s[8:9], 8, v0
	v_and_b32_e32 v2, 7, v2
	v_cndmask_b32_e64 v0, v4, v3, s[8:9]
	v_mov_b32_e32 v3, 0x2000
	v_cndmask_b32_e64 v1, v1, v2, s[8:9]
	v_lshlrev_b32_e32 v2, 8, v32
	v_lshl_add_u32 v0, v0, 10, v3
	v_and_or_b32 v0, v2, s38, v0
	v_lshl_or_b32 v0, v1, 7, v0
	v_cvt_f32_f16_e32 v19, v0
.LBB317_122:                            ;   in Loop: Header=BB317_10 Depth=1
	s_or_b64 exec, exec, s[34:35]
.LBB317_123:                            ;   in Loop: Header=BB317_10 Depth=1
	s_or_b64 exec, exec, s[30:31]
.LBB317_124:                            ;   in Loop: Header=BB317_10 Depth=1
	s_or_b64 exec, exec, s[28:29]
	v_cmp_lt_u32_e64 s[8:9], s39, v30
	s_and_saveexec_b64 s[28:29], s[8:9]
	s_cbranch_execz .LBB317_130
; %bb.125:                              ;   in Loop: Header=BB317_10 Depth=1
	v_lshrrev_b32_e32 v30, 24, v30
	v_cmp_ne_u32_e64 s[8:9], s19, v30
	v_bfrev_b32_e32 v18, 1
	s_and_saveexec_b64 s[30:31], s[8:9]
	s_cbranch_execz .LBB317_129
; %bb.126:                              ;   in Loop: Header=BB317_10 Depth=1
	v_and_b32_e32 v0, 0x7f, v30
	v_cmp_ne_u32_e64 s[8:9], s37, v0
	v_mov_b32_e32 v18, 0x7fc02000
	s_and_saveexec_b64 s[34:35], s[8:9]
	s_cbranch_execz .LBB317_128
; %bb.127:                              ;   in Loop: Header=BB317_10 Depth=1
	v_and_b32_e32 v1, 7, v30
	v_ffbh_u32_e32 v2, v1
	v_min_u32_e32 v5, 32, v2
	v_subrev_u32_e32 v2, 28, v5
	v_lshlrev_b64 v[2:3], v2, v[30:31]
	v_lshrrev_b32_e32 v4, 3, v0
	v_sub_u32_e32 v3, 29, v5
	v_cmp_gt_u32_e64 s[8:9], 8, v0
	v_and_b32_e32 v2, 7, v2
	v_cndmask_b32_e64 v0, v4, v3, s[8:9]
	v_mov_b32_e32 v3, 0x2000
	v_cndmask_b32_e64 v1, v1, v2, s[8:9]
	v_lshlrev_b32_e32 v2, 8, v30
	v_lshl_add_u32 v0, v0, 10, v3
	v_and_or_b32 v0, v2, s38, v0
	v_lshl_or_b32 v0, v1, 7, v0
	v_cvt_f32_f16_e32 v18, v0
.LBB317_128:                            ;   in Loop: Header=BB317_10 Depth=1
	s_or_b64 exec, exec, s[34:35]
.LBB317_129:                            ;   in Loop: Header=BB317_10 Depth=1
	s_or_b64 exec, exec, s[30:31]
.LBB317_130:                            ;   in Loop: Header=BB317_10 Depth=1
	s_or_b64 exec, exec, s[28:29]
	flat_load_dword v30, v[28:29] offset:1032
	v_mov_b32_e32 v0, 0
	v_mov_b32_e32 v4, 0
	v_mov_b32_e32 v5, 0
	s_waitcnt vmcnt(0) lgkmcnt(0)
	v_cmp_ne_u16_sdwa s[8:9], v30, v0 src0_sel:BYTE_0 src1_sel:DWORD
	s_and_saveexec_b64 s[28:29], s[8:9]
	s_cbranch_execz .LBB317_136
; %bb.131:                              ;   in Loop: Header=BB317_10 Depth=1
	v_cmp_ne_u16_sdwa s[8:9], v30, s19 src0_sel:BYTE_0 src1_sel:DWORD
	v_bfrev_b32_e32 v5, 1
	s_and_saveexec_b64 s[30:31], s[8:9]
	s_cbranch_execz .LBB317_135
; %bb.132:                              ;   in Loop: Header=BB317_10 Depth=1
	v_and_b32_e32 v0, 0x7f, v30
	v_cmp_ne_u32_e64 s[8:9], s37, v0
	v_mov_b32_e32 v5, 0x7fc02000
	s_and_saveexec_b64 s[34:35], s[8:9]
	s_cbranch_execz .LBB317_134
; %bb.133:                              ;   in Loop: Header=BB317_10 Depth=1
	v_and_b32_e32 v1, 7, v30
	v_ffbh_u32_e32 v2, v1
	v_min_u32_e32 v6, 32, v2
	v_subrev_u32_e32 v2, 28, v6
	v_lshlrev_b64 v[2:3], v2, v[30:31]
	v_lshrrev_b32_e32 v5, 3, v0
	v_sub_u32_e32 v3, 29, v6
	v_cmp_gt_u32_e64 s[8:9], 8, v0
	v_and_b32_e32 v2, 7, v2
	v_cndmask_b32_e64 v0, v5, v3, s[8:9]
	v_mov_b32_e32 v3, 0x2000
	v_cndmask_b32_e64 v1, v1, v2, s[8:9]
	v_lshlrev_b32_e32 v2, 8, v30
	v_lshl_add_u32 v0, v0, 10, v3
	v_and_or_b32 v0, v2, s38, v0
	v_lshl_or_b32 v0, v1, 7, v0
	v_cvt_f32_f16_e32 v5, v0
.LBB317_134:                            ;   in Loop: Header=BB317_10 Depth=1
	s_or_b64 exec, exec, s[34:35]
.LBB317_135:                            ;   in Loop: Header=BB317_10 Depth=1
	s_or_b64 exec, exec, s[30:31]
.LBB317_136:                            ;   in Loop: Header=BB317_10 Depth=1
	s_or_b64 exec, exec, s[28:29]
	v_lshrrev_b16_e32 v32, 8, v30
	v_cmp_ne_u16_e64 s[8:9], 0, v32
	s_and_saveexec_b64 s[28:29], s[8:9]
	s_cbranch_execz .LBB317_142
; %bb.137:                              ;   in Loop: Header=BB317_10 Depth=1
	v_cmp_ne_u16_e64 s[8:9], s19, v32
	v_bfrev_b32_e32 v4, 1
	s_and_saveexec_b64 s[30:31], s[8:9]
	s_cbranch_execz .LBB317_141
; %bb.138:                              ;   in Loop: Header=BB317_10 Depth=1
	v_and_b32_e32 v0, 0x7f, v32
	v_cmp_ne_u32_e64 s[8:9], s37, v0
	v_mov_b32_e32 v4, 0x7fc02000
	s_and_saveexec_b64 s[34:35], s[8:9]
	s_cbranch_execz .LBB317_140
; %bb.139:                              ;   in Loop: Header=BB317_10 Depth=1
	v_and_b32_e32 v1, 7, v32
	v_ffbh_u32_e32 v2, v1
	v_min_u32_e32 v6, 32, v2
	v_subrev_u32_e32 v2, 28, v6
	v_lshlrev_b64 v[2:3], v2, v[32:33]
	v_lshrrev_b32_e32 v4, 3, v0
	v_sub_u32_e32 v3, 29, v6
	v_cmp_gt_u32_e64 s[8:9], 8, v0
	v_and_b32_e32 v2, 7, v2
	v_cndmask_b32_e64 v0, v4, v3, s[8:9]
	v_mov_b32_e32 v3, 0x2000
	v_cndmask_b32_e64 v1, v1, v2, s[8:9]
	v_lshlrev_b32_e32 v2, 8, v32
	v_lshl_add_u32 v0, v0, 10, v3
	v_and_or_b32 v0, v2, s38, v0
	v_lshl_or_b32 v0, v1, 7, v0
	v_cvt_f32_f16_e32 v4, v0
.LBB317_140:                            ;   in Loop: Header=BB317_10 Depth=1
	s_or_b64 exec, exec, s[34:35]
.LBB317_141:                            ;   in Loop: Header=BB317_10 Depth=1
	s_or_b64 exec, exec, s[30:31]
.LBB317_142:                            ;   in Loop: Header=BB317_10 Depth=1
	s_or_b64 exec, exec, s[28:29]
	v_lshrrev_b32_e32 v32, 16, v30
	v_mov_b32_e32 v0, 0
	v_cmp_ne_u16_sdwa s[8:9], v32, v0 src0_sel:BYTE_0 src1_sel:DWORD
	v_mov_b32_e32 v38, 0
	v_mov_b32_e32 v35, 0
	s_and_saveexec_b64 s[28:29], s[8:9]
	s_cbranch_execz .LBB317_148
; %bb.143:                              ;   in Loop: Header=BB317_10 Depth=1
	v_cmp_ne_u16_sdwa s[8:9], v32, s19 src0_sel:BYTE_0 src1_sel:DWORD
	v_bfrev_b32_e32 v35, 1
	s_and_saveexec_b64 s[30:31], s[8:9]
	s_cbranch_execz .LBB317_147
; %bb.144:                              ;   in Loop: Header=BB317_10 Depth=1
	v_bfe_u32 v0, v30, 16, 7
	v_cmp_ne_u32_e64 s[8:9], s37, v0
	v_mov_b32_e32 v35, 0x7fc02000
	s_and_saveexec_b64 s[34:35], s[8:9]
	s_cbranch_execz .LBB317_146
; %bb.145:                              ;   in Loop: Header=BB317_10 Depth=1
	v_and_b32_e32 v1, 7, v32
	v_ffbh_u32_e32 v2, v1
	v_min_u32_e32 v7, 32, v2
	v_subrev_u32_e32 v2, 28, v7
	v_lshlrev_b64 v[2:3], v2, v[32:33]
	v_lshrrev_b32_e32 v6, 3, v0
	v_sub_u32_e32 v3, 29, v7
	v_cmp_gt_u32_e64 s[8:9], 8, v0
	v_and_b32_e32 v2, 7, v2
	v_cndmask_b32_e64 v0, v6, v3, s[8:9]
	v_mov_b32_e32 v3, 0x2000
	v_cndmask_b32_e64 v1, v1, v2, s[8:9]
	v_lshlrev_b32_e32 v2, 8, v32
	v_lshl_add_u32 v0, v0, 10, v3
	v_and_or_b32 v0, v2, s38, v0
	v_lshl_or_b32 v0, v1, 7, v0
	v_cvt_f32_f16_e32 v35, v0
.LBB317_146:                            ;   in Loop: Header=BB317_10 Depth=1
	s_or_b64 exec, exec, s[34:35]
.LBB317_147:                            ;   in Loop: Header=BB317_10 Depth=1
	s_or_b64 exec, exec, s[30:31]
.LBB317_148:                            ;   in Loop: Header=BB317_10 Depth=1
	s_or_b64 exec, exec, s[28:29]
	v_cmp_lt_u32_e64 s[8:9], s39, v30
	s_and_saveexec_b64 s[28:29], s[8:9]
	s_cbranch_execz .LBB317_154
; %bb.149:                              ;   in Loop: Header=BB317_10 Depth=1
	v_lshrrev_b32_e32 v30, 24, v30
	v_cmp_ne_u32_e64 s[8:9], s19, v30
	v_bfrev_b32_e32 v38, 1
	s_and_saveexec_b64 s[30:31], s[8:9]
	s_cbranch_execz .LBB317_153
; %bb.150:                              ;   in Loop: Header=BB317_10 Depth=1
	v_and_b32_e32 v0, 0x7f, v30
	v_cmp_ne_u32_e64 s[8:9], s37, v0
	v_mov_b32_e32 v38, 0x7fc02000
	s_and_saveexec_b64 s[34:35], s[8:9]
	s_cbranch_execz .LBB317_152
; %bb.151:                              ;   in Loop: Header=BB317_10 Depth=1
	v_and_b32_e32 v1, 7, v30
	v_ffbh_u32_e32 v2, v1
	v_min_u32_e32 v7, 32, v2
	v_subrev_u32_e32 v2, 28, v7
	v_lshlrev_b64 v[2:3], v2, v[30:31]
	v_lshrrev_b32_e32 v6, 3, v0
	v_sub_u32_e32 v3, 29, v7
	v_cmp_gt_u32_e64 s[8:9], 8, v0
	v_and_b32_e32 v2, 7, v2
	v_cndmask_b32_e64 v0, v6, v3, s[8:9]
	v_mov_b32_e32 v3, 0x2000
	v_cndmask_b32_e64 v1, v1, v2, s[8:9]
	v_lshlrev_b32_e32 v2, 8, v30
	v_lshl_add_u32 v0, v0, 10, v3
	v_and_or_b32 v0, v2, s38, v0
	v_lshl_or_b32 v0, v1, 7, v0
	v_cvt_f32_f16_e32 v38, v0
.LBB317_152:                            ;   in Loop: Header=BB317_10 Depth=1
	s_or_b64 exec, exec, s[34:35]
.LBB317_153:                            ;   in Loop: Header=BB317_10 Depth=1
	s_or_b64 exec, exec, s[30:31]
.LBB317_154:                            ;   in Loop: Header=BB317_10 Depth=1
	s_or_b64 exec, exec, s[28:29]
	flat_load_dword v30, v[28:29] offset:1536
	v_mov_b32_e32 v0, 0
	v_mov_b32_e32 v10, 0
	;; [unrolled: 1-line block ×3, first 2 shown]
	s_waitcnt vmcnt(0) lgkmcnt(0)
	v_cmp_ne_u16_sdwa s[8:9], v30, v0 src0_sel:BYTE_0 src1_sel:DWORD
	s_and_saveexec_b64 s[28:29], s[8:9]
	s_cbranch_execz .LBB317_160
; %bb.155:                              ;   in Loop: Header=BB317_10 Depth=1
	v_cmp_ne_u16_sdwa s[8:9], v30, s19 src0_sel:BYTE_0 src1_sel:DWORD
	v_bfrev_b32_e32 v11, 1
	s_and_saveexec_b64 s[30:31], s[8:9]
	s_cbranch_execz .LBB317_159
; %bb.156:                              ;   in Loop: Header=BB317_10 Depth=1
	v_and_b32_e32 v0, 0x7f, v30
	v_cmp_ne_u32_e64 s[8:9], s37, v0
	v_mov_b32_e32 v11, 0x7fc02000
	s_and_saveexec_b64 s[34:35], s[8:9]
	s_cbranch_execz .LBB317_158
; %bb.157:                              ;   in Loop: Header=BB317_10 Depth=1
	v_and_b32_e32 v1, 7, v30
	v_ffbh_u32_e32 v2, v1
	v_min_u32_e32 v7, 32, v2
	v_subrev_u32_e32 v2, 28, v7
	v_lshlrev_b64 v[2:3], v2, v[30:31]
	v_lshrrev_b32_e32 v6, 3, v0
	v_sub_u32_e32 v3, 29, v7
	v_cmp_gt_u32_e64 s[8:9], 8, v0
	v_and_b32_e32 v2, 7, v2
	v_cndmask_b32_e64 v0, v6, v3, s[8:9]
	v_mov_b32_e32 v3, 0x2000
	v_cndmask_b32_e64 v1, v1, v2, s[8:9]
	v_lshlrev_b32_e32 v2, 8, v30
	v_lshl_add_u32 v0, v0, 10, v3
	v_and_or_b32 v0, v2, s38, v0
	v_lshl_or_b32 v0, v1, 7, v0
	v_cvt_f32_f16_e32 v11, v0
.LBB317_158:                            ;   in Loop: Header=BB317_10 Depth=1
	s_or_b64 exec, exec, s[34:35]
.LBB317_159:                            ;   in Loop: Header=BB317_10 Depth=1
	s_or_b64 exec, exec, s[30:31]
.LBB317_160:                            ;   in Loop: Header=BB317_10 Depth=1
	s_or_b64 exec, exec, s[28:29]
	v_lshrrev_b16_e32 v32, 8, v30
	v_cmp_ne_u16_e64 s[8:9], 0, v32
	s_and_saveexec_b64 s[28:29], s[8:9]
	s_cbranch_execz .LBB317_166
; %bb.161:                              ;   in Loop: Header=BB317_10 Depth=1
	v_cmp_ne_u16_e64 s[8:9], s19, v32
	v_bfrev_b32_e32 v10, 1
	s_and_saveexec_b64 s[30:31], s[8:9]
	s_cbranch_execz .LBB317_165
; %bb.162:                              ;   in Loop: Header=BB317_10 Depth=1
	v_and_b32_e32 v0, 0x7f, v32
	v_cmp_ne_u32_e64 s[8:9], s37, v0
	v_mov_b32_e32 v10, 0x7fc02000
	s_and_saveexec_b64 s[34:35], s[8:9]
	s_cbranch_execz .LBB317_164
; %bb.163:                              ;   in Loop: Header=BB317_10 Depth=1
	v_and_b32_e32 v2, 7, v32
	v_lshrrev_b32_e32 v3, 3, v0
	v_cmp_gt_u32_e64 s[8:9], 8, v0
	v_ffbh_u32_e32 v0, v2
	v_min_u32_e32 v6, 32, v0
	v_subrev_u32_e32 v0, 28, v6
	v_lshlrev_b64 v[0:1], v0, v[32:33]
	v_sub_u32_e32 v1, 29, v6
	v_and_b32_e32 v0, 7, v0
	v_cndmask_b32_e64 v1, v3, v1, s[8:9]
	v_mov_b32_e32 v3, 0x2000
	v_cndmask_b32_e64 v0, v2, v0, s[8:9]
	v_lshlrev_b32_e32 v2, 8, v32
	v_lshl_add_u32 v1, v1, 10, v3
	v_and_or_b32 v1, v2, s38, v1
	v_lshl_or_b32 v0, v0, 7, v1
	v_cvt_f32_f16_e32 v10, v0
.LBB317_164:                            ;   in Loop: Header=BB317_10 Depth=1
	s_or_b64 exec, exec, s[34:35]
.LBB317_165:                            ;   in Loop: Header=BB317_10 Depth=1
	s_or_b64 exec, exec, s[30:31]
.LBB317_166:                            ;   in Loop: Header=BB317_10 Depth=1
	s_or_b64 exec, exec, s[28:29]
	v_lshrrev_b32_e32 v32, 16, v30
	v_mov_b32_e32 v0, 0
	v_cmp_ne_u16_sdwa s[8:9], v32, v0 src0_sel:BYTE_0 src1_sel:DWORD
	v_mov_b32_e32 v17, 0
	v_mov_b32_e32 v51, 0
	s_and_saveexec_b64 s[28:29], s[8:9]
	s_cbranch_execz .LBB317_172
; %bb.167:                              ;   in Loop: Header=BB317_10 Depth=1
	v_cmp_ne_u16_sdwa s[8:9], v32, s19 src0_sel:BYTE_0 src1_sel:DWORD
	v_bfrev_b32_e32 v51, 1
	s_and_saveexec_b64 s[30:31], s[8:9]
	s_cbranch_execz .LBB317_171
; %bb.168:                              ;   in Loop: Header=BB317_10 Depth=1
	v_bfe_u32 v0, v30, 16, 7
	v_cmp_ne_u32_e64 s[8:9], s37, v0
	v_mov_b32_e32 v51, 0x7fc02000
	s_and_saveexec_b64 s[34:35], s[8:9]
	s_cbranch_execz .LBB317_170
; %bb.169:                              ;   in Loop: Header=BB317_10 Depth=1
	v_and_b32_e32 v1, 7, v32
	v_ffbh_u32_e32 v2, v1
	v_min_u32_e32 v7, 32, v2
	v_subrev_u32_e32 v2, 28, v7
	v_lshlrev_b64 v[2:3], v2, v[32:33]
	v_lshrrev_b32_e32 v6, 3, v0
	v_sub_u32_e32 v3, 29, v7
	v_cmp_gt_u32_e64 s[8:9], 8, v0
	v_and_b32_e32 v2, 7, v2
	v_cndmask_b32_e64 v0, v6, v3, s[8:9]
	v_mov_b32_e32 v3, 0x2000
	v_cndmask_b32_e64 v1, v1, v2, s[8:9]
	v_lshlrev_b32_e32 v2, 8, v32
	v_lshl_add_u32 v0, v0, 10, v3
	v_and_or_b32 v0, v2, s38, v0
	v_lshl_or_b32 v0, v1, 7, v0
	v_cvt_f32_f16_e32 v51, v0
.LBB317_170:                            ;   in Loop: Header=BB317_10 Depth=1
	s_or_b64 exec, exec, s[34:35]
.LBB317_171:                            ;   in Loop: Header=BB317_10 Depth=1
	s_or_b64 exec, exec, s[30:31]
.LBB317_172:                            ;   in Loop: Header=BB317_10 Depth=1
	s_or_b64 exec, exec, s[28:29]
	v_cmp_lt_u32_e64 s[8:9], s39, v30
	s_and_saveexec_b64 s[28:29], s[8:9]
	s_cbranch_execz .LBB317_178
; %bb.173:                              ;   in Loop: Header=BB317_10 Depth=1
	v_lshrrev_b32_e32 v30, 24, v30
	v_cmp_ne_u32_e64 s[8:9], s19, v30
	v_bfrev_b32_e32 v17, 1
	s_and_saveexec_b64 s[30:31], s[8:9]
	s_cbranch_execz .LBB317_177
; %bb.174:                              ;   in Loop: Header=BB317_10 Depth=1
	v_and_b32_e32 v0, 0x7f, v30
	v_cmp_ne_u32_e64 s[8:9], s37, v0
	v_mov_b32_e32 v17, 0x7fc02000
	s_and_saveexec_b64 s[34:35], s[8:9]
	s_cbranch_execz .LBB317_176
; %bb.175:                              ;   in Loop: Header=BB317_10 Depth=1
	v_and_b32_e32 v1, 7, v30
	v_ffbh_u32_e32 v2, v1
	v_min_u32_e32 v7, 32, v2
	v_subrev_u32_e32 v2, 28, v7
	v_lshlrev_b64 v[2:3], v2, v[30:31]
	v_lshrrev_b32_e32 v6, 3, v0
	v_sub_u32_e32 v3, 29, v7
	v_cmp_gt_u32_e64 s[8:9], 8, v0
	v_and_b32_e32 v2, 7, v2
	v_cndmask_b32_e64 v0, v6, v3, s[8:9]
	v_mov_b32_e32 v3, 0x2000
	v_cndmask_b32_e64 v1, v1, v2, s[8:9]
	v_lshlrev_b32_e32 v2, 8, v30
	v_lshl_add_u32 v0, v0, 10, v3
	v_and_or_b32 v0, v2, s38, v0
	v_lshl_or_b32 v0, v1, 7, v0
	v_cvt_f32_f16_e32 v17, v0
.LBB317_176:                            ;   in Loop: Header=BB317_10 Depth=1
	s_or_b64 exec, exec, s[34:35]
.LBB317_177:                            ;   in Loop: Header=BB317_10 Depth=1
	s_or_b64 exec, exec, s[30:31]
.LBB317_178:                            ;   in Loop: Header=BB317_10 Depth=1
	s_or_b64 exec, exec, s[28:29]
	flat_load_dword v30, v[28:29] offset:1544
	v_mov_b32_e32 v0, 0
	v_mov_b32_e32 v1, 0
	s_waitcnt vmcnt(0) lgkmcnt(0)
	v_cmp_ne_u16_sdwa s[8:9], v30, v0 src0_sel:BYTE_0 src1_sel:DWORD
	v_mov_b32_e32 v0, 0
	s_and_saveexec_b64 s[28:29], s[8:9]
	s_cbranch_execz .LBB317_184
; %bb.179:                              ;   in Loop: Header=BB317_10 Depth=1
	v_cmp_ne_u16_sdwa s[8:9], v30, s19 src0_sel:BYTE_0 src1_sel:DWORD
	v_bfrev_b32_e32 v0, 1
	s_and_saveexec_b64 s[30:31], s[8:9]
	s_cbranch_execz .LBB317_183
; %bb.180:                              ;   in Loop: Header=BB317_10 Depth=1
	v_and_b32_e32 v2, 0x7f, v30
	v_cmp_ne_u32_e64 s[8:9], s37, v2
	v_mov_b32_e32 v0, 0x7fc02000
	s_and_saveexec_b64 s[34:35], s[8:9]
	s_cbranch_execz .LBB317_182
; %bb.181:                              ;   in Loop: Header=BB317_10 Depth=1
	v_and_b32_e32 v0, 7, v30
	v_ffbh_u32_e32 v6, v0
	v_min_u32_e32 v8, 32, v6
	v_subrev_u32_e32 v6, 28, v8
	v_lshlrev_b64 v[6:7], v6, v[30:31]
	v_lshrrev_b32_e32 v3, 3, v2
	v_sub_u32_e32 v7, 29, v8
	v_and_b32_e32 v6, 7, v6
	v_cmp_gt_u32_e64 s[8:9], 8, v2
	v_cndmask_b32_e64 v2, v3, v7, s[8:9]
	v_cndmask_b32_e64 v0, v0, v6, s[8:9]
	v_mov_b32_e32 v6, 0x2000
	v_lshlrev_b32_e32 v3, 8, v30
	v_lshl_add_u32 v2, v2, 10, v6
	v_and_or_b32 v2, v3, s38, v2
	v_lshl_or_b32 v0, v0, 7, v2
	v_cvt_f32_f16_e32 v0, v0
.LBB317_182:                            ;   in Loop: Header=BB317_10 Depth=1
	s_or_b64 exec, exec, s[34:35]
.LBB317_183:                            ;   in Loop: Header=BB317_10 Depth=1
	s_or_b64 exec, exec, s[30:31]
.LBB317_184:                            ;   in Loop: Header=BB317_10 Depth=1
	s_or_b64 exec, exec, s[28:29]
	v_lshrrev_b16_e32 v32, 8, v30
	v_cmp_ne_u16_e64 s[8:9], 0, v32
	s_and_saveexec_b64 s[28:29], s[8:9]
	s_cbranch_execz .LBB317_190
; %bb.185:                              ;   in Loop: Header=BB317_10 Depth=1
	v_cmp_ne_u16_e64 s[8:9], s19, v32
	v_bfrev_b32_e32 v1, 1
	s_and_saveexec_b64 s[30:31], s[8:9]
	s_cbranch_execz .LBB317_189
; %bb.186:                              ;   in Loop: Header=BB317_10 Depth=1
	v_and_b32_e32 v2, 0x7f, v32
	v_cmp_ne_u32_e64 s[8:9], s37, v2
	v_mov_b32_e32 v1, 0x7fc02000
	s_and_saveexec_b64 s[34:35], s[8:9]
	s_cbranch_execz .LBB317_188
; %bb.187:                              ;   in Loop: Header=BB317_10 Depth=1
	v_and_b32_e32 v1, 7, v32
	v_ffbh_u32_e32 v6, v1
	v_min_u32_e32 v8, 32, v6
	v_subrev_u32_e32 v6, 28, v8
	v_lshlrev_b64 v[6:7], v6, v[32:33]
	v_lshrrev_b32_e32 v3, 3, v2
	v_sub_u32_e32 v7, 29, v8
	v_and_b32_e32 v6, 7, v6
	v_cmp_gt_u32_e64 s[8:9], 8, v2
	v_cndmask_b32_e64 v2, v3, v7, s[8:9]
	v_cndmask_b32_e64 v1, v1, v6, s[8:9]
	v_mov_b32_e32 v6, 0x2000
	v_lshlrev_b32_e32 v3, 8, v32
	v_lshl_add_u32 v2, v2, 10, v6
	v_and_or_b32 v2, v3, s38, v2
	v_lshl_or_b32 v1, v1, 7, v2
	v_cvt_f32_f16_e32 v1, v1
.LBB317_188:                            ;   in Loop: Header=BB317_10 Depth=1
	s_or_b64 exec, exec, s[34:35]
.LBB317_189:                            ;   in Loop: Header=BB317_10 Depth=1
	s_or_b64 exec, exec, s[30:31]
.LBB317_190:                            ;   in Loop: Header=BB317_10 Depth=1
	s_or_b64 exec, exec, s[28:29]
	v_lshrrev_b32_e32 v32, 16, v30
	v_mov_b32_e32 v2, 0
	v_cmp_ne_u16_sdwa s[8:9], v32, v2 src0_sel:BYTE_0 src1_sel:DWORD
	v_mov_b32_e32 v23, 0
	v_mov_b32_e32 v20, 0
	s_and_saveexec_b64 s[28:29], s[8:9]
	s_cbranch_execz .LBB317_196
; %bb.191:                              ;   in Loop: Header=BB317_10 Depth=1
	v_cmp_ne_u16_sdwa s[8:9], v32, s19 src0_sel:BYTE_0 src1_sel:DWORD
	v_bfrev_b32_e32 v20, 1
	s_and_saveexec_b64 s[30:31], s[8:9]
	s_cbranch_execz .LBB317_195
; %bb.192:                              ;   in Loop: Header=BB317_10 Depth=1
	v_bfe_u32 v6, v30, 16, 7
	v_cmp_ne_u32_e64 s[8:9], s37, v6
	v_mov_b32_e32 v20, 0x7fc02000
	s_and_saveexec_b64 s[34:35], s[8:9]
	s_cbranch_execz .LBB317_194
; %bb.193:                              ;   in Loop: Header=BB317_10 Depth=1
	v_and_b32_e32 v2, 7, v32
	v_ffbh_u32_e32 v8, v2
	v_min_u32_e32 v12, 32, v8
	v_subrev_u32_e32 v8, 28, v12
	v_lshlrev_b64 v[8:9], v8, v[32:33]
	v_lshrrev_b32_e32 v7, 3, v6
	v_sub_u32_e32 v9, 29, v12
	v_cmp_gt_u32_e64 s[8:9], 8, v6
	v_cndmask_b32_e64 v6, v7, v9, s[8:9]
	v_mov_b32_e32 v3, 0x2000
	v_and_b32_e32 v8, 7, v8
	v_lshlrev_b32_e32 v7, 8, v32
	v_lshl_add_u32 v6, v6, 10, v3
	v_cndmask_b32_e64 v2, v2, v8, s[8:9]
	v_and_or_b32 v6, v7, s38, v6
	v_lshl_or_b32 v2, v2, 7, v6
	v_cvt_f32_f16_e32 v20, v2
.LBB317_194:                            ;   in Loop: Header=BB317_10 Depth=1
	s_or_b64 exec, exec, s[34:35]
.LBB317_195:                            ;   in Loop: Header=BB317_10 Depth=1
	s_or_b64 exec, exec, s[30:31]
.LBB317_196:                            ;   in Loop: Header=BB317_10 Depth=1
	s_or_b64 exec, exec, s[28:29]
	v_cmp_lt_u32_e64 s[8:9], s39, v30
	s_and_saveexec_b64 s[28:29], s[8:9]
	s_cbranch_execz .LBB317_202
; %bb.197:                              ;   in Loop: Header=BB317_10 Depth=1
	v_lshrrev_b32_e32 v30, 24, v30
	v_cmp_ne_u32_e64 s[8:9], s19, v30
	v_bfrev_b32_e32 v23, 1
	s_and_saveexec_b64 s[30:31], s[8:9]
	s_cbranch_execz .LBB317_201
; %bb.198:                              ;   in Loop: Header=BB317_10 Depth=1
	v_and_b32_e32 v6, 0x7f, v30
	v_cmp_ne_u32_e64 s[8:9], s37, v6
	v_mov_b32_e32 v23, 0x7fc02000
	s_and_saveexec_b64 s[34:35], s[8:9]
	s_cbranch_execz .LBB317_200
; %bb.199:                              ;   in Loop: Header=BB317_10 Depth=1
	v_and_b32_e32 v3, 7, v30
	v_ffbh_u32_e32 v8, v3
	v_min_u32_e32 v12, 32, v8
	v_subrev_u32_e32 v8, 28, v12
	v_lshlrev_b64 v[8:9], v8, v[30:31]
	v_lshrrev_b32_e32 v7, 3, v6
	v_sub_u32_e32 v9, 29, v12
	v_cmp_gt_u32_e64 s[8:9], 8, v6
	v_cndmask_b32_e64 v6, v7, v9, s[8:9]
	v_mov_b32_e32 v2, 0x2000
	v_and_b32_e32 v8, 7, v8
	v_lshlrev_b32_e32 v7, 8, v30
	v_lshl_add_u32 v6, v6, 10, v2
	v_cndmask_b32_e64 v3, v3, v8, s[8:9]
	v_and_or_b32 v6, v7, s38, v6
	v_lshl_or_b32 v3, v3, 7, v6
	v_cvt_f32_f16_e32 v23, v3
.LBB317_200:                            ;   in Loop: Header=BB317_10 Depth=1
	s_or_b64 exec, exec, s[34:35]
.LBB317_201:                            ;   in Loop: Header=BB317_10 Depth=1
	s_or_b64 exec, exec, s[30:31]
.LBB317_202:                            ;   in Loop: Header=BB317_10 Depth=1
	s_or_b64 exec, exec, s[28:29]
	flat_load_dword v30, v[28:29] offset:2048
	v_mov_b32_e32 v2, 0
	v_mov_b32_e32 v16, 0
	;; [unrolled: 1-line block ×3, first 2 shown]
	s_waitcnt vmcnt(0) lgkmcnt(0)
	v_cmp_ne_u16_sdwa s[8:9], v30, v2 src0_sel:BYTE_0 src1_sel:DWORD
	s_and_saveexec_b64 s[28:29], s[8:9]
	s_cbranch_execz .LBB317_208
; %bb.203:                              ;   in Loop: Header=BB317_10 Depth=1
	v_cmp_ne_u16_sdwa s[8:9], v30, s19 src0_sel:BYTE_0 src1_sel:DWORD
	v_bfrev_b32_e32 v21, 1
	s_and_saveexec_b64 s[30:31], s[8:9]
	s_cbranch_execz .LBB317_207
; %bb.204:                              ;   in Loop: Header=BB317_10 Depth=1
	v_and_b32_e32 v6, 0x7f, v30
	v_cmp_ne_u32_e64 s[8:9], s37, v6
	v_mov_b32_e32 v21, 0x7fc02000
	s_and_saveexec_b64 s[34:35], s[8:9]
	s_cbranch_execz .LBB317_206
; %bb.205:                              ;   in Loop: Header=BB317_10 Depth=1
	v_and_b32_e32 v7, 7, v30
	v_ffbh_u32_e32 v8, v7
	v_min_u32_e32 v13, 32, v8
	v_subrev_u32_e32 v8, 28, v13
	v_lshlrev_b64 v[8:9], v8, v[30:31]
	v_lshrrev_b32_e32 v12, 3, v6
	v_sub_u32_e32 v9, 29, v13
	v_cmp_gt_u32_e64 s[8:9], 8, v6
	v_and_b32_e32 v8, 7, v8
	v_cndmask_b32_e64 v6, v12, v9, s[8:9]
	v_mov_b32_e32 v2, 0x2000
	v_cndmask_b32_e64 v7, v7, v8, s[8:9]
	v_lshlrev_b32_e32 v8, 8, v30
	v_lshl_add_u32 v6, v6, 10, v2
	v_and_or_b32 v6, v8, s38, v6
	v_lshl_or_b32 v6, v7, 7, v6
	v_cvt_f32_f16_e32 v21, v6
.LBB317_206:                            ;   in Loop: Header=BB317_10 Depth=1
	s_or_b64 exec, exec, s[34:35]
.LBB317_207:                            ;   in Loop: Header=BB317_10 Depth=1
	s_or_b64 exec, exec, s[30:31]
.LBB317_208:                            ;   in Loop: Header=BB317_10 Depth=1
	s_or_b64 exec, exec, s[28:29]
	v_lshrrev_b16_e32 v32, 8, v30
	v_cmp_ne_u16_e64 s[8:9], 0, v32
	s_and_saveexec_b64 s[28:29], s[8:9]
	s_cbranch_execz .LBB317_214
; %bb.209:                              ;   in Loop: Header=BB317_10 Depth=1
	v_cmp_ne_u16_e64 s[8:9], s19, v32
	v_bfrev_b32_e32 v16, 1
	s_and_saveexec_b64 s[30:31], s[8:9]
	s_cbranch_execz .LBB317_213
; %bb.210:                              ;   in Loop: Header=BB317_10 Depth=1
	v_and_b32_e32 v6, 0x7f, v32
	v_cmp_ne_u32_e64 s[8:9], s37, v6
	v_mov_b32_e32 v16, 0x7fc02000
	s_and_saveexec_b64 s[34:35], s[8:9]
	s_cbranch_execz .LBB317_212
; %bb.211:                              ;   in Loop: Header=BB317_10 Depth=1
	v_and_b32_e32 v7, 7, v32
	v_ffbh_u32_e32 v8, v7
	v_min_u32_e32 v13, 32, v8
	v_subrev_u32_e32 v8, 28, v13
	v_lshlrev_b64 v[8:9], v8, v[32:33]
	v_lshrrev_b32_e32 v12, 3, v6
	v_sub_u32_e32 v9, 29, v13
	v_cmp_gt_u32_e64 s[8:9], 8, v6
	v_and_b32_e32 v8, 7, v8
	v_cndmask_b32_e64 v6, v12, v9, s[8:9]
	v_mov_b32_e32 v2, 0x2000
	v_cndmask_b32_e64 v7, v7, v8, s[8:9]
	v_lshlrev_b32_e32 v8, 8, v32
	v_lshl_add_u32 v6, v6, 10, v2
	v_and_or_b32 v6, v8, s38, v6
	v_lshl_or_b32 v6, v7, 7, v6
	v_cvt_f32_f16_e32 v16, v6
.LBB317_212:                            ;   in Loop: Header=BB317_10 Depth=1
	s_or_b64 exec, exec, s[34:35]
.LBB317_213:                            ;   in Loop: Header=BB317_10 Depth=1
	s_or_b64 exec, exec, s[30:31]
.LBB317_214:                            ;   in Loop: Header=BB317_10 Depth=1
	s_or_b64 exec, exec, s[28:29]
	v_lshrrev_b32_e32 v32, 16, v30
	v_mov_b32_e32 v2, 0
	v_cmp_ne_u16_sdwa s[8:9], v32, v2 src0_sel:BYTE_0 src1_sel:DWORD
	v_mov_b32_e32 v34, 0
	v_mov_b32_e32 v12, 0
	s_and_saveexec_b64 s[28:29], s[8:9]
	s_cbranch_execz .LBB317_220
; %bb.215:                              ;   in Loop: Header=BB317_10 Depth=1
	v_cmp_ne_u16_sdwa s[8:9], v32, s19 src0_sel:BYTE_0 src1_sel:DWORD
	v_bfrev_b32_e32 v12, 1
	s_and_saveexec_b64 s[30:31], s[8:9]
	s_cbranch_execz .LBB317_219
; %bb.216:                              ;   in Loop: Header=BB317_10 Depth=1
	v_bfe_u32 v6, v30, 16, 7
	v_cmp_ne_u32_e64 s[8:9], s37, v6
	v_mov_b32_e32 v12, 0x7fc02000
	s_and_saveexec_b64 s[34:35], s[8:9]
	s_cbranch_execz .LBB317_218
; %bb.217:                              ;   in Loop: Header=BB317_10 Depth=1
	v_and_b32_e32 v7, 7, v32
	v_ffbh_u32_e32 v8, v7
	v_min_u32_e32 v13, 32, v8
	v_subrev_u32_e32 v8, 28, v13
	v_lshlrev_b64 v[8:9], v8, v[32:33]
	v_lshrrev_b32_e32 v12, 3, v6
	v_sub_u32_e32 v9, 29, v13
	v_cmp_gt_u32_e64 s[8:9], 8, v6
	v_and_b32_e32 v8, 7, v8
	v_cndmask_b32_e64 v6, v12, v9, s[8:9]
	v_mov_b32_e32 v2, 0x2000
	v_cndmask_b32_e64 v7, v7, v8, s[8:9]
	v_lshlrev_b32_e32 v8, 8, v32
	v_lshl_add_u32 v6, v6, 10, v2
	v_and_or_b32 v6, v8, s38, v6
	v_lshl_or_b32 v6, v7, 7, v6
	v_cvt_f32_f16_e32 v12, v6
.LBB317_218:                            ;   in Loop: Header=BB317_10 Depth=1
	s_or_b64 exec, exec, s[34:35]
.LBB317_219:                            ;   in Loop: Header=BB317_10 Depth=1
	s_or_b64 exec, exec, s[30:31]
.LBB317_220:                            ;   in Loop: Header=BB317_10 Depth=1
	s_or_b64 exec, exec, s[28:29]
	v_cmp_lt_u32_e64 s[8:9], s39, v30
	s_and_saveexec_b64 s[28:29], s[8:9]
	s_cbranch_execz .LBB317_226
; %bb.221:                              ;   in Loop: Header=BB317_10 Depth=1
	v_lshrrev_b32_e32 v30, 24, v30
	v_cmp_ne_u32_e64 s[8:9], s19, v30
	v_bfrev_b32_e32 v34, 1
	s_and_saveexec_b64 s[30:31], s[8:9]
	s_cbranch_execz .LBB317_225
; %bb.222:                              ;   in Loop: Header=BB317_10 Depth=1
	v_and_b32_e32 v6, 0x7f, v30
	v_cmp_ne_u32_e64 s[8:9], s37, v6
	v_mov_b32_e32 v34, 0x7fc02000
	s_and_saveexec_b64 s[34:35], s[8:9]
	s_cbranch_execz .LBB317_224
; %bb.223:                              ;   in Loop: Header=BB317_10 Depth=1
	v_and_b32_e32 v7, 7, v30
	v_ffbh_u32_e32 v8, v7
	v_min_u32_e32 v22, 32, v8
	v_subrev_u32_e32 v8, 28, v22
	v_lshlrev_b64 v[8:9], v8, v[30:31]
	v_lshrrev_b32_e32 v13, 3, v6
	v_sub_u32_e32 v9, 29, v22
	v_cmp_gt_u32_e64 s[8:9], 8, v6
	v_and_b32_e32 v8, 7, v8
	v_cndmask_b32_e64 v6, v13, v9, s[8:9]
	v_mov_b32_e32 v2, 0x2000
	v_cndmask_b32_e64 v7, v7, v8, s[8:9]
	v_lshlrev_b32_e32 v8, 8, v30
	v_lshl_add_u32 v6, v6, 10, v2
	v_and_or_b32 v6, v8, s38, v6
	v_lshl_or_b32 v6, v7, 7, v6
	v_cvt_f32_f16_e32 v34, v6
.LBB317_224:                            ;   in Loop: Header=BB317_10 Depth=1
	s_or_b64 exec, exec, s[34:35]
.LBB317_225:                            ;   in Loop: Header=BB317_10 Depth=1
	s_or_b64 exec, exec, s[30:31]
.LBB317_226:                            ;   in Loop: Header=BB317_10 Depth=1
	s_or_b64 exec, exec, s[28:29]
	flat_load_dword v30, v[28:29] offset:2056
	v_mov_b32_e32 v2, 0
	v_mov_b32_e32 v48, 0
	;; [unrolled: 1-line block ×3, first 2 shown]
	s_waitcnt vmcnt(0) lgkmcnt(0)
	v_cmp_ne_u16_sdwa s[8:9], v30, v2 src0_sel:BYTE_0 src1_sel:DWORD
	s_and_saveexec_b64 s[28:29], s[8:9]
	s_cbranch_execz .LBB317_232
; %bb.227:                              ;   in Loop: Header=BB317_10 Depth=1
	v_cmp_ne_u16_sdwa s[8:9], v30, s19 src0_sel:BYTE_0 src1_sel:DWORD
	v_bfrev_b32_e32 v13, 1
	s_and_saveexec_b64 s[30:31], s[8:9]
	s_cbranch_execz .LBB317_231
; %bb.228:                              ;   in Loop: Header=BB317_10 Depth=1
	v_and_b32_e32 v6, 0x7f, v30
	v_cmp_ne_u32_e64 s[8:9], s37, v6
	v_mov_b32_e32 v13, 0x7fc02000
	s_and_saveexec_b64 s[34:35], s[8:9]
	s_cbranch_execz .LBB317_230
; %bb.229:                              ;   in Loop: Header=BB317_10 Depth=1
	v_and_b32_e32 v7, 7, v30
	v_ffbh_u32_e32 v8, v7
	v_min_u32_e32 v22, 32, v8
	v_subrev_u32_e32 v8, 28, v22
	v_lshlrev_b64 v[8:9], v8, v[30:31]
	v_lshrrev_b32_e32 v13, 3, v6
	v_sub_u32_e32 v9, 29, v22
	v_cmp_gt_u32_e64 s[8:9], 8, v6
	v_and_b32_e32 v8, 7, v8
	v_cndmask_b32_e64 v6, v13, v9, s[8:9]
	v_mov_b32_e32 v2, 0x2000
	v_cndmask_b32_e64 v7, v7, v8, s[8:9]
	v_lshlrev_b32_e32 v8, 8, v30
	v_lshl_add_u32 v6, v6, 10, v2
	v_and_or_b32 v6, v8, s38, v6
	v_lshl_or_b32 v6, v7, 7, v6
	v_cvt_f32_f16_e32 v13, v6
.LBB317_230:                            ;   in Loop: Header=BB317_10 Depth=1
	s_or_b64 exec, exec, s[34:35]
.LBB317_231:                            ;   in Loop: Header=BB317_10 Depth=1
	s_or_b64 exec, exec, s[30:31]
.LBB317_232:                            ;   in Loop: Header=BB317_10 Depth=1
	s_or_b64 exec, exec, s[28:29]
	v_lshrrev_b16_e32 v32, 8, v30
	v_cmp_ne_u16_e64 s[8:9], 0, v32
	s_and_saveexec_b64 s[28:29], s[8:9]
	s_cbranch_execz .LBB317_238
; %bb.233:                              ;   in Loop: Header=BB317_10 Depth=1
	v_cmp_ne_u16_e64 s[8:9], s19, v32
	v_bfrev_b32_e32 v48, 1
	s_and_saveexec_b64 s[30:31], s[8:9]
	s_cbranch_execz .LBB317_237
; %bb.234:                              ;   in Loop: Header=BB317_10 Depth=1
	v_and_b32_e32 v6, 0x7f, v32
	v_cmp_ne_u32_e64 s[8:9], s37, v6
	v_mov_b32_e32 v48, 0x7fc02000
	s_and_saveexec_b64 s[34:35], s[8:9]
	s_cbranch_execz .LBB317_236
; %bb.235:                              ;   in Loop: Header=BB317_10 Depth=1
	v_and_b32_e32 v7, 7, v32
	v_ffbh_u32_e32 v8, v7
	v_min_u32_e32 v24, 32, v8
	v_subrev_u32_e32 v8, 28, v24
	v_lshlrev_b64 v[8:9], v8, v[32:33]
	v_lshrrev_b32_e32 v22, 3, v6
	v_sub_u32_e32 v9, 29, v24
	v_cmp_gt_u32_e64 s[8:9], 8, v6
	v_and_b32_e32 v8, 7, v8
	v_cndmask_b32_e64 v6, v22, v9, s[8:9]
	v_mov_b32_e32 v2, 0x2000
	v_cndmask_b32_e64 v7, v7, v8, s[8:9]
	v_lshlrev_b32_e32 v8, 8, v32
	v_lshl_add_u32 v6, v6, 10, v2
	v_and_or_b32 v6, v8, s38, v6
	v_lshl_or_b32 v6, v7, 7, v6
	v_cvt_f32_f16_e32 v48, v6
.LBB317_236:                            ;   in Loop: Header=BB317_10 Depth=1
	s_or_b64 exec, exec, s[34:35]
.LBB317_237:                            ;   in Loop: Header=BB317_10 Depth=1
	s_or_b64 exec, exec, s[30:31]
.LBB317_238:                            ;   in Loop: Header=BB317_10 Depth=1
	s_or_b64 exec, exec, s[28:29]
	v_lshrrev_b32_e32 v32, 16, v30
	v_mov_b32_e32 v2, 0
	v_cmp_ne_u16_sdwa s[8:9], v32, v2 src0_sel:BYTE_0 src1_sel:DWORD
	v_mov_b32_e32 v8, 0
	v_mov_b32_e32 v9, 0
	s_and_saveexec_b64 s[28:29], s[8:9]
	s_cbranch_execz .LBB317_244
; %bb.239:                              ;   in Loop: Header=BB317_10 Depth=1
	v_cmp_ne_u16_sdwa s[8:9], v32, s19 src0_sel:BYTE_0 src1_sel:DWORD
	v_bfrev_b32_e32 v9, 1
	s_and_saveexec_b64 s[30:31], s[8:9]
	s_cbranch_execz .LBB317_243
; %bb.240:                              ;   in Loop: Header=BB317_10 Depth=1
	v_bfe_u32 v6, v30, 16, 7
	v_cmp_ne_u32_e64 s[8:9], s37, v6
	v_mov_b32_e32 v9, 0x7fc02000
	s_and_saveexec_b64 s[34:35], s[8:9]
	s_cbranch_execz .LBB317_242
; %bb.241:                              ;   in Loop: Header=BB317_10 Depth=1
	v_and_b32_e32 v7, 7, v32
	v_ffbh_u32_e32 v22, v7
	v_min_u32_e32 v22, 32, v22
	v_lshrrev_b32_e32 v9, 3, v6
	v_subrev_u32_e32 v24, 28, v22
	v_sub_u32_e32 v22, 29, v22
	v_cmp_gt_u32_e64 s[8:9], 8, v6
	v_lshlrev_b64 v[24:25], v24, v[32:33]
	v_cndmask_b32_e64 v6, v9, v22, s[8:9]
	v_mov_b32_e32 v2, 0x2000
	v_and_b32_e32 v24, 7, v24
	v_lshlrev_b32_e32 v9, 8, v32
	v_lshl_add_u32 v6, v6, 10, v2
	v_cndmask_b32_e64 v7, v7, v24, s[8:9]
	v_and_or_b32 v6, v9, s38, v6
	v_lshl_or_b32 v6, v7, 7, v6
	v_cvt_f32_f16_e32 v9, v6
.LBB317_242:                            ;   in Loop: Header=BB317_10 Depth=1
	s_or_b64 exec, exec, s[34:35]
.LBB317_243:                            ;   in Loop: Header=BB317_10 Depth=1
	s_or_b64 exec, exec, s[30:31]
.LBB317_244:                            ;   in Loop: Header=BB317_10 Depth=1
	s_or_b64 exec, exec, s[28:29]
	v_cmp_lt_u32_e64 s[8:9], s39, v30
	s_and_saveexec_b64 s[28:29], s[8:9]
	s_cbranch_execz .LBB317_250
; %bb.245:                              ;   in Loop: Header=BB317_10 Depth=1
	v_lshrrev_b32_e32 v30, 24, v30
	v_cmp_ne_u32_e64 s[8:9], s19, v30
	v_bfrev_b32_e32 v8, 1
	s_and_saveexec_b64 s[30:31], s[8:9]
	s_cbranch_execz .LBB317_249
; %bb.246:                              ;   in Loop: Header=BB317_10 Depth=1
	v_and_b32_e32 v6, 0x7f, v30
	v_cmp_ne_u32_e64 s[8:9], s37, v6
	v_mov_b32_e32 v8, 0x7fc02000
	s_and_saveexec_b64 s[34:35], s[8:9]
	s_cbranch_execz .LBB317_248
; %bb.247:                              ;   in Loop: Header=BB317_10 Depth=1
	v_and_b32_e32 v7, 7, v30
	v_ffbh_u32_e32 v22, v7
	v_min_u32_e32 v22, 32, v22
	v_lshrrev_b32_e32 v8, 3, v6
	v_subrev_u32_e32 v24, 28, v22
	v_sub_u32_e32 v22, 29, v22
	v_cmp_gt_u32_e64 s[8:9], 8, v6
	v_lshlrev_b64 v[24:25], v24, v[30:31]
	v_cndmask_b32_e64 v6, v8, v22, s[8:9]
	v_mov_b32_e32 v2, 0x2000
	v_and_b32_e32 v24, 7, v24
	v_lshlrev_b32_e32 v8, 8, v30
	v_lshl_add_u32 v6, v6, 10, v2
	v_cndmask_b32_e64 v7, v7, v24, s[8:9]
	v_and_or_b32 v6, v8, s38, v6
	v_lshl_or_b32 v6, v7, 7, v6
	v_cvt_f32_f16_e32 v8, v6
.LBB317_248:                            ;   in Loop: Header=BB317_10 Depth=1
	s_or_b64 exec, exec, s[34:35]
.LBB317_249:                            ;   in Loop: Header=BB317_10 Depth=1
	s_or_b64 exec, exec, s[30:31]
.LBB317_250:                            ;   in Loop: Header=BB317_10 Depth=1
	s_or_b64 exec, exec, s[28:29]
	flat_load_dword v30, v[28:29] offset:2560
	v_mov_b32_e32 v2, 0
	v_mov_b32_e32 v22, 0
	;; [unrolled: 1-line block ×3, first 2 shown]
	s_waitcnt vmcnt(0) lgkmcnt(0)
	v_cmp_ne_u16_sdwa s[8:9], v30, v2 src0_sel:BYTE_0 src1_sel:DWORD
	s_and_saveexec_b64 s[28:29], s[8:9]
	s_cbranch_execz .LBB317_256
; %bb.251:                              ;   in Loop: Header=BB317_10 Depth=1
	v_cmp_ne_u16_sdwa s[8:9], v30, s19 src0_sel:BYTE_0 src1_sel:DWORD
	v_bfrev_b32_e32 v33, 1
	s_and_saveexec_b64 s[30:31], s[8:9]
	s_cbranch_execz .LBB317_255
; %bb.252:                              ;   in Loop: Header=BB317_10 Depth=1
	v_and_b32_e32 v6, 0x7f, v30
	v_cmp_ne_u32_e64 s[8:9], s37, v6
	v_mov_b32_e32 v33, 0x7fc02000
	s_and_saveexec_b64 s[34:35], s[8:9]
	s_cbranch_execz .LBB317_254
; %bb.253:                              ;   in Loop: Header=BB317_10 Depth=1
	v_and_b32_e32 v7, 7, v30
	v_ffbh_u32_e32 v24, v7
	v_min_u32_e32 v27, 32, v24
	v_subrev_u32_e32 v24, 28, v27
	v_lshlrev_b64 v[24:25], v24, v[30:31]
	v_lshrrev_b32_e32 v26, 3, v6
	v_sub_u32_e32 v25, 29, v27
	v_cmp_gt_u32_e64 s[8:9], 8, v6
	v_and_b32_e32 v24, 7, v24
	v_cndmask_b32_e64 v6, v26, v25, s[8:9]
	v_mov_b32_e32 v2, 0x2000
	v_cndmask_b32_e64 v7, v7, v24, s[8:9]
	v_lshlrev_b32_e32 v24, 8, v30
	v_lshl_add_u32 v6, v6, 10, v2
	v_and_or_b32 v6, v24, s38, v6
	v_lshl_or_b32 v6, v7, 7, v6
	v_cvt_f32_f16_e32 v33, v6
.LBB317_254:                            ;   in Loop: Header=BB317_10 Depth=1
	s_or_b64 exec, exec, s[34:35]
.LBB317_255:                            ;   in Loop: Header=BB317_10 Depth=1
	s_or_b64 exec, exec, s[30:31]
.LBB317_256:                            ;   in Loop: Header=BB317_10 Depth=1
	s_or_b64 exec, exec, s[28:29]
	v_lshrrev_b16_e32 v32, 8, v30
	v_cmp_ne_u16_e64 s[8:9], 0, v32
	s_and_saveexec_b64 s[28:29], s[8:9]
	s_cbranch_execz .LBB317_262
; %bb.257:                              ;   in Loop: Header=BB317_10 Depth=1
	v_cmp_ne_u16_e64 s[8:9], s19, v32
	v_bfrev_b32_e32 v22, 1
	s_and_saveexec_b64 s[30:31], s[8:9]
	s_cbranch_execz .LBB317_261
; %bb.258:                              ;   in Loop: Header=BB317_10 Depth=1
	v_and_b32_e32 v6, 0x7f, v32
	v_cmp_ne_u32_e64 s[8:9], s37, v6
	v_mov_b32_e32 v22, 0x7fc02000
	s_and_saveexec_b64 s[34:35], s[8:9]
	s_cbranch_execz .LBB317_260
; %bb.259:                              ;   in Loop: Header=BB317_10 Depth=1
	v_and_b32_e32 v22, 7, v32
	v_lshrrev_b32_e32 v24, 3, v6
	v_cmp_gt_u32_e64 s[8:9], 8, v6
	v_ffbh_u32_e32 v6, v22
	v_min_u32_e32 v25, 32, v6
	v_subrev_u32_e32 v6, 28, v25
	v_lshlrev_b64 v[6:7], v6, v[32:33]
	v_sub_u32_e32 v7, 29, v25
	v_and_b32_e32 v6, 7, v6
	v_cndmask_b32_e64 v7, v24, v7, s[8:9]
	v_mov_b32_e32 v2, 0x2000
	v_cndmask_b32_e64 v6, v22, v6, s[8:9]
	v_lshlrev_b32_e32 v22, 8, v32
	v_lshl_add_u32 v7, v7, 10, v2
	v_and_or_b32 v7, v22, s38, v7
	v_lshl_or_b32 v6, v6, 7, v7
	v_cvt_f32_f16_e32 v22, v6
.LBB317_260:                            ;   in Loop: Header=BB317_10 Depth=1
	s_or_b64 exec, exec, s[34:35]
.LBB317_261:                            ;   in Loop: Header=BB317_10 Depth=1
	s_or_b64 exec, exec, s[30:31]
.LBB317_262:                            ;   in Loop: Header=BB317_10 Depth=1
	s_or_b64 exec, exec, s[28:29]
	v_lshrrev_b32_e32 v32, 16, v30
	v_mov_b32_e32 v2, 0
	v_cmp_ne_u16_sdwa s[8:9], v32, v2 src0_sel:BYTE_0 src1_sel:DWORD
	v_mov_b32_e32 v25, 0
	v_mov_b32_e32 v24, 0
	s_and_saveexec_b64 s[28:29], s[8:9]
	s_cbranch_execz .LBB317_268
; %bb.263:                              ;   in Loop: Header=BB317_10 Depth=1
	v_cmp_ne_u16_sdwa s[8:9], v32, s19 src0_sel:BYTE_0 src1_sel:DWORD
	v_bfrev_b32_e32 v24, 1
	s_and_saveexec_b64 s[30:31], s[8:9]
	s_cbranch_execz .LBB317_267
; %bb.264:                              ;   in Loop: Header=BB317_10 Depth=1
	v_bfe_u32 v6, v30, 16, 7
	v_cmp_ne_u32_e64 s[8:9], s37, v6
	v_mov_b32_e32 v24, 0x7fc02000
	s_and_saveexec_b64 s[34:35], s[8:9]
	s_cbranch_execz .LBB317_266
; %bb.265:                              ;   in Loop: Header=BB317_10 Depth=1
	v_and_b32_e32 v7, 7, v32
	v_ffbh_u32_e32 v26, v7
	v_min_u32_e32 v49, 32, v26
	v_subrev_u32_e32 v26, 28, v49
	v_lshlrev_b64 v[26:27], v26, v[32:33]
	v_lshrrev_b32_e32 v24, 3, v6
	v_sub_u32_e32 v27, 29, v49
	v_cmp_gt_u32_e64 s[8:9], 8, v6
	v_cndmask_b32_e64 v6, v24, v27, s[8:9]
	v_mov_b32_e32 v2, 0x2000
	v_and_b32_e32 v26, 7, v26
	v_lshlrev_b32_e32 v24, 8, v32
	v_lshl_add_u32 v6, v6, 10, v2
	v_cndmask_b32_e64 v7, v7, v26, s[8:9]
	v_and_or_b32 v6, v24, s38, v6
	v_lshl_or_b32 v6, v7, 7, v6
	v_cvt_f32_f16_e32 v24, v6
.LBB317_266:                            ;   in Loop: Header=BB317_10 Depth=1
	s_or_b64 exec, exec, s[34:35]
.LBB317_267:                            ;   in Loop: Header=BB317_10 Depth=1
	s_or_b64 exec, exec, s[30:31]
.LBB317_268:                            ;   in Loop: Header=BB317_10 Depth=1
	s_or_b64 exec, exec, s[28:29]
	v_cmp_lt_u32_e64 s[8:9], s39, v30
	s_and_saveexec_b64 s[28:29], s[8:9]
	s_cbranch_execz .LBB317_274
; %bb.269:                              ;   in Loop: Header=BB317_10 Depth=1
	v_lshrrev_b32_e32 v30, 24, v30
	v_cmp_ne_u32_e64 s[8:9], s19, v30
	v_bfrev_b32_e32 v25, 1
	s_and_saveexec_b64 s[30:31], s[8:9]
	s_cbranch_execz .LBB317_273
; %bb.270:                              ;   in Loop: Header=BB317_10 Depth=1
	v_and_b32_e32 v6, 0x7f, v30
	v_cmp_ne_u32_e64 s[8:9], s37, v6
	v_mov_b32_e32 v25, 0x7fc02000
	s_and_saveexec_b64 s[34:35], s[8:9]
	s_cbranch_execz .LBB317_272
; %bb.271:                              ;   in Loop: Header=BB317_10 Depth=1
	v_and_b32_e32 v7, 7, v30
	v_ffbh_u32_e32 v26, v7
	v_min_u32_e32 v32, 32, v26
	v_subrev_u32_e32 v26, 28, v32
	v_lshlrev_b64 v[26:27], v26, v[30:31]
	v_lshrrev_b32_e32 v25, 3, v6
	v_sub_u32_e32 v27, 29, v32
	v_cmp_gt_u32_e64 s[8:9], 8, v6
	v_cndmask_b32_e64 v6, v25, v27, s[8:9]
	v_mov_b32_e32 v2, 0x2000
	v_and_b32_e32 v26, 7, v26
	v_lshlrev_b32_e32 v25, 8, v30
	v_lshl_add_u32 v6, v6, 10, v2
	v_cndmask_b32_e64 v7, v7, v26, s[8:9]
	v_and_or_b32 v6, v25, s38, v6
	v_lshl_or_b32 v6, v7, 7, v6
	v_cvt_f32_f16_e32 v25, v6
.LBB317_272:                            ;   in Loop: Header=BB317_10 Depth=1
	s_or_b64 exec, exec, s[34:35]
.LBB317_273:                            ;   in Loop: Header=BB317_10 Depth=1
	s_or_b64 exec, exec, s[30:31]
.LBB317_274:                            ;   in Loop: Header=BB317_10 Depth=1
	s_or_b64 exec, exec, s[28:29]
	flat_load_dword v30, v[28:29] offset:2568
	v_mov_b32_e32 v2, 0
	v_mov_b32_e32 v41, 0
	;; [unrolled: 1-line block ×3, first 2 shown]
	s_waitcnt vmcnt(0) lgkmcnt(0)
	v_cmp_ne_u16_sdwa s[8:9], v30, v2 src0_sel:BYTE_0 src1_sel:DWORD
	s_and_saveexec_b64 s[28:29], s[8:9]
	s_cbranch_execz .LBB317_280
; %bb.275:                              ;   in Loop: Header=BB317_10 Depth=1
	v_cmp_ne_u16_sdwa s[8:9], v30, s19 src0_sel:BYTE_0 src1_sel:DWORD
	v_bfrev_b32_e32 v27, 1
	s_and_saveexec_b64 s[30:31], s[8:9]
	s_cbranch_execz .LBB317_279
; %bb.276:                              ;   in Loop: Header=BB317_10 Depth=1
	v_and_b32_e32 v6, 0x7f, v30
	v_cmp_ne_u32_e64 s[8:9], s37, v6
	v_mov_b32_e32 v27, 0x7fc02000
	s_and_saveexec_b64 s[34:35], s[8:9]
	s_cbranch_execz .LBB317_278
; %bb.277:                              ;   in Loop: Header=BB317_10 Depth=1
	v_and_b32_e32 v7, 7, v30
	v_ffbh_u32_e32 v26, v7
	v_min_u32_e32 v49, 32, v26
	v_subrev_u32_e32 v26, 28, v49
	v_lshlrev_b64 v[26:27], v26, v[30:31]
	v_lshrrev_b32_e32 v32, 3, v6
	v_sub_u32_e32 v27, 29, v49
	v_cmp_gt_u32_e64 s[8:9], 8, v6
	v_and_b32_e32 v26, 7, v26
	v_cndmask_b32_e64 v6, v32, v27, s[8:9]
	v_mov_b32_e32 v2, 0x2000
	v_cndmask_b32_e64 v7, v7, v26, s[8:9]
	v_lshlrev_b32_e32 v26, 8, v30
	v_lshl_add_u32 v6, v6, 10, v2
	v_and_or_b32 v6, v26, s38, v6
	v_lshl_or_b32 v6, v7, 7, v6
	v_cvt_f32_f16_e32 v27, v6
.LBB317_278:                            ;   in Loop: Header=BB317_10 Depth=1
	s_or_b64 exec, exec, s[34:35]
.LBB317_279:                            ;   in Loop: Header=BB317_10 Depth=1
	s_or_b64 exec, exec, s[30:31]
.LBB317_280:                            ;   in Loop: Header=BB317_10 Depth=1
	s_or_b64 exec, exec, s[28:29]
	v_lshrrev_b16_e32 v32, 8, v30
	v_cmp_ne_u16_e64 s[8:9], 0, v32
	s_and_saveexec_b64 s[28:29], s[8:9]
	s_cbranch_execz .LBB317_286
; %bb.281:                              ;   in Loop: Header=BB317_10 Depth=1
	v_cmp_ne_u16_e64 s[8:9], s19, v32
	v_bfrev_b32_e32 v41, 1
	s_and_saveexec_b64 s[30:31], s[8:9]
	s_cbranch_execz .LBB317_285
; %bb.282:                              ;   in Loop: Header=BB317_10 Depth=1
	v_and_b32_e32 v6, 0x7f, v32
	v_cmp_ne_u32_e64 s[8:9], s37, v6
	v_mov_b32_e32 v41, 0x7fc02000
	s_and_saveexec_b64 s[34:35], s[8:9]
	s_cbranch_execz .LBB317_284
; %bb.283:                              ;   in Loop: Header=BB317_10 Depth=1
	v_and_b32_e32 v7, 7, v32
	v_ffbh_u32_e32 v49, v7
	v_min_u32_e32 v49, 32, v49
	v_lshrrev_b32_e32 v26, 3, v6
	v_subrev_u32_e32 v54, 28, v49
	v_sub_u32_e32 v49, 29, v49
	v_cmp_gt_u32_e64 s[8:9], 8, v6
	v_lshlrev_b64 v[42:43], v54, v[32:33]
	v_cndmask_b32_e64 v6, v26, v49, s[8:9]
	v_mov_b32_e32 v2, 0x2000
	v_and_b32_e32 v54, 7, v42
	v_lshlrev_b32_e32 v26, 8, v32
	v_lshl_add_u32 v6, v6, 10, v2
	v_cndmask_b32_e64 v7, v7, v54, s[8:9]
	v_and_or_b32 v6, v26, s38, v6
	v_lshl_or_b32 v6, v7, 7, v6
	v_cvt_f32_f16_e32 v41, v6
.LBB317_284:                            ;   in Loop: Header=BB317_10 Depth=1
	s_or_b64 exec, exec, s[34:35]
.LBB317_285:                            ;   in Loop: Header=BB317_10 Depth=1
	s_or_b64 exec, exec, s[30:31]
.LBB317_286:                            ;   in Loop: Header=BB317_10 Depth=1
	s_or_b64 exec, exec, s[28:29]
	v_lshrrev_b32_e32 v32, 16, v30
	v_mov_b32_e32 v2, 0
	v_cmp_ne_u16_sdwa s[8:9], v32, v2 src0_sel:BYTE_0 src1_sel:DWORD
	v_mov_b32_e32 v26, 0
	v_mov_b32_e32 v42, 0
	s_and_saveexec_b64 s[28:29], s[8:9]
	s_cbranch_execz .LBB317_292
; %bb.287:                              ;   in Loop: Header=BB317_10 Depth=1
	v_cmp_ne_u16_sdwa s[8:9], v32, s19 src0_sel:BYTE_0 src1_sel:DWORD
	v_bfrev_b32_e32 v42, 1
	s_and_saveexec_b64 s[30:31], s[8:9]
	s_cbranch_execz .LBB317_291
; %bb.288:                              ;   in Loop: Header=BB317_10 Depth=1
	v_bfe_u32 v6, v30, 16, 7
	v_cmp_ne_u32_e64 s[8:9], s37, v6
	v_mov_b32_e32 v42, 0x7fc02000
	s_and_saveexec_b64 s[34:35], s[8:9]
	s_cbranch_execz .LBB317_290
; %bb.289:                              ;   in Loop: Header=BB317_10 Depth=1
	v_and_b32_e32 v7, 7, v32
	v_ffbh_u32_e32 v54, v7
	v_min_u32_e32 v54, 32, v54
	v_lshrrev_b32_e32 v49, 3, v6
	v_subrev_u32_e32 v42, 28, v54
	v_sub_u32_e32 v54, 29, v54
	v_cmp_gt_u32_e64 s[8:9], 8, v6
	v_lshlrev_b64 v[42:43], v42, v[32:33]
	v_cndmask_b32_e64 v6, v49, v54, s[8:9]
	v_mov_b32_e32 v2, 0x2000
	v_and_b32_e32 v42, 7, v42
	v_lshlrev_b32_e32 v32, 8, v32
	v_lshl_add_u32 v6, v6, 10, v2
	v_cndmask_b32_e64 v7, v7, v42, s[8:9]
	v_and_or_b32 v6, v32, s38, v6
	v_lshl_or_b32 v6, v7, 7, v6
	v_cvt_f32_f16_e32 v42, v6
.LBB317_290:                            ;   in Loop: Header=BB317_10 Depth=1
	s_or_b64 exec, exec, s[34:35]
.LBB317_291:                            ;   in Loop: Header=BB317_10 Depth=1
	s_or_b64 exec, exec, s[30:31]
.LBB317_292:                            ;   in Loop: Header=BB317_10 Depth=1
	s_or_b64 exec, exec, s[28:29]
	v_cmp_lt_u32_e64 s[8:9], s39, v30
	s_and_saveexec_b64 s[28:29], s[8:9]
	s_cbranch_execz .LBB317_298
; %bb.293:                              ;   in Loop: Header=BB317_10 Depth=1
	v_lshrrev_b32_e32 v30, 24, v30
	v_cmp_ne_u32_e64 s[8:9], s19, v30
	v_bfrev_b32_e32 v26, 1
	s_and_saveexec_b64 s[30:31], s[8:9]
	s_cbranch_execz .LBB317_297
; %bb.294:                              ;   in Loop: Header=BB317_10 Depth=1
	v_and_b32_e32 v6, 0x7f, v30
	v_cmp_ne_u32_e64 s[8:9], s37, v6
	v_mov_b32_e32 v26, 0x7fc02000
	s_and_saveexec_b64 s[34:35], s[8:9]
	s_cbranch_execz .LBB317_296
; %bb.295:                              ;   in Loop: Header=BB317_10 Depth=1
	v_and_b32_e32 v7, 7, v30
	v_ffbh_u32_e32 v32, v7
	v_min_u32_e32 v32, 32, v32
	v_lshrrev_b32_e32 v26, 3, v6
	v_subrev_u32_e32 v49, 28, v32
	v_sub_u32_e32 v32, 29, v32
	v_cmp_gt_u32_e64 s[8:9], 8, v6
	v_lshlrev_b64 v[44:45], v49, v[30:31]
	v_cndmask_b32_e64 v6, v26, v32, s[8:9]
	v_mov_b32_e32 v2, 0x2000
	v_and_b32_e32 v49, 7, v44
	v_lshlrev_b32_e32 v26, 8, v30
	v_lshl_add_u32 v6, v6, 10, v2
	v_cndmask_b32_e64 v7, v7, v49, s[8:9]
	v_and_or_b32 v6, v26, s38, v6
	v_lshl_or_b32 v6, v7, 7, v6
	v_cvt_f32_f16_e32 v26, v6
.LBB317_296:                            ;   in Loop: Header=BB317_10 Depth=1
	s_or_b64 exec, exec, s[34:35]
.LBB317_297:                            ;   in Loop: Header=BB317_10 Depth=1
	s_or_b64 exec, exec, s[30:31]
.LBB317_298:                            ;   in Loop: Header=BB317_10 Depth=1
	s_or_b64 exec, exec, s[28:29]
	flat_load_dword v30, v[28:29] offset:3072
	v_mov_b32_e32 v2, 0
	v_mov_b32_e32 v43, 0
	v_mov_b32_e32 v44, 0
	s_waitcnt vmcnt(0) lgkmcnt(0)
	v_cmp_ne_u16_sdwa s[8:9], v30, v2 src0_sel:BYTE_0 src1_sel:DWORD
	s_and_saveexec_b64 s[28:29], s[8:9]
	s_cbranch_execz .LBB317_304
; %bb.299:                              ;   in Loop: Header=BB317_10 Depth=1
	v_cmp_ne_u16_sdwa s[8:9], v30, s19 src0_sel:BYTE_0 src1_sel:DWORD
	v_bfrev_b32_e32 v44, 1
	s_and_saveexec_b64 s[30:31], s[8:9]
	s_cbranch_execz .LBB317_303
; %bb.300:                              ;   in Loop: Header=BB317_10 Depth=1
	v_and_b32_e32 v6, 0x7f, v30
	v_cmp_ne_u32_e64 s[8:9], s37, v6
	v_mov_b32_e32 v44, 0x7fc02000
	s_and_saveexec_b64 s[34:35], s[8:9]
	s_cbranch_execz .LBB317_302
; %bb.301:                              ;   in Loop: Header=BB317_10 Depth=1
	v_and_b32_e32 v7, 7, v30
	v_ffbh_u32_e32 v49, v7
	v_min_u32_e32 v49, 32, v49
	v_lshrrev_b32_e32 v32, 3, v6
	v_subrev_u32_e32 v54, 28, v49
	v_sub_u32_e32 v49, 29, v49
	v_cmp_gt_u32_e64 s[8:9], 8, v6
	v_lshlrev_b64 v[44:45], v54, v[30:31]
	v_cndmask_b32_e64 v6, v32, v49, s[8:9]
	v_mov_b32_e32 v2, 0x2000
	v_and_b32_e32 v54, 7, v44
	v_lshlrev_b32_e32 v32, 8, v30
	v_lshl_add_u32 v6, v6, 10, v2
	v_cndmask_b32_e64 v7, v7, v54, s[8:9]
	v_and_or_b32 v6, v32, s38, v6
	v_lshl_or_b32 v6, v7, 7, v6
	v_cvt_f32_f16_e32 v44, v6
.LBB317_302:                            ;   in Loop: Header=BB317_10 Depth=1
	s_or_b64 exec, exec, s[34:35]
.LBB317_303:                            ;   in Loop: Header=BB317_10 Depth=1
	s_or_b64 exec, exec, s[30:31]
.LBB317_304:                            ;   in Loop: Header=BB317_10 Depth=1
	s_or_b64 exec, exec, s[28:29]
	v_lshrrev_b16_e32 v32, 8, v30
	v_cmp_ne_u16_e64 s[8:9], 0, v32
	s_and_saveexec_b64 s[28:29], s[8:9]
	s_cbranch_execz .LBB317_310
; %bb.305:                              ;   in Loop: Header=BB317_10 Depth=1
	v_cmp_ne_u16_e64 s[8:9], s19, v32
	v_bfrev_b32_e32 v43, 1
	s_and_saveexec_b64 s[30:31], s[8:9]
	s_cbranch_execz .LBB317_309
; %bb.306:                              ;   in Loop: Header=BB317_10 Depth=1
	v_and_b32_e32 v6, 0x7f, v32
	v_cmp_ne_u32_e64 s[8:9], s37, v6
	v_mov_b32_e32 v43, 0x7fc02000
	s_and_saveexec_b64 s[34:35], s[8:9]
	s_cbranch_execz .LBB317_308
; %bb.307:                              ;   in Loop: Header=BB317_10 Depth=1
	v_and_b32_e32 v7, 7, v32
	v_ffbh_u32_e32 v54, v7
	v_min_u32_e32 v54, 32, v54
	v_lshrrev_b32_e32 v49, 3, v6
	v_subrev_u32_e32 v43, 28, v54
	v_sub_u32_e32 v54, 29, v54
	v_cmp_gt_u32_e64 s[8:9], 8, v6
	v_lshlrev_b64 v[46:47], v43, v[32:33]
	v_cndmask_b32_e64 v6, v49, v54, s[8:9]
	v_mov_b32_e32 v2, 0x2000
	v_and_b32_e32 v43, 7, v46
	v_lshlrev_b32_e32 v32, 8, v32
	v_lshl_add_u32 v6, v6, 10, v2
	v_cndmask_b32_e64 v7, v7, v43, s[8:9]
	v_and_or_b32 v6, v32, s38, v6
	v_lshl_or_b32 v6, v7, 7, v6
	v_cvt_f32_f16_e32 v43, v6
.LBB317_308:                            ;   in Loop: Header=BB317_10 Depth=1
	s_or_b64 exec, exec, s[34:35]
.LBB317_309:                            ;   in Loop: Header=BB317_10 Depth=1
	s_or_b64 exec, exec, s[30:31]
.LBB317_310:                            ;   in Loop: Header=BB317_10 Depth=1
	s_or_b64 exec, exec, s[28:29]
	v_lshrrev_b32_e32 v32, 16, v30
	v_mov_b32_e32 v2, 0
	v_cmp_ne_u16_sdwa s[8:9], v32, v2 src0_sel:BYTE_0 src1_sel:DWORD
	v_mov_b32_e32 v54, 0
	v_mov_b32_e32 v45, 0
	s_and_saveexec_b64 s[28:29], s[8:9]
	s_cbranch_execz .LBB317_316
; %bb.311:                              ;   in Loop: Header=BB317_10 Depth=1
	v_cmp_ne_u16_sdwa s[8:9], v32, s19 src0_sel:BYTE_0 src1_sel:DWORD
	v_bfrev_b32_e32 v45, 1
	s_and_saveexec_b64 s[30:31], s[8:9]
	s_cbranch_execz .LBB317_315
; %bb.312:                              ;   in Loop: Header=BB317_10 Depth=1
	v_bfe_u32 v6, v30, 16, 7
	v_cmp_ne_u32_e64 s[8:9], s37, v6
	v_mov_b32_e32 v45, 0x7fc02000
	s_and_saveexec_b64 s[34:35], s[8:9]
	s_cbranch_execz .LBB317_314
; %bb.313:                              ;   in Loop: Header=BB317_10 Depth=1
	v_and_b32_e32 v7, 7, v32
	v_ffbh_u32_e32 v45, v7
	v_min_u32_e32 v45, 32, v45
	v_lshrrev_b32_e32 v49, 3, v6
	v_subrev_u32_e32 v46, 28, v45
	v_sub_u32_e32 v45, 29, v45
	v_cmp_gt_u32_e64 s[8:9], 8, v6
	v_lshlrev_b64 v[46:47], v46, v[32:33]
	v_cndmask_b32_e64 v6, v49, v45, s[8:9]
	v_mov_b32_e32 v2, 0x2000
	v_and_b32_e32 v46, 7, v46
	v_lshlrev_b32_e32 v32, 8, v32
	v_lshl_add_u32 v6, v6, 10, v2
	v_cndmask_b32_e64 v7, v7, v46, s[8:9]
	v_and_or_b32 v6, v32, s38, v6
	v_lshl_or_b32 v6, v7, 7, v6
	v_cvt_f32_f16_e32 v45, v6
.LBB317_314:                            ;   in Loop: Header=BB317_10 Depth=1
	s_or_b64 exec, exec, s[34:35]
.LBB317_315:                            ;   in Loop: Header=BB317_10 Depth=1
	s_or_b64 exec, exec, s[30:31]
.LBB317_316:                            ;   in Loop: Header=BB317_10 Depth=1
	s_or_b64 exec, exec, s[28:29]
	v_cmp_lt_u32_e64 s[8:9], s39, v30
	s_and_saveexec_b64 s[28:29], s[8:9]
	s_cbranch_execz .LBB317_322
; %bb.317:                              ;   in Loop: Header=BB317_10 Depth=1
	v_lshrrev_b32_e32 v30, 24, v30
	v_cmp_ne_u32_e64 s[8:9], s19, v30
	v_bfrev_b32_e32 v54, 1
	s_and_saveexec_b64 s[30:31], s[8:9]
	s_cbranch_execz .LBB317_321
; %bb.318:                              ;   in Loop: Header=BB317_10 Depth=1
	v_and_b32_e32 v6, 0x7f, v30
	v_cmp_ne_u32_e64 s[8:9], s37, v6
	v_mov_b32_e32 v54, 0x7fc02000
	s_and_saveexec_b64 s[34:35], s[8:9]
	s_cbranch_execz .LBB317_320
; %bb.319:                              ;   in Loop: Header=BB317_10 Depth=1
	v_and_b32_e32 v7, 7, v30
	v_ffbh_u32_e32 v49, v7
	v_min_u32_e32 v49, 32, v49
	v_lshrrev_b32_e32 v32, 3, v6
	v_subrev_u32_e32 v54, 28, v49
	v_sub_u32_e32 v49, 29, v49
	v_cmp_gt_u32_e64 s[8:9], 8, v6
	v_lshlrev_b64 v[46:47], v54, v[30:31]
	v_cndmask_b32_e64 v6, v32, v49, s[8:9]
	v_mov_b32_e32 v2, 0x2000
	v_and_b32_e32 v54, 7, v46
	v_lshlrev_b32_e32 v30, 8, v30
	v_lshl_add_u32 v6, v6, 10, v2
	v_cndmask_b32_e64 v7, v7, v54, s[8:9]
	v_and_or_b32 v6, v30, s38, v6
	v_lshl_or_b32 v6, v7, 7, v6
	v_cvt_f32_f16_e32 v54, v6
.LBB317_320:                            ;   in Loop: Header=BB317_10 Depth=1
	s_or_b64 exec, exec, s[34:35]
.LBB317_321:                            ;   in Loop: Header=BB317_10 Depth=1
	s_or_b64 exec, exec, s[30:31]
.LBB317_322:                            ;   in Loop: Header=BB317_10 Depth=1
	s_or_b64 exec, exec, s[28:29]
	flat_load_dword v28, v[28:29] offset:3080
	v_mov_b32_e32 v2, 0
	v_mov_b32_e32 v32, 0
	;; [unrolled: 1-line block ×3, first 2 shown]
	s_waitcnt vmcnt(0) lgkmcnt(0)
	v_cmp_ne_u16_sdwa s[8:9], v28, v2 src0_sel:BYTE_0 src1_sel:DWORD
	s_and_saveexec_b64 s[28:29], s[8:9]
	s_cbranch_execz .LBB317_328
; %bb.323:                              ;   in Loop: Header=BB317_10 Depth=1
	v_cmp_ne_u16_sdwa s[8:9], v28, s19 src0_sel:BYTE_0 src1_sel:DWORD
	v_bfrev_b32_e32 v46, 1
	s_and_saveexec_b64 s[30:31], s[8:9]
	s_cbranch_execz .LBB317_327
; %bb.324:                              ;   in Loop: Header=BB317_10 Depth=1
	v_and_b32_e32 v6, 0x7f, v28
	v_cmp_ne_u32_e64 s[8:9], s37, v6
	v_mov_b32_e32 v46, 0x7fc02000
	s_and_saveexec_b64 s[34:35], s[8:9]
	s_cbranch_execz .LBB317_326
; %bb.325:                              ;   in Loop: Header=BB317_10 Depth=1
	v_and_b32_e32 v7, 7, v28
	v_ffbh_u32_e32 v30, v7
	v_min_u32_e32 v30, 32, v30
	v_lshrrev_b32_e32 v29, 3, v6
	v_subrev_u32_e32 v49, 28, v30
	v_sub_u32_e32 v30, 29, v30
	v_cmp_gt_u32_e64 s[8:9], 8, v6
	v_lshlrev_b64 v[46:47], v49, v[28:29]
	v_cndmask_b32_e64 v6, v29, v30, s[8:9]
	v_mov_b32_e32 v2, 0x2000
	v_and_b32_e32 v49, 7, v46
	v_lshlrev_b32_e32 v29, 8, v28
	v_lshl_add_u32 v6, v6, 10, v2
	v_cndmask_b32_e64 v7, v7, v49, s[8:9]
	v_and_or_b32 v6, v29, s38, v6
	v_lshl_or_b32 v6, v7, 7, v6
	v_cvt_f32_f16_e32 v46, v6
.LBB317_326:                            ;   in Loop: Header=BB317_10 Depth=1
	s_or_b64 exec, exec, s[34:35]
.LBB317_327:                            ;   in Loop: Header=BB317_10 Depth=1
	s_or_b64 exec, exec, s[30:31]
.LBB317_328:                            ;   in Loop: Header=BB317_10 Depth=1
	s_or_b64 exec, exec, s[28:29]
	v_lshrrev_b16_e32 v30, 8, v28
	v_cmp_ne_u16_e64 s[8:9], 0, v30
	s_and_saveexec_b64 s[28:29], s[8:9]
	s_cbranch_execz .LBB317_334
; %bb.329:                              ;   in Loop: Header=BB317_10 Depth=1
	v_cmp_ne_u16_e64 s[8:9], s19, v30
	v_bfrev_b32_e32 v32, 1
	s_and_saveexec_b64 s[30:31], s[8:9]
	s_cbranch_execz .LBB317_333
; %bb.330:                              ;   in Loop: Header=BB317_10 Depth=1
	v_and_b32_e32 v6, 0x7f, v30
	v_cmp_ne_u32_e64 s[8:9], s37, v6
	v_mov_b32_e32 v32, 0x7fc02000
	s_and_saveexec_b64 s[34:35], s[8:9]
	s_cbranch_execz .LBB317_332
; %bb.331:                              ;   in Loop: Header=BB317_10 Depth=1
	v_and_b32_e32 v7, 7, v30
	v_ffbh_u32_e32 v32, v7
	v_min_u32_e32 v32, 32, v32
	v_subrev_u32_e32 v49, 28, v32
	v_lshrrev_b32_e32 v29, 3, v6
	v_mov_b32_e32 v2, v58
	v_mov_b32_e32 v3, v59
	v_lshlrev_b64 v[58:59], v49, v[30:31]
	v_sub_u32_e32 v32, 29, v32
	v_cmp_gt_u32_e64 s[8:9], 8, v6
	v_and_b32_e32 v49, 7, v58
	v_mov_b32_e32 v58, v2
	v_cndmask_b32_e64 v6, v29, v32, s[8:9]
	v_mov_b32_e32 v2, 0x2000
	v_lshlrev_b32_e32 v29, 8, v30
	v_lshl_add_u32 v6, v6, 10, v2
	v_cndmask_b32_e64 v7, v7, v49, s[8:9]
	v_and_or_b32 v6, v29, s38, v6
	v_lshl_or_b32 v6, v7, 7, v6
	v_cvt_f32_f16_e32 v32, v6
	v_mov_b32_e32 v59, v3
.LBB317_332:                            ;   in Loop: Header=BB317_10 Depth=1
	s_or_b64 exec, exec, s[34:35]
.LBB317_333:                            ;   in Loop: Header=BB317_10 Depth=1
	s_or_b64 exec, exec, s[30:31]
.LBB317_334:                            ;   in Loop: Header=BB317_10 Depth=1
	s_or_b64 exec, exec, s[28:29]
	v_lshrrev_b32_e32 v30, 16, v28
	v_mov_b32_e32 v2, 0
	v_cmp_ne_u16_sdwa s[8:9], v30, v2 src0_sel:BYTE_0 src1_sel:DWORD
	v_mov_b32_e32 v47, 0
	v_mov_b32_e32 v49, 0
	s_and_saveexec_b64 s[28:29], s[8:9]
	s_cbranch_execz .LBB317_340
; %bb.335:                              ;   in Loop: Header=BB317_10 Depth=1
	v_cmp_ne_u16_sdwa s[8:9], v30, s19 src0_sel:BYTE_0 src1_sel:DWORD
	v_bfrev_b32_e32 v49, 1
	s_and_saveexec_b64 s[30:31], s[8:9]
	s_cbranch_execz .LBB317_339
; %bb.336:                              ;   in Loop: Header=BB317_10 Depth=1
	v_bfe_u32 v6, v28, 16, 7
	v_cmp_ne_u32_e64 s[8:9], s37, v6
	v_mov_b32_e32 v49, 0x7fc02000
	s_and_saveexec_b64 s[34:35], s[8:9]
	s_cbranch_execz .LBB317_338
; %bb.337:                              ;   in Loop: Header=BB317_10 Depth=1
	v_and_b32_e32 v7, 7, v30
	v_ffbh_u32_e32 v49, v7
	v_min_u32_e32 v49, 32, v49
	v_mov_b32_e32 v2, v57
	v_subrev_u32_e32 v57, 28, v49
	v_mov_b32_e32 v3, v58
	v_accvgpr_write_b32 a40, v59
	v_lshlrev_b64 v[58:59], v57, v[30:31]
	v_lshrrev_b32_e32 v29, 3, v6
	v_sub_u32_e32 v49, 29, v49
	v_and_b32_e32 v57, 7, v58
	v_cmp_gt_u32_e64 s[8:9], 8, v6
	v_cndmask_b32_e64 v6, v29, v49, s[8:9]
	v_cndmask_b32_e64 v7, v7, v57, s[8:9]
	v_mov_b32_e32 v57, v2
	v_mov_b32_e32 v2, 0x2000
	v_lshlrev_b32_e32 v29, 8, v30
	v_lshl_add_u32 v6, v6, 10, v2
	v_and_or_b32 v6, v29, s38, v6
	v_lshl_or_b32 v6, v7, 7, v6
	v_cvt_f32_f16_e32 v49, v6
	v_accvgpr_read_b32 v59, a40
	v_mov_b32_e32 v58, v3
.LBB317_338:                            ;   in Loop: Header=BB317_10 Depth=1
	s_or_b64 exec, exec, s[34:35]
.LBB317_339:                            ;   in Loop: Header=BB317_10 Depth=1
	s_or_b64 exec, exec, s[30:31]
.LBB317_340:                            ;   in Loop: Header=BB317_10 Depth=1
	s_or_b64 exec, exec, s[28:29]
	v_accvgpr_write_b32 a47, v59
	v_accvgpr_write_b32 a46, v58
	;; [unrolled: 1-line block ×8, first 2 shown]
	v_cmp_lt_u32_e64 s[8:9], s39, v28
	s_and_saveexec_b64 s[28:29], s[8:9]
	s_cbranch_execz .LBB317_346
; %bb.341:                              ;   in Loop: Header=BB317_10 Depth=1
	v_lshrrev_b32_e32 v28, 24, v28
	v_cmp_ne_u32_e64 s[8:9], s19, v28
	v_bfrev_b32_e32 v47, 1
	s_and_saveexec_b64 s[30:31], s[8:9]
	s_cbranch_execz .LBB317_345
; %bb.342:                              ;   in Loop: Header=BB317_10 Depth=1
	v_and_b32_e32 v6, 0x7f, v28
	v_cmp_ne_u32_e64 s[8:9], s37, v6
	v_mov_b32_e32 v47, 0x7fc02000
	s_and_saveexec_b64 s[34:35], s[8:9]
	s_cbranch_execz .LBB317_344
; %bb.343:                              ;   in Loop: Header=BB317_10 Depth=1
	v_and_b32_e32 v7, 7, v28
	v_ffbh_u32_e32 v30, v7
	v_min_u32_e32 v30, 32, v30
	v_lshrrev_b32_e32 v29, 3, v6
	v_subrev_u32_e32 v47, 28, v30
	v_sub_u32_e32 v30, 29, v30
	v_cmp_gt_u32_e64 s[8:9], 8, v6
	v_lshlrev_b64 v[58:59], v47, v[28:29]
	v_cndmask_b32_e64 v6, v29, v30, s[8:9]
	v_mov_b32_e32 v2, 0x2000
	v_and_b32_e32 v47, 7, v58
	v_lshlrev_b32_e32 v28, 8, v28
	v_lshl_add_u32 v6, v6, 10, v2
	v_cndmask_b32_e64 v7, v7, v47, s[8:9]
	v_and_or_b32 v6, v28, s38, v6
	v_lshl_or_b32 v6, v7, 7, v6
	v_cvt_f32_f16_e32 v47, v6
.LBB317_344:                            ;   in Loop: Header=BB317_10 Depth=1
	s_or_b64 exec, exec, s[34:35]
.LBB317_345:                            ;   in Loop: Header=BB317_10 Depth=1
	s_or_b64 exec, exec, s[30:31]
.LBB317_346:                            ;   in Loop: Header=BB317_10 Depth=1
	s_or_b64 exec, exec, s[28:29]
	buffer_load_dword v2, off, s[0:3], s32 offset:124 ; 4-byte Folded Reload
	v_accvgpr_read_b32 v14, a33
	ds_read_b64 v[6:7], v14
	v_fma_mixlo_f16 v57, v40, v15, 0
	v_fma_mixlo_f16 v59, v40, v31, 0
	;; [unrolled: 1-line block ×4, first 2 shown]
	s_waitcnt lgkmcnt(0)
	v_lshrrev_b32_e32 v28, 16, v6
	v_and_b32_e32 v6, 0xffff, v6
	;;#ASMSTART
	v_cvt_f32_f16 v60, v6;
	;;#ASMEND
	;;#ASMSTART
	v_cvt_f32_f16 v61, v28;
	;;#ASMEND
	v_lshrrev_b32_e32 v29, 16, v7
	v_and_b32_e32 v7, 0xffff, v7
	v_fma_mixlo_f16 v3, v40, v12, 0
	v_fma_mixlo_f16 v12, v40, v34, 0
	;; [unrolled: 1-line block ×5, first 2 shown]
	v_and_b32_e32 v11, 0xffff, v11
	v_fma_mixlo_f16 v13, v40, v13, 0
	v_fma_mixlo_f16 v9, v40, v9, 0
	;; [unrolled: 1-line block ×10, first 2 shown]
	s_waitcnt vmcnt(0)
	v_fma_mixlo_f16 v58, v40, v2, 0
	v_and_b32_e32 v6, 0xffff, v58
	;;#ASMSTART
	v_cvt_f32_f16 v58, v6;
	;;#ASMEND
	v_and_b32_e32 v6, 0xffff, v57
	;;#ASMSTART
	v_cvt_f32_f16 v57, v6;
	;;#ASMEND
	;; [unrolled: 4-line block ×3, first 2 shown]
	;;#ASMSTART
	v_cvt_f32_f16 v37, v29;
	;;#ASMEND
	;;#ASMSTART
	v_cvt_f32_f16 v39, v6;
	;;#ASMEND
	v_and_b32_e32 v6, 0xffff, v56
	;;#ASMSTART
	v_cvt_f32_f16 v31, v6;
	;;#ASMEND
	ds_read_b64 v[6:7], v14 offset:8
	v_and_b32_e32 v29, 0xffff, v30
	v_fma_mixlo_f16 v30, v40, v55, 0
	v_fma_mixlo_f16 v2, v40, v16, 0
	v_fma_mixlo_f16 v56, v40, v43, 0
	s_waitcnt lgkmcnt(0)
	v_and_b32_e32 v28, 0xffff, v6
	v_lshrrev_b32_e32 v6, 16, v6
	;;#ASMSTART
	v_cvt_f32_f16 v28, v28;
	;;#ASMEND
	;;#ASMSTART
	v_cvt_f32_f16 v6, v6;
	;;#ASMEND
	;; [unrolled: 3-line block ×3, first 2 shown]
	v_mul_f32_e32 v28, v28, v29
	v_fma_mixlo_f16 v29, v40, v50, 0
	v_and_b32_e32 v29, 0xffff, v29
	;;#ASMSTART
	v_cvt_f32_f16 v29, v29;
	;;#ASMEND
	v_mul_f32_e32 v29, v6, v29
	v_lshrrev_b32_e32 v6, 16, v7
	v_and_b32_e32 v7, 0xffff, v7
	v_fmac_f32_e32 v28, v60, v58
	;;#ASMSTART
	v_cvt_f32_f16 v7, v7;
	;;#ASMEND
	;;#ASMSTART
	v_cvt_f32_f16 v60, v6;
	;;#ASMEND
	v_and_b32_e32 v6, 0xffff, v30
	;;#ASMSTART
	v_cvt_f32_f16 v6, v6;
	;;#ASMEND
	v_mul_f32_e32 v30, v7, v6
	v_fma_mixlo_f16 v6, v40, v0, 0
	v_accvgpr_read_b32 v0, a45
	v_fma_mixlo_f16 v16, v40, v0, 0
	v_accvgpr_read_b32 v0, a46
	;; [unrolled: 2-line block ×4, first 2 shown]
	v_fmac_f32_e32 v29, v61, v57
	v_fma_mixlo_f16 v57, v40, v20, 0
	v_fma_mixlo_f16 v20, v40, v0, 0
	v_accvgpr_read_b32 v0, a41
	v_fma_mixlo_f16 v43, v40, v45, 0
	v_fma_mixlo_f16 v45, v40, v27, 0
	;; [unrolled: 1-line block ×8, first 2 shown]
	v_accvgpr_read_b32 v0, a44
	v_fma_mixlo_f16 v23, v40, v0, 0
	v_accvgpr_read_b32 v0, a43
	v_fma_mixlo_f16 v58, v40, v1, 0
	v_fma_mixlo_f16 v1, v40, v0, 0
	v_accvgpr_read_b32 v0, a40
	v_fma_mixlo_f16 v0, v40, v0, 0
	v_and_b32_e32 v0, 0xffff, v0
	v_fma_mixlo_f16 v7, v40, v17, 0
	v_fma_mixlo_f16 v61, v40, v5, 0
	;; [unrolled: 1-line block ×8, first 2 shown]
	;;#ASMSTART
	v_cvt_f32_f16 v0, v0;
	;;#ASMEND
	ds_read_b64 v[18:19], v14 offset:16
	v_mul_f32_e32 v0, v60, v0
	v_fmac_f32_e32 v0, v37, v31
	v_fma_mixlo_f16 v59, v40, v10, 0
	v_fma_mixlo_f16 v10, v40, v51, 0
	s_waitcnt lgkmcnt(0)
	v_lshrrev_b32_e32 v31, 16, v18
	v_and_b32_e32 v18, 0xffff, v18
	;;#ASMSTART
	v_cvt_f32_f16 v37, v18;
	;;#ASMEND
	v_and_b32_e32 v18, 0xffff, v21
	;;#ASMSTART
	v_cvt_f32_f16 v31, v31;
	;;#ASMEND
	;;#ASMSTART
	v_cvt_f32_f16 v21, v18;
	;;#ASMEND
	v_and_b32_e32 v18, 0xffff, v20
	;;#ASMSTART
	v_cvt_f32_f16 v20, v18;
	;;#ASMEND
	v_lshrrev_b32_e32 v18, 16, v19
	v_fma_mixlo_f16 v51, v40, v4, 0
	v_fma_mixlo_f16 v4, v40, v46, 0
	v_fmac_f32_e32 v30, v62, v39
	v_fma_mixlo_f16 v46, v40, v49, 0
	v_and_b32_e32 v19, 0xffff, v19
	;;#ASMSTART
	v_cvt_f32_f16 v39, v19;
	;;#ASMEND
	;;#ASMSTART
	v_cvt_f32_f16 v49, v18;
	;;#ASMEND
	v_and_b32_e32 v18, 0xffff, v23
	v_and_b32_e32 v1, 0xffff, v1
	;;#ASMSTART
	v_cvt_f32_f16 v23, v18;
	;;#ASMEND
	;;#ASMSTART
	v_cvt_f32_f16 v1, v1;
	;;#ASMEND
	ds_read_b64 v[18:19], v14 offset:24
	v_fmac_f32_e32 v0, v49, v1
	v_fmac_f32_e32 v29, v31, v20
	;; [unrolled: 1-line block ×3, first 2 shown]
	v_and_b32_e32 v16, 0xffff, v16
	s_waitcnt lgkmcnt(0)
	v_lshrrev_b32_e32 v1, 16, v18
	v_and_b32_e32 v18, 0xffff, v18
	;;#ASMSTART
	v_cvt_f32_f16 v20, v18;
	;;#ASMEND
	v_and_b32_e32 v18, 0xffff, v50
	;;#ASMSTART
	v_cvt_f32_f16 v1, v1;
	;;#ASMEND
	;;#ASMSTART
	v_cvt_f32_f16 v21, v18;
	;;#ASMEND
	v_lshrrev_b32_e32 v18, 16, v19
	v_fmac_f32_e32 v30, v39, v23
	;;#ASMSTART
	v_cvt_f32_f16 v16, v16;
	;;#ASMEND
	v_and_b32_e32 v19, 0xffff, v19
	;;#ASMSTART
	v_cvt_f32_f16 v23, v19;
	;;#ASMEND
	;;#ASMSTART
	v_cvt_f32_f16 v31, v18;
	;;#ASMEND
	v_and_b32_e32 v18, 0xffff, v52
	;;#ASMSTART
	v_cvt_f32_f16 v37, v18;
	;;#ASMEND
	v_and_b32_e32 v18, 0xffff, v55
	;;#ASMSTART
	v_cvt_f32_f16 v39, v18;
	;;#ASMEND
	ds_read_b64 v[18:19], v14 offset:32
	v_fmac_f32_e32 v29, v1, v16
	v_fmac_f32_e32 v28, v20, v21
	;; [unrolled: 1-line block ×4, first 2 shown]
	s_waitcnt lgkmcnt(0)
	v_lshrrev_b32_e32 v1, 16, v18
	v_and_b32_e32 v16, 0xffff, v18
	v_and_b32_e32 v18, 0xffff, v36
	;;#ASMSTART
	v_cvt_f32_f16 v16, v16;
	;;#ASMEND
	;;#ASMSTART
	v_cvt_f32_f16 v1, v1;
	;;#ASMEND
	;; [unrolled: 3-line block ×3, first 2 shown]
	v_and_b32_e32 v18, 0xffff, v35
	;;#ASMSTART
	v_cvt_f32_f16 v21, v18;
	;;#ASMEND
	v_lshrrev_b32_e32 v18, 16, v19
	v_and_b32_e32 v19, 0xffff, v19
	;;#ASMSTART
	v_cvt_f32_f16 v23, v19;
	;;#ASMEND
	;;#ASMSTART
	v_cvt_f32_f16 v31, v18;
	;;#ASMEND
	v_and_b32_e32 v18, 0xffff, v38
	;;#ASMSTART
	v_cvt_f32_f16 v35, v18;
	;;#ASMEND
	v_and_b32_e32 v18, 0xffff, v53
	;;#ASMSTART
	v_cvt_f32_f16 v36, v18;
	;;#ASMEND
	ds_read_b64 v[18:19], v14 offset:40
	v_fmac_f32_e32 v28, v16, v20
	v_fmac_f32_e32 v29, v1, v21
	v_and_b32_e32 v17, 0xffff, v17
	v_and_b32_e32 v5, 0xffff, v5
	s_waitcnt lgkmcnt(0)
	v_lshrrev_b32_e32 v1, 16, v18
	v_and_b32_e32 v16, 0xffff, v18
	v_and_b32_e32 v18, 0xffff, v61
	;;#ASMSTART
	v_cvt_f32_f16 v16, v16;
	;;#ASMEND
	;;#ASMSTART
	v_cvt_f32_f16 v1, v1;
	;;#ASMEND
	;;#ASMSTART
	v_cvt_f32_f16 v20, v18;
	;;#ASMEND
	v_and_b32_e32 v18, 0xffff, v51
	;;#ASMSTART
	v_cvt_f32_f16 v21, v18;
	;;#ASMEND
	v_lshrrev_b32_e32 v18, 16, v19
	v_and_b32_e32 v19, 0xffff, v19
	v_fmac_f32_e32 v30, v23, v35
	v_fmac_f32_e32 v0, v31, v36
	;;#ASMSTART
	v_cvt_f32_f16 v23, v19;
	;;#ASMEND
	;;#ASMSTART
	v_cvt_f32_f16 v31, v18;
	;;#ASMEND
	;; [unrolled: 3-line block ×4, first 2 shown]
	ds_read_b64 v[18:19], v14 offset:48
	v_fmac_f32_e32 v29, v1, v21
	v_fmac_f32_e32 v0, v31, v5
	v_fmac_f32_e32 v28, v16, v20
	v_fmac_f32_e32 v30, v23, v17
	s_waitcnt lgkmcnt(0)
	v_lshrrev_b32_e32 v1, 16, v18
	v_and_b32_e32 v5, 0xffff, v18
	;;#ASMSTART
	v_cvt_f32_f16 v5, v5;
	;;#ASMEND
	;;#ASMSTART
	v_cvt_f32_f16 v1, v1;
	;;#ASMEND
	;; [unrolled: 3-line block ×3, first 2 shown]
	v_and_b32_e32 v11, 0xffff, v59
	;;#ASMSTART
	v_cvt_f32_f16 v17, v11;
	;;#ASMEND
	v_lshrrev_b32_e32 v11, 16, v19
	v_and_b32_e32 v18, 0xffff, v19
	v_and_b32_e32 v10, 0xffff, v10
	;; [unrolled: 1-line block ×3, first 2 shown]
	;;#ASMSTART
	v_cvt_f32_f16 v18, v18;
	;;#ASMEND
	;;#ASMSTART
	v_cvt_f32_f16 v19, v11;
	;;#ASMEND
	;; [unrolled: 3-line block ×4, first 2 shown]
	ds_read_b64 v[10:11], v14 offset:56
	v_fmac_f32_e32 v28, v5, v16
	v_fmac_f32_e32 v29, v1, v17
	v_and_b32_e32 v6, 0xffff, v6
	v_fmac_f32_e32 v0, v19, v7
	s_waitcnt lgkmcnt(0)
	v_lshrrev_b32_e32 v1, 16, v10
	v_and_b32_e32 v5, 0xffff, v10
	;;#ASMSTART
	v_cvt_f32_f16 v5, v5;
	;;#ASMEND
	;;#ASMSTART
	v_cvt_f32_f16 v1, v1;
	;;#ASMEND
	;; [unrolled: 3-line block ×3, first 2 shown]
	v_and_b32_e32 v6, 0xffff, v58
	;;#ASMSTART
	v_cvt_f32_f16 v16, v6;
	;;#ASMEND
	v_lshrrev_b32_e32 v6, 16, v11
	v_and_b32_e32 v7, 0xffff, v11
	;;#ASMSTART
	v_cvt_f32_f16 v11, v7;
	;;#ASMEND
	;;#ASMSTART
	v_cvt_f32_f16 v17, v6;
	;;#ASMEND
	v_and_b32_e32 v6, 0xffff, v57
	v_fmac_f32_e32 v30, v18, v20
	;;#ASMSTART
	v_cvt_f32_f16 v18, v6;
	;;#ASMEND
	v_and_b32_e32 v6, 0xffff, v34
	;;#ASMSTART
	v_cvt_f32_f16 v19, v6;
	;;#ASMEND
	ds_read_b64 v[6:7], v14 offset:64
	v_fmac_f32_e32 v28, v5, v10
	v_fmac_f32_e32 v29, v1, v16
	v_fmac_f32_e32 v30, v11, v18
	v_fmac_f32_e32 v0, v17, v19
	s_waitcnt lgkmcnt(0)
	v_lshrrev_b32_e32 v1, 16, v6
	v_and_b32_e32 v5, 0xffff, v6
	v_and_b32_e32 v6, 0xffff, v48
	;;#ASMSTART
	v_cvt_f32_f16 v5, v5;
	;;#ASMEND
	;;#ASMSTART
	v_cvt_f32_f16 v1, v1;
	;;#ASMEND
	;;#ASMSTART
	v_cvt_f32_f16 v10, v6;
	;;#ASMEND
	v_and_b32_e32 v6, 0xffff, v2
	;;#ASMSTART
	v_cvt_f32_f16 v11, v6;
	;;#ASMEND
	v_lshrrev_b32_e32 v6, 16, v7
	v_and_b32_e32 v7, 0xffff, v7
	;;#ASMSTART
	v_cvt_f32_f16 v2, v7;
	;;#ASMEND
	;;#ASMSTART
	v_cvt_f32_f16 v16, v6;
	;;#ASMEND
	v_and_b32_e32 v6, 0xffff, v3
	;;#ASMSTART
	v_cvt_f32_f16 v3, v6;
	;;#ASMEND
	v_and_b32_e32 v6, 0xffff, v12
	;;#ASMSTART
	v_cvt_f32_f16 v12, v6;
	;;#ASMEND
	ds_read_b64 v[6:7], v14 offset:72
	v_fmac_f32_e32 v28, v5, v10
	v_fmac_f32_e32 v29, v1, v11
	v_fmac_f32_e32 v0, v16, v12
	v_fmac_f32_e32 v30, v2, v3
	s_waitcnt lgkmcnt(0)
	v_lshrrev_b32_e32 v1, 16, v6
	v_and_b32_e32 v5, 0xffff, v6
	v_and_b32_e32 v6, 0xffff, v13
	;;#ASMSTART
	v_cvt_f32_f16 v5, v5;
	;;#ASMEND
	;;#ASMSTART
	v_cvt_f32_f16 v1, v1;
	;;#ASMEND
	;;#ASMSTART
	v_cvt_f32_f16 v10, v6;
	;;#ASMEND
	v_and_b32_e32 v6, 0xffff, v25
	;;#ASMSTART
	v_cvt_f32_f16 v11, v6;
	;;#ASMEND
	v_lshrrev_b32_e32 v6, 16, v7
	v_and_b32_e32 v7, 0xffff, v7
	;;#ASMSTART
	v_cvt_f32_f16 v12, v7;
	;;#ASMEND
	;;#ASMSTART
	v_cvt_f32_f16 v13, v6;
	;;#ASMEND
	v_and_b32_e32 v6, 0xffff, v9
	;; [unrolled: 38-line block ×5, first 2 shown]
	;;#ASMSTART
	v_cvt_f32_f16 v12, v6;
	;;#ASMEND
	v_and_b32_e32 v6, 0xffff, v54
	;;#ASMSTART
	v_cvt_f32_f16 v13, v6;
	;;#ASMEND
	ds_read_b64 v[6:7], v14 offset:104
	v_fmac_f32_e32 v28, v5, v8
	v_fmac_f32_e32 v29, v1, v9
	v_and_b32_e32 v4, 0xffff, v4
	v_and_b32_e32 v2, 0xffff, v32
	s_waitcnt lgkmcnt(0)
	v_lshrrev_b32_e32 v1, 16, v6
	v_and_b32_e32 v5, 0xffff, v6
	;;#ASMSTART
	v_cvt_f32_f16 v5, v5;
	;;#ASMEND
	;;#ASMSTART
	v_cvt_f32_f16 v1, v1;
	;;#ASMEND
	;; [unrolled: 3-line block ×4, first 2 shown]
	v_fma_mixlo_f16 v40, v40, v47, 0
	v_fmac_f32_e32 v29, v1, v2
	v_lshrrev_b32_e32 v1, 16, v7
	v_and_b32_e32 v2, 0xffff, v7
	v_fmac_f32_e32 v30, v10, v12
	v_fmac_f32_e32 v0, v11, v13
	;; [unrolled: 1-line block ×3, first 2 shown]
	;;#ASMSTART
	v_cvt_f32_f16 v2, v2;
	;;#ASMEND
	;;#ASMSTART
	v_cvt_f32_f16 v1, v1;
	;;#ASMEND
	v_and_b32_e32 v3, 0xffff, v46
	v_and_b32_e32 v4, 0xffff, v40
	;;#ASMSTART
	v_cvt_f32_f16 v3, v3;
	;;#ASMEND
	;;#ASMSTART
	v_cvt_f32_f16 v4, v4;
	;;#ASMEND
	v_fmac_f32_e32 v30, v2, v3
	v_fmac_f32_e32 v0, v1, v4
	v_add_f32_e32 v1, v28, v29
	v_add_f32_e32 v1, v1, v30
	v_accvgpr_read_b32 v3, a28
	v_add_f32_e32 v1, v0, v1
	v_and_b32_e32 v0, 64, v3
	v_xor_b32_e32 v2, 1, v3
	v_add_u32_e32 v0, 64, v0
	v_cmp_lt_i32_e64 s[8:9], v2, v0
	v_cndmask_b32_e64 v2, v3, v2, s[8:9]
	v_lshlrev_b32_e32 v2, 2, v2
	ds_bpermute_b32 v2, v2, v1
	s_mov_b64 s[28:29], exec
	s_and_b64 s[8:9], s[28:29], vcc
	v_accvgpr_read_b32 v8, a39
	s_mov_b64 exec, s[8:9]
	s_cbranch_execz .LBB317_9
; %bb.347:                              ;   in Loop: Header=BB317_10 Depth=1
	s_waitcnt lgkmcnt(0)
	v_add_f32_e32 v1, v1, v2
	buffer_load_dword v2, off, s[0:3], s32 offset:132 ; 4-byte Folded Reload
	v_accvgpr_read_b32 v3, a36
	v_accvgpr_read_b32 v5, a37
	v_add_u32_e32 v3, v3, v5
	v_cvt_f32_i32_e32 v3, v3
	s_load_dword s8, s[24:25], 0x0
	v_accvgpr_read_b32 v4, a26
	s_waitcnt vmcnt(0)
	v_mul_f32_e32 v2, v2, v3
	v_cndmask_b32_e64 v2, 0, v2, s[6:7]
	v_accvgpr_read_b32 v3, a38
	v_fmac_f32_e32 v2, v1, v4
	v_accvgpr_read_b32 v4, a8
	s_waitcnt lgkmcnt(0)
	v_add_u32_e32 v3, s8, v3
	v_cmp_lt_i32_e64 s[8:9], v5, v4
	v_cndmask_b32_e64 v1, 0, v2, s[8:9]
	ds_write_b32 v3, v1
	buffer_load_dword v3, off, s[0:3], s32 offset:128 ; 4-byte Folded Reload
	s_waitcnt vmcnt(0)
	v_max_f32_e32 v1, v3, v3
	v_max_f32_e32 v1, v1, v2
	v_cndmask_b32_e64 v3, v3, v1, s[8:9]
	buffer_store_dword v3, off, s[0:3], s32 offset:128 ; 4-byte Folded Spill
	s_branch .LBB317_9
.LBB317_348:
	s_or_b64 exec, exec, s[26:27]
.LBB317_349:
	s_or_b64 exec, exec, s[10:11]
	buffer_load_dword v15, off, s[0:3], s32 offset:128 ; 4-byte Folded Reload
	v_accvgpr_read_b32 v8, a28
	v_xor_b32_e32 v1, 32, v8
	v_cmp_lt_i32_e32 vcc, v1, v0
	v_cndmask_b32_e32 v1, v8, v1, vcc
	s_waitcnt lgkmcnt(0)
	v_lshlrev_b32_e32 v2, 2, v1
	v_xor_b32_e32 v4, 16, v8
	v_cmp_lt_i32_e32 vcc, v4, v0
	v_xor_b32_e32 v5, 8, v8
	v_xor_b32_e32 v6, 4, v8
	v_xor_b32_e32 v7, 2, v8
	s_lshr_b32 s28, s36, 16
	s_waitcnt vmcnt(0)
	ds_bpermute_b32 v1, v2, v15
	v_max_f32_e32 v3, v15, v15
	s_waitcnt lgkmcnt(0)
	v_max_f32_e32 v1, v1, v1
	v_max_f32_e32 v1, v3, v1
	v_cndmask_b32_e32 v3, v8, v4, vcc
	v_lshlrev_b32_e32 v3, 2, v3
	ds_bpermute_b32 v4, v3, v1
	v_cmp_lt_i32_e32 vcc, v5, v0
	s_waitcnt lgkmcnt(0)
	v_max_f32_e32 v4, v4, v4
	v_max_f32_e32 v1, v1, v4
	v_cndmask_b32_e32 v4, v8, v5, vcc
	v_lshlrev_b32_e32 v4, 2, v4
	ds_bpermute_b32 v5, v4, v1
	v_cmp_lt_i32_e32 vcc, v6, v0
	;; [unrolled: 7-line block ×3, first 2 shown]
	s_waitcnt lgkmcnt(0)
	v_max_f32_e32 v6, v6, v6
	v_max_f32_e32 v1, v1, v6
	v_cndmask_b32_e32 v6, v8, v7, vcc
	v_lshlrev_b32_e32 v32, 2, v6
	ds_bpermute_b32 v7, v32, v1
	v_accvgpr_read_b32 v6, a2
	v_and_b32_e32 v23, 63, v6
	v_accvgpr_read_b32 v6, a17
	v_cmp_eq_u32_e32 vcc, 0, v23
	v_lshlrev_b32_e32 v6, 2, v6
	s_and_saveexec_b64 s[6:7], vcc
	s_cbranch_execz .LBB317_351
; %bb.350:
	s_waitcnt lgkmcnt(0)
	v_max_f32_e32 v7, v7, v7
	v_max_f32_e32 v1, v1, v1
	;; [unrolled: 1-line block ×3, first 2 shown]
	ds_write_b32 v6, v1 offset:224
.LBB317_351:
	s_or_b64 exec, exec, s[6:7]
	v_cmp_gt_u32_e64 s[6:7], 2, v23
	v_mov_b32_e32 v1, 0xff7fffff
	s_waitcnt lgkmcnt(0)
	v_lshlrev_b32_e32 v7, 2, v23
	s_barrier
	s_and_saveexec_b64 s[8:9], s[6:7]
	s_cbranch_execz .LBB317_353
; %bb.352:
	ds_read_b32 v1, v7 offset:224
.LBB317_353:
	s_or_b64 exec, exec, s[8:9]
	v_accvgpr_read_b32 v10, a28
	v_xor_b32_e32 v8, 1, v10
	v_cmp_lt_i32_e64 s[8:9], v8, v0
	v_cndmask_b32_e64 v0, v10, v8, s[8:9]
	v_lshlrev_b32_e32 v33, 2, v0
	s_waitcnt lgkmcnt(0)
	ds_bpermute_b32 v0, v33, v1
	v_accvgpr_read_b32 v8, a3
	v_max_f32_e32 v1, v1, v1
	v_subrev_u32_e32 v8, s21, v8
	v_lshl_add_u32 v9, v8, 5, s23
	s_waitcnt lgkmcnt(0)
	v_max_f32_e32 v0, v0, v0
	v_max_f32_e32 v0, v1, v0
	v_lshlrev_b32_e32 v1, 2, v10
	v_and_b32_e32 v8, 0xffffff00, v1
	ds_bpermute_b32 v0, v8, v0
	v_accvgpr_read_b32 v10, a8
	v_min_i32_e32 v9, v9, v10
	v_subrev_u32_e32 v1, s23, v9
	v_accvgpr_read_b32 v10, a2
	v_cmp_lt_i32_e64 s[8:9], v10, v1
	v_mov_b32_e32 v10, 0
	s_and_saveexec_b64 s[24:25], s[8:9]
	s_cbranch_execz .LBB317_357
; %bb.354:
	s_ashr_i32 s19, s18, 31
	s_lshl_b64 s[10:11], s[18:19], 2
	s_getpc_b64 s[26:27]
	s_add_u32 s26, s26, llvm.amdgcn.dynlds.offset.table@rel32@lo+4
	s_addc_u32 s27, s27, llvm.amdgcn.dynlds.offset.table@rel32@hi+12
	s_add_u32 s10, s10, s26
	s_addc_u32 s11, s11, s27
	s_load_dword s10, s[10:11], 0x0
	v_accvgpr_read_b32 v12, a2
	s_mov_b64 s[26:27], 0
	v_mov_b32_e32 v10, 0
	s_waitcnt lgkmcnt(0)
	v_lshl_add_u32 v11, v12, 2, s10
.LBB317_355:                            ; =>This Inner Loop Header: Depth=1
	ds_read_b32 v13, v11
	v_add_u32_e32 v12, 0x80, v12
	v_cmp_ge_i32_e64 s[10:11], v12, v1
	s_or_b64 s[26:27], s[10:11], s[26:27]
	s_waitcnt lgkmcnt(0)
	v_sub_f32_e32 v13, v13, v0
	v_mul_f32_e32 v13, 0x3fb8aa3b, v13
	v_exp_f32_e32 v13, v13
	ds_write_b32 v11, v13
	v_add_f32_e32 v10, v10, v13
	v_add_u32_e32 v11, 0x200, v11
	s_andn2_b64 exec, exec, s[26:27]
	s_cbranch_execnz .LBB317_355
; %bb.356:
	s_or_b64 exec, exec, s[26:27]
.LBB317_357:
	s_or_b64 exec, exec, s[24:25]
	ds_bpermute_b32 v2, v2, v10
	s_waitcnt lgkmcnt(0)
	v_add_f32_e32 v2, v10, v2
	ds_bpermute_b32 v3, v3, v2
	s_waitcnt lgkmcnt(0)
	v_add_f32_e32 v2, v2, v3
	;; [unrolled: 3-line block ×6, first 2 shown]
	s_and_saveexec_b64 s[10:11], vcc
	s_cbranch_execz .LBB317_359
; %bb.358:
	ds_write_b32 v6, v2 offset:232
.LBB317_359:
	s_or_b64 exec, exec, s[10:11]
	s_waitcnt lgkmcnt(0)
	s_barrier
	s_and_saveexec_b64 s[10:11], s[6:7]
	s_cbranch_execz .LBB317_361
; %bb.360:
	ds_read_b32 v2, v7 offset:232
.LBB317_361:
	s_or_b64 exec, exec, s[10:11]
	s_waitcnt lgkmcnt(0)
	ds_bpermute_b32 v3, v33, v2
	s_waitcnt lgkmcnt(0)
	v_add_f32_e32 v2, v2, v3
	ds_bpermute_b32 v2, v8, v2
	s_and_saveexec_b64 s[6:7], s[8:9]
	s_cbranch_execz .LBB317_374
; %bb.362:
	s_waitcnt lgkmcnt(0)
	v_add_f32_e32 v3, 0x358637bd, v2
	v_div_scale_f32 v4, s[8:9], v3, v3, 1.0
	v_rcp_f32_e32 v5, v4
	v_div_scale_f32 v6, vcc, 1.0, v3, 1.0
	s_movk_i32 s8, 0x7f
	v_fma_f32 v7, -v4, v5, 1.0
	v_fmac_f32_e32 v5, v7, v5
	v_mul_f32_e32 v7, v6, v5
	v_fma_f32 v8, -v4, v7, v6
	v_fmac_f32_e32 v7, v8, v5
	v_fma_f32 v4, -v4, v7, v6
	v_div_fmas_f32 v4, v4, v5, v7
	v_accvgpr_read_b32 v5, a2
	v_div_fixup_f32 v8, v4, v3, 1.0
	v_xad_u32 v3, v5, -1, v9
	v_subrev_u32_e32 v4, s23, v3
	v_cmp_lt_u32_e32 vcc, s8, v4
	s_mov_b64 s[10:11], -1
	v_accvgpr_read_b32 v3, a2
	s_and_saveexec_b64 s[8:9], vcc
	s_cbranch_execz .LBB317_371
; %bb.363:
	v_lshrrev_b32_e32 v3, 7, v4
	v_add_u32_e32 v5, -1, v3
	v_lshrrev_b32_e32 v4, 1, v5
	v_mov_b32_e32 v9, v8
	v_add_u32_e32 v4, 1, v4
	v_cmp_lt_u32_e32 vcc, 13, v5
	v_mov_b32_e32 v7, 0
	s_and_saveexec_b64 s[10:11], vcc
	s_cbranch_execz .LBB317_367
; %bb.364:
	s_ashr_i32 s19, s18, 31
	s_lshl_b64 s[24:25], s[18:19], 2
	s_getpc_b64 s[26:27]
	s_add_u32 s26, s26, llvm.amdgcn.dynlds.offset.table@rel32@lo+4
	s_addc_u32 s27, s27, llvm.amdgcn.dynlds.offset.table@rel32@hi+12
	s_add_u32 s24, s24, s26
	s_addc_u32 s25, s25, s27
	s_load_dword s21, s[24:25], 0x0
	v_accvgpr_read_b32 v6, a2
	v_and_b32_e32 v5, -8, v4
	s_mov_b32 s19, 0
	s_mov_b64 s[24:25], 0
	s_waitcnt lgkmcnt(0)
	v_lshl_add_u32 v6, v6, 2, s21
.LBB317_365:                            ; =>This Inner Loop Header: Depth=1
	ds_read2st64_b32 v[10:11], v6 offset1:2
	ds_read2st64_b32 v[12:13], v6 offset0:4 offset1:6
	ds_read2st64_b32 v[16:17], v6 offset0:8 offset1:10
	;; [unrolled: 1-line block ×3, first 2 shown]
	v_add_u32_e32 v5, -8, v5
	s_waitcnt lgkmcnt(3)
	v_pk_mul_f32 v[10:11], v[8:9], v[10:11]
	s_waitcnt lgkmcnt(2)
	v_pk_mul_f32 v[12:13], v[8:9], v[12:13]
	ds_write2st64_b32 v6, v10, v11 offset1:2
	ds_write2st64_b32 v6, v12, v13 offset0:4 offset1:6
	ds_read2st64_b32 v[12:13], v6 offset0:16 offset1:18
	s_waitcnt lgkmcnt(4)
	v_pk_mul_f32 v[10:11], v[8:9], v[16:17]
	ds_write2st64_b32 v6, v10, v11 offset0:8 offset1:10
	s_waitcnt lgkmcnt(4)
	v_pk_mul_f32 v[10:11], v[8:9], v[18:19]
	ds_write2st64_b32 v6, v10, v11 offset0:12 offset1:14
	ds_read2st64_b32 v[10:11], v6 offset0:20 offset1:22
	s_waitcnt lgkmcnt(3)
	v_pk_mul_f32 v[12:13], v[8:9], v[12:13]
	ds_read2st64_b32 v[16:17], v6 offset0:24 offset1:26
	ds_write2st64_b32 v6, v12, v13 offset0:16 offset1:18
	ds_read2st64_b32 v[12:13], v6 offset0:28 offset1:30
	s_waitcnt lgkmcnt(3)
	v_pk_mul_f32 v[10:11], v[8:9], v[10:11]
	ds_write2st64_b32 v6, v10, v11 offset0:20 offset1:22
	s_waitcnt lgkmcnt(3)
	v_pk_mul_f32 v[10:11], v[8:9], v[16:17]
	ds_write2st64_b32 v6, v10, v11 offset0:24 offset1:26
	s_waitcnt lgkmcnt(2)
	v_pk_mul_f32 v[10:11], v[8:9], v[12:13]
	s_add_i32 s19, s19, 16
	v_cmp_eq_u32_e32 vcc, 0, v5
	ds_write2st64_b32 v6, v10, v11 offset0:28 offset1:30
	v_add_u32_e32 v6, 0x2000, v6
	s_or_b64 s[24:25], vcc, s[24:25]
	v_mov_b32_e32 v7, s19
	s_andn2_b64 exec, exec, s[24:25]
	s_cbranch_execnz .LBB317_365
; %bb.366:
	s_or_b64 exec, exec, s[24:25]
.LBB317_367:
	s_or_b64 exec, exec, s[10:11]
	v_and_b32_e32 v4, 7, v4
	v_cmp_ne_u32_e32 vcc, 0, v4
	s_and_saveexec_b64 s[10:11], vcc
	s_cbranch_execz .LBB317_370
; %bb.368:
	s_ashr_i32 s19, s18, 31
	s_lshl_b64 s[24:25], s[18:19], 2
	s_getpc_b64 s[26:27]
	s_add_u32 s26, s26, llvm.amdgcn.dynlds.offset.table@rel32@lo+4
	s_addc_u32 s27, s27, llvm.amdgcn.dynlds.offset.table@rel32@hi+12
	s_add_u32 s24, s24, s26
	s_addc_u32 s25, s25, s27
	s_load_dword s19, s[24:25], 0x0
	v_accvgpr_read_b32 v6, a2
	v_lshlrev_b32_e32 v5, 9, v7
	v_lshlrev_b32_e32 v6, 2, v6
	s_mov_b64 s[24:25], 0
	s_waitcnt lgkmcnt(0)
	v_add3_u32 v5, v5, v6, s19
.LBB317_369:                            ; =>This Inner Loop Header: Depth=1
	ds_read2st64_b32 v[6:7], v5 offset1:2
	v_add_u32_e32 v4, -1, v4
	v_cmp_eq_u32_e32 vcc, 0, v4
	s_or_b64 s[24:25], vcc, s[24:25]
	s_waitcnt lgkmcnt(0)
	v_pk_mul_f32 v[6:7], v[8:9], v[6:7]
	ds_write2st64_b32 v5, v6, v7 offset1:2
	v_add_u32_e32 v5, 0x400, v5
	s_andn2_b64 exec, exec, s[24:25]
	s_cbranch_execnz .LBB317_369
.LBB317_370:
	s_or_b64 exec, exec, s[10:11]
	v_add_u32_e32 v4, 1, v3
	v_and_b32_e32 v5, 0x3fffffe, v4
	v_accvgpr_read_b32 v3, a2
	v_cmp_ne_u32_e32 vcc, v4, v5
	v_lshl_add_u32 v3, v5, 7, v3
	s_orn2_b64 s[10:11], vcc, exec
.LBB317_371:
	s_or_b64 exec, exec, s[8:9]
	s_and_b64 exec, exec, s[10:11]
	s_cbranch_execz .LBB317_374
; %bb.372:
	s_ashr_i32 s19, s18, 31
	s_lshl_b64 s[8:9], s[18:19], 2
	s_getpc_b64 s[10:11]
	s_add_u32 s10, s10, llvm.amdgcn.dynlds.offset.table@rel32@lo+4
	s_addc_u32 s11, s11, llvm.amdgcn.dynlds.offset.table@rel32@hi+12
	s_add_u32 s8, s8, s10
	s_addc_u32 s9, s9, s11
	s_load_dword s8, s[8:9], 0x0
	s_waitcnt lgkmcnt(0)
	v_lshl_add_u32 v4, v3, 2, s8
	s_mov_b64 s[8:9], 0
.LBB317_373:                            ; =>This Inner Loop Header: Depth=1
	ds_read_b32 v5, v4
	v_add_u32_e32 v3, 0x80, v3
	v_cmp_ge_i32_e32 vcc, v3, v1
	s_or_b64 s[8:9], vcc, s[8:9]
	s_waitcnt lgkmcnt(0)
	v_mul_f32_e32 v5, v8, v5
	ds_write_b32 v4, v5
	v_add_u32_e32 v4, 0x200, v4
	s_andn2_b64 exec, exec, s[8:9]
	s_cbranch_execnz .LBB317_373
.LBB317_374:
	s_or_b64 exec, exec, s[6:7]
	v_cmp_ne_u16_e64 s[6:7], s28, 0
	s_cmp_lg_u64 s[6:7], 0
	s_addc_u32 s21, s13, 0
	v_accvgpr_read_b32 v3, a2
	s_mul_i32 s6, s21, s22
	v_cmp_eq_u32_e32 vcc, 0, v3
	s_mul_i32 s6, s6, s15
	s_waitcnt lgkmcnt(0)
	s_barrier
	s_and_saveexec_b64 s[8:9], vcc
	s_cbranch_execz .LBB317_376
; %bb.375:
	s_mul_i32 s12, s21, s12
	s_ashr_i32 s7, s6, 31
	s_ashr_i32 s13, s12, 31
	;; [unrolled: 1-line block ×3, first 2 shown]
	s_lshl_b64 s[10:11], s[6:7], 2
	s_lshl_b64 s[12:13], s[12:13], 2
	s_lshl_b64 s[24:25], s[14:15], 2
	s_add_u32 s7, s24, s12
	s_addc_u32 s12, s25, s13
	s_add_u32 s7, s7, s10
	s_addc_u32 s10, s12, s11
	v_accvgpr_read_b32 v4, a15
	v_mov_b32_e32 v1, s10
	v_add_co_u32_e32 v4, vcc, s7, v4
	v_accvgpr_read_b32 v5, a14
	v_addc_co_u32_e32 v5, vcc, v1, v5, vcc
	flat_store_dword v[4:5], v0
	v_accvgpr_read_b32 v0, a13
	v_add_co_u32_e32 v0, vcc, s7, v0
	v_accvgpr_read_b32 v4, a12
	v_addc_co_u32_e32 v1, vcc, v1, v4, vcc
	flat_store_dword v[0:1], v2
.LBB317_376:
	s_or_b64 exec, exec, s[8:9]
	v_mov_b32_e32 v49, 0
	v_and_b32_e32 v48, 3, v3
	v_mov_b32_e32 v1, 0
	v_mov_b32_e32 v0, 0
	;; [unrolled: 1-line block ×6, first 2 shown]
	s_and_saveexec_b64 s[8:9], s[4:5]
	s_cbranch_execz .LBB317_730
; %bb.377:
	v_accvgpr_read_b32 v0, a9
	v_accvgpr_read_b32 v1, a22
	;; [unrolled: 1-line block ×3, first 2 shown]
	v_add_co_u32_e32 v0, vcc, v0, v1
	v_accvgpr_read_b32 v1, a7
	v_accvgpr_read_b32 v4, a23
	v_and_b32_e32 v2, 24, v3
	s_ashr_i32 s19, s18, 31
	v_addc_co_u32_e32 v1, vcc, v1, v4, vcc
	v_and_b32_e32 v3, 0x1f8, v3
	s_lshl_b64 s[4:5], s[18:19], 2
	v_add_co_u32_e32 v20, vcc, v0, v3
	s_getpc_b64 s[10:11]
	s_add_u32 s10, s10, llvm.amdgcn.dynlds.offset.table@rel32@lo+4
	s_addc_u32 s11, s11, llvm.amdgcn.dynlds.offset.table@rel32@hi+12
	v_addc_co_u32_e32 v21, vcc, 0, v1, vcc
	v_accvgpr_read_b32 v0, a10
	s_add_u32 s4, s4, s10
	v_accvgpr_read_b32 v4, a18
	v_accvgpr_read_b32 v1, a11
	s_addc_u32 s5, s5, s11
	v_add_u32_e32 v36, -1, v4
	v_lshlrev_b64 v[0:1], 2, v[0:1]
	v_accvgpr_read_b32 v4, a20
	s_load_dword s4, s[4:5], 0x0
	v_accvgpr_read_b32 v5, a21
	v_add_co_u32_e32 v0, vcc, v4, v0
	v_addc_co_u32_e32 v1, vcc, v5, v1, vcc
	v_accvgpr_read_b32 v14, a29
	v_add_co_u32_e32 v14, vcc, v14, v0
	v_accvgpr_read_b32 v15, a27
	v_accvgpr_read_b32 v0, a19
	v_addc_co_u32_e32 v15, vcc, v15, v1, vcc
	v_add3_u32 v7, s23, v0, v2
	v_lshlrev_b32_e32 v0, 5, v48
	v_accvgpr_read_b32 v1, a17
	s_mov_b32 s10, -1
	v_lshl_or_b32 v0, v1, 7, v0
	v_mov_b32_e32 v2, 0
	s_mov_b32 s11, 0xffffff
	v_mov_b32_e32 v11, 0
	v_accvgpr_read_b32 v13, a8
	s_waitcnt lgkmcnt(0)
	v_add_u32_e32 v35, s4, v0
	s_mov_b64 s[12:13], 0
	s_movk_i32 s7, 0x80
	s_movk_i32 s15, 0x7f
	s_mov_b32 s19, 0x8000
	s_movk_i32 s28, 0x380
	s_mov_b32 s29, 0x3020706
	s_mov_b32 s30, 0x1000504
	s_mov_b32 s31, 0x5040100
	v_mov_b32_e32 v37, 0x2000
	v_mov_b32_e32 v3, v2
	;; [unrolled: 1-line block ×7, first 2 shown]
	s_branch .LBB317_379
.LBB317_378:                            ;   in Loop: Header=BB317_379 Depth=1
	s_or_b64 exec, exec, s[4:5]
	v_add_f32_e32 v4, v4, v5
	v_add_f32_e32 v8, v8, v4
	;; [unrolled: 1-line block ×8, first 2 shown]
	;;#ASMSTART
	v_pk_mul_f16 v4, v55, v18;

	;;#ASMEND
	;;#ASMSTART
	v_pk_mul_f16 v5, v40, v10;

	;;#ASMEND
	;; [unrolled: 4-line block ×4, first 2 shown]
	;;#ASMSTART
	v_pk_add_f16 v4, v4, v5;

	;;#ASMEND
	;;#ASMSTART
	v_pk_add_f16 v4, v4, v10;

	;;#ASMEND
	;; [unrolled: 4-line block ×3, first 2 shown]
	v_lshrrev_b32_e32 v5, 16, v4
	v_and_b32_e32 v4, 0xffff, v4
	;;#ASMSTART
	v_cvt_f32_f16 v4, v4;
	;;#ASMEND
	;;#ASMSTART
	v_cvt_f32_f16 v5, v5;
	;;#ASMEND
	v_add_f32_e32 v4, v4, v5
	v_accvgpr_read_b32 v6, a10
	v_add_co_u32_e32 v14, vcc, 8, v14
	v_add_f32_e32 v12, v43, v44
	v_add_f32_e32 v49, v49, v4
	v_add_u32_e32 v6, 2, v6
	v_addc_co_u32_e32 v15, vcc, 0, v15, vcc
	v_accvgpr_read_b32 v4, a3
	v_add_f32_e32 v2, v2, v12
	v_add_f32_e32 v12, v45, v46
	v_cmp_ge_i32_e32 vcc, v6, v4
	v_add_f32_e32 v3, v3, v12
	v_add_u32_e32 v7, 64, v7
	v_accvgpr_write_b32 a10, v6
	s_or_b64 s[12:13], vcc, s[12:13]
	v_add_u32_e32 v35, 0x100, v35
	s_andn2_b64 exec, exec, s[12:13]
	s_cbranch_execz .LBB317_729
.LBB317_379:                            ; =>This Inner Loop Header: Depth=1
	flat_load_dword v6, v[14:15]
	ds_read2_b64 v[24:27], v35 offset1:1
	ds_read2_b64 v[28:31], v35 offset0:2 offset1:3
	v_accvgpr_read_b32 v10, a6
	s_waitcnt lgkmcnt(0)
	;;#ASMSTART
	v_cvt_f16_f32 v4, v24;

	;;#ASMEND
	;;#ASMSTART
	v_cvt_f16_f32 v5, v25;

	;;#ASMEND
	v_accvgpr_read_b32 v25, a5
	;;#ASMSTART
	v_cvt_f16_f32 v17, v26;

	;;#ASMEND
	;;#ASMSTART
	v_cvt_f16_f32 v22, v27;

	;;#ASMEND
	;; [unrolled: 4-line block ×6, first 2 shown]
	v_accvgpr_read_b32 v24, a4
	flat_load_dword v12, v[24:25]
	v_mov_b32_e32 v24, 0
	s_waitcnt vmcnt(0)
	v_mad_i64_i32 v[18:19], s[4:5], v6, v10, v[20:21]
	flat_load_dwordx2 v[28:29], v[18:19]
	s_waitcnt vmcnt(0) lgkmcnt(0)
	v_cmp_ne_u16_sdwa s[22:23], v28, v11 src0_sel:BYTE_0 src1_sel:DWORD
	s_and_saveexec_b64 s[4:5], s[22:23]
	s_cbranch_execz .LBB317_385
; %bb.380:                              ;   in Loop: Header=BB317_379 Depth=1
	v_cmp_ne_u16_sdwa s[24:25], v28, s7 src0_sel:BYTE_0 src1_sel:DWORD
	v_bfrev_b32_e32 v24, 1
	s_and_saveexec_b64 s[22:23], s[24:25]
	s_cbranch_execz .LBB317_384
; %bb.381:                              ;   in Loop: Header=BB317_379 Depth=1
	v_and_b32_e32 v6, 0x7f, v28
	v_cmp_ne_u32_e32 vcc, s15, v6
	v_mov_b32_e32 v24, 0x7fc02000
	s_and_saveexec_b64 s[24:25], vcc
	s_cbranch_execz .LBB317_383
; %bb.382:                              ;   in Loop: Header=BB317_379 Depth=1
	v_and_b32_e32 v10, 7, v28
	v_ffbh_u32_e32 v10, v10
	v_min_u32_e32 v10, 32, v10
	v_subrev_u32_e32 v24, 28, v10
	v_cmp_gt_u32_e32 vcc, 8, v6
	v_lshrrev_b32_e32 v16, 3, v6
	v_sub_u32_e32 v10, 29, v10
	v_cndmask_b32_e32 v6, 0, v24, vcc
	v_lshlrev_b64 v[24:25], v6, v[28:29]
	v_cndmask_b32_e32 v6, v16, v10, vcc
	v_lshlrev_b32_e32 v16, 8, v28
	v_lshl_add_u32 v6, v6, 10, v37
	v_lshlrev_b32_e32 v10, 7, v24
	v_and_or_b32 v6, v16, s19, v6
	v_and_or_b32 v6, v10, s28, v6
	v_cvt_f32_f16_e32 v24, v6
.LBB317_383:                            ;   in Loop: Header=BB317_379 Depth=1
	s_or_b64 exec, exec, s[24:25]
.LBB317_384:                            ;   in Loop: Header=BB317_379 Depth=1
	s_or_b64 exec, exec, s[22:23]
.LBB317_385:                            ;   in Loop: Header=BB317_379 Depth=1
	s_or_b64 exec, exec, s[4:5]
	v_lshrrev_b16_e32 v10, 8, v28
	v_cmp_ne_u16_e32 vcc, 0, v10
	v_mov_b32_e32 v25, 0
	v_mov_b32_e32 v30, 0
	s_and_saveexec_b64 s[4:5], vcc
	s_cbranch_execz .LBB317_391
; %bb.386:                              ;   in Loop: Header=BB317_379 Depth=1
	v_cmp_ne_u16_e32 vcc, s7, v10
	v_bfrev_b32_e32 v30, 1
	s_and_saveexec_b64 s[22:23], vcc
	s_cbranch_execz .LBB317_390
; %bb.387:                              ;   in Loop: Header=BB317_379 Depth=1
	v_and_b32_e32 v6, 0x7f, v10
	v_cmp_ne_u32_e32 vcc, s15, v6
	v_mov_b32_e32 v30, 0x7fc02000
	s_and_saveexec_b64 s[24:25], vcc
	s_cbranch_execz .LBB317_389
; %bb.388:                              ;   in Loop: Header=BB317_379 Depth=1
	v_and_b32_e32 v16, 7, v10
	v_ffbh_u32_e32 v30, v16
	v_min_u32_e32 v39, 32, v30
	v_subrev_u32_e32 v30, 28, v39
	v_lshlrev_b64 v[30:31], v30, v[10:11]
	v_lshrrev_b32_e32 v38, 3, v6
	v_sub_u32_e32 v31, 29, v39
	v_cmp_gt_u32_e32 vcc, 8, v6
	v_cndmask_b32_e32 v6, v38, v31, vcc
	v_and_b32_e32 v30, 7, v30
	v_lshlrev_b32_e32 v10, 8, v10
	v_lshl_add_u32 v6, v6, 10, v37
	v_cndmask_b32_e32 v16, v16, v30, vcc
	v_and_or_b32 v6, v10, s19, v6
	v_lshl_or_b32 v6, v16, 7, v6
	v_cvt_f32_f16_e32 v30, v6
.LBB317_389:                            ;   in Loop: Header=BB317_379 Depth=1
	s_or_b64 exec, exec, s[24:25]
.LBB317_390:                            ;   in Loop: Header=BB317_379 Depth=1
	s_or_b64 exec, exec, s[22:23]
.LBB317_391:                            ;   in Loop: Header=BB317_379 Depth=1
	s_or_b64 exec, exec, s[4:5]
	v_lshrrev_b32_e32 v10, 16, v28
	v_cmp_ne_u16_sdwa s[22:23], v10, v11 src0_sel:BYTE_0 src1_sel:DWORD
	s_and_saveexec_b64 s[4:5], s[22:23]
	s_cbranch_execz .LBB317_397
; %bb.392:                              ;   in Loop: Header=BB317_379 Depth=1
	v_cmp_ne_u16_sdwa s[24:25], v10, s7 src0_sel:BYTE_0 src1_sel:DWORD
	v_bfrev_b32_e32 v25, 1
	s_and_saveexec_b64 s[22:23], s[24:25]
	s_cbranch_execz .LBB317_396
; %bb.393:                              ;   in Loop: Header=BB317_379 Depth=1
	v_bfe_u32 v6, v28, 16, 7
	v_cmp_ne_u32_e32 vcc, s15, v6
	v_mov_b32_e32 v25, 0x7fc02000
	s_and_saveexec_b64 s[24:25], vcc
	s_cbranch_execz .LBB317_395
; %bb.394:                              ;   in Loop: Header=BB317_379 Depth=1
	v_and_b32_e32 v16, 7, v10
	v_ffbh_u32_e32 v31, v16
	v_min_u32_e32 v31, 32, v31
	v_lshrrev_b32_e32 v25, 3, v6
	v_subrev_u32_e32 v38, 28, v31
	v_sub_u32_e32 v31, 29, v31
	v_cmp_gt_u32_e32 vcc, 8, v6
	v_lshlrev_b64 v[38:39], v38, v[10:11]
	v_cndmask_b32_e32 v6, v25, v31, vcc
	v_and_b32_e32 v38, 7, v38
	v_lshlrev_b32_e32 v10, 8, v10
	v_lshl_add_u32 v6, v6, 10, v37
	v_cndmask_b32_e32 v16, v16, v38, vcc
	v_and_or_b32 v6, v10, s19, v6
	v_lshl_or_b32 v6, v16, 7, v6
	v_cvt_f32_f16_e32 v25, v6
.LBB317_395:                            ;   in Loop: Header=BB317_379 Depth=1
	s_or_b64 exec, exec, s[24:25]
.LBB317_396:                            ;   in Loop: Header=BB317_379 Depth=1
	s_or_b64 exec, exec, s[22:23]
.LBB317_397:                            ;   in Loop: Header=BB317_379 Depth=1
	s_or_b64 exec, exec, s[4:5]
	v_cmp_lt_u32_e32 vcc, s11, v28
	v_mov_b32_e32 v38, 0
	v_mov_b32_e32 v31, 0
	s_and_saveexec_b64 s[4:5], vcc
	s_cbranch_execz .LBB317_403
; %bb.398:                              ;   in Loop: Header=BB317_379 Depth=1
	v_lshrrev_b32_e32 v10, 24, v28
	v_cmp_ne_u32_e32 vcc, s7, v10
	v_bfrev_b32_e32 v31, 1
	s_and_saveexec_b64 s[22:23], vcc
	s_cbranch_execz .LBB317_402
; %bb.399:                              ;   in Loop: Header=BB317_379 Depth=1
	v_and_b32_e32 v6, 0x7f, v10
	v_cmp_ne_u32_e32 vcc, s15, v6
	v_mov_b32_e32 v31, 0x7fc02000
	s_and_saveexec_b64 s[24:25], vcc
	s_cbranch_execz .LBB317_401
; %bb.400:                              ;   in Loop: Header=BB317_379 Depth=1
	v_and_b32_e32 v16, 7, v10
	v_ffbh_u32_e32 v39, v16
	v_min_u32_e32 v39, 32, v39
	v_lshrrev_b32_e32 v31, 3, v6
	v_subrev_u32_e32 v50, 28, v39
	v_sub_u32_e32 v39, 29, v39
	v_cmp_gt_u32_e32 vcc, 8, v6
	v_lshlrev_b64 v[50:51], v50, v[10:11]
	v_cndmask_b32_e32 v6, v31, v39, vcc
	v_and_b32_e32 v50, 7, v50
	v_lshlrev_b32_e32 v10, 8, v10
	v_lshl_add_u32 v6, v6, 10, v37
	v_cndmask_b32_e32 v16, v16, v50, vcc
	v_and_or_b32 v6, v10, s19, v6
	v_lshl_or_b32 v6, v16, 7, v6
	v_cvt_f32_f16_e32 v31, v6
.LBB317_401:                            ;   in Loop: Header=BB317_379 Depth=1
	s_or_b64 exec, exec, s[24:25]
.LBB317_402:                            ;   in Loop: Header=BB317_379 Depth=1
	s_or_b64 exec, exec, s[22:23]
.LBB317_403:                            ;   in Loop: Header=BB317_379 Depth=1
	s_or_b64 exec, exec, s[4:5]
	v_mov_b32_e32 v10, v29
	v_cmp_ne_u16_sdwa s[22:23], v29, v11 src0_sel:BYTE_0 src1_sel:DWORD
	s_and_saveexec_b64 s[4:5], s[22:23]
	s_cbranch_execz .LBB317_409
; %bb.404:                              ;   in Loop: Header=BB317_379 Depth=1
	v_cmp_ne_u16_sdwa s[24:25], v29, s7 src0_sel:BYTE_0 src1_sel:DWORD
	v_bfrev_b32_e32 v38, 1
	s_and_saveexec_b64 s[22:23], s[24:25]
	s_cbranch_execz .LBB317_408
; %bb.405:                              ;   in Loop: Header=BB317_379 Depth=1
	v_and_b32_e32 v6, 0x7f, v29
	v_cmp_ne_u32_e32 vcc, s15, v6
	v_mov_b32_e32 v38, 0x7fc02000
	s_and_saveexec_b64 s[24:25], vcc
	s_cbranch_execz .LBB317_407
; %bb.406:                              ;   in Loop: Header=BB317_379 Depth=1
	v_and_b32_e32 v16, 7, v29
	v_ffbh_u32_e32 v16, v16
	v_min_u32_e32 v16, 32, v16
	v_subrev_u32_e32 v38, 28, v16
	v_cmp_gt_u32_e32 vcc, 8, v6
	v_lshrrev_b32_e32 v50, 3, v6
	v_sub_u32_e32 v16, 29, v16
	v_cndmask_b32_e32 v6, 0, v38, vcc
	v_lshlrev_b64 v[38:39], v6, v[10:11]
	v_cndmask_b32_e32 v6, v50, v16, vcc
	v_lshlrev_b32_e32 v16, 7, v38
	v_lshlrev_b32_e32 v38, 8, v29
	v_lshl_add_u32 v6, v6, 10, v37
	v_and_or_b32 v6, v38, s19, v6
	v_and_or_b32 v6, v16, s28, v6
	v_cvt_f32_f16_e32 v38, v6
.LBB317_407:                            ;   in Loop: Header=BB317_379 Depth=1
	s_or_b64 exec, exec, s[24:25]
.LBB317_408:                            ;   in Loop: Header=BB317_379 Depth=1
	s_or_b64 exec, exec, s[22:23]
.LBB317_409:                            ;   in Loop: Header=BB317_379 Depth=1
	s_or_b64 exec, exec, s[4:5]
	v_lshrrev_b16_e32 v10, 8, v10
	v_cmp_ne_u16_e32 vcc, 0, v10
	v_mov_b32_e32 v6, 0
	v_mov_b32_e32 v39, 0
	s_and_saveexec_b64 s[4:5], vcc
	s_cbranch_execz .LBB317_415
; %bb.410:                              ;   in Loop: Header=BB317_379 Depth=1
	v_cmp_ne_u16_e32 vcc, s7, v10
	v_bfrev_b32_e32 v39, 1
	s_and_saveexec_b64 s[22:23], vcc
	s_cbranch_execz .LBB317_414
; %bb.411:                              ;   in Loop: Header=BB317_379 Depth=1
	v_and_b32_e32 v50, 0x7f, v10
	v_cmp_ne_u32_e32 vcc, s15, v50
	v_mov_b32_e32 v39, 0x7fc02000
	s_and_saveexec_b64 s[24:25], vcc
	s_cbranch_execz .LBB317_413
; %bb.412:                              ;   in Loop: Header=BB317_379 Depth=1
	v_and_b32_e32 v16, 7, v10
	v_ffbh_u32_e32 v51, v16
	v_min_u32_e32 v51, 32, v51
	v_lshrrev_b32_e32 v39, 3, v50
	v_subrev_u32_e32 v52, 28, v51
	v_sub_u32_e32 v51, 29, v51
	v_cmp_gt_u32_e32 vcc, 8, v50
	v_lshlrev_b64 v[52:53], v52, v[10:11]
	v_cndmask_b32_e32 v39, v39, v51, vcc
	v_and_b32_e32 v52, 7, v52
	v_lshlrev_b32_e32 v10, 8, v10
	v_lshl_add_u32 v39, v39, 10, v37
	v_cndmask_b32_e32 v16, v16, v52, vcc
	v_and_or_b32 v10, v10, s19, v39
	v_lshl_or_b32 v10, v16, 7, v10
	v_cvt_f32_f16_e32 v39, v10
.LBB317_413:                            ;   in Loop: Header=BB317_379 Depth=1
	s_or_b64 exec, exec, s[24:25]
.LBB317_414:                            ;   in Loop: Header=BB317_379 Depth=1
	s_or_b64 exec, exec, s[22:23]
.LBB317_415:                            ;   in Loop: Header=BB317_379 Depth=1
	s_or_b64 exec, exec, s[4:5]
	v_lshrrev_b32_e32 v10, 16, v29
	v_cmp_ne_u16_sdwa s[22:23], v10, v11 src0_sel:BYTE_0 src1_sel:DWORD
	s_and_saveexec_b64 s[4:5], s[22:23]
	s_cbranch_execz .LBB317_421
; %bb.416:                              ;   in Loop: Header=BB317_379 Depth=1
	v_cmp_ne_u16_sdwa s[24:25], v10, s7 src0_sel:BYTE_0 src1_sel:DWORD
	v_bfrev_b32_e32 v6, 1
	s_and_saveexec_b64 s[22:23], s[24:25]
	s_cbranch_execz .LBB317_420
; %bb.417:                              ;   in Loop: Header=BB317_379 Depth=1
	v_bfe_u32 v50, v29, 16, 7
	v_cmp_ne_u32_e32 vcc, s15, v50
	v_mov_b32_e32 v6, 0x7fc02000
	s_and_saveexec_b64 s[24:25], vcc
	s_cbranch_execz .LBB317_419
; %bb.418:                              ;   in Loop: Header=BB317_379 Depth=1
	v_and_b32_e32 v6, 7, v10
	v_ffbh_u32_e32 v51, v6
	v_min_u32_e32 v51, 32, v51
	v_lshrrev_b32_e32 v16, 3, v50
	v_subrev_u32_e32 v52, 28, v51
	v_sub_u32_e32 v51, 29, v51
	v_cmp_gt_u32_e32 vcc, 8, v50
	v_lshlrev_b64 v[52:53], v52, v[10:11]
	v_cndmask_b32_e32 v16, v16, v51, vcc
	v_and_b32_e32 v52, 7, v52
	v_lshlrev_b32_e32 v10, 8, v10
	v_lshl_add_u32 v16, v16, 10, v37
	v_cndmask_b32_e32 v6, v6, v52, vcc
	v_and_or_b32 v10, v10, s19, v16
	v_lshl_or_b32 v6, v6, 7, v10
	v_cvt_f32_f16_e32 v6, v6
.LBB317_419:                            ;   in Loop: Header=BB317_379 Depth=1
	s_or_b64 exec, exec, s[24:25]
.LBB317_420:                            ;   in Loop: Header=BB317_379 Depth=1
	s_or_b64 exec, exec, s[22:23]
.LBB317_421:                            ;   in Loop: Header=BB317_379 Depth=1
	s_or_b64 exec, exec, s[4:5]
	v_cmp_lt_u64_e32 vcc, s[10:11], v[28:29]
	v_mov_b32_e32 v28, 0
	s_and_saveexec_b64 s[4:5], vcc
	s_cbranch_execz .LBB317_427
; %bb.422:                              ;   in Loop: Header=BB317_379 Depth=1
	v_lshrrev_b32_e32 v10, 24, v29
	v_cmp_ne_u32_e32 vcc, s7, v10
	v_bfrev_b32_e32 v28, 1
	s_and_saveexec_b64 s[22:23], vcc
	s_cbranch_execz .LBB317_426
; %bb.423:                              ;   in Loop: Header=BB317_379 Depth=1
	v_and_b32_e32 v29, 0x7f, v10
	v_cmp_ne_u32_e32 vcc, s15, v29
	v_mov_b32_e32 v28, 0x7fc02000
	s_and_saveexec_b64 s[24:25], vcc
	s_cbranch_execz .LBB317_425
; %bb.424:                              ;   in Loop: Header=BB317_379 Depth=1
	v_and_b32_e32 v16, 7, v10
	v_ffbh_u32_e32 v50, v16
	v_min_u32_e32 v52, 32, v50
	v_subrev_u32_e32 v50, 28, v52
	v_lshlrev_b64 v[50:51], v50, v[10:11]
	v_lshrrev_b32_e32 v28, 3, v29
	v_sub_u32_e32 v51, 29, v52
	v_cmp_gt_u32_e32 vcc, 8, v29
	v_cndmask_b32_e32 v28, v28, v51, vcc
	v_and_b32_e32 v50, 7, v50
	v_lshlrev_b32_e32 v10, 8, v10
	v_lshl_add_u32 v28, v28, 10, v37
	v_cndmask_b32_e32 v16, v16, v50, vcc
	v_and_or_b32 v10, v10, s19, v28
	v_lshl_or_b32 v10, v16, 7, v10
	v_cvt_f32_f16_e32 v28, v10
.LBB317_425:                            ;   in Loop: Header=BB317_379 Depth=1
	s_or_b64 exec, exec, s[24:25]
.LBB317_426:                            ;   in Loop: Header=BB317_379 Depth=1
	s_or_b64 exec, exec, s[22:23]
.LBB317_427:                            ;   in Loop: Header=BB317_379 Depth=1
	s_or_b64 exec, exec, s[4:5]
	v_pk_mul_f32 v[30:31], v[12:13], v[30:31] op_sel_hi:[0,1]
	v_pk_mul_f32 v[24:25], v[12:13], v[24:25] op_sel_hi:[0,1]
	v_cvt_f16_f32_e32 v10, v31
	v_cvt_f16_f32_e32 v16, v30
	;; [unrolled: 1-line block ×4, first 2 shown]
	v_fma_mixlo_f16 v29, v12, v6, 0
	v_pack_b32_f16 v16, v16, v10
	v_fma_mixlo_f16 v6, v12, v28, 0
	v_pack_b32_f16 v24, v24, v25
	v_perm_b32 v10, v24, v16, s29
	v_perm_b32 v24, v24, v16, s30
	v_fma_mixlo_f16 v16, v12, v39, 0
	v_accvgpr_read_b32 v30, a10
	v_lshlrev_b32_e32 v16, 16, v16
	v_fma_mixlo_f16 v25, v12, v38, 0
	v_lshlrev_b32_e32 v6, 16, v6
	v_cmp_eq_u32_e32 vcc, v36, v30
	v_or_b32_sdwa v25, v16, v25 dst_sel:DWORD dst_unused:UNUSED_PAD src0_sel:DWORD src1_sel:WORD_0
	v_or_b32_sdwa v6, v6, v29 dst_sel:DWORD dst_unused:UNUSED_PAD src0_sel:DWORD src1_sel:WORD_0
	v_add_u32_e32 v54, 1, v7
	v_or_b32_e32 v53, 3, v7
	v_or_b32_e32 v52, 2, v7
	;; [unrolled: 1-line block ×6, first 2 shown]
	s_and_saveexec_b64 s[22:23], vcc
	s_cbranch_execz .LBB317_429
; %bb.428:                              ;   in Loop: Header=BB317_379 Depth=1
	v_lshrrev_b32_e32 v12, 16, v24
	v_cmp_lt_i32_e64 s[4:5], v54, v13
	v_accvgpr_read_b32 v28, a8
	v_cndmask_b32_e64 v12, 0, v12, s[4:5]
	v_cmp_lt_i32_e64 s[4:5], v7, v28
	v_cndmask_b32_e64 v16, 0, v24, s[4:5]
	v_perm_b32 v24, v12, v16, s31
	v_lshrrev_b32_e32 v12, 16, v10
	v_cmp_lt_i32_e64 s[4:5], v53, v13
	v_cndmask_b32_e64 v12, 0, v12, s[4:5]
	v_cmp_lt_i32_e64 s[4:5], v52, v28
	v_cndmask_b32_e64 v10, 0, v10, s[4:5]
	v_perm_b32 v10, v12, v10, s31
	v_lshrrev_b32_e32 v12, 16, v25
	v_cmp_lt_i32_e64 s[4:5], v51, v13
	v_cndmask_b32_e64 v12, 0, v12, s[4:5]
	v_cmp_lt_i32_e64 s[4:5], v50, v28
	v_cndmask_b32_e64 v16, 0, v25, s[4:5]
	v_lshrrev_b32_e32 v6, 16, v6
	v_cmp_lt_i32_e64 s[4:5], v39, v13
	v_cndmask_b32_e64 v6, 0, v6, s[4:5]
	v_cmp_lt_i32_e64 s[4:5], v38, v28
	v_perm_b32 v25, v12, v16, s31
	v_cndmask_b32_e64 v12, 0, v29, s[4:5]
	v_perm_b32 v6, v6, v12, s31
.LBB317_429:                            ;   in Loop: Header=BB317_379 Depth=1
	s_or_b64 exec, exec, s[22:23]
	v_and_b32_e32 v4, 0xffff, v4
	v_lshl_or_b32 v55, v5, 16, v4
	v_and_b32_e32 v4, 0xffff, v17
	v_lshl_or_b32 v40, v22, 16, v4
	;; [unrolled: 2-line block ×4, first 2 shown]
	;;#ASMSTART
	v_pk_mul_f16 v4, v55, v24;

	;;#ASMEND
	;;#ASMSTART
	v_pk_mul_f16 v5, v40, v10;

	;;#ASMEND
	;; [unrolled: 4-line block ×4, first 2 shown]
	;;#ASMSTART
	v_pk_add_f16 v4, v4, v5;

	;;#ASMEND
	;;#ASMSTART
	v_pk_add_f16 v4, v4, v10;

	;;#ASMEND
	;;#ASMSTART
	v_pk_add_f16 v4, v4, v6;

	;;#ASMEND
	v_lshrrev_b32_e32 v5, 16, v4
	v_and_b32_e32 v4, 0xffff, v4
	;;#ASMSTART
	v_cvt_f32_f16 v43, v4;
	;;#ASMEND
	;;#ASMSTART
	v_cvt_f32_f16 v44, v5;
	;;#ASMEND
	v_accvgpr_read_b32 v4, a4
	flat_load_dwordx2 v[30:31], v[18:19] offset:512
	v_accvgpr_read_b32 v5, a5
	flat_load_dword v12, v[4:5]
	v_mov_b32_e32 v28, 0
	v_mov_b32_e32 v24, 0
	s_waitcnt vmcnt(0) lgkmcnt(0)
	v_cmp_ne_u16_sdwa s[4:5], v30, v11 src0_sel:BYTE_0 src1_sel:DWORD
	s_and_saveexec_b64 s[22:23], s[4:5]
	s_cbranch_execz .LBB317_435
; %bb.430:                              ;   in Loop: Header=BB317_379 Depth=1
	v_cmp_ne_u16_sdwa s[4:5], v30, s7 src0_sel:BYTE_0 src1_sel:DWORD
	v_bfrev_b32_e32 v24, 1
	s_and_saveexec_b64 s[24:25], s[4:5]
	s_cbranch_execz .LBB317_434
; %bb.431:                              ;   in Loop: Header=BB317_379 Depth=1
	v_and_b32_e32 v4, 0x7f, v30
	v_cmp_ne_u32_e64 s[4:5], s15, v4
	v_mov_b32_e32 v24, 0x7fc02000
	s_and_saveexec_b64 s[26:27], s[4:5]
	s_cbranch_execz .LBB317_433
; %bb.432:                              ;   in Loop: Header=BB317_379 Depth=1
	v_and_b32_e32 v5, 7, v30
	v_ffbh_u32_e32 v5, v5
	v_min_u32_e32 v5, 32, v5
	v_subrev_u32_e32 v10, 28, v5
	v_cmp_gt_u32_e64 s[4:5], 8, v4
	v_lshrrev_b32_e32 v6, 3, v4
	v_cndmask_b32_e64 v4, 0, v10, s[4:5]
	v_sub_u32_e32 v16, 29, v5
	v_lshlrev_b64 v[4:5], v4, v[30:31]
	v_cndmask_b32_e64 v5, v6, v16, s[4:5]
	v_lshlrev_b32_e32 v6, 8, v30
	v_lshl_add_u32 v5, v5, 10, v37
	v_lshlrev_b32_e32 v4, 7, v4
	v_and_or_b32 v5, v6, s19, v5
	v_and_or_b32 v4, v4, s28, v5
	v_cvt_f32_f16_e32 v24, v4
.LBB317_433:                            ;   in Loop: Header=BB317_379 Depth=1
	s_or_b64 exec, exec, s[26:27]
.LBB317_434:                            ;   in Loop: Header=BB317_379 Depth=1
	s_or_b64 exec, exec, s[24:25]
.LBB317_435:                            ;   in Loop: Header=BB317_379 Depth=1
	s_or_b64 exec, exec, s[22:23]
	v_lshrrev_b16_e32 v10, 8, v30
	v_cmp_ne_u16_e64 s[4:5], 0, v10
	s_and_saveexec_b64 s[22:23], s[4:5]
	s_cbranch_execz .LBB317_441
; %bb.436:                              ;   in Loop: Header=BB317_379 Depth=1
	v_cmp_ne_u16_e64 s[4:5], s7, v10
	v_bfrev_b32_e32 v28, 1
	s_and_saveexec_b64 s[24:25], s[4:5]
	s_cbranch_execz .LBB317_440
; %bb.437:                              ;   in Loop: Header=BB317_379 Depth=1
	v_and_b32_e32 v4, 0x7f, v10
	v_cmp_ne_u32_e64 s[4:5], s15, v4
	v_mov_b32_e32 v28, 0x7fc02000
	s_and_saveexec_b64 s[26:27], s[4:5]
	s_cbranch_execz .LBB317_439
; %bb.438:                              ;   in Loop: Header=BB317_379 Depth=1
	v_and_b32_e32 v5, 7, v10
	v_ffbh_u32_e32 v16, v5
	v_min_u32_e32 v16, 32, v16
	v_lshrrev_b32_e32 v6, 3, v4
	v_subrev_u32_e32 v17, 28, v16
	v_sub_u32_e32 v16, 29, v16
	v_cmp_gt_u32_e64 s[4:5], 8, v4
	v_lshlrev_b64 v[26:27], v17, v[10:11]
	v_cndmask_b32_e64 v4, v6, v16, s[4:5]
	v_and_b32_e32 v17, 7, v26
	v_lshlrev_b32_e32 v6, 8, v10
	v_lshl_add_u32 v4, v4, 10, v37
	v_cndmask_b32_e64 v5, v5, v17, s[4:5]
	v_and_or_b32 v4, v6, s19, v4
	v_lshl_or_b32 v4, v5, 7, v4
	v_cvt_f32_f16_e32 v28, v4
.LBB317_439:                            ;   in Loop: Header=BB317_379 Depth=1
	s_or_b64 exec, exec, s[26:27]
.LBB317_440:                            ;   in Loop: Header=BB317_379 Depth=1
	s_or_b64 exec, exec, s[24:25]
.LBB317_441:                            ;   in Loop: Header=BB317_379 Depth=1
	s_or_b64 exec, exec, s[22:23]
	v_lshrrev_b32_e32 v10, 16, v30
	v_cmp_ne_u16_sdwa s[4:5], v10, v11 src0_sel:BYTE_0 src1_sel:DWORD
	v_mov_b32_e32 v29, 0
	v_mov_b32_e32 v25, 0
	s_and_saveexec_b64 s[22:23], s[4:5]
	s_cbranch_execz .LBB317_447
; %bb.442:                              ;   in Loop: Header=BB317_379 Depth=1
	v_cmp_ne_u16_sdwa s[4:5], v10, s7 src0_sel:BYTE_0 src1_sel:DWORD
	v_bfrev_b32_e32 v25, 1
	s_and_saveexec_b64 s[24:25], s[4:5]
	s_cbranch_execz .LBB317_446
; %bb.443:                              ;   in Loop: Header=BB317_379 Depth=1
	v_bfe_u32 v4, v30, 16, 7
	v_cmp_ne_u32_e64 s[4:5], s15, v4
	v_mov_b32_e32 v25, 0x7fc02000
	s_and_saveexec_b64 s[26:27], s[4:5]
	s_cbranch_execz .LBB317_445
; %bb.444:                              ;   in Loop: Header=BB317_379 Depth=1
	v_and_b32_e32 v5, 7, v10
	v_ffbh_u32_e32 v16, v5
	v_min_u32_e32 v16, 32, v16
	v_lshrrev_b32_e32 v6, 3, v4
	v_subrev_u32_e32 v17, 28, v16
	v_sub_u32_e32 v16, 29, v16
	v_cmp_gt_u32_e64 s[4:5], 8, v4
	v_lshlrev_b64 v[26:27], v17, v[10:11]
	v_cndmask_b32_e64 v4, v6, v16, s[4:5]
	v_and_b32_e32 v17, 7, v26
	v_lshlrev_b32_e32 v6, 8, v10
	v_lshl_add_u32 v4, v4, 10, v37
	v_cndmask_b32_e64 v5, v5, v17, s[4:5]
	v_and_or_b32 v4, v6, s19, v4
	v_lshl_or_b32 v4, v5, 7, v4
	v_cvt_f32_f16_e32 v25, v4
.LBB317_445:                            ;   in Loop: Header=BB317_379 Depth=1
	s_or_b64 exec, exec, s[26:27]
.LBB317_446:                            ;   in Loop: Header=BB317_379 Depth=1
	s_or_b64 exec, exec, s[24:25]
.LBB317_447:                            ;   in Loop: Header=BB317_379 Depth=1
	s_or_b64 exec, exec, s[22:23]
	v_cmp_lt_u32_e64 s[4:5], s11, v30
	s_and_saveexec_b64 s[22:23], s[4:5]
	s_cbranch_execz .LBB317_453
; %bb.448:                              ;   in Loop: Header=BB317_379 Depth=1
	v_lshrrev_b32_e32 v10, 24, v30
	v_cmp_ne_u32_e64 s[4:5], s7, v10
	v_bfrev_b32_e32 v29, 1
	s_and_saveexec_b64 s[24:25], s[4:5]
	s_cbranch_execz .LBB317_452
; %bb.449:                              ;   in Loop: Header=BB317_379 Depth=1
	v_and_b32_e32 v4, 0x7f, v10
	v_cmp_ne_u32_e64 s[4:5], s15, v4
	v_mov_b32_e32 v29, 0x7fc02000
	s_and_saveexec_b64 s[26:27], s[4:5]
	s_cbranch_execz .LBB317_451
; %bb.450:                              ;   in Loop: Header=BB317_379 Depth=1
	v_and_b32_e32 v5, 7, v10
	v_ffbh_u32_e32 v16, v5
	v_min_u32_e32 v16, 32, v16
	v_lshrrev_b32_e32 v6, 3, v4
	v_subrev_u32_e32 v17, 28, v16
	v_sub_u32_e32 v16, 29, v16
	v_cmp_gt_u32_e64 s[4:5], 8, v4
	v_lshlrev_b64 v[26:27], v17, v[10:11]
	v_cndmask_b32_e64 v4, v6, v16, s[4:5]
	v_and_b32_e32 v17, 7, v26
	v_lshlrev_b32_e32 v6, 8, v10
	v_lshl_add_u32 v4, v4, 10, v37
	v_cndmask_b32_e64 v5, v5, v17, s[4:5]
	v_and_or_b32 v4, v6, s19, v4
	v_lshl_or_b32 v4, v5, 7, v4
	v_cvt_f32_f16_e32 v29, v4
.LBB317_451:                            ;   in Loop: Header=BB317_379 Depth=1
	s_or_b64 exec, exec, s[26:27]
.LBB317_452:                            ;   in Loop: Header=BB317_379 Depth=1
	s_or_b64 exec, exec, s[24:25]
.LBB317_453:                            ;   in Loop: Header=BB317_379 Depth=1
	s_or_b64 exec, exec, s[22:23]
	v_mov_b32_e32 v10, v31
	v_cmp_ne_u16_sdwa s[4:5], v31, v11 src0_sel:BYTE_0 src1_sel:DWORD
	v_mov_b32_e32 v5, 0
	v_mov_b32_e32 v4, 0
	s_and_saveexec_b64 s[22:23], s[4:5]
	s_cbranch_execz .LBB317_459
; %bb.454:                              ;   in Loop: Header=BB317_379 Depth=1
	v_cmp_ne_u16_sdwa s[4:5], v31, s7 src0_sel:BYTE_0 src1_sel:DWORD
	v_bfrev_b32_e32 v4, 1
	s_and_saveexec_b64 s[24:25], s[4:5]
	s_cbranch_execz .LBB317_458
; %bb.455:                              ;   in Loop: Header=BB317_379 Depth=1
	v_and_b32_e32 v6, 0x7f, v31
	v_cmp_ne_u32_e64 s[4:5], s15, v6
	v_mov_b32_e32 v4, 0x7fc02000
	s_and_saveexec_b64 s[26:27], s[4:5]
	s_cbranch_execz .LBB317_457
; %bb.456:                              ;   in Loop: Header=BB317_379 Depth=1
	v_and_b32_e32 v4, 7, v31
	v_ffbh_u32_e32 v4, v4
	v_min_u32_e32 v4, 32, v4
	v_lshrrev_b32_e32 v16, 3, v6
	v_subrev_u32_e32 v17, 28, v4
	v_sub_u32_e32 v4, 29, v4
	v_cmp_gt_u32_e64 s[4:5], 8, v6
	v_cndmask_b32_e64 v6, 0, v17, s[4:5]
	v_cndmask_b32_e64 v4, v16, v4, s[4:5]
	v_lshlrev_b64 v[26:27], v6, v[10:11]
	v_lshlrev_b32_e32 v16, 8, v31
	v_lshl_add_u32 v4, v4, 10, v37
	v_lshlrev_b32_e32 v6, 7, v26
	v_and_or_b32 v4, v16, s19, v4
	v_and_or_b32 v4, v6, s28, v4
	v_cvt_f32_f16_e32 v4, v4
.LBB317_457:                            ;   in Loop: Header=BB317_379 Depth=1
	s_or_b64 exec, exec, s[26:27]
.LBB317_458:                            ;   in Loop: Header=BB317_379 Depth=1
	s_or_b64 exec, exec, s[24:25]
.LBB317_459:                            ;   in Loop: Header=BB317_379 Depth=1
	s_or_b64 exec, exec, s[22:23]
	v_lshrrev_b16_e32 v10, 8, v10
	v_cmp_ne_u16_e64 s[4:5], 0, v10
	s_and_saveexec_b64 s[22:23], s[4:5]
	s_cbranch_execz .LBB317_465
; %bb.460:                              ;   in Loop: Header=BB317_379 Depth=1
	v_cmp_ne_u16_e64 s[4:5], s7, v10
	v_bfrev_b32_e32 v5, 1
	s_and_saveexec_b64 s[24:25], s[4:5]
	s_cbranch_execz .LBB317_464
; %bb.461:                              ;   in Loop: Header=BB317_379 Depth=1
	v_and_b32_e32 v6, 0x7f, v10
	v_cmp_ne_u32_e64 s[4:5], s15, v6
	v_mov_b32_e32 v5, 0x7fc02000
	s_and_saveexec_b64 s[26:27], s[4:5]
	s_cbranch_execz .LBB317_463
; %bb.462:                              ;   in Loop: Header=BB317_379 Depth=1
	v_and_b32_e32 v5, 7, v10
	v_ffbh_u32_e32 v17, v5
	v_min_u32_e32 v17, 32, v17
	v_lshrrev_b32_e32 v16, 3, v6
	v_subrev_u32_e32 v22, 28, v17
	v_sub_u32_e32 v17, 29, v17
	v_cmp_gt_u32_e64 s[4:5], 8, v6
	v_lshlrev_b64 v[26:27], v22, v[10:11]
	v_cndmask_b32_e64 v6, v16, v17, s[4:5]
	v_and_b32_e32 v22, 7, v26
	v_lshlrev_b32_e32 v10, 8, v10
	v_lshl_add_u32 v6, v6, 10, v37
	v_cndmask_b32_e64 v5, v5, v22, s[4:5]
	v_and_or_b32 v6, v10, s19, v6
	v_lshl_or_b32 v5, v5, 7, v6
	v_cvt_f32_f16_e32 v5, v5
.LBB317_463:                            ;   in Loop: Header=BB317_379 Depth=1
	s_or_b64 exec, exec, s[26:27]
.LBB317_464:                            ;   in Loop: Header=BB317_379 Depth=1
	s_or_b64 exec, exec, s[24:25]
.LBB317_465:                            ;   in Loop: Header=BB317_379 Depth=1
	s_or_b64 exec, exec, s[22:23]
	v_lshrrev_b32_e32 v10, 16, v31
	v_cmp_ne_u16_sdwa s[4:5], v10, v11 src0_sel:BYTE_0 src1_sel:DWORD
	v_mov_b32_e32 v6, 0
	v_mov_b32_e32 v17, 0
	s_and_saveexec_b64 s[22:23], s[4:5]
	s_cbranch_execz .LBB317_471
; %bb.466:                              ;   in Loop: Header=BB317_379 Depth=1
	v_cmp_ne_u16_sdwa s[4:5], v10, s7 src0_sel:BYTE_0 src1_sel:DWORD
	v_bfrev_b32_e32 v17, 1
	s_and_saveexec_b64 s[24:25], s[4:5]
	s_cbranch_execz .LBB317_470
; %bb.467:                              ;   in Loop: Header=BB317_379 Depth=1
	v_bfe_u32 v22, v31, 16, 7
	v_cmp_ne_u32_e64 s[4:5], s15, v22
	v_mov_b32_e32 v17, 0x7fc02000
	s_and_saveexec_b64 s[26:27], s[4:5]
	s_cbranch_execz .LBB317_469
; %bb.468:                              ;   in Loop: Header=BB317_379 Depth=1
	v_and_b32_e32 v16, 7, v10
	v_ffbh_u32_e32 v26, v16
	v_min_u32_e32 v34, 32, v26
	v_subrev_u32_e32 v26, 28, v34
	v_lshlrev_b64 v[26:27], v26, v[10:11]
	v_lshrrev_b32_e32 v17, 3, v22
	v_sub_u32_e32 v27, 29, v34
	v_cmp_gt_u32_e64 s[4:5], 8, v22
	v_cndmask_b32_e64 v17, v17, v27, s[4:5]
	v_and_b32_e32 v26, 7, v26
	v_lshlrev_b32_e32 v10, 8, v10
	v_lshl_add_u32 v17, v17, 10, v37
	v_cndmask_b32_e64 v16, v16, v26, s[4:5]
	v_and_or_b32 v10, v10, s19, v17
	v_lshl_or_b32 v10, v16, 7, v10
	v_cvt_f32_f16_e32 v17, v10
.LBB317_469:                            ;   in Loop: Header=BB317_379 Depth=1
	s_or_b64 exec, exec, s[26:27]
.LBB317_470:                            ;   in Loop: Header=BB317_379 Depth=1
	s_or_b64 exec, exec, s[24:25]
.LBB317_471:                            ;   in Loop: Header=BB317_379 Depth=1
	s_or_b64 exec, exec, s[22:23]
	v_cmp_lt_u64_e64 s[4:5], s[10:11], v[30:31]
	s_and_saveexec_b64 s[22:23], s[4:5]
	s_cbranch_execz .LBB317_477
; %bb.472:                              ;   in Loop: Header=BB317_379 Depth=1
	v_lshrrev_b32_e32 v10, 24, v31
	v_cmp_ne_u32_e64 s[4:5], s7, v10
	v_bfrev_b32_e32 v6, 1
	s_and_saveexec_b64 s[24:25], s[4:5]
	s_cbranch_execz .LBB317_476
; %bb.473:                              ;   in Loop: Header=BB317_379 Depth=1
	v_and_b32_e32 v22, 0x7f, v10
	v_cmp_ne_u32_e64 s[4:5], s15, v22
	v_mov_b32_e32 v6, 0x7fc02000
	s_and_saveexec_b64 s[26:27], s[4:5]
	s_cbranch_execz .LBB317_475
; %bb.474:                              ;   in Loop: Header=BB317_379 Depth=1
	v_and_b32_e32 v6, 7, v10
	v_ffbh_u32_e32 v26, v6
	v_min_u32_e32 v30, 32, v26
	v_subrev_u32_e32 v26, 28, v30
	v_lshlrev_b64 v[26:27], v26, v[10:11]
	v_lshrrev_b32_e32 v16, 3, v22
	v_sub_u32_e32 v27, 29, v30
	v_cmp_gt_u32_e64 s[4:5], 8, v22
	v_cndmask_b32_e64 v16, v16, v27, s[4:5]
	v_and_b32_e32 v26, 7, v26
	v_lshlrev_b32_e32 v10, 8, v10
	v_lshl_add_u32 v16, v16, 10, v37
	v_cndmask_b32_e64 v6, v6, v26, s[4:5]
	v_and_or_b32 v10, v10, s19, v16
	v_lshl_or_b32 v6, v6, 7, v10
	v_cvt_f32_f16_e32 v6, v6
.LBB317_475:                            ;   in Loop: Header=BB317_379 Depth=1
	s_or_b64 exec, exec, s[26:27]
.LBB317_476:                            ;   in Loop: Header=BB317_379 Depth=1
	s_or_b64 exec, exec, s[24:25]
.LBB317_477:                            ;   in Loop: Header=BB317_379 Depth=1
	s_or_b64 exec, exec, s[22:23]
	v_pk_mul_f32 v[26:27], v[12:13], v[28:29] op_sel_hi:[0,1]
	v_pk_mul_f32 v[24:25], v[12:13], v[24:25] op_sel_hi:[0,1]
	v_cvt_f16_f32_e32 v10, v27
	v_cvt_f16_f32_e32 v16, v26
	;; [unrolled: 1-line block ×4, first 2 shown]
	v_fma_mixlo_f16 v5, v12, v5, 0
	v_lshlrev_b32_e32 v5, 16, v5
	v_fma_mixlo_f16 v4, v12, v4, 0
	v_or_b32_sdwa v4, v5, v4 dst_sel:DWORD dst_unused:UNUSED_PAD src0_sel:DWORD src1_sel:WORD_0
	v_fma_mixlo_f16 v5, v12, v6, 0
	v_pack_b32_f16 v16, v16, v10
	v_pack_b32_f16 v22, v24, v22
	v_fma_mixlo_f16 v17, v12, v17, 0
	v_lshlrev_b32_e32 v5, 16, v5
	v_perm_b32 v10, v22, v16, s29
	v_perm_b32 v22, v22, v16, s30
	v_or_b32_sdwa v5, v5, v17 dst_sel:DWORD dst_unused:UNUSED_PAD src0_sel:DWORD src1_sel:WORD_0
	s_and_saveexec_b64 s[22:23], vcc
	s_cbranch_execz .LBB317_479
; %bb.478:                              ;   in Loop: Header=BB317_379 Depth=1
	v_lshrrev_b32_e32 v6, 16, v22
	v_cmp_lt_i32_e64 s[4:5], v54, v13
	v_accvgpr_read_b32 v16, a8
	v_cndmask_b32_e64 v6, 0, v6, s[4:5]
	v_cmp_lt_i32_e64 s[4:5], v7, v16
	v_cndmask_b32_e64 v12, 0, v22, s[4:5]
	v_perm_b32 v22, v6, v12, s31
	v_lshrrev_b32_e32 v6, 16, v10
	v_cmp_lt_i32_e64 s[4:5], v53, v13
	v_cndmask_b32_e64 v6, 0, v6, s[4:5]
	v_cmp_lt_i32_e64 s[4:5], v52, v16
	v_cndmask_b32_e64 v10, 0, v10, s[4:5]
	v_perm_b32 v10, v6, v10, s31
	v_lshrrev_b32_e32 v6, 16, v4
	v_cmp_lt_i32_e64 s[4:5], v51, v13
	v_cndmask_b32_e64 v6, 0, v6, s[4:5]
	v_cmp_lt_i32_e64 s[4:5], v50, v16
	v_cndmask_b32_e64 v4, 0, v4, s[4:5]
	v_lshrrev_b32_e32 v5, 16, v5
	v_cmp_lt_i32_e64 s[4:5], v39, v13
	v_cndmask_b32_e64 v5, 0, v5, s[4:5]
	v_cmp_lt_i32_e64 s[4:5], v38, v16
	v_perm_b32 v4, v6, v4, s31
	v_cndmask_b32_e64 v6, 0, v17, s[4:5]
	v_perm_b32 v5, v5, v6, s31
.LBB317_479:                            ;   in Loop: Header=BB317_379 Depth=1
	s_or_b64 exec, exec, s[22:23]
	;;#ASMSTART
	v_pk_mul_f16 v6, v55, v22;

	;;#ASMEND
	;;#ASMSTART
	v_pk_mul_f16 v10, v40, v10;

	;;#ASMEND
	;; [unrolled: 4-line block ×4, first 2 shown]
	;;#ASMSTART
	v_pk_add_f16 v6, v6, v10;

	;;#ASMEND
	;;#ASMSTART
	v_pk_add_f16 v4, v6, v4;

	;;#ASMEND
	;; [unrolled: 4-line block ×3, first 2 shown]
	v_lshrrev_b32_e32 v5, 16, v4
	v_and_b32_e32 v4, 0xffff, v4
	;;#ASMSTART
	v_cvt_f32_f16 v45, v4;
	;;#ASMEND
	;;#ASMSTART
	v_cvt_f32_f16 v46, v5;
	;;#ASMEND
	v_accvgpr_read_b32 v4, a4
	flat_load_dwordx2 v[30:31], v[18:19] offset:1024
	v_accvgpr_read_b32 v5, a5
	flat_load_dword v12, v[4:5]
	v_mov_b32_e32 v28, 0
	v_mov_b32_e32 v24, 0
	s_waitcnt vmcnt(0) lgkmcnt(0)
	v_cmp_ne_u16_sdwa s[4:5], v30, v11 src0_sel:BYTE_0 src1_sel:DWORD
	s_and_saveexec_b64 s[22:23], s[4:5]
	s_cbranch_execz .LBB317_485
; %bb.480:                              ;   in Loop: Header=BB317_379 Depth=1
	v_cmp_ne_u16_sdwa s[4:5], v30, s7 src0_sel:BYTE_0 src1_sel:DWORD
	v_bfrev_b32_e32 v24, 1
	s_and_saveexec_b64 s[24:25], s[4:5]
	s_cbranch_execz .LBB317_484
; %bb.481:                              ;   in Loop: Header=BB317_379 Depth=1
	v_and_b32_e32 v4, 0x7f, v30
	v_cmp_ne_u32_e64 s[4:5], s15, v4
	v_mov_b32_e32 v24, 0x7fc02000
	s_and_saveexec_b64 s[26:27], s[4:5]
	s_cbranch_execz .LBB317_483
; %bb.482:                              ;   in Loop: Header=BB317_379 Depth=1
	v_and_b32_e32 v5, 7, v30
	v_ffbh_u32_e32 v5, v5
	v_min_u32_e32 v5, 32, v5
	v_subrev_u32_e32 v10, 28, v5
	v_cmp_gt_u32_e64 s[4:5], 8, v4
	v_lshrrev_b32_e32 v6, 3, v4
	v_cndmask_b32_e64 v4, 0, v10, s[4:5]
	v_sub_u32_e32 v16, 29, v5
	v_lshlrev_b64 v[4:5], v4, v[30:31]
	v_cndmask_b32_e64 v5, v6, v16, s[4:5]
	v_lshlrev_b32_e32 v6, 8, v30
	v_lshl_add_u32 v5, v5, 10, v37
	v_lshlrev_b32_e32 v4, 7, v4
	v_and_or_b32 v5, v6, s19, v5
	v_and_or_b32 v4, v4, s28, v5
	v_cvt_f32_f16_e32 v24, v4
.LBB317_483:                            ;   in Loop: Header=BB317_379 Depth=1
	s_or_b64 exec, exec, s[26:27]
.LBB317_484:                            ;   in Loop: Header=BB317_379 Depth=1
	s_or_b64 exec, exec, s[24:25]
.LBB317_485:                            ;   in Loop: Header=BB317_379 Depth=1
	s_or_b64 exec, exec, s[22:23]
	v_lshrrev_b16_e32 v10, 8, v30
	v_cmp_ne_u16_e64 s[4:5], 0, v10
	s_and_saveexec_b64 s[22:23], s[4:5]
	s_cbranch_execz .LBB317_491
; %bb.486:                              ;   in Loop: Header=BB317_379 Depth=1
	v_cmp_ne_u16_e64 s[4:5], s7, v10
	v_bfrev_b32_e32 v28, 1
	s_and_saveexec_b64 s[24:25], s[4:5]
	s_cbranch_execz .LBB317_490
; %bb.487:                              ;   in Loop: Header=BB317_379 Depth=1
	v_and_b32_e32 v4, 0x7f, v10
	v_cmp_ne_u32_e64 s[4:5], s15, v4
	v_mov_b32_e32 v28, 0x7fc02000
	s_and_saveexec_b64 s[26:27], s[4:5]
	s_cbranch_execz .LBB317_489
; %bb.488:                              ;   in Loop: Header=BB317_379 Depth=1
	v_and_b32_e32 v5, 7, v10
	v_ffbh_u32_e32 v16, v5
	v_min_u32_e32 v16, 32, v16
	v_lshrrev_b32_e32 v6, 3, v4
	v_subrev_u32_e32 v17, 28, v16
	v_sub_u32_e32 v16, 29, v16
	v_cmp_gt_u32_e64 s[4:5], 8, v4
	v_lshlrev_b64 v[26:27], v17, v[10:11]
	v_cndmask_b32_e64 v4, v6, v16, s[4:5]
	v_and_b32_e32 v17, 7, v26
	v_lshlrev_b32_e32 v6, 8, v10
	v_lshl_add_u32 v4, v4, 10, v37
	v_cndmask_b32_e64 v5, v5, v17, s[4:5]
	v_and_or_b32 v4, v6, s19, v4
	v_lshl_or_b32 v4, v5, 7, v4
	v_cvt_f32_f16_e32 v28, v4
.LBB317_489:                            ;   in Loop: Header=BB317_379 Depth=1
	s_or_b64 exec, exec, s[26:27]
.LBB317_490:                            ;   in Loop: Header=BB317_379 Depth=1
	s_or_b64 exec, exec, s[24:25]
.LBB317_491:                            ;   in Loop: Header=BB317_379 Depth=1
	s_or_b64 exec, exec, s[22:23]
	v_lshrrev_b32_e32 v10, 16, v30
	v_cmp_ne_u16_sdwa s[4:5], v10, v11 src0_sel:BYTE_0 src1_sel:DWORD
	v_mov_b32_e32 v29, 0
	v_mov_b32_e32 v25, 0
	s_and_saveexec_b64 s[22:23], s[4:5]
	s_cbranch_execz .LBB317_497
; %bb.492:                              ;   in Loop: Header=BB317_379 Depth=1
	v_cmp_ne_u16_sdwa s[4:5], v10, s7 src0_sel:BYTE_0 src1_sel:DWORD
	v_bfrev_b32_e32 v25, 1
	s_and_saveexec_b64 s[24:25], s[4:5]
	s_cbranch_execz .LBB317_496
; %bb.493:                              ;   in Loop: Header=BB317_379 Depth=1
	v_bfe_u32 v4, v30, 16, 7
	v_cmp_ne_u32_e64 s[4:5], s15, v4
	v_mov_b32_e32 v25, 0x7fc02000
	s_and_saveexec_b64 s[26:27], s[4:5]
	s_cbranch_execz .LBB317_495
; %bb.494:                              ;   in Loop: Header=BB317_379 Depth=1
	v_and_b32_e32 v5, 7, v10
	v_ffbh_u32_e32 v16, v5
	v_min_u32_e32 v16, 32, v16
	v_lshrrev_b32_e32 v6, 3, v4
	v_subrev_u32_e32 v17, 28, v16
	v_sub_u32_e32 v16, 29, v16
	v_cmp_gt_u32_e64 s[4:5], 8, v4
	v_lshlrev_b64 v[26:27], v17, v[10:11]
	v_cndmask_b32_e64 v4, v6, v16, s[4:5]
	v_and_b32_e32 v17, 7, v26
	v_lshlrev_b32_e32 v6, 8, v10
	v_lshl_add_u32 v4, v4, 10, v37
	v_cndmask_b32_e64 v5, v5, v17, s[4:5]
	v_and_or_b32 v4, v6, s19, v4
	v_lshl_or_b32 v4, v5, 7, v4
	v_cvt_f32_f16_e32 v25, v4
.LBB317_495:                            ;   in Loop: Header=BB317_379 Depth=1
	s_or_b64 exec, exec, s[26:27]
.LBB317_496:                            ;   in Loop: Header=BB317_379 Depth=1
	s_or_b64 exec, exec, s[24:25]
.LBB317_497:                            ;   in Loop: Header=BB317_379 Depth=1
	s_or_b64 exec, exec, s[22:23]
	v_cmp_lt_u32_e64 s[4:5], s11, v30
	s_and_saveexec_b64 s[22:23], s[4:5]
	s_cbranch_execz .LBB317_503
; %bb.498:                              ;   in Loop: Header=BB317_379 Depth=1
	v_lshrrev_b32_e32 v10, 24, v30
	v_cmp_ne_u32_e64 s[4:5], s7, v10
	v_bfrev_b32_e32 v29, 1
	s_and_saveexec_b64 s[24:25], s[4:5]
	s_cbranch_execz .LBB317_502
; %bb.499:                              ;   in Loop: Header=BB317_379 Depth=1
	v_and_b32_e32 v4, 0x7f, v10
	v_cmp_ne_u32_e64 s[4:5], s15, v4
	v_mov_b32_e32 v29, 0x7fc02000
	s_and_saveexec_b64 s[26:27], s[4:5]
	s_cbranch_execz .LBB317_501
; %bb.500:                              ;   in Loop: Header=BB317_379 Depth=1
	v_and_b32_e32 v5, 7, v10
	v_ffbh_u32_e32 v16, v5
	v_min_u32_e32 v16, 32, v16
	v_lshrrev_b32_e32 v6, 3, v4
	v_subrev_u32_e32 v17, 28, v16
	v_sub_u32_e32 v16, 29, v16
	v_cmp_gt_u32_e64 s[4:5], 8, v4
	v_lshlrev_b64 v[26:27], v17, v[10:11]
	v_cndmask_b32_e64 v4, v6, v16, s[4:5]
	v_and_b32_e32 v17, 7, v26
	v_lshlrev_b32_e32 v6, 8, v10
	v_lshl_add_u32 v4, v4, 10, v37
	v_cndmask_b32_e64 v5, v5, v17, s[4:5]
	v_and_or_b32 v4, v6, s19, v4
	v_lshl_or_b32 v4, v5, 7, v4
	v_cvt_f32_f16_e32 v29, v4
.LBB317_501:                            ;   in Loop: Header=BB317_379 Depth=1
	s_or_b64 exec, exec, s[26:27]
.LBB317_502:                            ;   in Loop: Header=BB317_379 Depth=1
	s_or_b64 exec, exec, s[24:25]
.LBB317_503:                            ;   in Loop: Header=BB317_379 Depth=1
	s_or_b64 exec, exec, s[22:23]
	v_mov_b32_e32 v10, v31
	v_cmp_ne_u16_sdwa s[4:5], v31, v11 src0_sel:BYTE_0 src1_sel:DWORD
	v_mov_b32_e32 v5, 0
	v_mov_b32_e32 v4, 0
	s_and_saveexec_b64 s[22:23], s[4:5]
	s_cbranch_execz .LBB317_509
; %bb.504:                              ;   in Loop: Header=BB317_379 Depth=1
	v_cmp_ne_u16_sdwa s[4:5], v31, s7 src0_sel:BYTE_0 src1_sel:DWORD
	v_bfrev_b32_e32 v4, 1
	s_and_saveexec_b64 s[24:25], s[4:5]
	s_cbranch_execz .LBB317_508
; %bb.505:                              ;   in Loop: Header=BB317_379 Depth=1
	v_and_b32_e32 v6, 0x7f, v31
	v_cmp_ne_u32_e64 s[4:5], s15, v6
	v_mov_b32_e32 v4, 0x7fc02000
	s_and_saveexec_b64 s[26:27], s[4:5]
	s_cbranch_execz .LBB317_507
; %bb.506:                              ;   in Loop: Header=BB317_379 Depth=1
	v_and_b32_e32 v4, 7, v31
	v_ffbh_u32_e32 v4, v4
	v_min_u32_e32 v4, 32, v4
	v_lshrrev_b32_e32 v16, 3, v6
	v_subrev_u32_e32 v17, 28, v4
	v_sub_u32_e32 v4, 29, v4
	v_cmp_gt_u32_e64 s[4:5], 8, v6
	v_cndmask_b32_e64 v6, 0, v17, s[4:5]
	v_cndmask_b32_e64 v4, v16, v4, s[4:5]
	v_lshlrev_b64 v[26:27], v6, v[10:11]
	v_lshlrev_b32_e32 v16, 8, v31
	v_lshl_add_u32 v4, v4, 10, v37
	v_lshlrev_b32_e32 v6, 7, v26
	v_and_or_b32 v4, v16, s19, v4
	v_and_or_b32 v4, v6, s28, v4
	v_cvt_f32_f16_e32 v4, v4
.LBB317_507:                            ;   in Loop: Header=BB317_379 Depth=1
	s_or_b64 exec, exec, s[26:27]
.LBB317_508:                            ;   in Loop: Header=BB317_379 Depth=1
	s_or_b64 exec, exec, s[24:25]
.LBB317_509:                            ;   in Loop: Header=BB317_379 Depth=1
	s_or_b64 exec, exec, s[22:23]
	v_lshrrev_b16_e32 v10, 8, v10
	v_cmp_ne_u16_e64 s[4:5], 0, v10
	s_and_saveexec_b64 s[22:23], s[4:5]
	s_cbranch_execz .LBB317_515
; %bb.510:                              ;   in Loop: Header=BB317_379 Depth=1
	v_cmp_ne_u16_e64 s[4:5], s7, v10
	v_bfrev_b32_e32 v5, 1
	s_and_saveexec_b64 s[24:25], s[4:5]
	s_cbranch_execz .LBB317_514
; %bb.511:                              ;   in Loop: Header=BB317_379 Depth=1
	v_and_b32_e32 v6, 0x7f, v10
	v_cmp_ne_u32_e64 s[4:5], s15, v6
	v_mov_b32_e32 v5, 0x7fc02000
	s_and_saveexec_b64 s[26:27], s[4:5]
	s_cbranch_execz .LBB317_513
; %bb.512:                              ;   in Loop: Header=BB317_379 Depth=1
	v_and_b32_e32 v5, 7, v10
	v_ffbh_u32_e32 v17, v5
	v_min_u32_e32 v17, 32, v17
	v_lshrrev_b32_e32 v16, 3, v6
	v_subrev_u32_e32 v22, 28, v17
	v_sub_u32_e32 v17, 29, v17
	v_cmp_gt_u32_e64 s[4:5], 8, v6
	v_lshlrev_b64 v[26:27], v22, v[10:11]
	v_cndmask_b32_e64 v6, v16, v17, s[4:5]
	v_and_b32_e32 v22, 7, v26
	v_lshlrev_b32_e32 v10, 8, v10
	v_lshl_add_u32 v6, v6, 10, v37
	v_cndmask_b32_e64 v5, v5, v22, s[4:5]
	v_and_or_b32 v6, v10, s19, v6
	v_lshl_or_b32 v5, v5, 7, v6
	v_cvt_f32_f16_e32 v5, v5
.LBB317_513:                            ;   in Loop: Header=BB317_379 Depth=1
	s_or_b64 exec, exec, s[26:27]
.LBB317_514:                            ;   in Loop: Header=BB317_379 Depth=1
	s_or_b64 exec, exec, s[24:25]
.LBB317_515:                            ;   in Loop: Header=BB317_379 Depth=1
	s_or_b64 exec, exec, s[22:23]
	v_lshrrev_b32_e32 v10, 16, v31
	v_cmp_ne_u16_sdwa s[4:5], v10, v11 src0_sel:BYTE_0 src1_sel:DWORD
	v_mov_b32_e32 v6, 0
	v_mov_b32_e32 v17, 0
	s_and_saveexec_b64 s[22:23], s[4:5]
	s_cbranch_execz .LBB317_521
; %bb.516:                              ;   in Loop: Header=BB317_379 Depth=1
	v_cmp_ne_u16_sdwa s[4:5], v10, s7 src0_sel:BYTE_0 src1_sel:DWORD
	v_bfrev_b32_e32 v17, 1
	s_and_saveexec_b64 s[24:25], s[4:5]
	s_cbranch_execz .LBB317_520
; %bb.517:                              ;   in Loop: Header=BB317_379 Depth=1
	v_bfe_u32 v22, v31, 16, 7
	v_cmp_ne_u32_e64 s[4:5], s15, v22
	v_mov_b32_e32 v17, 0x7fc02000
	s_and_saveexec_b64 s[26:27], s[4:5]
	s_cbranch_execz .LBB317_519
; %bb.518:                              ;   in Loop: Header=BB317_379 Depth=1
	v_and_b32_e32 v16, 7, v10
	v_ffbh_u32_e32 v26, v16
	v_min_u32_e32 v34, 32, v26
	v_subrev_u32_e32 v26, 28, v34
	v_lshlrev_b64 v[26:27], v26, v[10:11]
	v_lshrrev_b32_e32 v17, 3, v22
	v_sub_u32_e32 v27, 29, v34
	v_cmp_gt_u32_e64 s[4:5], 8, v22
	v_cndmask_b32_e64 v17, v17, v27, s[4:5]
	v_and_b32_e32 v26, 7, v26
	v_lshlrev_b32_e32 v10, 8, v10
	v_lshl_add_u32 v17, v17, 10, v37
	v_cndmask_b32_e64 v16, v16, v26, s[4:5]
	v_and_or_b32 v10, v10, s19, v17
	v_lshl_or_b32 v10, v16, 7, v10
	v_cvt_f32_f16_e32 v17, v10
.LBB317_519:                            ;   in Loop: Header=BB317_379 Depth=1
	s_or_b64 exec, exec, s[26:27]
.LBB317_520:                            ;   in Loop: Header=BB317_379 Depth=1
	s_or_b64 exec, exec, s[24:25]
.LBB317_521:                            ;   in Loop: Header=BB317_379 Depth=1
	s_or_b64 exec, exec, s[22:23]
	v_cmp_lt_u64_e64 s[4:5], s[10:11], v[30:31]
	s_and_saveexec_b64 s[22:23], s[4:5]
	s_cbranch_execz .LBB317_527
; %bb.522:                              ;   in Loop: Header=BB317_379 Depth=1
	v_lshrrev_b32_e32 v10, 24, v31
	v_cmp_ne_u32_e64 s[4:5], s7, v10
	v_bfrev_b32_e32 v6, 1
	s_and_saveexec_b64 s[24:25], s[4:5]
	s_cbranch_execz .LBB317_526
; %bb.523:                              ;   in Loop: Header=BB317_379 Depth=1
	v_and_b32_e32 v22, 0x7f, v10
	v_cmp_ne_u32_e64 s[4:5], s15, v22
	v_mov_b32_e32 v6, 0x7fc02000
	s_and_saveexec_b64 s[26:27], s[4:5]
	s_cbranch_execz .LBB317_525
; %bb.524:                              ;   in Loop: Header=BB317_379 Depth=1
	v_and_b32_e32 v6, 7, v10
	v_ffbh_u32_e32 v26, v6
	v_min_u32_e32 v30, 32, v26
	v_subrev_u32_e32 v26, 28, v30
	v_lshlrev_b64 v[26:27], v26, v[10:11]
	v_lshrrev_b32_e32 v16, 3, v22
	v_sub_u32_e32 v27, 29, v30
	v_cmp_gt_u32_e64 s[4:5], 8, v22
	v_cndmask_b32_e64 v16, v16, v27, s[4:5]
	v_and_b32_e32 v26, 7, v26
	v_lshlrev_b32_e32 v10, 8, v10
	v_lshl_add_u32 v16, v16, 10, v37
	v_cndmask_b32_e64 v6, v6, v26, s[4:5]
	v_and_or_b32 v10, v10, s19, v16
	v_lshl_or_b32 v6, v6, 7, v10
	v_cvt_f32_f16_e32 v6, v6
.LBB317_525:                            ;   in Loop: Header=BB317_379 Depth=1
	s_or_b64 exec, exec, s[26:27]
.LBB317_526:                            ;   in Loop: Header=BB317_379 Depth=1
	s_or_b64 exec, exec, s[24:25]
.LBB317_527:                            ;   in Loop: Header=BB317_379 Depth=1
	s_or_b64 exec, exec, s[22:23]
	v_pk_mul_f32 v[26:27], v[12:13], v[28:29] op_sel_hi:[0,1]
	v_pk_mul_f32 v[24:25], v[12:13], v[24:25] op_sel_hi:[0,1]
	v_cvt_f16_f32_e32 v10, v27
	v_cvt_f16_f32_e32 v16, v26
	v_cvt_f16_f32_e32 v22, v25
	v_cvt_f16_f32_e32 v24, v24
	v_fma_mixlo_f16 v5, v12, v5, 0
	v_lshlrev_b32_e32 v5, 16, v5
	v_fma_mixlo_f16 v4, v12, v4, 0
	v_or_b32_sdwa v4, v5, v4 dst_sel:DWORD dst_unused:UNUSED_PAD src0_sel:DWORD src1_sel:WORD_0
	v_fma_mixlo_f16 v5, v12, v6, 0
	v_pack_b32_f16 v16, v16, v10
	v_pack_b32_f16 v22, v24, v22
	v_fma_mixlo_f16 v17, v12, v17, 0
	v_lshlrev_b32_e32 v5, 16, v5
	v_perm_b32 v10, v22, v16, s29
	v_perm_b32 v22, v22, v16, s30
	v_or_b32_sdwa v5, v5, v17 dst_sel:DWORD dst_unused:UNUSED_PAD src0_sel:DWORD src1_sel:WORD_0
	s_and_saveexec_b64 s[22:23], vcc
	s_cbranch_execz .LBB317_529
; %bb.528:                              ;   in Loop: Header=BB317_379 Depth=1
	v_lshrrev_b32_e32 v6, 16, v22
	v_cmp_lt_i32_e64 s[4:5], v54, v13
	v_accvgpr_read_b32 v16, a8
	v_cndmask_b32_e64 v6, 0, v6, s[4:5]
	v_cmp_lt_i32_e64 s[4:5], v7, v16
	v_cndmask_b32_e64 v12, 0, v22, s[4:5]
	v_perm_b32 v22, v6, v12, s31
	v_lshrrev_b32_e32 v6, 16, v10
	v_cmp_lt_i32_e64 s[4:5], v53, v13
	v_cndmask_b32_e64 v6, 0, v6, s[4:5]
	v_cmp_lt_i32_e64 s[4:5], v52, v16
	v_cndmask_b32_e64 v10, 0, v10, s[4:5]
	v_perm_b32 v10, v6, v10, s31
	v_lshrrev_b32_e32 v6, 16, v4
	v_cmp_lt_i32_e64 s[4:5], v51, v13
	v_cndmask_b32_e64 v6, 0, v6, s[4:5]
	v_cmp_lt_i32_e64 s[4:5], v50, v16
	v_cndmask_b32_e64 v4, 0, v4, s[4:5]
	v_lshrrev_b32_e32 v5, 16, v5
	v_cmp_lt_i32_e64 s[4:5], v39, v13
	v_cndmask_b32_e64 v5, 0, v5, s[4:5]
	v_cmp_lt_i32_e64 s[4:5], v38, v16
	v_perm_b32 v4, v6, v4, s31
	v_cndmask_b32_e64 v6, 0, v17, s[4:5]
	v_perm_b32 v5, v5, v6, s31
.LBB317_529:                            ;   in Loop: Header=BB317_379 Depth=1
	s_or_b64 exec, exec, s[22:23]
	;;#ASMSTART
	v_pk_mul_f16 v6, v55, v22;

	;;#ASMEND
	;;#ASMSTART
	v_pk_mul_f16 v10, v40, v10;

	;;#ASMEND
	;; [unrolled: 4-line block ×4, first 2 shown]
	;;#ASMSTART
	v_pk_add_f16 v6, v6, v10;

	;;#ASMEND
	;;#ASMSTART
	v_pk_add_f16 v4, v6, v4;

	;;#ASMEND
	;; [unrolled: 4-line block ×3, first 2 shown]
	v_lshrrev_b32_e32 v5, 16, v4
	v_and_b32_e32 v4, 0xffff, v4
	v_accvgpr_read_b32 v17, a5
	;;#ASMSTART
	v_cvt_f32_f16 v4, v4;
	;;#ASMEND
	;;#ASMSTART
	v_cvt_f32_f16 v5, v5;
	;;#ASMEND
	flat_load_dwordx2 v[30:31], v[18:19] offset:1536
	v_accvgpr_read_b32 v16, a4
	flat_load_dword v12, v[16:17]
	v_mov_b32_e32 v28, 0
	v_mov_b32_e32 v24, 0
	s_waitcnt vmcnt(0) lgkmcnt(0)
	v_cmp_ne_u16_sdwa s[4:5], v30, v11 src0_sel:BYTE_0 src1_sel:DWORD
	s_and_saveexec_b64 s[22:23], s[4:5]
	s_cbranch_execz .LBB317_535
; %bb.530:                              ;   in Loop: Header=BB317_379 Depth=1
	v_cmp_ne_u16_sdwa s[4:5], v30, s7 src0_sel:BYTE_0 src1_sel:DWORD
	v_bfrev_b32_e32 v24, 1
	s_and_saveexec_b64 s[24:25], s[4:5]
	s_cbranch_execz .LBB317_534
; %bb.531:                              ;   in Loop: Header=BB317_379 Depth=1
	v_and_b32_e32 v6, 0x7f, v30
	v_cmp_ne_u32_e64 s[4:5], s15, v6
	v_mov_b32_e32 v24, 0x7fc02000
	s_and_saveexec_b64 s[26:27], s[4:5]
	s_cbranch_execz .LBB317_533
; %bb.532:                              ;   in Loop: Header=BB317_379 Depth=1
	v_and_b32_e32 v10, 7, v30
	v_ffbh_u32_e32 v10, v10
	v_min_u32_e32 v10, 32, v10
	v_subrev_u32_e32 v17, 28, v10
	v_cmp_gt_u32_e64 s[4:5], 8, v6
	v_lshrrev_b32_e32 v16, 3, v6
	v_sub_u32_e32 v10, 29, v10
	v_cndmask_b32_e64 v6, 0, v17, s[4:5]
	v_lshlrev_b64 v[24:25], v6, v[30:31]
	v_cndmask_b32_e64 v6, v16, v10, s[4:5]
	v_lshlrev_b32_e32 v16, 8, v30
	v_lshl_add_u32 v6, v6, 10, v37
	v_lshlrev_b32_e32 v10, 7, v24
	v_and_or_b32 v6, v16, s19, v6
	v_and_or_b32 v6, v10, s28, v6
	v_cvt_f32_f16_e32 v24, v6
.LBB317_533:                            ;   in Loop: Header=BB317_379 Depth=1
	s_or_b64 exec, exec, s[26:27]
.LBB317_534:                            ;   in Loop: Header=BB317_379 Depth=1
	s_or_b64 exec, exec, s[24:25]
.LBB317_535:                            ;   in Loop: Header=BB317_379 Depth=1
	s_or_b64 exec, exec, s[22:23]
	v_lshrrev_b16_e32 v10, 8, v30
	v_cmp_ne_u16_e64 s[4:5], 0, v10
	s_and_saveexec_b64 s[22:23], s[4:5]
	s_cbranch_execz .LBB317_541
; %bb.536:                              ;   in Loop: Header=BB317_379 Depth=1
	v_cmp_ne_u16_e64 s[4:5], s7, v10
	v_bfrev_b32_e32 v28, 1
	s_and_saveexec_b64 s[24:25], s[4:5]
	s_cbranch_execz .LBB317_540
; %bb.537:                              ;   in Loop: Header=BB317_379 Depth=1
	v_and_b32_e32 v6, 0x7f, v10
	v_cmp_ne_u32_e64 s[4:5], s15, v6
	v_mov_b32_e32 v28, 0x7fc02000
	s_and_saveexec_b64 s[26:27], s[4:5]
	s_cbranch_execz .LBB317_539
; %bb.538:                              ;   in Loop: Header=BB317_379 Depth=1
	v_and_b32_e32 v16, 7, v10
	v_ffbh_u32_e32 v22, v16
	v_min_u32_e32 v22, 32, v22
	v_lshrrev_b32_e32 v17, 3, v6
	v_subrev_u32_e32 v25, 28, v22
	v_sub_u32_e32 v22, 29, v22
	v_cmp_gt_u32_e64 s[4:5], 8, v6
	v_lshlrev_b64 v[26:27], v25, v[10:11]
	v_cndmask_b32_e64 v6, v17, v22, s[4:5]
	v_and_b32_e32 v25, 7, v26
	v_lshlrev_b32_e32 v10, 8, v10
	v_lshl_add_u32 v6, v6, 10, v37
	v_cndmask_b32_e64 v16, v16, v25, s[4:5]
	v_and_or_b32 v6, v10, s19, v6
	v_lshl_or_b32 v6, v16, 7, v6
	v_cvt_f32_f16_e32 v28, v6
.LBB317_539:                            ;   in Loop: Header=BB317_379 Depth=1
	s_or_b64 exec, exec, s[26:27]
.LBB317_540:                            ;   in Loop: Header=BB317_379 Depth=1
	s_or_b64 exec, exec, s[24:25]
.LBB317_541:                            ;   in Loop: Header=BB317_379 Depth=1
	s_or_b64 exec, exec, s[22:23]
	v_lshrrev_b32_e32 v10, 16, v30
	v_cmp_ne_u16_sdwa s[4:5], v10, v11 src0_sel:BYTE_0 src1_sel:DWORD
	v_mov_b32_e32 v29, 0
	v_mov_b32_e32 v25, 0
	s_and_saveexec_b64 s[22:23], s[4:5]
	s_cbranch_execz .LBB317_547
; %bb.542:                              ;   in Loop: Header=BB317_379 Depth=1
	v_cmp_ne_u16_sdwa s[4:5], v10, s7 src0_sel:BYTE_0 src1_sel:DWORD
	v_bfrev_b32_e32 v25, 1
	s_and_saveexec_b64 s[24:25], s[4:5]
	s_cbranch_execz .LBB317_546
; %bb.543:                              ;   in Loop: Header=BB317_379 Depth=1
	v_bfe_u32 v6, v30, 16, 7
	v_cmp_ne_u32_e64 s[4:5], s15, v6
	v_mov_b32_e32 v25, 0x7fc02000
	s_and_saveexec_b64 s[26:27], s[4:5]
	s_cbranch_execz .LBB317_545
; %bb.544:                              ;   in Loop: Header=BB317_379 Depth=1
	v_and_b32_e32 v16, 7, v10
	v_ffbh_u32_e32 v22, v16
	v_min_u32_e32 v22, 32, v22
	v_lshrrev_b32_e32 v17, 3, v6
	v_subrev_u32_e32 v25, 28, v22
	v_sub_u32_e32 v22, 29, v22
	v_cmp_gt_u32_e64 s[4:5], 8, v6
	v_lshlrev_b64 v[26:27], v25, v[10:11]
	v_cndmask_b32_e64 v6, v17, v22, s[4:5]
	v_and_b32_e32 v25, 7, v26
	v_lshlrev_b32_e32 v10, 8, v10
	v_lshl_add_u32 v6, v6, 10, v37
	v_cndmask_b32_e64 v16, v16, v25, s[4:5]
	v_and_or_b32 v6, v10, s19, v6
	v_lshl_or_b32 v6, v16, 7, v6
	v_cvt_f32_f16_e32 v25, v6
.LBB317_545:                            ;   in Loop: Header=BB317_379 Depth=1
	s_or_b64 exec, exec, s[26:27]
.LBB317_546:                            ;   in Loop: Header=BB317_379 Depth=1
	s_or_b64 exec, exec, s[24:25]
.LBB317_547:                            ;   in Loop: Header=BB317_379 Depth=1
	s_or_b64 exec, exec, s[22:23]
	v_cmp_lt_u32_e64 s[4:5], s11, v30
	s_and_saveexec_b64 s[22:23], s[4:5]
	s_cbranch_execz .LBB317_553
; %bb.548:                              ;   in Loop: Header=BB317_379 Depth=1
	v_lshrrev_b32_e32 v10, 24, v30
	v_cmp_ne_u32_e64 s[4:5], s7, v10
	v_bfrev_b32_e32 v29, 1
	s_and_saveexec_b64 s[24:25], s[4:5]
	s_cbranch_execz .LBB317_552
; %bb.549:                              ;   in Loop: Header=BB317_379 Depth=1
	v_and_b32_e32 v6, 0x7f, v10
	v_cmp_ne_u32_e64 s[4:5], s15, v6
	v_mov_b32_e32 v29, 0x7fc02000
	s_and_saveexec_b64 s[26:27], s[4:5]
	s_cbranch_execz .LBB317_551
; %bb.550:                              ;   in Loop: Header=BB317_379 Depth=1
	v_and_b32_e32 v16, 7, v10
	v_ffbh_u32_e32 v22, v16
	v_min_u32_e32 v22, 32, v22
	v_lshrrev_b32_e32 v17, 3, v6
	v_subrev_u32_e32 v26, 28, v22
	v_sub_u32_e32 v22, 29, v22
	v_cmp_gt_u32_e64 s[4:5], 8, v6
	v_lshlrev_b64 v[26:27], v26, v[10:11]
	v_cndmask_b32_e64 v6, v17, v22, s[4:5]
	v_and_b32_e32 v26, 7, v26
	v_lshlrev_b32_e32 v10, 8, v10
	v_lshl_add_u32 v6, v6, 10, v37
	v_cndmask_b32_e64 v16, v16, v26, s[4:5]
	v_and_or_b32 v6, v10, s19, v6
	v_lshl_or_b32 v6, v16, 7, v6
	v_cvt_f32_f16_e32 v29, v6
.LBB317_551:                            ;   in Loop: Header=BB317_379 Depth=1
	s_or_b64 exec, exec, s[26:27]
.LBB317_552:                            ;   in Loop: Header=BB317_379 Depth=1
	s_or_b64 exec, exec, s[24:25]
.LBB317_553:                            ;   in Loop: Header=BB317_379 Depth=1
	s_or_b64 exec, exec, s[22:23]
	v_mov_b32_e32 v10, v31
	v_cmp_ne_u16_sdwa s[4:5], v31, v11 src0_sel:BYTE_0 src1_sel:DWORD
	v_mov_b32_e32 v22, 0
	v_mov_b32_e32 v17, 0
	s_and_saveexec_b64 s[22:23], s[4:5]
	s_cbranch_execz .LBB317_559
; %bb.554:                              ;   in Loop: Header=BB317_379 Depth=1
	v_cmp_ne_u16_sdwa s[4:5], v31, s7 src0_sel:BYTE_0 src1_sel:DWORD
	v_bfrev_b32_e32 v17, 1
	s_and_saveexec_b64 s[24:25], s[4:5]
	s_cbranch_execz .LBB317_558
; %bb.555:                              ;   in Loop: Header=BB317_379 Depth=1
	v_and_b32_e32 v6, 0x7f, v31
	v_cmp_ne_u32_e64 s[4:5], s15, v6
	v_mov_b32_e32 v17, 0x7fc02000
	s_and_saveexec_b64 s[26:27], s[4:5]
	s_cbranch_execz .LBB317_557
; %bb.556:                              ;   in Loop: Header=BB317_379 Depth=1
	v_and_b32_e32 v16, 7, v31
	v_ffbh_u32_e32 v16, v16
	v_min_u32_e32 v16, 32, v16
	v_subrev_u32_e32 v26, 28, v16
	v_cmp_gt_u32_e64 s[4:5], 8, v6
	v_lshrrev_b32_e32 v17, 3, v6
	v_sub_u32_e32 v16, 29, v16
	v_cndmask_b32_e64 v6, 0, v26, s[4:5]
	v_lshlrev_b64 v[26:27], v6, v[10:11]
	v_cndmask_b32_e64 v6, v17, v16, s[4:5]
	v_lshlrev_b32_e32 v17, 8, v31
	v_lshl_add_u32 v6, v6, 10, v37
	v_lshlrev_b32_e32 v16, 7, v26
	v_and_or_b32 v6, v17, s19, v6
	v_and_or_b32 v6, v16, s28, v6
	v_cvt_f32_f16_e32 v17, v6
.LBB317_557:                            ;   in Loop: Header=BB317_379 Depth=1
	s_or_b64 exec, exec, s[26:27]
.LBB317_558:                            ;   in Loop: Header=BB317_379 Depth=1
	s_or_b64 exec, exec, s[24:25]
.LBB317_559:                            ;   in Loop: Header=BB317_379 Depth=1
	s_or_b64 exec, exec, s[22:23]
	v_lshrrev_b16_e32 v10, 8, v10
	v_cmp_ne_u16_e64 s[4:5], 0, v10
	s_and_saveexec_b64 s[22:23], s[4:5]
	s_cbranch_execz .LBB317_565
; %bb.560:                              ;   in Loop: Header=BB317_379 Depth=1
	v_cmp_ne_u16_e64 s[4:5], s7, v10
	v_bfrev_b32_e32 v22, 1
	s_and_saveexec_b64 s[24:25], s[4:5]
	s_cbranch_execz .LBB317_564
; %bb.561:                              ;   in Loop: Header=BB317_379 Depth=1
	v_and_b32_e32 v6, 0x7f, v10
	v_cmp_ne_u32_e64 s[4:5], s15, v6
	v_mov_b32_e32 v22, 0x7fc02000
	s_and_saveexec_b64 s[26:27], s[4:5]
	s_cbranch_execz .LBB317_563
; %bb.562:                              ;   in Loop: Header=BB317_379 Depth=1
	v_and_b32_e32 v16, 7, v10
	v_ffbh_u32_e32 v26, v16
	v_min_u32_e32 v34, 32, v26
	v_subrev_u32_e32 v26, 28, v34
	v_lshlrev_b64 v[26:27], v26, v[10:11]
	v_lshrrev_b32_e32 v22, 3, v6
	v_sub_u32_e32 v27, 29, v34
	v_cmp_gt_u32_e64 s[4:5], 8, v6
	v_cndmask_b32_e64 v6, v22, v27, s[4:5]
	v_and_b32_e32 v26, 7, v26
	v_lshlrev_b32_e32 v10, 8, v10
	v_lshl_add_u32 v6, v6, 10, v37
	v_cndmask_b32_e64 v16, v16, v26, s[4:5]
	v_and_or_b32 v6, v10, s19, v6
	v_lshl_or_b32 v6, v16, 7, v6
	v_cvt_f32_f16_e32 v22, v6
.LBB317_563:                            ;   in Loop: Header=BB317_379 Depth=1
	s_or_b64 exec, exec, s[26:27]
.LBB317_564:                            ;   in Loop: Header=BB317_379 Depth=1
	s_or_b64 exec, exec, s[24:25]
.LBB317_565:                            ;   in Loop: Header=BB317_379 Depth=1
	s_or_b64 exec, exec, s[22:23]
	v_lshrrev_b32_e32 v10, 16, v31
	v_cmp_ne_u16_sdwa s[4:5], v10, v11 src0_sel:BYTE_0 src1_sel:DWORD
	v_mov_b32_e32 v6, 0
	v_mov_b32_e32 v26, 0
	s_and_saveexec_b64 s[22:23], s[4:5]
	s_cbranch_execz .LBB317_571
; %bb.566:                              ;   in Loop: Header=BB317_379 Depth=1
	v_cmp_ne_u16_sdwa s[4:5], v10, s7 src0_sel:BYTE_0 src1_sel:DWORD
	v_bfrev_b32_e32 v26, 1
	s_and_saveexec_b64 s[24:25], s[4:5]
	s_cbranch_execz .LBB317_570
; %bb.567:                              ;   in Loop: Header=BB317_379 Depth=1
	v_bfe_u32 v27, v31, 16, 7
	v_cmp_ne_u32_e64 s[4:5], s15, v27
	v_mov_b32_e32 v26, 0x7fc02000
	s_and_saveexec_b64 s[26:27], s[4:5]
	s_cbranch_execz .LBB317_569
; %bb.568:                              ;   in Loop: Header=BB317_379 Depth=1
	v_and_b32_e32 v16, 7, v10
	v_ffbh_u32_e32 v34, v16
	v_min_u32_e32 v34, 32, v34
	v_lshrrev_b32_e32 v26, 3, v27
	v_subrev_u32_e32 v47, 28, v34
	v_sub_u32_e32 v34, 29, v34
	v_cmp_gt_u32_e64 s[4:5], 8, v27
	v_lshlrev_b64 v[56:57], v47, v[10:11]
	v_cndmask_b32_e64 v26, v26, v34, s[4:5]
	v_and_b32_e32 v47, 7, v56
	v_lshlrev_b32_e32 v10, 8, v10
	v_lshl_add_u32 v26, v26, 10, v37
	v_cndmask_b32_e64 v16, v16, v47, s[4:5]
	v_and_or_b32 v10, v10, s19, v26
	v_lshl_or_b32 v10, v16, 7, v10
	v_cvt_f32_f16_e32 v26, v10
.LBB317_569:                            ;   in Loop: Header=BB317_379 Depth=1
	s_or_b64 exec, exec, s[26:27]
.LBB317_570:                            ;   in Loop: Header=BB317_379 Depth=1
	s_or_b64 exec, exec, s[24:25]
.LBB317_571:                            ;   in Loop: Header=BB317_379 Depth=1
	s_or_b64 exec, exec, s[22:23]
	v_cmp_lt_u64_e64 s[4:5], s[10:11], v[30:31]
	s_and_saveexec_b64 s[22:23], s[4:5]
	s_cbranch_execz .LBB317_577
; %bb.572:                              ;   in Loop: Header=BB317_379 Depth=1
	v_lshrrev_b32_e32 v10, 24, v31
	v_cmp_ne_u32_e64 s[4:5], s7, v10
	v_bfrev_b32_e32 v6, 1
	s_and_saveexec_b64 s[24:25], s[4:5]
	s_cbranch_execz .LBB317_576
; %bb.573:                              ;   in Loop: Header=BB317_379 Depth=1
	v_and_b32_e32 v27, 0x7f, v10
	v_cmp_ne_u32_e64 s[4:5], s15, v27
	v_mov_b32_e32 v6, 0x7fc02000
	s_and_saveexec_b64 s[26:27], s[4:5]
	s_cbranch_execz .LBB317_575
; %bb.574:                              ;   in Loop: Header=BB317_379 Depth=1
	v_and_b32_e32 v6, 7, v10
	v_ffbh_u32_e32 v30, v6
	v_min_u32_e32 v34, 32, v30
	v_subrev_u32_e32 v30, 28, v34
	v_lshlrev_b64 v[30:31], v30, v[10:11]
	v_lshrrev_b32_e32 v16, 3, v27
	v_sub_u32_e32 v31, 29, v34
	v_cmp_gt_u32_e64 s[4:5], 8, v27
	v_cndmask_b32_e64 v16, v16, v31, s[4:5]
	v_and_b32_e32 v30, 7, v30
	v_lshlrev_b32_e32 v10, 8, v10
	v_lshl_add_u32 v16, v16, 10, v37
	v_cndmask_b32_e64 v6, v6, v30, s[4:5]
	v_and_or_b32 v10, v10, s19, v16
	v_lshl_or_b32 v6, v6, 7, v10
	v_cvt_f32_f16_e32 v6, v6
.LBB317_575:                            ;   in Loop: Header=BB317_379 Depth=1
	s_or_b64 exec, exec, s[26:27]
.LBB317_576:                            ;   in Loop: Header=BB317_379 Depth=1
	s_or_b64 exec, exec, s[24:25]
.LBB317_577:                            ;   in Loop: Header=BB317_379 Depth=1
	s_or_b64 exec, exec, s[22:23]
	v_pk_mul_f32 v[28:29], v[12:13], v[28:29] op_sel_hi:[0,1]
	v_pk_mul_f32 v[24:25], v[12:13], v[24:25] op_sel_hi:[0,1]
	v_cvt_f16_f32_e32 v10, v29
	v_cvt_f16_f32_e32 v16, v28
	;; [unrolled: 1-line block ×4, first 2 shown]
	v_fma_mixlo_f16 v6, v12, v6, 0
	v_pack_b32_f16 v16, v16, v10
	v_fma_mixlo_f16 v17, v12, v17, 0
	v_pack_b32_f16 v24, v24, v25
	v_perm_b32 v10, v24, v16, s29
	v_perm_b32 v24, v24, v16, s30
	v_fma_mixlo_f16 v16, v12, v22, 0
	v_lshlrev_b32_e32 v16, 16, v16
	v_fma_mixlo_f16 v22, v12, v26, 0
	v_lshlrev_b32_e32 v6, 16, v6
	v_or_b32_sdwa v17, v16, v17 dst_sel:DWORD dst_unused:UNUSED_PAD src0_sel:DWORD src1_sel:WORD_0
	v_or_b32_sdwa v6, v6, v22 dst_sel:DWORD dst_unused:UNUSED_PAD src0_sel:DWORD src1_sel:WORD_0
	s_and_saveexec_b64 s[22:23], vcc
	s_cbranch_execz .LBB317_579
; %bb.578:                              ;   in Loop: Header=BB317_379 Depth=1
	v_lshrrev_b32_e32 v12, 16, v24
	v_cmp_lt_i32_e64 s[4:5], v54, v13
	v_accvgpr_read_b32 v26, a8
	v_cndmask_b32_e64 v12, 0, v12, s[4:5]
	v_cmp_lt_i32_e64 s[4:5], v7, v26
	v_cndmask_b32_e64 v16, 0, v24, s[4:5]
	v_perm_b32 v24, v12, v16, s31
	v_lshrrev_b32_e32 v12, 16, v10
	v_cmp_lt_i32_e64 s[4:5], v53, v13
	v_cndmask_b32_e64 v12, 0, v12, s[4:5]
	v_cmp_lt_i32_e64 s[4:5], v52, v26
	v_cndmask_b32_e64 v10, 0, v10, s[4:5]
	v_perm_b32 v10, v12, v10, s31
	v_lshrrev_b32_e32 v12, 16, v17
	v_cmp_lt_i32_e64 s[4:5], v51, v13
	v_cndmask_b32_e64 v12, 0, v12, s[4:5]
	v_cmp_lt_i32_e64 s[4:5], v50, v26
	v_cndmask_b32_e64 v16, 0, v17, s[4:5]
	v_lshrrev_b32_e32 v6, 16, v6
	v_cmp_lt_i32_e64 s[4:5], v39, v13
	v_cndmask_b32_e64 v6, 0, v6, s[4:5]
	v_cmp_lt_i32_e64 s[4:5], v38, v26
	v_perm_b32 v17, v12, v16, s31
	v_cndmask_b32_e64 v12, 0, v22, s[4:5]
	v_perm_b32 v6, v6, v12, s31
.LBB317_579:                            ;   in Loop: Header=BB317_379 Depth=1
	s_or_b64 exec, exec, s[22:23]
	;;#ASMSTART
	v_pk_mul_f16 v12, v55, v24;

	;;#ASMEND
	;;#ASMSTART
	v_pk_mul_f16 v10, v40, v10;

	;;#ASMEND
	;; [unrolled: 4-line block ×4, first 2 shown]
	;;#ASMSTART
	v_pk_add_f16 v10, v12, v10;

	;;#ASMEND
	;;#ASMSTART
	v_pk_add_f16 v10, v10, v16;

	;;#ASMEND
	;; [unrolled: 4-line block ×3, first 2 shown]
	v_accvgpr_read_b32 v25, a5
	v_lshrrev_b32_e32 v10, 16, v6
	v_and_b32_e32 v6, 0xffff, v6
	;;#ASMSTART
	v_cvt_f32_f16 v17, v6;
	;;#ASMEND
	;;#ASMSTART
	v_cvt_f32_f16 v47, v10;
	;;#ASMEND
	flat_load_dwordx2 v[30:31], v[18:19] offset:2048
	v_accvgpr_read_b32 v24, a4
	flat_load_dword v12, v[24:25]
	v_mov_b32_e32 v28, 0
	v_mov_b32_e32 v24, 0
	s_waitcnt vmcnt(0) lgkmcnt(0)
	v_cmp_ne_u16_sdwa s[4:5], v30, v11 src0_sel:BYTE_0 src1_sel:DWORD
	s_and_saveexec_b64 s[22:23], s[4:5]
	s_cbranch_execz .LBB317_585
; %bb.580:                              ;   in Loop: Header=BB317_379 Depth=1
	v_cmp_ne_u16_sdwa s[4:5], v30, s7 src0_sel:BYTE_0 src1_sel:DWORD
	v_bfrev_b32_e32 v24, 1
	s_and_saveexec_b64 s[24:25], s[4:5]
	s_cbranch_execz .LBB317_584
; %bb.581:                              ;   in Loop: Header=BB317_379 Depth=1
	v_and_b32_e32 v6, 0x7f, v30
	v_cmp_ne_u32_e64 s[4:5], s15, v6
	v_mov_b32_e32 v24, 0x7fc02000
	s_and_saveexec_b64 s[26:27], s[4:5]
	s_cbranch_execz .LBB317_583
; %bb.582:                              ;   in Loop: Header=BB317_379 Depth=1
	v_and_b32_e32 v10, 7, v30
	v_ffbh_u32_e32 v10, v10
	v_min_u32_e32 v10, 32, v10
	v_subrev_u32_e32 v22, 28, v10
	v_cmp_gt_u32_e64 s[4:5], 8, v6
	v_lshrrev_b32_e32 v16, 3, v6
	v_sub_u32_e32 v10, 29, v10
	v_cndmask_b32_e64 v6, 0, v22, s[4:5]
	v_lshlrev_b64 v[24:25], v6, v[30:31]
	v_cndmask_b32_e64 v6, v16, v10, s[4:5]
	v_lshlrev_b32_e32 v16, 8, v30
	v_lshl_add_u32 v6, v6, 10, v37
	v_lshlrev_b32_e32 v10, 7, v24
	v_and_or_b32 v6, v16, s19, v6
	v_and_or_b32 v6, v10, s28, v6
	v_cvt_f32_f16_e32 v24, v6
.LBB317_583:                            ;   in Loop: Header=BB317_379 Depth=1
	s_or_b64 exec, exec, s[26:27]
.LBB317_584:                            ;   in Loop: Header=BB317_379 Depth=1
	s_or_b64 exec, exec, s[24:25]
.LBB317_585:                            ;   in Loop: Header=BB317_379 Depth=1
	s_or_b64 exec, exec, s[22:23]
	v_lshrrev_b16_e32 v10, 8, v30
	v_cmp_ne_u16_e64 s[4:5], 0, v10
	s_and_saveexec_b64 s[22:23], s[4:5]
	s_cbranch_execz .LBB317_591
; %bb.586:                              ;   in Loop: Header=BB317_379 Depth=1
	v_cmp_ne_u16_e64 s[4:5], s7, v10
	v_bfrev_b32_e32 v28, 1
	s_and_saveexec_b64 s[24:25], s[4:5]
	s_cbranch_execz .LBB317_590
; %bb.587:                              ;   in Loop: Header=BB317_379 Depth=1
	v_and_b32_e32 v6, 0x7f, v10
	v_cmp_ne_u32_e64 s[4:5], s15, v6
	v_mov_b32_e32 v28, 0x7fc02000
	s_and_saveexec_b64 s[26:27], s[4:5]
	s_cbranch_execz .LBB317_589
; %bb.588:                              ;   in Loop: Header=BB317_379 Depth=1
	v_and_b32_e32 v16, 7, v10
	v_ffbh_u32_e32 v25, v16
	v_min_u32_e32 v25, 32, v25
	v_lshrrev_b32_e32 v22, 3, v6
	v_subrev_u32_e32 v26, 28, v25
	v_sub_u32_e32 v25, 29, v25
	v_cmp_gt_u32_e64 s[4:5], 8, v6
	v_lshlrev_b64 v[26:27], v26, v[10:11]
	v_cndmask_b32_e64 v6, v22, v25, s[4:5]
	v_and_b32_e32 v26, 7, v26
	v_lshlrev_b32_e32 v10, 8, v10
	v_lshl_add_u32 v6, v6, 10, v37
	v_cndmask_b32_e64 v16, v16, v26, s[4:5]
	v_and_or_b32 v6, v10, s19, v6
	v_lshl_or_b32 v6, v16, 7, v6
	v_cvt_f32_f16_e32 v28, v6
.LBB317_589:                            ;   in Loop: Header=BB317_379 Depth=1
	s_or_b64 exec, exec, s[26:27]
.LBB317_590:                            ;   in Loop: Header=BB317_379 Depth=1
	s_or_b64 exec, exec, s[24:25]
.LBB317_591:                            ;   in Loop: Header=BB317_379 Depth=1
	s_or_b64 exec, exec, s[22:23]
	v_lshrrev_b32_e32 v10, 16, v30
	v_cmp_ne_u16_sdwa s[4:5], v10, v11 src0_sel:BYTE_0 src1_sel:DWORD
	v_mov_b32_e32 v29, 0
	v_mov_b32_e32 v25, 0
	s_and_saveexec_b64 s[22:23], s[4:5]
	s_cbranch_execz .LBB317_597
; %bb.592:                              ;   in Loop: Header=BB317_379 Depth=1
	v_cmp_ne_u16_sdwa s[4:5], v10, s7 src0_sel:BYTE_0 src1_sel:DWORD
	v_bfrev_b32_e32 v25, 1
	s_and_saveexec_b64 s[24:25], s[4:5]
	s_cbranch_execz .LBB317_596
; %bb.593:                              ;   in Loop: Header=BB317_379 Depth=1
	v_bfe_u32 v6, v30, 16, 7
	v_cmp_ne_u32_e64 s[4:5], s15, v6
	v_mov_b32_e32 v25, 0x7fc02000
	s_and_saveexec_b64 s[26:27], s[4:5]
	s_cbranch_execz .LBB317_595
; %bb.594:                              ;   in Loop: Header=BB317_379 Depth=1
	v_and_b32_e32 v16, 7, v10
	v_ffbh_u32_e32 v25, v16
	v_min_u32_e32 v25, 32, v25
	v_lshrrev_b32_e32 v22, 3, v6
	v_subrev_u32_e32 v26, 28, v25
	v_sub_u32_e32 v25, 29, v25
	v_cmp_gt_u32_e64 s[4:5], 8, v6
	v_lshlrev_b64 v[26:27], v26, v[10:11]
	v_cndmask_b32_e64 v6, v22, v25, s[4:5]
	v_and_b32_e32 v26, 7, v26
	v_lshlrev_b32_e32 v10, 8, v10
	v_lshl_add_u32 v6, v6, 10, v37
	v_cndmask_b32_e64 v16, v16, v26, s[4:5]
	v_and_or_b32 v6, v10, s19, v6
	v_lshl_or_b32 v6, v16, 7, v6
	v_cvt_f32_f16_e32 v25, v6
.LBB317_595:                            ;   in Loop: Header=BB317_379 Depth=1
	s_or_b64 exec, exec, s[26:27]
.LBB317_596:                            ;   in Loop: Header=BB317_379 Depth=1
	s_or_b64 exec, exec, s[24:25]
.LBB317_597:                            ;   in Loop: Header=BB317_379 Depth=1
	s_or_b64 exec, exec, s[22:23]
	v_cmp_lt_u32_e64 s[4:5], s11, v30
	s_and_saveexec_b64 s[22:23], s[4:5]
	s_cbranch_execz .LBB317_603
; %bb.598:                              ;   in Loop: Header=BB317_379 Depth=1
	v_lshrrev_b32_e32 v10, 24, v30
	v_cmp_ne_u32_e64 s[4:5], s7, v10
	v_bfrev_b32_e32 v29, 1
	s_and_saveexec_b64 s[24:25], s[4:5]
	s_cbranch_execz .LBB317_602
; %bb.599:                              ;   in Loop: Header=BB317_379 Depth=1
	v_and_b32_e32 v6, 0x7f, v10
	v_cmp_ne_u32_e64 s[4:5], s15, v6
	v_mov_b32_e32 v29, 0x7fc02000
	s_and_saveexec_b64 s[26:27], s[4:5]
	s_cbranch_execz .LBB317_601
; %bb.600:                              ;   in Loop: Header=BB317_379 Depth=1
	v_and_b32_e32 v16, 7, v10
	v_ffbh_u32_e32 v26, v16
	v_min_u32_e32 v29, 32, v26
	v_subrev_u32_e32 v26, 28, v29
	v_lshlrev_b64 v[26:27], v26, v[10:11]
	v_lshrrev_b32_e32 v22, 3, v6
	v_sub_u32_e32 v27, 29, v29
	v_cmp_gt_u32_e64 s[4:5], 8, v6
	v_cndmask_b32_e64 v6, v22, v27, s[4:5]
	v_and_b32_e32 v26, 7, v26
	v_lshlrev_b32_e32 v10, 8, v10
	v_lshl_add_u32 v6, v6, 10, v37
	v_cndmask_b32_e64 v16, v16, v26, s[4:5]
	v_and_or_b32 v6, v10, s19, v6
	v_lshl_or_b32 v6, v16, 7, v6
	v_cvt_f32_f16_e32 v29, v6
.LBB317_601:                            ;   in Loop: Header=BB317_379 Depth=1
	s_or_b64 exec, exec, s[26:27]
.LBB317_602:                            ;   in Loop: Header=BB317_379 Depth=1
	s_or_b64 exec, exec, s[24:25]
.LBB317_603:                            ;   in Loop: Header=BB317_379 Depth=1
	s_or_b64 exec, exec, s[22:23]
	v_mov_b32_e32 v10, v31
	v_cmp_ne_u16_sdwa s[4:5], v31, v11 src0_sel:BYTE_0 src1_sel:DWORD
	v_mov_b32_e32 v26, 0
	v_mov_b32_e32 v22, 0
	s_and_saveexec_b64 s[22:23], s[4:5]
	s_cbranch_execz .LBB317_609
; %bb.604:                              ;   in Loop: Header=BB317_379 Depth=1
	v_cmp_ne_u16_sdwa s[4:5], v31, s7 src0_sel:BYTE_0 src1_sel:DWORD
	v_bfrev_b32_e32 v22, 1
	s_and_saveexec_b64 s[24:25], s[4:5]
	s_cbranch_execz .LBB317_608
; %bb.605:                              ;   in Loop: Header=BB317_379 Depth=1
	v_and_b32_e32 v6, 0x7f, v31
	v_cmp_ne_u32_e64 s[4:5], s15, v6
	v_mov_b32_e32 v22, 0x7fc02000
	s_and_saveexec_b64 s[26:27], s[4:5]
	s_cbranch_execz .LBB317_607
; %bb.606:                              ;   in Loop: Header=BB317_379 Depth=1
	v_and_b32_e32 v16, 7, v31
	v_ffbh_u32_e32 v16, v16
	v_min_u32_e32 v16, 32, v16
	v_subrev_u32_e32 v27, 28, v16
	v_cmp_gt_u32_e64 s[4:5], 8, v6
	v_lshrrev_b32_e32 v22, 3, v6
	v_sub_u32_e32 v16, 29, v16
	v_cndmask_b32_e64 v6, 0, v27, s[4:5]
	v_lshlrev_b64 v[56:57], v6, v[10:11]
	v_cndmask_b32_e64 v6, v22, v16, s[4:5]
	v_lshlrev_b32_e32 v22, 8, v31
	v_lshl_add_u32 v6, v6, 10, v37
	v_lshlrev_b32_e32 v16, 7, v56
	v_and_or_b32 v6, v22, s19, v6
	v_and_or_b32 v6, v16, s28, v6
	v_cvt_f32_f16_e32 v22, v6
.LBB317_607:                            ;   in Loop: Header=BB317_379 Depth=1
	s_or_b64 exec, exec, s[26:27]
.LBB317_608:                            ;   in Loop: Header=BB317_379 Depth=1
	s_or_b64 exec, exec, s[24:25]
.LBB317_609:                            ;   in Loop: Header=BB317_379 Depth=1
	s_or_b64 exec, exec, s[22:23]
	v_lshrrev_b16_e32 v10, 8, v10
	v_cmp_ne_u16_e64 s[4:5], 0, v10
	s_and_saveexec_b64 s[22:23], s[4:5]
	s_cbranch_execz .LBB317_615
; %bb.610:                              ;   in Loop: Header=BB317_379 Depth=1
	v_cmp_ne_u16_e64 s[4:5], s7, v10
	v_bfrev_b32_e32 v26, 1
	s_and_saveexec_b64 s[24:25], s[4:5]
	s_cbranch_execz .LBB317_614
; %bb.611:                              ;   in Loop: Header=BB317_379 Depth=1
	v_and_b32_e32 v6, 0x7f, v10
	v_cmp_ne_u32_e64 s[4:5], s15, v6
	v_mov_b32_e32 v26, 0x7fc02000
	s_and_saveexec_b64 s[26:27], s[4:5]
	s_cbranch_execz .LBB317_613
; %bb.612:                              ;   in Loop: Header=BB317_379 Depth=1
	v_and_b32_e32 v16, 7, v10
	v_ffbh_u32_e32 v26, v16
	v_min_u32_e32 v56, 32, v26
	v_subrev_u32_e32 v26, 28, v56
	v_lshlrev_b64 v[26:27], v26, v[10:11]
	v_lshrrev_b32_e32 v34, 3, v6
	v_sub_u32_e32 v27, 29, v56
	v_cmp_gt_u32_e64 s[4:5], 8, v6
	v_cndmask_b32_e64 v6, v34, v27, s[4:5]
	v_and_b32_e32 v26, 7, v26
	v_lshlrev_b32_e32 v10, 8, v10
	v_lshl_add_u32 v6, v6, 10, v37
	v_cndmask_b32_e64 v16, v16, v26, s[4:5]
	v_and_or_b32 v6, v10, s19, v6
	v_lshl_or_b32 v6, v16, 7, v6
	v_cvt_f32_f16_e32 v26, v6
.LBB317_613:                            ;   in Loop: Header=BB317_379 Depth=1
	s_or_b64 exec, exec, s[26:27]
.LBB317_614:                            ;   in Loop: Header=BB317_379 Depth=1
	s_or_b64 exec, exec, s[24:25]
.LBB317_615:                            ;   in Loop: Header=BB317_379 Depth=1
	s_or_b64 exec, exec, s[22:23]
	v_lshrrev_b32_e32 v10, 16, v31
	v_cmp_ne_u16_sdwa s[4:5], v10, v11 src0_sel:BYTE_0 src1_sel:DWORD
	v_mov_b32_e32 v6, 0
	v_mov_b32_e32 v27, 0
	s_and_saveexec_b64 s[22:23], s[4:5]
	s_cbranch_execz .LBB317_621
; %bb.616:                              ;   in Loop: Header=BB317_379 Depth=1
	v_cmp_ne_u16_sdwa s[4:5], v10, s7 src0_sel:BYTE_0 src1_sel:DWORD
	v_bfrev_b32_e32 v27, 1
	s_and_saveexec_b64 s[24:25], s[4:5]
	s_cbranch_execz .LBB317_620
; %bb.617:                              ;   in Loop: Header=BB317_379 Depth=1
	v_bfe_u32 v34, v31, 16, 7
	v_cmp_ne_u32_e64 s[4:5], s15, v34
	v_mov_b32_e32 v27, 0x7fc02000
	s_and_saveexec_b64 s[26:27], s[4:5]
	s_cbranch_execz .LBB317_619
; %bb.618:                              ;   in Loop: Header=BB317_379 Depth=1
	v_and_b32_e32 v16, 7, v10
	v_ffbh_u32_e32 v56, v16
	v_min_u32_e32 v58, 32, v56
	v_subrev_u32_e32 v56, 28, v58
	v_lshlrev_b64 v[56:57], v56, v[10:11]
	v_lshrrev_b32_e32 v27, 3, v34
	v_sub_u32_e32 v57, 29, v58
	v_cmp_gt_u32_e64 s[4:5], 8, v34
	v_cndmask_b32_e64 v27, v27, v57, s[4:5]
	v_and_b32_e32 v56, 7, v56
	v_lshlrev_b32_e32 v10, 8, v10
	v_lshl_add_u32 v27, v27, 10, v37
	v_cndmask_b32_e64 v16, v16, v56, s[4:5]
	v_and_or_b32 v10, v10, s19, v27
	v_lshl_or_b32 v10, v16, 7, v10
	v_cvt_f32_f16_e32 v27, v10
.LBB317_619:                            ;   in Loop: Header=BB317_379 Depth=1
	s_or_b64 exec, exec, s[26:27]
.LBB317_620:                            ;   in Loop: Header=BB317_379 Depth=1
	s_or_b64 exec, exec, s[24:25]
.LBB317_621:                            ;   in Loop: Header=BB317_379 Depth=1
	s_or_b64 exec, exec, s[22:23]
	v_cmp_lt_u64_e64 s[4:5], s[10:11], v[30:31]
	s_and_saveexec_b64 s[22:23], s[4:5]
	s_cbranch_execz .LBB317_627
; %bb.622:                              ;   in Loop: Header=BB317_379 Depth=1
	v_lshrrev_b32_e32 v10, 24, v31
	v_cmp_ne_u32_e64 s[4:5], s7, v10
	v_bfrev_b32_e32 v6, 1
	s_and_saveexec_b64 s[24:25], s[4:5]
	s_cbranch_execz .LBB317_626
; %bb.623:                              ;   in Loop: Header=BB317_379 Depth=1
	v_and_b32_e32 v30, 0x7f, v10
	v_cmp_ne_u32_e64 s[4:5], s15, v30
	v_mov_b32_e32 v6, 0x7fc02000
	s_and_saveexec_b64 s[26:27], s[4:5]
	s_cbranch_execz .LBB317_625
; %bb.624:                              ;   in Loop: Header=BB317_379 Depth=1
	v_and_b32_e32 v6, 7, v10
	v_ffbh_u32_e32 v31, v6
	v_min_u32_e32 v31, 32, v31
	v_lshrrev_b32_e32 v16, 3, v30
	v_subrev_u32_e32 v34, 28, v31
	v_sub_u32_e32 v31, 29, v31
	v_cmp_gt_u32_e64 s[4:5], 8, v30
	v_lshlrev_b64 v[56:57], v34, v[10:11]
	v_cndmask_b32_e64 v16, v16, v31, s[4:5]
	v_and_b32_e32 v34, 7, v56
	v_lshlrev_b32_e32 v10, 8, v10
	v_lshl_add_u32 v16, v16, 10, v37
	v_cndmask_b32_e64 v6, v6, v34, s[4:5]
	v_and_or_b32 v10, v10, s19, v16
	v_lshl_or_b32 v6, v6, 7, v10
	v_cvt_f32_f16_e32 v6, v6
.LBB317_625:                            ;   in Loop: Header=BB317_379 Depth=1
	s_or_b64 exec, exec, s[26:27]
.LBB317_626:                            ;   in Loop: Header=BB317_379 Depth=1
	s_or_b64 exec, exec, s[24:25]
.LBB317_627:                            ;   in Loop: Header=BB317_379 Depth=1
	s_or_b64 exec, exec, s[22:23]
	v_pk_mul_f32 v[28:29], v[12:13], v[28:29] op_sel_hi:[0,1]
	v_pk_mul_f32 v[24:25], v[12:13], v[24:25] op_sel_hi:[0,1]
	v_cvt_f16_f32_e32 v10, v29
	v_cvt_f16_f32_e32 v16, v28
	;; [unrolled: 1-line block ×4, first 2 shown]
	v_fma_mixlo_f16 v6, v12, v6, 0
	v_pack_b32_f16 v16, v16, v10
	v_fma_mixlo_f16 v22, v12, v22, 0
	v_pack_b32_f16 v24, v24, v25
	v_perm_b32 v10, v24, v16, s29
	v_perm_b32 v24, v24, v16, s30
	v_fma_mixlo_f16 v16, v12, v26, 0
	v_lshlrev_b32_e32 v16, 16, v16
	v_fma_mixlo_f16 v25, v12, v27, 0
	v_lshlrev_b32_e32 v6, 16, v6
	v_or_b32_sdwa v22, v16, v22 dst_sel:DWORD dst_unused:UNUSED_PAD src0_sel:DWORD src1_sel:WORD_0
	v_or_b32_sdwa v6, v6, v25 dst_sel:DWORD dst_unused:UNUSED_PAD src0_sel:DWORD src1_sel:WORD_0
	s_and_saveexec_b64 s[22:23], vcc
	s_cbranch_execz .LBB317_629
; %bb.628:                              ;   in Loop: Header=BB317_379 Depth=1
	v_lshrrev_b32_e32 v12, 16, v24
	v_cmp_lt_i32_e64 s[4:5], v54, v13
	v_accvgpr_read_b32 v26, a8
	v_cndmask_b32_e64 v12, 0, v12, s[4:5]
	v_cmp_lt_i32_e64 s[4:5], v7, v26
	v_cndmask_b32_e64 v16, 0, v24, s[4:5]
	v_perm_b32 v24, v12, v16, s31
	v_lshrrev_b32_e32 v12, 16, v10
	v_cmp_lt_i32_e64 s[4:5], v53, v13
	v_cndmask_b32_e64 v12, 0, v12, s[4:5]
	v_cmp_lt_i32_e64 s[4:5], v52, v26
	v_cndmask_b32_e64 v10, 0, v10, s[4:5]
	v_perm_b32 v10, v12, v10, s31
	v_lshrrev_b32_e32 v12, 16, v22
	v_cmp_lt_i32_e64 s[4:5], v51, v13
	v_cndmask_b32_e64 v12, 0, v12, s[4:5]
	v_cmp_lt_i32_e64 s[4:5], v50, v26
	v_cndmask_b32_e64 v16, 0, v22, s[4:5]
	v_lshrrev_b32_e32 v6, 16, v6
	v_cmp_lt_i32_e64 s[4:5], v39, v13
	v_cndmask_b32_e64 v6, 0, v6, s[4:5]
	v_cmp_lt_i32_e64 s[4:5], v38, v26
	v_perm_b32 v22, v12, v16, s31
	v_cndmask_b32_e64 v12, 0, v25, s[4:5]
	v_perm_b32 v6, v6, v12, s31
.LBB317_629:                            ;   in Loop: Header=BB317_379 Depth=1
	s_or_b64 exec, exec, s[22:23]
	;;#ASMSTART
	v_pk_mul_f16 v12, v55, v24;

	;;#ASMEND
	;;#ASMSTART
	v_pk_mul_f16 v10, v40, v10;

	;;#ASMEND
	;; [unrolled: 4-line block ×4, first 2 shown]
	;;#ASMSTART
	v_pk_add_f16 v10, v12, v10;

	;;#ASMEND
	;;#ASMSTART
	v_pk_add_f16 v10, v10, v16;

	;;#ASMEND
	;; [unrolled: 4-line block ×3, first 2 shown]
	v_accvgpr_read_b32 v25, a5
	v_lshrrev_b32_e32 v10, 16, v6
	v_and_b32_e32 v6, 0xffff, v6
	;;#ASMSTART
	v_cvt_f32_f16 v34, v6;
	;;#ASMEND
	;;#ASMSTART
	v_cvt_f32_f16 v56, v10;
	;;#ASMEND
	flat_load_dwordx2 v[30:31], v[18:19] offset:2560
	v_accvgpr_read_b32 v24, a4
	flat_load_dword v12, v[24:25]
	v_mov_b32_e32 v28, 0
	v_mov_b32_e32 v24, 0
	s_waitcnt vmcnt(0) lgkmcnt(0)
	v_cmp_ne_u16_sdwa s[4:5], v30, v11 src0_sel:BYTE_0 src1_sel:DWORD
	s_and_saveexec_b64 s[22:23], s[4:5]
	s_cbranch_execz .LBB317_635
; %bb.630:                              ;   in Loop: Header=BB317_379 Depth=1
	v_cmp_ne_u16_sdwa s[4:5], v30, s7 src0_sel:BYTE_0 src1_sel:DWORD
	v_bfrev_b32_e32 v24, 1
	s_and_saveexec_b64 s[24:25], s[4:5]
	s_cbranch_execz .LBB317_634
; %bb.631:                              ;   in Loop: Header=BB317_379 Depth=1
	v_and_b32_e32 v6, 0x7f, v30
	v_cmp_ne_u32_e64 s[4:5], s15, v6
	v_mov_b32_e32 v24, 0x7fc02000
	s_and_saveexec_b64 s[26:27], s[4:5]
	s_cbranch_execz .LBB317_633
; %bb.632:                              ;   in Loop: Header=BB317_379 Depth=1
	v_and_b32_e32 v10, 7, v30
	v_ffbh_u32_e32 v10, v10
	v_min_u32_e32 v10, 32, v10
	v_subrev_u32_e32 v22, 28, v10
	v_cmp_gt_u32_e64 s[4:5], 8, v6
	v_lshrrev_b32_e32 v16, 3, v6
	v_sub_u32_e32 v10, 29, v10
	v_cndmask_b32_e64 v6, 0, v22, s[4:5]
	v_lshlrev_b64 v[24:25], v6, v[30:31]
	v_cndmask_b32_e64 v6, v16, v10, s[4:5]
	v_lshlrev_b32_e32 v16, 8, v30
	v_lshl_add_u32 v6, v6, 10, v37
	v_lshlrev_b32_e32 v10, 7, v24
	v_and_or_b32 v6, v16, s19, v6
	v_and_or_b32 v6, v10, s28, v6
	v_cvt_f32_f16_e32 v24, v6
.LBB317_633:                            ;   in Loop: Header=BB317_379 Depth=1
	s_or_b64 exec, exec, s[26:27]
.LBB317_634:                            ;   in Loop: Header=BB317_379 Depth=1
	s_or_b64 exec, exec, s[24:25]
.LBB317_635:                            ;   in Loop: Header=BB317_379 Depth=1
	s_or_b64 exec, exec, s[22:23]
	v_lshrrev_b16_e32 v10, 8, v30
	v_cmp_ne_u16_e64 s[4:5], 0, v10
	s_and_saveexec_b64 s[22:23], s[4:5]
	s_cbranch_execz .LBB317_641
; %bb.636:                              ;   in Loop: Header=BB317_379 Depth=1
	v_cmp_ne_u16_e64 s[4:5], s7, v10
	v_bfrev_b32_e32 v28, 1
	s_and_saveexec_b64 s[24:25], s[4:5]
	s_cbranch_execz .LBB317_640
; %bb.637:                              ;   in Loop: Header=BB317_379 Depth=1
	v_and_b32_e32 v6, 0x7f, v10
	v_cmp_ne_u32_e64 s[4:5], s15, v6
	v_mov_b32_e32 v28, 0x7fc02000
	s_and_saveexec_b64 s[26:27], s[4:5]
	s_cbranch_execz .LBB317_639
; %bb.638:                              ;   in Loop: Header=BB317_379 Depth=1
	v_and_b32_e32 v16, 7, v10
	v_ffbh_u32_e32 v25, v16
	v_min_u32_e32 v25, 32, v25
	v_lshrrev_b32_e32 v22, 3, v6
	v_subrev_u32_e32 v26, 28, v25
	v_sub_u32_e32 v25, 29, v25
	v_cmp_gt_u32_e64 s[4:5], 8, v6
	v_lshlrev_b64 v[26:27], v26, v[10:11]
	v_cndmask_b32_e64 v6, v22, v25, s[4:5]
	v_and_b32_e32 v26, 7, v26
	v_lshlrev_b32_e32 v10, 8, v10
	v_lshl_add_u32 v6, v6, 10, v37
	v_cndmask_b32_e64 v16, v16, v26, s[4:5]
	v_and_or_b32 v6, v10, s19, v6
	v_lshl_or_b32 v6, v16, 7, v6
	v_cvt_f32_f16_e32 v28, v6
.LBB317_639:                            ;   in Loop: Header=BB317_379 Depth=1
	s_or_b64 exec, exec, s[26:27]
.LBB317_640:                            ;   in Loop: Header=BB317_379 Depth=1
	s_or_b64 exec, exec, s[24:25]
.LBB317_641:                            ;   in Loop: Header=BB317_379 Depth=1
	s_or_b64 exec, exec, s[22:23]
	v_lshrrev_b32_e32 v10, 16, v30
	v_cmp_ne_u16_sdwa s[4:5], v10, v11 src0_sel:BYTE_0 src1_sel:DWORD
	v_mov_b32_e32 v29, 0
	v_mov_b32_e32 v25, 0
	s_and_saveexec_b64 s[22:23], s[4:5]
	s_cbranch_execz .LBB317_647
; %bb.642:                              ;   in Loop: Header=BB317_379 Depth=1
	v_cmp_ne_u16_sdwa s[4:5], v10, s7 src0_sel:BYTE_0 src1_sel:DWORD
	v_bfrev_b32_e32 v25, 1
	s_and_saveexec_b64 s[24:25], s[4:5]
	s_cbranch_execz .LBB317_646
; %bb.643:                              ;   in Loop: Header=BB317_379 Depth=1
	v_bfe_u32 v6, v30, 16, 7
	v_cmp_ne_u32_e64 s[4:5], s15, v6
	v_mov_b32_e32 v25, 0x7fc02000
	s_and_saveexec_b64 s[26:27], s[4:5]
	s_cbranch_execz .LBB317_645
; %bb.644:                              ;   in Loop: Header=BB317_379 Depth=1
	v_and_b32_e32 v16, 7, v10
	v_ffbh_u32_e32 v25, v16
	v_min_u32_e32 v25, 32, v25
	v_lshrrev_b32_e32 v22, 3, v6
	v_subrev_u32_e32 v26, 28, v25
	v_sub_u32_e32 v25, 29, v25
	v_cmp_gt_u32_e64 s[4:5], 8, v6
	v_lshlrev_b64 v[26:27], v26, v[10:11]
	v_cndmask_b32_e64 v6, v22, v25, s[4:5]
	v_and_b32_e32 v26, 7, v26
	v_lshlrev_b32_e32 v10, 8, v10
	v_lshl_add_u32 v6, v6, 10, v37
	v_cndmask_b32_e64 v16, v16, v26, s[4:5]
	v_and_or_b32 v6, v10, s19, v6
	v_lshl_or_b32 v6, v16, 7, v6
	v_cvt_f32_f16_e32 v25, v6
.LBB317_645:                            ;   in Loop: Header=BB317_379 Depth=1
	s_or_b64 exec, exec, s[26:27]
.LBB317_646:                            ;   in Loop: Header=BB317_379 Depth=1
	s_or_b64 exec, exec, s[24:25]
.LBB317_647:                            ;   in Loop: Header=BB317_379 Depth=1
	s_or_b64 exec, exec, s[22:23]
	v_cmp_lt_u32_e64 s[4:5], s11, v30
	s_and_saveexec_b64 s[22:23], s[4:5]
	s_cbranch_execz .LBB317_653
; %bb.648:                              ;   in Loop: Header=BB317_379 Depth=1
	v_lshrrev_b32_e32 v10, 24, v30
	v_cmp_ne_u32_e64 s[4:5], s7, v10
	v_bfrev_b32_e32 v29, 1
	s_and_saveexec_b64 s[24:25], s[4:5]
	s_cbranch_execz .LBB317_652
; %bb.649:                              ;   in Loop: Header=BB317_379 Depth=1
	v_and_b32_e32 v6, 0x7f, v10
	v_cmp_ne_u32_e64 s[4:5], s15, v6
	v_mov_b32_e32 v29, 0x7fc02000
	s_and_saveexec_b64 s[26:27], s[4:5]
	s_cbranch_execz .LBB317_651
; %bb.650:                              ;   in Loop: Header=BB317_379 Depth=1
	v_and_b32_e32 v16, 7, v10
	v_ffbh_u32_e32 v26, v16
	v_min_u32_e32 v29, 32, v26
	v_subrev_u32_e32 v26, 28, v29
	v_lshlrev_b64 v[26:27], v26, v[10:11]
	v_lshrrev_b32_e32 v22, 3, v6
	v_sub_u32_e32 v27, 29, v29
	v_cmp_gt_u32_e64 s[4:5], 8, v6
	v_cndmask_b32_e64 v6, v22, v27, s[4:5]
	v_and_b32_e32 v26, 7, v26
	v_lshlrev_b32_e32 v10, 8, v10
	v_lshl_add_u32 v6, v6, 10, v37
	v_cndmask_b32_e64 v16, v16, v26, s[4:5]
	v_and_or_b32 v6, v10, s19, v6
	v_lshl_or_b32 v6, v16, 7, v6
	v_cvt_f32_f16_e32 v29, v6
.LBB317_651:                            ;   in Loop: Header=BB317_379 Depth=1
	s_or_b64 exec, exec, s[26:27]
.LBB317_652:                            ;   in Loop: Header=BB317_379 Depth=1
	s_or_b64 exec, exec, s[24:25]
.LBB317_653:                            ;   in Loop: Header=BB317_379 Depth=1
	s_or_b64 exec, exec, s[22:23]
	v_mov_b32_e32 v10, v31
	v_cmp_ne_u16_sdwa s[4:5], v31, v11 src0_sel:BYTE_0 src1_sel:DWORD
	v_mov_b32_e32 v26, 0
	v_mov_b32_e32 v22, 0
	s_and_saveexec_b64 s[22:23], s[4:5]
	s_cbranch_execz .LBB317_659
; %bb.654:                              ;   in Loop: Header=BB317_379 Depth=1
	v_cmp_ne_u16_sdwa s[4:5], v31, s7 src0_sel:BYTE_0 src1_sel:DWORD
	v_bfrev_b32_e32 v22, 1
	s_and_saveexec_b64 s[24:25], s[4:5]
	s_cbranch_execz .LBB317_658
; %bb.655:                              ;   in Loop: Header=BB317_379 Depth=1
	v_and_b32_e32 v6, 0x7f, v31
	v_cmp_ne_u32_e64 s[4:5], s15, v6
	v_mov_b32_e32 v22, 0x7fc02000
	s_and_saveexec_b64 s[26:27], s[4:5]
	s_cbranch_execz .LBB317_657
; %bb.656:                              ;   in Loop: Header=BB317_379 Depth=1
	v_and_b32_e32 v16, 7, v31
	v_ffbh_u32_e32 v16, v16
	v_min_u32_e32 v16, 32, v16
	v_subrev_u32_e32 v27, 28, v16
	v_cmp_gt_u32_e64 s[4:5], 8, v6
	v_lshrrev_b32_e32 v22, 3, v6
	v_sub_u32_e32 v16, 29, v16
	v_cndmask_b32_e64 v6, 0, v27, s[4:5]
	v_lshlrev_b64 v[58:59], v6, v[10:11]
	v_cndmask_b32_e64 v6, v22, v16, s[4:5]
	v_lshlrev_b32_e32 v22, 8, v31
	v_lshl_add_u32 v6, v6, 10, v37
	v_lshlrev_b32_e32 v16, 7, v58
	v_and_or_b32 v6, v22, s19, v6
	v_and_or_b32 v6, v16, s28, v6
	v_cvt_f32_f16_e32 v22, v6
.LBB317_657:                            ;   in Loop: Header=BB317_379 Depth=1
	s_or_b64 exec, exec, s[26:27]
.LBB317_658:                            ;   in Loop: Header=BB317_379 Depth=1
	s_or_b64 exec, exec, s[24:25]
.LBB317_659:                            ;   in Loop: Header=BB317_379 Depth=1
	s_or_b64 exec, exec, s[22:23]
	v_lshrrev_b16_e32 v10, 8, v10
	v_cmp_ne_u16_e64 s[4:5], 0, v10
	s_and_saveexec_b64 s[22:23], s[4:5]
	s_cbranch_execz .LBB317_665
; %bb.660:                              ;   in Loop: Header=BB317_379 Depth=1
	v_cmp_ne_u16_e64 s[4:5], s7, v10
	v_bfrev_b32_e32 v26, 1
	s_and_saveexec_b64 s[24:25], s[4:5]
	s_cbranch_execz .LBB317_664
; %bb.661:                              ;   in Loop: Header=BB317_379 Depth=1
	v_and_b32_e32 v6, 0x7f, v10
	v_cmp_ne_u32_e64 s[4:5], s15, v6
	v_mov_b32_e32 v26, 0x7fc02000
	s_and_saveexec_b64 s[26:27], s[4:5]
	s_cbranch_execz .LBB317_663
; %bb.662:                              ;   in Loop: Header=BB317_379 Depth=1
	v_and_b32_e32 v16, 7, v10
	v_ffbh_u32_e32 v26, v16
	v_min_u32_e32 v58, 32, v26
	v_subrev_u32_e32 v26, 28, v58
	v_lshlrev_b64 v[26:27], v26, v[10:11]
	v_lshrrev_b32_e32 v57, 3, v6
	v_sub_u32_e32 v27, 29, v58
	v_cmp_gt_u32_e64 s[4:5], 8, v6
	v_cndmask_b32_e64 v6, v57, v27, s[4:5]
	v_and_b32_e32 v26, 7, v26
	v_lshlrev_b32_e32 v10, 8, v10
	v_lshl_add_u32 v6, v6, 10, v37
	v_cndmask_b32_e64 v16, v16, v26, s[4:5]
	v_and_or_b32 v6, v10, s19, v6
	v_lshl_or_b32 v6, v16, 7, v6
	v_cvt_f32_f16_e32 v26, v6
.LBB317_663:                            ;   in Loop: Header=BB317_379 Depth=1
	s_or_b64 exec, exec, s[26:27]
.LBB317_664:                            ;   in Loop: Header=BB317_379 Depth=1
	s_or_b64 exec, exec, s[24:25]
.LBB317_665:                            ;   in Loop: Header=BB317_379 Depth=1
	s_or_b64 exec, exec, s[22:23]
	v_lshrrev_b32_e32 v10, 16, v31
	v_cmp_ne_u16_sdwa s[4:5], v10, v11 src0_sel:BYTE_0 src1_sel:DWORD
	v_mov_b32_e32 v6, 0
	v_mov_b32_e32 v27, 0
	s_and_saveexec_b64 s[22:23], s[4:5]
	s_cbranch_execz .LBB317_671
; %bb.666:                              ;   in Loop: Header=BB317_379 Depth=1
	v_cmp_ne_u16_sdwa s[4:5], v10, s7 src0_sel:BYTE_0 src1_sel:DWORD
	v_bfrev_b32_e32 v27, 1
	s_and_saveexec_b64 s[24:25], s[4:5]
	s_cbranch_execz .LBB317_670
; %bb.667:                              ;   in Loop: Header=BB317_379 Depth=1
	v_bfe_u32 v57, v31, 16, 7
	v_cmp_ne_u32_e64 s[4:5], s15, v57
	v_mov_b32_e32 v27, 0x7fc02000
	s_and_saveexec_b64 s[26:27], s[4:5]
	s_cbranch_execz .LBB317_669
; %bb.668:                              ;   in Loop: Header=BB317_379 Depth=1
	v_and_b32_e32 v16, 7, v10
	v_ffbh_u32_e32 v58, v16
	v_min_u32_e32 v60, 32, v58
	v_subrev_u32_e32 v58, 28, v60
	v_lshlrev_b64 v[58:59], v58, v[10:11]
	v_lshrrev_b32_e32 v27, 3, v57
	v_sub_u32_e32 v59, 29, v60
	v_cmp_gt_u32_e64 s[4:5], 8, v57
	v_cndmask_b32_e64 v27, v27, v59, s[4:5]
	v_and_b32_e32 v58, 7, v58
	v_lshlrev_b32_e32 v10, 8, v10
	v_lshl_add_u32 v27, v27, 10, v37
	v_cndmask_b32_e64 v16, v16, v58, s[4:5]
	v_and_or_b32 v10, v10, s19, v27
	v_lshl_or_b32 v10, v16, 7, v10
	v_cvt_f32_f16_e32 v27, v10
.LBB317_669:                            ;   in Loop: Header=BB317_379 Depth=1
	s_or_b64 exec, exec, s[26:27]
.LBB317_670:                            ;   in Loop: Header=BB317_379 Depth=1
	s_or_b64 exec, exec, s[24:25]
.LBB317_671:                            ;   in Loop: Header=BB317_379 Depth=1
	s_or_b64 exec, exec, s[22:23]
	v_cmp_lt_u64_e64 s[4:5], s[10:11], v[30:31]
	s_and_saveexec_b64 s[22:23], s[4:5]
	s_cbranch_execz .LBB317_677
; %bb.672:                              ;   in Loop: Header=BB317_379 Depth=1
	v_lshrrev_b32_e32 v10, 24, v31
	v_cmp_ne_u32_e64 s[4:5], s7, v10
	v_bfrev_b32_e32 v6, 1
	s_and_saveexec_b64 s[24:25], s[4:5]
	s_cbranch_execz .LBB317_676
; %bb.673:                              ;   in Loop: Header=BB317_379 Depth=1
	v_and_b32_e32 v30, 0x7f, v10
	v_cmp_ne_u32_e64 s[4:5], s15, v30
	v_mov_b32_e32 v6, 0x7fc02000
	s_and_saveexec_b64 s[26:27], s[4:5]
	s_cbranch_execz .LBB317_675
; %bb.674:                              ;   in Loop: Header=BB317_379 Depth=1
	v_and_b32_e32 v6, 7, v10
	v_ffbh_u32_e32 v31, v6
	v_min_u32_e32 v31, 32, v31
	v_lshrrev_b32_e32 v16, 3, v30
	v_subrev_u32_e32 v57, 28, v31
	v_sub_u32_e32 v31, 29, v31
	v_cmp_gt_u32_e64 s[4:5], 8, v30
	v_lshlrev_b64 v[58:59], v57, v[10:11]
	v_cndmask_b32_e64 v16, v16, v31, s[4:5]
	v_and_b32_e32 v57, 7, v58
	v_lshlrev_b32_e32 v10, 8, v10
	v_lshl_add_u32 v16, v16, 10, v37
	v_cndmask_b32_e64 v6, v6, v57, s[4:5]
	v_and_or_b32 v10, v10, s19, v16
	v_lshl_or_b32 v6, v6, 7, v10
	v_cvt_f32_f16_e32 v6, v6
.LBB317_675:                            ;   in Loop: Header=BB317_379 Depth=1
	s_or_b64 exec, exec, s[26:27]
.LBB317_676:                            ;   in Loop: Header=BB317_379 Depth=1
	s_or_b64 exec, exec, s[24:25]
.LBB317_677:                            ;   in Loop: Header=BB317_379 Depth=1
	s_or_b64 exec, exec, s[22:23]
	v_pk_mul_f32 v[28:29], v[12:13], v[28:29] op_sel_hi:[0,1]
	v_pk_mul_f32 v[24:25], v[12:13], v[24:25] op_sel_hi:[0,1]
	v_cvt_f16_f32_e32 v10, v29
	v_cvt_f16_f32_e32 v16, v28
	;; [unrolled: 1-line block ×4, first 2 shown]
	v_fma_mixlo_f16 v6, v12, v6, 0
	v_pack_b32_f16 v16, v16, v10
	v_fma_mixlo_f16 v22, v12, v22, 0
	v_pack_b32_f16 v24, v24, v25
	v_perm_b32 v10, v24, v16, s29
	v_perm_b32 v24, v24, v16, s30
	v_fma_mixlo_f16 v16, v12, v26, 0
	v_lshlrev_b32_e32 v16, 16, v16
	v_fma_mixlo_f16 v25, v12, v27, 0
	v_lshlrev_b32_e32 v6, 16, v6
	v_or_b32_sdwa v22, v16, v22 dst_sel:DWORD dst_unused:UNUSED_PAD src0_sel:DWORD src1_sel:WORD_0
	v_or_b32_sdwa v6, v6, v25 dst_sel:DWORD dst_unused:UNUSED_PAD src0_sel:DWORD src1_sel:WORD_0
	s_and_saveexec_b64 s[22:23], vcc
	s_cbranch_execz .LBB317_679
; %bb.678:                              ;   in Loop: Header=BB317_379 Depth=1
	v_lshrrev_b32_e32 v12, 16, v24
	v_cmp_lt_i32_e64 s[4:5], v54, v13
	v_accvgpr_read_b32 v26, a8
	v_cndmask_b32_e64 v12, 0, v12, s[4:5]
	v_cmp_lt_i32_e64 s[4:5], v7, v26
	v_cndmask_b32_e64 v16, 0, v24, s[4:5]
	v_perm_b32 v24, v12, v16, s31
	v_lshrrev_b32_e32 v12, 16, v10
	v_cmp_lt_i32_e64 s[4:5], v53, v13
	v_cndmask_b32_e64 v12, 0, v12, s[4:5]
	v_cmp_lt_i32_e64 s[4:5], v52, v26
	v_cndmask_b32_e64 v10, 0, v10, s[4:5]
	v_perm_b32 v10, v12, v10, s31
	v_lshrrev_b32_e32 v12, 16, v22
	v_cmp_lt_i32_e64 s[4:5], v51, v13
	v_cndmask_b32_e64 v12, 0, v12, s[4:5]
	v_cmp_lt_i32_e64 s[4:5], v50, v26
	v_cndmask_b32_e64 v16, 0, v22, s[4:5]
	v_lshrrev_b32_e32 v6, 16, v6
	v_cmp_lt_i32_e64 s[4:5], v39, v13
	v_cndmask_b32_e64 v6, 0, v6, s[4:5]
	v_cmp_lt_i32_e64 s[4:5], v38, v26
	v_perm_b32 v22, v12, v16, s31
	v_cndmask_b32_e64 v12, 0, v25, s[4:5]
	v_perm_b32 v6, v6, v12, s31
.LBB317_679:                            ;   in Loop: Header=BB317_379 Depth=1
	s_or_b64 exec, exec, s[22:23]
	;;#ASMSTART
	v_pk_mul_f16 v12, v55, v24;

	;;#ASMEND
	;;#ASMSTART
	v_pk_mul_f16 v10, v40, v10;

	;;#ASMEND
	;;#ASMSTART
	v_pk_mul_f16 v16, v41, v22;

	;;#ASMEND
	;;#ASMSTART
	v_pk_mul_f16 v6, v42, v6;

	;;#ASMEND
	;;#ASMSTART
	v_pk_add_f16 v10, v12, v10;

	;;#ASMEND
	;;#ASMSTART
	v_pk_add_f16 v10, v10, v16;

	;;#ASMEND
	;;#ASMSTART
	v_pk_add_f16 v6, v10, v6;

	;;#ASMEND
	v_lshrrev_b32_e32 v10, 16, v6
	v_and_b32_e32 v6, 0xffff, v6
	;;#ASMSTART
	v_cvt_f32_f16 v22, v6;
	;;#ASMEND
	;;#ASMSTART
	v_cvt_f32_f16 v26, v10;
	;;#ASMEND
	flat_load_dwordx2 v[28:29], v[18:19] offset:3072
	v_accvgpr_read_b32 v19, a5
	v_accvgpr_read_b32 v18, a4
	flat_load_dword v12, v[18:19]
	v_mov_b32_e32 v24, 0
	v_mov_b32_e32 v18, 0
	s_waitcnt vmcnt(0) lgkmcnt(0)
	v_cmp_ne_u16_sdwa s[4:5], v28, v11 src0_sel:BYTE_0 src1_sel:DWORD
	s_and_saveexec_b64 s[22:23], s[4:5]
	s_cbranch_execz .LBB317_685
; %bb.680:                              ;   in Loop: Header=BB317_379 Depth=1
	v_cmp_ne_u16_sdwa s[4:5], v28, s7 src0_sel:BYTE_0 src1_sel:DWORD
	v_bfrev_b32_e32 v18, 1
	s_and_saveexec_b64 s[24:25], s[4:5]
	s_cbranch_execz .LBB317_684
; %bb.681:                              ;   in Loop: Header=BB317_379 Depth=1
	v_and_b32_e32 v6, 0x7f, v28
	v_cmp_ne_u32_e64 s[4:5], s15, v6
	v_mov_b32_e32 v18, 0x7fc02000
	s_and_saveexec_b64 s[26:27], s[4:5]
	s_cbranch_execz .LBB317_683
; %bb.682:                              ;   in Loop: Header=BB317_379 Depth=1
	v_and_b32_e32 v10, 7, v28
	v_ffbh_u32_e32 v10, v10
	v_min_u32_e32 v10, 32, v10
	v_subrev_u32_e32 v18, 28, v10
	v_cmp_gt_u32_e64 s[4:5], 8, v6
	v_lshrrev_b32_e32 v16, 3, v6
	v_sub_u32_e32 v10, 29, v10
	v_cndmask_b32_e64 v6, 0, v18, s[4:5]
	v_lshlrev_b64 v[18:19], v6, v[28:29]
	v_cndmask_b32_e64 v6, v16, v10, s[4:5]
	v_lshlrev_b32_e32 v16, 8, v28
	v_lshl_add_u32 v6, v6, 10, v37
	v_lshlrev_b32_e32 v10, 7, v18
	v_and_or_b32 v6, v16, s19, v6
	v_and_or_b32 v6, v10, s28, v6
	v_cvt_f32_f16_e32 v18, v6
.LBB317_683:                            ;   in Loop: Header=BB317_379 Depth=1
	s_or_b64 exec, exec, s[26:27]
.LBB317_684:                            ;   in Loop: Header=BB317_379 Depth=1
	s_or_b64 exec, exec, s[24:25]
.LBB317_685:                            ;   in Loop: Header=BB317_379 Depth=1
	s_or_b64 exec, exec, s[22:23]
	v_lshrrev_b16_e32 v10, 8, v28
	v_cmp_ne_u16_e64 s[4:5], 0, v10
	s_and_saveexec_b64 s[22:23], s[4:5]
	s_cbranch_execz .LBB317_691
; %bb.686:                              ;   in Loop: Header=BB317_379 Depth=1
	v_cmp_ne_u16_e64 s[4:5], s7, v10
	v_bfrev_b32_e32 v24, 1
	s_and_saveexec_b64 s[24:25], s[4:5]
	s_cbranch_execz .LBB317_690
; %bb.687:                              ;   in Loop: Header=BB317_379 Depth=1
	v_and_b32_e32 v6, 0x7f, v10
	v_cmp_ne_u32_e64 s[4:5], s15, v6
	v_mov_b32_e32 v24, 0x7fc02000
	s_and_saveexec_b64 s[26:27], s[4:5]
	s_cbranch_execz .LBB317_689
; %bb.688:                              ;   in Loop: Header=BB317_379 Depth=1
	v_and_b32_e32 v16, 7, v10
	v_ffbh_u32_e32 v24, v16
	v_min_u32_e32 v27, 32, v24
	v_subrev_u32_e32 v24, 28, v27
	v_lshlrev_b64 v[24:25], v24, v[10:11]
	v_lshrrev_b32_e32 v19, 3, v6
	v_sub_u32_e32 v25, 29, v27
	v_cmp_gt_u32_e64 s[4:5], 8, v6
	v_cndmask_b32_e64 v6, v19, v25, s[4:5]
	v_and_b32_e32 v24, 7, v24
	v_lshlrev_b32_e32 v10, 8, v10
	v_lshl_add_u32 v6, v6, 10, v37
	v_cndmask_b32_e64 v16, v16, v24, s[4:5]
	v_and_or_b32 v6, v10, s19, v6
	v_lshl_or_b32 v6, v16, 7, v6
	v_cvt_f32_f16_e32 v24, v6
.LBB317_689:                            ;   in Loop: Header=BB317_379 Depth=1
	s_or_b64 exec, exec, s[26:27]
.LBB317_690:                            ;   in Loop: Header=BB317_379 Depth=1
	s_or_b64 exec, exec, s[24:25]
.LBB317_691:                            ;   in Loop: Header=BB317_379 Depth=1
	s_or_b64 exec, exec, s[22:23]
	v_lshrrev_b32_e32 v10, 16, v28
	v_cmp_ne_u16_sdwa s[4:5], v10, v11 src0_sel:BYTE_0 src1_sel:DWORD
	v_mov_b32_e32 v25, 0
	v_mov_b32_e32 v19, 0
	s_and_saveexec_b64 s[22:23], s[4:5]
	s_cbranch_execz .LBB317_697
; %bb.692:                              ;   in Loop: Header=BB317_379 Depth=1
	v_cmp_ne_u16_sdwa s[4:5], v10, s7 src0_sel:BYTE_0 src1_sel:DWORD
	v_bfrev_b32_e32 v19, 1
	s_and_saveexec_b64 s[24:25], s[4:5]
	s_cbranch_execz .LBB317_696
; %bb.693:                              ;   in Loop: Header=BB317_379 Depth=1
	v_bfe_u32 v6, v28, 16, 7
	v_cmp_ne_u32_e64 s[4:5], s15, v6
	v_mov_b32_e32 v19, 0x7fc02000
	s_and_saveexec_b64 s[26:27], s[4:5]
	s_cbranch_execz .LBB317_695
; %bb.694:                              ;   in Loop: Header=BB317_379 Depth=1
	v_and_b32_e32 v16, 7, v10
	v_ffbh_u32_e32 v27, v16
	v_min_u32_e32 v27, 32, v27
	v_lshrrev_b32_e32 v19, 3, v6
	v_subrev_u32_e32 v30, 28, v27
	v_sub_u32_e32 v27, 29, v27
	v_cmp_gt_u32_e64 s[4:5], 8, v6
	v_lshlrev_b64 v[30:31], v30, v[10:11]
	v_cndmask_b32_e64 v6, v19, v27, s[4:5]
	v_and_b32_e32 v30, 7, v30
	v_lshlrev_b32_e32 v10, 8, v10
	v_lshl_add_u32 v6, v6, 10, v37
	v_cndmask_b32_e64 v16, v16, v30, s[4:5]
	v_and_or_b32 v6, v10, s19, v6
	v_lshl_or_b32 v6, v16, 7, v6
	v_cvt_f32_f16_e32 v19, v6
.LBB317_695:                            ;   in Loop: Header=BB317_379 Depth=1
	s_or_b64 exec, exec, s[26:27]
.LBB317_696:                            ;   in Loop: Header=BB317_379 Depth=1
	s_or_b64 exec, exec, s[24:25]
.LBB317_697:                            ;   in Loop: Header=BB317_379 Depth=1
	s_or_b64 exec, exec, s[22:23]
	v_cmp_lt_u32_e64 s[4:5], s11, v28
	s_and_saveexec_b64 s[22:23], s[4:5]
	s_cbranch_execz .LBB317_703
; %bb.698:                              ;   in Loop: Header=BB317_379 Depth=1
	v_lshrrev_b32_e32 v10, 24, v28
	v_cmp_ne_u32_e64 s[4:5], s7, v10
	v_bfrev_b32_e32 v25, 1
	s_and_saveexec_b64 s[24:25], s[4:5]
	s_cbranch_execz .LBB317_702
; %bb.699:                              ;   in Loop: Header=BB317_379 Depth=1
	v_and_b32_e32 v6, 0x7f, v10
	v_cmp_ne_u32_e64 s[4:5], s15, v6
	v_mov_b32_e32 v25, 0x7fc02000
	s_and_saveexec_b64 s[26:27], s[4:5]
	s_cbranch_execz .LBB317_701
; %bb.700:                              ;   in Loop: Header=BB317_379 Depth=1
	v_and_b32_e32 v16, 7, v10
	v_ffbh_u32_e32 v27, v16
	v_min_u32_e32 v27, 32, v27
	v_lshrrev_b32_e32 v25, 3, v6
	v_subrev_u32_e32 v30, 28, v27
	v_sub_u32_e32 v27, 29, v27
	v_cmp_gt_u32_e64 s[4:5], 8, v6
	v_lshlrev_b64 v[30:31], v30, v[10:11]
	v_cndmask_b32_e64 v6, v25, v27, s[4:5]
	v_and_b32_e32 v30, 7, v30
	v_lshlrev_b32_e32 v10, 8, v10
	v_lshl_add_u32 v6, v6, 10, v37
	v_cndmask_b32_e64 v16, v16, v30, s[4:5]
	v_and_or_b32 v6, v10, s19, v6
	v_lshl_or_b32 v6, v16, 7, v6
	v_cvt_f32_f16_e32 v25, v6
.LBB317_701:                            ;   in Loop: Header=BB317_379 Depth=1
	s_or_b64 exec, exec, s[26:27]
.LBB317_702:                            ;   in Loop: Header=BB317_379 Depth=1
	s_or_b64 exec, exec, s[24:25]
.LBB317_703:                            ;   in Loop: Header=BB317_379 Depth=1
	s_or_b64 exec, exec, s[22:23]
	v_mov_b32_e32 v10, v29
	v_cmp_ne_u16_sdwa s[4:5], v29, v11 src0_sel:BYTE_0 src1_sel:DWORD
	v_mov_b32_e32 v30, 0
	v_mov_b32_e32 v27, 0
	s_and_saveexec_b64 s[22:23], s[4:5]
	s_cbranch_execz .LBB317_709
; %bb.704:                              ;   in Loop: Header=BB317_379 Depth=1
	v_cmp_ne_u16_sdwa s[4:5], v29, s7 src0_sel:BYTE_0 src1_sel:DWORD
	v_bfrev_b32_e32 v27, 1
	s_and_saveexec_b64 s[24:25], s[4:5]
	s_cbranch_execz .LBB317_708
; %bb.705:                              ;   in Loop: Header=BB317_379 Depth=1
	v_and_b32_e32 v6, 0x7f, v29
	v_cmp_ne_u32_e64 s[4:5], s15, v6
	v_mov_b32_e32 v27, 0x7fc02000
	s_and_saveexec_b64 s[26:27], s[4:5]
	s_cbranch_execz .LBB317_707
; %bb.706:                              ;   in Loop: Header=BB317_379 Depth=1
	v_and_b32_e32 v16, 7, v29
	v_ffbh_u32_e32 v16, v16
	v_min_u32_e32 v16, 32, v16
	v_subrev_u32_e32 v31, 28, v16
	v_cmp_gt_u32_e64 s[4:5], 8, v6
	v_lshrrev_b32_e32 v27, 3, v6
	v_sub_u32_e32 v16, 29, v16
	v_cndmask_b32_e64 v6, 0, v31, s[4:5]
	v_lshlrev_b64 v[58:59], v6, v[10:11]
	v_cndmask_b32_e64 v6, v27, v16, s[4:5]
	v_lshlrev_b32_e32 v27, 8, v29
	v_lshl_add_u32 v6, v6, 10, v37
	v_lshlrev_b32_e32 v16, 7, v58
	v_and_or_b32 v6, v27, s19, v6
	v_and_or_b32 v6, v16, s28, v6
	v_cvt_f32_f16_e32 v27, v6
.LBB317_707:                            ;   in Loop: Header=BB317_379 Depth=1
	s_or_b64 exec, exec, s[26:27]
.LBB317_708:                            ;   in Loop: Header=BB317_379 Depth=1
	s_or_b64 exec, exec, s[24:25]
.LBB317_709:                            ;   in Loop: Header=BB317_379 Depth=1
	s_or_b64 exec, exec, s[22:23]
	v_lshrrev_b16_e32 v10, 8, v10
	v_cmp_ne_u16_e64 s[4:5], 0, v10
	s_and_saveexec_b64 s[22:23], s[4:5]
	s_cbranch_execz .LBB317_715
; %bb.710:                              ;   in Loop: Header=BB317_379 Depth=1
	v_cmp_ne_u16_e64 s[4:5], s7, v10
	v_bfrev_b32_e32 v30, 1
	s_and_saveexec_b64 s[24:25], s[4:5]
	s_cbranch_execz .LBB317_714
; %bb.711:                              ;   in Loop: Header=BB317_379 Depth=1
	v_and_b32_e32 v6, 0x7f, v10
	v_cmp_ne_u32_e64 s[4:5], s15, v6
	v_mov_b32_e32 v30, 0x7fc02000
	s_and_saveexec_b64 s[26:27], s[4:5]
	s_cbranch_execz .LBB317_713
; %bb.712:                              ;   in Loop: Header=BB317_379 Depth=1
	v_and_b32_e32 v16, 7, v10
	v_ffbh_u32_e32 v30, v16
	v_min_u32_e32 v58, 32, v30
	v_subrev_u32_e32 v30, 28, v58
	v_lshlrev_b64 v[30:31], v30, v[10:11]
	v_lshrrev_b32_e32 v57, 3, v6
	v_sub_u32_e32 v31, 29, v58
	v_cmp_gt_u32_e64 s[4:5], 8, v6
	v_cndmask_b32_e64 v6, v57, v31, s[4:5]
	v_and_b32_e32 v30, 7, v30
	v_lshlrev_b32_e32 v10, 8, v10
	v_lshl_add_u32 v6, v6, 10, v37
	v_cndmask_b32_e64 v16, v16, v30, s[4:5]
	v_and_or_b32 v6, v10, s19, v6
	v_lshl_or_b32 v6, v16, 7, v6
	v_cvt_f32_f16_e32 v30, v6
.LBB317_713:                            ;   in Loop: Header=BB317_379 Depth=1
	s_or_b64 exec, exec, s[26:27]
.LBB317_714:                            ;   in Loop: Header=BB317_379 Depth=1
	s_or_b64 exec, exec, s[24:25]
.LBB317_715:                            ;   in Loop: Header=BB317_379 Depth=1
	s_or_b64 exec, exec, s[22:23]
	v_lshrrev_b32_e32 v10, 16, v29
	v_cmp_ne_u16_sdwa s[4:5], v10, v11 src0_sel:BYTE_0 src1_sel:DWORD
	v_mov_b32_e32 v6, 0
	v_mov_b32_e32 v31, 0
	s_and_saveexec_b64 s[22:23], s[4:5]
	s_cbranch_execz .LBB317_721
; %bb.716:                              ;   in Loop: Header=BB317_379 Depth=1
	v_cmp_ne_u16_sdwa s[4:5], v10, s7 src0_sel:BYTE_0 src1_sel:DWORD
	v_bfrev_b32_e32 v31, 1
	s_and_saveexec_b64 s[24:25], s[4:5]
	s_cbranch_execz .LBB317_720
; %bb.717:                              ;   in Loop: Header=BB317_379 Depth=1
	v_bfe_u32 v57, v29, 16, 7
	v_cmp_ne_u32_e64 s[4:5], s15, v57
	v_mov_b32_e32 v31, 0x7fc02000
	s_and_saveexec_b64 s[26:27], s[4:5]
	s_cbranch_execz .LBB317_719
; %bb.718:                              ;   in Loop: Header=BB317_379 Depth=1
	v_and_b32_e32 v16, 7, v10
	v_ffbh_u32_e32 v58, v16
	v_min_u32_e32 v60, 32, v58
	v_subrev_u32_e32 v58, 28, v60
	v_lshlrev_b64 v[58:59], v58, v[10:11]
	v_lshrrev_b32_e32 v31, 3, v57
	v_sub_u32_e32 v59, 29, v60
	v_cmp_gt_u32_e64 s[4:5], 8, v57
	v_cndmask_b32_e64 v31, v31, v59, s[4:5]
	v_and_b32_e32 v58, 7, v58
	v_lshlrev_b32_e32 v10, 8, v10
	v_lshl_add_u32 v31, v31, 10, v37
	v_cndmask_b32_e64 v16, v16, v58, s[4:5]
	v_and_or_b32 v10, v10, s19, v31
	v_lshl_or_b32 v10, v16, 7, v10
	v_cvt_f32_f16_e32 v31, v10
.LBB317_719:                            ;   in Loop: Header=BB317_379 Depth=1
	s_or_b64 exec, exec, s[26:27]
.LBB317_720:                            ;   in Loop: Header=BB317_379 Depth=1
	s_or_b64 exec, exec, s[24:25]
.LBB317_721:                            ;   in Loop: Header=BB317_379 Depth=1
	s_or_b64 exec, exec, s[22:23]
	v_cmp_lt_u64_e64 s[4:5], s[10:11], v[28:29]
	s_and_saveexec_b64 s[22:23], s[4:5]
	s_cbranch_execz .LBB317_727
; %bb.722:                              ;   in Loop: Header=BB317_379 Depth=1
	v_lshrrev_b32_e32 v10, 24, v29
	v_cmp_ne_u32_e64 s[4:5], s7, v10
	v_bfrev_b32_e32 v6, 1
	s_and_saveexec_b64 s[24:25], s[4:5]
	s_cbranch_execz .LBB317_726
; %bb.723:                              ;   in Loop: Header=BB317_379 Depth=1
	v_and_b32_e32 v28, 0x7f, v10
	v_cmp_ne_u32_e64 s[4:5], s15, v28
	v_mov_b32_e32 v6, 0x7fc02000
	s_and_saveexec_b64 s[26:27], s[4:5]
	s_cbranch_execz .LBB317_725
; %bb.724:                              ;   in Loop: Header=BB317_379 Depth=1
	v_and_b32_e32 v6, 7, v10
	v_ffbh_u32_e32 v29, v6
	v_min_u32_e32 v29, 32, v29
	v_lshrrev_b32_e32 v16, 3, v28
	v_subrev_u32_e32 v57, 28, v29
	v_sub_u32_e32 v29, 29, v29
	v_cmp_gt_u32_e64 s[4:5], 8, v28
	v_lshlrev_b64 v[58:59], v57, v[10:11]
	v_cndmask_b32_e64 v16, v16, v29, s[4:5]
	v_and_b32_e32 v57, 7, v58
	v_lshlrev_b32_e32 v10, 8, v10
	v_lshl_add_u32 v16, v16, 10, v37
	v_cndmask_b32_e64 v6, v6, v57, s[4:5]
	v_and_or_b32 v10, v10, s19, v16
	v_lshl_or_b32 v6, v6, 7, v10
	v_cvt_f32_f16_e32 v6, v6
.LBB317_725:                            ;   in Loop: Header=BB317_379 Depth=1
	s_or_b64 exec, exec, s[26:27]
.LBB317_726:                            ;   in Loop: Header=BB317_379 Depth=1
	s_or_b64 exec, exec, s[24:25]
.LBB317_727:                            ;   in Loop: Header=BB317_379 Depth=1
	s_or_b64 exec, exec, s[22:23]
	v_pk_mul_f32 v[24:25], v[12:13], v[24:25] op_sel_hi:[0,1]
	v_pk_mul_f32 v[18:19], v[12:13], v[18:19] op_sel_hi:[0,1]
	v_cvt_f16_f32_e32 v10, v25
	v_cvt_f16_f32_e32 v16, v24
	;; [unrolled: 1-line block ×4, first 2 shown]
	v_fma_mixlo_f16 v6, v12, v6, 0
	v_pack_b32_f16 v16, v16, v10
	v_fma_mixlo_f16 v24, v12, v31, 0
	v_pack_b32_f16 v18, v18, v19
	v_perm_b32 v10, v18, v16, s29
	v_perm_b32 v18, v18, v16, s30
	v_fma_mixlo_f16 v16, v12, v30, 0
	v_lshlrev_b32_e32 v16, 16, v16
	v_fma_mixlo_f16 v19, v12, v27, 0
	v_lshlrev_b32_e32 v6, 16, v6
	v_or_b32_sdwa v19, v16, v19 dst_sel:DWORD dst_unused:UNUSED_PAD src0_sel:DWORD src1_sel:WORD_0
	v_or_b32_sdwa v6, v6, v24 dst_sel:DWORD dst_unused:UNUSED_PAD src0_sel:DWORD src1_sel:WORD_0
	s_and_saveexec_b64 s[4:5], vcc
	s_cbranch_execz .LBB317_378
; %bb.728:                              ;   in Loop: Header=BB317_379 Depth=1
	v_lshrrev_b32_e32 v12, 16, v18
	v_cmp_lt_i32_e32 vcc, v54, v13
	v_accvgpr_read_b32 v28, a8
	v_cndmask_b32_e32 v12, 0, v12, vcc
	v_cmp_lt_i32_e32 vcc, v7, v28
	v_cndmask_b32_e32 v16, 0, v18, vcc
	v_perm_b32 v18, v12, v16, s31
	v_lshrrev_b32_e32 v12, 16, v10
	v_cmp_lt_i32_e32 vcc, v53, v13
	v_cndmask_b32_e32 v12, 0, v12, vcc
	v_cmp_lt_i32_e32 vcc, v52, v28
	v_cndmask_b32_e32 v10, 0, v10, vcc
	v_perm_b32 v10, v12, v10, s31
	v_lshrrev_b32_e32 v12, 16, v19
	v_cmp_lt_i32_e32 vcc, v51, v13
	v_cndmask_b32_e32 v12, 0, v12, vcc
	v_cmp_lt_i32_e32 vcc, v50, v28
	v_cndmask_b32_e32 v16, 0, v19, vcc
	v_lshrrev_b32_e32 v6, 16, v6
	v_cmp_lt_i32_e32 vcc, v39, v13
	v_cndmask_b32_e32 v6, 0, v6, vcc
	v_cmp_lt_i32_e32 vcc, v38, v28
	v_perm_b32 v19, v12, v16, s31
	v_cndmask_b32_e32 v12, 0, v24, vcc
	v_perm_b32 v6, v6, v12, s31
	s_branch .LBB317_378
.LBB317_729:
	s_or_b64 exec, exec, s[12:13]
.LBB317_730:
	s_or_b64 exec, exec, s[8:9]
	ds_bpermute_b32 v6, v32, v8
	ds_bpermute_b32 v7, v32, v9
	;; [unrolled: 1-line block ×6, first 2 shown]
	s_waitcnt lgkmcnt(0)
	v_pk_add_f32 v[6:7], v[8:9], v[6:7]
	ds_bpermute_b32 v8, v32, v49
	v_pk_add_f32 v[2:3], v[2:3], v[4:5]
	ds_bpermute_b32 v4, v33, v2
	ds_bpermute_b32 v5, v33, v3
	v_pk_add_f32 v[0:1], v[0:1], v[10:11]
	s_waitcnt lgkmcnt(0)
	v_add_f32_e32 v14, v49, v8
	ds_bpermute_b32 v12, v33, v6
	ds_bpermute_b32 v13, v33, v7
	;; [unrolled: 1-line block ×5, first 2 shown]
	v_pk_add_f32 v[8:9], v[2:3], v[4:5]
	v_accvgpr_read_b32 v4, a2
	v_and_b32_e32 v4, 0x3c3, v4
	s_waitcnt lgkmcnt(0)
	v_pk_add_f32 v[2:3], v[6:7], v[12:13]
	v_pk_add_f32 v[0:1], v[0:1], v[10:11]
	v_add_f32_e32 v6, v14, v15
	v_cmp_eq_u32_e32 vcc, 64, v4
	s_barrier
	s_and_saveexec_b64 s[4:5], vcc
	s_cbranch_execz .LBB317_732
; %bb.731:
	s_ashr_i32 s19, s18, 31
	s_lshl_b64 s[8:9], s[18:19], 2
	s_getpc_b64 s[10:11]
	s_add_u32 s10, s10, llvm.amdgcn.dynlds.offset.table@rel32@lo+4
	s_addc_u32 s11, s11, llvm.amdgcn.dynlds.offset.table@rel32@hi+12
	s_add_u32 s8, s8, s10
	s_addc_u32 s9, s9, s11
	s_load_dword s7, s[8:9], 0x0
	s_waitcnt lgkmcnt(0)
	v_add_u32_e32 v5, s7, v23
	ds_write2_b32 v5, v8, v9 offset1:16
	ds_write2_b32 v5, v2, v3 offset0:32 offset1:48
	ds_write2_b32 v5, v0, v1 offset0:64 offset1:80
	ds_write_b32 v5, v6 offset:384
.LBB317_732:
	s_or_b64 exec, exec, s[4:5]
	v_accvgpr_read_b32 v5, a2
	s_waitcnt lgkmcnt(0)
	s_barrier
	v_cmp_gt_u32_e32 vcc, 64, v5
	s_mov_b64 s[4:5], exec
	s_and_b64 s[8:9], s[4:5], vcc
	v_accvgpr_read_b32 v10, a0
	v_accvgpr_read_b32 v11, a1
	s_mov_b64 exec, s[8:9]
	s_cbranch_execz .LBB317_742
; %bb.733:
	v_accvgpr_read_b32 v5, a2
	v_cmp_eq_u32_e32 vcc, 0, v48
	v_lshrrev_b32_e32 v5, 2, v5
	s_and_saveexec_b64 s[8:9], vcc
	s_cbranch_execnz .LBB317_745
; %bb.734:
	s_or_b64 exec, exec, s[8:9]
	s_and_saveexec_b64 s[8:9], vcc
	s_cbranch_execnz .LBB317_746
.LBB317_735:
	s_or_b64 exec, exec, s[8:9]
	s_and_saveexec_b64 s[8:9], vcc
	s_cbranch_execnz .LBB317_747
.LBB317_736:
	s_or_b64 exec, exec, s[8:9]
	s_and_saveexec_b64 s[8:9], vcc
	s_cbranch_execnz .LBB317_748
.LBB317_737:
	s_or_b64 exec, exec, s[8:9]
	s_and_saveexec_b64 s[8:9], vcc
	s_cbranch_execnz .LBB317_749
.LBB317_738:
	s_or_b64 exec, exec, s[8:9]
	s_and_saveexec_b64 s[8:9], vcc
	s_cbranch_execnz .LBB317_750
.LBB317_739:
	s_or_b64 exec, exec, s[8:9]
	s_and_saveexec_b64 s[8:9], vcc
	s_cbranch_execz .LBB317_741
.LBB317_740:
	s_ashr_i32 s19, s18, 31
	s_lshl_b64 s[10:11], s[18:19], 2
	s_getpc_b64 s[12:13]
	s_add_u32 s12, s12, llvm.amdgcn.dynlds.offset.table@rel32@lo+4
	s_addc_u32 s13, s13, llvm.amdgcn.dynlds.offset.table@rel32@hi+12
	s_add_u32 s10, s10, s12
	s_addc_u32 s11, s11, s13
	s_load_dword s7, s[10:11], 0x0
	s_waitcnt lgkmcnt(0)
	v_lshl_add_u32 v5, v5, 2, s7
	ds_read_b32 v5, v5 offset:384
	s_waitcnt lgkmcnt(0)
	v_add_f32_e32 v6, v6, v5
.LBB317_741:
	s_or_b64 exec, exec, s[8:9]
.LBB317_742:
	s_or_b64 exec, exec, s[4:5]
	v_cmp_eq_u32_e32 vcc, 0, v4
	s_barrier
	s_and_b64 exec, exec, vcc
	s_cbranch_execz .LBB317_744
; %bb.743:
	s_mul_i32 s4, s6, 0x70
	s_mul_i32 s6, s20, s21
	;; [unrolled: 1-line block ×3, first 2 shown]
	s_ashr_i32 s5, s4, 31
	s_ashr_i32 s7, s6, 31
	;; [unrolled: 1-line block ×3, first 2 shown]
	s_lshl_b64 s[4:5], s[4:5], 1
	s_lshl_b64 s[6:7], s[6:7], 1
	;; [unrolled: 1-line block ×3, first 2 shown]
	s_add_u32 s6, s8, s6
	s_addc_u32 s7, s9, s7
	s_add_u32 s4, s6, s4
	s_addc_u32 s5, s7, s5
	v_mov_b32_e32 v4, s5
	v_add_co_u32_e32 v5, vcc, s4, v11
	v_addc_co_u32_e32 v7, vcc, v4, v10, vcc
	v_accvgpr_read_b32 v4, a2
	v_lshrrev_b32_e32 v4, 1, v4
	v_add_co_u32_e32 v4, vcc, v5, v4
	v_addc_co_u32_e32 v5, vcc, 0, v7, vcc
	;;#ASMSTART
	v_cvt_f16_f32 v7, v8;

	;;#ASMEND
	flat_store_short v[4:5], v7
	;;#ASMSTART
	v_cvt_f16_f32 v7, v9;

	;;#ASMEND
	flat_store_short v[4:5], v7 offset:32
	;;#ASMSTART
	v_cvt_f16_f32 v2, v2;

	;;#ASMEND
	flat_store_short v[4:5], v2 offset:64
	;; [unrolled: 5-line block ×6, first 2 shown]
.LBB317_744:
	s_or_b64 exec, exec, s[16:17]
	buffer_load_dword a47, off, s[0:3], s32 ; 4-byte Folded Reload
	buffer_load_dword a46, off, s[0:3], s32 offset:4 ; 4-byte Folded Reload
	buffer_load_dword a45, off, s[0:3], s32 offset:8 ; 4-byte Folded Reload
	;; [unrolled: 1-line block ×30, first 2 shown]
	v_readlane_b32 s30, v63, 6
	v_readlane_b32 s31, v63, 7
	v_readlane_b32 s39, v63, 5
	v_readlane_b32 s38, v63, 4
	v_readlane_b32 s37, v63, 3
	v_readlane_b32 s36, v63, 2
	v_readlane_b32 s35, v63, 1
	v_readlane_b32 s34, v63, 0
	s_or_saveexec_b64 s[4:5], -1
	buffer_load_dword v63, off, s[0:3], s32 offset:136 ; 4-byte Folded Reload
	s_mov_b64 exec, s[4:5]
	s_waitcnt vmcnt(0) lgkmcnt(0)
	s_setpc_b64 s[30:31]
.LBB317_745:
	s_ashr_i32 s19, s18, 31
	s_lshl_b64 s[10:11], s[18:19], 2
	s_getpc_b64 s[12:13]
	s_add_u32 s12, s12, llvm.amdgcn.dynlds.offset.table@rel32@lo+4
	s_addc_u32 s13, s13, llvm.amdgcn.dynlds.offset.table@rel32@hi+12
	s_add_u32 s10, s10, s12
	s_addc_u32 s11, s11, s13
	s_load_dword s7, s[10:11], 0x0
	s_waitcnt lgkmcnt(0)
	v_lshl_add_u32 v7, v5, 2, s7
	ds_read_b32 v7, v7
	s_waitcnt lgkmcnt(0)
	v_add_f32_e32 v8, v8, v7
	s_or_b64 exec, exec, s[8:9]
	s_and_saveexec_b64 s[8:9], vcc
	s_cbranch_execz .LBB317_735
.LBB317_746:
	s_ashr_i32 s19, s18, 31
	s_lshl_b64 s[10:11], s[18:19], 2
	s_getpc_b64 s[12:13]
	s_add_u32 s12, s12, llvm.amdgcn.dynlds.offset.table@rel32@lo+4
	s_addc_u32 s13, s13, llvm.amdgcn.dynlds.offset.table@rel32@hi+12
	s_add_u32 s10, s10, s12
	s_addc_u32 s11, s11, s13
	s_load_dword s7, s[10:11], 0x0
	s_waitcnt lgkmcnt(0)
	v_lshl_add_u32 v7, v5, 2, s7
	ds_read_b32 v7, v7 offset:64
	s_waitcnt lgkmcnt(0)
	v_add_f32_e32 v9, v9, v7
	s_or_b64 exec, exec, s[8:9]
	s_and_saveexec_b64 s[8:9], vcc
	s_cbranch_execz .LBB317_736
.LBB317_747:
	s_ashr_i32 s19, s18, 31
	s_lshl_b64 s[10:11], s[18:19], 2
	s_getpc_b64 s[12:13]
	s_add_u32 s12, s12, llvm.amdgcn.dynlds.offset.table@rel32@lo+4
	s_addc_u32 s13, s13, llvm.amdgcn.dynlds.offset.table@rel32@hi+12
	s_add_u32 s10, s10, s12
	s_addc_u32 s11, s11, s13
	s_load_dword s7, s[10:11], 0x0
	s_waitcnt lgkmcnt(0)
	v_lshl_add_u32 v7, v5, 2, s7
	ds_read_b32 v7, v7 offset:128
	s_waitcnt lgkmcnt(0)
	v_add_f32_e32 v2, v2, v7
	s_or_b64 exec, exec, s[8:9]
	s_and_saveexec_b64 s[8:9], vcc
	s_cbranch_execz .LBB317_737
.LBB317_748:
	s_ashr_i32 s19, s18, 31
	s_lshl_b64 s[10:11], s[18:19], 2
	s_getpc_b64 s[12:13]
	s_add_u32 s12, s12, llvm.amdgcn.dynlds.offset.table@rel32@lo+4
	s_addc_u32 s13, s13, llvm.amdgcn.dynlds.offset.table@rel32@hi+12
	s_add_u32 s10, s10, s12
	s_addc_u32 s11, s11, s13
	s_load_dword s7, s[10:11], 0x0
	s_waitcnt lgkmcnt(0)
	v_lshl_add_u32 v7, v5, 2, s7
	ds_read_b32 v7, v7 offset:192
	s_waitcnt lgkmcnt(0)
	v_add_f32_e32 v3, v3, v7
	s_or_b64 exec, exec, s[8:9]
	s_and_saveexec_b64 s[8:9], vcc
	s_cbranch_execz .LBB317_738
.LBB317_749:
	s_ashr_i32 s19, s18, 31
	s_lshl_b64 s[10:11], s[18:19], 2
	s_getpc_b64 s[12:13]
	s_add_u32 s12, s12, llvm.amdgcn.dynlds.offset.table@rel32@lo+4
	s_addc_u32 s13, s13, llvm.amdgcn.dynlds.offset.table@rel32@hi+12
	s_add_u32 s10, s10, s12
	s_addc_u32 s11, s11, s13
	s_load_dword s7, s[10:11], 0x0
	s_waitcnt lgkmcnt(0)
	v_lshl_add_u32 v7, v5, 2, s7
	ds_read_b32 v7, v7 offset:256
	s_waitcnt lgkmcnt(0)
	v_add_f32_e32 v0, v0, v7
	s_or_b64 exec, exec, s[8:9]
	s_and_saveexec_b64 s[8:9], vcc
	s_cbranch_execz .LBB317_739
.LBB317_750:
	s_ashr_i32 s19, s18, 31
	s_lshl_b64 s[10:11], s[18:19], 2
	s_getpc_b64 s[12:13]
	s_add_u32 s12, s12, llvm.amdgcn.dynlds.offset.table@rel32@lo+4
	s_addc_u32 s13, s13, llvm.amdgcn.dynlds.offset.table@rel32@hi+12
	s_add_u32 s10, s10, s12
	s_addc_u32 s11, s11, s13
	s_load_dword s7, s[10:11], 0x0
	s_waitcnt lgkmcnt(0)
	v_lshl_add_u32 v7, v5, 2, s7
	ds_read_b32 v7, v7 offset:320
	s_waitcnt lgkmcnt(0)
	v_add_f32_e32 v1, v1, v7
	s_or_b64 exec, exec, s[8:9]
	s_and_saveexec_b64 s[8:9], vcc
	s_cbranch_execnz .LBB317_740
	s_branch .LBB317_741
.Lfunc_end317:
	.size	_ZN4vllm22paged_attention_kernelIthLi112ELi32ELi128ELNS_18Fp8KVCacheDataTypeE1ELb0ELi512EEEvPfS2_PT_PKS3_PKT0_S9_ifPKiSB_iPKfiiiSD_SD_iiiii, .Lfunc_end317-_ZN4vllm22paged_attention_kernelIthLi112ELi32ELi128ELNS_18Fp8KVCacheDataTypeE1ELb0ELi512EEEvPfS2_PT_PKS3_PKT0_S9_ifPKiSB_iPKfiiiSD_SD_iiiii
                                        ; -- End function
	.section	.AMDGPU.csdata,"",@progbits
; Function info:
; codeLenInByte = 32728
; NumSgprs: 44
; NumVgprs: 64
; NumAgprs: 48
; TotalNumVgprs: 112
; ScratchSize: 144
; MemoryBound: 0
	.section	.text._ZN4vllm25paged_attention_v2_kernelIthLi112ELi32ELi128ELNS_18Fp8KVCacheDataTypeE1ELb0ELi512EEEvPfS2_PT_PKS3_PKT0_S9_ifPKiSB_iPKfiiiSD_SD_iiiii,"axG",@progbits,_ZN4vllm25paged_attention_v2_kernelIthLi112ELi32ELi128ELNS_18Fp8KVCacheDataTypeE1ELb0ELi512EEEvPfS2_PT_PKS3_PKT0_S9_ifPKiSB_iPKfiiiSD_SD_iiiii,comdat
	.protected	_ZN4vllm25paged_attention_v2_kernelIthLi112ELi32ELi128ELNS_18Fp8KVCacheDataTypeE1ELb0ELi512EEEvPfS2_PT_PKS3_PKT0_S9_ifPKiSB_iPKfiiiSD_SD_iiiii ; -- Begin function _ZN4vllm25paged_attention_v2_kernelIthLi112ELi32ELi128ELNS_18Fp8KVCacheDataTypeE1ELb0ELi512EEEvPfS2_PT_PKS3_PKT0_S9_ifPKiSB_iPKfiiiSD_SD_iiiii
	.globl	_ZN4vllm25paged_attention_v2_kernelIthLi112ELi32ELi128ELNS_18Fp8KVCacheDataTypeE1ELb0ELi512EEEvPfS2_PT_PKS3_PKT0_S9_ifPKiSB_iPKfiiiSD_SD_iiiii
	.p2align	8
	.type	_ZN4vllm25paged_attention_v2_kernelIthLi112ELi32ELi128ELNS_18Fp8KVCacheDataTypeE1ELb0ELi512EEEvPfS2_PT_PKS3_PKT0_S9_ifPKiSB_iPKfiiiSD_SD_iiiii,@function
_ZN4vllm25paged_attention_v2_kernelIthLi112ELi32ELi128ELNS_18Fp8KVCacheDataTypeE1ELb0ELi512EEEvPfS2_PT_PKS3_PKT0_S9_ifPKiSB_iPKfiiiSD_SD_iiiii: ; @_ZN4vllm25paged_attention_v2_kernelIthLi112ELi32ELi128ELNS_18Fp8KVCacheDataTypeE1ELb0ELi512EEEvPfS2_PT_PKS3_PKT0_S9_ifPKiSB_iPKfiiiSD_SD_iiiii
; %bb.0:
	s_add_u32 flat_scratch_lo, s6, s11
	s_addc_u32 flat_scratch_hi, s7, 0
	s_add_u32 s0, s0, s11
	s_load_dwordx8 s[24:31], s[4:5], 0x0
	s_load_dwordx8 s[16:23], s[4:5], 0x20
	s_load_dwordx2 s[6:7], s[4:5], 0x40
	s_load_dwordx2 s[34:35], s[4:5], 0x50
	s_load_dword s11, s[4:5], 0x48
	s_load_dwordx8 s[36:43], s[4:5], 0x58
	s_addc_u32 s1, s1, 0
	s_mov_b32 s12, s8
	s_add_u32 s8, s4, 0x90
	s_mov_b32 s13, s9
	s_addc_u32 s9, s5, 0
	s_mov_b32 s14, s10
	s_mov_b32 s15, 40
	v_mov_b32_e32 v31, v0
	s_waitcnt lgkmcnt(0)
	v_mov_b32_e32 v0, s24
	v_mov_b32_e32 v1, s25
	;; [unrolled: 1-line block ×28, first 2 shown]
	s_mov_b32 s32, 0
	s_getpc_b64 s[4:5]
	s_add_u32 s4, s4, _ZN4vllm22paged_attention_kernelIthLi112ELi32ELi128ELNS_18Fp8KVCacheDataTypeE1ELb0ELi512EEEvPfS2_PT_PKS3_PKT0_S9_ifPKiSB_iPKfiiiSD_SD_iiiii@rel32@lo+4
	s_addc_u32 s5, s5, _ZN4vllm22paged_attention_kernelIthLi112ELi32ELi128ELNS_18Fp8KVCacheDataTypeE1ELb0ELi512EEEvPfS2_PT_PKS3_PKT0_S9_ifPKiSB_iPKfiiiSD_SD_iiiii@rel32@hi+12
	s_swappc_b64 s[30:31], s[4:5]
	s_endpgm
	.section	.rodata,"a",@progbits
	.p2align	6, 0x0
	.amdhsa_kernel _ZN4vllm25paged_attention_v2_kernelIthLi112ELi32ELi128ELNS_18Fp8KVCacheDataTypeE1ELb0ELi512EEEvPfS2_PT_PKS3_PKT0_S9_ifPKiSB_iPKfiiiSD_SD_iiiii
		.amdhsa_group_segment_fixed_size 240
		.amdhsa_private_segment_fixed_size 144
		.amdhsa_kernarg_size 400
		.amdhsa_user_sgpr_count 8
		.amdhsa_user_sgpr_private_segment_buffer 1
		.amdhsa_user_sgpr_dispatch_ptr 0
		.amdhsa_user_sgpr_queue_ptr 0
		.amdhsa_user_sgpr_kernarg_segment_ptr 1
		.amdhsa_user_sgpr_dispatch_id 0
		.amdhsa_user_sgpr_flat_scratch_init 1
		.amdhsa_user_sgpr_kernarg_preload_length 0
		.amdhsa_user_sgpr_kernarg_preload_offset 0
		.amdhsa_user_sgpr_private_segment_size 0
		.amdhsa_uses_dynamic_stack 0
		.amdhsa_system_sgpr_private_segment_wavefront_offset 1
		.amdhsa_system_sgpr_workgroup_id_x 1
		.amdhsa_system_sgpr_workgroup_id_y 1
		.amdhsa_system_sgpr_workgroup_id_z 1
		.amdhsa_system_sgpr_workgroup_info 0
		.amdhsa_system_vgpr_workitem_id 0
		.amdhsa_next_free_vgpr 112
		.amdhsa_next_free_sgpr 44
		.amdhsa_accum_offset 64
		.amdhsa_reserve_vcc 1
		.amdhsa_reserve_flat_scratch 1
		.amdhsa_float_round_mode_32 0
		.amdhsa_float_round_mode_16_64 0
		.amdhsa_float_denorm_mode_32 3
		.amdhsa_float_denorm_mode_16_64 3
		.amdhsa_dx10_clamp 1
		.amdhsa_ieee_mode 1
		.amdhsa_fp16_overflow 0
		.amdhsa_tg_split 0
		.amdhsa_exception_fp_ieee_invalid_op 0
		.amdhsa_exception_fp_denorm_src 0
		.amdhsa_exception_fp_ieee_div_zero 0
		.amdhsa_exception_fp_ieee_overflow 0
		.amdhsa_exception_fp_ieee_underflow 0
		.amdhsa_exception_fp_ieee_inexact 0
		.amdhsa_exception_int_div_zero 0
	.end_amdhsa_kernel
	.section	.text._ZN4vllm25paged_attention_v2_kernelIthLi112ELi32ELi128ELNS_18Fp8KVCacheDataTypeE1ELb0ELi512EEEvPfS2_PT_PKS3_PKT0_S9_ifPKiSB_iPKfiiiSD_SD_iiiii,"axG",@progbits,_ZN4vllm25paged_attention_v2_kernelIthLi112ELi32ELi128ELNS_18Fp8KVCacheDataTypeE1ELb0ELi512EEEvPfS2_PT_PKS3_PKT0_S9_ifPKiSB_iPKfiiiSD_SD_iiiii,comdat
.Lfunc_end318:
	.size	_ZN4vllm25paged_attention_v2_kernelIthLi112ELi32ELi128ELNS_18Fp8KVCacheDataTypeE1ELb0ELi512EEEvPfS2_PT_PKS3_PKT0_S9_ifPKiSB_iPKfiiiSD_SD_iiiii, .Lfunc_end318-_ZN4vllm25paged_attention_v2_kernelIthLi112ELi32ELi128ELNS_18Fp8KVCacheDataTypeE1ELb0ELi512EEEvPfS2_PT_PKS3_PKT0_S9_ifPKiSB_iPKfiiiSD_SD_iiiii
                                        ; -- End function
	.section	.AMDGPU.csdata,"",@progbits
; Kernel info:
; codeLenInByte = 244
; NumSgprs: 50
; NumVgprs: 64
; NumAgprs: 48
; TotalNumVgprs: 112
; ScratchSize: 144
; MemoryBound: 0
; FloatMode: 240
; IeeeMode: 1
; LDSByteSize: 240 bytes/workgroup (compile time only)
; SGPRBlocks: 6
; VGPRBlocks: 13
; NumSGPRsForWavesPerEU: 50
; NumVGPRsForWavesPerEU: 112
; AccumOffset: 64
; Occupancy: 4
; WaveLimiterHint : 1
; COMPUTE_PGM_RSRC2:SCRATCH_EN: 1
; COMPUTE_PGM_RSRC2:USER_SGPR: 8
; COMPUTE_PGM_RSRC2:TRAP_HANDLER: 0
; COMPUTE_PGM_RSRC2:TGID_X_EN: 1
; COMPUTE_PGM_RSRC2:TGID_Y_EN: 1
; COMPUTE_PGM_RSRC2:TGID_Z_EN: 1
; COMPUTE_PGM_RSRC2:TIDIG_COMP_CNT: 0
; COMPUTE_PGM_RSRC3_GFX90A:ACCUM_OFFSET: 15
; COMPUTE_PGM_RSRC3_GFX90A:TG_SPLIT: 0
	.text
	.p2align	2                               ; -- Begin function _ZN4vllm22paged_attention_kernelIthLi120ELi32ELi128ELNS_18Fp8KVCacheDataTypeE1ELb0ELi512EEEvPfS2_PT_PKS3_PKT0_S9_ifPKiSB_iPKfiiiSD_SD_iiiii
	.type	_ZN4vllm22paged_attention_kernelIthLi120ELi32ELi128ELNS_18Fp8KVCacheDataTypeE1ELb0ELi512EEEvPfS2_PT_PKS3_PKT0_S9_ifPKiSB_iPKfiiiSD_SD_iiiii,@function
_ZN4vllm22paged_attention_kernelIthLi120ELi32ELi128ELNS_18Fp8KVCacheDataTypeE1ELb0ELi512EEEvPfS2_PT_PKS3_PKT0_S9_ifPKiSB_iPKfiiiSD_SD_iiiii: ; @_ZN4vllm22paged_attention_kernelIthLi120ELi32ELi128ELNS_18Fp8KVCacheDataTypeE1ELb0ELi512EEEvPfS2_PT_PKS3_PKT0_S9_ifPKiSB_iPKfiiiSD_SD_iiiii
; %bb.0:
	s_waitcnt vmcnt(0) expcnt(0) lgkmcnt(0)
	s_or_saveexec_b64 s[4:5], -1
	buffer_store_dword v63, off, s[0:3], s32 offset:140 ; 4-byte Folded Spill
	s_mov_b64 exec, s[4:5]
	buffer_store_dword v40, off, s[0:3], s32 offset:108 ; 4-byte Folded Spill
	buffer_store_dword v41, off, s[0:3], s32 offset:104 ; 4-byte Folded Spill
	;; [unrolled: 1-line block ×27, first 2 shown]
	buffer_store_dword a44, off, s[0:3], s32 ; 4-byte Folded Spill
	v_writelane_b32 v63, s34, 0
	v_writelane_b32 v63, s35, 1
	;; [unrolled: 1-line block ×8, first 2 shown]
	s_mov_b32 s22, s13
	s_ashr_i32 s23, s13, 31
	s_lshl_b64 s[4:5], s[22:23], 2
	v_accvgpr_write_b32 a1, v4
	v_accvgpr_write_b32 a16, v2
	v_mov_b32_e32 v2, s5
	v_add_co_u32_e32 v4, vcc, s4, v16
	v_accvgpr_write_b32 a0, v5
	v_addc_co_u32_e32 v5, vcc, v17, v2, vcc
	flat_load_dword v2, v[4:5]
	v_accvgpr_write_b32 a4, v26
	v_accvgpr_write_b32 a27, v25
	s_lshl_b32 s23, s14, 9
	v_accvgpr_write_b32 a5, v27
	v_accvgpr_write_b32 a26, v24
	;; [unrolled: 1-line block ×3, first 2 shown]
	v_mov_b32_e32 v29, v20
	v_mov_b32_e32 v28, v19
	v_accvgpr_write_b32 a28, v15
	v_accvgpr_write_b32 a7, v14
	;; [unrolled: 1-line block ×5, first 2 shown]
	s_waitcnt vmcnt(0) lgkmcnt(0)
	v_accvgpr_write_b32 a8, v2
	v_cmp_lt_i32_e32 vcc, s23, v2
	s_and_saveexec_b64 s[16:17], vcc
	s_cbranch_execz .LBB319_828
; %bb.1:
	v_accvgpr_write_b32 a14, v0
	v_sub_u32_e32 v0, 0, v12
	v_max_i32_e32 v0, v12, v0
	v_accvgpr_write_b32 a13, v1
	v_cvt_f32_u32_e32 v1, v0
	s_load_dword s4, s[8:9], 0x10
	s_load_dword s6, s[8:9], 0x0
	v_accvgpr_write_b32 a15, v3
	v_sub_u32_e32 v3, 0, v0
	v_rcp_iflag_f32_e32 v1, v1
	s_waitcnt lgkmcnt(0)
	s_lshr_b32 s4, s4, 16
	s_cmp_lg_u32 s4, 0
	s_cselect_b64 s[4:5], -1, 0
	v_mul_f32_e32 v1, 0x4f7ffffe, v1
	v_cvt_u32_f32_e32 v1, v1
	s_cmp_lg_u64 s[4:5], 0
	s_mov_b32 s18, s15
	s_addc_u32 s15, s6, 0
	v_mul_lo_u32 v3, v3, v1
	v_mul_hi_u32 v3, v1, v3
	s_abs_i32 s4, s15
	v_add_u32_e32 v1, v1, v3
	v_mul_hi_u32 v1, s4, v1
	v_mul_lo_u32 v3, v1, v0
	v_sub_u32_e32 v3, s4, v3
	v_add_u32_e32 v4, 1, v1
	v_cmp_ge_u32_e32 vcc, v3, v0
	v_cndmask_b32_e32 v1, v1, v4, vcc
	v_sub_u32_e32 v4, v3, v0
	v_cndmask_b32_e32 v3, v3, v4, vcc
	v_xor_b32_e32 v2, s15, v12
	v_add_u32_e32 v4, 1, v1
	v_cmp_ge_u32_e32 vcc, v3, v0
	v_ashrrev_i32_e32 v2, 31, v2
	v_cndmask_b32_e32 v0, v1, v4, vcc
	v_xor_b32_e32 v0, v0, v2
	v_sub_u32_e32 v0, v0, v2
	v_sub_u32_e32 v1, 0, v0
	v_max_i32_e32 v1, v0, v1
	v_cvt_f32_u32_e32 v2, v1
	v_sub_u32_e32 v3, 0, v1
	s_abs_i32 s6, s12
	v_cmp_ne_u64_e32 vcc, 0, v[28:29]
	v_rcp_iflag_f32_e32 v2, v2
	v_mul_f32_e32 v2, 0x4f7ffffe, v2
	v_cvt_u32_f32_e32 v2, v2
	v_mul_lo_u32 v3, v3, v2
	v_mul_hi_u32 v3, v2, v3
	v_add_u32_e32 v2, v2, v3
	v_mad_u64_u32 v[32:33], s[4:5], s6, v2, 0
	v_mov_b32_e32 v2, 0
	buffer_store_dword v2, off, s[0:3], s32 offset:136 ; 4-byte Folded Spill
	s_and_saveexec_b64 s[4:5], vcc
	s_cbranch_execz .LBB319_3
; %bb.2:
	s_ashr_i32 s13, s12, 31
	s_lshl_b64 s[10:11], s[12:13], 2
	v_mov_b32_e32 v3, s11
	v_add_co_u32_e32 v2, vcc, s10, v28
	v_addc_co_u32_e32 v3, vcc, v29, v3, vcc
	flat_load_dword v2, v[2:3]
	s_waitcnt vmcnt(0) lgkmcnt(0)
	buffer_store_dword v2, off, s[0:3], s32 offset:136 ; 4-byte Folded Spill
.LBB319_3:
	s_or_b64 exec, exec, s[4:5]
	v_and_b32_e32 v10, 0x3ff, v31
	v_lshlrev_b32_e32 v3, 3, v10
	s_ashr_i32 s7, s12, 31
	v_ashrrev_i32_e32 v2, 31, v0
	v_and_b32_e32 v0, 1, v10
	s_movk_i32 s10, 0x78
	s_mul_i32 s20, s12, 0x78
	v_cmp_gt_u32_e32 vcc, 30, v10
	v_accvgpr_write_b32 a17, v3
	s_and_saveexec_b64 s[4:5], vcc
	s_cbranch_execz .LBB319_5
; %bb.4:
	v_mul_lo_u32 v4, s22, v21
	v_ashrrev_i32_e32 v5, 31, v4
	v_lshlrev_b64 v[4:5], 1, v[4:5]
	v_add_co_u32_e32 v3, vcc, v6, v4
	s_ashr_i32 s21, s20, 31
	v_addc_co_u32_e32 v4, vcc, v7, v5, vcc
	s_lshl_b64 s[24:25], s[20:21], 1
	v_mov_b32_e32 v5, s25
	v_add_co_u32_e32 v3, vcc, s24, v3
	v_addc_co_u32_e32 v5, vcc, v4, v5, vcc
	v_accvgpr_read_b32 v4, a17
	v_add_co_u32_e32 v4, vcc, v3, v4
	v_addc_co_u32_e32 v5, vcc, 0, v5, vcc
	flat_load_dwordx2 v[4:5], v[4:5]
	v_lshlrev_b32_e32 v3, 2, v10
	v_and_b32_e32 v3, 0xff8, v3
	v_mad_u32_u24 v3, v0, s10, v3
	s_waitcnt vmcnt(0) lgkmcnt(0)
	ds_write_b64 v3, v[4:5]
.LBB319_5:
	s_or_b64 exec, exec, s[4:5]
	v_accvgpr_read_b32 v4, a8
	v_add_u32_e32 v3, 31, v4
	v_ashrrev_i32_e32 v4, 31, v3
	v_lshrrev_b32_e32 v4, 27, v4
	v_add_u32_e32 v3, v3, v4
	s_lshl_b32 s21, s14, 4
	v_ashrrev_i32_e32 v3, 5, v3
	s_add_i32 s4, s21, 16
	v_accvgpr_write_b32 a19, v3
	v_min_i32_e32 v6, s4, v3
	v_mul_lo_u32 v3, v33, v1
	v_sub_u32_e32 v3, s6, v3
	v_add_u32_e32 v4, 1, v33
	v_cmp_ge_u32_e32 vcc, v3, v1
	v_sub_u32_e32 v5, v3, v1
	v_cndmask_b32_e32 v4, v33, v4, vcc
	v_cndmask_b32_e32 v3, v3, v5, vcc
	v_add_u32_e32 v5, 1, v4
	v_cmp_ge_u32_e32 vcc, v3, v1
	v_xor_b32_e32 v2, s7, v2
	v_cndmask_b32_e32 v1, v4, v5, vcc
	v_lshrrev_b32_e32 v7, 6, v10
	v_xor_b32_e32 v1, v1, v2
	v_sub_u32_e32 v3, v1, v2
	v_mul_lo_u32 v18, s22, v18
	v_or_b32_e32 v2, s21, v7
	v_accvgpr_write_b32 a2, v10
	v_ashrrev_i32_e32 v19, 31, v18
	v_accvgpr_write_b32 a18, v7
	v_cmp_lt_i32_e64 s[4:5], v2, v6
	v_accvgpr_write_b32 a3, v6
	v_mov_b32_e32 v4, v2
	v_cmp_ge_i32_e32 vcc, v2, v6
	v_mbcnt_lo_u32_b32 v2, -1, 0
	s_waitcnt lgkmcnt(0)
	s_barrier
	s_waitcnt lgkmcnt(0)
                                        ; implicit-def: $sgpr19
                                        ; implicit-def: $agpr29
                                        ; implicit-def: $vgpr1
	s_and_saveexec_b64 s[6:7], vcc
	s_xor_b64 s[6:7], exec, s[6:7]
; %bb.6:
	v_mbcnt_hi_u32_b32 v0, -1, v2
	v_accvgpr_write_b32 a29, v0
	v_and_b32_e32 v0, 64, v0
	v_add_u32_e32 v1, 64, v0
	s_mov_b32 s19, 0xff7fffff
                                        ; implicit-def: $vgpr0
                                        ; kill: killed $vgpr0
                                        ; implicit-def: $agpr25
                                        ; implicit-def: $agpr26
                                        ; implicit-def: $vgpr8
                                        ; implicit-def: $vgpr9
                                        ; implicit-def: $vgpr0
                                        ; implicit-def: $vgpr2
; %bb.7:
	s_or_saveexec_b64 s[10:11], s[6:7]
	v_mov_b32_e32 v5, s19
	s_load_dword s36, s[8:9], 0x14
	s_load_dword s13, s[8:9], 0x8
	buffer_store_dword v5, off, s[0:3], s32 offset:132 ; 4-byte Folded Spill
	v_mul_lo_u32 v3, v3, v23
	v_ashrrev_i32_e32 v5, 31, v4
	v_accvgpr_write_b32 a11, v5
	v_accvgpr_write_b32 a23, v3
	v_ashrrev_i32_e32 v3, 31, v3
	v_accvgpr_write_b32 a10, v4
	v_accvgpr_write_b32 a24, v3
	v_lshlrev_b64 v[4:5], 2, v[18:19]
	v_accvgpr_read_b32 v3, a18
	v_accvgpr_write_b32 a21, v5
	v_lshlrev_b32_e32 v3, 5, v3
	v_accvgpr_write_b32 a20, v4
	v_accvgpr_write_b32 a22, v3
	s_xor_b64 exec, exec, s[10:11]
	s_cbranch_execz .LBB319_373
; %bb.8:
	v_accvgpr_read_b32 v1, a2
	v_bfe_u32 v3, v1, 1, 5
	v_accvgpr_read_b32 v1, a23
	v_add_co_u32_e32 v1, vcc, v8, v1
	v_accvgpr_read_b32 v4, a24
	v_addc_co_u32_e32 v4, vcc, v9, v4, vcc
	v_lshlrev_b32_e32 v5, 4, v3
	v_add_co_u32_e32 v6, vcc, v1, v5
	v_addc_co_u32_e32 v7, vcc, 0, v4, vcc
	v_lshlrev_b32_e32 v4, 2, v0
	v_mul_u32_u24_e32 v1, 0x78, v0
	v_cmp_eq_u32_e32 vcc, 0, v0
	buffer_load_dword v0, off, s[0:3], s32 offset:136 ; 4-byte Folded Reload
	s_ashr_i32 s19, s18, 31
	v_accvgpr_write_b32 a32, v4
	s_lshl_b64 s[8:9], s[18:19], 2
	v_accvgpr_read_b32 v4, a10
	v_accvgpr_write_b32 a31, v7
	s_getpc_b64 s[24:25]
	s_add_u32 s24, s24, llvm.amdgcn.dynlds.offset.table@rel32@lo+4
	s_addc_u32 s25, s25, llvm.amdgcn.dynlds.offset.table@rel32@hi+12
	v_accvgpr_read_b32 v5, a11
	v_accvgpr_write_b32 a30, v6
	v_accvgpr_write_b32 a33, v1
	s_add_u32 s24, s8, s24
	v_accvgpr_read_b32 v6, a20
	s_addc_u32 s25, s9, s25
	v_accvgpr_read_b32 v7, a21
	s_mov_b64 s[26:27], 0
	s_movk_i32 s19, 0x80
	s_movk_i32 s37, 0x7f
	s_mov_b32 s38, 0x8000
	s_mov_b32 s39, 0xffffff
	v_mov_b32_e32 v8, v4
	s_waitcnt vmcnt(0)
	v_cmp_neq_f32_e64 s[6:7], 0, v0
	v_lshlrev_b64 v[0:1], 2, v[4:5]
	v_add_co_u32_e64 v0, s[8:9], v6, v0
	v_addc_co_u32_e64 v1, s[8:9], v7, v1, s[8:9]
	v_accvgpr_read_b32 v5, a7
	v_add_co_u32_e64 v6, s[8:9], v5, v0
	v_accvgpr_read_b32 v0, a28
	v_addc_co_u32_e64 v7, s[8:9], v0, v1, s[8:9]
	v_accvgpr_read_b32 v0, a8
	v_sub_u32_e32 v0, 1, v0
	v_accvgpr_write_b32 a36, v0
	v_accvgpr_read_b32 v0, a22
	v_add3_u32 v0, s23, v0, v3
	v_accvgpr_write_b32 a37, v0
	v_lshlrev_b32_e32 v0, 2, v3
	v_accvgpr_read_b32 v1, a18
	v_lshl_or_b32 v0, v1, 7, v0
	v_accvgpr_write_b32 a38, v0
	v_mov_b32_e32 v0, 0xff7fffff
	buffer_store_dword v0, off, s[0:3], s32 offset:132 ; 4-byte Folded Spill
	v_mbcnt_hi_u32_b32 v0, -1, v2
	v_accvgpr_write_b32 a29, v0
	s_branch .LBB319_10
.LBB319_9:                              ;   in Loop: Header=BB319_10 Depth=1
	s_or_b64 exec, exec, s[28:29]
	v_accvgpr_read_b32 v6, a34
	v_accvgpr_read_b32 v0, a37
	;; [unrolled: 1-line block ×3, first 2 shown]
	v_add_co_u32_e64 v6, s[8:9], 8, v6
	v_add_u32_e32 v0, 64, v0
	v_add_u32_e32 v8, 2, v8
	v_addc_co_u32_e64 v7, s[8:9], 0, v7, s[8:9]
	v_accvgpr_write_b32 a37, v0
	v_accvgpr_read_b32 v0, a3
	v_cmp_ge_i32_e64 s[8:9], v8, v0
	v_accvgpr_read_b32 v0, a38
	v_add_u32_e32 v0, 0x100, v0
	s_or_b64 s[26:27], s[8:9], s[26:27]
	v_accvgpr_write_b32 a38, v0
	s_andn2_b64 exec, exec, s[26:27]
	s_cbranch_execz .LBB319_372
.LBB319_10:                             ; =>This Inner Loop Header: Depth=1
	flat_load_dword v0, v[6:7]
	v_accvgpr_read_b32 v4, a30
	s_waitcnt lgkmcnt(0)
	v_accvgpr_read_b32 v2, a6
	v_accvgpr_read_b32 v5, a31
	v_accvgpr_write_b32 a35, v7
	v_accvgpr_write_b32 a39, v8
	;; [unrolled: 1-line block ×3, first 2 shown]
	s_waitcnt vmcnt(0) lgkmcnt(0)
	v_mad_i64_i32 v[0:1], s[8:9], v0, v2, v[4:5]
	v_accvgpr_read_b32 v2, a32
	v_add_co_u32_e64 v28, s[8:9], v0, v2
	v_addc_co_u32_e64 v29, s[8:9], 0, v1, s[8:9]
	v_accvgpr_read_b32 v0, a26
	flat_load_dword v30, v[28:29]
	v_accvgpr_read_b32 v1, a27
	flat_load_dword v40, v[0:1]
	v_mov_b32_e32 v0, 0
	s_waitcnt vmcnt(0) lgkmcnt(0)
	v_cmp_ne_u16_sdwa s[8:9], v30, v0 src0_sel:BYTE_0 src1_sel:DWORD
	v_mov_b32_e32 v0, 0
	buffer_store_dword v0, off, s[0:3], s32 offset:116 ; 4-byte Folded Spill
	s_and_saveexec_b64 s[28:29], s[8:9]
	s_cbranch_execz .LBB319_16
; %bb.11:                               ;   in Loop: Header=BB319_10 Depth=1
	v_cmp_ne_u16_sdwa s[8:9], v30, s19 src0_sel:BYTE_0 src1_sel:DWORD
	v_bfrev_b32_e32 v0, 1
	buffer_store_dword v0, off, s[0:3], s32 offset:116 ; 4-byte Folded Spill
	s_and_saveexec_b64 s[30:31], s[8:9]
	s_cbranch_execz .LBB319_15
; %bb.12:                               ;   in Loop: Header=BB319_10 Depth=1
	v_and_b32_e32 v0, 0x7f, v30
	v_cmp_ne_u32_e64 s[8:9], s37, v0
	v_mov_b32_e32 v1, 0x7fc02000
	buffer_store_dword v1, off, s[0:3], s32 offset:116 ; 4-byte Folded Spill
	s_and_saveexec_b64 s[34:35], s[8:9]
	s_cbranch_execz .LBB319_14
; %bb.13:                               ;   in Loop: Header=BB319_10 Depth=1
	v_and_b32_e32 v1, 7, v30
	v_ffbh_u32_e32 v2, v1
	v_min_u32_e32 v5, 32, v2
	v_subrev_u32_e32 v2, 28, v5
	v_lshlrev_b64 v[2:3], v2, v[30:31]
	v_lshrrev_b32_e32 v4, 3, v0
	v_sub_u32_e32 v3, 29, v5
	v_cmp_gt_u32_e64 s[8:9], 8, v0
	v_and_b32_e32 v2, 7, v2
	v_cndmask_b32_e64 v0, v4, v3, s[8:9]
	v_mov_b32_e32 v3, 0x2000
	v_cndmask_b32_e64 v1, v1, v2, s[8:9]
	v_lshlrev_b32_e32 v2, 8, v30
	v_lshl_add_u32 v0, v0, 10, v3
	v_and_or_b32 v0, v2, s38, v0
	v_lshl_or_b32 v0, v1, 7, v0
	v_cvt_f32_f16_e32 v0, v0
	buffer_store_dword v0, off, s[0:3], s32 offset:116 ; 4-byte Folded Spill
.LBB319_14:                             ;   in Loop: Header=BB319_10 Depth=1
	s_or_b64 exec, exec, s[34:35]
.LBB319_15:                             ;   in Loop: Header=BB319_10 Depth=1
	s_or_b64 exec, exec, s[30:31]
.LBB319_16:                             ;   in Loop: Header=BB319_10 Depth=1
	s_or_b64 exec, exec, s[28:29]
	v_lshrrev_b16_e32 v32, 8, v30
	v_cmp_ne_u16_e64 s[8:9], 0, v32
	v_mov_b32_e32 v15, 0
	s_and_saveexec_b64 s[28:29], s[8:9]
	s_cbranch_execz .LBB319_22
; %bb.17:                               ;   in Loop: Header=BB319_10 Depth=1
	v_cmp_ne_u16_e64 s[8:9], s19, v32
	v_bfrev_b32_e32 v15, 1
	s_and_saveexec_b64 s[30:31], s[8:9]
	s_cbranch_execz .LBB319_21
; %bb.18:                               ;   in Loop: Header=BB319_10 Depth=1
	v_and_b32_e32 v0, 0x7f, v32
	v_cmp_ne_u32_e64 s[8:9], s37, v0
	v_mov_b32_e32 v15, 0x7fc02000
	s_and_saveexec_b64 s[34:35], s[8:9]
	s_cbranch_execz .LBB319_20
; %bb.19:                               ;   in Loop: Header=BB319_10 Depth=1
	v_and_b32_e32 v1, 7, v32
	v_ffbh_u32_e32 v2, v1
	v_min_u32_e32 v5, 32, v2
	v_subrev_u32_e32 v2, 28, v5
	v_lshlrev_b64 v[2:3], v2, v[32:33]
	v_lshrrev_b32_e32 v4, 3, v0
	v_sub_u32_e32 v3, 29, v5
	v_cmp_gt_u32_e64 s[8:9], 8, v0
	v_and_b32_e32 v2, 7, v2
	v_cndmask_b32_e64 v0, v4, v3, s[8:9]
	v_mov_b32_e32 v3, 0x2000
	v_cndmask_b32_e64 v1, v1, v2, s[8:9]
	v_lshlrev_b32_e32 v2, 8, v32
	v_lshl_add_u32 v0, v0, 10, v3
	v_and_or_b32 v0, v2, s38, v0
	v_lshl_or_b32 v0, v1, 7, v0
	v_cvt_f32_f16_e32 v15, v0
.LBB319_20:                             ;   in Loop: Header=BB319_10 Depth=1
	s_or_b64 exec, exec, s[34:35]
.LBB319_21:                             ;   in Loop: Header=BB319_10 Depth=1
	s_or_b64 exec, exec, s[30:31]
.LBB319_22:                             ;   in Loop: Header=BB319_10 Depth=1
	s_or_b64 exec, exec, s[28:29]
	v_lshrrev_b32_e32 v32, 16, v30
	v_mov_b32_e32 v0, 0
	v_cmp_ne_u16_sdwa s[8:9], v32, v0 src0_sel:BYTE_0 src1_sel:DWORD
	v_mov_b32_e32 v36, 0
	v_mov_b32_e32 v0, 0
	buffer_store_dword v0, off, s[0:3], s32 offset:120 ; 4-byte Folded Spill
	s_and_saveexec_b64 s[28:29], s[8:9]
	s_cbranch_execz .LBB319_28
; %bb.23:                               ;   in Loop: Header=BB319_10 Depth=1
	v_cmp_ne_u16_sdwa s[8:9], v32, s19 src0_sel:BYTE_0 src1_sel:DWORD
	v_bfrev_b32_e32 v0, 1
	buffer_store_dword v0, off, s[0:3], s32 offset:120 ; 4-byte Folded Spill
	s_and_saveexec_b64 s[30:31], s[8:9]
	s_cbranch_execz .LBB319_27
; %bb.24:                               ;   in Loop: Header=BB319_10 Depth=1
	v_bfe_u32 v0, v30, 16, 7
	v_cmp_ne_u32_e64 s[8:9], s37, v0
	v_mov_b32_e32 v1, 0x7fc02000
	buffer_store_dword v1, off, s[0:3], s32 offset:120 ; 4-byte Folded Spill
	s_and_saveexec_b64 s[34:35], s[8:9]
	s_cbranch_execz .LBB319_26
; %bb.25:                               ;   in Loop: Header=BB319_10 Depth=1
	v_and_b32_e32 v1, 7, v32
	v_ffbh_u32_e32 v2, v1
	v_min_u32_e32 v5, 32, v2
	v_subrev_u32_e32 v2, 28, v5
	v_lshlrev_b64 v[2:3], v2, v[32:33]
	v_lshrrev_b32_e32 v4, 3, v0
	v_sub_u32_e32 v3, 29, v5
	v_cmp_gt_u32_e64 s[8:9], 8, v0
	v_and_b32_e32 v2, 7, v2
	v_cndmask_b32_e64 v0, v4, v3, s[8:9]
	v_mov_b32_e32 v3, 0x2000
	v_cndmask_b32_e64 v1, v1, v2, s[8:9]
	v_lshlrev_b32_e32 v2, 8, v32
	v_lshl_add_u32 v0, v0, 10, v3
	v_and_or_b32 v0, v2, s38, v0
	v_lshl_or_b32 v0, v1, 7, v0
	v_cvt_f32_f16_e32 v0, v0
	buffer_store_dword v0, off, s[0:3], s32 offset:120 ; 4-byte Folded Spill
.LBB319_26:                             ;   in Loop: Header=BB319_10 Depth=1
	s_or_b64 exec, exec, s[34:35]
.LBB319_27:                             ;   in Loop: Header=BB319_10 Depth=1
	s_or_b64 exec, exec, s[30:31]
.LBB319_28:                             ;   in Loop: Header=BB319_10 Depth=1
	s_or_b64 exec, exec, s[28:29]
	v_cmp_lt_u32_e64 s[8:9], s39, v30
	s_and_saveexec_b64 s[28:29], s[8:9]
	s_cbranch_execz .LBB319_34
; %bb.29:                               ;   in Loop: Header=BB319_10 Depth=1
	v_lshrrev_b32_e32 v30, 24, v30
	v_cmp_ne_u32_e64 s[8:9], s19, v30
	v_bfrev_b32_e32 v36, 1
	s_and_saveexec_b64 s[30:31], s[8:9]
	s_cbranch_execz .LBB319_33
; %bb.30:                               ;   in Loop: Header=BB319_10 Depth=1
	v_and_b32_e32 v0, 0x7f, v30
	v_cmp_ne_u32_e64 s[8:9], s37, v0
	v_mov_b32_e32 v36, 0x7fc02000
	s_and_saveexec_b64 s[34:35], s[8:9]
	s_cbranch_execz .LBB319_32
; %bb.31:                               ;   in Loop: Header=BB319_10 Depth=1
	v_and_b32_e32 v1, 7, v30
	v_ffbh_u32_e32 v2, v1
	v_min_u32_e32 v5, 32, v2
	v_subrev_u32_e32 v2, 28, v5
	v_lshlrev_b64 v[2:3], v2, v[30:31]
	v_lshrrev_b32_e32 v4, 3, v0
	v_sub_u32_e32 v3, 29, v5
	v_cmp_gt_u32_e64 s[8:9], 8, v0
	v_and_b32_e32 v2, 7, v2
	v_cndmask_b32_e64 v0, v4, v3, s[8:9]
	v_mov_b32_e32 v3, 0x2000
	v_cndmask_b32_e64 v1, v1, v2, s[8:9]
	v_lshlrev_b32_e32 v2, 8, v30
	v_lshl_add_u32 v0, v0, 10, v3
	v_and_or_b32 v0, v2, s38, v0
	v_lshl_or_b32 v0, v1, 7, v0
	v_cvt_f32_f16_e32 v36, v0
.LBB319_32:                             ;   in Loop: Header=BB319_10 Depth=1
	s_or_b64 exec, exec, s[34:35]
.LBB319_33:                             ;   in Loop: Header=BB319_10 Depth=1
	s_or_b64 exec, exec, s[30:31]
.LBB319_34:                             ;   in Loop: Header=BB319_10 Depth=1
	s_or_b64 exec, exec, s[28:29]
	flat_load_dword v30, v[28:29] offset:8
	v_mov_b32_e32 v0, 0
	v_mov_b32_e32 v23, 0
	;; [unrolled: 1-line block ×3, first 2 shown]
	s_waitcnt vmcnt(0) lgkmcnt(0)
	v_cmp_ne_u16_sdwa s[8:9], v30, v0 src0_sel:BYTE_0 src1_sel:DWORD
	s_and_saveexec_b64 s[28:29], s[8:9]
	s_cbranch_execz .LBB319_40
; %bb.35:                               ;   in Loop: Header=BB319_10 Depth=1
	v_cmp_ne_u16_sdwa s[8:9], v30, s19 src0_sel:BYTE_0 src1_sel:DWORD
	v_bfrev_b32_e32 v34, 1
	s_and_saveexec_b64 s[30:31], s[8:9]
	s_cbranch_execz .LBB319_39
; %bb.36:                               ;   in Loop: Header=BB319_10 Depth=1
	v_and_b32_e32 v0, 0x7f, v30
	v_cmp_ne_u32_e64 s[8:9], s37, v0
	v_mov_b32_e32 v34, 0x7fc02000
	s_and_saveexec_b64 s[34:35], s[8:9]
	s_cbranch_execz .LBB319_38
; %bb.37:                               ;   in Loop: Header=BB319_10 Depth=1
	v_and_b32_e32 v1, 7, v30
	v_ffbh_u32_e32 v2, v1
	v_min_u32_e32 v5, 32, v2
	v_subrev_u32_e32 v2, 28, v5
	v_lshlrev_b64 v[2:3], v2, v[30:31]
	v_lshrrev_b32_e32 v4, 3, v0
	v_sub_u32_e32 v3, 29, v5
	v_cmp_gt_u32_e64 s[8:9], 8, v0
	v_and_b32_e32 v2, 7, v2
	v_cndmask_b32_e64 v0, v4, v3, s[8:9]
	v_mov_b32_e32 v3, 0x2000
	v_cndmask_b32_e64 v1, v1, v2, s[8:9]
	v_lshlrev_b32_e32 v2, 8, v30
	v_lshl_add_u32 v0, v0, 10, v3
	v_and_or_b32 v0, v2, s38, v0
	v_lshl_or_b32 v0, v1, 7, v0
	v_cvt_f32_f16_e32 v34, v0
.LBB319_38:                             ;   in Loop: Header=BB319_10 Depth=1
	s_or_b64 exec, exec, s[34:35]
.LBB319_39:                             ;   in Loop: Header=BB319_10 Depth=1
	s_or_b64 exec, exec, s[30:31]
.LBB319_40:                             ;   in Loop: Header=BB319_10 Depth=1
	s_or_b64 exec, exec, s[28:29]
	v_lshrrev_b16_e32 v32, 8, v30
	v_cmp_ne_u16_e64 s[8:9], 0, v32
	s_and_saveexec_b64 s[28:29], s[8:9]
	s_cbranch_execz .LBB319_46
; %bb.41:                               ;   in Loop: Header=BB319_10 Depth=1
	v_cmp_ne_u16_e64 s[8:9], s19, v32
	v_bfrev_b32_e32 v23, 1
	s_and_saveexec_b64 s[30:31], s[8:9]
	s_cbranch_execz .LBB319_45
; %bb.42:                               ;   in Loop: Header=BB319_10 Depth=1
	v_and_b32_e32 v0, 0x7f, v32
	v_cmp_ne_u32_e64 s[8:9], s37, v0
	v_mov_b32_e32 v23, 0x7fc02000
	s_and_saveexec_b64 s[34:35], s[8:9]
	s_cbranch_execz .LBB319_44
; %bb.43:                               ;   in Loop: Header=BB319_10 Depth=1
	v_and_b32_e32 v1, 7, v32
	v_ffbh_u32_e32 v2, v1
	v_min_u32_e32 v5, 32, v2
	v_subrev_u32_e32 v2, 28, v5
	v_lshlrev_b64 v[2:3], v2, v[32:33]
	v_lshrrev_b32_e32 v4, 3, v0
	v_sub_u32_e32 v3, 29, v5
	v_cmp_gt_u32_e64 s[8:9], 8, v0
	v_and_b32_e32 v2, 7, v2
	v_cndmask_b32_e64 v0, v4, v3, s[8:9]
	v_mov_b32_e32 v3, 0x2000
	v_cndmask_b32_e64 v1, v1, v2, s[8:9]
	v_lshlrev_b32_e32 v2, 8, v32
	v_lshl_add_u32 v0, v0, 10, v3
	v_and_or_b32 v0, v2, s38, v0
	v_lshl_or_b32 v0, v1, 7, v0
	v_cvt_f32_f16_e32 v23, v0
.LBB319_44:                             ;   in Loop: Header=BB319_10 Depth=1
	s_or_b64 exec, exec, s[34:35]
.LBB319_45:                             ;   in Loop: Header=BB319_10 Depth=1
	s_or_b64 exec, exec, s[30:31]
.LBB319_46:                             ;   in Loop: Header=BB319_10 Depth=1
	s_or_b64 exec, exec, s[28:29]
	v_lshrrev_b32_e32 v32, 16, v30
	v_mov_b32_e32 v0, 0
	v_cmp_ne_u16_sdwa s[8:9], v32, v0 src0_sel:BYTE_0 src1_sel:DWORD
	v_mov_b32_e32 v55, 0
	v_mov_b32_e32 v0, 0
	buffer_store_dword v0, off, s[0:3], s32 offset:124 ; 4-byte Folded Spill
	s_and_saveexec_b64 s[28:29], s[8:9]
	s_cbranch_execz .LBB319_52
; %bb.47:                               ;   in Loop: Header=BB319_10 Depth=1
	v_cmp_ne_u16_sdwa s[8:9], v32, s19 src0_sel:BYTE_0 src1_sel:DWORD
	v_bfrev_b32_e32 v0, 1
	buffer_store_dword v0, off, s[0:3], s32 offset:124 ; 4-byte Folded Spill
	s_and_saveexec_b64 s[30:31], s[8:9]
	s_cbranch_execz .LBB319_51
; %bb.48:                               ;   in Loop: Header=BB319_10 Depth=1
	v_bfe_u32 v0, v30, 16, 7
	v_cmp_ne_u32_e64 s[8:9], s37, v0
	v_mov_b32_e32 v1, 0x7fc02000
	buffer_store_dword v1, off, s[0:3], s32 offset:124 ; 4-byte Folded Spill
	s_and_saveexec_b64 s[34:35], s[8:9]
	s_cbranch_execz .LBB319_50
; %bb.49:                               ;   in Loop: Header=BB319_10 Depth=1
	v_and_b32_e32 v1, 7, v32
	v_ffbh_u32_e32 v2, v1
	v_min_u32_e32 v5, 32, v2
	v_subrev_u32_e32 v2, 28, v5
	v_lshlrev_b64 v[2:3], v2, v[32:33]
	v_lshrrev_b32_e32 v4, 3, v0
	v_sub_u32_e32 v3, 29, v5
	v_cmp_gt_u32_e64 s[8:9], 8, v0
	v_and_b32_e32 v2, 7, v2
	v_cndmask_b32_e64 v0, v4, v3, s[8:9]
	v_mov_b32_e32 v3, 0x2000
	v_cndmask_b32_e64 v1, v1, v2, s[8:9]
	v_lshlrev_b32_e32 v2, 8, v32
	v_lshl_add_u32 v0, v0, 10, v3
	v_and_or_b32 v0, v2, s38, v0
	v_lshl_or_b32 v0, v1, 7, v0
	v_cvt_f32_f16_e32 v0, v0
	buffer_store_dword v0, off, s[0:3], s32 offset:124 ; 4-byte Folded Spill
.LBB319_50:                             ;   in Loop: Header=BB319_10 Depth=1
	s_or_b64 exec, exec, s[34:35]
.LBB319_51:                             ;   in Loop: Header=BB319_10 Depth=1
	s_or_b64 exec, exec, s[30:31]
.LBB319_52:                             ;   in Loop: Header=BB319_10 Depth=1
	s_or_b64 exec, exec, s[28:29]
	v_cmp_lt_u32_e64 s[8:9], s39, v30
	s_and_saveexec_b64 s[28:29], s[8:9]
	s_cbranch_execz .LBB319_58
; %bb.53:                               ;   in Loop: Header=BB319_10 Depth=1
	v_lshrrev_b32_e32 v30, 24, v30
	v_cmp_ne_u32_e64 s[8:9], s19, v30
	v_bfrev_b32_e32 v55, 1
	s_and_saveexec_b64 s[30:31], s[8:9]
	s_cbranch_execz .LBB319_57
; %bb.54:                               ;   in Loop: Header=BB319_10 Depth=1
	v_and_b32_e32 v0, 0x7f, v30
	v_cmp_ne_u32_e64 s[8:9], s37, v0
	v_mov_b32_e32 v55, 0x7fc02000
	s_and_saveexec_b64 s[34:35], s[8:9]
	s_cbranch_execz .LBB319_56
; %bb.55:                               ;   in Loop: Header=BB319_10 Depth=1
	v_and_b32_e32 v1, 7, v30
	v_ffbh_u32_e32 v2, v1
	v_min_u32_e32 v5, 32, v2
	v_subrev_u32_e32 v2, 28, v5
	v_lshlrev_b64 v[2:3], v2, v[30:31]
	v_lshrrev_b32_e32 v4, 3, v0
	v_sub_u32_e32 v3, 29, v5
	v_cmp_gt_u32_e64 s[8:9], 8, v0
	v_and_b32_e32 v2, 7, v2
	v_cndmask_b32_e64 v0, v4, v3, s[8:9]
	v_mov_b32_e32 v3, 0x2000
	v_cndmask_b32_e64 v1, v1, v2, s[8:9]
	v_lshlrev_b32_e32 v2, 8, v30
	v_lshl_add_u32 v0, v0, 10, v3
	v_and_or_b32 v0, v2, s38, v0
	v_lshl_or_b32 v0, v1, 7, v0
	v_cvt_f32_f16_e32 v55, v0
.LBB319_56:                             ;   in Loop: Header=BB319_10 Depth=1
	s_or_b64 exec, exec, s[34:35]
.LBB319_57:                             ;   in Loop: Header=BB319_10 Depth=1
	s_or_b64 exec, exec, s[30:31]
.LBB319_58:                             ;   in Loop: Header=BB319_10 Depth=1
	s_or_b64 exec, exec, s[28:29]
	flat_load_dword v30, v[28:29] offset:512
	v_mov_b32_e32 v0, 0
	v_mov_b32_e32 v62, 0
	;; [unrolled: 1-line block ×3, first 2 shown]
	s_waitcnt vmcnt(0) lgkmcnt(0)
	v_cmp_ne_u16_sdwa s[8:9], v30, v0 src0_sel:BYTE_0 src1_sel:DWORD
	s_and_saveexec_b64 s[28:29], s[8:9]
	s_cbranch_execz .LBB319_64
; %bb.59:                               ;   in Loop: Header=BB319_10 Depth=1
	v_cmp_ne_u16_sdwa s[8:9], v30, s19 src0_sel:BYTE_0 src1_sel:DWORD
	v_bfrev_b32_e32 v57, 1
	s_and_saveexec_b64 s[30:31], s[8:9]
	s_cbranch_execz .LBB319_63
; %bb.60:                               ;   in Loop: Header=BB319_10 Depth=1
	v_and_b32_e32 v0, 0x7f, v30
	v_cmp_ne_u32_e64 s[8:9], s37, v0
	v_mov_b32_e32 v57, 0x7fc02000
	s_and_saveexec_b64 s[34:35], s[8:9]
	s_cbranch_execz .LBB319_62
; %bb.61:                               ;   in Loop: Header=BB319_10 Depth=1
	v_and_b32_e32 v1, 7, v30
	v_ffbh_u32_e32 v2, v1
	v_min_u32_e32 v5, 32, v2
	v_subrev_u32_e32 v2, 28, v5
	v_lshlrev_b64 v[2:3], v2, v[30:31]
	v_lshrrev_b32_e32 v4, 3, v0
	v_sub_u32_e32 v3, 29, v5
	v_cmp_gt_u32_e64 s[8:9], 8, v0
	v_and_b32_e32 v2, 7, v2
	v_cndmask_b32_e64 v0, v4, v3, s[8:9]
	v_mov_b32_e32 v3, 0x2000
	v_cndmask_b32_e64 v1, v1, v2, s[8:9]
	v_lshlrev_b32_e32 v2, 8, v30
	v_lshl_add_u32 v0, v0, 10, v3
	v_and_or_b32 v0, v2, s38, v0
	v_lshl_or_b32 v0, v1, 7, v0
	v_cvt_f32_f16_e32 v57, v0
.LBB319_62:                             ;   in Loop: Header=BB319_10 Depth=1
	s_or_b64 exec, exec, s[34:35]
.LBB319_63:                             ;   in Loop: Header=BB319_10 Depth=1
	s_or_b64 exec, exec, s[30:31]
.LBB319_64:                             ;   in Loop: Header=BB319_10 Depth=1
	s_or_b64 exec, exec, s[28:29]
	v_lshrrev_b16_e32 v32, 8, v30
	v_cmp_ne_u16_e64 s[8:9], 0, v32
	s_and_saveexec_b64 s[28:29], s[8:9]
	s_cbranch_execz .LBB319_70
; %bb.65:                               ;   in Loop: Header=BB319_10 Depth=1
	v_cmp_ne_u16_e64 s[8:9], s19, v32
	v_bfrev_b32_e32 v62, 1
	s_and_saveexec_b64 s[30:31], s[8:9]
	s_cbranch_execz .LBB319_69
; %bb.66:                               ;   in Loop: Header=BB319_10 Depth=1
	v_and_b32_e32 v0, 0x7f, v32
	v_cmp_ne_u32_e64 s[8:9], s37, v0
	v_mov_b32_e32 v62, 0x7fc02000
	s_and_saveexec_b64 s[34:35], s[8:9]
	s_cbranch_execz .LBB319_68
; %bb.67:                               ;   in Loop: Header=BB319_10 Depth=1
	v_and_b32_e32 v2, 7, v32
	v_lshrrev_b32_e32 v3, 3, v0
	v_cmp_gt_u32_e64 s[8:9], 8, v0
	v_ffbh_u32_e32 v0, v2
	v_min_u32_e32 v4, 32, v0
	v_subrev_u32_e32 v0, 28, v4
	v_lshlrev_b64 v[0:1], v0, v[32:33]
	v_sub_u32_e32 v1, 29, v4
	v_and_b32_e32 v0, 7, v0
	v_cndmask_b32_e64 v1, v3, v1, s[8:9]
	v_mov_b32_e32 v3, 0x2000
	v_cndmask_b32_e64 v0, v2, v0, s[8:9]
	v_lshlrev_b32_e32 v2, 8, v32
	v_lshl_add_u32 v1, v1, 10, v3
	v_and_or_b32 v1, v2, s38, v1
	v_lshl_or_b32 v0, v0, 7, v1
	v_cvt_f32_f16_e32 v62, v0
.LBB319_68:                             ;   in Loop: Header=BB319_10 Depth=1
	s_or_b64 exec, exec, s[34:35]
.LBB319_69:                             ;   in Loop: Header=BB319_10 Depth=1
	s_or_b64 exec, exec, s[30:31]
.LBB319_70:                             ;   in Loop: Header=BB319_10 Depth=1
	s_or_b64 exec, exec, s[28:29]
	v_lshrrev_b32_e32 v32, 16, v30
	v_mov_b32_e32 v0, 0
	v_cmp_ne_u16_sdwa s[8:9], v32, v0 src0_sel:BYTE_0 src1_sel:DWORD
	v_mov_b32_e32 v54, 0
	v_mov_b32_e32 v58, 0
	s_and_saveexec_b64 s[28:29], s[8:9]
	s_cbranch_execz .LBB319_76
; %bb.71:                               ;   in Loop: Header=BB319_10 Depth=1
	v_cmp_ne_u16_sdwa s[8:9], v32, s19 src0_sel:BYTE_0 src1_sel:DWORD
	v_bfrev_b32_e32 v58, 1
	s_and_saveexec_b64 s[30:31], s[8:9]
	s_cbranch_execz .LBB319_75
; %bb.72:                               ;   in Loop: Header=BB319_10 Depth=1
	v_bfe_u32 v0, v30, 16, 7
	v_cmp_ne_u32_e64 s[8:9], s37, v0
	v_mov_b32_e32 v58, 0x7fc02000
	s_and_saveexec_b64 s[34:35], s[8:9]
	s_cbranch_execz .LBB319_74
; %bb.73:                               ;   in Loop: Header=BB319_10 Depth=1
	v_and_b32_e32 v1, 7, v32
	v_ffbh_u32_e32 v2, v1
	v_min_u32_e32 v5, 32, v2
	v_subrev_u32_e32 v2, 28, v5
	v_lshlrev_b64 v[2:3], v2, v[32:33]
	v_lshrrev_b32_e32 v4, 3, v0
	v_sub_u32_e32 v3, 29, v5
	v_cmp_gt_u32_e64 s[8:9], 8, v0
	v_and_b32_e32 v2, 7, v2
	v_cndmask_b32_e64 v0, v4, v3, s[8:9]
	v_mov_b32_e32 v3, 0x2000
	v_cndmask_b32_e64 v1, v1, v2, s[8:9]
	v_lshlrev_b32_e32 v2, 8, v32
	v_lshl_add_u32 v0, v0, 10, v3
	v_and_or_b32 v0, v2, s38, v0
	v_lshl_or_b32 v0, v1, 7, v0
	v_cvt_f32_f16_e32 v58, v0
.LBB319_74:                             ;   in Loop: Header=BB319_10 Depth=1
	s_or_b64 exec, exec, s[34:35]
.LBB319_75:                             ;   in Loop: Header=BB319_10 Depth=1
	s_or_b64 exec, exec, s[30:31]
.LBB319_76:                             ;   in Loop: Header=BB319_10 Depth=1
	s_or_b64 exec, exec, s[28:29]
	v_cmp_lt_u32_e64 s[8:9], s39, v30
	s_and_saveexec_b64 s[28:29], s[8:9]
	s_cbranch_execz .LBB319_82
; %bb.77:                               ;   in Loop: Header=BB319_10 Depth=1
	v_lshrrev_b32_e32 v30, 24, v30
	v_cmp_ne_u32_e64 s[8:9], s19, v30
	v_bfrev_b32_e32 v54, 1
	s_and_saveexec_b64 s[30:31], s[8:9]
	s_cbranch_execz .LBB319_81
; %bb.78:                               ;   in Loop: Header=BB319_10 Depth=1
	v_and_b32_e32 v0, 0x7f, v30
	v_cmp_ne_u32_e64 s[8:9], s37, v0
	v_mov_b32_e32 v54, 0x7fc02000
	s_and_saveexec_b64 s[34:35], s[8:9]
	s_cbranch_execz .LBB319_80
; %bb.79:                               ;   in Loop: Header=BB319_10 Depth=1
	v_and_b32_e32 v1, 7, v30
	v_ffbh_u32_e32 v2, v1
	v_min_u32_e32 v5, 32, v2
	v_subrev_u32_e32 v2, 28, v5
	v_lshlrev_b64 v[2:3], v2, v[30:31]
	v_lshrrev_b32_e32 v4, 3, v0
	v_sub_u32_e32 v3, 29, v5
	v_cmp_gt_u32_e64 s[8:9], 8, v0
	v_and_b32_e32 v2, 7, v2
	v_cndmask_b32_e64 v0, v4, v3, s[8:9]
	v_mov_b32_e32 v3, 0x2000
	v_cndmask_b32_e64 v1, v1, v2, s[8:9]
	v_lshlrev_b32_e32 v2, 8, v30
	v_lshl_add_u32 v0, v0, 10, v3
	v_and_or_b32 v0, v2, s38, v0
	v_lshl_or_b32 v0, v1, 7, v0
	v_cvt_f32_f16_e32 v54, v0
.LBB319_80:                             ;   in Loop: Header=BB319_10 Depth=1
	s_or_b64 exec, exec, s[34:35]
.LBB319_81:                             ;   in Loop: Header=BB319_10 Depth=1
	s_or_b64 exec, exec, s[30:31]
.LBB319_82:                             ;   in Loop: Header=BB319_10 Depth=1
	s_or_b64 exec, exec, s[28:29]
	flat_load_dword v30, v[28:29] offset:520
	v_mov_b32_e32 v0, 0
	v_mov_b32_e32 v59, 0
	s_waitcnt vmcnt(0) lgkmcnt(0)
	v_cmp_ne_u16_sdwa s[8:9], v30, v0 src0_sel:BYTE_0 src1_sel:DWORD
	v_mov_b32_e32 v0, 0
	buffer_store_dword v0, off, s[0:3], s32 offset:128 ; 4-byte Folded Spill
	s_and_saveexec_b64 s[28:29], s[8:9]
	s_cbranch_execz .LBB319_88
; %bb.83:                               ;   in Loop: Header=BB319_10 Depth=1
	v_cmp_ne_u16_sdwa s[8:9], v30, s19 src0_sel:BYTE_0 src1_sel:DWORD
	v_bfrev_b32_e32 v0, 1
	buffer_store_dword v0, off, s[0:3], s32 offset:128 ; 4-byte Folded Spill
	s_and_saveexec_b64 s[30:31], s[8:9]
	s_cbranch_execz .LBB319_87
; %bb.84:                               ;   in Loop: Header=BB319_10 Depth=1
	v_and_b32_e32 v0, 0x7f, v30
	v_cmp_ne_u32_e64 s[8:9], s37, v0
	v_mov_b32_e32 v1, 0x7fc02000
	buffer_store_dword v1, off, s[0:3], s32 offset:128 ; 4-byte Folded Spill
	s_and_saveexec_b64 s[34:35], s[8:9]
	s_cbranch_execz .LBB319_86
; %bb.85:                               ;   in Loop: Header=BB319_10 Depth=1
	v_and_b32_e32 v1, 7, v30
	v_ffbh_u32_e32 v2, v1
	v_min_u32_e32 v5, 32, v2
	v_subrev_u32_e32 v2, 28, v5
	v_lshlrev_b64 v[2:3], v2, v[30:31]
	v_lshrrev_b32_e32 v4, 3, v0
	v_sub_u32_e32 v3, 29, v5
	v_cmp_gt_u32_e64 s[8:9], 8, v0
	v_and_b32_e32 v2, 7, v2
	v_cndmask_b32_e64 v0, v4, v3, s[8:9]
	v_mov_b32_e32 v3, 0x2000
	v_cndmask_b32_e64 v1, v1, v2, s[8:9]
	v_lshlrev_b32_e32 v2, 8, v30
	v_lshl_add_u32 v0, v0, 10, v3
	v_and_or_b32 v0, v2, s38, v0
	v_lshl_or_b32 v0, v1, 7, v0
	v_cvt_f32_f16_e32 v0, v0
	buffer_store_dword v0, off, s[0:3], s32 offset:128 ; 4-byte Folded Spill
.LBB319_86:                             ;   in Loop: Header=BB319_10 Depth=1
	s_or_b64 exec, exec, s[34:35]
.LBB319_87:                             ;   in Loop: Header=BB319_10 Depth=1
	s_or_b64 exec, exec, s[30:31]
.LBB319_88:                             ;   in Loop: Header=BB319_10 Depth=1
	s_or_b64 exec, exec, s[28:29]
	v_lshrrev_b16_e32 v32, 8, v30
	v_cmp_ne_u16_e64 s[8:9], 0, v32
	s_and_saveexec_b64 s[28:29], s[8:9]
	s_cbranch_execz .LBB319_94
; %bb.89:                               ;   in Loop: Header=BB319_10 Depth=1
	v_cmp_ne_u16_e64 s[8:9], s19, v32
	v_bfrev_b32_e32 v59, 1
	s_and_saveexec_b64 s[30:31], s[8:9]
	s_cbranch_execz .LBB319_93
; %bb.90:                               ;   in Loop: Header=BB319_10 Depth=1
	v_and_b32_e32 v0, 0x7f, v32
	v_cmp_ne_u32_e64 s[8:9], s37, v0
	v_mov_b32_e32 v59, 0x7fc02000
	s_and_saveexec_b64 s[34:35], s[8:9]
	s_cbranch_execz .LBB319_92
; %bb.91:                               ;   in Loop: Header=BB319_10 Depth=1
	v_and_b32_e32 v1, 7, v32
	v_ffbh_u32_e32 v2, v1
	v_min_u32_e32 v5, 32, v2
	v_subrev_u32_e32 v2, 28, v5
	v_lshlrev_b64 v[2:3], v2, v[32:33]
	v_lshrrev_b32_e32 v4, 3, v0
	v_sub_u32_e32 v3, 29, v5
	v_cmp_gt_u32_e64 s[8:9], 8, v0
	v_and_b32_e32 v2, 7, v2
	v_cndmask_b32_e64 v0, v4, v3, s[8:9]
	v_mov_b32_e32 v3, 0x2000
	v_cndmask_b32_e64 v1, v1, v2, s[8:9]
	v_lshlrev_b32_e32 v2, 8, v32
	v_lshl_add_u32 v0, v0, 10, v3
	v_and_or_b32 v0, v2, s38, v0
	v_lshl_or_b32 v0, v1, 7, v0
	v_cvt_f32_f16_e32 v59, v0
.LBB319_92:                             ;   in Loop: Header=BB319_10 Depth=1
	s_or_b64 exec, exec, s[34:35]
.LBB319_93:                             ;   in Loop: Header=BB319_10 Depth=1
	s_or_b64 exec, exec, s[30:31]
.LBB319_94:                             ;   in Loop: Header=BB319_10 Depth=1
	s_or_b64 exec, exec, s[28:29]
	v_lshrrev_b32_e32 v32, 16, v30
	v_mov_b32_e32 v0, 0
	v_cmp_ne_u16_sdwa s[8:9], v32, v0 src0_sel:BYTE_0 src1_sel:DWORD
	v_mov_b32_e32 v0, 0
	v_mov_b32_e32 v50, 0
	buffer_store_dword v0, off, s[0:3], s32 offset:112 ; 4-byte Folded Spill
	s_and_saveexec_b64 s[28:29], s[8:9]
	s_cbranch_execz .LBB319_100
; %bb.95:                               ;   in Loop: Header=BB319_10 Depth=1
	v_cmp_ne_u16_sdwa s[8:9], v32, s19 src0_sel:BYTE_0 src1_sel:DWORD
	v_bfrev_b32_e32 v50, 1
	s_and_saveexec_b64 s[30:31], s[8:9]
	s_cbranch_execz .LBB319_99
; %bb.96:                               ;   in Loop: Header=BB319_10 Depth=1
	v_bfe_u32 v0, v30, 16, 7
	v_cmp_ne_u32_e64 s[8:9], s37, v0
	v_mov_b32_e32 v50, 0x7fc02000
	s_and_saveexec_b64 s[34:35], s[8:9]
	s_cbranch_execz .LBB319_98
; %bb.97:                               ;   in Loop: Header=BB319_10 Depth=1
	v_and_b32_e32 v1, 7, v32
	v_ffbh_u32_e32 v2, v1
	v_min_u32_e32 v5, 32, v2
	v_subrev_u32_e32 v2, 28, v5
	v_lshlrev_b64 v[2:3], v2, v[32:33]
	v_lshrrev_b32_e32 v4, 3, v0
	v_sub_u32_e32 v3, 29, v5
	v_cmp_gt_u32_e64 s[8:9], 8, v0
	v_and_b32_e32 v2, 7, v2
	v_cndmask_b32_e64 v0, v4, v3, s[8:9]
	v_mov_b32_e32 v3, 0x2000
	v_cndmask_b32_e64 v1, v1, v2, s[8:9]
	v_lshlrev_b32_e32 v2, 8, v32
	v_lshl_add_u32 v0, v0, 10, v3
	v_and_or_b32 v0, v2, s38, v0
	v_lshl_or_b32 v0, v1, 7, v0
	v_cvt_f32_f16_e32 v50, v0
.LBB319_98:                             ;   in Loop: Header=BB319_10 Depth=1
	s_or_b64 exec, exec, s[34:35]
.LBB319_99:                             ;   in Loop: Header=BB319_10 Depth=1
	s_or_b64 exec, exec, s[30:31]
.LBB319_100:                            ;   in Loop: Header=BB319_10 Depth=1
	s_or_b64 exec, exec, s[28:29]
	v_cmp_lt_u32_e64 s[8:9], s39, v30
	s_and_saveexec_b64 s[28:29], s[8:9]
	s_cbranch_execz .LBB319_106
; %bb.101:                              ;   in Loop: Header=BB319_10 Depth=1
	v_lshrrev_b32_e32 v30, 24, v30
	v_cmp_ne_u32_e64 s[8:9], s19, v30
	v_bfrev_b32_e32 v0, 1
	buffer_store_dword v0, off, s[0:3], s32 offset:112 ; 4-byte Folded Spill
	s_and_saveexec_b64 s[30:31], s[8:9]
	s_cbranch_execz .LBB319_105
; %bb.102:                              ;   in Loop: Header=BB319_10 Depth=1
	v_and_b32_e32 v0, 0x7f, v30
	v_cmp_ne_u32_e64 s[8:9], s37, v0
	v_mov_b32_e32 v1, 0x7fc02000
	buffer_store_dword v1, off, s[0:3], s32 offset:112 ; 4-byte Folded Spill
	s_and_saveexec_b64 s[34:35], s[8:9]
	s_cbranch_execz .LBB319_104
; %bb.103:                              ;   in Loop: Header=BB319_10 Depth=1
	v_and_b32_e32 v1, 7, v30
	v_ffbh_u32_e32 v2, v1
	v_min_u32_e32 v5, 32, v2
	v_subrev_u32_e32 v2, 28, v5
	v_lshlrev_b64 v[2:3], v2, v[30:31]
	v_lshrrev_b32_e32 v4, 3, v0
	v_sub_u32_e32 v3, 29, v5
	v_cmp_gt_u32_e64 s[8:9], 8, v0
	v_and_b32_e32 v2, 7, v2
	v_cndmask_b32_e64 v0, v4, v3, s[8:9]
	v_mov_b32_e32 v3, 0x2000
	v_cndmask_b32_e64 v1, v1, v2, s[8:9]
	v_lshlrev_b32_e32 v2, 8, v30
	v_lshl_add_u32 v0, v0, 10, v3
	v_and_or_b32 v0, v2, s38, v0
	v_lshl_or_b32 v0, v1, 7, v0
	v_cvt_f32_f16_e32 v0, v0
	buffer_store_dword v0, off, s[0:3], s32 offset:112 ; 4-byte Folded Spill
.LBB319_104:                            ;   in Loop: Header=BB319_10 Depth=1
	s_or_b64 exec, exec, s[34:35]
.LBB319_105:                            ;   in Loop: Header=BB319_10 Depth=1
	s_or_b64 exec, exec, s[30:31]
.LBB319_106:                            ;   in Loop: Header=BB319_10 Depth=1
	s_or_b64 exec, exec, s[28:29]
	flat_load_dword v30, v[28:29] offset:1024
	v_mov_b32_e32 v0, 0
	v_mov_b32_e32 v53, 0
	;; [unrolled: 1-line block ×3, first 2 shown]
	s_waitcnt vmcnt(0) lgkmcnt(0)
	v_cmp_ne_u16_sdwa s[8:9], v30, v0 src0_sel:BYTE_0 src1_sel:DWORD
	s_and_saveexec_b64 s[28:29], s[8:9]
	s_cbranch_execz .LBB319_112
; %bb.107:                              ;   in Loop: Header=BB319_10 Depth=1
	v_cmp_ne_u16_sdwa s[8:9], v30, s19 src0_sel:BYTE_0 src1_sel:DWORD
	v_bfrev_b32_e32 v52, 1
	s_and_saveexec_b64 s[30:31], s[8:9]
	s_cbranch_execz .LBB319_111
; %bb.108:                              ;   in Loop: Header=BB319_10 Depth=1
	v_and_b32_e32 v0, 0x7f, v30
	v_cmp_ne_u32_e64 s[8:9], s37, v0
	v_mov_b32_e32 v52, 0x7fc02000
	s_and_saveexec_b64 s[34:35], s[8:9]
	s_cbranch_execz .LBB319_110
; %bb.109:                              ;   in Loop: Header=BB319_10 Depth=1
	v_and_b32_e32 v1, 7, v30
	v_ffbh_u32_e32 v2, v1
	v_min_u32_e32 v5, 32, v2
	v_subrev_u32_e32 v2, 28, v5
	v_lshlrev_b64 v[2:3], v2, v[30:31]
	v_lshrrev_b32_e32 v4, 3, v0
	v_sub_u32_e32 v3, 29, v5
	v_cmp_gt_u32_e64 s[8:9], 8, v0
	v_and_b32_e32 v2, 7, v2
	v_cndmask_b32_e64 v0, v4, v3, s[8:9]
	v_mov_b32_e32 v3, 0x2000
	v_cndmask_b32_e64 v1, v1, v2, s[8:9]
	v_lshlrev_b32_e32 v2, 8, v30
	v_lshl_add_u32 v0, v0, 10, v3
	v_and_or_b32 v0, v2, s38, v0
	v_lshl_or_b32 v0, v1, 7, v0
	v_cvt_f32_f16_e32 v52, v0
.LBB319_110:                            ;   in Loop: Header=BB319_10 Depth=1
	s_or_b64 exec, exec, s[34:35]
.LBB319_111:                            ;   in Loop: Header=BB319_10 Depth=1
	s_or_b64 exec, exec, s[30:31]
.LBB319_112:                            ;   in Loop: Header=BB319_10 Depth=1
	s_or_b64 exec, exec, s[28:29]
	v_lshrrev_b16_e32 v32, 8, v30
	v_cmp_ne_u16_e64 s[8:9], 0, v32
	s_and_saveexec_b64 s[28:29], s[8:9]
	s_cbranch_execz .LBB319_118
; %bb.113:                              ;   in Loop: Header=BB319_10 Depth=1
	v_cmp_ne_u16_e64 s[8:9], s19, v32
	v_bfrev_b32_e32 v53, 1
	s_and_saveexec_b64 s[30:31], s[8:9]
	s_cbranch_execz .LBB319_117
; %bb.114:                              ;   in Loop: Header=BB319_10 Depth=1
	v_and_b32_e32 v0, 0x7f, v32
	v_cmp_ne_u32_e64 s[8:9], s37, v0
	v_mov_b32_e32 v53, 0x7fc02000
	s_and_saveexec_b64 s[34:35], s[8:9]
	s_cbranch_execz .LBB319_116
; %bb.115:                              ;   in Loop: Header=BB319_10 Depth=1
	v_and_b32_e32 v2, 7, v32
	v_lshrrev_b32_e32 v3, 3, v0
	v_cmp_gt_u32_e64 s[8:9], 8, v0
	v_ffbh_u32_e32 v0, v2
	v_min_u32_e32 v4, 32, v0
	v_subrev_u32_e32 v0, 28, v4
	v_lshlrev_b64 v[0:1], v0, v[32:33]
	v_sub_u32_e32 v1, 29, v4
	v_and_b32_e32 v0, 7, v0
	v_cndmask_b32_e64 v1, v3, v1, s[8:9]
	v_mov_b32_e32 v3, 0x2000
	v_cndmask_b32_e64 v0, v2, v0, s[8:9]
	v_lshlrev_b32_e32 v2, 8, v32
	v_lshl_add_u32 v1, v1, 10, v3
	v_and_or_b32 v1, v2, s38, v1
	v_lshl_or_b32 v0, v0, 7, v1
	v_cvt_f32_f16_e32 v53, v0
.LBB319_116:                            ;   in Loop: Header=BB319_10 Depth=1
	s_or_b64 exec, exec, s[34:35]
.LBB319_117:                            ;   in Loop: Header=BB319_10 Depth=1
	s_or_b64 exec, exec, s[30:31]
.LBB319_118:                            ;   in Loop: Header=BB319_10 Depth=1
	s_or_b64 exec, exec, s[28:29]
	v_lshrrev_b32_e32 v32, 16, v30
	v_mov_b32_e32 v0, 0
	v_cmp_ne_u16_sdwa s[8:9], v32, v0 src0_sel:BYTE_0 src1_sel:DWORD
	v_mov_b32_e32 v21, 0
	v_mov_b32_e32 v4, 0
	s_and_saveexec_b64 s[28:29], s[8:9]
	s_cbranch_execz .LBB319_124
; %bb.119:                              ;   in Loop: Header=BB319_10 Depth=1
	v_cmp_ne_u16_sdwa s[8:9], v32, s19 src0_sel:BYTE_0 src1_sel:DWORD
	v_bfrev_b32_e32 v4, 1
	s_and_saveexec_b64 s[30:31], s[8:9]
	s_cbranch_execz .LBB319_123
; %bb.120:                              ;   in Loop: Header=BB319_10 Depth=1
	v_bfe_u32 v0, v30, 16, 7
	v_cmp_ne_u32_e64 s[8:9], s37, v0
	v_mov_b32_e32 v4, 0x7fc02000
	s_and_saveexec_b64 s[34:35], s[8:9]
	s_cbranch_execz .LBB319_122
; %bb.121:                              ;   in Loop: Header=BB319_10 Depth=1
	v_and_b32_e32 v1, 7, v32
	v_ffbh_u32_e32 v2, v1
	v_min_u32_e32 v6, 32, v2
	v_subrev_u32_e32 v2, 28, v6
	v_lshlrev_b64 v[2:3], v2, v[32:33]
	v_lshrrev_b32_e32 v4, 3, v0
	v_sub_u32_e32 v3, 29, v6
	v_cmp_gt_u32_e64 s[8:9], 8, v0
	v_and_b32_e32 v2, 7, v2
	v_cndmask_b32_e64 v0, v4, v3, s[8:9]
	v_mov_b32_e32 v3, 0x2000
	v_cndmask_b32_e64 v1, v1, v2, s[8:9]
	v_lshlrev_b32_e32 v2, 8, v32
	v_lshl_add_u32 v0, v0, 10, v3
	v_and_or_b32 v0, v2, s38, v0
	v_lshl_or_b32 v0, v1, 7, v0
	v_cvt_f32_f16_e32 v4, v0
.LBB319_122:                            ;   in Loop: Header=BB319_10 Depth=1
	s_or_b64 exec, exec, s[34:35]
.LBB319_123:                            ;   in Loop: Header=BB319_10 Depth=1
	s_or_b64 exec, exec, s[30:31]
.LBB319_124:                            ;   in Loop: Header=BB319_10 Depth=1
	s_or_b64 exec, exec, s[28:29]
	v_cmp_lt_u32_e64 s[8:9], s39, v30
	s_and_saveexec_b64 s[28:29], s[8:9]
	s_cbranch_execz .LBB319_130
; %bb.125:                              ;   in Loop: Header=BB319_10 Depth=1
	v_lshrrev_b32_e32 v30, 24, v30
	v_cmp_ne_u32_e64 s[8:9], s19, v30
	v_bfrev_b32_e32 v21, 1
	s_and_saveexec_b64 s[30:31], s[8:9]
	s_cbranch_execz .LBB319_129
; %bb.126:                              ;   in Loop: Header=BB319_10 Depth=1
	v_and_b32_e32 v0, 0x7f, v30
	v_cmp_ne_u32_e64 s[8:9], s37, v0
	v_mov_b32_e32 v21, 0x7fc02000
	s_and_saveexec_b64 s[34:35], s[8:9]
	s_cbranch_execz .LBB319_128
; %bb.127:                              ;   in Loop: Header=BB319_10 Depth=1
	v_and_b32_e32 v1, 7, v30
	v_ffbh_u32_e32 v2, v1
	v_min_u32_e32 v6, 32, v2
	v_subrev_u32_e32 v2, 28, v6
	v_lshlrev_b64 v[2:3], v2, v[30:31]
	v_lshrrev_b32_e32 v5, 3, v0
	v_sub_u32_e32 v3, 29, v6
	v_cmp_gt_u32_e64 s[8:9], 8, v0
	v_and_b32_e32 v2, 7, v2
	v_cndmask_b32_e64 v0, v5, v3, s[8:9]
	v_mov_b32_e32 v3, 0x2000
	v_cndmask_b32_e64 v1, v1, v2, s[8:9]
	v_lshlrev_b32_e32 v2, 8, v30
	v_lshl_add_u32 v0, v0, 10, v3
	v_and_or_b32 v0, v2, s38, v0
	v_lshl_or_b32 v0, v1, 7, v0
	v_cvt_f32_f16_e32 v21, v0
.LBB319_128:                            ;   in Loop: Header=BB319_10 Depth=1
	s_or_b64 exec, exec, s[34:35]
.LBB319_129:                            ;   in Loop: Header=BB319_10 Depth=1
	s_or_b64 exec, exec, s[30:31]
.LBB319_130:                            ;   in Loop: Header=BB319_10 Depth=1
	s_or_b64 exec, exec, s[28:29]
	flat_load_dword v30, v[28:29] offset:1032
	v_mov_b32_e32 v0, 0
	v_mov_b32_e32 v18, 0
	v_mov_b32_e32 v19, 0
	s_waitcnt vmcnt(0) lgkmcnt(0)
	v_cmp_ne_u16_sdwa s[8:9], v30, v0 src0_sel:BYTE_0 src1_sel:DWORD
	s_and_saveexec_b64 s[28:29], s[8:9]
	s_cbranch_execz .LBB319_136
; %bb.131:                              ;   in Loop: Header=BB319_10 Depth=1
	v_cmp_ne_u16_sdwa s[8:9], v30, s19 src0_sel:BYTE_0 src1_sel:DWORD
	v_bfrev_b32_e32 v19, 1
	s_and_saveexec_b64 s[30:31], s[8:9]
	s_cbranch_execz .LBB319_135
; %bb.132:                              ;   in Loop: Header=BB319_10 Depth=1
	v_and_b32_e32 v0, 0x7f, v30
	v_cmp_ne_u32_e64 s[8:9], s37, v0
	v_mov_b32_e32 v19, 0x7fc02000
	s_and_saveexec_b64 s[34:35], s[8:9]
	s_cbranch_execz .LBB319_134
; %bb.133:                              ;   in Loop: Header=BB319_10 Depth=1
	v_and_b32_e32 v1, 7, v30
	v_ffbh_u32_e32 v2, v1
	v_min_u32_e32 v7, 32, v2
	v_subrev_u32_e32 v2, 28, v7
	v_lshlrev_b64 v[2:3], v2, v[30:31]
	v_lshrrev_b32_e32 v6, 3, v0
	v_sub_u32_e32 v3, 29, v7
	v_cmp_gt_u32_e64 s[8:9], 8, v0
	v_and_b32_e32 v2, 7, v2
	v_cndmask_b32_e64 v0, v6, v3, s[8:9]
	v_mov_b32_e32 v3, 0x2000
	v_cndmask_b32_e64 v1, v1, v2, s[8:9]
	v_lshlrev_b32_e32 v2, 8, v30
	v_lshl_add_u32 v0, v0, 10, v3
	v_and_or_b32 v0, v2, s38, v0
	v_lshl_or_b32 v0, v1, 7, v0
	v_cvt_f32_f16_e32 v19, v0
.LBB319_134:                            ;   in Loop: Header=BB319_10 Depth=1
	s_or_b64 exec, exec, s[34:35]
.LBB319_135:                            ;   in Loop: Header=BB319_10 Depth=1
	s_or_b64 exec, exec, s[30:31]
.LBB319_136:                            ;   in Loop: Header=BB319_10 Depth=1
	s_or_b64 exec, exec, s[28:29]
	v_lshrrev_b16_e32 v32, 8, v30
	v_cmp_ne_u16_e64 s[8:9], 0, v32
	s_and_saveexec_b64 s[28:29], s[8:9]
	s_cbranch_execz .LBB319_142
; %bb.137:                              ;   in Loop: Header=BB319_10 Depth=1
	v_cmp_ne_u16_e64 s[8:9], s19, v32
	v_bfrev_b32_e32 v18, 1
	s_and_saveexec_b64 s[30:31], s[8:9]
	s_cbranch_execz .LBB319_141
; %bb.138:                              ;   in Loop: Header=BB319_10 Depth=1
	v_and_b32_e32 v0, 0x7f, v32
	v_cmp_ne_u32_e64 s[8:9], s37, v0
	v_mov_b32_e32 v18, 0x7fc02000
	s_and_saveexec_b64 s[34:35], s[8:9]
	s_cbranch_execz .LBB319_140
; %bb.139:                              ;   in Loop: Header=BB319_10 Depth=1
	v_and_b32_e32 v1, 7, v32
	v_ffbh_u32_e32 v2, v1
	v_min_u32_e32 v7, 32, v2
	v_subrev_u32_e32 v2, 28, v7
	v_lshlrev_b64 v[2:3], v2, v[32:33]
	v_lshrrev_b32_e32 v6, 3, v0
	v_sub_u32_e32 v3, 29, v7
	v_cmp_gt_u32_e64 s[8:9], 8, v0
	v_and_b32_e32 v2, 7, v2
	v_cndmask_b32_e64 v0, v6, v3, s[8:9]
	v_mov_b32_e32 v3, 0x2000
	v_cndmask_b32_e64 v1, v1, v2, s[8:9]
	v_lshlrev_b32_e32 v2, 8, v32
	v_lshl_add_u32 v0, v0, 10, v3
	v_and_or_b32 v0, v2, s38, v0
	v_lshl_or_b32 v0, v1, 7, v0
	v_cvt_f32_f16_e32 v18, v0
.LBB319_140:                            ;   in Loop: Header=BB319_10 Depth=1
	s_or_b64 exec, exec, s[34:35]
.LBB319_141:                            ;   in Loop: Header=BB319_10 Depth=1
	s_or_b64 exec, exec, s[30:31]
.LBB319_142:                            ;   in Loop: Header=BB319_10 Depth=1
	s_or_b64 exec, exec, s[28:29]
	v_lshrrev_b32_e32 v32, 16, v30
	v_mov_b32_e32 v0, 0
	v_cmp_ne_u16_sdwa s[8:9], v32, v0 src0_sel:BYTE_0 src1_sel:DWORD
	v_mov_b32_e32 v35, 0
	v_mov_b32_e32 v31, 0
	s_and_saveexec_b64 s[28:29], s[8:9]
	s_cbranch_execz .LBB319_148
; %bb.143:                              ;   in Loop: Header=BB319_10 Depth=1
	v_cmp_ne_u16_sdwa s[8:9], v32, s19 src0_sel:BYTE_0 src1_sel:DWORD
	v_bfrev_b32_e32 v31, 1
	s_and_saveexec_b64 s[30:31], s[8:9]
	s_cbranch_execz .LBB319_147
; %bb.144:                              ;   in Loop: Header=BB319_10 Depth=1
	v_bfe_u32 v0, v30, 16, 7
	v_cmp_ne_u32_e64 s[8:9], s37, v0
	v_mov_b32_e32 v31, 0x7fc02000
	s_and_saveexec_b64 s[34:35], s[8:9]
	s_cbranch_execz .LBB319_146
; %bb.145:                              ;   in Loop: Header=BB319_10 Depth=1
	v_and_b32_e32 v1, 7, v32
	v_ffbh_u32_e32 v2, v1
	v_min_u32_e32 v7, 32, v2
	v_subrev_u32_e32 v2, 28, v7
	v_lshlrev_b64 v[2:3], v2, v[32:33]
	v_lshrrev_b32_e32 v6, 3, v0
	v_sub_u32_e32 v3, 29, v7
	v_cmp_gt_u32_e64 s[8:9], 8, v0
	v_and_b32_e32 v2, 7, v2
	v_cndmask_b32_e64 v0, v6, v3, s[8:9]
	v_mov_b32_e32 v3, 0x2000
	v_cndmask_b32_e64 v1, v1, v2, s[8:9]
	v_lshlrev_b32_e32 v2, 8, v32
	v_lshl_add_u32 v0, v0, 10, v3
	v_and_or_b32 v0, v2, s38, v0
	v_lshl_or_b32 v0, v1, 7, v0
	v_cvt_f32_f16_e32 v31, v0
.LBB319_146:                            ;   in Loop: Header=BB319_10 Depth=1
	s_or_b64 exec, exec, s[34:35]
.LBB319_147:                            ;   in Loop: Header=BB319_10 Depth=1
	s_or_b64 exec, exec, s[30:31]
.LBB319_148:                            ;   in Loop: Header=BB319_10 Depth=1
	s_or_b64 exec, exec, s[28:29]
	v_cmp_lt_u32_e64 s[8:9], s39, v30
	s_and_saveexec_b64 s[28:29], s[8:9]
	s_cbranch_execz .LBB319_154
; %bb.149:                              ;   in Loop: Header=BB319_10 Depth=1
	v_lshrrev_b32_e32 v30, 24, v30
	v_cmp_ne_u32_e64 s[8:9], s19, v30
	v_bfrev_b32_e32 v35, 1
	s_and_saveexec_b64 s[30:31], s[8:9]
	s_cbranch_execz .LBB319_153
; %bb.150:                              ;   in Loop: Header=BB319_10 Depth=1
	v_and_b32_e32 v0, 0x7f, v30
	v_cmp_ne_u32_e64 s[8:9], s37, v0
	v_mov_b32_e32 v35, 0x7fc02000
	s_and_saveexec_b64 s[34:35], s[8:9]
	s_cbranch_execz .LBB319_152
; %bb.151:                              ;   in Loop: Header=BB319_10 Depth=1
	v_and_b32_e32 v1, 7, v30
	v_ffbh_u32_e32 v2, v1
	v_min_u32_e32 v7, 32, v2
	v_subrev_u32_e32 v2, 28, v7
	v_lshlrev_b64 v[2:3], v2, v[30:31]
	v_lshrrev_b32_e32 v6, 3, v0
	v_sub_u32_e32 v3, 29, v7
	v_cmp_gt_u32_e64 s[8:9], 8, v0
	v_and_b32_e32 v2, 7, v2
	v_cndmask_b32_e64 v0, v6, v3, s[8:9]
	v_mov_b32_e32 v3, 0x2000
	v_cndmask_b32_e64 v1, v1, v2, s[8:9]
	v_lshlrev_b32_e32 v2, 8, v30
	v_lshl_add_u32 v0, v0, 10, v3
	v_and_or_b32 v0, v2, s38, v0
	v_lshl_or_b32 v0, v1, 7, v0
	v_cvt_f32_f16_e32 v35, v0
.LBB319_152:                            ;   in Loop: Header=BB319_10 Depth=1
	s_or_b64 exec, exec, s[34:35]
.LBB319_153:                            ;   in Loop: Header=BB319_10 Depth=1
	s_or_b64 exec, exec, s[30:31]
.LBB319_154:                            ;   in Loop: Header=BB319_10 Depth=1
	s_or_b64 exec, exec, s[28:29]
	flat_load_dword v30, v[28:29] offset:1536
	v_mov_b32_e32 v0, 0
	v_mov_b32_e32 v51, 0
	;; [unrolled: 1-line block ×3, first 2 shown]
	s_waitcnt vmcnt(0) lgkmcnt(0)
	v_cmp_ne_u16_sdwa s[8:9], v30, v0 src0_sel:BYTE_0 src1_sel:DWORD
	s_and_saveexec_b64 s[28:29], s[8:9]
	s_cbranch_execz .LBB319_160
; %bb.155:                              ;   in Loop: Header=BB319_10 Depth=1
	v_cmp_ne_u16_sdwa s[8:9], v30, s19 src0_sel:BYTE_0 src1_sel:DWORD
	v_bfrev_b32_e32 v48, 1
	s_and_saveexec_b64 s[30:31], s[8:9]
	s_cbranch_execz .LBB319_159
; %bb.156:                              ;   in Loop: Header=BB319_10 Depth=1
	v_and_b32_e32 v0, 0x7f, v30
	v_cmp_ne_u32_e64 s[8:9], s37, v0
	v_mov_b32_e32 v48, 0x7fc02000
	s_and_saveexec_b64 s[34:35], s[8:9]
	s_cbranch_execz .LBB319_158
; %bb.157:                              ;   in Loop: Header=BB319_10 Depth=1
	v_and_b32_e32 v1, 7, v30
	v_ffbh_u32_e32 v2, v1
	v_min_u32_e32 v7, 32, v2
	v_subrev_u32_e32 v2, 28, v7
	v_lshlrev_b64 v[2:3], v2, v[30:31]
	v_lshrrev_b32_e32 v6, 3, v0
	v_sub_u32_e32 v3, 29, v7
	v_cmp_gt_u32_e64 s[8:9], 8, v0
	v_and_b32_e32 v2, 7, v2
	v_cndmask_b32_e64 v0, v6, v3, s[8:9]
	v_mov_b32_e32 v3, 0x2000
	v_cndmask_b32_e64 v1, v1, v2, s[8:9]
	v_lshlrev_b32_e32 v2, 8, v30
	v_lshl_add_u32 v0, v0, 10, v3
	v_and_or_b32 v0, v2, s38, v0
	v_lshl_or_b32 v0, v1, 7, v0
	v_cvt_f32_f16_e32 v48, v0
.LBB319_158:                            ;   in Loop: Header=BB319_10 Depth=1
	s_or_b64 exec, exec, s[34:35]
.LBB319_159:                            ;   in Loop: Header=BB319_10 Depth=1
	s_or_b64 exec, exec, s[30:31]
.LBB319_160:                            ;   in Loop: Header=BB319_10 Depth=1
	s_or_b64 exec, exec, s[28:29]
	v_lshrrev_b16_e32 v32, 8, v30
	v_cmp_ne_u16_e64 s[8:9], 0, v32
	s_and_saveexec_b64 s[28:29], s[8:9]
	s_cbranch_execz .LBB319_166
; %bb.161:                              ;   in Loop: Header=BB319_10 Depth=1
	v_cmp_ne_u16_e64 s[8:9], s19, v32
	v_bfrev_b32_e32 v51, 1
	s_and_saveexec_b64 s[30:31], s[8:9]
	s_cbranch_execz .LBB319_165
; %bb.162:                              ;   in Loop: Header=BB319_10 Depth=1
	v_and_b32_e32 v0, 0x7f, v32
	v_cmp_ne_u32_e64 s[8:9], s37, v0
	v_mov_b32_e32 v51, 0x7fc02000
	s_and_saveexec_b64 s[34:35], s[8:9]
	s_cbranch_execz .LBB319_164
; %bb.163:                              ;   in Loop: Header=BB319_10 Depth=1
	v_and_b32_e32 v2, 7, v32
	v_lshrrev_b32_e32 v3, 3, v0
	v_cmp_gt_u32_e64 s[8:9], 8, v0
	v_ffbh_u32_e32 v0, v2
	v_min_u32_e32 v6, 32, v0
	v_subrev_u32_e32 v0, 28, v6
	v_lshlrev_b64 v[0:1], v0, v[32:33]
	v_sub_u32_e32 v1, 29, v6
	v_and_b32_e32 v0, 7, v0
	v_cndmask_b32_e64 v1, v3, v1, s[8:9]
	v_mov_b32_e32 v3, 0x2000
	v_cndmask_b32_e64 v0, v2, v0, s[8:9]
	v_lshlrev_b32_e32 v2, 8, v32
	v_lshl_add_u32 v1, v1, 10, v3
	v_and_or_b32 v1, v2, s38, v1
	v_lshl_or_b32 v0, v0, 7, v1
	v_cvt_f32_f16_e32 v51, v0
.LBB319_164:                            ;   in Loop: Header=BB319_10 Depth=1
	s_or_b64 exec, exec, s[34:35]
.LBB319_165:                            ;   in Loop: Header=BB319_10 Depth=1
	s_or_b64 exec, exec, s[30:31]
.LBB319_166:                            ;   in Loop: Header=BB319_10 Depth=1
	s_or_b64 exec, exec, s[28:29]
	v_lshrrev_b32_e32 v32, 16, v30
	v_mov_b32_e32 v0, 0
	v_cmp_ne_u16_sdwa s[8:9], v32, v0 src0_sel:BYTE_0 src1_sel:DWORD
	v_mov_b32_e32 v11, 0
	v_mov_b32_e32 v10, 0
	s_and_saveexec_b64 s[28:29], s[8:9]
	s_cbranch_execz .LBB319_172
; %bb.167:                              ;   in Loop: Header=BB319_10 Depth=1
	v_cmp_ne_u16_sdwa s[8:9], v32, s19 src0_sel:BYTE_0 src1_sel:DWORD
	v_bfrev_b32_e32 v10, 1
	s_and_saveexec_b64 s[30:31], s[8:9]
	s_cbranch_execz .LBB319_171
; %bb.168:                              ;   in Loop: Header=BB319_10 Depth=1
	v_bfe_u32 v0, v30, 16, 7
	v_cmp_ne_u32_e64 s[8:9], s37, v0
	v_mov_b32_e32 v10, 0x7fc02000
	s_and_saveexec_b64 s[34:35], s[8:9]
	s_cbranch_execz .LBB319_170
; %bb.169:                              ;   in Loop: Header=BB319_10 Depth=1
	v_and_b32_e32 v1, 7, v32
	v_ffbh_u32_e32 v2, v1
	v_min_u32_e32 v7, 32, v2
	v_subrev_u32_e32 v2, 28, v7
	v_lshlrev_b64 v[2:3], v2, v[32:33]
	v_lshrrev_b32_e32 v6, 3, v0
	v_sub_u32_e32 v3, 29, v7
	v_cmp_gt_u32_e64 s[8:9], 8, v0
	v_and_b32_e32 v2, 7, v2
	v_cndmask_b32_e64 v0, v6, v3, s[8:9]
	v_mov_b32_e32 v3, 0x2000
	v_cndmask_b32_e64 v1, v1, v2, s[8:9]
	v_lshlrev_b32_e32 v2, 8, v32
	v_lshl_add_u32 v0, v0, 10, v3
	v_and_or_b32 v0, v2, s38, v0
	v_lshl_or_b32 v0, v1, 7, v0
	v_cvt_f32_f16_e32 v10, v0
.LBB319_170:                            ;   in Loop: Header=BB319_10 Depth=1
	s_or_b64 exec, exec, s[34:35]
.LBB319_171:                            ;   in Loop: Header=BB319_10 Depth=1
	s_or_b64 exec, exec, s[30:31]
.LBB319_172:                            ;   in Loop: Header=BB319_10 Depth=1
	s_or_b64 exec, exec, s[28:29]
	v_cmp_lt_u32_e64 s[8:9], s39, v30
	s_and_saveexec_b64 s[28:29], s[8:9]
	s_cbranch_execz .LBB319_178
; %bb.173:                              ;   in Loop: Header=BB319_10 Depth=1
	v_lshrrev_b32_e32 v30, 24, v30
	v_cmp_ne_u32_e64 s[8:9], s19, v30
	v_bfrev_b32_e32 v11, 1
	s_and_saveexec_b64 s[30:31], s[8:9]
	s_cbranch_execz .LBB319_177
; %bb.174:                              ;   in Loop: Header=BB319_10 Depth=1
	v_and_b32_e32 v0, 0x7f, v30
	v_cmp_ne_u32_e64 s[8:9], s37, v0
	v_mov_b32_e32 v11, 0x7fc02000
	s_and_saveexec_b64 s[34:35], s[8:9]
	s_cbranch_execz .LBB319_176
; %bb.175:                              ;   in Loop: Header=BB319_10 Depth=1
	v_and_b32_e32 v1, 7, v30
	v_ffbh_u32_e32 v2, v1
	v_min_u32_e32 v7, 32, v2
	v_subrev_u32_e32 v2, 28, v7
	v_lshlrev_b64 v[2:3], v2, v[30:31]
	v_lshrrev_b32_e32 v6, 3, v0
	v_sub_u32_e32 v3, 29, v7
	v_cmp_gt_u32_e64 s[8:9], 8, v0
	v_and_b32_e32 v2, 7, v2
	v_cndmask_b32_e64 v0, v6, v3, s[8:9]
	v_mov_b32_e32 v3, 0x2000
	v_cndmask_b32_e64 v1, v1, v2, s[8:9]
	v_lshlrev_b32_e32 v2, 8, v30
	v_lshl_add_u32 v0, v0, 10, v3
	v_and_or_b32 v0, v2, s38, v0
	v_lshl_or_b32 v0, v1, 7, v0
	v_cvt_f32_f16_e32 v11, v0
.LBB319_176:                            ;   in Loop: Header=BB319_10 Depth=1
	s_or_b64 exec, exec, s[34:35]
.LBB319_177:                            ;   in Loop: Header=BB319_10 Depth=1
	s_or_b64 exec, exec, s[30:31]
.LBB319_178:                            ;   in Loop: Header=BB319_10 Depth=1
	s_or_b64 exec, exec, s[28:29]
	flat_load_dword v30, v[28:29] offset:1544
	v_mov_b32_e32 v0, 0
	v_mov_b32_e32 v1, 0
	;; [unrolled: 1-line block ×3, first 2 shown]
	s_waitcnt vmcnt(0) lgkmcnt(0)
	v_cmp_ne_u16_sdwa s[8:9], v30, v0 src0_sel:BYTE_0 src1_sel:DWORD
	s_and_saveexec_b64 s[28:29], s[8:9]
	s_cbranch_execz .LBB319_184
; %bb.179:                              ;   in Loop: Header=BB319_10 Depth=1
	v_cmp_ne_u16_sdwa s[8:9], v30, s19 src0_sel:BYTE_0 src1_sel:DWORD
	v_bfrev_b32_e32 v20, 1
	s_and_saveexec_b64 s[30:31], s[8:9]
	s_cbranch_execz .LBB319_183
; %bb.180:                              ;   in Loop: Header=BB319_10 Depth=1
	v_and_b32_e32 v2, 0x7f, v30
	v_cmp_ne_u32_e64 s[8:9], s37, v2
	v_mov_b32_e32 v20, 0x7fc02000
	s_and_saveexec_b64 s[34:35], s[8:9]
	s_cbranch_execz .LBB319_182
; %bb.181:                              ;   in Loop: Header=BB319_10 Depth=1
	v_and_b32_e32 v0, 7, v30
	v_ffbh_u32_e32 v6, v0
	v_min_u32_e32 v8, 32, v6
	v_subrev_u32_e32 v6, 28, v8
	v_lshlrev_b64 v[6:7], v6, v[30:31]
	v_lshrrev_b32_e32 v3, 3, v2
	v_sub_u32_e32 v7, 29, v8
	v_cmp_gt_u32_e64 s[8:9], 8, v2
	v_cndmask_b32_e64 v2, v3, v7, s[8:9]
	v_mov_b32_e32 v5, 0x2000
	v_and_b32_e32 v6, 7, v6
	v_lshlrev_b32_e32 v3, 8, v30
	v_lshl_add_u32 v2, v2, 10, v5
	v_cndmask_b32_e64 v0, v0, v6, s[8:9]
	v_and_or_b32 v2, v3, s38, v2
	v_lshl_or_b32 v0, v0, 7, v2
	v_cvt_f32_f16_e32 v20, v0
.LBB319_182:                            ;   in Loop: Header=BB319_10 Depth=1
	s_or_b64 exec, exec, s[34:35]
.LBB319_183:                            ;   in Loop: Header=BB319_10 Depth=1
	s_or_b64 exec, exec, s[30:31]
.LBB319_184:                            ;   in Loop: Header=BB319_10 Depth=1
	s_or_b64 exec, exec, s[28:29]
	v_lshrrev_b16_e32 v32, 8, v30
	v_cmp_ne_u16_e64 s[8:9], 0, v32
	s_and_saveexec_b64 s[28:29], s[8:9]
	s_cbranch_execz .LBB319_190
; %bb.185:                              ;   in Loop: Header=BB319_10 Depth=1
	v_cmp_ne_u16_e64 s[8:9], s19, v32
	v_bfrev_b32_e32 v1, 1
	s_and_saveexec_b64 s[30:31], s[8:9]
	s_cbranch_execz .LBB319_189
; %bb.186:                              ;   in Loop: Header=BB319_10 Depth=1
	v_and_b32_e32 v2, 0x7f, v32
	v_cmp_ne_u32_e64 s[8:9], s37, v2
	v_mov_b32_e32 v1, 0x7fc02000
	s_and_saveexec_b64 s[34:35], s[8:9]
	s_cbranch_execz .LBB319_188
; %bb.187:                              ;   in Loop: Header=BB319_10 Depth=1
	v_and_b32_e32 v1, 7, v32
	v_ffbh_u32_e32 v6, v1
	v_min_u32_e32 v8, 32, v6
	v_subrev_u32_e32 v6, 28, v8
	v_lshlrev_b64 v[6:7], v6, v[32:33]
	v_lshrrev_b32_e32 v3, 3, v2
	v_sub_u32_e32 v7, 29, v8
	v_cmp_gt_u32_e64 s[8:9], 8, v2
	v_cndmask_b32_e64 v2, v3, v7, s[8:9]
	v_mov_b32_e32 v0, 0x2000
	v_and_b32_e32 v6, 7, v6
	v_lshlrev_b32_e32 v3, 8, v32
	v_lshl_add_u32 v2, v2, 10, v0
	v_cndmask_b32_e64 v1, v1, v6, s[8:9]
	v_and_or_b32 v2, v3, s38, v2
	v_lshl_or_b32 v1, v1, 7, v2
	v_cvt_f32_f16_e32 v1, v1
.LBB319_188:                            ;   in Loop: Header=BB319_10 Depth=1
	s_or_b64 exec, exec, s[34:35]
.LBB319_189:                            ;   in Loop: Header=BB319_10 Depth=1
	s_or_b64 exec, exec, s[30:31]
.LBB319_190:                            ;   in Loop: Header=BB319_10 Depth=1
	s_or_b64 exec, exec, s[28:29]
	v_lshrrev_b32_e32 v32, 16, v30
	v_mov_b32_e32 v2, 0
	v_cmp_ne_u16_sdwa s[8:9], v32, v2 src0_sel:BYTE_0 src1_sel:DWORD
	v_mov_b32_e32 v3, 0
	v_mov_b32_e32 v2, 0
	s_and_saveexec_b64 s[28:29], s[8:9]
	s_cbranch_execz .LBB319_196
; %bb.191:                              ;   in Loop: Header=BB319_10 Depth=1
	v_cmp_ne_u16_sdwa s[8:9], v32, s19 src0_sel:BYTE_0 src1_sel:DWORD
	v_bfrev_b32_e32 v2, 1
	s_and_saveexec_b64 s[30:31], s[8:9]
	s_cbranch_execz .LBB319_195
; %bb.192:                              ;   in Loop: Header=BB319_10 Depth=1
	v_bfe_u32 v6, v30, 16, 7
	v_cmp_ne_u32_e64 s[8:9], s37, v6
	v_mov_b32_e32 v2, 0x7fc02000
	s_and_saveexec_b64 s[34:35], s[8:9]
	s_cbranch_execz .LBB319_194
; %bb.193:                              ;   in Loop: Header=BB319_10 Depth=1
	v_and_b32_e32 v2, 7, v32
	v_ffbh_u32_e32 v8, v2
	v_min_u32_e32 v12, 32, v8
	v_subrev_u32_e32 v8, 28, v12
	v_lshlrev_b64 v[8:9], v8, v[32:33]
	v_lshrrev_b32_e32 v7, 3, v6
	v_sub_u32_e32 v9, 29, v12
	v_cmp_gt_u32_e64 s[8:9], 8, v6
	v_cndmask_b32_e64 v6, v7, v9, s[8:9]
	v_mov_b32_e32 v0, 0x2000
	v_and_b32_e32 v8, 7, v8
	v_lshlrev_b32_e32 v7, 8, v32
	v_lshl_add_u32 v6, v6, 10, v0
	v_cndmask_b32_e64 v2, v2, v8, s[8:9]
	v_and_or_b32 v6, v7, s38, v6
	v_lshl_or_b32 v2, v2, 7, v6
	v_cvt_f32_f16_e32 v2, v2
.LBB319_194:                            ;   in Loop: Header=BB319_10 Depth=1
	s_or_b64 exec, exec, s[34:35]
.LBB319_195:                            ;   in Loop: Header=BB319_10 Depth=1
	s_or_b64 exec, exec, s[30:31]
.LBB319_196:                            ;   in Loop: Header=BB319_10 Depth=1
	s_or_b64 exec, exec, s[28:29]
	v_cmp_lt_u32_e64 s[8:9], s39, v30
	s_and_saveexec_b64 s[28:29], s[8:9]
	s_cbranch_execz .LBB319_202
; %bb.197:                              ;   in Loop: Header=BB319_10 Depth=1
	v_lshrrev_b32_e32 v30, 24, v30
	v_cmp_ne_u32_e64 s[8:9], s19, v30
	v_bfrev_b32_e32 v3, 1
	s_and_saveexec_b64 s[30:31], s[8:9]
	s_cbranch_execz .LBB319_201
; %bb.198:                              ;   in Loop: Header=BB319_10 Depth=1
	v_and_b32_e32 v6, 0x7f, v30
	v_cmp_ne_u32_e64 s[8:9], s37, v6
	v_mov_b32_e32 v3, 0x7fc02000
	s_and_saveexec_b64 s[34:35], s[8:9]
	s_cbranch_execz .LBB319_200
; %bb.199:                              ;   in Loop: Header=BB319_10 Depth=1
	v_and_b32_e32 v3, 7, v30
	v_ffbh_u32_e32 v8, v3
	v_min_u32_e32 v12, 32, v8
	v_subrev_u32_e32 v8, 28, v12
	v_lshlrev_b64 v[8:9], v8, v[30:31]
	v_lshrrev_b32_e32 v7, 3, v6
	v_sub_u32_e32 v9, 29, v12
	v_cmp_gt_u32_e64 s[8:9], 8, v6
	v_cndmask_b32_e64 v6, v7, v9, s[8:9]
	v_mov_b32_e32 v0, 0x2000
	v_and_b32_e32 v8, 7, v8
	v_lshlrev_b32_e32 v7, 8, v30
	v_lshl_add_u32 v6, v6, 10, v0
	v_cndmask_b32_e64 v3, v3, v8, s[8:9]
	v_and_or_b32 v6, v7, s38, v6
	v_lshl_or_b32 v3, v3, 7, v6
	v_cvt_f32_f16_e32 v3, v3
.LBB319_200:                            ;   in Loop: Header=BB319_10 Depth=1
	s_or_b64 exec, exec, s[34:35]
.LBB319_201:                            ;   in Loop: Header=BB319_10 Depth=1
	s_or_b64 exec, exec, s[30:31]
.LBB319_202:                            ;   in Loop: Header=BB319_10 Depth=1
	s_or_b64 exec, exec, s[28:29]
	flat_load_dword v30, v[28:29] offset:2048
	v_mov_b32_e32 v5, 0
	v_mov_b32_e32 v16, 0
	;; [unrolled: 1-line block ×3, first 2 shown]
	s_waitcnt vmcnt(0) lgkmcnt(0)
	v_cmp_ne_u16_sdwa s[8:9], v30, v5 src0_sel:BYTE_0 src1_sel:DWORD
	s_and_saveexec_b64 s[28:29], s[8:9]
	s_cbranch_execz .LBB319_208
; %bb.203:                              ;   in Loop: Header=BB319_10 Depth=1
	v_cmp_ne_u16_sdwa s[8:9], v30, s19 src0_sel:BYTE_0 src1_sel:DWORD
	v_bfrev_b32_e32 v14, 1
	s_and_saveexec_b64 s[30:31], s[8:9]
	s_cbranch_execz .LBB319_207
; %bb.204:                              ;   in Loop: Header=BB319_10 Depth=1
	v_and_b32_e32 v6, 0x7f, v30
	v_cmp_ne_u32_e64 s[8:9], s37, v6
	v_mov_b32_e32 v14, 0x7fc02000
	s_and_saveexec_b64 s[34:35], s[8:9]
	s_cbranch_execz .LBB319_206
; %bb.205:                              ;   in Loop: Header=BB319_10 Depth=1
	v_and_b32_e32 v7, 7, v30
	v_ffbh_u32_e32 v8, v7
	v_min_u32_e32 v13, 32, v8
	v_subrev_u32_e32 v8, 28, v13
	v_lshlrev_b64 v[8:9], v8, v[30:31]
	v_lshrrev_b32_e32 v12, 3, v6
	v_sub_u32_e32 v9, 29, v13
	v_cmp_gt_u32_e64 s[8:9], 8, v6
	v_and_b32_e32 v8, 7, v8
	v_cndmask_b32_e64 v6, v12, v9, s[8:9]
	v_mov_b32_e32 v0, 0x2000
	v_cndmask_b32_e64 v7, v7, v8, s[8:9]
	v_lshlrev_b32_e32 v8, 8, v30
	v_lshl_add_u32 v6, v6, 10, v0
	v_and_or_b32 v6, v8, s38, v6
	v_lshl_or_b32 v6, v7, 7, v6
	v_cvt_f32_f16_e32 v14, v6
.LBB319_206:                            ;   in Loop: Header=BB319_10 Depth=1
	s_or_b64 exec, exec, s[34:35]
.LBB319_207:                            ;   in Loop: Header=BB319_10 Depth=1
	s_or_b64 exec, exec, s[30:31]
.LBB319_208:                            ;   in Loop: Header=BB319_10 Depth=1
	s_or_b64 exec, exec, s[28:29]
	v_lshrrev_b16_e32 v32, 8, v30
	v_cmp_ne_u16_e64 s[8:9], 0, v32
	s_and_saveexec_b64 s[28:29], s[8:9]
	s_cbranch_execz .LBB319_214
; %bb.209:                              ;   in Loop: Header=BB319_10 Depth=1
	v_cmp_ne_u16_e64 s[8:9], s19, v32
	v_bfrev_b32_e32 v16, 1
	s_and_saveexec_b64 s[30:31], s[8:9]
	s_cbranch_execz .LBB319_213
; %bb.210:                              ;   in Loop: Header=BB319_10 Depth=1
	v_and_b32_e32 v6, 0x7f, v32
	v_cmp_ne_u32_e64 s[8:9], s37, v6
	v_mov_b32_e32 v16, 0x7fc02000
	s_and_saveexec_b64 s[34:35], s[8:9]
	s_cbranch_execz .LBB319_212
; %bb.211:                              ;   in Loop: Header=BB319_10 Depth=1
	v_and_b32_e32 v7, 7, v32
	v_ffbh_u32_e32 v8, v7
	v_min_u32_e32 v13, 32, v8
	v_subrev_u32_e32 v8, 28, v13
	v_lshlrev_b64 v[8:9], v8, v[32:33]
	v_lshrrev_b32_e32 v12, 3, v6
	v_sub_u32_e32 v9, 29, v13
	v_cmp_gt_u32_e64 s[8:9], 8, v6
	v_and_b32_e32 v8, 7, v8
	v_cndmask_b32_e64 v6, v12, v9, s[8:9]
	v_mov_b32_e32 v0, 0x2000
	v_cndmask_b32_e64 v7, v7, v8, s[8:9]
	v_lshlrev_b32_e32 v8, 8, v32
	v_lshl_add_u32 v6, v6, 10, v0
	v_and_or_b32 v6, v8, s38, v6
	v_lshl_or_b32 v6, v7, 7, v6
	v_cvt_f32_f16_e32 v16, v6
.LBB319_212:                            ;   in Loop: Header=BB319_10 Depth=1
	s_or_b64 exec, exec, s[34:35]
.LBB319_213:                            ;   in Loop: Header=BB319_10 Depth=1
	s_or_b64 exec, exec, s[30:31]
.LBB319_214:                            ;   in Loop: Header=BB319_10 Depth=1
	s_or_b64 exec, exec, s[28:29]
	v_lshrrev_b32_e32 v32, 16, v30
	v_mov_b32_e32 v5, 0
	v_cmp_ne_u16_sdwa s[8:9], v32, v5 src0_sel:BYTE_0 src1_sel:DWORD
	v_mov_b32_e32 v49, 0
	v_mov_b32_e32 v12, 0
	s_and_saveexec_b64 s[28:29], s[8:9]
	s_cbranch_execz .LBB319_220
; %bb.215:                              ;   in Loop: Header=BB319_10 Depth=1
	v_cmp_ne_u16_sdwa s[8:9], v32, s19 src0_sel:BYTE_0 src1_sel:DWORD
	v_bfrev_b32_e32 v12, 1
	s_and_saveexec_b64 s[30:31], s[8:9]
	s_cbranch_execz .LBB319_219
; %bb.216:                              ;   in Loop: Header=BB319_10 Depth=1
	v_bfe_u32 v6, v30, 16, 7
	v_cmp_ne_u32_e64 s[8:9], s37, v6
	v_mov_b32_e32 v12, 0x7fc02000
	s_and_saveexec_b64 s[34:35], s[8:9]
	s_cbranch_execz .LBB319_218
; %bb.217:                              ;   in Loop: Header=BB319_10 Depth=1
	v_and_b32_e32 v7, 7, v32
	v_ffbh_u32_e32 v8, v7
	v_min_u32_e32 v13, 32, v8
	v_subrev_u32_e32 v8, 28, v13
	v_lshlrev_b64 v[8:9], v8, v[32:33]
	v_lshrrev_b32_e32 v12, 3, v6
	v_sub_u32_e32 v9, 29, v13
	v_cmp_gt_u32_e64 s[8:9], 8, v6
	v_and_b32_e32 v8, 7, v8
	v_cndmask_b32_e64 v6, v12, v9, s[8:9]
	v_mov_b32_e32 v0, 0x2000
	v_cndmask_b32_e64 v7, v7, v8, s[8:9]
	v_lshlrev_b32_e32 v8, 8, v32
	v_lshl_add_u32 v6, v6, 10, v0
	v_and_or_b32 v6, v8, s38, v6
	v_lshl_or_b32 v6, v7, 7, v6
	v_cvt_f32_f16_e32 v12, v6
.LBB319_218:                            ;   in Loop: Header=BB319_10 Depth=1
	s_or_b64 exec, exec, s[34:35]
.LBB319_219:                            ;   in Loop: Header=BB319_10 Depth=1
	s_or_b64 exec, exec, s[30:31]
.LBB319_220:                            ;   in Loop: Header=BB319_10 Depth=1
	s_or_b64 exec, exec, s[28:29]
	v_cmp_lt_u32_e64 s[8:9], s39, v30
	s_and_saveexec_b64 s[28:29], s[8:9]
	s_cbranch_execz .LBB319_226
; %bb.221:                              ;   in Loop: Header=BB319_10 Depth=1
	v_lshrrev_b32_e32 v30, 24, v30
	v_cmp_ne_u32_e64 s[8:9], s19, v30
	v_bfrev_b32_e32 v49, 1
	s_and_saveexec_b64 s[30:31], s[8:9]
	s_cbranch_execz .LBB319_225
; %bb.222:                              ;   in Loop: Header=BB319_10 Depth=1
	v_and_b32_e32 v6, 0x7f, v30
	v_cmp_ne_u32_e64 s[8:9], s37, v6
	v_mov_b32_e32 v49, 0x7fc02000
	s_and_saveexec_b64 s[34:35], s[8:9]
	s_cbranch_execz .LBB319_224
; %bb.223:                              ;   in Loop: Header=BB319_10 Depth=1
	v_and_b32_e32 v7, 7, v30
	v_ffbh_u32_e32 v8, v7
	v_min_u32_e32 v17, 32, v8
	v_subrev_u32_e32 v8, 28, v17
	v_lshlrev_b64 v[8:9], v8, v[30:31]
	v_lshrrev_b32_e32 v13, 3, v6
	v_sub_u32_e32 v9, 29, v17
	v_cmp_gt_u32_e64 s[8:9], 8, v6
	v_and_b32_e32 v8, 7, v8
	v_cndmask_b32_e64 v6, v13, v9, s[8:9]
	v_mov_b32_e32 v0, 0x2000
	v_cndmask_b32_e64 v7, v7, v8, s[8:9]
	v_lshlrev_b32_e32 v8, 8, v30
	v_lshl_add_u32 v6, v6, 10, v0
	v_and_or_b32 v6, v8, s38, v6
	v_lshl_or_b32 v6, v7, 7, v6
	v_cvt_f32_f16_e32 v49, v6
.LBB319_224:                            ;   in Loop: Header=BB319_10 Depth=1
	s_or_b64 exec, exec, s[34:35]
.LBB319_225:                            ;   in Loop: Header=BB319_10 Depth=1
	s_or_b64 exec, exec, s[30:31]
.LBB319_226:                            ;   in Loop: Header=BB319_10 Depth=1
	s_or_b64 exec, exec, s[28:29]
	flat_load_dword v30, v[28:29] offset:2056
	v_mov_b32_e32 v5, 0
	v_mov_b32_e32 v37, 0
	;; [unrolled: 1-line block ×3, first 2 shown]
	s_waitcnt vmcnt(0) lgkmcnt(0)
	v_cmp_ne_u16_sdwa s[8:9], v30, v5 src0_sel:BYTE_0 src1_sel:DWORD
	s_and_saveexec_b64 s[28:29], s[8:9]
	s_cbranch_execz .LBB319_232
; %bb.227:                              ;   in Loop: Header=BB319_10 Depth=1
	v_cmp_ne_u16_sdwa s[8:9], v30, s19 src0_sel:BYTE_0 src1_sel:DWORD
	v_bfrev_b32_e32 v13, 1
	s_and_saveexec_b64 s[30:31], s[8:9]
	s_cbranch_execz .LBB319_231
; %bb.228:                              ;   in Loop: Header=BB319_10 Depth=1
	v_and_b32_e32 v6, 0x7f, v30
	v_cmp_ne_u32_e64 s[8:9], s37, v6
	v_mov_b32_e32 v13, 0x7fc02000
	s_and_saveexec_b64 s[34:35], s[8:9]
	s_cbranch_execz .LBB319_230
; %bb.229:                              ;   in Loop: Header=BB319_10 Depth=1
	v_and_b32_e32 v7, 7, v30
	v_ffbh_u32_e32 v8, v7
	v_min_u32_e32 v17, 32, v8
	v_subrev_u32_e32 v8, 28, v17
	v_lshlrev_b64 v[8:9], v8, v[30:31]
	v_lshrrev_b32_e32 v13, 3, v6
	v_sub_u32_e32 v9, 29, v17
	v_cmp_gt_u32_e64 s[8:9], 8, v6
	v_and_b32_e32 v8, 7, v8
	v_cndmask_b32_e64 v6, v13, v9, s[8:9]
	v_mov_b32_e32 v0, 0x2000
	v_cndmask_b32_e64 v7, v7, v8, s[8:9]
	v_lshlrev_b32_e32 v8, 8, v30
	v_lshl_add_u32 v6, v6, 10, v0
	v_and_or_b32 v6, v8, s38, v6
	v_lshl_or_b32 v6, v7, 7, v6
	v_cvt_f32_f16_e32 v13, v6
.LBB319_230:                            ;   in Loop: Header=BB319_10 Depth=1
	s_or_b64 exec, exec, s[34:35]
.LBB319_231:                            ;   in Loop: Header=BB319_10 Depth=1
	s_or_b64 exec, exec, s[30:31]
.LBB319_232:                            ;   in Loop: Header=BB319_10 Depth=1
	s_or_b64 exec, exec, s[28:29]
	v_lshrrev_b16_e32 v32, 8, v30
	v_cmp_ne_u16_e64 s[8:9], 0, v32
	s_and_saveexec_b64 s[28:29], s[8:9]
	s_cbranch_execz .LBB319_238
; %bb.233:                              ;   in Loop: Header=BB319_10 Depth=1
	v_cmp_ne_u16_e64 s[8:9], s19, v32
	v_bfrev_b32_e32 v37, 1
	s_and_saveexec_b64 s[30:31], s[8:9]
	s_cbranch_execz .LBB319_237
; %bb.234:                              ;   in Loop: Header=BB319_10 Depth=1
	v_and_b32_e32 v6, 0x7f, v32
	v_cmp_ne_u32_e64 s[8:9], s37, v6
	v_mov_b32_e32 v37, 0x7fc02000
	s_and_saveexec_b64 s[34:35], s[8:9]
	s_cbranch_execz .LBB319_236
; %bb.235:                              ;   in Loop: Header=BB319_10 Depth=1
	v_and_b32_e32 v7, 7, v32
	v_ffbh_u32_e32 v8, v7
	v_min_u32_e32 v22, 32, v8
	v_subrev_u32_e32 v8, 28, v22
	v_lshlrev_b64 v[8:9], v8, v[32:33]
	v_lshrrev_b32_e32 v17, 3, v6
	v_sub_u32_e32 v9, 29, v22
	v_cmp_gt_u32_e64 s[8:9], 8, v6
	v_and_b32_e32 v8, 7, v8
	v_cndmask_b32_e64 v6, v17, v9, s[8:9]
	v_mov_b32_e32 v0, 0x2000
	v_cndmask_b32_e64 v7, v7, v8, s[8:9]
	v_lshlrev_b32_e32 v8, 8, v32
	v_lshl_add_u32 v6, v6, 10, v0
	v_and_or_b32 v6, v8, s38, v6
	v_lshl_or_b32 v6, v7, 7, v6
	v_cvt_f32_f16_e32 v37, v6
.LBB319_236:                            ;   in Loop: Header=BB319_10 Depth=1
	s_or_b64 exec, exec, s[34:35]
.LBB319_237:                            ;   in Loop: Header=BB319_10 Depth=1
	s_or_b64 exec, exec, s[30:31]
.LBB319_238:                            ;   in Loop: Header=BB319_10 Depth=1
	s_or_b64 exec, exec, s[28:29]
	v_lshrrev_b32_e32 v32, 16, v30
	v_mov_b32_e32 v5, 0
	v_cmp_ne_u16_sdwa s[8:9], v32, v5 src0_sel:BYTE_0 src1_sel:DWORD
	v_mov_b32_e32 v8, 0
	v_mov_b32_e32 v9, 0
	s_and_saveexec_b64 s[28:29], s[8:9]
	s_cbranch_execz .LBB319_244
; %bb.239:                              ;   in Loop: Header=BB319_10 Depth=1
	v_cmp_ne_u16_sdwa s[8:9], v32, s19 src0_sel:BYTE_0 src1_sel:DWORD
	v_bfrev_b32_e32 v9, 1
	s_and_saveexec_b64 s[30:31], s[8:9]
	s_cbranch_execz .LBB319_243
; %bb.240:                              ;   in Loop: Header=BB319_10 Depth=1
	v_bfe_u32 v6, v30, 16, 7
	v_cmp_ne_u32_e64 s[8:9], s37, v6
	v_mov_b32_e32 v9, 0x7fc02000
	s_and_saveexec_b64 s[34:35], s[8:9]
	s_cbranch_execz .LBB319_242
; %bb.241:                              ;   in Loop: Header=BB319_10 Depth=1
	v_and_b32_e32 v7, 7, v32
	v_ffbh_u32_e32 v17, v7
	v_min_u32_e32 v17, 32, v17
	v_lshrrev_b32_e32 v9, 3, v6
	v_subrev_u32_e32 v22, 28, v17
	v_sub_u32_e32 v17, 29, v17
	v_cmp_gt_u32_e64 s[8:9], 8, v6
	v_lshlrev_b64 v[24:25], v22, v[32:33]
	v_cndmask_b32_e64 v6, v9, v17, s[8:9]
	v_mov_b32_e32 v0, 0x2000
	v_and_b32_e32 v22, 7, v24
	v_lshlrev_b32_e32 v9, 8, v32
	v_lshl_add_u32 v6, v6, 10, v0
	v_cndmask_b32_e64 v7, v7, v22, s[8:9]
	v_and_or_b32 v6, v9, s38, v6
	v_lshl_or_b32 v6, v7, 7, v6
	v_cvt_f32_f16_e32 v9, v6
.LBB319_242:                            ;   in Loop: Header=BB319_10 Depth=1
	s_or_b64 exec, exec, s[34:35]
.LBB319_243:                            ;   in Loop: Header=BB319_10 Depth=1
	s_or_b64 exec, exec, s[30:31]
.LBB319_244:                            ;   in Loop: Header=BB319_10 Depth=1
	s_or_b64 exec, exec, s[28:29]
	v_cmp_lt_u32_e64 s[8:9], s39, v30
	s_and_saveexec_b64 s[28:29], s[8:9]
	s_cbranch_execz .LBB319_250
; %bb.245:                              ;   in Loop: Header=BB319_10 Depth=1
	v_lshrrev_b32_e32 v30, 24, v30
	v_cmp_ne_u32_e64 s[8:9], s19, v30
	v_bfrev_b32_e32 v8, 1
	s_and_saveexec_b64 s[30:31], s[8:9]
	s_cbranch_execz .LBB319_249
; %bb.246:                              ;   in Loop: Header=BB319_10 Depth=1
	v_and_b32_e32 v6, 0x7f, v30
	v_cmp_ne_u32_e64 s[8:9], s37, v6
	v_mov_b32_e32 v8, 0x7fc02000
	s_and_saveexec_b64 s[34:35], s[8:9]
	s_cbranch_execz .LBB319_248
; %bb.247:                              ;   in Loop: Header=BB319_10 Depth=1
	v_and_b32_e32 v7, 7, v30
	v_ffbh_u32_e32 v17, v7
	v_min_u32_e32 v17, 32, v17
	v_lshrrev_b32_e32 v8, 3, v6
	v_subrev_u32_e32 v22, 28, v17
	v_sub_u32_e32 v17, 29, v17
	v_cmp_gt_u32_e64 s[8:9], 8, v6
	v_lshlrev_b64 v[24:25], v22, v[30:31]
	v_cndmask_b32_e64 v6, v8, v17, s[8:9]
	v_mov_b32_e32 v0, 0x2000
	v_and_b32_e32 v22, 7, v24
	v_lshlrev_b32_e32 v8, 8, v30
	v_lshl_add_u32 v6, v6, 10, v0
	v_cndmask_b32_e64 v7, v7, v22, s[8:9]
	v_and_or_b32 v6, v8, s38, v6
	v_lshl_or_b32 v6, v7, 7, v6
	v_cvt_f32_f16_e32 v8, v6
.LBB319_248:                            ;   in Loop: Header=BB319_10 Depth=1
	s_or_b64 exec, exec, s[34:35]
.LBB319_249:                            ;   in Loop: Header=BB319_10 Depth=1
	s_or_b64 exec, exec, s[30:31]
.LBB319_250:                            ;   in Loop: Header=BB319_10 Depth=1
	s_or_b64 exec, exec, s[28:29]
	flat_load_dword v30, v[28:29] offset:2560
	v_mov_b32_e32 v5, 0
	v_mov_b32_e32 v22, 0
	;; [unrolled: 1-line block ×3, first 2 shown]
	s_waitcnt vmcnt(0) lgkmcnt(0)
	v_cmp_ne_u16_sdwa s[8:9], v30, v5 src0_sel:BYTE_0 src1_sel:DWORD
	s_and_saveexec_b64 s[28:29], s[8:9]
	s_cbranch_execz .LBB319_256
; %bb.251:                              ;   in Loop: Header=BB319_10 Depth=1
	v_cmp_ne_u16_sdwa s[8:9], v30, s19 src0_sel:BYTE_0 src1_sel:DWORD
	v_bfrev_b32_e32 v39, 1
	s_and_saveexec_b64 s[30:31], s[8:9]
	s_cbranch_execz .LBB319_255
; %bb.252:                              ;   in Loop: Header=BB319_10 Depth=1
	v_and_b32_e32 v6, 0x7f, v30
	v_cmp_ne_u32_e64 s[8:9], s37, v6
	v_mov_b32_e32 v39, 0x7fc02000
	s_and_saveexec_b64 s[34:35], s[8:9]
	s_cbranch_execz .LBB319_254
; %bb.253:                              ;   in Loop: Header=BB319_10 Depth=1
	v_and_b32_e32 v7, 7, v30
	v_ffbh_u32_e32 v24, v7
	v_min_u32_e32 v26, 32, v24
	v_subrev_u32_e32 v24, 28, v26
	v_lshlrev_b64 v[24:25], v24, v[30:31]
	v_lshrrev_b32_e32 v17, 3, v6
	v_sub_u32_e32 v25, 29, v26
	v_cmp_gt_u32_e64 s[8:9], 8, v6
	v_cndmask_b32_e64 v6, v17, v25, s[8:9]
	v_mov_b32_e32 v0, 0x2000
	v_and_b32_e32 v24, 7, v24
	v_lshlrev_b32_e32 v17, 8, v30
	v_lshl_add_u32 v6, v6, 10, v0
	v_cndmask_b32_e64 v7, v7, v24, s[8:9]
	v_and_or_b32 v6, v17, s38, v6
	v_lshl_or_b32 v6, v7, 7, v6
	v_cvt_f32_f16_e32 v39, v6
.LBB319_254:                            ;   in Loop: Header=BB319_10 Depth=1
	s_or_b64 exec, exec, s[34:35]
.LBB319_255:                            ;   in Loop: Header=BB319_10 Depth=1
	s_or_b64 exec, exec, s[30:31]
.LBB319_256:                            ;   in Loop: Header=BB319_10 Depth=1
	s_or_b64 exec, exec, s[28:29]
	v_lshrrev_b16_e32 v32, 8, v30
	v_cmp_ne_u16_e64 s[8:9], 0, v32
	s_and_saveexec_b64 s[28:29], s[8:9]
	s_cbranch_execz .LBB319_262
; %bb.257:                              ;   in Loop: Header=BB319_10 Depth=1
	v_cmp_ne_u16_e64 s[8:9], s19, v32
	v_bfrev_b32_e32 v22, 1
	s_and_saveexec_b64 s[30:31], s[8:9]
	s_cbranch_execz .LBB319_261
; %bb.258:                              ;   in Loop: Header=BB319_10 Depth=1
	v_and_b32_e32 v6, 0x7f, v32
	v_cmp_ne_u32_e64 s[8:9], s37, v6
	v_mov_b32_e32 v22, 0x7fc02000
	s_and_saveexec_b64 s[34:35], s[8:9]
	s_cbranch_execz .LBB319_260
; %bb.259:                              ;   in Loop: Header=BB319_10 Depth=1
	v_and_b32_e32 v17, 7, v32
	v_lshrrev_b32_e32 v22, 3, v6
	v_cmp_gt_u32_e64 s[8:9], 8, v6
	v_ffbh_u32_e32 v6, v17
	v_min_u32_e32 v24, 32, v6
	v_subrev_u32_e32 v6, 28, v24
	v_lshlrev_b64 v[6:7], v6, v[32:33]
	v_sub_u32_e32 v7, 29, v24
	v_and_b32_e32 v6, 7, v6
	v_cndmask_b32_e64 v7, v22, v7, s[8:9]
	v_mov_b32_e32 v0, 0x2000
	v_cndmask_b32_e64 v6, v17, v6, s[8:9]
	v_lshlrev_b32_e32 v17, 8, v32
	v_lshl_add_u32 v7, v7, 10, v0
	v_and_or_b32 v7, v17, s38, v7
	v_lshl_or_b32 v6, v6, 7, v7
	v_cvt_f32_f16_e32 v22, v6
.LBB319_260:                            ;   in Loop: Header=BB319_10 Depth=1
	s_or_b64 exec, exec, s[34:35]
.LBB319_261:                            ;   in Loop: Header=BB319_10 Depth=1
	s_or_b64 exec, exec, s[30:31]
.LBB319_262:                            ;   in Loop: Header=BB319_10 Depth=1
	s_or_b64 exec, exec, s[28:29]
	v_lshrrev_b32_e32 v32, 16, v30
	v_mov_b32_e32 v5, 0
	v_cmp_ne_u16_sdwa s[8:9], v32, v5 src0_sel:BYTE_0 src1_sel:DWORD
	v_mov_b32_e32 v25, 0
	v_mov_b32_e32 v24, 0
	s_and_saveexec_b64 s[28:29], s[8:9]
	s_cbranch_execz .LBB319_268
; %bb.263:                              ;   in Loop: Header=BB319_10 Depth=1
	v_cmp_ne_u16_sdwa s[8:9], v32, s19 src0_sel:BYTE_0 src1_sel:DWORD
	v_bfrev_b32_e32 v24, 1
	s_and_saveexec_b64 s[30:31], s[8:9]
	s_cbranch_execz .LBB319_267
; %bb.264:                              ;   in Loop: Header=BB319_10 Depth=1
	v_bfe_u32 v6, v30, 16, 7
	v_cmp_ne_u32_e64 s[8:9], s37, v6
	v_mov_b32_e32 v24, 0x7fc02000
	s_and_saveexec_b64 s[34:35], s[8:9]
	s_cbranch_execz .LBB319_266
; %bb.265:                              ;   in Loop: Header=BB319_10 Depth=1
	v_and_b32_e32 v7, 7, v32
	v_ffbh_u32_e32 v24, v7
	v_min_u32_e32 v24, 32, v24
	v_lshrrev_b32_e32 v17, 3, v6
	v_subrev_u32_e32 v26, 28, v24
	v_sub_u32_e32 v24, 29, v24
	v_cmp_gt_u32_e64 s[8:9], 8, v6
	v_lshlrev_b64 v[26:27], v26, v[32:33]
	v_cndmask_b32_e64 v6, v17, v24, s[8:9]
	v_mov_b32_e32 v0, 0x2000
	v_and_b32_e32 v26, 7, v26
	v_lshlrev_b32_e32 v17, 8, v32
	v_lshl_add_u32 v6, v6, 10, v0
	v_cndmask_b32_e64 v7, v7, v26, s[8:9]
	v_and_or_b32 v6, v17, s38, v6
	v_lshl_or_b32 v6, v7, 7, v6
	v_cvt_f32_f16_e32 v24, v6
.LBB319_266:                            ;   in Loop: Header=BB319_10 Depth=1
	s_or_b64 exec, exec, s[34:35]
.LBB319_267:                            ;   in Loop: Header=BB319_10 Depth=1
	s_or_b64 exec, exec, s[30:31]
.LBB319_268:                            ;   in Loop: Header=BB319_10 Depth=1
	s_or_b64 exec, exec, s[28:29]
	v_cmp_lt_u32_e64 s[8:9], s39, v30
	s_and_saveexec_b64 s[28:29], s[8:9]
	s_cbranch_execz .LBB319_274
; %bb.269:                              ;   in Loop: Header=BB319_10 Depth=1
	v_lshrrev_b32_e32 v30, 24, v30
	v_cmp_ne_u32_e64 s[8:9], s19, v30
	v_bfrev_b32_e32 v25, 1
	s_and_saveexec_b64 s[30:31], s[8:9]
	s_cbranch_execz .LBB319_273
; %bb.270:                              ;   in Loop: Header=BB319_10 Depth=1
	v_and_b32_e32 v6, 0x7f, v30
	v_cmp_ne_u32_e64 s[8:9], s37, v6
	v_mov_b32_e32 v25, 0x7fc02000
	s_and_saveexec_b64 s[34:35], s[8:9]
	s_cbranch_execz .LBB319_272
; %bb.271:                              ;   in Loop: Header=BB319_10 Depth=1
	v_and_b32_e32 v7, 7, v30
	v_ffbh_u32_e32 v25, v7
	v_min_u32_e32 v25, 32, v25
	v_lshrrev_b32_e32 v17, 3, v6
	v_subrev_u32_e32 v26, 28, v25
	v_sub_u32_e32 v25, 29, v25
	v_cmp_gt_u32_e64 s[8:9], 8, v6
	v_lshlrev_b64 v[26:27], v26, v[30:31]
	v_cndmask_b32_e64 v6, v17, v25, s[8:9]
	v_mov_b32_e32 v0, 0x2000
	v_and_b32_e32 v26, 7, v26
	v_lshlrev_b32_e32 v17, 8, v30
	v_lshl_add_u32 v6, v6, 10, v0
	v_cndmask_b32_e64 v7, v7, v26, s[8:9]
	v_and_or_b32 v6, v17, s38, v6
	v_lshl_or_b32 v6, v7, 7, v6
	v_cvt_f32_f16_e32 v25, v6
.LBB319_272:                            ;   in Loop: Header=BB319_10 Depth=1
	s_or_b64 exec, exec, s[34:35]
.LBB319_273:                            ;   in Loop: Header=BB319_10 Depth=1
	s_or_b64 exec, exec, s[30:31]
.LBB319_274:                            ;   in Loop: Header=BB319_10 Depth=1
	s_or_b64 exec, exec, s[28:29]
	flat_load_dword v30, v[28:29] offset:2568
	v_mov_b32_e32 v5, 0
	v_mov_b32_e32 v41, 0
	;; [unrolled: 1-line block ×3, first 2 shown]
	s_waitcnt vmcnt(0) lgkmcnt(0)
	v_cmp_ne_u16_sdwa s[8:9], v30, v5 src0_sel:BYTE_0 src1_sel:DWORD
	s_and_saveexec_b64 s[28:29], s[8:9]
	s_cbranch_execz .LBB319_280
; %bb.275:                              ;   in Loop: Header=BB319_10 Depth=1
	v_cmp_ne_u16_sdwa s[8:9], v30, s19 src0_sel:BYTE_0 src1_sel:DWORD
	v_bfrev_b32_e32 v42, 1
	s_and_saveexec_b64 s[30:31], s[8:9]
	s_cbranch_execz .LBB319_279
; %bb.276:                              ;   in Loop: Header=BB319_10 Depth=1
	v_and_b32_e32 v6, 0x7f, v30
	v_cmp_ne_u32_e64 s[8:9], s37, v6
	v_mov_b32_e32 v42, 0x7fc02000
	s_and_saveexec_b64 s[34:35], s[8:9]
	s_cbranch_execz .LBB319_278
; %bb.277:                              ;   in Loop: Header=BB319_10 Depth=1
	v_and_b32_e32 v7, 7, v30
	v_ffbh_u32_e32 v26, v7
	v_min_u32_e32 v32, 32, v26
	v_subrev_u32_e32 v26, 28, v32
	v_lshlrev_b64 v[26:27], v26, v[30:31]
	v_lshrrev_b32_e32 v17, 3, v6
	v_sub_u32_e32 v27, 29, v32
	v_cmp_gt_u32_e64 s[8:9], 8, v6
	v_cndmask_b32_e64 v6, v17, v27, s[8:9]
	v_mov_b32_e32 v0, 0x2000
	v_and_b32_e32 v26, 7, v26
	v_lshlrev_b32_e32 v17, 8, v30
	v_lshl_add_u32 v6, v6, 10, v0
	v_cndmask_b32_e64 v7, v7, v26, s[8:9]
	v_and_or_b32 v6, v17, s38, v6
	v_lshl_or_b32 v6, v7, 7, v6
	v_cvt_f32_f16_e32 v42, v6
.LBB319_278:                            ;   in Loop: Header=BB319_10 Depth=1
	s_or_b64 exec, exec, s[34:35]
.LBB319_279:                            ;   in Loop: Header=BB319_10 Depth=1
	s_or_b64 exec, exec, s[30:31]
.LBB319_280:                            ;   in Loop: Header=BB319_10 Depth=1
	s_or_b64 exec, exec, s[28:29]
	v_lshrrev_b16_e32 v32, 8, v30
	v_cmp_ne_u16_e64 s[8:9], 0, v32
	s_and_saveexec_b64 s[28:29], s[8:9]
	s_cbranch_execz .LBB319_286
; %bb.281:                              ;   in Loop: Header=BB319_10 Depth=1
	v_cmp_ne_u16_e64 s[8:9], s19, v32
	v_bfrev_b32_e32 v41, 1
	s_and_saveexec_b64 s[30:31], s[8:9]
	s_cbranch_execz .LBB319_285
; %bb.282:                              ;   in Loop: Header=BB319_10 Depth=1
	v_and_b32_e32 v6, 0x7f, v32
	v_cmp_ne_u32_e64 s[8:9], s37, v6
	v_mov_b32_e32 v41, 0x7fc02000
	s_and_saveexec_b64 s[34:35], s[8:9]
	s_cbranch_execz .LBB319_284
; %bb.283:                              ;   in Loop: Header=BB319_10 Depth=1
	v_and_b32_e32 v7, 7, v32
	v_ffbh_u32_e32 v26, v7
	v_min_u32_e32 v33, 32, v26
	v_subrev_u32_e32 v26, 28, v33
	v_lshlrev_b64 v[26:27], v26, v[32:33]
	v_lshrrev_b32_e32 v17, 3, v6
	v_sub_u32_e32 v27, 29, v33
	v_cmp_gt_u32_e64 s[8:9], 8, v6
	v_cndmask_b32_e64 v6, v17, v27, s[8:9]
	v_mov_b32_e32 v0, 0x2000
	v_and_b32_e32 v26, 7, v26
	v_lshlrev_b32_e32 v17, 8, v32
	v_lshl_add_u32 v6, v6, 10, v0
	v_cndmask_b32_e64 v7, v7, v26, s[8:9]
	v_and_or_b32 v6, v17, s38, v6
	v_lshl_or_b32 v6, v7, 7, v6
	v_cvt_f32_f16_e32 v41, v6
.LBB319_284:                            ;   in Loop: Header=BB319_10 Depth=1
	s_or_b64 exec, exec, s[34:35]
.LBB319_285:                            ;   in Loop: Header=BB319_10 Depth=1
	s_or_b64 exec, exec, s[30:31]
.LBB319_286:                            ;   in Loop: Header=BB319_10 Depth=1
	s_or_b64 exec, exec, s[28:29]
	v_lshrrev_b32_e32 v32, 16, v30
	v_mov_b32_e32 v5, 0
	v_cmp_ne_u16_sdwa s[8:9], v32, v5 src0_sel:BYTE_0 src1_sel:DWORD
	v_mov_b32_e32 v27, 0
	v_mov_b32_e32 v26, 0
	s_and_saveexec_b64 s[28:29], s[8:9]
	s_cbranch_execz .LBB319_292
; %bb.287:                              ;   in Loop: Header=BB319_10 Depth=1
	v_cmp_ne_u16_sdwa s[8:9], v32, s19 src0_sel:BYTE_0 src1_sel:DWORD
	v_bfrev_b32_e32 v26, 1
	s_and_saveexec_b64 s[30:31], s[8:9]
	s_cbranch_execz .LBB319_291
; %bb.288:                              ;   in Loop: Header=BB319_10 Depth=1
	v_bfe_u32 v6, v30, 16, 7
	v_cmp_ne_u32_e64 s[8:9], s37, v6
	v_mov_b32_e32 v26, 0x7fc02000
	s_and_saveexec_b64 s[34:35], s[8:9]
	s_cbranch_execz .LBB319_290
; %bb.289:                              ;   in Loop: Header=BB319_10 Depth=1
	v_and_b32_e32 v7, 7, v32
	v_ffbh_u32_e32 v26, v7
	v_min_u32_e32 v26, 32, v26
	v_lshrrev_b32_e32 v17, 3, v6
	v_subrev_u32_e32 v33, 28, v26
	v_sub_u32_e32 v26, 29, v26
	v_cmp_gt_u32_e64 s[8:9], 8, v6
	v_lshlrev_b64 v[44:45], v33, v[32:33]
	v_cndmask_b32_e64 v6, v17, v26, s[8:9]
	v_mov_b32_e32 v0, 0x2000
	v_and_b32_e32 v33, 7, v44
	v_lshlrev_b32_e32 v17, 8, v32
	v_lshl_add_u32 v6, v6, 10, v0
	v_cndmask_b32_e64 v7, v7, v33, s[8:9]
	v_and_or_b32 v6, v17, s38, v6
	v_lshl_or_b32 v6, v7, 7, v6
	v_cvt_f32_f16_e32 v26, v6
.LBB319_290:                            ;   in Loop: Header=BB319_10 Depth=1
	s_or_b64 exec, exec, s[34:35]
.LBB319_291:                            ;   in Loop: Header=BB319_10 Depth=1
	s_or_b64 exec, exec, s[30:31]
.LBB319_292:                            ;   in Loop: Header=BB319_10 Depth=1
	s_or_b64 exec, exec, s[28:29]
	v_cmp_lt_u32_e64 s[8:9], s39, v30
	s_and_saveexec_b64 s[28:29], s[8:9]
	s_cbranch_execz .LBB319_298
; %bb.293:                              ;   in Loop: Header=BB319_10 Depth=1
	v_lshrrev_b32_e32 v30, 24, v30
	v_cmp_ne_u32_e64 s[8:9], s19, v30
	v_bfrev_b32_e32 v27, 1
	s_and_saveexec_b64 s[30:31], s[8:9]
	s_cbranch_execz .LBB319_297
; %bb.294:                              ;   in Loop: Header=BB319_10 Depth=1
	v_and_b32_e32 v6, 0x7f, v30
	v_cmp_ne_u32_e64 s[8:9], s37, v6
	v_mov_b32_e32 v27, 0x7fc02000
	s_and_saveexec_b64 s[34:35], s[8:9]
	s_cbranch_execz .LBB319_296
; %bb.295:                              ;   in Loop: Header=BB319_10 Depth=1
	v_and_b32_e32 v7, 7, v30
	v_ffbh_u32_e32 v27, v7
	v_min_u32_e32 v27, 32, v27
	v_lshrrev_b32_e32 v17, 3, v6
	v_subrev_u32_e32 v32, 28, v27
	v_sub_u32_e32 v27, 29, v27
	v_cmp_gt_u32_e64 s[8:9], 8, v6
	v_lshlrev_b64 v[32:33], v32, v[30:31]
	v_cndmask_b32_e64 v6, v17, v27, s[8:9]
	v_mov_b32_e32 v0, 0x2000
	v_and_b32_e32 v32, 7, v32
	v_lshlrev_b32_e32 v17, 8, v30
	v_lshl_add_u32 v6, v6, 10, v0
	v_cndmask_b32_e64 v7, v7, v32, s[8:9]
	v_and_or_b32 v6, v17, s38, v6
	v_lshl_or_b32 v6, v7, 7, v6
	v_cvt_f32_f16_e32 v27, v6
.LBB319_296:                            ;   in Loop: Header=BB319_10 Depth=1
	s_or_b64 exec, exec, s[34:35]
.LBB319_297:                            ;   in Loop: Header=BB319_10 Depth=1
	s_or_b64 exec, exec, s[30:31]
.LBB319_298:                            ;   in Loop: Header=BB319_10 Depth=1
	s_or_b64 exec, exec, s[28:29]
	flat_load_dword v30, v[28:29] offset:3072
	v_mov_b32_e32 v5, 0
	v_mov_b32_e32 v43, 0
	;; [unrolled: 1-line block ×3, first 2 shown]
	s_waitcnt vmcnt(0) lgkmcnt(0)
	v_cmp_ne_u16_sdwa s[8:9], v30, v5 src0_sel:BYTE_0 src1_sel:DWORD
	s_and_saveexec_b64 s[28:29], s[8:9]
	s_cbranch_execz .LBB319_304
; %bb.299:                              ;   in Loop: Header=BB319_10 Depth=1
	v_cmp_ne_u16_sdwa s[8:9], v30, s19 src0_sel:BYTE_0 src1_sel:DWORD
	v_bfrev_b32_e32 v44, 1
	s_and_saveexec_b64 s[30:31], s[8:9]
	s_cbranch_execz .LBB319_303
; %bb.300:                              ;   in Loop: Header=BB319_10 Depth=1
	v_and_b32_e32 v6, 0x7f, v30
	v_cmp_ne_u32_e64 s[8:9], s37, v6
	v_mov_b32_e32 v44, 0x7fc02000
	s_and_saveexec_b64 s[34:35], s[8:9]
	s_cbranch_execz .LBB319_302
; %bb.301:                              ;   in Loop: Header=BB319_10 Depth=1
	v_and_b32_e32 v7, 7, v30
	v_ffbh_u32_e32 v32, v7
	v_min_u32_e32 v38, 32, v32
	v_subrev_u32_e32 v32, 28, v38
	v_lshlrev_b64 v[32:33], v32, v[30:31]
	v_lshrrev_b32_e32 v17, 3, v6
	v_sub_u32_e32 v33, 29, v38
	v_cmp_gt_u32_e64 s[8:9], 8, v6
	v_cndmask_b32_e64 v6, v17, v33, s[8:9]
	v_mov_b32_e32 v0, 0x2000
	v_and_b32_e32 v32, 7, v32
	v_lshlrev_b32_e32 v17, 8, v30
	v_lshl_add_u32 v6, v6, 10, v0
	v_cndmask_b32_e64 v7, v7, v32, s[8:9]
	v_and_or_b32 v6, v17, s38, v6
	v_lshl_or_b32 v6, v7, 7, v6
	v_cvt_f32_f16_e32 v44, v6
.LBB319_302:                            ;   in Loop: Header=BB319_10 Depth=1
	s_or_b64 exec, exec, s[34:35]
.LBB319_303:                            ;   in Loop: Header=BB319_10 Depth=1
	s_or_b64 exec, exec, s[30:31]
.LBB319_304:                            ;   in Loop: Header=BB319_10 Depth=1
	s_or_b64 exec, exec, s[28:29]
	v_lshrrev_b16_e32 v32, 8, v30
	v_cmp_ne_u16_e64 s[8:9], 0, v32
	s_and_saveexec_b64 s[28:29], s[8:9]
	s_cbranch_execz .LBB319_310
; %bb.305:                              ;   in Loop: Header=BB319_10 Depth=1
	v_cmp_ne_u16_e64 s[8:9], s19, v32
	v_bfrev_b32_e32 v43, 1
	s_and_saveexec_b64 s[30:31], s[8:9]
	s_cbranch_execz .LBB319_309
; %bb.306:                              ;   in Loop: Header=BB319_10 Depth=1
	v_and_b32_e32 v6, 0x7f, v32
	v_cmp_ne_u32_e64 s[8:9], s37, v6
	v_mov_b32_e32 v43, 0x7fc02000
	s_and_saveexec_b64 s[34:35], s[8:9]
	s_cbranch_execz .LBB319_308
; %bb.307:                              ;   in Loop: Header=BB319_10 Depth=1
	v_and_b32_e32 v7, 7, v32
	v_ffbh_u32_e32 v33, v7
	v_min_u32_e32 v33, 32, v33
	v_subrev_u32_e32 v38, 28, v33
	v_lshrrev_b32_e32 v17, 3, v6
	v_lshlrev_b64 v[46:47], v38, v[32:33]
	v_sub_u32_e32 v33, 29, v33
	v_cmp_gt_u32_e64 s[8:9], 8, v6
	v_cndmask_b32_e64 v6, v17, v33, s[8:9]
	v_mov_b32_e32 v0, 0x2000
	v_and_b32_e32 v38, 7, v46
	v_lshlrev_b32_e32 v17, 8, v32
	v_lshl_add_u32 v6, v6, 10, v0
	v_cndmask_b32_e64 v7, v7, v38, s[8:9]
	v_and_or_b32 v6, v17, s38, v6
	v_lshl_or_b32 v6, v7, 7, v6
	v_cvt_f32_f16_e32 v43, v6
.LBB319_308:                            ;   in Loop: Header=BB319_10 Depth=1
	s_or_b64 exec, exec, s[34:35]
.LBB319_309:                            ;   in Loop: Header=BB319_10 Depth=1
	s_or_b64 exec, exec, s[30:31]
.LBB319_310:                            ;   in Loop: Header=BB319_10 Depth=1
	s_or_b64 exec, exec, s[28:29]
	v_lshrrev_b32_e32 v32, 16, v30
	v_mov_b32_e32 v5, 0
	v_cmp_ne_u16_sdwa s[8:9], v32, v5 src0_sel:BYTE_0 src1_sel:DWORD
	v_mov_b32_e32 v45, 0
	v_mov_b32_e32 v46, 0
	s_and_saveexec_b64 s[28:29], s[8:9]
	s_cbranch_execz .LBB319_316
; %bb.311:                              ;   in Loop: Header=BB319_10 Depth=1
	v_cmp_ne_u16_sdwa s[8:9], v32, s19 src0_sel:BYTE_0 src1_sel:DWORD
	v_bfrev_b32_e32 v46, 1
	s_and_saveexec_b64 s[30:31], s[8:9]
	s_cbranch_execz .LBB319_315
; %bb.312:                              ;   in Loop: Header=BB319_10 Depth=1
	v_bfe_u32 v6, v30, 16, 7
	v_cmp_ne_u32_e64 s[8:9], s37, v6
	v_mov_b32_e32 v46, 0x7fc02000
	s_and_saveexec_b64 s[34:35], s[8:9]
	s_cbranch_execz .LBB319_314
; %bb.313:                              ;   in Loop: Header=BB319_10 Depth=1
	v_and_b32_e32 v7, 7, v32
	v_ffbh_u32_e32 v33, v7
	v_min_u32_e32 v33, 32, v33
	v_subrev_u32_e32 v38, 28, v33
	v_lshrrev_b32_e32 v17, 3, v6
	v_lshlrev_b64 v[46:47], v38, v[32:33]
	v_sub_u32_e32 v33, 29, v33
	v_cmp_gt_u32_e64 s[8:9], 8, v6
	v_cndmask_b32_e64 v6, v17, v33, s[8:9]
	v_mov_b32_e32 v0, 0x2000
	v_and_b32_e32 v38, 7, v46
	v_lshlrev_b32_e32 v17, 8, v32
	v_lshl_add_u32 v6, v6, 10, v0
	v_cndmask_b32_e64 v7, v7, v38, s[8:9]
	v_and_or_b32 v6, v17, s38, v6
	v_lshl_or_b32 v6, v7, 7, v6
	v_cvt_f32_f16_e32 v46, v6
.LBB319_314:                            ;   in Loop: Header=BB319_10 Depth=1
	s_or_b64 exec, exec, s[34:35]
.LBB319_315:                            ;   in Loop: Header=BB319_10 Depth=1
	s_or_b64 exec, exec, s[30:31]
.LBB319_316:                            ;   in Loop: Header=BB319_10 Depth=1
	s_or_b64 exec, exec, s[28:29]
	v_cmp_lt_u32_e64 s[8:9], s39, v30
	s_and_saveexec_b64 s[28:29], s[8:9]
	s_cbranch_execz .LBB319_322
; %bb.317:                              ;   in Loop: Header=BB319_10 Depth=1
	v_lshrrev_b32_e32 v30, 24, v30
	v_cmp_ne_u32_e64 s[8:9], s19, v30
	v_bfrev_b32_e32 v45, 1
	s_and_saveexec_b64 s[30:31], s[8:9]
	s_cbranch_execz .LBB319_321
; %bb.318:                              ;   in Loop: Header=BB319_10 Depth=1
	v_and_b32_e32 v6, 0x7f, v30
	v_cmp_ne_u32_e64 s[8:9], s37, v6
	v_mov_b32_e32 v45, 0x7fc02000
	s_and_saveexec_b64 s[34:35], s[8:9]
	s_cbranch_execz .LBB319_320
; %bb.319:                              ;   in Loop: Header=BB319_10 Depth=1
	v_and_b32_e32 v7, 7, v30
	v_ffbh_u32_e32 v32, v7
	v_min_u32_e32 v38, 32, v32
	v_subrev_u32_e32 v32, 28, v38
	v_lshlrev_b64 v[32:33], v32, v[30:31]
	v_lshrrev_b32_e32 v17, 3, v6
	v_sub_u32_e32 v33, 29, v38
	v_cmp_gt_u32_e64 s[8:9], 8, v6
	v_cndmask_b32_e64 v6, v17, v33, s[8:9]
	v_mov_b32_e32 v0, 0x2000
	v_and_b32_e32 v32, 7, v32
	v_lshlrev_b32_e32 v17, 8, v30
	v_lshl_add_u32 v6, v6, 10, v0
	v_cndmask_b32_e64 v7, v7, v32, s[8:9]
	v_and_or_b32 v6, v17, s38, v6
	v_lshl_or_b32 v6, v7, 7, v6
	v_cvt_f32_f16_e32 v45, v6
.LBB319_320:                            ;   in Loop: Header=BB319_10 Depth=1
	s_or_b64 exec, exec, s[34:35]
.LBB319_321:                            ;   in Loop: Header=BB319_10 Depth=1
	s_or_b64 exec, exec, s[30:31]
.LBB319_322:                            ;   in Loop: Header=BB319_10 Depth=1
	s_or_b64 exec, exec, s[28:29]
	flat_load_dword v30, v[28:29] offset:3080
	v_mov_b32_e32 v5, 0
	v_mov_b32_e32 v47, 0
	v_mov_b32_e32 v56, 0
	s_waitcnt vmcnt(0) lgkmcnt(0)
	v_cmp_ne_u16_sdwa s[8:9], v30, v5 src0_sel:BYTE_0 src1_sel:DWORD
	s_and_saveexec_b64 s[28:29], s[8:9]
	s_cbranch_execz .LBB319_328
; %bb.323:                              ;   in Loop: Header=BB319_10 Depth=1
	v_cmp_ne_u16_sdwa s[8:9], v30, s19 src0_sel:BYTE_0 src1_sel:DWORD
	v_bfrev_b32_e32 v56, 1
	s_and_saveexec_b64 s[30:31], s[8:9]
	s_cbranch_execz .LBB319_327
; %bb.324:                              ;   in Loop: Header=BB319_10 Depth=1
	v_and_b32_e32 v6, 0x7f, v30
	v_cmp_ne_u32_e64 s[8:9], s37, v6
	v_mov_b32_e32 v56, 0x7fc02000
	s_and_saveexec_b64 s[34:35], s[8:9]
	s_cbranch_execz .LBB319_326
; %bb.325:                              ;   in Loop: Header=BB319_10 Depth=1
	v_and_b32_e32 v7, 7, v30
	v_ffbh_u32_e32 v32, v7
	v_min_u32_e32 v38, 32, v32
	v_subrev_u32_e32 v32, 28, v38
	v_lshlrev_b64 v[32:33], v32, v[30:31]
	v_lshrrev_b32_e32 v17, 3, v6
	v_sub_u32_e32 v33, 29, v38
	v_cmp_gt_u32_e64 s[8:9], 8, v6
	v_cndmask_b32_e64 v6, v17, v33, s[8:9]
	v_mov_b32_e32 v0, 0x2000
	v_and_b32_e32 v32, 7, v32
	v_lshlrev_b32_e32 v17, 8, v30
	v_lshl_add_u32 v6, v6, 10, v0
	v_cndmask_b32_e64 v7, v7, v32, s[8:9]
	v_and_or_b32 v6, v17, s38, v6
	v_lshl_or_b32 v6, v7, 7, v6
	v_cvt_f32_f16_e32 v56, v6
.LBB319_326:                            ;   in Loop: Header=BB319_10 Depth=1
	s_or_b64 exec, exec, s[34:35]
.LBB319_327:                            ;   in Loop: Header=BB319_10 Depth=1
	s_or_b64 exec, exec, s[30:31]
.LBB319_328:                            ;   in Loop: Header=BB319_10 Depth=1
	s_or_b64 exec, exec, s[28:29]
	v_lshrrev_b16_e32 v32, 8, v30
	v_cmp_ne_u16_e64 s[8:9], 0, v32
	s_mov_b64 s[28:29], exec
	s_and_b64 s[8:9], s[28:29], s[8:9]
	v_accvgpr_write_b32 a42, v54
	v_accvgpr_write_b32 a43, v58
	;; [unrolled: 1-line block ×3, first 2 shown]
	s_mov_b64 exec, s[8:9]
	s_cbranch_execz .LBB319_334
; %bb.329:                              ;   in Loop: Header=BB319_10 Depth=1
	v_cmp_ne_u16_e64 s[8:9], s19, v32
	v_bfrev_b32_e32 v47, 1
	s_and_saveexec_b64 s[30:31], s[8:9]
	s_cbranch_execz .LBB319_333
; %bb.330:                              ;   in Loop: Header=BB319_10 Depth=1
	v_and_b32_e32 v6, 0x7f, v32
	v_cmp_ne_u32_e64 s[8:9], s37, v6
	v_mov_b32_e32 v47, 0x7fc02000
	s_and_saveexec_b64 s[34:35], s[8:9]
	s_cbranch_execz .LBB319_332
; %bb.331:                              ;   in Loop: Header=BB319_10 Depth=1
	v_and_b32_e32 v7, 7, v32
	v_ffbh_u32_e32 v33, v7
	v_min_u32_e32 v33, 32, v33
	v_subrev_u32_e32 v38, 28, v33
	v_lshrrev_b32_e32 v17, 3, v6
	v_lshlrev_b64 v[58:59], v38, v[32:33]
	v_sub_u32_e32 v33, 29, v33
	v_cmp_gt_u32_e64 s[8:9], 8, v6
	v_cndmask_b32_e64 v6, v17, v33, s[8:9]
	v_mov_b32_e32 v0, 0x2000
	v_and_b32_e32 v38, 7, v58
	v_lshlrev_b32_e32 v17, 8, v32
	v_lshl_add_u32 v6, v6, 10, v0
	v_cndmask_b32_e64 v7, v7, v38, s[8:9]
	v_and_or_b32 v6, v17, s38, v6
	v_lshl_or_b32 v6, v7, 7, v6
	v_cvt_f32_f16_e32 v47, v6
.LBB319_332:                            ;   in Loop: Header=BB319_10 Depth=1
	s_or_b64 exec, exec, s[34:35]
.LBB319_333:                            ;   in Loop: Header=BB319_10 Depth=1
	s_or_b64 exec, exec, s[30:31]
.LBB319_334:                            ;   in Loop: Header=BB319_10 Depth=1
	s_or_b64 exec, exec, s[28:29]
	v_lshrrev_b32_e32 v32, 16, v30
	v_mov_b32_e32 v5, 0
	v_cmp_ne_u16_sdwa s[8:9], v32, v5 src0_sel:BYTE_0 src1_sel:DWORD
	v_mov_b32_e32 v6, 0
	v_mov_b32_e32 v7, 0
	s_and_saveexec_b64 s[28:29], s[8:9]
	s_cbranch_execz .LBB319_340
; %bb.335:                              ;   in Loop: Header=BB319_10 Depth=1
	v_cmp_ne_u16_sdwa s[8:9], v32, s19 src0_sel:BYTE_0 src1_sel:DWORD
	v_bfrev_b32_e32 v7, 1
	s_and_saveexec_b64 s[30:31], s[8:9]
	s_cbranch_execz .LBB319_339
; %bb.336:                              ;   in Loop: Header=BB319_10 Depth=1
	v_bfe_u32 v17, v30, 16, 7
	v_cmp_ne_u32_e64 s[8:9], s37, v17
	v_mov_b32_e32 v7, 0x7fc02000
	s_and_saveexec_b64 s[34:35], s[8:9]
	s_cbranch_execz .LBB319_338
; %bb.337:                              ;   in Loop: Header=BB319_10 Depth=1
	v_and_b32_e32 v7, 7, v32
	v_ffbh_u32_e32 v38, v7
	v_min_u32_e32 v38, 32, v38
	v_lshrrev_b32_e32 v33, 3, v17
	v_subrev_u32_e32 v54, 28, v38
	v_sub_u32_e32 v38, 29, v38
	v_cmp_gt_u32_e64 s[8:9], 8, v17
	v_lshlrev_b64 v[58:59], v54, v[32:33]
	v_cndmask_b32_e64 v17, v33, v38, s[8:9]
	v_mov_b32_e32 v0, 0x2000
	v_and_b32_e32 v54, 7, v58
	v_lshlrev_b32_e32 v32, 8, v32
	v_lshl_add_u32 v17, v17, 10, v0
	v_cndmask_b32_e64 v7, v7, v54, s[8:9]
	v_and_or_b32 v17, v32, s38, v17
	v_lshl_or_b32 v7, v7, 7, v17
	v_cvt_f32_f16_e32 v7, v7
.LBB319_338:                            ;   in Loop: Header=BB319_10 Depth=1
	s_or_b64 exec, exec, s[34:35]
.LBB319_339:                            ;   in Loop: Header=BB319_10 Depth=1
	s_or_b64 exec, exec, s[30:31]
.LBB319_340:                            ;   in Loop: Header=BB319_10 Depth=1
	s_or_b64 exec, exec, s[28:29]
	v_cmp_lt_u32_e64 s[8:9], s39, v30
	s_and_saveexec_b64 s[28:29], s[8:9]
	s_cbranch_execz .LBB319_346
; %bb.341:                              ;   in Loop: Header=BB319_10 Depth=1
	v_lshrrev_b32_e32 v30, 24, v30
	v_cmp_ne_u32_e64 s[8:9], s19, v30
	v_bfrev_b32_e32 v6, 1
	s_and_saveexec_b64 s[30:31], s[8:9]
	s_cbranch_execz .LBB319_345
; %bb.342:                              ;   in Loop: Header=BB319_10 Depth=1
	v_and_b32_e32 v17, 0x7f, v30
	v_cmp_ne_u32_e64 s[8:9], s37, v17
	v_mov_b32_e32 v6, 0x7fc02000
	s_and_saveexec_b64 s[34:35], s[8:9]
	s_cbranch_execz .LBB319_344
; %bb.343:                              ;   in Loop: Header=BB319_10 Depth=1
	v_and_b32_e32 v6, 7, v30
	v_ffbh_u32_e32 v32, v6
	v_min_u32_e32 v54, 32, v32
	v_subrev_u32_e32 v32, 28, v54
	v_lshlrev_b64 v[32:33], v32, v[30:31]
	v_lshrrev_b32_e32 v38, 3, v17
	v_sub_u32_e32 v33, 29, v54
	v_cmp_gt_u32_e64 s[8:9], 8, v17
	v_cndmask_b32_e64 v17, v38, v33, s[8:9]
	v_mov_b32_e32 v0, 0x2000
	v_and_b32_e32 v32, 7, v32
	v_lshlrev_b32_e32 v30, 8, v30
	v_lshl_add_u32 v17, v17, 10, v0
	v_cndmask_b32_e64 v6, v6, v32, s[8:9]
	v_and_or_b32 v17, v30, s38, v17
	v_lshl_or_b32 v6, v6, 7, v17
	v_cvt_f32_f16_e32 v6, v6
.LBB319_344:                            ;   in Loop: Header=BB319_10 Depth=1
	s_or_b64 exec, exec, s[34:35]
.LBB319_345:                            ;   in Loop: Header=BB319_10 Depth=1
	s_or_b64 exec, exec, s[30:31]
.LBB319_346:                            ;   in Loop: Header=BB319_10 Depth=1
	s_or_b64 exec, exec, s[28:29]
	flat_load_dword v28, v[28:29] offset:3584
	v_mov_b32_e32 v5, 0
	v_mov_b32_e32 v54, 0
	;; [unrolled: 1-line block ×3, first 2 shown]
	s_waitcnt vmcnt(0) lgkmcnt(0)
	v_cmp_ne_u16_sdwa s[8:9], v28, v5 src0_sel:BYTE_0 src1_sel:DWORD
	s_and_saveexec_b64 s[28:29], s[8:9]
	s_cbranch_execz .LBB319_352
; %bb.347:                              ;   in Loop: Header=BB319_10 Depth=1
	v_cmp_ne_u16_sdwa s[8:9], v28, s19 src0_sel:BYTE_0 src1_sel:DWORD
	v_bfrev_b32_e32 v58, 1
	s_and_saveexec_b64 s[30:31], s[8:9]
	s_cbranch_execz .LBB319_351
; %bb.348:                              ;   in Loop: Header=BB319_10 Depth=1
	v_and_b32_e32 v17, 0x7f, v28
	v_cmp_ne_u32_e64 s[8:9], s37, v17
	v_mov_b32_e32 v58, 0x7fc02000
	s_and_saveexec_b64 s[34:35], s[8:9]
	s_cbranch_execz .LBB319_350
; %bb.349:                              ;   in Loop: Header=BB319_10 Depth=1
	v_and_b32_e32 v29, 7, v28
	v_ffbh_u32_e32 v32, v29
	v_min_u32_e32 v38, 32, v32
	v_subrev_u32_e32 v32, 28, v38
	v_lshlrev_b64 v[32:33], v32, v[28:29]
	v_lshrrev_b32_e32 v30, 3, v17
	v_sub_u32_e32 v33, 29, v38
	v_cmp_gt_u32_e64 s[8:9], 8, v17
	v_cndmask_b32_e64 v17, v30, v33, s[8:9]
	v_mov_b32_e32 v0, 0x2000
	v_and_b32_e32 v32, 7, v32
	v_lshlrev_b32_e32 v30, 8, v28
	v_lshl_add_u32 v17, v17, 10, v0
	v_cndmask_b32_e64 v29, v29, v32, s[8:9]
	v_and_or_b32 v17, v30, s38, v17
	v_lshl_or_b32 v17, v29, 7, v17
	v_cvt_f32_f16_e32 v58, v17
.LBB319_350:                            ;   in Loop: Header=BB319_10 Depth=1
	s_or_b64 exec, exec, s[34:35]
.LBB319_351:                            ;   in Loop: Header=BB319_10 Depth=1
	s_or_b64 exec, exec, s[30:31]
.LBB319_352:                            ;   in Loop: Header=BB319_10 Depth=1
	s_or_b64 exec, exec, s[28:29]
	v_lshrrev_b16_e32 v30, 8, v28
	v_cmp_ne_u16_e64 s[8:9], 0, v30
	s_and_saveexec_b64 s[28:29], s[8:9]
	s_cbranch_execz .LBB319_358
; %bb.353:                              ;   in Loop: Header=BB319_10 Depth=1
	v_cmp_ne_u16_e64 s[8:9], s19, v30
	v_bfrev_b32_e32 v54, 1
	s_and_saveexec_b64 s[30:31], s[8:9]
	s_cbranch_execz .LBB319_357
; %bb.354:                              ;   in Loop: Header=BB319_10 Depth=1
	v_and_b32_e32 v17, 0x7f, v30
	v_cmp_ne_u32_e64 s[8:9], s37, v17
	v_mov_b32_e32 v54, 0x7fc02000
	s_and_saveexec_b64 s[34:35], s[8:9]
	s_cbranch_execz .LBB319_356
; %bb.355:                              ;   in Loop: Header=BB319_10 Depth=1
	v_and_b32_e32 v29, 7, v30
	v_ffbh_u32_e32 v32, v29
	v_min_u32_e32 v54, 32, v32
	v_subrev_u32_e32 v32, 28, v54
	v_lshlrev_b64 v[32:33], v32, v[30:31]
	v_lshrrev_b32_e32 v38, 3, v17
	v_sub_u32_e32 v33, 29, v54
	v_cmp_gt_u32_e64 s[8:9], 8, v17
	v_cndmask_b32_e64 v17, v38, v33, s[8:9]
	v_mov_b32_e32 v0, 0x2000
	v_and_b32_e32 v32, 7, v32
	v_lshlrev_b32_e32 v30, 8, v30
	v_lshl_add_u32 v17, v17, 10, v0
	v_cndmask_b32_e64 v29, v29, v32, s[8:9]
	v_and_or_b32 v17, v30, s38, v17
	v_lshl_or_b32 v17, v29, 7, v17
	v_cvt_f32_f16_e32 v54, v17
.LBB319_356:                            ;   in Loop: Header=BB319_10 Depth=1
	s_or_b64 exec, exec, s[34:35]
.LBB319_357:                            ;   in Loop: Header=BB319_10 Depth=1
	s_or_b64 exec, exec, s[30:31]
.LBB319_358:                            ;   in Loop: Header=BB319_10 Depth=1
	s_or_b64 exec, exec, s[28:29]
	v_lshrrev_b32_e32 v30, 16, v28
	v_mov_b32_e32 v5, 0
	v_cmp_ne_u16_sdwa s[8:9], v30, v5 src0_sel:BYTE_0 src1_sel:DWORD
	v_mov_b32_e32 v60, 0
	v_mov_b32_e32 v61, 0
	s_and_saveexec_b64 s[28:29], s[8:9]
	s_cbranch_execz .LBB319_364
; %bb.359:                              ;   in Loop: Header=BB319_10 Depth=1
	v_cmp_ne_u16_sdwa s[8:9], v30, s19 src0_sel:BYTE_0 src1_sel:DWORD
	v_bfrev_b32_e32 v61, 1
	s_and_saveexec_b64 s[30:31], s[8:9]
	s_cbranch_execz .LBB319_363
; %bb.360:                              ;   in Loop: Header=BB319_10 Depth=1
	v_bfe_u32 v17, v28, 16, 7
	v_cmp_ne_u32_e64 s[8:9], s37, v17
	v_mov_b32_e32 v61, 0x7fc02000
	s_and_saveexec_b64 s[34:35], s[8:9]
	s_cbranch_execz .LBB319_362
; %bb.361:                              ;   in Loop: Header=BB319_10 Depth=1
	v_and_b32_e32 v29, 7, v30
	v_ffbh_u32_e32 v32, v29
	v_mov_b32_e32 v0, v57
	v_min_u32_e32 v57, 32, v32
	v_subrev_u32_e32 v32, 28, v57
	v_lshlrev_b64 v[32:33], v32, v[30:31]
	v_lshrrev_b32_e32 v38, 3, v17
	v_sub_u32_e32 v33, 29, v57
	v_cmp_gt_u32_e64 s[8:9], 8, v17
	v_mov_b32_e32 v57, v0
	v_cndmask_b32_e64 v17, v38, v33, s[8:9]
	v_mov_b32_e32 v0, 0x2000
	v_and_b32_e32 v32, 7, v32
	v_lshlrev_b32_e32 v30, 8, v30
	v_lshl_add_u32 v17, v17, 10, v0
	v_cndmask_b32_e64 v29, v29, v32, s[8:9]
	v_and_or_b32 v17, v30, s38, v17
	v_lshl_or_b32 v17, v29, 7, v17
	v_cvt_f32_f16_e32 v61, v17
.LBB319_362:                            ;   in Loop: Header=BB319_10 Depth=1
	s_or_b64 exec, exec, s[34:35]
.LBB319_363:                            ;   in Loop: Header=BB319_10 Depth=1
	s_or_b64 exec, exec, s[30:31]
.LBB319_364:                            ;   in Loop: Header=BB319_10 Depth=1
	s_or_b64 exec, exec, s[28:29]
	v_accvgpr_write_b32 a41, v57
	v_accvgpr_write_b32 a40, v62
	v_cmp_lt_u32_e64 s[8:9], s39, v28
	s_and_saveexec_b64 s[28:29], s[8:9]
	s_cbranch_execz .LBB319_370
; %bb.365:                              ;   in Loop: Header=BB319_10 Depth=1
	v_lshrrev_b32_e32 v28, 24, v28
	v_cmp_ne_u32_e64 s[8:9], s19, v28
	v_bfrev_b32_e32 v60, 1
	s_and_saveexec_b64 s[30:31], s[8:9]
	s_cbranch_execz .LBB319_369
; %bb.366:                              ;   in Loop: Header=BB319_10 Depth=1
	v_and_b32_e32 v17, 0x7f, v28
	v_cmp_ne_u32_e64 s[8:9], s37, v17
	v_mov_b32_e32 v60, 0x7fc02000
	s_and_saveexec_b64 s[34:35], s[8:9]
	s_cbranch_execz .LBB319_368
; %bb.367:                              ;   in Loop: Header=BB319_10 Depth=1
	v_and_b32_e32 v29, 7, v28
	v_ffbh_u32_e32 v32, v29
	v_min_u32_e32 v38, 32, v32
	v_subrev_u32_e32 v32, 28, v38
	v_lshlrev_b64 v[32:33], v32, v[28:29]
	v_lshrrev_b32_e32 v30, 3, v17
	v_sub_u32_e32 v33, 29, v38
	v_cmp_gt_u32_e64 s[8:9], 8, v17
	v_cndmask_b32_e64 v17, v30, v33, s[8:9]
	v_mov_b32_e32 v0, 0x2000
	v_and_b32_e32 v32, 7, v32
	v_lshlrev_b32_e32 v28, 8, v28
	v_lshl_add_u32 v17, v17, 10, v0
	v_cndmask_b32_e64 v29, v29, v32, s[8:9]
	v_and_or_b32 v17, v28, s38, v17
	v_lshl_or_b32 v17, v29, 7, v17
	v_cvt_f32_f16_e32 v60, v17
.LBB319_368:                            ;   in Loop: Header=BB319_10 Depth=1
	s_or_b64 exec, exec, s[34:35]
.LBB319_369:                            ;   in Loop: Header=BB319_10 Depth=1
	s_or_b64 exec, exec, s[30:31]
.LBB319_370:                            ;   in Loop: Header=BB319_10 Depth=1
	s_or_b64 exec, exec, s[28:29]
	buffer_load_dword v5, off, s[0:3], s32 offset:116 ; 4-byte Folded Reload
	v_accvgpr_read_b32 v0, a33
	ds_read_b64 v[28:29], v0
	v_fma_mixlo_f16 v33, v40, v15, 0
	v_fma_mixlo_f16 v59, v40, v36, 0
	;; [unrolled: 1-line block ×3, first 2 shown]
	v_and_b32_e32 v32, 0xffff, v32
	s_waitcnt lgkmcnt(0)
	v_lshrrev_b32_e32 v17, 16, v28
	v_and_b32_e32 v28, 0xffff, v28
	v_lshrrev_b32_e32 v30, 16, v29
	v_and_b32_e32 v29, 0xffff, v29
	v_fma_mixlo_f16 v50, v40, v50, 0
	v_fma_mixlo_f16 v51, v40, v51, 0
	;; [unrolled: 1-line block ×10, first 2 shown]
	s_waitcnt vmcnt(0)
	v_fma_mixlo_f16 v38, v40, v5, 0
	buffer_load_dword v5, off, s[0:3], s32 offset:120 ; 4-byte Folded Reload
	;;#ASMSTART
	v_cvt_f32_f16 v62, v28;
	;;#ASMEND
	v_and_b32_e32 v28, 0xffff, v38
	;;#ASMSTART
	v_cvt_f32_f16 v17, v17;
	;;#ASMEND
	;;#ASMSTART
	v_cvt_f32_f16 v38, v28;
	;;#ASMEND
	v_and_b32_e32 v28, 0xffff, v33
	;;#ASMSTART
	v_cvt_f32_f16 v33, v28;
	;;#ASMEND
	;;#ASMSTART
	v_cvt_f32_f16 v34, v29;
	;;#ASMEND
	;; [unrolled: 3-line block ×3, first 2 shown]
	s_waitcnt vmcnt(0)
	v_fma_mixlo_f16 v57, v40, v5, 0
	v_and_b32_e32 v28, 0xffff, v57
	;;#ASMSTART
	v_cvt_f32_f16 v5, v28;
	;;#ASMEND
	v_and_b32_e32 v28, 0xffff, v59
	;;#ASMSTART
	v_cvt_f32_f16 v59, v28;
	;;#ASMEND
	ds_read_b64 v[28:29], v0 offset:8
	s_waitcnt lgkmcnt(0)
	v_and_b32_e32 v30, 0xffff, v28
	v_lshrrev_b32_e32 v28, 16, v28
	;;#ASMSTART
	v_cvt_f32_f16 v30, v30;
	;;#ASMEND
	;;#ASMSTART
	v_cvt_f32_f16 v28, v28;
	;;#ASMEND
	;; [unrolled: 3-line block ×3, first 2 shown]
	v_mul_f32_e32 v30, v30, v32
	v_fma_mixlo_f16 v32, v40, v23, 0
	v_and_b32_e32 v32, 0xffff, v32
	;;#ASMSTART
	v_cvt_f32_f16 v32, v32;
	;;#ASMEND
	buffer_load_dword v15, off, s[0:3], s32 offset:124 ; 4-byte Folded Reload
	v_mul_f32_e32 v32, v28, v32
	v_fmac_f32_e32 v32, v17, v33
	v_lshrrev_b32_e32 v17, 16, v29
	v_and_b32_e32 v28, 0xffff, v29
	;;#ASMSTART
	v_cvt_f32_f16 v28, v28;
	;;#ASMEND
	;;#ASMSTART
	v_cvt_f32_f16 v17, v17;
	;;#ASMEND
	v_fmac_f32_e32 v30, v62, v38
	v_fma_mixlo_f16 v62, v40, v1, 0
	v_accvgpr_read_b32 v1, a44
	v_fma_mixlo_f16 v33, v40, v48, 0
	v_fma_mixlo_f16 v48, v40, v10, 0
	;; [unrolled: 1-line block ×11, first 2 shown]
	s_waitcnt vmcnt(0)
	v_fma_mixlo_f16 v29, v40, v15, 0
	v_and_b32_e32 v29, 0xffff, v29
	;;#ASMSTART
	v_cvt_f32_f16 v29, v29;
	;;#ASMEND
	v_mul_f32_e32 v57, v28, v29
	v_fmac_f32_e32 v57, v34, v5
	v_fma_mixlo_f16 v5, v40, v55, 0
	v_and_b32_e32 v5, 0xffff, v5
	;;#ASMSTART
	v_cvt_f32_f16 v5, v5;
	;;#ASMEND
	ds_read_b64 v[28:29], v0 offset:16
	v_mul_f32_e32 v38, v17, v5
	v_accvgpr_read_b32 v5, a41
	v_fma_mixlo_f16 v5, v40, v5, 0
	v_and_b32_e32 v5, 0xffff, v5
	s_waitcnt lgkmcnt(0)
	v_and_b32_e32 v17, 0xffff, v28
	v_fmac_f32_e32 v38, v36, v59
	;;#ASMSTART
	v_cvt_f32_f16 v17, v17;
	;;#ASMEND
	v_lshrrev_b32_e32 v28, 16, v28
	;;#ASMSTART
	v_cvt_f32_f16 v34, v28;
	;;#ASMEND
	;;#ASMSTART
	v_cvt_f32_f16 v5, v5;
	;;#ASMEND
	v_fma_mixlo_f16 v36, v40, v52, 0
	v_fma_mixlo_f16 v52, v40, v1, 0
	buffer_load_dword v1, off, s[0:3], s32 offset:128 ; 4-byte Folded Reload
	v_fmac_f32_e32 v30, v17, v5
	v_fma_mixlo_f16 v17, v40, v20, 0
	v_fma_mixlo_f16 v59, v40, v44, 0
	;; [unrolled: 1-line block ×20, first 2 shown]
	v_and_b32_e32 v3, 0xffff, v3
	v_and_b32_e32 v2, 0xffff, v2
	s_waitcnt vmcnt(0)
	v_fma_mixlo_f16 v55, v40, v1, 0
	buffer_load_dword v1, off, s[0:3], s32 offset:112 ; 4-byte Folded Reload
	s_waitcnt vmcnt(0)
	v_fma_mixlo_f16 v20, v40, v1, 0
	v_accvgpr_read_b32 v1, a40
	v_fma_mixlo_f16 v4, v40, v1, 0
	v_and_b32_e32 v4, 0xffff, v4
	v_accvgpr_read_b32 v1, a43
	;;#ASMSTART
	v_cvt_f32_f16 v4, v4;
	;;#ASMEND
	v_fma_mixlo_f16 v5, v40, v1, 0
	v_accvgpr_read_b32 v1, a42
	v_fmac_f32_e32 v32, v34, v4
	v_lshrrev_b32_e32 v4, 16, v29
	v_and_b32_e32 v29, 0xffff, v29
	v_fma_mixlo_f16 v21, v40, v1, 0
	;;#ASMSTART
	v_cvt_f32_f16 v29, v29;
	;;#ASMEND
	;;#ASMSTART
	v_cvt_f32_f16 v34, v4;
	;;#ASMEND
	v_and_b32_e32 v4, 0xffff, v5
	;;#ASMSTART
	v_cvt_f32_f16 v54, v4;
	;;#ASMEND
	v_and_b32_e32 v4, 0xffff, v21
	;;#ASMSTART
	v_cvt_f32_f16 v21, v4;
	;;#ASMEND
	ds_read_b64 v[4:5], v0 offset:24
	v_fmac_f32_e32 v38, v34, v21
	v_fmac_f32_e32 v57, v29, v54
	v_fma_mixlo_f16 v1, v40, v61, 0
	v_and_b32_e32 v1, 0xffff, v1
	s_waitcnt lgkmcnt(0)
	v_lshrrev_b32_e32 v21, 16, v4
	v_and_b32_e32 v4, 0xffff, v4
	;;#ASMSTART
	v_cvt_f32_f16 v29, v4;
	;;#ASMEND
	v_and_b32_e32 v4, 0xffff, v55
	;;#ASMSTART
	v_cvt_f32_f16 v21, v21;
	;;#ASMEND
	;;#ASMSTART
	v_cvt_f32_f16 v34, v4;
	;;#ASMEND
	v_and_b32_e32 v4, 0xffff, v52
	;;#ASMSTART
	v_cvt_f32_f16 v52, v4;
	;;#ASMEND
	v_lshrrev_b32_e32 v4, 16, v5
	v_and_b32_e32 v5, 0xffff, v5
	;;#ASMSTART
	v_cvt_f32_f16 v54, v5;
	;;#ASMEND
	;;#ASMSTART
	v_cvt_f32_f16 v55, v4;
	;;#ASMEND
	v_and_b32_e32 v4, 0xffff, v50
	;;#ASMSTART
	v_cvt_f32_f16 v50, v4;
	;;#ASMEND
	v_and_b32_e32 v4, 0xffff, v20
	;;#ASMSTART
	v_cvt_f32_f16 v20, v4;
	;;#ASMEND
	ds_read_b64 v[4:5], v0 offset:32
	v_fmac_f32_e32 v38, v55, v20
	v_fmac_f32_e32 v32, v21, v52
	v_fmac_f32_e32 v30, v29, v34
	v_fmac_f32_e32 v57, v54, v50
	s_waitcnt lgkmcnt(0)
	v_lshrrev_b32_e32 v20, 16, v4
	v_and_b32_e32 v4, 0xffff, v4
	;;#ASMSTART
	v_cvt_f32_f16 v21, v4;
	;;#ASMEND
	v_and_b32_e32 v4, 0xffff, v36
	;;#ASMSTART
	v_cvt_f32_f16 v20, v20;
	;;#ASMEND
	;;#ASMSTART
	v_cvt_f32_f16 v29, v4;
	;;#ASMEND
	v_and_b32_e32 v4, 0xffff, v35
	;;#ASMSTART
	v_cvt_f32_f16 v34, v4;
	;;#ASMEND
	v_lshrrev_b32_e32 v4, 16, v5
	v_and_b32_e32 v5, 0xffff, v5
	;;#ASMSTART
	v_cvt_f32_f16 v35, v5;
	;;#ASMEND
	;;#ASMSTART
	v_cvt_f32_f16 v36, v4;
	;;#ASMEND
	v_and_b32_e32 v4, 0xffff, v53
	;;#ASMSTART
	v_cvt_f32_f16 v50, v4;
	;;#ASMEND
	v_and_b32_e32 v4, 0xffff, v16
	;;#ASMSTART
	v_cvt_f32_f16 v16, v4;
	;;#ASMEND
	ds_read_b64 v[4:5], v0 offset:40
	v_fmac_f32_e32 v38, v36, v16
	v_fmac_f32_e32 v32, v20, v34
	v_fmac_f32_e32 v30, v21, v29
	v_fmac_f32_e32 v57, v35, v50
	;; [unrolled: 38-line block ×11, first 2 shown]
	s_waitcnt lgkmcnt(0)
	v_lshrrev_b32_e32 v6, 16, v4
	v_and_b32_e32 v4, 0xffff, v4
	;;#ASMSTART
	v_cvt_f32_f16 v4, v4;
	;;#ASMEND
	;;#ASMSTART
	v_cvt_f32_f16 v6, v6;
	;;#ASMEND
	;; [unrolled: 3-line block ×4, first 2 shown]
	v_fmac_f32_e32 v30, v4, v3
	v_and_b32_e32 v3, 0xffff, v5
	v_fmac_f32_e32 v32, v6, v2
	v_lshrrev_b32_e32 v2, 16, v5
	;;#ASMSTART
	v_cvt_f32_f16 v3, v3;
	;;#ASMEND
	v_fma_mixlo_f16 v40, v40, v60, 0
	;;#ASMSTART
	v_cvt_f32_f16 v2, v2;
	;;#ASMEND
	;;#ASMSTART
	v_cvt_f32_f16 v1, v1;
	;;#ASMEND
	v_fmac_f32_e32 v57, v3, v1
	v_accvgpr_read_b32 v3, a29
	v_and_b32_e32 v0, 0xffff, v40
	v_and_b32_e32 v1, 64, v3
	;;#ASMSTART
	v_cvt_f32_f16 v0, v0;
	;;#ASMEND
	v_fmac_f32_e32 v38, v2, v0
	v_xor_b32_e32 v2, 1, v3
	v_add_u32_e32 v1, 64, v1
	v_add_f32_e32 v0, v30, v32
	v_cmp_lt_i32_e64 s[8:9], v2, v1
	v_add_f32_e32 v0, v0, v57
	v_cndmask_b32_e64 v2, v3, v2, s[8:9]
	v_add_f32_e32 v0, v38, v0
	v_lshlrev_b32_e32 v2, 2, v2
	ds_bpermute_b32 v2, v2, v0
	s_mov_b64 s[28:29], exec
	s_and_b64 s[8:9], s[28:29], vcc
	v_accvgpr_read_b32 v8, a39
	s_mov_b64 exec, s[8:9]
	s_cbranch_execz .LBB319_9
; %bb.371:                              ;   in Loop: Header=BB319_10 Depth=1
	s_waitcnt lgkmcnt(0)
	v_add_f32_e32 v0, v0, v2
	buffer_load_dword v2, off, s[0:3], s32 offset:136 ; 4-byte Folded Reload
	v_accvgpr_read_b32 v3, a36
	v_accvgpr_read_b32 v5, a37
	v_add_u32_e32 v3, v3, v5
	v_cvt_f32_i32_e32 v3, v3
	s_load_dword s8, s[24:25], 0x0
	v_accvgpr_read_b32 v4, a25
	s_waitcnt vmcnt(0)
	v_mul_f32_e32 v2, v2, v3
	v_cndmask_b32_e64 v2, 0, v2, s[6:7]
	v_accvgpr_read_b32 v3, a38
	v_fmac_f32_e32 v2, v0, v4
	v_accvgpr_read_b32 v0, a8
	s_waitcnt lgkmcnt(0)
	v_add_u32_e32 v3, s8, v3
	v_cmp_lt_i32_e64 s[8:9], v5, v0
	v_cndmask_b32_e64 v0, 0, v2, s[8:9]
	ds_write_b32 v3, v0
	buffer_load_dword v3, off, s[0:3], s32 offset:132 ; 4-byte Folded Reload
	s_waitcnt vmcnt(0)
	v_max_f32_e32 v0, v3, v3
	v_max_f32_e32 v0, v0, v2
	v_cndmask_b32_e64 v3, v3, v0, s[8:9]
	buffer_store_dword v3, off, s[0:3], s32 offset:132 ; 4-byte Folded Spill
	s_branch .LBB319_9
.LBB319_372:
	s_or_b64 exec, exec, s[26:27]
.LBB319_373:
	s_or_b64 exec, exec, s[10:11]
	buffer_load_dword v15, off, s[0:3], s32 offset:132 ; 4-byte Folded Reload
	v_accvgpr_read_b32 v8, a29
	v_xor_b32_e32 v0, 32, v8
	v_cmp_lt_i32_e32 vcc, v0, v1
	v_cndmask_b32_e32 v0, v8, v0, vcc
	v_lshlrev_b32_e32 v3, 2, v0
	v_xor_b32_e32 v4, 16, v8
	v_cmp_lt_i32_e32 vcc, v4, v1
	v_xor_b32_e32 v5, 8, v8
	v_xor_b32_e32 v6, 4, v8
	;; [unrolled: 1-line block ×3, first 2 shown]
	s_waitcnt lgkmcnt(0)
	s_lshr_b32 s28, s36, 16
	s_waitcnt vmcnt(0)
	ds_bpermute_b32 v0, v3, v15
	v_max_f32_e32 v2, v15, v15
	s_waitcnt lgkmcnt(0)
	v_max_f32_e32 v0, v0, v0
	v_max_f32_e32 v0, v2, v0
	v_cndmask_b32_e32 v2, v8, v4, vcc
	v_lshlrev_b32_e32 v4, 2, v2
	ds_bpermute_b32 v2, v4, v0
	v_cmp_lt_i32_e32 vcc, v5, v1
	s_waitcnt lgkmcnt(0)
	v_max_f32_e32 v2, v2, v2
	v_max_f32_e32 v0, v0, v2
	v_cndmask_b32_e32 v2, v8, v5, vcc
	v_lshlrev_b32_e32 v5, 2, v2
	ds_bpermute_b32 v2, v5, v0
	v_cmp_lt_i32_e32 vcc, v6, v1
	;; [unrolled: 7-line block ×3, first 2 shown]
	s_waitcnt lgkmcnt(0)
	v_max_f32_e32 v2, v2, v2
	v_max_f32_e32 v2, v0, v2
	v_cndmask_b32_e32 v0, v8, v7, vcc
	v_lshlrev_b32_e32 v21, 2, v0
	ds_bpermute_b32 v8, v21, v2
	v_accvgpr_read_b32 v0, a2
	v_and_b32_e32 v0, 63, v0
	v_accvgpr_read_b32 v7, a18
	v_cmp_eq_u32_e32 vcc, 0, v0
	v_lshlrev_b32_e32 v7, 2, v7
	s_and_saveexec_b64 s[6:7], vcc
	s_cbranch_execz .LBB319_375
; %bb.374:
	s_waitcnt lgkmcnt(0)
	v_max_f32_e32 v8, v8, v8
	v_max_f32_e32 v2, v2, v2
	;; [unrolled: 1-line block ×3, first 2 shown]
	ds_write_b32 v7, v2 offset:240
.LBB319_375:
	s_or_b64 exec, exec, s[6:7]
	v_cmp_gt_u32_e64 s[6:7], 2, v0
	v_mov_b32_e32 v2, 0xff7fffff
	s_waitcnt lgkmcnt(0)
	v_lshlrev_b32_e32 v8, 2, v0
	s_barrier
	s_and_saveexec_b64 s[8:9], s[6:7]
	s_cbranch_execz .LBB319_377
; %bb.376:
	ds_read_b32 v2, v8 offset:240
.LBB319_377:
	s_or_b64 exec, exec, s[8:9]
	v_accvgpr_read_b32 v10, a29
	v_xor_b32_e32 v9, 1, v10
	v_cmp_lt_i32_e64 s[8:9], v9, v1
	v_cndmask_b32_e64 v1, v10, v9, s[8:9]
	v_lshlrev_b32_e32 v23, 2, v1
	s_waitcnt lgkmcnt(0)
	ds_bpermute_b32 v1, v23, v2
	v_max_f32_e32 v2, v2, v2
	v_accvgpr_read_b32 v9, a3
	v_subrev_u32_e32 v9, s21, v9
	v_lshl_add_u32 v9, v9, 5, s23
	s_waitcnt lgkmcnt(0)
	v_max_f32_e32 v1, v1, v1
	v_max_f32_e32 v1, v2, v1
	v_lshlrev_b32_e32 v2, 2, v10
	v_and_b32_e32 v10, 0xffffff00, v2
	ds_bpermute_b32 v1, v10, v1
	v_accvgpr_read_b32 v2, a8
	v_min_i32_e32 v9, v9, v2
	v_subrev_u32_e32 v2, s23, v9
	v_accvgpr_read_b32 v11, a2
	v_cmp_lt_i32_e64 s[8:9], v11, v2
	v_mov_b32_e32 v11, 0
	s_and_saveexec_b64 s[24:25], s[8:9]
	s_cbranch_execz .LBB319_381
; %bb.378:
	s_ashr_i32 s19, s18, 31
	s_lshl_b64 s[10:11], s[18:19], 2
	s_getpc_b64 s[26:27]
	s_add_u32 s26, s26, llvm.amdgcn.dynlds.offset.table@rel32@lo+4
	s_addc_u32 s27, s27, llvm.amdgcn.dynlds.offset.table@rel32@hi+12
	s_add_u32 s10, s10, s26
	s_addc_u32 s11, s11, s27
	s_load_dword s10, s[10:11], 0x0
	v_accvgpr_read_b32 v13, a2
	s_mov_b64 s[26:27], 0
	v_mov_b32_e32 v11, 0
	s_waitcnt lgkmcnt(0)
	v_lshl_add_u32 v12, v13, 2, s10
.LBB319_379:                            ; =>This Inner Loop Header: Depth=1
	ds_read_b32 v14, v12
	v_add_u32_e32 v13, 0x80, v13
	v_cmp_ge_i32_e64 s[10:11], v13, v2
	s_or_b64 s[26:27], s[10:11], s[26:27]
	s_waitcnt lgkmcnt(0)
	v_sub_f32_e32 v14, v14, v1
	v_mul_f32_e32 v14, 0x3fb8aa3b, v14
	v_exp_f32_e32 v14, v14
	ds_write_b32 v12, v14
	v_add_f32_e32 v11, v11, v14
	v_add_u32_e32 v12, 0x200, v12
	s_andn2_b64 exec, exec, s[26:27]
	s_cbranch_execnz .LBB319_379
; %bb.380:
	s_or_b64 exec, exec, s[26:27]
.LBB319_381:
	s_or_b64 exec, exec, s[24:25]
	ds_bpermute_b32 v3, v3, v11
	s_waitcnt lgkmcnt(0)
	v_add_f32_e32 v3, v11, v3
	ds_bpermute_b32 v4, v4, v3
	s_waitcnt lgkmcnt(0)
	v_add_f32_e32 v3, v3, v4
	;; [unrolled: 3-line block ×6, first 2 shown]
	s_and_saveexec_b64 s[10:11], vcc
	s_cbranch_execz .LBB319_383
; %bb.382:
	ds_write_b32 v7, v3 offset:248
.LBB319_383:
	s_or_b64 exec, exec, s[10:11]
	s_waitcnt lgkmcnt(0)
	s_barrier
	s_and_saveexec_b64 s[10:11], s[6:7]
	s_cbranch_execz .LBB319_385
; %bb.384:
	ds_read_b32 v3, v8 offset:248
.LBB319_385:
	s_or_b64 exec, exec, s[10:11]
	s_waitcnt lgkmcnt(0)
	ds_bpermute_b32 v4, v23, v3
	s_waitcnt lgkmcnt(0)
	v_add_f32_e32 v3, v3, v4
	ds_bpermute_b32 v3, v10, v3
	s_and_saveexec_b64 s[6:7], s[8:9]
	s_cbranch_execz .LBB319_398
; %bb.386:
	s_waitcnt lgkmcnt(0)
	v_add_f32_e32 v4, 0x358637bd, v3
	v_div_scale_f32 v5, s[8:9], v4, v4, 1.0
	v_rcp_f32_e32 v6, v5
	v_div_scale_f32 v7, vcc, 1.0, v4, 1.0
	s_movk_i32 s8, 0x7f
	v_fma_f32 v8, -v5, v6, 1.0
	v_fmac_f32_e32 v6, v8, v6
	v_mul_f32_e32 v8, v7, v6
	v_fma_f32 v10, -v5, v8, v7
	v_fmac_f32_e32 v8, v10, v6
	v_fma_f32 v5, -v5, v8, v7
	v_div_fmas_f32 v5, v5, v6, v8
	v_accvgpr_read_b32 v6, a2
	v_div_fixup_f32 v8, v5, v4, 1.0
	v_xad_u32 v4, v6, -1, v9
	v_subrev_u32_e32 v5, s23, v4
	v_cmp_lt_u32_e32 vcc, s8, v5
	s_mov_b64 s[10:11], -1
	v_accvgpr_read_b32 v4, a2
	s_and_saveexec_b64 s[8:9], vcc
	s_cbranch_execz .LBB319_395
; %bb.387:
	v_lshrrev_b32_e32 v4, 7, v5
	v_add_u32_e32 v6, -1, v4
	v_lshrrev_b32_e32 v5, 1, v6
	v_mov_b32_e32 v9, v8
	v_add_u32_e32 v5, 1, v5
	v_cmp_lt_u32_e32 vcc, 13, v6
	v_mov_b32_e32 v10, 0
	s_and_saveexec_b64 s[10:11], vcc
	s_cbranch_execz .LBB319_391
; %bb.388:
	s_ashr_i32 s19, s18, 31
	s_lshl_b64 s[24:25], s[18:19], 2
	s_getpc_b64 s[26:27]
	s_add_u32 s26, s26, llvm.amdgcn.dynlds.offset.table@rel32@lo+4
	s_addc_u32 s27, s27, llvm.amdgcn.dynlds.offset.table@rel32@hi+12
	s_add_u32 s24, s24, s26
	s_addc_u32 s25, s25, s27
	s_load_dword s21, s[24:25], 0x0
	v_accvgpr_read_b32 v7, a2
	v_and_b32_e32 v6, -8, v5
	s_mov_b32 s19, 0
	s_mov_b64 s[24:25], 0
	s_waitcnt lgkmcnt(0)
	v_lshl_add_u32 v7, v7, 2, s21
.LBB319_389:                            ; =>This Inner Loop Header: Depth=1
	ds_read2st64_b32 v[10:11], v7 offset1:2
	ds_read2st64_b32 v[12:13], v7 offset0:4 offset1:6
	ds_read2st64_b32 v[16:17], v7 offset0:8 offset1:10
	;; [unrolled: 1-line block ×3, first 2 shown]
	v_add_u32_e32 v6, -8, v6
	s_waitcnt lgkmcnt(3)
	v_pk_mul_f32 v[10:11], v[8:9], v[10:11]
	s_waitcnt lgkmcnt(2)
	v_pk_mul_f32 v[12:13], v[8:9], v[12:13]
	ds_write2st64_b32 v7, v10, v11 offset1:2
	ds_write2st64_b32 v7, v12, v13 offset0:4 offset1:6
	ds_read2st64_b32 v[12:13], v7 offset0:16 offset1:18
	s_waitcnt lgkmcnt(4)
	v_pk_mul_f32 v[10:11], v[8:9], v[16:17]
	ds_write2st64_b32 v7, v10, v11 offset0:8 offset1:10
	s_waitcnt lgkmcnt(4)
	v_pk_mul_f32 v[10:11], v[8:9], v[18:19]
	ds_write2st64_b32 v7, v10, v11 offset0:12 offset1:14
	ds_read2st64_b32 v[10:11], v7 offset0:20 offset1:22
	s_waitcnt lgkmcnt(3)
	v_pk_mul_f32 v[12:13], v[8:9], v[12:13]
	ds_read2st64_b32 v[16:17], v7 offset0:24 offset1:26
	ds_write2st64_b32 v7, v12, v13 offset0:16 offset1:18
	ds_read2st64_b32 v[12:13], v7 offset0:28 offset1:30
	s_waitcnt lgkmcnt(3)
	v_pk_mul_f32 v[10:11], v[8:9], v[10:11]
	ds_write2st64_b32 v7, v10, v11 offset0:20 offset1:22
	s_waitcnt lgkmcnt(3)
	v_pk_mul_f32 v[10:11], v[8:9], v[16:17]
	ds_write2st64_b32 v7, v10, v11 offset0:24 offset1:26
	s_waitcnt lgkmcnt(2)
	v_pk_mul_f32 v[10:11], v[8:9], v[12:13]
	s_add_i32 s19, s19, 16
	v_cmp_eq_u32_e32 vcc, 0, v6
	ds_write2st64_b32 v7, v10, v11 offset0:28 offset1:30
	v_add_u32_e32 v7, 0x2000, v7
	s_or_b64 s[24:25], vcc, s[24:25]
	v_mov_b32_e32 v10, s19
	s_andn2_b64 exec, exec, s[24:25]
	s_cbranch_execnz .LBB319_389
; %bb.390:
	s_or_b64 exec, exec, s[24:25]
.LBB319_391:
	s_or_b64 exec, exec, s[10:11]
	v_and_b32_e32 v5, 7, v5
	v_cmp_ne_u32_e32 vcc, 0, v5
	s_and_saveexec_b64 s[10:11], vcc
	s_cbranch_execz .LBB319_394
; %bb.392:
	s_ashr_i32 s19, s18, 31
	s_lshl_b64 s[24:25], s[18:19], 2
	s_getpc_b64 s[26:27]
	s_add_u32 s26, s26, llvm.amdgcn.dynlds.offset.table@rel32@lo+4
	s_addc_u32 s27, s27, llvm.amdgcn.dynlds.offset.table@rel32@hi+12
	s_add_u32 s24, s24, s26
	s_addc_u32 s25, s25, s27
	s_load_dword s19, s[24:25], 0x0
	v_accvgpr_read_b32 v7, a2
	v_lshlrev_b32_e32 v6, 9, v10
	v_lshlrev_b32_e32 v7, 2, v7
	s_mov_b64 s[24:25], 0
	s_waitcnt lgkmcnt(0)
	v_add3_u32 v6, v6, v7, s19
.LBB319_393:                            ; =>This Inner Loop Header: Depth=1
	ds_read2st64_b32 v[10:11], v6 offset1:2
	v_add_u32_e32 v5, -1, v5
	v_cmp_eq_u32_e32 vcc, 0, v5
	s_or_b64 s[24:25], vcc, s[24:25]
	s_waitcnt lgkmcnt(0)
	v_pk_mul_f32 v[10:11], v[8:9], v[10:11]
	ds_write2st64_b32 v6, v10, v11 offset1:2
	v_add_u32_e32 v6, 0x400, v6
	s_andn2_b64 exec, exec, s[24:25]
	s_cbranch_execnz .LBB319_393
.LBB319_394:
	s_or_b64 exec, exec, s[10:11]
	v_add_u32_e32 v5, 1, v4
	v_and_b32_e32 v6, 0x3fffffe, v5
	v_accvgpr_read_b32 v4, a2
	v_cmp_ne_u32_e32 vcc, v5, v6
	v_lshl_add_u32 v4, v6, 7, v4
	s_orn2_b64 s[10:11], vcc, exec
.LBB319_395:
	s_or_b64 exec, exec, s[8:9]
	s_and_b64 exec, exec, s[10:11]
	s_cbranch_execz .LBB319_398
; %bb.396:
	s_ashr_i32 s19, s18, 31
	s_lshl_b64 s[8:9], s[18:19], 2
	s_getpc_b64 s[10:11]
	s_add_u32 s10, s10, llvm.amdgcn.dynlds.offset.table@rel32@lo+4
	s_addc_u32 s11, s11, llvm.amdgcn.dynlds.offset.table@rel32@hi+12
	s_add_u32 s8, s8, s10
	s_addc_u32 s9, s9, s11
	s_load_dword s8, s[8:9], 0x0
	s_waitcnt lgkmcnt(0)
	v_lshl_add_u32 v5, v4, 2, s8
	s_mov_b64 s[8:9], 0
.LBB319_397:                            ; =>This Inner Loop Header: Depth=1
	ds_read_b32 v6, v5
	v_add_u32_e32 v4, 0x80, v4
	v_cmp_ge_i32_e32 vcc, v4, v2
	s_or_b64 s[8:9], vcc, s[8:9]
	s_waitcnt lgkmcnt(0)
	v_mul_f32_e32 v6, v8, v6
	ds_write_b32 v5, v6
	v_add_u32_e32 v5, 0x200, v5
	s_andn2_b64 exec, exec, s[8:9]
	s_cbranch_execnz .LBB319_397
.LBB319_398:
	s_or_b64 exec, exec, s[6:7]
	v_cmp_ne_u16_e64 s[6:7], s28, 0
	s_cmp_lg_u64 s[6:7], 0
	s_addc_u32 s21, s13, 0
	v_accvgpr_read_b32 v6, a2
	s_mul_i32 s6, s21, s22
	v_cmp_eq_u32_e32 vcc, 0, v6
	s_mul_i32 s8, s6, s15
	s_waitcnt lgkmcnt(0)
	s_barrier
	s_and_saveexec_b64 s[6:7], vcc
	s_cbranch_execz .LBB319_400
; %bb.399:
	s_mul_i32 s12, s21, s12
	s_ashr_i32 s9, s8, 31
	s_ashr_i32 s13, s12, 31
	s_ashr_i32 s15, s14, 31
	s_lshl_b64 s[10:11], s[8:9], 2
	s_lshl_b64 s[12:13], s[12:13], 2
	;; [unrolled: 1-line block ×3, first 2 shown]
	s_add_u32 s9, s24, s12
	s_addc_u32 s12, s25, s13
	s_add_u32 s9, s9, s10
	s_addc_u32 s10, s12, s11
	v_accvgpr_read_b32 v4, a16
	v_mov_b32_e32 v2, s10
	v_add_co_u32_e32 v4, vcc, s9, v4
	v_accvgpr_read_b32 v5, a15
	v_addc_co_u32_e32 v5, vcc, v2, v5, vcc
	v_accvgpr_read_b32 v2, a14
	flat_store_dword v[4:5], v1
	v_mov_b32_e32 v1, s10
	v_add_co_u32_e32 v4, vcc, s9, v2
	v_accvgpr_read_b32 v2, a13
	v_addc_co_u32_e32 v5, vcc, v1, v2, vcc
	flat_store_dword v[4:5], v3
.LBB319_400:
	s_or_b64 exec, exec, s[6:7]
	v_mov_b32_e32 v1, 0
	v_lshrrev_b32_e32 v50, 2, v0
	v_and_b32_e32 v29, 3, v6
	v_mov_b32_e32 v0, v1
	v_mov_b32_e32 v3, v1
	;; [unrolled: 1-line block ×7, first 2 shown]
	s_and_saveexec_b64 s[10:11], s[4:5]
	s_cbranch_execz .LBB319_806
; %bb.401:
	s_ashr_i32 s19, s18, 31
	v_accvgpr_read_b32 v0, a17
	s_lshl_b64 s[4:5], s[18:19], 2
	v_and_b32_e32 v2, 24, v0
	s_getpc_b64 s[6:7]
	s_add_u32 s6, s6, llvm.amdgcn.dynlds.offset.table@rel32@lo+4
	s_addc_u32 s7, s7, llvm.amdgcn.dynlds.offset.table@rel32@hi+12
	v_accvgpr_read_b32 v0, a12
	v_accvgpr_read_b32 v1, a23
	s_add_u32 s4, s4, s6
	v_add_co_u32_e32 v10, vcc, v0, v1
	v_accvgpr_read_b32 v0, a9
	v_accvgpr_read_b32 v1, a24
	s_addc_u32 s5, s5, s7
	v_addc_co_u32_e32 v11, vcc, v0, v1, vcc
	v_accvgpr_read_b32 v0, a19
	s_load_dword s6, s[4:5], 0x0
	v_add_u32_e32 v51, -1, v0
	v_or_b32_e32 v0, 0x70, v50
	s_movk_i32 s4, 0x78
	v_cmp_gt_u32_e32 vcc, s4, v0
	v_lshl_or_b32 v28, v0, 5, v2
	v_accvgpr_read_b32 v0, a10
	v_accvgpr_read_b32 v1, a11
	v_lshlrev_b64 v[0:1], 2, v[0:1]
	v_accvgpr_read_b32 v4, a20
	v_accvgpr_read_b32 v5, a21
	v_add_co_u32_e64 v0, s[4:5], v4, v0
	v_addc_co_u32_e64 v1, s[4:5], v5, v1, s[4:5]
	v_accvgpr_read_b32 v3, a7
	v_add_co_u32_e64 v14, s[4:5], v3, v0
	v_accvgpr_read_b32 v15, a28
	v_accvgpr_read_b32 v0, a22
	v_addc_co_u32_e64 v15, s[4:5], v15, v1, s[4:5]
	v_add3_u32 v7, s23, v0, v2
	v_lshlrev_b32_e32 v0, 5, v29
	v_accvgpr_read_b32 v1, a18
	s_mov_b32 s12, -1
	v_mov_b32_e32 v25, 0
	v_lshl_or_b32 v0, v1, 7, v0
	s_mov_b32 s13, 0xffffff
	v_lshl_or_b32 v20, v50, 5, v2
	v_accvgpr_read_b32 v17, a8
	s_waitcnt lgkmcnt(0)
	v_add_u32_e32 v52, s6, v0
	s_mov_b64 s[22:23], 0
	s_movk_i32 s9, 0x80
	s_movk_i32 s15, 0x7f
	s_mov_b32 s19, 0x8000
	s_movk_i32 s34, 0x380
	s_mov_b32 s35, 0x3020706
	s_mov_b32 s36, 0x1000504
	;; [unrolled: 1-line block ×3, first 2 shown]
	v_mov_b32_e32 v53, 0x2000
	v_mov_b32_e32 v12, v25
	v_mov_b32_e32 v13, v25
	v_mov_b32_e32 v8, v25
	v_mov_b32_e32 v9, v25
	v_mov_b32_e32 v2, v25
	v_mov_b32_e32 v3, v25
	v_mov_b32_e32 v0, v25
	v_mov_b32_e32 v1, v25
	s_branch .LBB319_404
.LBB319_402:                            ;   in Loop: Header=BB319_404 Depth=1
	s_or_b64 exec, exec, s[6:7]
	;;#ASMSTART
	v_pk_mul_f16 v6, v41, v24;

	;;#ASMEND
	;;#ASMSTART
	v_pk_mul_f16 v16, v40, v22;

	;;#ASMEND
	;; [unrolled: 4-line block ×4, first 2 shown]
	;;#ASMSTART
	v_pk_add_f16 v6, v6, v16;

	;;#ASMEND
	;;#ASMSTART
	v_pk_add_f16 v4, v6, v4;

	;;#ASMEND
	;; [unrolled: 4-line block ×3, first 2 shown]
	v_lshrrev_b32_e32 v5, 16, v4
	v_and_b32_e32 v4, 0xffff, v4
	;;#ASMSTART
	v_cvt_f32_f16 v4, v4;
	;;#ASMEND
	;;#ASMSTART
	v_cvt_f32_f16 v5, v5;
	;;#ASMEND
	v_add_f32_e32 v4, v4, v5
	v_add_f32_e32 v1, v1, v4
.LBB319_403:                            ;   in Loop: Header=BB319_404 Depth=1
	s_or_b64 exec, exec, s[24:25]
	v_accvgpr_read_b32 v6, a10
	v_add_co_u32_e64 v14, s[4:5], 8, v14
	v_add_u32_e32 v6, 2, v6
	v_addc_co_u32_e64 v15, s[4:5], 0, v15, s[4:5]
	v_accvgpr_read_b32 v4, a3
	v_cmp_ge_i32_e64 s[4:5], v6, v4
	v_add_u32_e32 v7, 64, v7
	v_accvgpr_write_b32 a10, v6
	s_or_b64 s[22:23], s[4:5], s[22:23]
	v_add_u32_e32 v52, 0x100, v52
	s_andn2_b64 exec, exec, s[22:23]
	s_cbranch_execz .LBB319_805
.LBB319_404:                            ; =>This Inner Loop Header: Depth=1
	flat_load_dword v6, v[14:15]
	ds_read2_b64 v[30:33], v52 offset1:1
	ds_read2_b64 v[34:37], v52 offset0:2 offset1:3
	v_accvgpr_read_b32 v16, a6
	s_waitcnt lgkmcnt(0)
	;;#ASMSTART
	v_cvt_f16_f32 v4, v30;

	;;#ASMEND
	;;#ASMSTART
	v_cvt_f16_f32 v5, v31;

	;;#ASMEND
	;; [unrolled: 4-line block ×6, first 2 shown]
	v_accvgpr_read_b32 v35, a5
	;;#ASMSTART
	v_cvt_f16_f32 v48, v36;

	;;#ASMEND
	;;#ASMSTART
	v_cvt_f16_f32 v49, v37;

	;;#ASMEND
	v_accvgpr_read_b32 v34, a4
	flat_load_dword v32, v[34:35]
	v_mov_b32_e32 v34, 0
	s_waitcnt vmcnt(0)
	v_mad_i64_i32 v[18:19], s[4:5], v6, v16, v[10:11]
	v_add_co_u32_e64 v30, s[4:5], v18, v20
	v_addc_co_u32_e64 v31, s[4:5], 0, v19, s[4:5]
	flat_load_dwordx2 v[36:37], v[30:31]
	s_waitcnt vmcnt(0) lgkmcnt(0)
	v_cmp_ne_u16_sdwa s[4:5], v36, v25 src0_sel:BYTE_0 src1_sel:DWORD
	s_and_saveexec_b64 s[6:7], s[4:5]
	s_cbranch_execz .LBB319_410
; %bb.405:                              ;   in Loop: Header=BB319_404 Depth=1
	v_cmp_ne_u16_sdwa s[4:5], v36, s9 src0_sel:BYTE_0 src1_sel:DWORD
	v_bfrev_b32_e32 v34, 1
	s_and_saveexec_b64 s[24:25], s[4:5]
	s_cbranch_execz .LBB319_409
; %bb.406:                              ;   in Loop: Header=BB319_404 Depth=1
	v_and_b32_e32 v6, 0x7f, v36
	v_cmp_ne_u32_e64 s[4:5], s15, v6
	v_mov_b32_e32 v34, 0x7fc02000
	s_and_saveexec_b64 s[26:27], s[4:5]
	s_cbranch_execz .LBB319_408
; %bb.407:                              ;   in Loop: Header=BB319_404 Depth=1
	v_and_b32_e32 v16, 7, v36
	v_ffbh_u32_e32 v16, v16
	v_min_u32_e32 v16, 32, v16
	v_subrev_u32_e32 v34, 28, v16
	v_cmp_gt_u32_e64 s[4:5], 8, v6
	v_lshrrev_b32_e32 v24, 3, v6
	v_sub_u32_e32 v16, 29, v16
	v_cndmask_b32_e64 v6, 0, v34, s[4:5]
	v_lshlrev_b64 v[34:35], v6, v[36:37]
	v_cndmask_b32_e64 v6, v24, v16, s[4:5]
	v_lshlrev_b32_e32 v24, 8, v36
	v_lshl_add_u32 v6, v6, 10, v53
	v_lshlrev_b32_e32 v16, 7, v34
	v_and_or_b32 v6, v24, s19, v6
	v_and_or_b32 v6, v16, s34, v6
	v_cvt_f32_f16_e32 v34, v6
.LBB319_408:                            ;   in Loop: Header=BB319_404 Depth=1
	s_or_b64 exec, exec, s[26:27]
.LBB319_409:                            ;   in Loop: Header=BB319_404 Depth=1
	s_or_b64 exec, exec, s[24:25]
.LBB319_410:                            ;   in Loop: Header=BB319_404 Depth=1
	s_or_b64 exec, exec, s[6:7]
	v_lshrrev_b16_e32 v24, 8, v36
	v_cmp_ne_u16_e64 s[4:5], 0, v24
	v_mov_b32_e32 v35, 0
	v_mov_b32_e32 v38, 0
	s_and_saveexec_b64 s[6:7], s[4:5]
	s_cbranch_execz .LBB319_416
; %bb.411:                              ;   in Loop: Header=BB319_404 Depth=1
	v_cmp_ne_u16_e64 s[4:5], s9, v24
	v_bfrev_b32_e32 v38, 1
	s_and_saveexec_b64 s[24:25], s[4:5]
	s_cbranch_execz .LBB319_415
; %bb.412:                              ;   in Loop: Header=BB319_404 Depth=1
	v_and_b32_e32 v6, 0x7f, v24
	v_cmp_ne_u32_e64 s[4:5], s15, v6
	v_mov_b32_e32 v38, 0x7fc02000
	s_and_saveexec_b64 s[26:27], s[4:5]
	s_cbranch_execz .LBB319_414
; %bb.413:                              ;   in Loop: Header=BB319_404 Depth=1
	v_and_b32_e32 v16, 7, v24
	v_ffbh_u32_e32 v38, v16
	v_min_u32_e32 v55, 32, v38
	v_subrev_u32_e32 v38, 28, v55
	v_lshlrev_b64 v[38:39], v38, v[24:25]
	v_lshrrev_b32_e32 v54, 3, v6
	v_sub_u32_e32 v39, 29, v55
	v_cmp_gt_u32_e64 s[4:5], 8, v6
	v_cndmask_b32_e64 v6, v54, v39, s[4:5]
	v_and_b32_e32 v38, 7, v38
	v_lshlrev_b32_e32 v24, 8, v24
	v_lshl_add_u32 v6, v6, 10, v53
	v_cndmask_b32_e64 v16, v16, v38, s[4:5]
	v_and_or_b32 v6, v24, s19, v6
	v_lshl_or_b32 v6, v16, 7, v6
	v_cvt_f32_f16_e32 v38, v6
.LBB319_414:                            ;   in Loop: Header=BB319_404 Depth=1
	s_or_b64 exec, exec, s[26:27]
.LBB319_415:                            ;   in Loop: Header=BB319_404 Depth=1
	s_or_b64 exec, exec, s[24:25]
.LBB319_416:                            ;   in Loop: Header=BB319_404 Depth=1
	s_or_b64 exec, exec, s[6:7]
	v_lshrrev_b32_e32 v24, 16, v36
	v_cmp_ne_u16_sdwa s[4:5], v24, v25 src0_sel:BYTE_0 src1_sel:DWORD
	s_and_saveexec_b64 s[6:7], s[4:5]
	s_cbranch_execz .LBB319_422
; %bb.417:                              ;   in Loop: Header=BB319_404 Depth=1
	v_cmp_ne_u16_sdwa s[4:5], v24, s9 src0_sel:BYTE_0 src1_sel:DWORD
	v_bfrev_b32_e32 v35, 1
	s_and_saveexec_b64 s[24:25], s[4:5]
	s_cbranch_execz .LBB319_421
; %bb.418:                              ;   in Loop: Header=BB319_404 Depth=1
	v_bfe_u32 v6, v36, 16, 7
	v_cmp_ne_u32_e64 s[4:5], s15, v6
	v_mov_b32_e32 v35, 0x7fc02000
	s_and_saveexec_b64 s[26:27], s[4:5]
	s_cbranch_execz .LBB319_420
; %bb.419:                              ;   in Loop: Header=BB319_404 Depth=1
	v_and_b32_e32 v16, 7, v24
	v_ffbh_u32_e32 v39, v16
	v_min_u32_e32 v39, 32, v39
	v_lshrrev_b32_e32 v35, 3, v6
	v_subrev_u32_e32 v54, 28, v39
	v_sub_u32_e32 v39, 29, v39
	v_cmp_gt_u32_e64 s[4:5], 8, v6
	v_lshlrev_b64 v[54:55], v54, v[24:25]
	v_cndmask_b32_e64 v6, v35, v39, s[4:5]
	v_and_b32_e32 v54, 7, v54
	v_lshlrev_b32_e32 v24, 8, v24
	v_lshl_add_u32 v6, v6, 10, v53
	v_cndmask_b32_e64 v16, v16, v54, s[4:5]
	v_and_or_b32 v6, v24, s19, v6
	v_lshl_or_b32 v6, v16, 7, v6
	v_cvt_f32_f16_e32 v35, v6
.LBB319_420:                            ;   in Loop: Header=BB319_404 Depth=1
	s_or_b64 exec, exec, s[26:27]
.LBB319_421:                            ;   in Loop: Header=BB319_404 Depth=1
	s_or_b64 exec, exec, s[24:25]
.LBB319_422:                            ;   in Loop: Header=BB319_404 Depth=1
	s_or_b64 exec, exec, s[6:7]
	v_cmp_lt_u32_e64 s[4:5], s13, v36
	v_mov_b32_e32 v6, 0
	v_mov_b32_e32 v39, 0
	s_and_saveexec_b64 s[6:7], s[4:5]
	s_cbranch_execz .LBB319_428
; %bb.423:                              ;   in Loop: Header=BB319_404 Depth=1
	v_lshrrev_b32_e32 v24, 24, v36
	v_cmp_ne_u32_e64 s[4:5], s9, v24
	v_bfrev_b32_e32 v39, 1
	s_and_saveexec_b64 s[24:25], s[4:5]
	s_cbranch_execz .LBB319_427
; %bb.424:                              ;   in Loop: Header=BB319_404 Depth=1
	v_and_b32_e32 v54, 0x7f, v24
	v_cmp_ne_u32_e64 s[4:5], s15, v54
	v_mov_b32_e32 v39, 0x7fc02000
	s_and_saveexec_b64 s[26:27], s[4:5]
	s_cbranch_execz .LBB319_426
; %bb.425:                              ;   in Loop: Header=BB319_404 Depth=1
	v_and_b32_e32 v16, 7, v24
	v_ffbh_u32_e32 v55, v16
	v_min_u32_e32 v55, 32, v55
	v_lshrrev_b32_e32 v39, 3, v54
	v_subrev_u32_e32 v40, 28, v55
	v_sub_u32_e32 v55, 29, v55
	v_cmp_gt_u32_e64 s[4:5], 8, v54
	v_lshlrev_b64 v[40:41], v40, v[24:25]
	v_cndmask_b32_e64 v39, v39, v55, s[4:5]
	v_and_b32_e32 v40, 7, v40
	v_lshlrev_b32_e32 v24, 8, v24
	v_lshl_add_u32 v39, v39, 10, v53
	v_cndmask_b32_e64 v16, v16, v40, s[4:5]
	v_and_or_b32 v24, v24, s19, v39
	v_lshl_or_b32 v16, v16, 7, v24
	v_cvt_f32_f16_e32 v39, v16
.LBB319_426:                            ;   in Loop: Header=BB319_404 Depth=1
	s_or_b64 exec, exec, s[26:27]
.LBB319_427:                            ;   in Loop: Header=BB319_404 Depth=1
	s_or_b64 exec, exec, s[24:25]
.LBB319_428:                            ;   in Loop: Header=BB319_404 Depth=1
	s_or_b64 exec, exec, s[6:7]
	v_mov_b32_e32 v24, v37
	v_cmp_ne_u16_sdwa s[4:5], v37, v25 src0_sel:BYTE_0 src1_sel:DWORD
	s_and_saveexec_b64 s[6:7], s[4:5]
	s_cbranch_execz .LBB319_434
; %bb.429:                              ;   in Loop: Header=BB319_404 Depth=1
	v_cmp_ne_u16_sdwa s[4:5], v37, s9 src0_sel:BYTE_0 src1_sel:DWORD
	v_bfrev_b32_e32 v6, 1
	s_and_saveexec_b64 s[24:25], s[4:5]
	s_cbranch_execz .LBB319_433
; %bb.430:                              ;   in Loop: Header=BB319_404 Depth=1
	v_and_b32_e32 v54, 0x7f, v37
	v_cmp_ne_u32_e64 s[4:5], s15, v54
	v_mov_b32_e32 v6, 0x7fc02000
	s_and_saveexec_b64 s[26:27], s[4:5]
	s_cbranch_execz .LBB319_432
; %bb.431:                              ;   in Loop: Header=BB319_404 Depth=1
	v_and_b32_e32 v6, 7, v37
	v_ffbh_u32_e32 v6, v6
	v_min_u32_e32 v6, 32, v6
	v_subrev_u32_e32 v55, 28, v6
	v_cmp_gt_u32_e64 s[4:5], 8, v54
	v_lshrrev_b32_e32 v16, 3, v54
	v_sub_u32_e32 v6, 29, v6
	v_cndmask_b32_e64 v54, 0, v55, s[4:5]
	v_lshlrev_b64 v[54:55], v54, v[24:25]
	v_cndmask_b32_e64 v6, v16, v6, s[4:5]
	v_lshlrev_b32_e32 v16, 7, v54
	v_lshlrev_b32_e32 v54, 8, v37
	v_lshl_add_u32 v6, v6, 10, v53
	v_and_or_b32 v6, v54, s19, v6
	v_and_or_b32 v6, v16, s34, v6
	v_cvt_f32_f16_e32 v6, v6
.LBB319_432:                            ;   in Loop: Header=BB319_404 Depth=1
	s_or_b64 exec, exec, s[26:27]
.LBB319_433:                            ;   in Loop: Header=BB319_404 Depth=1
	s_or_b64 exec, exec, s[24:25]
.LBB319_434:                            ;   in Loop: Header=BB319_404 Depth=1
	s_or_b64 exec, exec, s[6:7]
	v_lshrrev_b16_e32 v24, 8, v24
	v_cmp_ne_u16_e64 s[4:5], 0, v24
	v_mov_b32_e32 v54, 0
	v_mov_b32_e32 v55, 0
	s_and_saveexec_b64 s[6:7], s[4:5]
	s_cbranch_execz .LBB319_440
; %bb.435:                              ;   in Loop: Header=BB319_404 Depth=1
	v_cmp_ne_u16_e64 s[4:5], s9, v24
	v_bfrev_b32_e32 v55, 1
	s_and_saveexec_b64 s[24:25], s[4:5]
	s_cbranch_execz .LBB319_439
; %bb.436:                              ;   in Loop: Header=BB319_404 Depth=1
	v_and_b32_e32 v40, 0x7f, v24
	v_cmp_ne_u32_e64 s[4:5], s15, v40
	v_mov_b32_e32 v55, 0x7fc02000
	s_and_saveexec_b64 s[26:27], s[4:5]
	s_cbranch_execz .LBB319_438
; %bb.437:                              ;   in Loop: Header=BB319_404 Depth=1
	v_and_b32_e32 v16, 7, v24
	v_ffbh_u32_e32 v41, v16
	v_min_u32_e32 v41, 32, v41
	v_lshrrev_b32_e32 v55, 3, v40
	v_subrev_u32_e32 v42, 28, v41
	v_sub_u32_e32 v41, 29, v41
	v_cmp_gt_u32_e64 s[4:5], 8, v40
	v_lshlrev_b64 v[42:43], v42, v[24:25]
	v_cndmask_b32_e64 v55, v55, v41, s[4:5]
	v_and_b32_e32 v42, 7, v42
	v_lshlrev_b32_e32 v24, 8, v24
	v_lshl_add_u32 v55, v55, 10, v53
	v_cndmask_b32_e64 v16, v16, v42, s[4:5]
	v_and_or_b32 v24, v24, s19, v55
	v_lshl_or_b32 v16, v16, 7, v24
	v_cvt_f32_f16_e32 v55, v16
.LBB319_438:                            ;   in Loop: Header=BB319_404 Depth=1
	s_or_b64 exec, exec, s[26:27]
.LBB319_439:                            ;   in Loop: Header=BB319_404 Depth=1
	s_or_b64 exec, exec, s[24:25]
.LBB319_440:                            ;   in Loop: Header=BB319_404 Depth=1
	s_or_b64 exec, exec, s[6:7]
	v_lshrrev_b32_e32 v24, 16, v37
	v_cmp_ne_u16_sdwa s[4:5], v24, v25 src0_sel:BYTE_0 src1_sel:DWORD
	s_and_saveexec_b64 s[6:7], s[4:5]
	s_cbranch_execz .LBB319_446
; %bb.441:                              ;   in Loop: Header=BB319_404 Depth=1
	v_cmp_ne_u16_sdwa s[4:5], v24, s9 src0_sel:BYTE_0 src1_sel:DWORD
	v_bfrev_b32_e32 v54, 1
	s_and_saveexec_b64 s[24:25], s[4:5]
	s_cbranch_execz .LBB319_445
; %bb.442:                              ;   in Loop: Header=BB319_404 Depth=1
	v_bfe_u32 v40, v37, 16, 7
	v_cmp_ne_u32_e64 s[4:5], s15, v40
	v_mov_b32_e32 v54, 0x7fc02000
	s_and_saveexec_b64 s[26:27], s[4:5]
	s_cbranch_execz .LBB319_444
; %bb.443:                              ;   in Loop: Header=BB319_404 Depth=1
	v_and_b32_e32 v16, 7, v24
	v_ffbh_u32_e32 v41, v16
	v_min_u32_e32 v41, 32, v41
	v_lshrrev_b32_e32 v54, 3, v40
	v_subrev_u32_e32 v42, 28, v41
	v_sub_u32_e32 v41, 29, v41
	v_cmp_gt_u32_e64 s[4:5], 8, v40
	v_lshlrev_b64 v[42:43], v42, v[24:25]
	v_cndmask_b32_e64 v54, v54, v41, s[4:5]
	v_and_b32_e32 v42, 7, v42
	v_lshlrev_b32_e32 v24, 8, v24
	v_lshl_add_u32 v54, v54, 10, v53
	v_cndmask_b32_e64 v16, v16, v42, s[4:5]
	v_and_or_b32 v24, v24, s19, v54
	v_lshl_or_b32 v16, v16, 7, v24
	v_cvt_f32_f16_e32 v54, v16
.LBB319_444:                            ;   in Loop: Header=BB319_404 Depth=1
	s_or_b64 exec, exec, s[26:27]
.LBB319_445:                            ;   in Loop: Header=BB319_404 Depth=1
	s_or_b64 exec, exec, s[24:25]
.LBB319_446:                            ;   in Loop: Header=BB319_404 Depth=1
	s_or_b64 exec, exec, s[6:7]
	v_cmp_lt_u64_e64 s[4:5], s[12:13], v[36:37]
	v_mov_b32_e32 v36, 0
	s_and_saveexec_b64 s[6:7], s[4:5]
	s_cbranch_execz .LBB319_452
; %bb.447:                              ;   in Loop: Header=BB319_404 Depth=1
	v_lshrrev_b32_e32 v24, 24, v37
	v_cmp_ne_u32_e64 s[4:5], s9, v24
	v_bfrev_b32_e32 v36, 1
	s_and_saveexec_b64 s[24:25], s[4:5]
	s_cbranch_execz .LBB319_451
; %bb.448:                              ;   in Loop: Header=BB319_404 Depth=1
	v_and_b32_e32 v37, 0x7f, v24
	v_cmp_ne_u32_e64 s[4:5], s15, v37
	v_mov_b32_e32 v36, 0x7fc02000
	s_and_saveexec_b64 s[26:27], s[4:5]
	s_cbranch_execz .LBB319_450
; %bb.449:                              ;   in Loop: Header=BB319_404 Depth=1
	v_and_b32_e32 v16, 7, v24
	v_ffbh_u32_e32 v40, v16
	v_min_u32_e32 v42, 32, v40
	v_subrev_u32_e32 v40, 28, v42
	v_lshlrev_b64 v[40:41], v40, v[24:25]
	v_lshrrev_b32_e32 v36, 3, v37
	v_sub_u32_e32 v41, 29, v42
	v_cmp_gt_u32_e64 s[4:5], 8, v37
	v_cndmask_b32_e64 v36, v36, v41, s[4:5]
	v_and_b32_e32 v40, 7, v40
	v_lshlrev_b32_e32 v24, 8, v24
	v_lshl_add_u32 v36, v36, 10, v53
	v_cndmask_b32_e64 v16, v16, v40, s[4:5]
	v_and_or_b32 v24, v24, s19, v36
	v_lshl_or_b32 v16, v16, 7, v24
	v_cvt_f32_f16_e32 v36, v16
.LBB319_450:                            ;   in Loop: Header=BB319_404 Depth=1
	s_or_b64 exec, exec, s[26:27]
.LBB319_451:                            ;   in Loop: Header=BB319_404 Depth=1
	s_or_b64 exec, exec, s[24:25]
.LBB319_452:                            ;   in Loop: Header=BB319_404 Depth=1
	s_or_b64 exec, exec, s[6:7]
	v_pk_mul_f32 v[38:39], v[32:33], v[38:39] op_sel_hi:[0,1]
	v_pk_mul_f32 v[34:35], v[32:33], v[34:35] op_sel_hi:[0,1]
	v_cvt_f16_f32_e32 v16, v39
	v_cvt_f16_f32_e32 v24, v38
	;; [unrolled: 1-line block ×4, first 2 shown]
	v_fma_mixlo_f16 v6, v32, v6, 0
	v_pack_b32_f16 v16, v24, v16
	v_accvgpr_read_b32 v38, a10
	v_pack_b32_f16 v34, v34, v35
	v_perm_b32 v24, v34, v16, s35
	v_perm_b32 v34, v34, v16, s36
	v_fma_mixlo_f16 v16, v32, v55, 0
	v_lshlrev_b32_e32 v16, 16, v16
	v_or_b32_sdwa v6, v16, v6 dst_sel:DWORD dst_unused:UNUSED_PAD src0_sel:DWORD src1_sel:WORD_0
	v_fma_mixlo_f16 v16, v32, v36, 0
	v_fma_mixlo_f16 v35, v32, v54, 0
	v_lshlrev_b32_e32 v16, 16, v16
	v_cmp_eq_u32_e64 s[4:5], v51, v38
	v_or_b32_sdwa v32, v16, v35 dst_sel:DWORD dst_unused:UNUSED_PAD src0_sel:DWORD src1_sel:WORD_0
	s_and_saveexec_b64 s[24:25], s[4:5]
	s_cbranch_execz .LBB319_454
; %bb.453:                              ;   in Loop: Header=BB319_404 Depth=1
	v_add_u32_e32 v16, 1, v7
	v_lshrrev_b32_e32 v36, 16, v34
	v_cmp_lt_i32_e64 s[6:7], v16, v17
	v_accvgpr_read_b32 v38, a8
	v_cndmask_b32_e64 v16, 0, v36, s[6:7]
	v_cmp_lt_i32_e64 s[6:7], v7, v38
	v_cndmask_b32_e64 v34, 0, v34, s[6:7]
	v_perm_b32 v34, v16, v34, s37
	v_or_b32_e32 v16, 3, v7
	v_or_b32_e32 v36, 2, v7
	v_lshrrev_b32_e32 v37, 16, v24
	v_cmp_lt_i32_e64 s[6:7], v16, v17
	v_cndmask_b32_e64 v16, 0, v37, s[6:7]
	v_cmp_lt_i32_e64 s[6:7], v36, v38
	v_cndmask_b32_e64 v24, 0, v24, s[6:7]
	v_perm_b32 v24, v16, v24, s37
	v_or_b32_e32 v16, 5, v7
	v_or_b32_e32 v36, 4, v7
	v_lshrrev_b32_e32 v37, 16, v6
	v_cmp_lt_i32_e64 s[6:7], v16, v17
	;; [unrolled: 8-line block ×3, first 2 shown]
	v_cndmask_b32_e64 v16, 0, v32, s[6:7]
	v_cmp_lt_i32_e64 s[6:7], v36, v38
	v_cndmask_b32_e64 v32, 0, v35, s[6:7]
	v_perm_b32 v32, v16, v32, s37
.LBB319_454:                            ;   in Loop: Header=BB319_404 Depth=1
	s_or_b64 exec, exec, s[24:25]
	v_and_b32_e32 v4, 0xffff, v4
	v_lshl_or_b32 v41, v5, 16, v4
	v_and_b32_e32 v4, 0xffff, v22
	v_lshl_or_b32 v40, v26, 16, v4
	;; [unrolled: 2-line block ×4, first 2 shown]
	;;#ASMSTART
	v_pk_mul_f16 v4, v41, v34;

	;;#ASMEND
	;;#ASMSTART
	v_pk_mul_f16 v5, v40, v24;

	;;#ASMEND
	;; [unrolled: 4-line block ×4, first 2 shown]
	;;#ASMSTART
	v_pk_add_f16 v4, v4, v5;

	;;#ASMEND
	;;#ASMSTART
	v_pk_add_f16 v4, v4, v6;

	;;#ASMEND
	;; [unrolled: 4-line block ×3, first 2 shown]
	v_lshrrev_b32_e32 v5, 16, v4
	v_and_b32_e32 v4, 0xffff, v4
	;;#ASMSTART
	v_cvt_f32_f16 v42, v4;
	;;#ASMEND
	;;#ASMSTART
	v_cvt_f32_f16 v43, v5;
	;;#ASMEND
	v_accvgpr_read_b32 v4, a4
	flat_load_dwordx2 v[38:39], v[30:31] offset:512
	v_accvgpr_read_b32 v5, a5
	flat_load_dword v32, v[4:5]
	v_mov_b32_e32 v36, 0
	v_mov_b32_e32 v34, 0
	s_waitcnt vmcnt(0) lgkmcnt(0)
	v_cmp_ne_u16_sdwa s[6:7], v38, v25 src0_sel:BYTE_0 src1_sel:DWORD
	s_and_saveexec_b64 s[24:25], s[6:7]
	s_cbranch_execz .LBB319_460
; %bb.455:                              ;   in Loop: Header=BB319_404 Depth=1
	v_cmp_ne_u16_sdwa s[6:7], v38, s9 src0_sel:BYTE_0 src1_sel:DWORD
	v_bfrev_b32_e32 v34, 1
	s_and_saveexec_b64 s[26:27], s[6:7]
	s_cbranch_execz .LBB319_459
; %bb.456:                              ;   in Loop: Header=BB319_404 Depth=1
	v_and_b32_e32 v4, 0x7f, v38
	v_cmp_ne_u32_e64 s[6:7], s15, v4
	v_mov_b32_e32 v34, 0x7fc02000
	s_and_saveexec_b64 s[28:29], s[6:7]
	s_cbranch_execz .LBB319_458
; %bb.457:                              ;   in Loop: Header=BB319_404 Depth=1
	v_and_b32_e32 v5, 7, v38
	v_ffbh_u32_e32 v5, v5
	v_min_u32_e32 v5, 32, v5
	v_subrev_u32_e32 v16, 28, v5
	v_cmp_gt_u32_e64 s[6:7], 8, v4
	v_lshrrev_b32_e32 v6, 3, v4
	v_cndmask_b32_e64 v4, 0, v16, s[6:7]
	v_sub_u32_e32 v22, 29, v5
	v_lshlrev_b64 v[4:5], v4, v[38:39]
	v_cndmask_b32_e64 v5, v6, v22, s[6:7]
	v_lshlrev_b32_e32 v6, 8, v38
	v_lshl_add_u32 v5, v5, 10, v53
	v_lshlrev_b32_e32 v4, 7, v4
	v_and_or_b32 v5, v6, s19, v5
	v_and_or_b32 v4, v4, s34, v5
	v_cvt_f32_f16_e32 v34, v4
.LBB319_458:                            ;   in Loop: Header=BB319_404 Depth=1
	s_or_b64 exec, exec, s[28:29]
.LBB319_459:                            ;   in Loop: Header=BB319_404 Depth=1
	s_or_b64 exec, exec, s[26:27]
.LBB319_460:                            ;   in Loop: Header=BB319_404 Depth=1
	s_or_b64 exec, exec, s[24:25]
	v_lshrrev_b16_e32 v24, 8, v38
	v_cmp_ne_u16_e64 s[6:7], 0, v24
	s_and_saveexec_b64 s[24:25], s[6:7]
	s_cbranch_execz .LBB319_466
; %bb.461:                              ;   in Loop: Header=BB319_404 Depth=1
	v_cmp_ne_u16_e64 s[6:7], s9, v24
	v_bfrev_b32_e32 v36, 1
	s_and_saveexec_b64 s[26:27], s[6:7]
	s_cbranch_execz .LBB319_465
; %bb.462:                              ;   in Loop: Header=BB319_404 Depth=1
	v_and_b32_e32 v4, 0x7f, v24
	v_cmp_ne_u32_e64 s[6:7], s15, v4
	v_mov_b32_e32 v36, 0x7fc02000
	s_and_saveexec_b64 s[28:29], s[6:7]
	s_cbranch_execz .LBB319_464
; %bb.463:                              ;   in Loop: Header=BB319_404 Depth=1
	v_and_b32_e32 v5, 7, v24
	v_ffbh_u32_e32 v16, v5
	v_min_u32_e32 v16, 32, v16
	v_lshrrev_b32_e32 v6, 3, v4
	v_subrev_u32_e32 v22, 28, v16
	v_sub_u32_e32 v16, 29, v16
	v_cmp_gt_u32_e64 s[6:7], 8, v4
	v_lshlrev_b64 v[26:27], v22, v[24:25]
	v_cndmask_b32_e64 v4, v6, v16, s[6:7]
	v_and_b32_e32 v22, 7, v26
	v_lshlrev_b32_e32 v6, 8, v24
	v_lshl_add_u32 v4, v4, 10, v53
	v_cndmask_b32_e64 v5, v5, v22, s[6:7]
	v_and_or_b32 v4, v6, s19, v4
	v_lshl_or_b32 v4, v5, 7, v4
	v_cvt_f32_f16_e32 v36, v4
.LBB319_464:                            ;   in Loop: Header=BB319_404 Depth=1
	s_or_b64 exec, exec, s[28:29]
.LBB319_465:                            ;   in Loop: Header=BB319_404 Depth=1
	s_or_b64 exec, exec, s[26:27]
.LBB319_466:                            ;   in Loop: Header=BB319_404 Depth=1
	s_or_b64 exec, exec, s[24:25]
	v_lshrrev_b32_e32 v24, 16, v38
	v_cmp_ne_u16_sdwa s[6:7], v24, v25 src0_sel:BYTE_0 src1_sel:DWORD
	v_mov_b32_e32 v37, 0
	v_mov_b32_e32 v35, 0
	s_and_saveexec_b64 s[24:25], s[6:7]
	s_cbranch_execz .LBB319_472
; %bb.467:                              ;   in Loop: Header=BB319_404 Depth=1
	v_cmp_ne_u16_sdwa s[6:7], v24, s9 src0_sel:BYTE_0 src1_sel:DWORD
	v_bfrev_b32_e32 v35, 1
	s_and_saveexec_b64 s[26:27], s[6:7]
	s_cbranch_execz .LBB319_471
; %bb.468:                              ;   in Loop: Header=BB319_404 Depth=1
	v_bfe_u32 v4, v38, 16, 7
	v_cmp_ne_u32_e64 s[6:7], s15, v4
	v_mov_b32_e32 v35, 0x7fc02000
	s_and_saveexec_b64 s[28:29], s[6:7]
	s_cbranch_execz .LBB319_470
; %bb.469:                              ;   in Loop: Header=BB319_404 Depth=1
	v_and_b32_e32 v5, 7, v24
	v_ffbh_u32_e32 v16, v5
	v_min_u32_e32 v16, 32, v16
	v_lshrrev_b32_e32 v6, 3, v4
	v_subrev_u32_e32 v22, 28, v16
	v_sub_u32_e32 v16, 29, v16
	v_cmp_gt_u32_e64 s[6:7], 8, v4
	v_lshlrev_b64 v[26:27], v22, v[24:25]
	v_cndmask_b32_e64 v4, v6, v16, s[6:7]
	v_and_b32_e32 v22, 7, v26
	v_lshlrev_b32_e32 v6, 8, v24
	v_lshl_add_u32 v4, v4, 10, v53
	v_cndmask_b32_e64 v5, v5, v22, s[6:7]
	v_and_or_b32 v4, v6, s19, v4
	v_lshl_or_b32 v4, v5, 7, v4
	v_cvt_f32_f16_e32 v35, v4
.LBB319_470:                            ;   in Loop: Header=BB319_404 Depth=1
	s_or_b64 exec, exec, s[28:29]
.LBB319_471:                            ;   in Loop: Header=BB319_404 Depth=1
	s_or_b64 exec, exec, s[26:27]
.LBB319_472:                            ;   in Loop: Header=BB319_404 Depth=1
	s_or_b64 exec, exec, s[24:25]
	v_cmp_lt_u32_e64 s[6:7], s13, v38
	s_and_saveexec_b64 s[24:25], s[6:7]
	s_cbranch_execz .LBB319_478
; %bb.473:                              ;   in Loop: Header=BB319_404 Depth=1
	v_lshrrev_b32_e32 v24, 24, v38
	v_cmp_ne_u32_e64 s[6:7], s9, v24
	v_bfrev_b32_e32 v37, 1
	s_and_saveexec_b64 s[26:27], s[6:7]
	s_cbranch_execz .LBB319_477
; %bb.474:                              ;   in Loop: Header=BB319_404 Depth=1
	v_and_b32_e32 v4, 0x7f, v24
	v_cmp_ne_u32_e64 s[6:7], s15, v4
	v_mov_b32_e32 v37, 0x7fc02000
	s_and_saveexec_b64 s[28:29], s[6:7]
	s_cbranch_execz .LBB319_476
; %bb.475:                              ;   in Loop: Header=BB319_404 Depth=1
	v_and_b32_e32 v5, 7, v24
	v_ffbh_u32_e32 v16, v5
	v_min_u32_e32 v16, 32, v16
	v_lshrrev_b32_e32 v6, 3, v4
	v_subrev_u32_e32 v22, 28, v16
	v_sub_u32_e32 v16, 29, v16
	v_cmp_gt_u32_e64 s[6:7], 8, v4
	v_lshlrev_b64 v[26:27], v22, v[24:25]
	v_cndmask_b32_e64 v4, v6, v16, s[6:7]
	v_and_b32_e32 v22, 7, v26
	v_lshlrev_b32_e32 v6, 8, v24
	v_lshl_add_u32 v4, v4, 10, v53
	v_cndmask_b32_e64 v5, v5, v22, s[6:7]
	v_and_or_b32 v4, v6, s19, v4
	v_lshl_or_b32 v4, v5, 7, v4
	v_cvt_f32_f16_e32 v37, v4
.LBB319_476:                            ;   in Loop: Header=BB319_404 Depth=1
	s_or_b64 exec, exec, s[28:29]
.LBB319_477:                            ;   in Loop: Header=BB319_404 Depth=1
	s_or_b64 exec, exec, s[26:27]
.LBB319_478:                            ;   in Loop: Header=BB319_404 Depth=1
	s_or_b64 exec, exec, s[24:25]
	v_mov_b32_e32 v24, v39
	v_cmp_ne_u16_sdwa s[6:7], v39, v25 src0_sel:BYTE_0 src1_sel:DWORD
	v_mov_b32_e32 v5, 0
	v_mov_b32_e32 v4, 0
	s_and_saveexec_b64 s[24:25], s[6:7]
	s_cbranch_execz .LBB319_484
; %bb.479:                              ;   in Loop: Header=BB319_404 Depth=1
	v_cmp_ne_u16_sdwa s[6:7], v39, s9 src0_sel:BYTE_0 src1_sel:DWORD
	v_bfrev_b32_e32 v4, 1
	s_and_saveexec_b64 s[26:27], s[6:7]
	s_cbranch_execz .LBB319_483
; %bb.480:                              ;   in Loop: Header=BB319_404 Depth=1
	v_and_b32_e32 v6, 0x7f, v39
	v_cmp_ne_u32_e64 s[6:7], s15, v6
	v_mov_b32_e32 v4, 0x7fc02000
	s_and_saveexec_b64 s[28:29], s[6:7]
	s_cbranch_execz .LBB319_482
; %bb.481:                              ;   in Loop: Header=BB319_404 Depth=1
	v_and_b32_e32 v4, 7, v39
	v_ffbh_u32_e32 v4, v4
	v_min_u32_e32 v4, 32, v4
	v_lshrrev_b32_e32 v16, 3, v6
	v_subrev_u32_e32 v22, 28, v4
	v_sub_u32_e32 v4, 29, v4
	v_cmp_gt_u32_e64 s[6:7], 8, v6
	v_cndmask_b32_e64 v6, 0, v22, s[6:7]
	v_cndmask_b32_e64 v4, v16, v4, s[6:7]
	v_lshlrev_b64 v[26:27], v6, v[24:25]
	v_lshlrev_b32_e32 v16, 8, v39
	v_lshl_add_u32 v4, v4, 10, v53
	v_lshlrev_b32_e32 v6, 7, v26
	v_and_or_b32 v4, v16, s19, v4
	v_and_or_b32 v4, v6, s34, v4
	v_cvt_f32_f16_e32 v4, v4
.LBB319_482:                            ;   in Loop: Header=BB319_404 Depth=1
	s_or_b64 exec, exec, s[28:29]
.LBB319_483:                            ;   in Loop: Header=BB319_404 Depth=1
	s_or_b64 exec, exec, s[26:27]
.LBB319_484:                            ;   in Loop: Header=BB319_404 Depth=1
	s_or_b64 exec, exec, s[24:25]
	v_lshrrev_b16_e32 v24, 8, v24
	v_cmp_ne_u16_e64 s[6:7], 0, v24
	s_and_saveexec_b64 s[24:25], s[6:7]
	s_cbranch_execz .LBB319_490
; %bb.485:                              ;   in Loop: Header=BB319_404 Depth=1
	v_cmp_ne_u16_e64 s[6:7], s9, v24
	v_bfrev_b32_e32 v5, 1
	s_and_saveexec_b64 s[26:27], s[6:7]
	s_cbranch_execz .LBB319_489
; %bb.486:                              ;   in Loop: Header=BB319_404 Depth=1
	v_and_b32_e32 v6, 0x7f, v24
	v_cmp_ne_u32_e64 s[6:7], s15, v6
	v_mov_b32_e32 v5, 0x7fc02000
	s_and_saveexec_b64 s[28:29], s[6:7]
	s_cbranch_execz .LBB319_488
; %bb.487:                              ;   in Loop: Header=BB319_404 Depth=1
	v_and_b32_e32 v5, 7, v24
	v_ffbh_u32_e32 v22, v5
	v_min_u32_e32 v22, 32, v22
	v_lshrrev_b32_e32 v16, 3, v6
	v_subrev_u32_e32 v26, 28, v22
	v_sub_u32_e32 v22, 29, v22
	v_cmp_gt_u32_e64 s[6:7], 8, v6
	v_lshlrev_b64 v[26:27], v26, v[24:25]
	v_cndmask_b32_e64 v6, v16, v22, s[6:7]
	v_and_b32_e32 v26, 7, v26
	v_lshlrev_b32_e32 v16, 8, v24
	v_lshl_add_u32 v6, v6, 10, v53
	v_cndmask_b32_e64 v5, v5, v26, s[6:7]
	v_and_or_b32 v6, v16, s19, v6
	v_lshl_or_b32 v5, v5, 7, v6
	v_cvt_f32_f16_e32 v5, v5
.LBB319_488:                            ;   in Loop: Header=BB319_404 Depth=1
	s_or_b64 exec, exec, s[28:29]
.LBB319_489:                            ;   in Loop: Header=BB319_404 Depth=1
	s_or_b64 exec, exec, s[26:27]
.LBB319_490:                            ;   in Loop: Header=BB319_404 Depth=1
	s_or_b64 exec, exec, s[24:25]
	v_lshrrev_b32_e32 v24, 16, v39
	v_cmp_ne_u16_sdwa s[6:7], v24, v25 src0_sel:BYTE_0 src1_sel:DWORD
	v_mov_b32_e32 v6, 0
	v_mov_b32_e32 v22, 0
	s_and_saveexec_b64 s[24:25], s[6:7]
	s_cbranch_execz .LBB319_496
; %bb.491:                              ;   in Loop: Header=BB319_404 Depth=1
	v_cmp_ne_u16_sdwa s[6:7], v24, s9 src0_sel:BYTE_0 src1_sel:DWORD
	v_bfrev_b32_e32 v22, 1
	s_and_saveexec_b64 s[26:27], s[6:7]
	s_cbranch_execz .LBB319_495
; %bb.492:                              ;   in Loop: Header=BB319_404 Depth=1
	v_bfe_u32 v26, v39, 16, 7
	v_cmp_ne_u32_e64 s[6:7], s15, v26
	v_mov_b32_e32 v22, 0x7fc02000
	s_and_saveexec_b64 s[28:29], s[6:7]
	s_cbranch_execz .LBB319_494
; %bb.493:                              ;   in Loop: Header=BB319_404 Depth=1
	v_and_b32_e32 v16, 7, v24
	v_ffbh_u32_e32 v27, v16
	v_min_u32_e32 v27, 32, v27
	v_lshrrev_b32_e32 v22, 3, v26
	v_subrev_u32_e32 v33, 28, v27
	v_sub_u32_e32 v27, 29, v27
	v_cmp_gt_u32_e64 s[6:7], 8, v26
	v_lshlrev_b64 v[48:49], v33, v[24:25]
	v_cndmask_b32_e64 v22, v22, v27, s[6:7]
	v_and_b32_e32 v33, 7, v48
	v_lshlrev_b32_e32 v24, 8, v24
	v_lshl_add_u32 v22, v22, 10, v53
	v_cndmask_b32_e64 v16, v16, v33, s[6:7]
	v_and_or_b32 v22, v24, s19, v22
	v_lshl_or_b32 v16, v16, 7, v22
	v_cvt_f32_f16_e32 v22, v16
.LBB319_494:                            ;   in Loop: Header=BB319_404 Depth=1
	s_or_b64 exec, exec, s[28:29]
.LBB319_495:                            ;   in Loop: Header=BB319_404 Depth=1
	s_or_b64 exec, exec, s[26:27]
.LBB319_496:                            ;   in Loop: Header=BB319_404 Depth=1
	s_or_b64 exec, exec, s[24:25]
	v_cmp_lt_u64_e64 s[6:7], s[12:13], v[38:39]
	s_and_saveexec_b64 s[24:25], s[6:7]
	s_cbranch_execz .LBB319_502
; %bb.497:                              ;   in Loop: Header=BB319_404 Depth=1
	v_lshrrev_b32_e32 v24, 24, v39
	v_cmp_ne_u32_e64 s[6:7], s9, v24
	v_bfrev_b32_e32 v6, 1
	s_and_saveexec_b64 s[26:27], s[6:7]
	s_cbranch_execz .LBB319_501
; %bb.498:                              ;   in Loop: Header=BB319_404 Depth=1
	v_and_b32_e32 v26, 0x7f, v24
	v_cmp_ne_u32_e64 s[6:7], s15, v26
	v_mov_b32_e32 v6, 0x7fc02000
	s_and_saveexec_b64 s[28:29], s[6:7]
	s_cbranch_execz .LBB319_500
; %bb.499:                              ;   in Loop: Header=BB319_404 Depth=1
	v_and_b32_e32 v6, 7, v24
	v_ffbh_u32_e32 v27, v6
	v_min_u32_e32 v27, 32, v27
	v_lshrrev_b32_e32 v16, 3, v26
	v_subrev_u32_e32 v33, 28, v27
	v_sub_u32_e32 v27, 29, v27
	v_cmp_gt_u32_e64 s[6:7], 8, v26
	v_lshlrev_b64 v[38:39], v33, v[24:25]
	v_cndmask_b32_e64 v16, v16, v27, s[6:7]
	v_and_b32_e32 v33, 7, v38
	v_lshlrev_b32_e32 v24, 8, v24
	v_lshl_add_u32 v16, v16, 10, v53
	v_cndmask_b32_e64 v6, v6, v33, s[6:7]
	v_and_or_b32 v16, v24, s19, v16
	v_lshl_or_b32 v6, v6, 7, v16
	v_cvt_f32_f16_e32 v6, v6
.LBB319_500:                            ;   in Loop: Header=BB319_404 Depth=1
	s_or_b64 exec, exec, s[28:29]
.LBB319_501:                            ;   in Loop: Header=BB319_404 Depth=1
	s_or_b64 exec, exec, s[26:27]
.LBB319_502:                            ;   in Loop: Header=BB319_404 Depth=1
	s_or_b64 exec, exec, s[24:25]
	v_pk_mul_f32 v[26:27], v[32:33], v[36:37] op_sel_hi:[0,1]
	v_pk_mul_f32 v[34:35], v[32:33], v[34:35] op_sel_hi:[0,1]
	v_cvt_f16_f32_e32 v16, v27
	v_cvt_f16_f32_e32 v24, v26
	;; [unrolled: 1-line block ×4, first 2 shown]
	v_fma_mixlo_f16 v5, v32, v5, 0
	v_lshlrev_b32_e32 v5, 16, v5
	v_fma_mixlo_f16 v4, v32, v4, 0
	v_or_b32_sdwa v4, v5, v4 dst_sel:DWORD dst_unused:UNUSED_PAD src0_sel:DWORD src1_sel:WORD_0
	v_fma_mixlo_f16 v5, v32, v6, 0
	v_pack_b32_f16 v16, v24, v16
	v_pack_b32_f16 v26, v27, v26
	v_fma_mixlo_f16 v22, v32, v22, 0
	v_lshlrev_b32_e32 v5, 16, v5
	v_perm_b32 v24, v26, v16, s35
	v_perm_b32 v26, v26, v16, s36
	v_or_b32_sdwa v5, v5, v22 dst_sel:DWORD dst_unused:UNUSED_PAD src0_sel:DWORD src1_sel:WORD_0
	s_and_saveexec_b64 s[24:25], s[4:5]
	s_cbranch_execz .LBB319_504
; %bb.503:                              ;   in Loop: Header=BB319_404 Depth=1
	v_add_u32_e32 v6, 1, v7
	v_lshrrev_b32_e32 v16, 16, v26
	v_cmp_lt_i32_e64 s[6:7], v6, v17
	v_accvgpr_read_b32 v32, a8
	v_cndmask_b32_e64 v6, 0, v16, s[6:7]
	v_cmp_lt_i32_e64 s[6:7], v7, v32
	v_cndmask_b32_e64 v16, 0, v26, s[6:7]
	v_perm_b32 v26, v6, v16, s37
	v_or_b32_e32 v6, 3, v7
	v_or_b32_e32 v16, 2, v7
	v_lshrrev_b32_e32 v27, 16, v24
	v_cmp_lt_i32_e64 s[6:7], v6, v17
	v_cndmask_b32_e64 v6, 0, v27, s[6:7]
	v_cmp_lt_i32_e64 s[6:7], v16, v32
	v_cndmask_b32_e64 v16, 0, v24, s[6:7]
	v_perm_b32 v24, v6, v16, s37
	v_or_b32_e32 v6, 5, v7
	v_or_b32_e32 v16, 4, v7
	v_lshrrev_b32_e32 v27, 16, v4
	v_cmp_lt_i32_e64 s[6:7], v6, v17
	;; [unrolled: 8-line block ×3, first 2 shown]
	v_cndmask_b32_e64 v5, 0, v5, s[6:7]
	v_cmp_lt_i32_e64 s[6:7], v16, v32
	v_cndmask_b32_e64 v6, 0, v22, s[6:7]
	v_perm_b32 v5, v5, v6, s37
.LBB319_504:                            ;   in Loop: Header=BB319_404 Depth=1
	s_or_b64 exec, exec, s[24:25]
	;;#ASMSTART
	v_pk_mul_f16 v6, v41, v26;

	;;#ASMEND
	;;#ASMSTART
	v_pk_mul_f16 v16, v40, v24;

	;;#ASMEND
	;; [unrolled: 4-line block ×4, first 2 shown]
	;;#ASMSTART
	v_pk_add_f16 v6, v6, v16;

	;;#ASMEND
	;;#ASMSTART
	v_pk_add_f16 v4, v6, v4;

	;;#ASMEND
	;; [unrolled: 4-line block ×3, first 2 shown]
	v_lshrrev_b32_e32 v5, 16, v4
	v_and_b32_e32 v4, 0xffff, v4
	;;#ASMSTART
	v_cvt_f32_f16 v44, v4;
	;;#ASMEND
	;;#ASMSTART
	v_cvt_f32_f16 v45, v5;
	;;#ASMEND
	v_accvgpr_read_b32 v4, a4
	flat_load_dwordx2 v[38:39], v[30:31] offset:1024
	v_accvgpr_read_b32 v5, a5
	flat_load_dword v32, v[4:5]
	v_mov_b32_e32 v36, 0
	v_mov_b32_e32 v34, 0
	s_waitcnt vmcnt(0) lgkmcnt(0)
	v_cmp_ne_u16_sdwa s[6:7], v38, v25 src0_sel:BYTE_0 src1_sel:DWORD
	s_and_saveexec_b64 s[24:25], s[6:7]
	s_cbranch_execz .LBB319_510
; %bb.505:                              ;   in Loop: Header=BB319_404 Depth=1
	v_cmp_ne_u16_sdwa s[6:7], v38, s9 src0_sel:BYTE_0 src1_sel:DWORD
	v_bfrev_b32_e32 v34, 1
	s_and_saveexec_b64 s[26:27], s[6:7]
	s_cbranch_execz .LBB319_509
; %bb.506:                              ;   in Loop: Header=BB319_404 Depth=1
	v_and_b32_e32 v4, 0x7f, v38
	v_cmp_ne_u32_e64 s[6:7], s15, v4
	v_mov_b32_e32 v34, 0x7fc02000
	s_and_saveexec_b64 s[28:29], s[6:7]
	s_cbranch_execz .LBB319_508
; %bb.507:                              ;   in Loop: Header=BB319_404 Depth=1
	v_and_b32_e32 v5, 7, v38
	v_ffbh_u32_e32 v5, v5
	v_min_u32_e32 v5, 32, v5
	v_subrev_u32_e32 v16, 28, v5
	v_cmp_gt_u32_e64 s[6:7], 8, v4
	v_lshrrev_b32_e32 v6, 3, v4
	v_cndmask_b32_e64 v4, 0, v16, s[6:7]
	v_sub_u32_e32 v22, 29, v5
	v_lshlrev_b64 v[4:5], v4, v[38:39]
	v_cndmask_b32_e64 v5, v6, v22, s[6:7]
	v_lshlrev_b32_e32 v6, 8, v38
	v_lshl_add_u32 v5, v5, 10, v53
	v_lshlrev_b32_e32 v4, 7, v4
	v_and_or_b32 v5, v6, s19, v5
	v_and_or_b32 v4, v4, s34, v5
	v_cvt_f32_f16_e32 v34, v4
.LBB319_508:                            ;   in Loop: Header=BB319_404 Depth=1
	s_or_b64 exec, exec, s[28:29]
.LBB319_509:                            ;   in Loop: Header=BB319_404 Depth=1
	s_or_b64 exec, exec, s[26:27]
.LBB319_510:                            ;   in Loop: Header=BB319_404 Depth=1
	s_or_b64 exec, exec, s[24:25]
	v_lshrrev_b16_e32 v24, 8, v38
	v_cmp_ne_u16_e64 s[6:7], 0, v24
	s_and_saveexec_b64 s[24:25], s[6:7]
	s_cbranch_execz .LBB319_516
; %bb.511:                              ;   in Loop: Header=BB319_404 Depth=1
	v_cmp_ne_u16_e64 s[6:7], s9, v24
	v_bfrev_b32_e32 v36, 1
	s_and_saveexec_b64 s[26:27], s[6:7]
	s_cbranch_execz .LBB319_515
; %bb.512:                              ;   in Loop: Header=BB319_404 Depth=1
	v_and_b32_e32 v4, 0x7f, v24
	v_cmp_ne_u32_e64 s[6:7], s15, v4
	v_mov_b32_e32 v36, 0x7fc02000
	s_and_saveexec_b64 s[28:29], s[6:7]
	s_cbranch_execz .LBB319_514
; %bb.513:                              ;   in Loop: Header=BB319_404 Depth=1
	v_and_b32_e32 v5, 7, v24
	v_ffbh_u32_e32 v16, v5
	v_min_u32_e32 v16, 32, v16
	v_lshrrev_b32_e32 v6, 3, v4
	v_subrev_u32_e32 v22, 28, v16
	v_sub_u32_e32 v16, 29, v16
	v_cmp_gt_u32_e64 s[6:7], 8, v4
	v_lshlrev_b64 v[26:27], v22, v[24:25]
	v_cndmask_b32_e64 v4, v6, v16, s[6:7]
	v_and_b32_e32 v22, 7, v26
	v_lshlrev_b32_e32 v6, 8, v24
	v_lshl_add_u32 v4, v4, 10, v53
	v_cndmask_b32_e64 v5, v5, v22, s[6:7]
	v_and_or_b32 v4, v6, s19, v4
	v_lshl_or_b32 v4, v5, 7, v4
	v_cvt_f32_f16_e32 v36, v4
.LBB319_514:                            ;   in Loop: Header=BB319_404 Depth=1
	s_or_b64 exec, exec, s[28:29]
.LBB319_515:                            ;   in Loop: Header=BB319_404 Depth=1
	s_or_b64 exec, exec, s[26:27]
.LBB319_516:                            ;   in Loop: Header=BB319_404 Depth=1
	s_or_b64 exec, exec, s[24:25]
	v_lshrrev_b32_e32 v24, 16, v38
	v_cmp_ne_u16_sdwa s[6:7], v24, v25 src0_sel:BYTE_0 src1_sel:DWORD
	v_mov_b32_e32 v37, 0
	v_mov_b32_e32 v35, 0
	s_and_saveexec_b64 s[24:25], s[6:7]
	s_cbranch_execz .LBB319_522
; %bb.517:                              ;   in Loop: Header=BB319_404 Depth=1
	v_cmp_ne_u16_sdwa s[6:7], v24, s9 src0_sel:BYTE_0 src1_sel:DWORD
	v_bfrev_b32_e32 v35, 1
	s_and_saveexec_b64 s[26:27], s[6:7]
	s_cbranch_execz .LBB319_521
; %bb.518:                              ;   in Loop: Header=BB319_404 Depth=1
	v_bfe_u32 v4, v38, 16, 7
	v_cmp_ne_u32_e64 s[6:7], s15, v4
	v_mov_b32_e32 v35, 0x7fc02000
	s_and_saveexec_b64 s[28:29], s[6:7]
	s_cbranch_execz .LBB319_520
; %bb.519:                              ;   in Loop: Header=BB319_404 Depth=1
	v_and_b32_e32 v5, 7, v24
	v_ffbh_u32_e32 v16, v5
	v_min_u32_e32 v16, 32, v16
	v_lshrrev_b32_e32 v6, 3, v4
	v_subrev_u32_e32 v22, 28, v16
	v_sub_u32_e32 v16, 29, v16
	v_cmp_gt_u32_e64 s[6:7], 8, v4
	v_lshlrev_b64 v[26:27], v22, v[24:25]
	v_cndmask_b32_e64 v4, v6, v16, s[6:7]
	v_and_b32_e32 v22, 7, v26
	v_lshlrev_b32_e32 v6, 8, v24
	v_lshl_add_u32 v4, v4, 10, v53
	v_cndmask_b32_e64 v5, v5, v22, s[6:7]
	v_and_or_b32 v4, v6, s19, v4
	v_lshl_or_b32 v4, v5, 7, v4
	v_cvt_f32_f16_e32 v35, v4
.LBB319_520:                            ;   in Loop: Header=BB319_404 Depth=1
	s_or_b64 exec, exec, s[28:29]
.LBB319_521:                            ;   in Loop: Header=BB319_404 Depth=1
	s_or_b64 exec, exec, s[26:27]
.LBB319_522:                            ;   in Loop: Header=BB319_404 Depth=1
	s_or_b64 exec, exec, s[24:25]
	v_cmp_lt_u32_e64 s[6:7], s13, v38
	s_and_saveexec_b64 s[24:25], s[6:7]
	s_cbranch_execz .LBB319_528
; %bb.523:                              ;   in Loop: Header=BB319_404 Depth=1
	v_lshrrev_b32_e32 v24, 24, v38
	v_cmp_ne_u32_e64 s[6:7], s9, v24
	v_bfrev_b32_e32 v37, 1
	s_and_saveexec_b64 s[26:27], s[6:7]
	s_cbranch_execz .LBB319_527
; %bb.524:                              ;   in Loop: Header=BB319_404 Depth=1
	v_and_b32_e32 v4, 0x7f, v24
	v_cmp_ne_u32_e64 s[6:7], s15, v4
	v_mov_b32_e32 v37, 0x7fc02000
	s_and_saveexec_b64 s[28:29], s[6:7]
	s_cbranch_execz .LBB319_526
; %bb.525:                              ;   in Loop: Header=BB319_404 Depth=1
	v_and_b32_e32 v5, 7, v24
	v_ffbh_u32_e32 v16, v5
	v_min_u32_e32 v16, 32, v16
	v_lshrrev_b32_e32 v6, 3, v4
	v_subrev_u32_e32 v22, 28, v16
	v_sub_u32_e32 v16, 29, v16
	v_cmp_gt_u32_e64 s[6:7], 8, v4
	v_lshlrev_b64 v[26:27], v22, v[24:25]
	v_cndmask_b32_e64 v4, v6, v16, s[6:7]
	v_and_b32_e32 v22, 7, v26
	v_lshlrev_b32_e32 v6, 8, v24
	v_lshl_add_u32 v4, v4, 10, v53
	v_cndmask_b32_e64 v5, v5, v22, s[6:7]
	v_and_or_b32 v4, v6, s19, v4
	v_lshl_or_b32 v4, v5, 7, v4
	v_cvt_f32_f16_e32 v37, v4
.LBB319_526:                            ;   in Loop: Header=BB319_404 Depth=1
	s_or_b64 exec, exec, s[28:29]
.LBB319_527:                            ;   in Loop: Header=BB319_404 Depth=1
	s_or_b64 exec, exec, s[26:27]
.LBB319_528:                            ;   in Loop: Header=BB319_404 Depth=1
	s_or_b64 exec, exec, s[24:25]
	v_mov_b32_e32 v24, v39
	v_cmp_ne_u16_sdwa s[6:7], v39, v25 src0_sel:BYTE_0 src1_sel:DWORD
	v_mov_b32_e32 v5, 0
	v_mov_b32_e32 v4, 0
	s_and_saveexec_b64 s[24:25], s[6:7]
	s_cbranch_execz .LBB319_534
; %bb.529:                              ;   in Loop: Header=BB319_404 Depth=1
	v_cmp_ne_u16_sdwa s[6:7], v39, s9 src0_sel:BYTE_0 src1_sel:DWORD
	v_bfrev_b32_e32 v4, 1
	s_and_saveexec_b64 s[26:27], s[6:7]
	s_cbranch_execz .LBB319_533
; %bb.530:                              ;   in Loop: Header=BB319_404 Depth=1
	v_and_b32_e32 v6, 0x7f, v39
	v_cmp_ne_u32_e64 s[6:7], s15, v6
	v_mov_b32_e32 v4, 0x7fc02000
	s_and_saveexec_b64 s[28:29], s[6:7]
	s_cbranch_execz .LBB319_532
; %bb.531:                              ;   in Loop: Header=BB319_404 Depth=1
	v_and_b32_e32 v4, 7, v39
	v_ffbh_u32_e32 v4, v4
	v_min_u32_e32 v4, 32, v4
	v_lshrrev_b32_e32 v16, 3, v6
	v_subrev_u32_e32 v22, 28, v4
	v_sub_u32_e32 v4, 29, v4
	v_cmp_gt_u32_e64 s[6:7], 8, v6
	v_cndmask_b32_e64 v6, 0, v22, s[6:7]
	v_cndmask_b32_e64 v4, v16, v4, s[6:7]
	v_lshlrev_b64 v[26:27], v6, v[24:25]
	v_lshlrev_b32_e32 v16, 8, v39
	v_lshl_add_u32 v4, v4, 10, v53
	v_lshlrev_b32_e32 v6, 7, v26
	v_and_or_b32 v4, v16, s19, v4
	v_and_or_b32 v4, v6, s34, v4
	v_cvt_f32_f16_e32 v4, v4
.LBB319_532:                            ;   in Loop: Header=BB319_404 Depth=1
	s_or_b64 exec, exec, s[28:29]
.LBB319_533:                            ;   in Loop: Header=BB319_404 Depth=1
	s_or_b64 exec, exec, s[26:27]
.LBB319_534:                            ;   in Loop: Header=BB319_404 Depth=1
	s_or_b64 exec, exec, s[24:25]
	v_lshrrev_b16_e32 v24, 8, v24
	v_cmp_ne_u16_e64 s[6:7], 0, v24
	s_and_saveexec_b64 s[24:25], s[6:7]
	s_cbranch_execz .LBB319_540
; %bb.535:                              ;   in Loop: Header=BB319_404 Depth=1
	v_cmp_ne_u16_e64 s[6:7], s9, v24
	v_bfrev_b32_e32 v5, 1
	s_and_saveexec_b64 s[26:27], s[6:7]
	s_cbranch_execz .LBB319_539
; %bb.536:                              ;   in Loop: Header=BB319_404 Depth=1
	v_and_b32_e32 v6, 0x7f, v24
	v_cmp_ne_u32_e64 s[6:7], s15, v6
	v_mov_b32_e32 v5, 0x7fc02000
	s_and_saveexec_b64 s[28:29], s[6:7]
	s_cbranch_execz .LBB319_538
; %bb.537:                              ;   in Loop: Header=BB319_404 Depth=1
	v_and_b32_e32 v5, 7, v24
	v_ffbh_u32_e32 v22, v5
	v_min_u32_e32 v22, 32, v22
	v_lshrrev_b32_e32 v16, 3, v6
	v_subrev_u32_e32 v26, 28, v22
	v_sub_u32_e32 v22, 29, v22
	v_cmp_gt_u32_e64 s[6:7], 8, v6
	v_lshlrev_b64 v[26:27], v26, v[24:25]
	v_cndmask_b32_e64 v6, v16, v22, s[6:7]
	v_and_b32_e32 v26, 7, v26
	v_lshlrev_b32_e32 v16, 8, v24
	v_lshl_add_u32 v6, v6, 10, v53
	v_cndmask_b32_e64 v5, v5, v26, s[6:7]
	v_and_or_b32 v6, v16, s19, v6
	v_lshl_or_b32 v5, v5, 7, v6
	v_cvt_f32_f16_e32 v5, v5
.LBB319_538:                            ;   in Loop: Header=BB319_404 Depth=1
	s_or_b64 exec, exec, s[28:29]
.LBB319_539:                            ;   in Loop: Header=BB319_404 Depth=1
	s_or_b64 exec, exec, s[26:27]
.LBB319_540:                            ;   in Loop: Header=BB319_404 Depth=1
	s_or_b64 exec, exec, s[24:25]
	v_lshrrev_b32_e32 v24, 16, v39
	v_cmp_ne_u16_sdwa s[6:7], v24, v25 src0_sel:BYTE_0 src1_sel:DWORD
	v_mov_b32_e32 v6, 0
	v_mov_b32_e32 v22, 0
	s_and_saveexec_b64 s[24:25], s[6:7]
	s_cbranch_execz .LBB319_546
; %bb.541:                              ;   in Loop: Header=BB319_404 Depth=1
	v_cmp_ne_u16_sdwa s[6:7], v24, s9 src0_sel:BYTE_0 src1_sel:DWORD
	v_bfrev_b32_e32 v22, 1
	s_and_saveexec_b64 s[26:27], s[6:7]
	s_cbranch_execz .LBB319_545
; %bb.542:                              ;   in Loop: Header=BB319_404 Depth=1
	v_bfe_u32 v26, v39, 16, 7
	v_cmp_ne_u32_e64 s[6:7], s15, v26
	v_mov_b32_e32 v22, 0x7fc02000
	s_and_saveexec_b64 s[28:29], s[6:7]
	s_cbranch_execz .LBB319_544
; %bb.543:                              ;   in Loop: Header=BB319_404 Depth=1
	v_and_b32_e32 v16, 7, v24
	v_ffbh_u32_e32 v27, v16
	v_min_u32_e32 v27, 32, v27
	v_lshrrev_b32_e32 v22, 3, v26
	v_subrev_u32_e32 v33, 28, v27
	v_sub_u32_e32 v27, 29, v27
	v_cmp_gt_u32_e64 s[6:7], 8, v26
	v_lshlrev_b64 v[48:49], v33, v[24:25]
	v_cndmask_b32_e64 v22, v22, v27, s[6:7]
	v_and_b32_e32 v33, 7, v48
	v_lshlrev_b32_e32 v24, 8, v24
	v_lshl_add_u32 v22, v22, 10, v53
	v_cndmask_b32_e64 v16, v16, v33, s[6:7]
	v_and_or_b32 v22, v24, s19, v22
	v_lshl_or_b32 v16, v16, 7, v22
	v_cvt_f32_f16_e32 v22, v16
.LBB319_544:                            ;   in Loop: Header=BB319_404 Depth=1
	s_or_b64 exec, exec, s[28:29]
.LBB319_545:                            ;   in Loop: Header=BB319_404 Depth=1
	s_or_b64 exec, exec, s[26:27]
.LBB319_546:                            ;   in Loop: Header=BB319_404 Depth=1
	s_or_b64 exec, exec, s[24:25]
	v_cmp_lt_u64_e64 s[6:7], s[12:13], v[38:39]
	s_and_saveexec_b64 s[24:25], s[6:7]
	s_cbranch_execz .LBB319_552
; %bb.547:                              ;   in Loop: Header=BB319_404 Depth=1
	v_lshrrev_b32_e32 v24, 24, v39
	v_cmp_ne_u32_e64 s[6:7], s9, v24
	v_bfrev_b32_e32 v6, 1
	s_and_saveexec_b64 s[26:27], s[6:7]
	s_cbranch_execz .LBB319_551
; %bb.548:                              ;   in Loop: Header=BB319_404 Depth=1
	v_and_b32_e32 v26, 0x7f, v24
	v_cmp_ne_u32_e64 s[6:7], s15, v26
	v_mov_b32_e32 v6, 0x7fc02000
	s_and_saveexec_b64 s[28:29], s[6:7]
	s_cbranch_execz .LBB319_550
; %bb.549:                              ;   in Loop: Header=BB319_404 Depth=1
	v_and_b32_e32 v6, 7, v24
	v_ffbh_u32_e32 v27, v6
	v_min_u32_e32 v27, 32, v27
	v_lshrrev_b32_e32 v16, 3, v26
	v_subrev_u32_e32 v33, 28, v27
	v_sub_u32_e32 v27, 29, v27
	v_cmp_gt_u32_e64 s[6:7], 8, v26
	v_lshlrev_b64 v[38:39], v33, v[24:25]
	v_cndmask_b32_e64 v16, v16, v27, s[6:7]
	v_and_b32_e32 v33, 7, v38
	v_lshlrev_b32_e32 v24, 8, v24
	v_lshl_add_u32 v16, v16, 10, v53
	v_cndmask_b32_e64 v6, v6, v33, s[6:7]
	v_and_or_b32 v16, v24, s19, v16
	v_lshl_or_b32 v6, v6, 7, v16
	v_cvt_f32_f16_e32 v6, v6
.LBB319_550:                            ;   in Loop: Header=BB319_404 Depth=1
	s_or_b64 exec, exec, s[28:29]
.LBB319_551:                            ;   in Loop: Header=BB319_404 Depth=1
	s_or_b64 exec, exec, s[26:27]
.LBB319_552:                            ;   in Loop: Header=BB319_404 Depth=1
	s_or_b64 exec, exec, s[24:25]
	v_pk_mul_f32 v[26:27], v[32:33], v[36:37] op_sel_hi:[0,1]
	v_pk_mul_f32 v[34:35], v[32:33], v[34:35] op_sel_hi:[0,1]
	v_cvt_f16_f32_e32 v16, v27
	v_cvt_f16_f32_e32 v24, v26
	;; [unrolled: 1-line block ×4, first 2 shown]
	v_fma_mixlo_f16 v5, v32, v5, 0
	v_lshlrev_b32_e32 v5, 16, v5
	v_fma_mixlo_f16 v4, v32, v4, 0
	v_or_b32_sdwa v4, v5, v4 dst_sel:DWORD dst_unused:UNUSED_PAD src0_sel:DWORD src1_sel:WORD_0
	v_fma_mixlo_f16 v5, v32, v6, 0
	v_pack_b32_f16 v16, v24, v16
	v_pack_b32_f16 v26, v27, v26
	v_fma_mixlo_f16 v22, v32, v22, 0
	v_lshlrev_b32_e32 v5, 16, v5
	v_perm_b32 v24, v26, v16, s35
	v_perm_b32 v26, v26, v16, s36
	v_or_b32_sdwa v5, v5, v22 dst_sel:DWORD dst_unused:UNUSED_PAD src0_sel:DWORD src1_sel:WORD_0
	s_and_saveexec_b64 s[24:25], s[4:5]
	s_cbranch_execz .LBB319_554
; %bb.553:                              ;   in Loop: Header=BB319_404 Depth=1
	v_add_u32_e32 v6, 1, v7
	v_lshrrev_b32_e32 v16, 16, v26
	v_cmp_lt_i32_e64 s[6:7], v6, v17
	v_accvgpr_read_b32 v32, a8
	v_cndmask_b32_e64 v6, 0, v16, s[6:7]
	v_cmp_lt_i32_e64 s[6:7], v7, v32
	v_cndmask_b32_e64 v16, 0, v26, s[6:7]
	v_perm_b32 v26, v6, v16, s37
	v_or_b32_e32 v6, 3, v7
	v_or_b32_e32 v16, 2, v7
	v_lshrrev_b32_e32 v27, 16, v24
	v_cmp_lt_i32_e64 s[6:7], v6, v17
	v_cndmask_b32_e64 v6, 0, v27, s[6:7]
	v_cmp_lt_i32_e64 s[6:7], v16, v32
	v_cndmask_b32_e64 v16, 0, v24, s[6:7]
	v_perm_b32 v24, v6, v16, s37
	v_or_b32_e32 v6, 5, v7
	v_or_b32_e32 v16, 4, v7
	v_lshrrev_b32_e32 v27, 16, v4
	v_cmp_lt_i32_e64 s[6:7], v6, v17
	;; [unrolled: 8-line block ×3, first 2 shown]
	v_cndmask_b32_e64 v5, 0, v5, s[6:7]
	v_cmp_lt_i32_e64 s[6:7], v16, v32
	v_cndmask_b32_e64 v6, 0, v22, s[6:7]
	v_perm_b32 v5, v5, v6, s37
.LBB319_554:                            ;   in Loop: Header=BB319_404 Depth=1
	s_or_b64 exec, exec, s[24:25]
	;;#ASMSTART
	v_pk_mul_f16 v6, v41, v26;

	;;#ASMEND
	;;#ASMSTART
	v_pk_mul_f16 v16, v40, v24;

	;;#ASMEND
	;; [unrolled: 4-line block ×4, first 2 shown]
	;;#ASMSTART
	v_pk_add_f16 v6, v6, v16;

	;;#ASMEND
	;;#ASMSTART
	v_pk_add_f16 v4, v6, v4;

	;;#ASMEND
	;; [unrolled: 4-line block ×3, first 2 shown]
	v_lshrrev_b32_e32 v5, 16, v4
	v_and_b32_e32 v4, 0xffff, v4
	v_accvgpr_read_b32 v27, a5
	;;#ASMSTART
	v_cvt_f32_f16 v4, v4;
	;;#ASMEND
	;;#ASMSTART
	v_cvt_f32_f16 v5, v5;
	;;#ASMEND
	flat_load_dwordx2 v[38:39], v[30:31] offset:1536
	v_accvgpr_read_b32 v26, a4
	flat_load_dword v32, v[26:27]
	v_mov_b32_e32 v36, 0
	v_mov_b32_e32 v34, 0
	s_waitcnt vmcnt(0) lgkmcnt(0)
	v_cmp_ne_u16_sdwa s[6:7], v38, v25 src0_sel:BYTE_0 src1_sel:DWORD
	s_and_saveexec_b64 s[24:25], s[6:7]
	s_cbranch_execz .LBB319_560
; %bb.555:                              ;   in Loop: Header=BB319_404 Depth=1
	v_cmp_ne_u16_sdwa s[6:7], v38, s9 src0_sel:BYTE_0 src1_sel:DWORD
	v_bfrev_b32_e32 v34, 1
	s_and_saveexec_b64 s[26:27], s[6:7]
	s_cbranch_execz .LBB319_559
; %bb.556:                              ;   in Loop: Header=BB319_404 Depth=1
	v_and_b32_e32 v6, 0x7f, v38
	v_cmp_ne_u32_e64 s[6:7], s15, v6
	v_mov_b32_e32 v34, 0x7fc02000
	s_and_saveexec_b64 s[28:29], s[6:7]
	s_cbranch_execz .LBB319_558
; %bb.557:                              ;   in Loop: Header=BB319_404 Depth=1
	v_and_b32_e32 v16, 7, v38
	v_ffbh_u32_e32 v16, v16
	v_min_u32_e32 v16, 32, v16
	v_subrev_u32_e32 v24, 28, v16
	v_cmp_gt_u32_e64 s[6:7], 8, v6
	v_lshrrev_b32_e32 v22, 3, v6
	v_sub_u32_e32 v16, 29, v16
	v_cndmask_b32_e64 v6, 0, v24, s[6:7]
	v_lshlrev_b64 v[26:27], v6, v[38:39]
	v_cndmask_b32_e64 v6, v22, v16, s[6:7]
	v_lshlrev_b32_e32 v22, 8, v38
	v_lshl_add_u32 v6, v6, 10, v53
	v_lshlrev_b32_e32 v16, 7, v26
	v_and_or_b32 v6, v22, s19, v6
	v_and_or_b32 v6, v16, s34, v6
	v_cvt_f32_f16_e32 v34, v6
.LBB319_558:                            ;   in Loop: Header=BB319_404 Depth=1
	s_or_b64 exec, exec, s[28:29]
.LBB319_559:                            ;   in Loop: Header=BB319_404 Depth=1
	s_or_b64 exec, exec, s[26:27]
.LBB319_560:                            ;   in Loop: Header=BB319_404 Depth=1
	s_or_b64 exec, exec, s[24:25]
	v_lshrrev_b16_e32 v24, 8, v38
	v_cmp_ne_u16_e64 s[6:7], 0, v24
	s_and_saveexec_b64 s[24:25], s[6:7]
	s_cbranch_execz .LBB319_566
; %bb.561:                              ;   in Loop: Header=BB319_404 Depth=1
	v_cmp_ne_u16_e64 s[6:7], s9, v24
	v_bfrev_b32_e32 v36, 1
	s_and_saveexec_b64 s[26:27], s[6:7]
	s_cbranch_execz .LBB319_565
; %bb.562:                              ;   in Loop: Header=BB319_404 Depth=1
	v_and_b32_e32 v6, 0x7f, v24
	v_cmp_ne_u32_e64 s[6:7], s15, v6
	v_mov_b32_e32 v36, 0x7fc02000
	s_and_saveexec_b64 s[28:29], s[6:7]
	s_cbranch_execz .LBB319_564
; %bb.563:                              ;   in Loop: Header=BB319_404 Depth=1
	v_and_b32_e32 v16, 7, v24
	v_ffbh_u32_e32 v26, v16
	v_min_u32_e32 v33, 32, v26
	v_subrev_u32_e32 v26, 28, v33
	v_lshlrev_b64 v[26:27], v26, v[24:25]
	v_lshrrev_b32_e32 v22, 3, v6
	v_sub_u32_e32 v27, 29, v33
	v_cmp_gt_u32_e64 s[6:7], 8, v6
	v_cndmask_b32_e64 v6, v22, v27, s[6:7]
	v_and_b32_e32 v26, 7, v26
	v_lshlrev_b32_e32 v22, 8, v24
	v_lshl_add_u32 v6, v6, 10, v53
	v_cndmask_b32_e64 v16, v16, v26, s[6:7]
	v_and_or_b32 v6, v22, s19, v6
	v_lshl_or_b32 v6, v16, 7, v6
	v_cvt_f32_f16_e32 v36, v6
.LBB319_564:                            ;   in Loop: Header=BB319_404 Depth=1
	s_or_b64 exec, exec, s[28:29]
.LBB319_565:                            ;   in Loop: Header=BB319_404 Depth=1
	s_or_b64 exec, exec, s[26:27]
.LBB319_566:                            ;   in Loop: Header=BB319_404 Depth=1
	s_or_b64 exec, exec, s[24:25]
	v_lshrrev_b32_e32 v24, 16, v38
	v_cmp_ne_u16_sdwa s[6:7], v24, v25 src0_sel:BYTE_0 src1_sel:DWORD
	v_mov_b32_e32 v37, 0
	v_mov_b32_e32 v35, 0
	s_and_saveexec_b64 s[24:25], s[6:7]
	s_cbranch_execz .LBB319_572
; %bb.567:                              ;   in Loop: Header=BB319_404 Depth=1
	v_cmp_ne_u16_sdwa s[6:7], v24, s9 src0_sel:BYTE_0 src1_sel:DWORD
	v_bfrev_b32_e32 v35, 1
	s_and_saveexec_b64 s[26:27], s[6:7]
	s_cbranch_execz .LBB319_571
; %bb.568:                              ;   in Loop: Header=BB319_404 Depth=1
	v_bfe_u32 v6, v38, 16, 7
	v_cmp_ne_u32_e64 s[6:7], s15, v6
	v_mov_b32_e32 v35, 0x7fc02000
	s_and_saveexec_b64 s[28:29], s[6:7]
	s_cbranch_execz .LBB319_570
; %bb.569:                              ;   in Loop: Header=BB319_404 Depth=1
	v_and_b32_e32 v16, 7, v24
	v_ffbh_u32_e32 v26, v16
	v_min_u32_e32 v33, 32, v26
	v_subrev_u32_e32 v26, 28, v33
	v_lshlrev_b64 v[26:27], v26, v[24:25]
	v_lshrrev_b32_e32 v22, 3, v6
	v_sub_u32_e32 v27, 29, v33
	v_cmp_gt_u32_e64 s[6:7], 8, v6
	v_cndmask_b32_e64 v6, v22, v27, s[6:7]
	v_and_b32_e32 v26, 7, v26
	v_lshlrev_b32_e32 v22, 8, v24
	v_lshl_add_u32 v6, v6, 10, v53
	v_cndmask_b32_e64 v16, v16, v26, s[6:7]
	v_and_or_b32 v6, v22, s19, v6
	v_lshl_or_b32 v6, v16, 7, v6
	v_cvt_f32_f16_e32 v35, v6
.LBB319_570:                            ;   in Loop: Header=BB319_404 Depth=1
	s_or_b64 exec, exec, s[28:29]
.LBB319_571:                            ;   in Loop: Header=BB319_404 Depth=1
	s_or_b64 exec, exec, s[26:27]
.LBB319_572:                            ;   in Loop: Header=BB319_404 Depth=1
	s_or_b64 exec, exec, s[24:25]
	v_cmp_lt_u32_e64 s[6:7], s13, v38
	s_and_saveexec_b64 s[24:25], s[6:7]
	s_cbranch_execz .LBB319_578
; %bb.573:                              ;   in Loop: Header=BB319_404 Depth=1
	v_lshrrev_b32_e32 v24, 24, v38
	v_cmp_ne_u32_e64 s[6:7], s9, v24
	v_bfrev_b32_e32 v37, 1
	s_and_saveexec_b64 s[26:27], s[6:7]
	s_cbranch_execz .LBB319_577
; %bb.574:                              ;   in Loop: Header=BB319_404 Depth=1
	v_and_b32_e32 v6, 0x7f, v24
	v_cmp_ne_u32_e64 s[6:7], s15, v6
	v_mov_b32_e32 v37, 0x7fc02000
	s_and_saveexec_b64 s[28:29], s[6:7]
	s_cbranch_execz .LBB319_576
; %bb.575:                              ;   in Loop: Header=BB319_404 Depth=1
	v_and_b32_e32 v16, 7, v24
	v_ffbh_u32_e32 v26, v16
	v_min_u32_e32 v33, 32, v26
	v_subrev_u32_e32 v26, 28, v33
	v_lshlrev_b64 v[26:27], v26, v[24:25]
	v_lshrrev_b32_e32 v22, 3, v6
	v_sub_u32_e32 v27, 29, v33
	v_cmp_gt_u32_e64 s[6:7], 8, v6
	v_cndmask_b32_e64 v6, v22, v27, s[6:7]
	v_and_b32_e32 v26, 7, v26
	v_lshlrev_b32_e32 v22, 8, v24
	v_lshl_add_u32 v6, v6, 10, v53
	v_cndmask_b32_e64 v16, v16, v26, s[6:7]
	v_and_or_b32 v6, v22, s19, v6
	v_lshl_or_b32 v6, v16, 7, v6
	v_cvt_f32_f16_e32 v37, v6
.LBB319_576:                            ;   in Loop: Header=BB319_404 Depth=1
	s_or_b64 exec, exec, s[28:29]
.LBB319_577:                            ;   in Loop: Header=BB319_404 Depth=1
	s_or_b64 exec, exec, s[26:27]
.LBB319_578:                            ;   in Loop: Header=BB319_404 Depth=1
	s_or_b64 exec, exec, s[24:25]
	v_mov_b32_e32 v24, v39
	v_cmp_ne_u16_sdwa s[6:7], v39, v25 src0_sel:BYTE_0 src1_sel:DWORD
	v_mov_b32_e32 v22, 0
	v_mov_b32_e32 v6, 0
	s_and_saveexec_b64 s[24:25], s[6:7]
	s_cbranch_execz .LBB319_584
; %bb.579:                              ;   in Loop: Header=BB319_404 Depth=1
	v_cmp_ne_u16_sdwa s[6:7], v39, s9 src0_sel:BYTE_0 src1_sel:DWORD
	v_bfrev_b32_e32 v6, 1
	s_and_saveexec_b64 s[26:27], s[6:7]
	s_cbranch_execz .LBB319_583
; %bb.580:                              ;   in Loop: Header=BB319_404 Depth=1
	v_and_b32_e32 v26, 0x7f, v39
	v_cmp_ne_u32_e64 s[6:7], s15, v26
	v_mov_b32_e32 v6, 0x7fc02000
	s_and_saveexec_b64 s[28:29], s[6:7]
	s_cbranch_execz .LBB319_582
; %bb.581:                              ;   in Loop: Header=BB319_404 Depth=1
	v_and_b32_e32 v6, 7, v39
	v_ffbh_u32_e32 v6, v6
	v_min_u32_e32 v6, 32, v6
	v_subrev_u32_e32 v27, 28, v6
	v_cmp_gt_u32_e64 s[6:7], 8, v26
	v_lshrrev_b32_e32 v16, 3, v26
	v_sub_u32_e32 v6, 29, v6
	v_cndmask_b32_e64 v26, 0, v27, s[6:7]
	v_lshlrev_b64 v[26:27], v26, v[24:25]
	v_cndmask_b32_e64 v6, v16, v6, s[6:7]
	v_lshlrev_b32_e32 v16, 7, v26
	v_lshlrev_b32_e32 v26, 8, v39
	v_lshl_add_u32 v6, v6, 10, v53
	v_and_or_b32 v6, v26, s19, v6
	v_and_or_b32 v6, v16, s34, v6
	v_cvt_f32_f16_e32 v6, v6
.LBB319_582:                            ;   in Loop: Header=BB319_404 Depth=1
	s_or_b64 exec, exec, s[28:29]
.LBB319_583:                            ;   in Loop: Header=BB319_404 Depth=1
	s_or_b64 exec, exec, s[26:27]
.LBB319_584:                            ;   in Loop: Header=BB319_404 Depth=1
	s_or_b64 exec, exec, s[24:25]
	v_lshrrev_b16_e32 v24, 8, v24
	v_cmp_ne_u16_e64 s[6:7], 0, v24
	s_and_saveexec_b64 s[24:25], s[6:7]
	s_cbranch_execz .LBB319_590
; %bb.585:                              ;   in Loop: Header=BB319_404 Depth=1
	v_cmp_ne_u16_e64 s[6:7], s9, v24
	v_bfrev_b32_e32 v22, 1
	s_and_saveexec_b64 s[26:27], s[6:7]
	s_cbranch_execz .LBB319_589
; %bb.586:                              ;   in Loop: Header=BB319_404 Depth=1
	v_and_b32_e32 v26, 0x7f, v24
	v_cmp_ne_u32_e64 s[6:7], s15, v26
	v_mov_b32_e32 v22, 0x7fc02000
	s_and_saveexec_b64 s[28:29], s[6:7]
	s_cbranch_execz .LBB319_588
; %bb.587:                              ;   in Loop: Header=BB319_404 Depth=1
	v_and_b32_e32 v16, 7, v24
	v_ffbh_u32_e32 v27, v16
	v_min_u32_e32 v27, 32, v27
	v_lshrrev_b32_e32 v22, 3, v26
	v_subrev_u32_e32 v33, 28, v27
	v_sub_u32_e32 v27, 29, v27
	v_cmp_gt_u32_e64 s[6:7], 8, v26
	v_lshlrev_b64 v[48:49], v33, v[24:25]
	v_cndmask_b32_e64 v22, v22, v27, s[6:7]
	v_and_b32_e32 v33, 7, v48
	v_lshlrev_b32_e32 v24, 8, v24
	v_lshl_add_u32 v22, v22, 10, v53
	v_cndmask_b32_e64 v16, v16, v33, s[6:7]
	v_and_or_b32 v22, v24, s19, v22
	v_lshl_or_b32 v16, v16, 7, v22
	v_cvt_f32_f16_e32 v22, v16
.LBB319_588:                            ;   in Loop: Header=BB319_404 Depth=1
	s_or_b64 exec, exec, s[28:29]
.LBB319_589:                            ;   in Loop: Header=BB319_404 Depth=1
	s_or_b64 exec, exec, s[26:27]
.LBB319_590:                            ;   in Loop: Header=BB319_404 Depth=1
	s_or_b64 exec, exec, s[24:25]
	v_lshrrev_b32_e32 v24, 16, v39
	v_cmp_ne_u16_sdwa s[6:7], v24, v25 src0_sel:BYTE_0 src1_sel:DWORD
	v_mov_b32_e32 v26, 0
	v_mov_b32_e32 v27, 0
	s_and_saveexec_b64 s[24:25], s[6:7]
	s_cbranch_execz .LBB319_596
; %bb.591:                              ;   in Loop: Header=BB319_404 Depth=1
	v_cmp_ne_u16_sdwa s[6:7], v24, s9 src0_sel:BYTE_0 src1_sel:DWORD
	v_bfrev_b32_e32 v27, 1
	s_and_saveexec_b64 s[26:27], s[6:7]
	s_cbranch_execz .LBB319_595
; %bb.592:                              ;   in Loop: Header=BB319_404 Depth=1
	v_bfe_u32 v33, v39, 16, 7
	v_cmp_ne_u32_e64 s[6:7], s15, v33
	v_mov_b32_e32 v27, 0x7fc02000
	s_and_saveexec_b64 s[28:29], s[6:7]
	s_cbranch_execz .LBB319_594
; %bb.593:                              ;   in Loop: Header=BB319_404 Depth=1
	v_and_b32_e32 v16, 7, v24
	v_ffbh_u32_e32 v48, v16
	v_min_u32_e32 v46, 32, v48
	v_subrev_u32_e32 v48, 28, v46
	v_lshlrev_b64 v[48:49], v48, v[24:25]
	v_lshrrev_b32_e32 v27, 3, v33
	v_sub_u32_e32 v49, 29, v46
	v_cmp_gt_u32_e64 s[6:7], 8, v33
	v_cndmask_b32_e64 v27, v27, v49, s[6:7]
	v_and_b32_e32 v48, 7, v48
	v_lshlrev_b32_e32 v24, 8, v24
	v_lshl_add_u32 v27, v27, 10, v53
	v_cndmask_b32_e64 v16, v16, v48, s[6:7]
	v_and_or_b32 v24, v24, s19, v27
	v_lshl_or_b32 v16, v16, 7, v24
	v_cvt_f32_f16_e32 v27, v16
.LBB319_594:                            ;   in Loop: Header=BB319_404 Depth=1
	s_or_b64 exec, exec, s[28:29]
.LBB319_595:                            ;   in Loop: Header=BB319_404 Depth=1
	s_or_b64 exec, exec, s[26:27]
.LBB319_596:                            ;   in Loop: Header=BB319_404 Depth=1
	s_or_b64 exec, exec, s[24:25]
	v_cmp_lt_u64_e64 s[6:7], s[12:13], v[38:39]
	s_and_saveexec_b64 s[24:25], s[6:7]
	s_cbranch_execz .LBB319_602
; %bb.597:                              ;   in Loop: Header=BB319_404 Depth=1
	v_lshrrev_b32_e32 v24, 24, v39
	v_cmp_ne_u32_e64 s[6:7], s9, v24
	v_bfrev_b32_e32 v26, 1
	s_and_saveexec_b64 s[26:27], s[6:7]
	s_cbranch_execz .LBB319_601
; %bb.598:                              ;   in Loop: Header=BB319_404 Depth=1
	v_and_b32_e32 v33, 0x7f, v24
	v_cmp_ne_u32_e64 s[6:7], s15, v33
	v_mov_b32_e32 v26, 0x7fc02000
	s_and_saveexec_b64 s[28:29], s[6:7]
	s_cbranch_execz .LBB319_600
; %bb.599:                              ;   in Loop: Header=BB319_404 Depth=1
	v_and_b32_e32 v16, 7, v24
	v_ffbh_u32_e32 v38, v16
	v_min_u32_e32 v48, 32, v38
	v_subrev_u32_e32 v38, 28, v48
	v_lshlrev_b64 v[38:39], v38, v[24:25]
	v_lshrrev_b32_e32 v26, 3, v33
	v_sub_u32_e32 v39, 29, v48
	v_cmp_gt_u32_e64 s[6:7], 8, v33
	v_cndmask_b32_e64 v26, v26, v39, s[6:7]
	v_and_b32_e32 v38, 7, v38
	v_lshlrev_b32_e32 v24, 8, v24
	v_lshl_add_u32 v26, v26, 10, v53
	v_cndmask_b32_e64 v16, v16, v38, s[6:7]
	v_and_or_b32 v24, v24, s19, v26
	v_lshl_or_b32 v16, v16, 7, v24
	v_cvt_f32_f16_e32 v26, v16
.LBB319_600:                            ;   in Loop: Header=BB319_404 Depth=1
	s_or_b64 exec, exec, s[28:29]
.LBB319_601:                            ;   in Loop: Header=BB319_404 Depth=1
	s_or_b64 exec, exec, s[26:27]
.LBB319_602:                            ;   in Loop: Header=BB319_404 Depth=1
	s_or_b64 exec, exec, s[24:25]
	v_pk_mul_f32 v[36:37], v[32:33], v[36:37] op_sel_hi:[0,1]
	v_pk_mul_f32 v[34:35], v[32:33], v[34:35] op_sel_hi:[0,1]
	v_cvt_f16_f32_e32 v16, v37
	v_cvt_f16_f32_e32 v24, v36
	;; [unrolled: 1-line block ×4, first 2 shown]
	v_fma_mixlo_f16 v6, v32, v6, 0
	v_pack_b32_f16 v16, v24, v16
	v_fma_mixlo_f16 v27, v32, v27, 0
	v_pack_b32_f16 v33, v34, v33
	v_perm_b32 v24, v33, v16, s35
	v_perm_b32 v33, v33, v16, s36
	v_fma_mixlo_f16 v16, v32, v22, 0
	v_lshlrev_b32_e32 v16, 16, v16
	v_or_b32_sdwa v6, v16, v6 dst_sel:DWORD dst_unused:UNUSED_PAD src0_sel:DWORD src1_sel:WORD_0
	v_fma_mixlo_f16 v16, v32, v26, 0
	v_lshlrev_b32_e32 v16, 16, v16
	v_or_b32_sdwa v22, v16, v27 dst_sel:DWORD dst_unused:UNUSED_PAD src0_sel:DWORD src1_sel:WORD_0
	s_and_saveexec_b64 s[24:25], s[4:5]
	s_cbranch_execz .LBB319_604
; %bb.603:                              ;   in Loop: Header=BB319_404 Depth=1
	v_add_u32_e32 v16, 1, v7
	v_lshrrev_b32_e32 v26, 16, v33
	v_cmp_lt_i32_e64 s[6:7], v16, v17
	v_accvgpr_read_b32 v34, a8
	v_cndmask_b32_e64 v16, 0, v26, s[6:7]
	v_cmp_lt_i32_e64 s[6:7], v7, v34
	v_cndmask_b32_e64 v26, 0, v33, s[6:7]
	v_perm_b32 v33, v16, v26, s37
	v_or_b32_e32 v16, 3, v7
	v_or_b32_e32 v26, 2, v7
	v_lshrrev_b32_e32 v32, 16, v24
	v_cmp_lt_i32_e64 s[6:7], v16, v17
	v_cndmask_b32_e64 v16, 0, v32, s[6:7]
	v_cmp_lt_i32_e64 s[6:7], v26, v34
	v_cndmask_b32_e64 v24, 0, v24, s[6:7]
	v_perm_b32 v24, v16, v24, s37
	v_or_b32_e32 v16, 5, v7
	v_or_b32_e32 v26, 4, v7
	v_lshrrev_b32_e32 v32, 16, v6
	v_cmp_lt_i32_e64 s[6:7], v16, v17
	v_cndmask_b32_e64 v16, 0, v32, s[6:7]
	v_cmp_lt_i32_e64 s[6:7], v26, v34
	v_cndmask_b32_e64 v6, 0, v6, s[6:7]
	v_perm_b32 v6, v16, v6, s37
	v_or_b32_e32 v16, 7, v7
	v_or_b32_e32 v26, 6, v7
	v_lshrrev_b32_e32 v22, 16, v22
	v_cmp_lt_i32_e64 s[6:7], v16, v17
	v_cndmask_b32_e64 v16, 0, v22, s[6:7]
	v_cmp_lt_i32_e64 s[6:7], v26, v34
	v_cndmask_b32_e64 v22, 0, v27, s[6:7]
	v_perm_b32 v22, v16, v22, s37
.LBB319_604:                            ;   in Loop: Header=BB319_404 Depth=1
	s_or_b64 exec, exec, s[24:25]
	;;#ASMSTART
	v_pk_mul_f16 v16, v41, v33;

	;;#ASMEND
	;;#ASMSTART
	v_pk_mul_f16 v24, v40, v24;

	;;#ASMEND
	;; [unrolled: 4-line block ×4, first 2 shown]
	;;#ASMSTART
	v_pk_add_f16 v16, v16, v24;

	;;#ASMEND
	;;#ASMSTART
	v_pk_add_f16 v6, v16, v6;

	;;#ASMEND
	;; [unrolled: 4-line block ×3, first 2 shown]
	v_accvgpr_read_b32 v27, a5
	v_lshrrev_b32_e32 v16, 16, v6
	v_and_b32_e32 v6, 0xffff, v6
	;;#ASMSTART
	v_cvt_f32_f16 v48, v6;
	;;#ASMEND
	;;#ASMSTART
	v_cvt_f32_f16 v46, v16;
	;;#ASMEND
	flat_load_dwordx2 v[38:39], v[30:31] offset:2048
	v_accvgpr_read_b32 v26, a4
	flat_load_dword v32, v[26:27]
	v_mov_b32_e32 v36, 0
	v_mov_b32_e32 v34, 0
	s_waitcnt vmcnt(0) lgkmcnt(0)
	v_cmp_ne_u16_sdwa s[6:7], v38, v25 src0_sel:BYTE_0 src1_sel:DWORD
	s_and_saveexec_b64 s[24:25], s[6:7]
	s_cbranch_execz .LBB319_610
; %bb.605:                              ;   in Loop: Header=BB319_404 Depth=1
	v_cmp_ne_u16_sdwa s[6:7], v38, s9 src0_sel:BYTE_0 src1_sel:DWORD
	v_bfrev_b32_e32 v34, 1
	s_and_saveexec_b64 s[26:27], s[6:7]
	s_cbranch_execz .LBB319_609
; %bb.606:                              ;   in Loop: Header=BB319_404 Depth=1
	v_and_b32_e32 v6, 0x7f, v38
	v_cmp_ne_u32_e64 s[6:7], s15, v6
	v_mov_b32_e32 v34, 0x7fc02000
	s_and_saveexec_b64 s[28:29], s[6:7]
	s_cbranch_execz .LBB319_608
; %bb.607:                              ;   in Loop: Header=BB319_404 Depth=1
	v_and_b32_e32 v16, 7, v38
	v_ffbh_u32_e32 v16, v16
	v_min_u32_e32 v16, 32, v16
	v_subrev_u32_e32 v24, 28, v16
	v_cmp_gt_u32_e64 s[6:7], 8, v6
	v_lshrrev_b32_e32 v22, 3, v6
	v_sub_u32_e32 v16, 29, v16
	v_cndmask_b32_e64 v6, 0, v24, s[6:7]
	v_lshlrev_b64 v[26:27], v6, v[38:39]
	v_cndmask_b32_e64 v6, v22, v16, s[6:7]
	v_lshlrev_b32_e32 v22, 8, v38
	v_lshl_add_u32 v6, v6, 10, v53
	v_lshlrev_b32_e32 v16, 7, v26
	v_and_or_b32 v6, v22, s19, v6
	v_and_or_b32 v6, v16, s34, v6
	v_cvt_f32_f16_e32 v34, v6
.LBB319_608:                            ;   in Loop: Header=BB319_404 Depth=1
	s_or_b64 exec, exec, s[28:29]
.LBB319_609:                            ;   in Loop: Header=BB319_404 Depth=1
	s_or_b64 exec, exec, s[26:27]
.LBB319_610:                            ;   in Loop: Header=BB319_404 Depth=1
	s_or_b64 exec, exec, s[24:25]
	v_lshrrev_b16_e32 v24, 8, v38
	v_cmp_ne_u16_e64 s[6:7], 0, v24
	s_and_saveexec_b64 s[24:25], s[6:7]
	s_cbranch_execz .LBB319_616
; %bb.611:                              ;   in Loop: Header=BB319_404 Depth=1
	v_cmp_ne_u16_e64 s[6:7], s9, v24
	v_bfrev_b32_e32 v36, 1
	s_and_saveexec_b64 s[26:27], s[6:7]
	s_cbranch_execz .LBB319_615
; %bb.612:                              ;   in Loop: Header=BB319_404 Depth=1
	v_and_b32_e32 v6, 0x7f, v24
	v_cmp_ne_u32_e64 s[6:7], s15, v6
	v_mov_b32_e32 v36, 0x7fc02000
	s_and_saveexec_b64 s[28:29], s[6:7]
	s_cbranch_execz .LBB319_614
; %bb.613:                              ;   in Loop: Header=BB319_404 Depth=1
	v_and_b32_e32 v16, 7, v24
	v_ffbh_u32_e32 v26, v16
	v_min_u32_e32 v33, 32, v26
	v_subrev_u32_e32 v26, 28, v33
	v_lshlrev_b64 v[26:27], v26, v[24:25]
	v_lshrrev_b32_e32 v22, 3, v6
	v_sub_u32_e32 v27, 29, v33
	v_cmp_gt_u32_e64 s[6:7], 8, v6
	v_cndmask_b32_e64 v6, v22, v27, s[6:7]
	v_and_b32_e32 v26, 7, v26
	v_lshlrev_b32_e32 v22, 8, v24
	v_lshl_add_u32 v6, v6, 10, v53
	v_cndmask_b32_e64 v16, v16, v26, s[6:7]
	v_and_or_b32 v6, v22, s19, v6
	v_lshl_or_b32 v6, v16, 7, v6
	v_cvt_f32_f16_e32 v36, v6
.LBB319_614:                            ;   in Loop: Header=BB319_404 Depth=1
	s_or_b64 exec, exec, s[28:29]
.LBB319_615:                            ;   in Loop: Header=BB319_404 Depth=1
	s_or_b64 exec, exec, s[26:27]
.LBB319_616:                            ;   in Loop: Header=BB319_404 Depth=1
	s_or_b64 exec, exec, s[24:25]
	v_lshrrev_b32_e32 v24, 16, v38
	v_cmp_ne_u16_sdwa s[6:7], v24, v25 src0_sel:BYTE_0 src1_sel:DWORD
	v_mov_b32_e32 v37, 0
	v_mov_b32_e32 v35, 0
	s_and_saveexec_b64 s[24:25], s[6:7]
	s_cbranch_execz .LBB319_622
; %bb.617:                              ;   in Loop: Header=BB319_404 Depth=1
	v_cmp_ne_u16_sdwa s[6:7], v24, s9 src0_sel:BYTE_0 src1_sel:DWORD
	v_bfrev_b32_e32 v35, 1
	s_and_saveexec_b64 s[26:27], s[6:7]
	s_cbranch_execz .LBB319_621
; %bb.618:                              ;   in Loop: Header=BB319_404 Depth=1
	v_bfe_u32 v6, v38, 16, 7
	v_cmp_ne_u32_e64 s[6:7], s15, v6
	v_mov_b32_e32 v35, 0x7fc02000
	s_and_saveexec_b64 s[28:29], s[6:7]
	s_cbranch_execz .LBB319_620
; %bb.619:                              ;   in Loop: Header=BB319_404 Depth=1
	v_and_b32_e32 v16, 7, v24
	v_ffbh_u32_e32 v26, v16
	v_min_u32_e32 v33, 32, v26
	v_subrev_u32_e32 v26, 28, v33
	v_lshlrev_b64 v[26:27], v26, v[24:25]
	v_lshrrev_b32_e32 v22, 3, v6
	v_sub_u32_e32 v27, 29, v33
	v_cmp_gt_u32_e64 s[6:7], 8, v6
	v_cndmask_b32_e64 v6, v22, v27, s[6:7]
	v_and_b32_e32 v26, 7, v26
	v_lshlrev_b32_e32 v22, 8, v24
	v_lshl_add_u32 v6, v6, 10, v53
	v_cndmask_b32_e64 v16, v16, v26, s[6:7]
	v_and_or_b32 v6, v22, s19, v6
	v_lshl_or_b32 v6, v16, 7, v6
	v_cvt_f32_f16_e32 v35, v6
.LBB319_620:                            ;   in Loop: Header=BB319_404 Depth=1
	s_or_b64 exec, exec, s[28:29]
.LBB319_621:                            ;   in Loop: Header=BB319_404 Depth=1
	s_or_b64 exec, exec, s[26:27]
.LBB319_622:                            ;   in Loop: Header=BB319_404 Depth=1
	s_or_b64 exec, exec, s[24:25]
	v_cmp_lt_u32_e64 s[6:7], s13, v38
	s_and_saveexec_b64 s[24:25], s[6:7]
	s_cbranch_execz .LBB319_628
; %bb.623:                              ;   in Loop: Header=BB319_404 Depth=1
	v_lshrrev_b32_e32 v24, 24, v38
	v_cmp_ne_u32_e64 s[6:7], s9, v24
	v_bfrev_b32_e32 v37, 1
	s_and_saveexec_b64 s[26:27], s[6:7]
	s_cbranch_execz .LBB319_627
; %bb.624:                              ;   in Loop: Header=BB319_404 Depth=1
	v_and_b32_e32 v6, 0x7f, v24
	v_cmp_ne_u32_e64 s[6:7], s15, v6
	v_mov_b32_e32 v37, 0x7fc02000
	s_and_saveexec_b64 s[28:29], s[6:7]
	s_cbranch_execz .LBB319_626
; %bb.625:                              ;   in Loop: Header=BB319_404 Depth=1
	v_and_b32_e32 v16, 7, v24
	v_ffbh_u32_e32 v26, v16
	v_min_u32_e32 v33, 32, v26
	v_subrev_u32_e32 v26, 28, v33
	v_lshlrev_b64 v[26:27], v26, v[24:25]
	v_lshrrev_b32_e32 v22, 3, v6
	v_sub_u32_e32 v27, 29, v33
	v_cmp_gt_u32_e64 s[6:7], 8, v6
	v_cndmask_b32_e64 v6, v22, v27, s[6:7]
	v_and_b32_e32 v26, 7, v26
	v_lshlrev_b32_e32 v22, 8, v24
	v_lshl_add_u32 v6, v6, 10, v53
	v_cndmask_b32_e64 v16, v16, v26, s[6:7]
	v_and_or_b32 v6, v22, s19, v6
	v_lshl_or_b32 v6, v16, 7, v6
	v_cvt_f32_f16_e32 v37, v6
.LBB319_626:                            ;   in Loop: Header=BB319_404 Depth=1
	s_or_b64 exec, exec, s[28:29]
.LBB319_627:                            ;   in Loop: Header=BB319_404 Depth=1
	s_or_b64 exec, exec, s[26:27]
.LBB319_628:                            ;   in Loop: Header=BB319_404 Depth=1
	s_or_b64 exec, exec, s[24:25]
	v_mov_b32_e32 v24, v39
	v_cmp_ne_u16_sdwa s[6:7], v39, v25 src0_sel:BYTE_0 src1_sel:DWORD
	v_mov_b32_e32 v22, 0
	v_mov_b32_e32 v6, 0
	s_and_saveexec_b64 s[24:25], s[6:7]
	s_cbranch_execz .LBB319_634
; %bb.629:                              ;   in Loop: Header=BB319_404 Depth=1
	v_cmp_ne_u16_sdwa s[6:7], v39, s9 src0_sel:BYTE_0 src1_sel:DWORD
	v_bfrev_b32_e32 v6, 1
	s_and_saveexec_b64 s[26:27], s[6:7]
	s_cbranch_execz .LBB319_633
; %bb.630:                              ;   in Loop: Header=BB319_404 Depth=1
	v_and_b32_e32 v26, 0x7f, v39
	v_cmp_ne_u32_e64 s[6:7], s15, v26
	v_mov_b32_e32 v6, 0x7fc02000
	s_and_saveexec_b64 s[28:29], s[6:7]
	s_cbranch_execz .LBB319_632
; %bb.631:                              ;   in Loop: Header=BB319_404 Depth=1
	v_and_b32_e32 v6, 7, v39
	v_ffbh_u32_e32 v6, v6
	v_min_u32_e32 v6, 32, v6
	v_subrev_u32_e32 v27, 28, v6
	v_cmp_gt_u32_e64 s[6:7], 8, v26
	v_lshrrev_b32_e32 v16, 3, v26
	v_sub_u32_e32 v6, 29, v6
	v_cndmask_b32_e64 v26, 0, v27, s[6:7]
	v_lshlrev_b64 v[26:27], v26, v[24:25]
	v_cndmask_b32_e64 v6, v16, v6, s[6:7]
	v_lshlrev_b32_e32 v16, 7, v26
	v_lshlrev_b32_e32 v26, 8, v39
	v_lshl_add_u32 v6, v6, 10, v53
	v_and_or_b32 v6, v26, s19, v6
	v_and_or_b32 v6, v16, s34, v6
	v_cvt_f32_f16_e32 v6, v6
.LBB319_632:                            ;   in Loop: Header=BB319_404 Depth=1
	s_or_b64 exec, exec, s[28:29]
.LBB319_633:                            ;   in Loop: Header=BB319_404 Depth=1
	s_or_b64 exec, exec, s[26:27]
.LBB319_634:                            ;   in Loop: Header=BB319_404 Depth=1
	s_or_b64 exec, exec, s[24:25]
	v_lshrrev_b16_e32 v24, 8, v24
	v_cmp_ne_u16_e64 s[6:7], 0, v24
	s_and_saveexec_b64 s[24:25], s[6:7]
	s_cbranch_execz .LBB319_640
; %bb.635:                              ;   in Loop: Header=BB319_404 Depth=1
	v_cmp_ne_u16_e64 s[6:7], s9, v24
	v_bfrev_b32_e32 v22, 1
	s_and_saveexec_b64 s[26:27], s[6:7]
	s_cbranch_execz .LBB319_639
; %bb.636:                              ;   in Loop: Header=BB319_404 Depth=1
	v_and_b32_e32 v26, 0x7f, v24
	v_cmp_ne_u32_e64 s[6:7], s15, v26
	v_mov_b32_e32 v22, 0x7fc02000
	s_and_saveexec_b64 s[28:29], s[6:7]
	s_cbranch_execz .LBB319_638
; %bb.637:                              ;   in Loop: Header=BB319_404 Depth=1
	v_and_b32_e32 v16, 7, v24
	v_ffbh_u32_e32 v27, v16
	v_min_u32_e32 v27, 32, v27
	v_lshrrev_b32_e32 v22, 3, v26
	v_subrev_u32_e32 v33, 28, v27
	v_sub_u32_e32 v27, 29, v27
	v_cmp_gt_u32_e64 s[6:7], 8, v26
	v_lshlrev_b64 v[56:57], v33, v[24:25]
	v_cndmask_b32_e64 v22, v22, v27, s[6:7]
	v_and_b32_e32 v33, 7, v56
	v_lshlrev_b32_e32 v24, 8, v24
	v_lshl_add_u32 v22, v22, 10, v53
	v_cndmask_b32_e64 v16, v16, v33, s[6:7]
	v_and_or_b32 v22, v24, s19, v22
	v_lshl_or_b32 v16, v16, 7, v22
	v_cvt_f32_f16_e32 v22, v16
.LBB319_638:                            ;   in Loop: Header=BB319_404 Depth=1
	s_or_b64 exec, exec, s[28:29]
.LBB319_639:                            ;   in Loop: Header=BB319_404 Depth=1
	s_or_b64 exec, exec, s[26:27]
.LBB319_640:                            ;   in Loop: Header=BB319_404 Depth=1
	s_or_b64 exec, exec, s[24:25]
	v_lshrrev_b32_e32 v24, 16, v39
	v_cmp_ne_u16_sdwa s[6:7], v24, v25 src0_sel:BYTE_0 src1_sel:DWORD
	v_mov_b32_e32 v26, 0
	v_mov_b32_e32 v27, 0
	s_and_saveexec_b64 s[24:25], s[6:7]
	s_cbranch_execz .LBB319_646
; %bb.641:                              ;   in Loop: Header=BB319_404 Depth=1
	v_cmp_ne_u16_sdwa s[6:7], v24, s9 src0_sel:BYTE_0 src1_sel:DWORD
	v_bfrev_b32_e32 v27, 1
	s_and_saveexec_b64 s[26:27], s[6:7]
	s_cbranch_execz .LBB319_645
; %bb.642:                              ;   in Loop: Header=BB319_404 Depth=1
	v_bfe_u32 v33, v39, 16, 7
	v_cmp_ne_u32_e64 s[6:7], s15, v33
	v_mov_b32_e32 v27, 0x7fc02000
	s_and_saveexec_b64 s[28:29], s[6:7]
	s_cbranch_execz .LBB319_644
; %bb.643:                              ;   in Loop: Header=BB319_404 Depth=1
	v_and_b32_e32 v16, 7, v24
	v_ffbh_u32_e32 v49, v16
	v_min_u32_e32 v49, 32, v49
	v_lshrrev_b32_e32 v27, 3, v33
	v_subrev_u32_e32 v47, 28, v49
	v_sub_u32_e32 v49, 29, v49
	v_cmp_gt_u32_e64 s[6:7], 8, v33
	v_lshlrev_b64 v[56:57], v47, v[24:25]
	v_cndmask_b32_e64 v27, v27, v49, s[6:7]
	v_and_b32_e32 v47, 7, v56
	v_lshlrev_b32_e32 v24, 8, v24
	v_lshl_add_u32 v27, v27, 10, v53
	v_cndmask_b32_e64 v16, v16, v47, s[6:7]
	v_and_or_b32 v24, v24, s19, v27
	v_lshl_or_b32 v16, v16, 7, v24
	v_cvt_f32_f16_e32 v27, v16
.LBB319_644:                            ;   in Loop: Header=BB319_404 Depth=1
	s_or_b64 exec, exec, s[28:29]
.LBB319_645:                            ;   in Loop: Header=BB319_404 Depth=1
	s_or_b64 exec, exec, s[26:27]
.LBB319_646:                            ;   in Loop: Header=BB319_404 Depth=1
	s_or_b64 exec, exec, s[24:25]
	v_cmp_lt_u64_e64 s[6:7], s[12:13], v[38:39]
	s_and_saveexec_b64 s[24:25], s[6:7]
	s_cbranch_execz .LBB319_652
; %bb.647:                              ;   in Loop: Header=BB319_404 Depth=1
	v_lshrrev_b32_e32 v24, 24, v39
	v_cmp_ne_u32_e64 s[6:7], s9, v24
	v_bfrev_b32_e32 v26, 1
	s_and_saveexec_b64 s[26:27], s[6:7]
	s_cbranch_execz .LBB319_651
; %bb.648:                              ;   in Loop: Header=BB319_404 Depth=1
	v_and_b32_e32 v33, 0x7f, v24
	v_cmp_ne_u32_e64 s[6:7], s15, v33
	v_mov_b32_e32 v26, 0x7fc02000
	s_and_saveexec_b64 s[28:29], s[6:7]
	s_cbranch_execz .LBB319_650
; %bb.649:                              ;   in Loop: Header=BB319_404 Depth=1
	v_and_b32_e32 v16, 7, v24
	v_ffbh_u32_e32 v38, v16
	v_min_u32_e32 v49, 32, v38
	v_subrev_u32_e32 v38, 28, v49
	v_lshlrev_b64 v[38:39], v38, v[24:25]
	v_lshrrev_b32_e32 v26, 3, v33
	v_sub_u32_e32 v39, 29, v49
	v_cmp_gt_u32_e64 s[6:7], 8, v33
	v_cndmask_b32_e64 v26, v26, v39, s[6:7]
	v_and_b32_e32 v38, 7, v38
	v_lshlrev_b32_e32 v24, 8, v24
	v_lshl_add_u32 v26, v26, 10, v53
	v_cndmask_b32_e64 v16, v16, v38, s[6:7]
	v_and_or_b32 v24, v24, s19, v26
	v_lshl_or_b32 v16, v16, 7, v24
	v_cvt_f32_f16_e32 v26, v16
.LBB319_650:                            ;   in Loop: Header=BB319_404 Depth=1
	s_or_b64 exec, exec, s[28:29]
.LBB319_651:                            ;   in Loop: Header=BB319_404 Depth=1
	s_or_b64 exec, exec, s[26:27]
.LBB319_652:                            ;   in Loop: Header=BB319_404 Depth=1
	s_or_b64 exec, exec, s[24:25]
	v_pk_mul_f32 v[36:37], v[32:33], v[36:37] op_sel_hi:[0,1]
	v_pk_mul_f32 v[34:35], v[32:33], v[34:35] op_sel_hi:[0,1]
	v_cvt_f16_f32_e32 v16, v37
	v_cvt_f16_f32_e32 v24, v36
	;; [unrolled: 1-line block ×4, first 2 shown]
	v_fma_mixlo_f16 v6, v32, v6, 0
	v_pack_b32_f16 v16, v24, v16
	v_fma_mixlo_f16 v27, v32, v27, 0
	v_pack_b32_f16 v33, v34, v33
	v_perm_b32 v24, v33, v16, s35
	v_perm_b32 v33, v33, v16, s36
	v_fma_mixlo_f16 v16, v32, v22, 0
	v_lshlrev_b32_e32 v16, 16, v16
	v_or_b32_sdwa v6, v16, v6 dst_sel:DWORD dst_unused:UNUSED_PAD src0_sel:DWORD src1_sel:WORD_0
	v_fma_mixlo_f16 v16, v32, v26, 0
	v_lshlrev_b32_e32 v16, 16, v16
	v_or_b32_sdwa v22, v16, v27 dst_sel:DWORD dst_unused:UNUSED_PAD src0_sel:DWORD src1_sel:WORD_0
	s_and_saveexec_b64 s[24:25], s[4:5]
	s_cbranch_execz .LBB319_654
; %bb.653:                              ;   in Loop: Header=BB319_404 Depth=1
	v_add_u32_e32 v16, 1, v7
	v_lshrrev_b32_e32 v26, 16, v33
	v_cmp_lt_i32_e64 s[6:7], v16, v17
	v_accvgpr_read_b32 v34, a8
	v_cndmask_b32_e64 v16, 0, v26, s[6:7]
	v_cmp_lt_i32_e64 s[6:7], v7, v34
	v_cndmask_b32_e64 v26, 0, v33, s[6:7]
	v_perm_b32 v33, v16, v26, s37
	v_or_b32_e32 v16, 3, v7
	v_or_b32_e32 v26, 2, v7
	v_lshrrev_b32_e32 v32, 16, v24
	v_cmp_lt_i32_e64 s[6:7], v16, v17
	v_cndmask_b32_e64 v16, 0, v32, s[6:7]
	v_cmp_lt_i32_e64 s[6:7], v26, v34
	v_cndmask_b32_e64 v24, 0, v24, s[6:7]
	v_perm_b32 v24, v16, v24, s37
	v_or_b32_e32 v16, 5, v7
	v_or_b32_e32 v26, 4, v7
	v_lshrrev_b32_e32 v32, 16, v6
	v_cmp_lt_i32_e64 s[6:7], v16, v17
	;; [unrolled: 8-line block ×3, first 2 shown]
	v_cndmask_b32_e64 v16, 0, v22, s[6:7]
	v_cmp_lt_i32_e64 s[6:7], v26, v34
	v_cndmask_b32_e64 v22, 0, v27, s[6:7]
	v_perm_b32 v22, v16, v22, s37
.LBB319_654:                            ;   in Loop: Header=BB319_404 Depth=1
	s_or_b64 exec, exec, s[24:25]
	;;#ASMSTART
	v_pk_mul_f16 v16, v41, v33;

	;;#ASMEND
	;;#ASMSTART
	v_pk_mul_f16 v24, v40, v24;

	;;#ASMEND
	;; [unrolled: 4-line block ×4, first 2 shown]
	;;#ASMSTART
	v_pk_add_f16 v16, v16, v24;

	;;#ASMEND
	;;#ASMSTART
	v_pk_add_f16 v6, v16, v6;

	;;#ASMEND
	;; [unrolled: 4-line block ×3, first 2 shown]
	v_accvgpr_read_b32 v27, a5
	v_lshrrev_b32_e32 v16, 16, v6
	v_and_b32_e32 v6, 0xffff, v6
	;;#ASMSTART
	v_cvt_f32_f16 v22, v6;
	;;#ASMEND
	;;#ASMSTART
	v_cvt_f32_f16 v49, v16;
	;;#ASMEND
	flat_load_dwordx2 v[38:39], v[30:31] offset:2560
	v_accvgpr_read_b32 v26, a4
	flat_load_dword v32, v[26:27]
	v_mov_b32_e32 v36, 0
	v_mov_b32_e32 v34, 0
	s_waitcnt vmcnt(0) lgkmcnt(0)
	v_cmp_ne_u16_sdwa s[6:7], v38, v25 src0_sel:BYTE_0 src1_sel:DWORD
	s_and_saveexec_b64 s[24:25], s[6:7]
	s_cbranch_execz .LBB319_660
; %bb.655:                              ;   in Loop: Header=BB319_404 Depth=1
	v_cmp_ne_u16_sdwa s[6:7], v38, s9 src0_sel:BYTE_0 src1_sel:DWORD
	v_bfrev_b32_e32 v34, 1
	s_and_saveexec_b64 s[26:27], s[6:7]
	s_cbranch_execz .LBB319_659
; %bb.656:                              ;   in Loop: Header=BB319_404 Depth=1
	v_and_b32_e32 v6, 0x7f, v38
	v_cmp_ne_u32_e64 s[6:7], s15, v6
	v_mov_b32_e32 v34, 0x7fc02000
	s_and_saveexec_b64 s[28:29], s[6:7]
	s_cbranch_execz .LBB319_658
; %bb.657:                              ;   in Loop: Header=BB319_404 Depth=1
	v_and_b32_e32 v16, 7, v38
	v_ffbh_u32_e32 v16, v16
	v_min_u32_e32 v16, 32, v16
	v_subrev_u32_e32 v26, 28, v16
	v_cmp_gt_u32_e64 s[6:7], 8, v6
	v_lshrrev_b32_e32 v24, 3, v6
	v_sub_u32_e32 v16, 29, v16
	v_cndmask_b32_e64 v6, 0, v26, s[6:7]
	v_lshlrev_b64 v[26:27], v6, v[38:39]
	v_cndmask_b32_e64 v6, v24, v16, s[6:7]
	v_lshlrev_b32_e32 v24, 8, v38
	v_lshl_add_u32 v6, v6, 10, v53
	v_lshlrev_b32_e32 v16, 7, v26
	v_and_or_b32 v6, v24, s19, v6
	v_and_or_b32 v6, v16, s34, v6
	v_cvt_f32_f16_e32 v34, v6
.LBB319_658:                            ;   in Loop: Header=BB319_404 Depth=1
	s_or_b64 exec, exec, s[28:29]
.LBB319_659:                            ;   in Loop: Header=BB319_404 Depth=1
	s_or_b64 exec, exec, s[26:27]
.LBB319_660:                            ;   in Loop: Header=BB319_404 Depth=1
	s_or_b64 exec, exec, s[24:25]
	v_lshrrev_b16_e32 v24, 8, v38
	v_cmp_ne_u16_e64 s[6:7], 0, v24
	s_and_saveexec_b64 s[24:25], s[6:7]
	s_cbranch_execz .LBB319_666
; %bb.661:                              ;   in Loop: Header=BB319_404 Depth=1
	v_cmp_ne_u16_e64 s[6:7], s9, v24
	v_bfrev_b32_e32 v36, 1
	s_and_saveexec_b64 s[26:27], s[6:7]
	s_cbranch_execz .LBB319_665
; %bb.662:                              ;   in Loop: Header=BB319_404 Depth=1
	v_and_b32_e32 v6, 0x7f, v24
	v_cmp_ne_u32_e64 s[6:7], s15, v6
	v_mov_b32_e32 v36, 0x7fc02000
	s_and_saveexec_b64 s[28:29], s[6:7]
	s_cbranch_execz .LBB319_664
; %bb.663:                              ;   in Loop: Header=BB319_404 Depth=1
	v_and_b32_e32 v16, 7, v24
	v_ffbh_u32_e32 v26, v16
	v_min_u32_e32 v35, 32, v26
	v_subrev_u32_e32 v26, 28, v35
	v_lshlrev_b64 v[26:27], v26, v[24:25]
	v_lshrrev_b32_e32 v33, 3, v6
	v_sub_u32_e32 v27, 29, v35
	v_cmp_gt_u32_e64 s[6:7], 8, v6
	v_cndmask_b32_e64 v6, v33, v27, s[6:7]
	v_and_b32_e32 v26, 7, v26
	v_lshlrev_b32_e32 v24, 8, v24
	v_lshl_add_u32 v6, v6, 10, v53
	v_cndmask_b32_e64 v16, v16, v26, s[6:7]
	v_and_or_b32 v6, v24, s19, v6
	v_lshl_or_b32 v6, v16, 7, v6
	v_cvt_f32_f16_e32 v36, v6
.LBB319_664:                            ;   in Loop: Header=BB319_404 Depth=1
	s_or_b64 exec, exec, s[28:29]
.LBB319_665:                            ;   in Loop: Header=BB319_404 Depth=1
	s_or_b64 exec, exec, s[26:27]
.LBB319_666:                            ;   in Loop: Header=BB319_404 Depth=1
	s_or_b64 exec, exec, s[24:25]
	v_lshrrev_b32_e32 v24, 16, v38
	v_cmp_ne_u16_sdwa s[6:7], v24, v25 src0_sel:BYTE_0 src1_sel:DWORD
	v_mov_b32_e32 v37, 0
	v_mov_b32_e32 v35, 0
	s_and_saveexec_b64 s[24:25], s[6:7]
	s_cbranch_execz .LBB319_672
; %bb.667:                              ;   in Loop: Header=BB319_404 Depth=1
	v_cmp_ne_u16_sdwa s[6:7], v24, s9 src0_sel:BYTE_0 src1_sel:DWORD
	v_bfrev_b32_e32 v35, 1
	s_and_saveexec_b64 s[26:27], s[6:7]
	s_cbranch_execz .LBB319_671
; %bb.668:                              ;   in Loop: Header=BB319_404 Depth=1
	v_bfe_u32 v6, v38, 16, 7
	v_cmp_ne_u32_e64 s[6:7], s15, v6
	v_mov_b32_e32 v35, 0x7fc02000
	s_and_saveexec_b64 s[28:29], s[6:7]
	s_cbranch_execz .LBB319_670
; %bb.669:                              ;   in Loop: Header=BB319_404 Depth=1
	v_and_b32_e32 v16, 7, v24
	v_ffbh_u32_e32 v26, v16
	v_min_u32_e32 v35, 32, v26
	v_subrev_u32_e32 v26, 28, v35
	v_lshlrev_b64 v[26:27], v26, v[24:25]
	v_lshrrev_b32_e32 v33, 3, v6
	v_sub_u32_e32 v27, 29, v35
	v_cmp_gt_u32_e64 s[6:7], 8, v6
	v_cndmask_b32_e64 v6, v33, v27, s[6:7]
	v_and_b32_e32 v26, 7, v26
	v_lshlrev_b32_e32 v24, 8, v24
	v_lshl_add_u32 v6, v6, 10, v53
	v_cndmask_b32_e64 v16, v16, v26, s[6:7]
	v_and_or_b32 v6, v24, s19, v6
	v_lshl_or_b32 v6, v16, 7, v6
	v_cvt_f32_f16_e32 v35, v6
.LBB319_670:                            ;   in Loop: Header=BB319_404 Depth=1
	s_or_b64 exec, exec, s[28:29]
.LBB319_671:                            ;   in Loop: Header=BB319_404 Depth=1
	s_or_b64 exec, exec, s[26:27]
.LBB319_672:                            ;   in Loop: Header=BB319_404 Depth=1
	s_or_b64 exec, exec, s[24:25]
	v_cmp_lt_u32_e64 s[6:7], s13, v38
	s_and_saveexec_b64 s[24:25], s[6:7]
	s_cbranch_execz .LBB319_678
; %bb.673:                              ;   in Loop: Header=BB319_404 Depth=1
	v_lshrrev_b32_e32 v24, 24, v38
	v_cmp_ne_u32_e64 s[6:7], s9, v24
	v_bfrev_b32_e32 v37, 1
	s_and_saveexec_b64 s[26:27], s[6:7]
	s_cbranch_execz .LBB319_677
; %bb.674:                              ;   in Loop: Header=BB319_404 Depth=1
	v_and_b32_e32 v6, 0x7f, v24
	v_cmp_ne_u32_e64 s[6:7], s15, v6
	v_mov_b32_e32 v37, 0x7fc02000
	s_and_saveexec_b64 s[28:29], s[6:7]
	s_cbranch_execz .LBB319_676
; %bb.675:                              ;   in Loop: Header=BB319_404 Depth=1
	v_and_b32_e32 v16, 7, v24
	v_ffbh_u32_e32 v26, v16
	v_min_u32_e32 v37, 32, v26
	v_subrev_u32_e32 v26, 28, v37
	v_lshlrev_b64 v[26:27], v26, v[24:25]
	v_lshrrev_b32_e32 v33, 3, v6
	v_sub_u32_e32 v27, 29, v37
	v_cmp_gt_u32_e64 s[6:7], 8, v6
	v_cndmask_b32_e64 v6, v33, v27, s[6:7]
	v_and_b32_e32 v26, 7, v26
	v_lshlrev_b32_e32 v24, 8, v24
	v_lshl_add_u32 v6, v6, 10, v53
	v_cndmask_b32_e64 v16, v16, v26, s[6:7]
	v_and_or_b32 v6, v24, s19, v6
	v_lshl_or_b32 v6, v16, 7, v6
	v_cvt_f32_f16_e32 v37, v6
.LBB319_676:                            ;   in Loop: Header=BB319_404 Depth=1
	s_or_b64 exec, exec, s[28:29]
.LBB319_677:                            ;   in Loop: Header=BB319_404 Depth=1
	s_or_b64 exec, exec, s[26:27]
.LBB319_678:                            ;   in Loop: Header=BB319_404 Depth=1
	s_or_b64 exec, exec, s[24:25]
	v_mov_b32_e32 v24, v39
	v_cmp_ne_u16_sdwa s[6:7], v39, v25 src0_sel:BYTE_0 src1_sel:DWORD
	v_mov_b32_e32 v26, 0
	v_mov_b32_e32 v6, 0
	s_and_saveexec_b64 s[24:25], s[6:7]
	s_cbranch_execz .LBB319_684
; %bb.679:                              ;   in Loop: Header=BB319_404 Depth=1
	v_cmp_ne_u16_sdwa s[6:7], v39, s9 src0_sel:BYTE_0 src1_sel:DWORD
	v_bfrev_b32_e32 v6, 1
	s_and_saveexec_b64 s[26:27], s[6:7]
	s_cbranch_execz .LBB319_683
; %bb.680:                              ;   in Loop: Header=BB319_404 Depth=1
	v_and_b32_e32 v27, 0x7f, v39
	v_cmp_ne_u32_e64 s[6:7], s15, v27
	v_mov_b32_e32 v6, 0x7fc02000
	s_and_saveexec_b64 s[28:29], s[6:7]
	s_cbranch_execz .LBB319_682
; %bb.681:                              ;   in Loop: Header=BB319_404 Depth=1
	v_and_b32_e32 v6, 7, v39
	v_ffbh_u32_e32 v6, v6
	v_min_u32_e32 v6, 32, v6
	v_lshrrev_b32_e32 v16, 3, v27
	v_subrev_u32_e32 v33, 28, v6
	v_sub_u32_e32 v6, 29, v6
	v_cmp_gt_u32_e64 s[6:7], 8, v27
	v_cndmask_b32_e64 v27, 0, v33, s[6:7]
	v_cndmask_b32_e64 v6, v16, v6, s[6:7]
	v_lshlrev_b64 v[56:57], v27, v[24:25]
	v_lshlrev_b32_e32 v27, 8, v39
	v_lshl_add_u32 v6, v6, 10, v53
	v_lshlrev_b32_e32 v16, 7, v56
	v_and_or_b32 v6, v27, s19, v6
	v_and_or_b32 v6, v16, s34, v6
	v_cvt_f32_f16_e32 v6, v6
.LBB319_682:                            ;   in Loop: Header=BB319_404 Depth=1
	s_or_b64 exec, exec, s[28:29]
.LBB319_683:                            ;   in Loop: Header=BB319_404 Depth=1
	s_or_b64 exec, exec, s[26:27]
.LBB319_684:                            ;   in Loop: Header=BB319_404 Depth=1
	s_or_b64 exec, exec, s[24:25]
	v_lshrrev_b16_e32 v24, 8, v24
	v_cmp_ne_u16_e64 s[6:7], 0, v24
	s_and_saveexec_b64 s[24:25], s[6:7]
	s_cbranch_execz .LBB319_690
; %bb.685:                              ;   in Loop: Header=BB319_404 Depth=1
	v_cmp_ne_u16_e64 s[6:7], s9, v24
	v_bfrev_b32_e32 v26, 1
	s_and_saveexec_b64 s[26:27], s[6:7]
	s_cbranch_execz .LBB319_689
; %bb.686:                              ;   in Loop: Header=BB319_404 Depth=1
	v_and_b32_e32 v27, 0x7f, v24
	v_cmp_ne_u32_e64 s[6:7], s15, v27
	v_mov_b32_e32 v26, 0x7fc02000
	s_and_saveexec_b64 s[28:29], s[6:7]
	s_cbranch_execz .LBB319_688
; %bb.687:                              ;   in Loop: Header=BB319_404 Depth=1
	v_and_b32_e32 v16, 7, v24
	v_ffbh_u32_e32 v33, v16
	v_min_u32_e32 v33, 32, v33
	v_lshrrev_b32_e32 v26, 3, v27
	v_subrev_u32_e32 v47, 28, v33
	v_sub_u32_e32 v33, 29, v33
	v_cmp_gt_u32_e64 s[6:7], 8, v27
	v_lshlrev_b64 v[56:57], v47, v[24:25]
	v_cndmask_b32_e64 v26, v26, v33, s[6:7]
	v_and_b32_e32 v47, 7, v56
	v_lshlrev_b32_e32 v24, 8, v24
	v_lshl_add_u32 v26, v26, 10, v53
	v_cndmask_b32_e64 v16, v16, v47, s[6:7]
	v_and_or_b32 v24, v24, s19, v26
	v_lshl_or_b32 v16, v16, 7, v24
	v_cvt_f32_f16_e32 v26, v16
.LBB319_688:                            ;   in Loop: Header=BB319_404 Depth=1
	s_or_b64 exec, exec, s[28:29]
.LBB319_689:                            ;   in Loop: Header=BB319_404 Depth=1
	s_or_b64 exec, exec, s[26:27]
.LBB319_690:                            ;   in Loop: Header=BB319_404 Depth=1
	s_or_b64 exec, exec, s[24:25]
	v_lshrrev_b32_e32 v24, 16, v39
	v_cmp_ne_u16_sdwa s[6:7], v24, v25 src0_sel:BYTE_0 src1_sel:DWORD
	v_mov_b32_e32 v27, 0
	v_mov_b32_e32 v33, 0
	s_and_saveexec_b64 s[24:25], s[6:7]
	s_cbranch_execz .LBB319_696
; %bb.691:                              ;   in Loop: Header=BB319_404 Depth=1
	v_cmp_ne_u16_sdwa s[6:7], v24, s9 src0_sel:BYTE_0 src1_sel:DWORD
	v_bfrev_b32_e32 v33, 1
	s_and_saveexec_b64 s[26:27], s[6:7]
	s_cbranch_execz .LBB319_695
; %bb.692:                              ;   in Loop: Header=BB319_404 Depth=1
	v_bfe_u32 v47, v39, 16, 7
	v_cmp_ne_u32_e64 s[6:7], s15, v47
	v_mov_b32_e32 v33, 0x7fc02000
	s_and_saveexec_b64 s[28:29], s[6:7]
	s_cbranch_execz .LBB319_694
; %bb.693:                              ;   in Loop: Header=BB319_404 Depth=1
	v_and_b32_e32 v16, 7, v24
	v_ffbh_u32_e32 v56, v16
	v_min_u32_e32 v58, 32, v56
	v_subrev_u32_e32 v56, 28, v58
	v_lshlrev_b64 v[56:57], v56, v[24:25]
	v_lshrrev_b32_e32 v33, 3, v47
	v_sub_u32_e32 v57, 29, v58
	v_cmp_gt_u32_e64 s[6:7], 8, v47
	v_cndmask_b32_e64 v33, v33, v57, s[6:7]
	v_and_b32_e32 v56, 7, v56
	v_lshlrev_b32_e32 v24, 8, v24
	v_lshl_add_u32 v33, v33, 10, v53
	v_cndmask_b32_e64 v16, v16, v56, s[6:7]
	v_and_or_b32 v24, v24, s19, v33
	v_lshl_or_b32 v16, v16, 7, v24
	v_cvt_f32_f16_e32 v33, v16
.LBB319_694:                            ;   in Loop: Header=BB319_404 Depth=1
	s_or_b64 exec, exec, s[28:29]
.LBB319_695:                            ;   in Loop: Header=BB319_404 Depth=1
	s_or_b64 exec, exec, s[26:27]
.LBB319_696:                            ;   in Loop: Header=BB319_404 Depth=1
	s_or_b64 exec, exec, s[24:25]
	v_cmp_lt_u64_e64 s[6:7], s[12:13], v[38:39]
	s_and_saveexec_b64 s[24:25], s[6:7]
	s_cbranch_execz .LBB319_702
; %bb.697:                              ;   in Loop: Header=BB319_404 Depth=1
	v_lshrrev_b32_e32 v24, 24, v39
	v_cmp_ne_u32_e64 s[6:7], s9, v24
	v_bfrev_b32_e32 v27, 1
	s_and_saveexec_b64 s[26:27], s[6:7]
	s_cbranch_execz .LBB319_701
; %bb.698:                              ;   in Loop: Header=BB319_404 Depth=1
	v_and_b32_e32 v38, 0x7f, v24
	v_cmp_ne_u32_e64 s[6:7], s15, v38
	v_mov_b32_e32 v27, 0x7fc02000
	s_and_saveexec_b64 s[28:29], s[6:7]
	s_cbranch_execz .LBB319_700
; %bb.699:                              ;   in Loop: Header=BB319_404 Depth=1
	v_and_b32_e32 v16, 7, v24
	v_ffbh_u32_e32 v39, v16
	v_min_u32_e32 v39, 32, v39
	v_lshrrev_b32_e32 v27, 3, v38
	v_subrev_u32_e32 v47, 28, v39
	v_sub_u32_e32 v39, 29, v39
	v_cmp_gt_u32_e64 s[6:7], 8, v38
	v_lshlrev_b64 v[56:57], v47, v[24:25]
	v_cndmask_b32_e64 v27, v27, v39, s[6:7]
	v_and_b32_e32 v47, 7, v56
	v_lshlrev_b32_e32 v24, 8, v24
	v_lshl_add_u32 v27, v27, 10, v53
	v_cndmask_b32_e64 v16, v16, v47, s[6:7]
	v_and_or_b32 v24, v24, s19, v27
	v_lshl_or_b32 v16, v16, 7, v24
	v_cvt_f32_f16_e32 v27, v16
.LBB319_700:                            ;   in Loop: Header=BB319_404 Depth=1
	s_or_b64 exec, exec, s[28:29]
.LBB319_701:                            ;   in Loop: Header=BB319_404 Depth=1
	s_or_b64 exec, exec, s[26:27]
.LBB319_702:                            ;   in Loop: Header=BB319_404 Depth=1
	s_or_b64 exec, exec, s[24:25]
	v_pk_mul_f32 v[36:37], v[32:33], v[36:37] op_sel_hi:[0,1]
	v_pk_mul_f32 v[34:35], v[32:33], v[34:35] op_sel_hi:[0,1]
	v_cvt_f16_f32_e32 v16, v37
	v_cvt_f16_f32_e32 v24, v36
	v_cvt_f16_f32_e32 v35, v35
	v_cvt_f16_f32_e32 v34, v34
	v_fma_mixlo_f16 v6, v32, v6, 0
	v_pack_b32_f16 v16, v24, v16
	v_fma_mixlo_f16 v33, v32, v33, 0
	v_pack_b32_f16 v34, v34, v35
	v_perm_b32 v24, v34, v16, s35
	v_perm_b32 v34, v34, v16, s36
	v_fma_mixlo_f16 v16, v32, v26, 0
	v_lshlrev_b32_e32 v16, 16, v16
	v_or_b32_sdwa v6, v16, v6 dst_sel:DWORD dst_unused:UNUSED_PAD src0_sel:DWORD src1_sel:WORD_0
	v_fma_mixlo_f16 v16, v32, v27, 0
	v_lshlrev_b32_e32 v16, 16, v16
	v_or_b32_sdwa v26, v16, v33 dst_sel:DWORD dst_unused:UNUSED_PAD src0_sel:DWORD src1_sel:WORD_0
	s_and_saveexec_b64 s[24:25], s[4:5]
	s_cbranch_execz .LBB319_704
; %bb.703:                              ;   in Loop: Header=BB319_404 Depth=1
	v_add_u32_e32 v16, 1, v7
	v_lshrrev_b32_e32 v27, 16, v34
	v_cmp_lt_i32_e64 s[6:7], v16, v17
	v_accvgpr_read_b32 v36, a8
	v_cndmask_b32_e64 v16, 0, v27, s[6:7]
	v_cmp_lt_i32_e64 s[6:7], v7, v36
	v_cndmask_b32_e64 v27, 0, v34, s[6:7]
	v_perm_b32 v34, v16, v27, s37
	v_or_b32_e32 v16, 3, v7
	v_or_b32_e32 v27, 2, v7
	v_lshrrev_b32_e32 v32, 16, v24
	v_cmp_lt_i32_e64 s[6:7], v16, v17
	v_cndmask_b32_e64 v16, 0, v32, s[6:7]
	v_cmp_lt_i32_e64 s[6:7], v27, v36
	v_cndmask_b32_e64 v24, 0, v24, s[6:7]
	v_perm_b32 v24, v16, v24, s37
	v_or_b32_e32 v16, 5, v7
	v_or_b32_e32 v27, 4, v7
	v_lshrrev_b32_e32 v32, 16, v6
	v_cmp_lt_i32_e64 s[6:7], v16, v17
	;; [unrolled: 8-line block ×3, first 2 shown]
	v_cndmask_b32_e64 v16, 0, v26, s[6:7]
	v_cmp_lt_i32_e64 s[6:7], v27, v36
	v_cndmask_b32_e64 v26, 0, v33, s[6:7]
	v_perm_b32 v26, v16, v26, s37
.LBB319_704:                            ;   in Loop: Header=BB319_404 Depth=1
	s_or_b64 exec, exec, s[24:25]
	;;#ASMSTART
	v_pk_mul_f16 v16, v41, v34;

	;;#ASMEND
	;;#ASMSTART
	v_pk_mul_f16 v24, v40, v24;

	;;#ASMEND
	;; [unrolled: 4-line block ×4, first 2 shown]
	;;#ASMSTART
	v_pk_add_f16 v16, v16, v24;

	;;#ASMEND
	;;#ASMSTART
	v_pk_add_f16 v6, v16, v6;

	;;#ASMEND
	;; [unrolled: 4-line block ×3, first 2 shown]
	v_lshrrev_b32_e32 v16, 16, v6
	v_and_b32_e32 v6, 0xffff, v6
	;;#ASMSTART
	v_cvt_f32_f16 v26, v6;
	;;#ASMEND
	;;#ASMSTART
	v_cvt_f32_f16 v27, v16;
	;;#ASMEND
	flat_load_dwordx2 v[36:37], v[30:31] offset:3072
	v_accvgpr_read_b32 v31, a5
	v_accvgpr_read_b32 v30, a4
	flat_load_dword v30, v[30:31]
	v_mov_b32_e32 v34, 0
	v_mov_b32_e32 v32, 0
	s_waitcnt vmcnt(0) lgkmcnt(0)
	v_cmp_ne_u16_sdwa s[6:7], v36, v25 src0_sel:BYTE_0 src1_sel:DWORD
	s_and_saveexec_b64 s[24:25], s[6:7]
	s_cbranch_execz .LBB319_710
; %bb.705:                              ;   in Loop: Header=BB319_404 Depth=1
	v_cmp_ne_u16_sdwa s[6:7], v36, s9 src0_sel:BYTE_0 src1_sel:DWORD
	v_bfrev_b32_e32 v32, 1
	s_and_saveexec_b64 s[26:27], s[6:7]
	s_cbranch_execz .LBB319_709
; %bb.706:                              ;   in Loop: Header=BB319_404 Depth=1
	v_and_b32_e32 v6, 0x7f, v36
	v_cmp_ne_u32_e64 s[6:7], s15, v6
	v_mov_b32_e32 v32, 0x7fc02000
	s_and_saveexec_b64 s[28:29], s[6:7]
	s_cbranch_execz .LBB319_708
; %bb.707:                              ;   in Loop: Header=BB319_404 Depth=1
	v_and_b32_e32 v16, 7, v36
	v_ffbh_u32_e32 v16, v16
	v_min_u32_e32 v16, 32, v16
	v_subrev_u32_e32 v31, 28, v16
	v_cmp_gt_u32_e64 s[6:7], 8, v6
	v_lshrrev_b32_e32 v24, 3, v6
	v_sub_u32_e32 v16, 29, v16
	v_cndmask_b32_e64 v6, 0, v31, s[6:7]
	v_lshlrev_b64 v[32:33], v6, v[36:37]
	v_cndmask_b32_e64 v6, v24, v16, s[6:7]
	v_lshlrev_b32_e32 v24, 8, v36
	v_lshl_add_u32 v6, v6, 10, v53
	v_lshlrev_b32_e32 v16, 7, v32
	v_and_or_b32 v6, v24, s19, v6
	v_and_or_b32 v6, v16, s34, v6
	v_cvt_f32_f16_e32 v32, v6
.LBB319_708:                            ;   in Loop: Header=BB319_404 Depth=1
	s_or_b64 exec, exec, s[28:29]
.LBB319_709:                            ;   in Loop: Header=BB319_404 Depth=1
	s_or_b64 exec, exec, s[26:27]
.LBB319_710:                            ;   in Loop: Header=BB319_404 Depth=1
	s_or_b64 exec, exec, s[24:25]
	v_lshrrev_b16_e32 v24, 8, v36
	v_cmp_ne_u16_e64 s[6:7], 0, v24
	s_and_saveexec_b64 s[24:25], s[6:7]
	s_cbranch_execz .LBB319_716
; %bb.711:                              ;   in Loop: Header=BB319_404 Depth=1
	v_cmp_ne_u16_e64 s[6:7], s9, v24
	v_bfrev_b32_e32 v34, 1
	s_and_saveexec_b64 s[26:27], s[6:7]
	s_cbranch_execz .LBB319_715
; %bb.712:                              ;   in Loop: Header=BB319_404 Depth=1
	v_and_b32_e32 v6, 0x7f, v24
	v_cmp_ne_u32_e64 s[6:7], s15, v6
	v_mov_b32_e32 v34, 0x7fc02000
	s_and_saveexec_b64 s[28:29], s[6:7]
	s_cbranch_execz .LBB319_714
; %bb.713:                              ;   in Loop: Header=BB319_404 Depth=1
	v_and_b32_e32 v16, 7, v24
	v_ffbh_u32_e32 v33, v16
	v_min_u32_e32 v33, 32, v33
	v_lshrrev_b32_e32 v31, 3, v6
	v_subrev_u32_e32 v34, 28, v33
	v_sub_u32_e32 v33, 29, v33
	v_cmp_gt_u32_e64 s[6:7], 8, v6
	v_lshlrev_b64 v[34:35], v34, v[24:25]
	v_cndmask_b32_e64 v6, v31, v33, s[6:7]
	v_and_b32_e32 v34, 7, v34
	v_lshlrev_b32_e32 v24, 8, v24
	v_lshl_add_u32 v6, v6, 10, v53
	v_cndmask_b32_e64 v16, v16, v34, s[6:7]
	v_and_or_b32 v6, v24, s19, v6
	v_lshl_or_b32 v6, v16, 7, v6
	v_cvt_f32_f16_e32 v34, v6
.LBB319_714:                            ;   in Loop: Header=BB319_404 Depth=1
	s_or_b64 exec, exec, s[28:29]
.LBB319_715:                            ;   in Loop: Header=BB319_404 Depth=1
	s_or_b64 exec, exec, s[26:27]
.LBB319_716:                            ;   in Loop: Header=BB319_404 Depth=1
	s_or_b64 exec, exec, s[24:25]
	v_lshrrev_b32_e32 v24, 16, v36
	v_cmp_ne_u16_sdwa s[6:7], v24, v25 src0_sel:BYTE_0 src1_sel:DWORD
	v_mov_b32_e32 v35, 0
	v_mov_b32_e32 v33, 0
	s_and_saveexec_b64 s[24:25], s[6:7]
	s_cbranch_execz .LBB319_722
; %bb.717:                              ;   in Loop: Header=BB319_404 Depth=1
	v_cmp_ne_u16_sdwa s[6:7], v24, s9 src0_sel:BYTE_0 src1_sel:DWORD
	v_bfrev_b32_e32 v33, 1
	s_and_saveexec_b64 s[26:27], s[6:7]
	s_cbranch_execz .LBB319_721
; %bb.718:                              ;   in Loop: Header=BB319_404 Depth=1
	v_bfe_u32 v6, v36, 16, 7
	v_cmp_ne_u32_e64 s[6:7], s15, v6
	v_mov_b32_e32 v33, 0x7fc02000
	s_and_saveexec_b64 s[28:29], s[6:7]
	s_cbranch_execz .LBB319_720
; %bb.719:                              ;   in Loop: Header=BB319_404 Depth=1
	v_and_b32_e32 v16, 7, v24
	v_ffbh_u32_e32 v33, v16
	v_min_u32_e32 v33, 32, v33
	v_lshrrev_b32_e32 v31, 3, v6
	v_subrev_u32_e32 v38, 28, v33
	v_sub_u32_e32 v33, 29, v33
	v_cmp_gt_u32_e64 s[6:7], 8, v6
	v_lshlrev_b64 v[38:39], v38, v[24:25]
	v_cndmask_b32_e64 v6, v31, v33, s[6:7]
	v_and_b32_e32 v38, 7, v38
	v_lshlrev_b32_e32 v24, 8, v24
	v_lshl_add_u32 v6, v6, 10, v53
	v_cndmask_b32_e64 v16, v16, v38, s[6:7]
	v_and_or_b32 v6, v24, s19, v6
	v_lshl_or_b32 v6, v16, 7, v6
	v_cvt_f32_f16_e32 v33, v6
.LBB319_720:                            ;   in Loop: Header=BB319_404 Depth=1
	s_or_b64 exec, exec, s[28:29]
.LBB319_721:                            ;   in Loop: Header=BB319_404 Depth=1
	s_or_b64 exec, exec, s[26:27]
.LBB319_722:                            ;   in Loop: Header=BB319_404 Depth=1
	s_or_b64 exec, exec, s[24:25]
	v_cmp_lt_u32_e64 s[6:7], s13, v36
	s_and_saveexec_b64 s[24:25], s[6:7]
	s_cbranch_execz .LBB319_728
; %bb.723:                              ;   in Loop: Header=BB319_404 Depth=1
	v_lshrrev_b32_e32 v24, 24, v36
	v_cmp_ne_u32_e64 s[6:7], s9, v24
	v_bfrev_b32_e32 v35, 1
	s_and_saveexec_b64 s[26:27], s[6:7]
	s_cbranch_execz .LBB319_727
; %bb.724:                              ;   in Loop: Header=BB319_404 Depth=1
	v_and_b32_e32 v6, 0x7f, v24
	v_cmp_ne_u32_e64 s[6:7], s15, v6
	v_mov_b32_e32 v35, 0x7fc02000
	s_and_saveexec_b64 s[28:29], s[6:7]
	s_cbranch_execz .LBB319_726
; %bb.725:                              ;   in Loop: Header=BB319_404 Depth=1
	v_and_b32_e32 v16, 7, v24
	v_ffbh_u32_e32 v35, v16
	v_min_u32_e32 v35, 32, v35
	v_lshrrev_b32_e32 v31, 3, v6
	v_subrev_u32_e32 v38, 28, v35
	v_sub_u32_e32 v35, 29, v35
	v_cmp_gt_u32_e64 s[6:7], 8, v6
	v_lshlrev_b64 v[38:39], v38, v[24:25]
	v_cndmask_b32_e64 v6, v31, v35, s[6:7]
	v_and_b32_e32 v38, 7, v38
	v_lshlrev_b32_e32 v24, 8, v24
	v_lshl_add_u32 v6, v6, 10, v53
	v_cndmask_b32_e64 v16, v16, v38, s[6:7]
	v_and_or_b32 v6, v24, s19, v6
	v_lshl_or_b32 v6, v16, 7, v6
	v_cvt_f32_f16_e32 v35, v6
.LBB319_726:                            ;   in Loop: Header=BB319_404 Depth=1
	s_or_b64 exec, exec, s[28:29]
.LBB319_727:                            ;   in Loop: Header=BB319_404 Depth=1
	s_or_b64 exec, exec, s[26:27]
.LBB319_728:                            ;   in Loop: Header=BB319_404 Depth=1
	s_or_b64 exec, exec, s[24:25]
	v_mov_b32_e32 v24, v37
	v_cmp_ne_u16_sdwa s[6:7], v37, v25 src0_sel:BYTE_0 src1_sel:DWORD
	v_mov_b32_e32 v31, 0
	v_mov_b32_e32 v6, 0
	s_and_saveexec_b64 s[24:25], s[6:7]
	s_cbranch_execz .LBB319_734
; %bb.729:                              ;   in Loop: Header=BB319_404 Depth=1
	v_cmp_ne_u16_sdwa s[6:7], v37, s9 src0_sel:BYTE_0 src1_sel:DWORD
	v_bfrev_b32_e32 v6, 1
	s_and_saveexec_b64 s[26:27], s[6:7]
	s_cbranch_execz .LBB319_733
; %bb.730:                              ;   in Loop: Header=BB319_404 Depth=1
	v_and_b32_e32 v38, 0x7f, v37
	v_cmp_ne_u32_e64 s[6:7], s15, v38
	v_mov_b32_e32 v6, 0x7fc02000
	s_and_saveexec_b64 s[28:29], s[6:7]
	s_cbranch_execz .LBB319_732
; %bb.731:                              ;   in Loop: Header=BB319_404 Depth=1
	v_and_b32_e32 v6, 7, v37
	v_ffbh_u32_e32 v6, v6
	v_min_u32_e32 v6, 32, v6
	v_subrev_u32_e32 v39, 28, v6
	v_cmp_gt_u32_e64 s[6:7], 8, v38
	v_lshrrev_b32_e32 v16, 3, v38
	v_sub_u32_e32 v6, 29, v6
	v_cndmask_b32_e64 v38, 0, v39, s[6:7]
	v_lshlrev_b64 v[38:39], v38, v[24:25]
	v_cndmask_b32_e64 v6, v16, v6, s[6:7]
	v_lshlrev_b32_e32 v16, 7, v38
	v_lshlrev_b32_e32 v38, 8, v37
	v_lshl_add_u32 v6, v6, 10, v53
	v_and_or_b32 v6, v38, s19, v6
	v_and_or_b32 v6, v16, s34, v6
	v_cvt_f32_f16_e32 v6, v6
.LBB319_732:                            ;   in Loop: Header=BB319_404 Depth=1
	s_or_b64 exec, exec, s[28:29]
.LBB319_733:                            ;   in Loop: Header=BB319_404 Depth=1
	s_or_b64 exec, exec, s[26:27]
.LBB319_734:                            ;   in Loop: Header=BB319_404 Depth=1
	s_or_b64 exec, exec, s[24:25]
	v_lshrrev_b16_e32 v24, 8, v24
	v_cmp_ne_u16_e64 s[6:7], 0, v24
	s_and_saveexec_b64 s[24:25], s[6:7]
	s_cbranch_execz .LBB319_740
; %bb.735:                              ;   in Loop: Header=BB319_404 Depth=1
	v_cmp_ne_u16_e64 s[6:7], s9, v24
	v_bfrev_b32_e32 v31, 1
	s_and_saveexec_b64 s[26:27], s[6:7]
	s_cbranch_execz .LBB319_739
; %bb.736:                              ;   in Loop: Header=BB319_404 Depth=1
	v_and_b32_e32 v38, 0x7f, v24
	v_cmp_ne_u32_e64 s[6:7], s15, v38
	v_mov_b32_e32 v31, 0x7fc02000
	s_and_saveexec_b64 s[28:29], s[6:7]
	s_cbranch_execz .LBB319_738
; %bb.737:                              ;   in Loop: Header=BB319_404 Depth=1
	v_and_b32_e32 v16, 7, v24
	v_ffbh_u32_e32 v39, v16
	v_min_u32_e32 v39, 32, v39
	v_lshrrev_b32_e32 v31, 3, v38
	v_subrev_u32_e32 v47, 28, v39
	v_sub_u32_e32 v39, 29, v39
	v_cmp_gt_u32_e64 s[6:7], 8, v38
	v_lshlrev_b64 v[56:57], v47, v[24:25]
	v_cndmask_b32_e64 v31, v31, v39, s[6:7]
	v_and_b32_e32 v47, 7, v56
	v_lshlrev_b32_e32 v24, 8, v24
	v_lshl_add_u32 v31, v31, 10, v53
	v_cndmask_b32_e64 v16, v16, v47, s[6:7]
	v_and_or_b32 v24, v24, s19, v31
	v_lshl_or_b32 v16, v16, 7, v24
	v_cvt_f32_f16_e32 v31, v16
.LBB319_738:                            ;   in Loop: Header=BB319_404 Depth=1
	s_or_b64 exec, exec, s[28:29]
.LBB319_739:                            ;   in Loop: Header=BB319_404 Depth=1
	s_or_b64 exec, exec, s[26:27]
.LBB319_740:                            ;   in Loop: Header=BB319_404 Depth=1
	s_or_b64 exec, exec, s[24:25]
	v_lshrrev_b32_e32 v24, 16, v37
	v_cmp_ne_u16_sdwa s[6:7], v24, v25 src0_sel:BYTE_0 src1_sel:DWORD
	v_mov_b32_e32 v38, 0
	v_mov_b32_e32 v39, 0
	s_and_saveexec_b64 s[24:25], s[6:7]
	s_cbranch_execz .LBB319_746
; %bb.741:                              ;   in Loop: Header=BB319_404 Depth=1
	v_cmp_ne_u16_sdwa s[6:7], v24, s9 src0_sel:BYTE_0 src1_sel:DWORD
	v_bfrev_b32_e32 v39, 1
	s_and_saveexec_b64 s[26:27], s[6:7]
	s_cbranch_execz .LBB319_745
; %bb.742:                              ;   in Loop: Header=BB319_404 Depth=1
	v_bfe_u32 v47, v37, 16, 7
	v_cmp_ne_u32_e64 s[6:7], s15, v47
	v_mov_b32_e32 v39, 0x7fc02000
	s_and_saveexec_b64 s[28:29], s[6:7]
	s_cbranch_execz .LBB319_744
; %bb.743:                              ;   in Loop: Header=BB319_404 Depth=1
	v_and_b32_e32 v16, 7, v24
	v_ffbh_u32_e32 v56, v16
	v_min_u32_e32 v58, 32, v56
	v_subrev_u32_e32 v56, 28, v58
	v_lshlrev_b64 v[56:57], v56, v[24:25]
	v_lshrrev_b32_e32 v39, 3, v47
	v_sub_u32_e32 v57, 29, v58
	v_cmp_gt_u32_e64 s[6:7], 8, v47
	v_cndmask_b32_e64 v39, v39, v57, s[6:7]
	v_and_b32_e32 v56, 7, v56
	v_lshlrev_b32_e32 v24, 8, v24
	v_lshl_add_u32 v39, v39, 10, v53
	v_cndmask_b32_e64 v16, v16, v56, s[6:7]
	v_and_or_b32 v24, v24, s19, v39
	v_lshl_or_b32 v16, v16, 7, v24
	v_cvt_f32_f16_e32 v39, v16
.LBB319_744:                            ;   in Loop: Header=BB319_404 Depth=1
	s_or_b64 exec, exec, s[28:29]
.LBB319_745:                            ;   in Loop: Header=BB319_404 Depth=1
	s_or_b64 exec, exec, s[26:27]
.LBB319_746:                            ;   in Loop: Header=BB319_404 Depth=1
	s_or_b64 exec, exec, s[24:25]
	v_cmp_lt_u64_e64 s[6:7], s[12:13], v[36:37]
	s_and_saveexec_b64 s[24:25], s[6:7]
	s_cbranch_execz .LBB319_752
; %bb.747:                              ;   in Loop: Header=BB319_404 Depth=1
	v_lshrrev_b32_e32 v24, 24, v37
	v_cmp_ne_u32_e64 s[6:7], s9, v24
	v_bfrev_b32_e32 v38, 1
	s_and_saveexec_b64 s[26:27], s[6:7]
	s_cbranch_execz .LBB319_751
; %bb.748:                              ;   in Loop: Header=BB319_404 Depth=1
	v_and_b32_e32 v36, 0x7f, v24
	v_cmp_ne_u32_e64 s[6:7], s15, v36
	v_mov_b32_e32 v38, 0x7fc02000
	s_and_saveexec_b64 s[28:29], s[6:7]
	s_cbranch_execz .LBB319_750
; %bb.749:                              ;   in Loop: Header=BB319_404 Depth=1
	v_and_b32_e32 v16, 7, v24
	v_ffbh_u32_e32 v38, v16
	v_min_u32_e32 v38, 32, v38
	v_lshrrev_b32_e32 v37, 3, v36
	v_subrev_u32_e32 v47, 28, v38
	v_sub_u32_e32 v38, 29, v38
	v_cmp_gt_u32_e64 s[6:7], 8, v36
	v_lshlrev_b64 v[56:57], v47, v[24:25]
	v_cndmask_b32_e64 v36, v37, v38, s[6:7]
	v_and_b32_e32 v47, 7, v56
	v_lshlrev_b32_e32 v24, 8, v24
	v_lshl_add_u32 v36, v36, 10, v53
	v_cndmask_b32_e64 v16, v16, v47, s[6:7]
	v_and_or_b32 v24, v24, s19, v36
	v_lshl_or_b32 v16, v16, 7, v24
	v_cvt_f32_f16_e32 v38, v16
.LBB319_750:                            ;   in Loop: Header=BB319_404 Depth=1
	s_or_b64 exec, exec, s[28:29]
.LBB319_751:                            ;   in Loop: Header=BB319_404 Depth=1
	s_or_b64 exec, exec, s[26:27]
.LBB319_752:                            ;   in Loop: Header=BB319_404 Depth=1
	s_or_b64 exec, exec, s[24:25]
	v_pk_mul_f32 v[34:35], v[30:31], v[34:35] op_sel_hi:[0,1]
	v_pk_mul_f32 v[32:33], v[30:31], v[32:33] op_sel_hi:[0,1]
	v_cvt_f16_f32_e32 v16, v35
	v_cvt_f16_f32_e32 v24, v34
	;; [unrolled: 1-line block ×4, first 2 shown]
	v_fma_mixlo_f16 v6, v30, v6, 0
	v_pack_b32_f16 v16, v24, v16
	v_pack_b32_f16 v32, v32, v33
	v_perm_b32 v24, v32, v16, s35
	v_perm_b32 v32, v32, v16, s36
	v_fma_mixlo_f16 v16, v30, v31, 0
	v_lshlrev_b32_e32 v16, 16, v16
	v_or_b32_sdwa v6, v16, v6 dst_sel:DWORD dst_unused:UNUSED_PAD src0_sel:DWORD src1_sel:WORD_0
	v_fma_mixlo_f16 v16, v30, v38, 0
	v_fma_mixlo_f16 v31, v30, v39, 0
	v_lshlrev_b32_e32 v16, 16, v16
	v_or_b32_sdwa v30, v16, v31 dst_sel:DWORD dst_unused:UNUSED_PAD src0_sel:DWORD src1_sel:WORD_0
	s_and_saveexec_b64 s[24:25], s[4:5]
	s_cbranch_execz .LBB319_754
; %bb.753:                              ;   in Loop: Header=BB319_404 Depth=1
	v_add_u32_e32 v16, 1, v7
	v_lshrrev_b32_e32 v33, 16, v32
	v_cmp_lt_i32_e64 s[6:7], v16, v17
	v_accvgpr_read_b32 v36, a8
	v_cndmask_b32_e64 v16, 0, v33, s[6:7]
	v_cmp_lt_i32_e64 s[6:7], v7, v36
	v_cndmask_b32_e64 v32, 0, v32, s[6:7]
	v_perm_b32 v32, v16, v32, s37
	v_or_b32_e32 v16, 3, v7
	v_or_b32_e32 v33, 2, v7
	v_lshrrev_b32_e32 v34, 16, v24
	v_cmp_lt_i32_e64 s[6:7], v16, v17
	v_cndmask_b32_e64 v16, 0, v34, s[6:7]
	v_cmp_lt_i32_e64 s[6:7], v33, v36
	v_cndmask_b32_e64 v24, 0, v24, s[6:7]
	v_perm_b32 v24, v16, v24, s37
	v_or_b32_e32 v16, 5, v7
	v_or_b32_e32 v33, 4, v7
	v_lshrrev_b32_e32 v34, 16, v6
	v_cmp_lt_i32_e64 s[6:7], v16, v17
	;; [unrolled: 8-line block ×3, first 2 shown]
	v_cndmask_b32_e64 v16, 0, v30, s[6:7]
	v_cmp_lt_i32_e64 s[6:7], v33, v36
	v_cndmask_b32_e64 v30, 0, v31, s[6:7]
	v_perm_b32 v30, v16, v30, s37
.LBB319_754:                            ;   in Loop: Header=BB319_404 Depth=1
	s_or_b64 exec, exec, s[24:25]
	v_add_f32_e32 v4, v4, v5
	v_add_f32_e32 v8, v8, v4
	;; [unrolled: 1-line block ×11, first 2 shown]
	;;#ASMSTART
	v_pk_mul_f16 v4, v41, v32;

	;;#ASMEND
	v_add_f32_e32 v13, v13, v16
	;;#ASMSTART
	v_pk_mul_f16 v5, v40, v24;

	;;#ASMEND
	;;#ASMSTART
	v_pk_mul_f16 v6, v55, v6;

	;;#ASMEND
	;; [unrolled: 4-line block ×3, first 2 shown]
	;;#ASMSTART
	v_pk_add_f16 v4, v4, v5;

	;;#ASMEND
	;;#ASMSTART
	v_pk_add_f16 v4, v4, v6;

	;;#ASMEND
	;; [unrolled: 4-line block ×3, first 2 shown]
	v_lshrrev_b32_e32 v5, 16, v4
	v_and_b32_e32 v4, 0xffff, v4
	;;#ASMSTART
	v_cvt_f32_f16 v4, v4;
	;;#ASMEND
	;;#ASMSTART
	v_cvt_f32_f16 v5, v5;
	;;#ASMEND
	v_add_f32_e32 v4, v4, v5
	v_add_f32_e32 v0, v0, v4
	s_and_saveexec_b64 s[24:25], vcc
	s_cbranch_execz .LBB319_403
; %bb.755:                              ;   in Loop: Header=BB319_404 Depth=1
	v_add_co_u32_e64 v4, s[6:7], v18, v28
	v_addc_co_u32_e64 v5, s[6:7], 0, v19, s[6:7]
	flat_load_dwordx2 v[34:35], v[4:5]
	v_accvgpr_read_b32 v4, a4
	v_accvgpr_read_b32 v5, a5
	flat_load_dword v18, v[4:5]
	v_mov_b32_e32 v32, 0
	v_mov_b32_e32 v30, 0
	s_waitcnt vmcnt(0) lgkmcnt(0)
	v_cmp_ne_u16_sdwa s[6:7], v34, v25 src0_sel:BYTE_0 src1_sel:DWORD
	s_and_saveexec_b64 s[26:27], s[6:7]
	s_cbranch_execz .LBB319_761
; %bb.756:                              ;   in Loop: Header=BB319_404 Depth=1
	v_cmp_ne_u16_sdwa s[6:7], v34, s9 src0_sel:BYTE_0 src1_sel:DWORD
	v_bfrev_b32_e32 v30, 1
	s_and_saveexec_b64 s[28:29], s[6:7]
	s_cbranch_execz .LBB319_760
; %bb.757:                              ;   in Loop: Header=BB319_404 Depth=1
	v_and_b32_e32 v4, 0x7f, v34
	v_cmp_ne_u32_e64 s[6:7], s15, v4
	v_mov_b32_e32 v30, 0x7fc02000
	s_and_saveexec_b64 s[30:31], s[6:7]
	s_cbranch_execz .LBB319_759
; %bb.758:                              ;   in Loop: Header=BB319_404 Depth=1
	v_and_b32_e32 v5, 7, v34
	v_ffbh_u32_e32 v5, v5
	v_min_u32_e32 v5, 32, v5
	v_subrev_u32_e32 v16, 28, v5
	v_cmp_gt_u32_e64 s[6:7], 8, v4
	v_lshrrev_b32_e32 v6, 3, v4
	v_cndmask_b32_e64 v4, 0, v16, s[6:7]
	v_sub_u32_e32 v19, 29, v5
	v_lshlrev_b64 v[4:5], v4, v[34:35]
	v_cndmask_b32_e64 v5, v6, v19, s[6:7]
	v_lshlrev_b32_e32 v6, 8, v34
	v_lshl_add_u32 v5, v5, 10, v53
	v_lshlrev_b32_e32 v4, 7, v4
	v_and_or_b32 v5, v6, s19, v5
	v_and_or_b32 v4, v4, s34, v5
	v_cvt_f32_f16_e32 v30, v4
.LBB319_759:                            ;   in Loop: Header=BB319_404 Depth=1
	s_or_b64 exec, exec, s[30:31]
.LBB319_760:                            ;   in Loop: Header=BB319_404 Depth=1
	s_or_b64 exec, exec, s[28:29]
.LBB319_761:                            ;   in Loop: Header=BB319_404 Depth=1
	s_or_b64 exec, exec, s[26:27]
	v_lshrrev_b16_e32 v24, 8, v34
	v_cmp_ne_u16_e64 s[6:7], 0, v24
	s_and_saveexec_b64 s[26:27], s[6:7]
	s_cbranch_execz .LBB319_767
; %bb.762:                              ;   in Loop: Header=BB319_404 Depth=1
	v_cmp_ne_u16_e64 s[6:7], s9, v24
	v_bfrev_b32_e32 v32, 1
	s_and_saveexec_b64 s[28:29], s[6:7]
	s_cbranch_execz .LBB319_766
; %bb.763:                              ;   in Loop: Header=BB319_404 Depth=1
	v_and_b32_e32 v4, 0x7f, v24
	v_cmp_ne_u32_e64 s[6:7], s15, v4
	v_mov_b32_e32 v32, 0x7fc02000
	s_and_saveexec_b64 s[30:31], s[6:7]
	s_cbranch_execz .LBB319_765
; %bb.764:                              ;   in Loop: Header=BB319_404 Depth=1
	v_and_b32_e32 v5, 7, v24
	v_ffbh_u32_e32 v16, v5
	v_min_u32_e32 v16, 32, v16
	v_lshrrev_b32_e32 v6, 3, v4
	v_subrev_u32_e32 v19, 28, v16
	v_sub_u32_e32 v16, 29, v16
	v_cmp_gt_u32_e64 s[6:7], 8, v4
	v_lshlrev_b64 v[26:27], v19, v[24:25]
	v_cndmask_b32_e64 v4, v6, v16, s[6:7]
	v_and_b32_e32 v19, 7, v26
	v_lshlrev_b32_e32 v6, 8, v24
	v_lshl_add_u32 v4, v4, 10, v53
	v_cndmask_b32_e64 v5, v5, v19, s[6:7]
	v_and_or_b32 v4, v6, s19, v4
	v_lshl_or_b32 v4, v5, 7, v4
	v_cvt_f32_f16_e32 v32, v4
.LBB319_765:                            ;   in Loop: Header=BB319_404 Depth=1
	s_or_b64 exec, exec, s[30:31]
.LBB319_766:                            ;   in Loop: Header=BB319_404 Depth=1
	s_or_b64 exec, exec, s[28:29]
.LBB319_767:                            ;   in Loop: Header=BB319_404 Depth=1
	s_or_b64 exec, exec, s[26:27]
	v_lshrrev_b32_e32 v24, 16, v34
	v_cmp_ne_u16_sdwa s[6:7], v24, v25 src0_sel:BYTE_0 src1_sel:DWORD
	v_mov_b32_e32 v33, 0
	v_mov_b32_e32 v31, 0
	s_and_saveexec_b64 s[26:27], s[6:7]
	s_cbranch_execz .LBB319_773
; %bb.768:                              ;   in Loop: Header=BB319_404 Depth=1
	v_cmp_ne_u16_sdwa s[6:7], v24, s9 src0_sel:BYTE_0 src1_sel:DWORD
	v_bfrev_b32_e32 v31, 1
	s_and_saveexec_b64 s[28:29], s[6:7]
	s_cbranch_execz .LBB319_772
; %bb.769:                              ;   in Loop: Header=BB319_404 Depth=1
	v_bfe_u32 v4, v34, 16, 7
	v_cmp_ne_u32_e64 s[6:7], s15, v4
	v_mov_b32_e32 v31, 0x7fc02000
	s_and_saveexec_b64 s[30:31], s[6:7]
	s_cbranch_execz .LBB319_771
; %bb.770:                              ;   in Loop: Header=BB319_404 Depth=1
	v_and_b32_e32 v5, 7, v24
	v_ffbh_u32_e32 v16, v5
	v_min_u32_e32 v16, 32, v16
	v_lshrrev_b32_e32 v6, 3, v4
	v_subrev_u32_e32 v19, 28, v16
	v_sub_u32_e32 v16, 29, v16
	v_cmp_gt_u32_e64 s[6:7], 8, v4
	v_lshlrev_b64 v[26:27], v19, v[24:25]
	v_cndmask_b32_e64 v4, v6, v16, s[6:7]
	v_and_b32_e32 v19, 7, v26
	v_lshlrev_b32_e32 v6, 8, v24
	v_lshl_add_u32 v4, v4, 10, v53
	v_cndmask_b32_e64 v5, v5, v19, s[6:7]
	v_and_or_b32 v4, v6, s19, v4
	v_lshl_or_b32 v4, v5, 7, v4
	v_cvt_f32_f16_e32 v31, v4
.LBB319_771:                            ;   in Loop: Header=BB319_404 Depth=1
	s_or_b64 exec, exec, s[30:31]
.LBB319_772:                            ;   in Loop: Header=BB319_404 Depth=1
	s_or_b64 exec, exec, s[28:29]
.LBB319_773:                            ;   in Loop: Header=BB319_404 Depth=1
	s_or_b64 exec, exec, s[26:27]
	v_cmp_lt_u32_e64 s[6:7], s13, v34
	s_and_saveexec_b64 s[26:27], s[6:7]
	s_cbranch_execz .LBB319_779
; %bb.774:                              ;   in Loop: Header=BB319_404 Depth=1
	v_lshrrev_b32_e32 v24, 24, v34
	v_cmp_ne_u32_e64 s[6:7], s9, v24
	v_bfrev_b32_e32 v33, 1
	s_and_saveexec_b64 s[28:29], s[6:7]
	s_cbranch_execz .LBB319_778
; %bb.775:                              ;   in Loop: Header=BB319_404 Depth=1
	v_and_b32_e32 v4, 0x7f, v24
	v_cmp_ne_u32_e64 s[6:7], s15, v4
	v_mov_b32_e32 v33, 0x7fc02000
	s_and_saveexec_b64 s[30:31], s[6:7]
	s_cbranch_execz .LBB319_777
; %bb.776:                              ;   in Loop: Header=BB319_404 Depth=1
	v_and_b32_e32 v5, 7, v24
	v_ffbh_u32_e32 v16, v5
	v_min_u32_e32 v16, 32, v16
	v_lshrrev_b32_e32 v6, 3, v4
	v_subrev_u32_e32 v19, 28, v16
	v_sub_u32_e32 v16, 29, v16
	v_cmp_gt_u32_e64 s[6:7], 8, v4
	v_lshlrev_b64 v[26:27], v19, v[24:25]
	v_cndmask_b32_e64 v4, v6, v16, s[6:7]
	v_and_b32_e32 v19, 7, v26
	v_lshlrev_b32_e32 v6, 8, v24
	v_lshl_add_u32 v4, v4, 10, v53
	v_cndmask_b32_e64 v5, v5, v19, s[6:7]
	v_and_or_b32 v4, v6, s19, v4
	v_lshl_or_b32 v4, v5, 7, v4
	v_cvt_f32_f16_e32 v33, v4
.LBB319_777:                            ;   in Loop: Header=BB319_404 Depth=1
	s_or_b64 exec, exec, s[30:31]
.LBB319_778:                            ;   in Loop: Header=BB319_404 Depth=1
	s_or_b64 exec, exec, s[28:29]
.LBB319_779:                            ;   in Loop: Header=BB319_404 Depth=1
	s_or_b64 exec, exec, s[26:27]
	v_mov_b32_e32 v24, v35
	v_cmp_ne_u16_sdwa s[6:7], v35, v25 src0_sel:BYTE_0 src1_sel:DWORD
	v_mov_b32_e32 v5, 0
	v_mov_b32_e32 v4, 0
	s_and_saveexec_b64 s[26:27], s[6:7]
	s_cbranch_execz .LBB319_785
; %bb.780:                              ;   in Loop: Header=BB319_404 Depth=1
	v_cmp_ne_u16_sdwa s[6:7], v35, s9 src0_sel:BYTE_0 src1_sel:DWORD
	v_bfrev_b32_e32 v4, 1
	s_and_saveexec_b64 s[28:29], s[6:7]
	s_cbranch_execz .LBB319_784
; %bb.781:                              ;   in Loop: Header=BB319_404 Depth=1
	v_and_b32_e32 v6, 0x7f, v35
	v_cmp_ne_u32_e64 s[6:7], s15, v6
	v_mov_b32_e32 v4, 0x7fc02000
	s_and_saveexec_b64 s[30:31], s[6:7]
	s_cbranch_execz .LBB319_783
; %bb.782:                              ;   in Loop: Header=BB319_404 Depth=1
	v_and_b32_e32 v4, 7, v35
	v_ffbh_u32_e32 v4, v4
	v_min_u32_e32 v4, 32, v4
	v_lshrrev_b32_e32 v16, 3, v6
	v_subrev_u32_e32 v19, 28, v4
	v_sub_u32_e32 v4, 29, v4
	v_cmp_gt_u32_e64 s[6:7], 8, v6
	v_cndmask_b32_e64 v6, 0, v19, s[6:7]
	v_cndmask_b32_e64 v4, v16, v4, s[6:7]
	v_lshlrev_b64 v[26:27], v6, v[24:25]
	v_lshlrev_b32_e32 v16, 8, v35
	v_lshl_add_u32 v4, v4, 10, v53
	v_lshlrev_b32_e32 v6, 7, v26
	v_and_or_b32 v4, v16, s19, v4
	v_and_or_b32 v4, v6, s34, v4
	v_cvt_f32_f16_e32 v4, v4
.LBB319_783:                            ;   in Loop: Header=BB319_404 Depth=1
	s_or_b64 exec, exec, s[30:31]
.LBB319_784:                            ;   in Loop: Header=BB319_404 Depth=1
	s_or_b64 exec, exec, s[28:29]
.LBB319_785:                            ;   in Loop: Header=BB319_404 Depth=1
	s_or_b64 exec, exec, s[26:27]
	v_lshrrev_b16_e32 v24, 8, v24
	v_cmp_ne_u16_e64 s[6:7], 0, v24
	s_and_saveexec_b64 s[26:27], s[6:7]
	s_cbranch_execz .LBB319_791
; %bb.786:                              ;   in Loop: Header=BB319_404 Depth=1
	v_cmp_ne_u16_e64 s[6:7], s9, v24
	v_bfrev_b32_e32 v5, 1
	s_and_saveexec_b64 s[28:29], s[6:7]
	s_cbranch_execz .LBB319_790
; %bb.787:                              ;   in Loop: Header=BB319_404 Depth=1
	v_and_b32_e32 v6, 0x7f, v24
	v_cmp_ne_u32_e64 s[6:7], s15, v6
	v_mov_b32_e32 v5, 0x7fc02000
	s_and_saveexec_b64 s[30:31], s[6:7]
	s_cbranch_execz .LBB319_789
; %bb.788:                              ;   in Loop: Header=BB319_404 Depth=1
	v_and_b32_e32 v5, 7, v24
	v_ffbh_u32_e32 v19, v5
	v_min_u32_e32 v19, 32, v19
	v_lshrrev_b32_e32 v16, 3, v6
	v_subrev_u32_e32 v22, 28, v19
	v_sub_u32_e32 v19, 29, v19
	v_cmp_gt_u32_e64 s[6:7], 8, v6
	v_lshlrev_b64 v[26:27], v22, v[24:25]
	v_cndmask_b32_e64 v6, v16, v19, s[6:7]
	v_and_b32_e32 v22, 7, v26
	v_lshlrev_b32_e32 v16, 8, v24
	v_lshl_add_u32 v6, v6, 10, v53
	v_cndmask_b32_e64 v5, v5, v22, s[6:7]
	v_and_or_b32 v6, v16, s19, v6
	v_lshl_or_b32 v5, v5, 7, v6
	v_cvt_f32_f16_e32 v5, v5
.LBB319_789:                            ;   in Loop: Header=BB319_404 Depth=1
	s_or_b64 exec, exec, s[30:31]
.LBB319_790:                            ;   in Loop: Header=BB319_404 Depth=1
	s_or_b64 exec, exec, s[28:29]
.LBB319_791:                            ;   in Loop: Header=BB319_404 Depth=1
	s_or_b64 exec, exec, s[26:27]
	v_lshrrev_b32_e32 v24, 16, v35
	v_cmp_ne_u16_sdwa s[6:7], v24, v25 src0_sel:BYTE_0 src1_sel:DWORD
	v_mov_b32_e32 v6, 0
	v_mov_b32_e32 v19, 0
	s_and_saveexec_b64 s[26:27], s[6:7]
	s_cbranch_execz .LBB319_797
; %bb.792:                              ;   in Loop: Header=BB319_404 Depth=1
	v_cmp_ne_u16_sdwa s[6:7], v24, s9 src0_sel:BYTE_0 src1_sel:DWORD
	v_bfrev_b32_e32 v19, 1
	s_and_saveexec_b64 s[28:29], s[6:7]
	s_cbranch_execz .LBB319_796
; %bb.793:                              ;   in Loop: Header=BB319_404 Depth=1
	v_bfe_u32 v22, v35, 16, 7
	v_cmp_ne_u32_e64 s[6:7], s15, v22
	v_mov_b32_e32 v19, 0x7fc02000
	s_and_saveexec_b64 s[30:31], s[6:7]
	s_cbranch_execz .LBB319_795
; %bb.794:                              ;   in Loop: Header=BB319_404 Depth=1
	v_and_b32_e32 v16, 7, v24
	v_ffbh_u32_e32 v26, v16
	v_min_u32_e32 v36, 32, v26
	v_subrev_u32_e32 v26, 28, v36
	v_lshlrev_b64 v[26:27], v26, v[24:25]
	v_lshrrev_b32_e32 v19, 3, v22
	v_sub_u32_e32 v27, 29, v36
	v_cmp_gt_u32_e64 s[6:7], 8, v22
	v_cndmask_b32_e64 v19, v19, v27, s[6:7]
	v_and_b32_e32 v26, 7, v26
	v_lshlrev_b32_e32 v22, 8, v24
	v_lshl_add_u32 v19, v19, 10, v53
	v_cndmask_b32_e64 v16, v16, v26, s[6:7]
	v_and_or_b32 v19, v22, s19, v19
	v_lshl_or_b32 v16, v16, 7, v19
	v_cvt_f32_f16_e32 v19, v16
.LBB319_795:                            ;   in Loop: Header=BB319_404 Depth=1
	s_or_b64 exec, exec, s[30:31]
.LBB319_796:                            ;   in Loop: Header=BB319_404 Depth=1
	s_or_b64 exec, exec, s[28:29]
.LBB319_797:                            ;   in Loop: Header=BB319_404 Depth=1
	s_or_b64 exec, exec, s[26:27]
	v_cmp_lt_u64_e64 s[6:7], s[12:13], v[34:35]
	s_and_saveexec_b64 s[26:27], s[6:7]
	s_cbranch_execz .LBB319_803
; %bb.798:                              ;   in Loop: Header=BB319_404 Depth=1
	v_lshrrev_b32_e32 v24, 24, v35
	v_cmp_ne_u32_e64 s[6:7], s9, v24
	v_bfrev_b32_e32 v6, 1
	s_and_saveexec_b64 s[28:29], s[6:7]
	s_cbranch_execz .LBB319_802
; %bb.799:                              ;   in Loop: Header=BB319_404 Depth=1
	v_and_b32_e32 v22, 0x7f, v24
	v_cmp_ne_u32_e64 s[6:7], s15, v22
	v_mov_b32_e32 v6, 0x7fc02000
	s_and_saveexec_b64 s[30:31], s[6:7]
	s_cbranch_execz .LBB319_801
; %bb.800:                              ;   in Loop: Header=BB319_404 Depth=1
	v_and_b32_e32 v6, 7, v24
	v_ffbh_u32_e32 v26, v6
	v_min_u32_e32 v34, 32, v26
	v_subrev_u32_e32 v26, 28, v34
	v_lshlrev_b64 v[26:27], v26, v[24:25]
	v_lshrrev_b32_e32 v16, 3, v22
	v_sub_u32_e32 v27, 29, v34
	v_cmp_gt_u32_e64 s[6:7], 8, v22
	v_cndmask_b32_e64 v16, v16, v27, s[6:7]
	v_and_b32_e32 v26, 7, v26
	v_lshlrev_b32_e32 v22, 8, v24
	v_lshl_add_u32 v16, v16, 10, v53
	v_cndmask_b32_e64 v6, v6, v26, s[6:7]
	v_and_or_b32 v16, v22, s19, v16
	v_lshl_or_b32 v6, v6, 7, v16
	v_cvt_f32_f16_e32 v6, v6
.LBB319_801:                            ;   in Loop: Header=BB319_404 Depth=1
	s_or_b64 exec, exec, s[30:31]
.LBB319_802:                            ;   in Loop: Header=BB319_404 Depth=1
	s_or_b64 exec, exec, s[28:29]
.LBB319_803:                            ;   in Loop: Header=BB319_404 Depth=1
	s_or_b64 exec, exec, s[26:27]
	v_pk_mul_f32 v[26:27], v[18:19], v[32:33] op_sel_hi:[0,1]
	v_pk_mul_f32 v[30:31], v[18:19], v[30:31] op_sel_hi:[0,1]
	v_cvt_f16_f32_e32 v16, v27
	v_cvt_f16_f32_e32 v22, v26
	;; [unrolled: 1-line block ×4, first 2 shown]
	v_fma_mixlo_f16 v5, v18, v5, 0
	v_lshlrev_b32_e32 v5, 16, v5
	v_fma_mixlo_f16 v4, v18, v4, 0
	v_or_b32_sdwa v4, v5, v4 dst_sel:DWORD dst_unused:UNUSED_PAD src0_sel:DWORD src1_sel:WORD_0
	v_fma_mixlo_f16 v5, v18, v6, 0
	v_pack_b32_f16 v16, v22, v16
	v_pack_b32_f16 v24, v26, v24
	v_fma_mixlo_f16 v19, v18, v19, 0
	v_lshlrev_b32_e32 v5, 16, v5
	v_perm_b32 v22, v24, v16, s35
	v_perm_b32 v24, v24, v16, s36
	v_or_b32_sdwa v5, v5, v19 dst_sel:DWORD dst_unused:UNUSED_PAD src0_sel:DWORD src1_sel:WORD_0
	s_and_saveexec_b64 s[6:7], s[4:5]
	s_cbranch_execz .LBB319_402
; %bb.804:                              ;   in Loop: Header=BB319_404 Depth=1
	v_add_u32_e32 v6, 1, v7
	v_lshrrev_b32_e32 v16, 16, v24
	v_cmp_lt_i32_e64 s[4:5], v6, v17
	v_accvgpr_read_b32 v26, a8
	v_cndmask_b32_e64 v6, 0, v16, s[4:5]
	v_cmp_lt_i32_e64 s[4:5], v7, v26
	v_cndmask_b32_e64 v16, 0, v24, s[4:5]
	v_perm_b32 v24, v6, v16, s37
	v_or_b32_e32 v6, 3, v7
	v_or_b32_e32 v16, 2, v7
	v_lshrrev_b32_e32 v18, 16, v22
	v_cmp_lt_i32_e64 s[4:5], v6, v17
	v_cndmask_b32_e64 v6, 0, v18, s[4:5]
	v_cmp_lt_i32_e64 s[4:5], v16, v26
	v_cndmask_b32_e64 v16, 0, v22, s[4:5]
	v_perm_b32 v22, v6, v16, s37
	v_or_b32_e32 v6, 5, v7
	v_or_b32_e32 v16, 4, v7
	v_lshrrev_b32_e32 v18, 16, v4
	v_cmp_lt_i32_e64 s[4:5], v6, v17
	;; [unrolled: 8-line block ×3, first 2 shown]
	v_cndmask_b32_e64 v5, 0, v5, s[4:5]
	v_cmp_lt_i32_e64 s[4:5], v16, v26
	v_cndmask_b32_e64 v6, 0, v19, s[4:5]
	v_perm_b32 v5, v5, v6, s37
	s_branch .LBB319_402
.LBB319_805:
	s_or_b64 exec, exec, s[22:23]
.LBB319_806:
	s_or_b64 exec, exec, s[10:11]
	ds_bpermute_b32 v6, v21, v8
	ds_bpermute_b32 v7, v21, v9
	;; [unrolled: 1-line block ×6, first 2 shown]
	s_waitcnt lgkmcnt(0)
	v_pk_add_f32 v[6:7], v[8:9], v[6:7]
	ds_bpermute_b32 v8, v21, v2
	ds_bpermute_b32 v9, v21, v3
	v_pk_add_f32 v[4:5], v[12:13], v[4:5]
	ds_bpermute_b32 v10, v23, v4
	ds_bpermute_b32 v11, v23, v5
	v_pk_add_f32 v[0:1], v[0:1], v[14:15]
	s_waitcnt lgkmcnt(0)
	v_pk_add_f32 v[2:3], v[2:3], v[8:9]
	ds_bpermute_b32 v12, v23, v6
	ds_bpermute_b32 v13, v23, v7
	;; [unrolled: 1-line block ×6, first 2 shown]
	v_pk_add_f32 v[8:9], v[4:5], v[10:11]
	v_accvgpr_read_b32 v4, a2
	v_and_b32_e32 v4, 0x3c0, v4
	s_waitcnt lgkmcnt(0)
	v_pk_add_f32 v[6:7], v[6:7], v[12:13]
	v_pk_add_f32 v[2:3], v[2:3], v[16:17]
	;; [unrolled: 1-line block ×3, first 2 shown]
	v_cmp_eq_u32_e32 vcc, 64, v4
	s_barrier
	s_and_saveexec_b64 s[6:7], vcc
	s_cbranch_execz .LBB319_811
; %bb.807:
	v_cmp_eq_u32_e32 vcc, 0, v29
	s_and_saveexec_b64 s[4:5], vcc
	s_cbranch_execz .LBB319_809
; %bb.808:
	s_ashr_i32 s19, s18, 31
	s_lshl_b64 s[10:11], s[18:19], 2
	s_getpc_b64 s[12:13]
	s_add_u32 s12, s12, llvm.amdgcn.dynlds.offset.table@rel32@lo+4
	s_addc_u32 s13, s13, llvm.amdgcn.dynlds.offset.table@rel32@hi+12
	s_add_u32 s10, s10, s12
	s_addc_u32 s11, s11, s13
	s_load_dword s9, s[10:11], 0x0
	s_waitcnt lgkmcnt(0)
	v_lshl_add_u32 v4, v50, 2, s9
	ds_write2_b32 v4, v8, v9 offset1:16
	ds_write2_b32 v4, v6, v7 offset0:32 offset1:48
	ds_write2_b32 v4, v2, v3 offset0:64 offset1:80
	ds_write_b32 v4, v0 offset:384
.LBB319_809:
	s_or_b64 exec, exec, s[4:5]
	v_or_b32_e32 v4, 0x70, v50
	s_movk_i32 s4, 0x78
	v_cmp_gt_u32_e64 s[4:5], s4, v4
	s_and_b64 s[4:5], vcc, s[4:5]
	s_and_b64 exec, exec, s[4:5]
	s_cbranch_execz .LBB319_811
; %bb.810:
	s_ashr_i32 s19, s18, 31
	s_lshl_b64 s[4:5], s[18:19], 2
	s_getpc_b64 s[10:11]
	s_add_u32 s10, s10, llvm.amdgcn.dynlds.offset.table@rel32@lo+4
	s_addc_u32 s11, s11, llvm.amdgcn.dynlds.offset.table@rel32@hi+12
	s_add_u32 s4, s4, s10
	s_addc_u32 s5, s5, s11
	s_load_dword s4, s[4:5], 0x0
	s_waitcnt lgkmcnt(0)
	v_lshl_add_u32 v4, v50, 2, s4
	ds_write_b32 v4, v1 offset:448
.LBB319_811:
	s_or_b64 exec, exec, s[6:7]
	v_accvgpr_read_b32 v4, a2
	v_cmp_gt_u32_e32 vcc, 64, v4
	v_lshrrev_b32_e32 v4, 2, v4
	s_waitcnt lgkmcnt(0)
	s_barrier
	s_and_saveexec_b64 s[10:11], vcc
	s_cbranch_execz .LBB319_823
; %bb.812:
	v_cmp_eq_u32_e64 s[4:5], 0, v29
	s_and_saveexec_b64 s[6:7], s[4:5]
	s_cbranch_execnz .LBB319_829
; %bb.813:
	s_or_b64 exec, exec, s[6:7]
	s_and_saveexec_b64 s[6:7], s[4:5]
	s_cbranch_execnz .LBB319_830
.LBB319_814:
	s_or_b64 exec, exec, s[6:7]
	s_and_saveexec_b64 s[6:7], s[4:5]
	s_cbranch_execnz .LBB319_831
.LBB319_815:
	s_or_b64 exec, exec, s[6:7]
	s_and_saveexec_b64 s[6:7], s[4:5]
	s_cbranch_execnz .LBB319_832
.LBB319_816:
	s_or_b64 exec, exec, s[6:7]
	s_and_saveexec_b64 s[6:7], s[4:5]
	s_cbranch_execnz .LBB319_833
.LBB319_817:
	s_or_b64 exec, exec, s[6:7]
	s_and_saveexec_b64 s[6:7], s[4:5]
	s_cbranch_execnz .LBB319_834
.LBB319_818:
	s_or_b64 exec, exec, s[6:7]
	s_and_saveexec_b64 s[6:7], s[4:5]
	s_cbranch_execz .LBB319_820
.LBB319_819:
	s_ashr_i32 s19, s18, 31
	s_lshl_b64 s[12:13], s[18:19], 2
	s_getpc_b64 s[22:23]
	s_add_u32 s22, s22, llvm.amdgcn.dynlds.offset.table@rel32@lo+4
	s_addc_u32 s23, s23, llvm.amdgcn.dynlds.offset.table@rel32@hi+12
	s_add_u32 s12, s12, s22
	s_addc_u32 s13, s13, s23
	s_load_dword s9, s[12:13], 0x0
	s_waitcnt lgkmcnt(0)
	v_lshl_add_u32 v5, v4, 2, s9
	ds_read_b32 v5, v5 offset:384
	s_waitcnt lgkmcnt(0)
	v_add_f32_e32 v0, v0, v5
.LBB319_820:
	s_or_b64 exec, exec, s[6:7]
	v_or_b32_e32 v5, 0x70, v4
	s_movk_i32 s6, 0x78
	v_cmp_gt_u32_e64 s[6:7], s6, v5
	s_and_b64 s[6:7], s[4:5], s[6:7]
	s_and_saveexec_b64 s[4:5], s[6:7]
	s_cbranch_execz .LBB319_822
; %bb.821:
	s_ashr_i32 s19, s18, 31
	s_lshl_b64 s[6:7], s[18:19], 2
	s_getpc_b64 s[12:13]
	s_add_u32 s12, s12, llvm.amdgcn.dynlds.offset.table@rel32@lo+4
	s_addc_u32 s13, s13, llvm.amdgcn.dynlds.offset.table@rel32@hi+12
	s_add_u32 s6, s6, s12
	s_addc_u32 s7, s7, s13
	s_load_dword s6, s[6:7], 0x0
	s_waitcnt lgkmcnt(0)
	v_lshl_add_u32 v5, v4, 2, s6
	ds_read_b32 v5, v5 offset:448
	s_waitcnt lgkmcnt(0)
	v_add_f32_e32 v1, v1, v5
.LBB319_822:
	s_or_b64 exec, exec, s[4:5]
.LBB319_823:
	s_or_b64 exec, exec, s[10:11]
	s_barrier
	s_and_b64 exec, exec, vcc
	s_cbranch_execz .LBB319_828
; %bb.824:
	s_mul_i32 s4, s8, 0x78
	s_mul_i32 s6, s20, s21
	;; [unrolled: 1-line block ×3, first 2 shown]
	s_ashr_i32 s5, s4, 31
	s_ashr_i32 s7, s6, 31
	;; [unrolled: 1-line block ×3, first 2 shown]
	s_lshl_b64 s[4:5], s[4:5], 1
	s_lshl_b64 s[6:7], s[6:7], 1
	;; [unrolled: 1-line block ×3, first 2 shown]
	s_add_u32 s6, s10, s6
	s_addc_u32 s7, s11, s7
	s_add_u32 s4, s6, s4
	s_addc_u32 s5, s7, s5
	v_accvgpr_read_b32 v5, a1
	v_mov_b32_e32 v10, s5
	v_add_co_u32_e32 v5, vcc, s4, v5
	v_accvgpr_read_b32 v11, a0
	v_addc_co_u32_e32 v10, vcc, v10, v11, vcc
	s_movk_i32 s9, 0x78
	v_cmp_eq_u32_e32 vcc, 0, v29
	v_lshlrev_b32_e32 v11, 1, v4
	s_and_saveexec_b64 s[6:7], vcc
	s_cbranch_execz .LBB319_826
; %bb.825:
	v_add_co_u32_e64 v12, s[4:5], v5, v11
	v_addc_co_u32_e64 v13, s[4:5], 0, v10, s[4:5]
	;;#ASMSTART
	v_cvt_f16_f32 v8, v8;

	;;#ASMEND
	flat_store_short v[12:13], v8
	;;#ASMSTART
	v_cvt_f16_f32 v8, v9;

	;;#ASMEND
	flat_store_short v[12:13], v8 offset:32
	;;#ASMSTART
	v_cvt_f16_f32 v6, v6;

	;;#ASMEND
	flat_store_short v[12:13], v6 offset:64
	;; [unrolled: 5-line block ×6, first 2 shown]
.LBB319_826:
	s_or_b64 exec, exec, s[6:7]
	v_or_b32_e32 v0, 0x70, v4
	v_cmp_gt_u32_e64 s[4:5], s9, v0
	s_and_b64 s[4:5], vcc, s[4:5]
	s_and_b64 exec, exec, s[4:5]
	s_cbranch_execz .LBB319_828
; %bb.827:
	v_add_co_u32_e32 v2, vcc, v5, v11
	v_addc_co_u32_e32 v3, vcc, 0, v10, vcc
	;;#ASMSTART
	v_cvt_f16_f32 v0, v1;

	;;#ASMEND
	flat_store_short v[2:3], v0 offset:224
.LBB319_828:
	s_or_b64 exec, exec, s[16:17]
	buffer_load_dword a44, off, s[0:3], s32 ; 4-byte Folded Reload
	buffer_load_dword a43, off, s[0:3], s32 offset:4 ; 4-byte Folded Reload
	buffer_load_dword a42, off, s[0:3], s32 offset:8 ; 4-byte Folded Reload
	buffer_load_dword a41, off, s[0:3], s32 offset:12 ; 4-byte Folded Reload
	buffer_load_dword a40, off, s[0:3], s32 offset:16 ; 4-byte Folded Reload
	buffer_load_dword a39, off, s[0:3], s32 offset:20 ; 4-byte Folded Reload
	buffer_load_dword a38, off, s[0:3], s32 offset:24 ; 4-byte Folded Reload
	buffer_load_dword a37, off, s[0:3], s32 offset:28 ; 4-byte Folded Reload
	buffer_load_dword a36, off, s[0:3], s32 offset:32 ; 4-byte Folded Reload
	buffer_load_dword a35, off, s[0:3], s32 offset:36 ; 4-byte Folded Reload
	buffer_load_dword a34, off, s[0:3], s32 offset:40 ; 4-byte Folded Reload
	buffer_load_dword a33, off, s[0:3], s32 offset:44 ; 4-byte Folded Reload
	buffer_load_dword a32, off, s[0:3], s32 offset:48 ; 4-byte Folded Reload
	buffer_load_dword v62, off, s[0:3], s32 offset:52 ; 4-byte Folded Reload
	buffer_load_dword v61, off, s[0:3], s32 offset:56 ; 4-byte Folded Reload
	buffer_load_dword v60, off, s[0:3], s32 offset:60 ; 4-byte Folded Reload
	buffer_load_dword v59, off, s[0:3], s32 offset:64 ; 4-byte Folded Reload
	buffer_load_dword v58, off, s[0:3], s32 offset:68 ; 4-byte Folded Reload
	buffer_load_dword v57, off, s[0:3], s32 offset:72 ; 4-byte Folded Reload
	buffer_load_dword v56, off, s[0:3], s32 offset:76 ; 4-byte Folded Reload
	buffer_load_dword v47, off, s[0:3], s32 offset:80 ; 4-byte Folded Reload
	buffer_load_dword v46, off, s[0:3], s32 offset:84 ; 4-byte Folded Reload
	buffer_load_dword v45, off, s[0:3], s32 offset:88 ; 4-byte Folded Reload
	buffer_load_dword v44, off, s[0:3], s32 offset:92 ; 4-byte Folded Reload
	buffer_load_dword v43, off, s[0:3], s32 offset:96 ; 4-byte Folded Reload
	buffer_load_dword v42, off, s[0:3], s32 offset:100 ; 4-byte Folded Reload
	buffer_load_dword v41, off, s[0:3], s32 offset:104 ; 4-byte Folded Reload
	buffer_load_dword v40, off, s[0:3], s32 offset:108 ; 4-byte Folded Reload
	v_readlane_b32 s30, v63, 6
	v_readlane_b32 s31, v63, 7
	v_readlane_b32 s39, v63, 5
	v_readlane_b32 s38, v63, 4
	v_readlane_b32 s37, v63, 3
	v_readlane_b32 s36, v63, 2
	v_readlane_b32 s35, v63, 1
	v_readlane_b32 s34, v63, 0
	s_or_saveexec_b64 s[4:5], -1
	buffer_load_dword v63, off, s[0:3], s32 offset:140 ; 4-byte Folded Reload
	s_mov_b64 exec, s[4:5]
	s_waitcnt vmcnt(0) lgkmcnt(0)
	s_setpc_b64 s[30:31]
.LBB319_829:
	s_ashr_i32 s19, s18, 31
	s_lshl_b64 s[12:13], s[18:19], 2
	s_getpc_b64 s[22:23]
	s_add_u32 s22, s22, llvm.amdgcn.dynlds.offset.table@rel32@lo+4
	s_addc_u32 s23, s23, llvm.amdgcn.dynlds.offset.table@rel32@hi+12
	s_add_u32 s12, s12, s22
	s_addc_u32 s13, s13, s23
	s_load_dword s9, s[12:13], 0x0
	s_waitcnt lgkmcnt(0)
	v_lshl_add_u32 v5, v4, 2, s9
	ds_read_b32 v5, v5
	s_waitcnt lgkmcnt(0)
	v_add_f32_e32 v8, v8, v5
	s_or_b64 exec, exec, s[6:7]
	s_and_saveexec_b64 s[6:7], s[4:5]
	s_cbranch_execz .LBB319_814
.LBB319_830:
	s_ashr_i32 s19, s18, 31
	s_lshl_b64 s[12:13], s[18:19], 2
	s_getpc_b64 s[22:23]
	s_add_u32 s22, s22, llvm.amdgcn.dynlds.offset.table@rel32@lo+4
	s_addc_u32 s23, s23, llvm.amdgcn.dynlds.offset.table@rel32@hi+12
	s_add_u32 s12, s12, s22
	s_addc_u32 s13, s13, s23
	s_load_dword s9, s[12:13], 0x0
	s_waitcnt lgkmcnt(0)
	v_lshl_add_u32 v5, v4, 2, s9
	ds_read_b32 v5, v5 offset:64
	s_waitcnt lgkmcnt(0)
	v_add_f32_e32 v9, v9, v5
	s_or_b64 exec, exec, s[6:7]
	s_and_saveexec_b64 s[6:7], s[4:5]
	s_cbranch_execz .LBB319_815
.LBB319_831:
	s_ashr_i32 s19, s18, 31
	s_lshl_b64 s[12:13], s[18:19], 2
	s_getpc_b64 s[22:23]
	s_add_u32 s22, s22, llvm.amdgcn.dynlds.offset.table@rel32@lo+4
	s_addc_u32 s23, s23, llvm.amdgcn.dynlds.offset.table@rel32@hi+12
	s_add_u32 s12, s12, s22
	s_addc_u32 s13, s13, s23
	s_load_dword s9, s[12:13], 0x0
	s_waitcnt lgkmcnt(0)
	v_lshl_add_u32 v5, v4, 2, s9
	ds_read_b32 v5, v5 offset:128
	s_waitcnt lgkmcnt(0)
	v_add_f32_e32 v6, v6, v5
	s_or_b64 exec, exec, s[6:7]
	s_and_saveexec_b64 s[6:7], s[4:5]
	s_cbranch_execz .LBB319_816
.LBB319_832:
	s_ashr_i32 s19, s18, 31
	s_lshl_b64 s[12:13], s[18:19], 2
	s_getpc_b64 s[22:23]
	s_add_u32 s22, s22, llvm.amdgcn.dynlds.offset.table@rel32@lo+4
	s_addc_u32 s23, s23, llvm.amdgcn.dynlds.offset.table@rel32@hi+12
	s_add_u32 s12, s12, s22
	s_addc_u32 s13, s13, s23
	s_load_dword s9, s[12:13], 0x0
	s_waitcnt lgkmcnt(0)
	v_lshl_add_u32 v5, v4, 2, s9
	ds_read_b32 v5, v5 offset:192
	s_waitcnt lgkmcnt(0)
	v_add_f32_e32 v7, v7, v5
	s_or_b64 exec, exec, s[6:7]
	s_and_saveexec_b64 s[6:7], s[4:5]
	s_cbranch_execz .LBB319_817
.LBB319_833:
	s_ashr_i32 s19, s18, 31
	s_lshl_b64 s[12:13], s[18:19], 2
	s_getpc_b64 s[22:23]
	s_add_u32 s22, s22, llvm.amdgcn.dynlds.offset.table@rel32@lo+4
	s_addc_u32 s23, s23, llvm.amdgcn.dynlds.offset.table@rel32@hi+12
	s_add_u32 s12, s12, s22
	s_addc_u32 s13, s13, s23
	s_load_dword s9, s[12:13], 0x0
	s_waitcnt lgkmcnt(0)
	v_lshl_add_u32 v5, v4, 2, s9
	ds_read_b32 v5, v5 offset:256
	s_waitcnt lgkmcnt(0)
	v_add_f32_e32 v2, v2, v5
	s_or_b64 exec, exec, s[6:7]
	s_and_saveexec_b64 s[6:7], s[4:5]
	s_cbranch_execz .LBB319_818
.LBB319_834:
	s_ashr_i32 s19, s18, 31
	s_lshl_b64 s[12:13], s[18:19], 2
	s_getpc_b64 s[22:23]
	s_add_u32 s22, s22, llvm.amdgcn.dynlds.offset.table@rel32@lo+4
	s_addc_u32 s23, s23, llvm.amdgcn.dynlds.offset.table@rel32@hi+12
	s_add_u32 s12, s12, s22
	s_addc_u32 s13, s13, s23
	s_load_dword s9, s[12:13], 0x0
	s_waitcnt lgkmcnt(0)
	v_lshl_add_u32 v5, v4, 2, s9
	ds_read_b32 v5, v5 offset:320
	s_waitcnt lgkmcnt(0)
	v_add_f32_e32 v3, v3, v5
	s_or_b64 exec, exec, s[6:7]
	s_and_saveexec_b64 s[6:7], s[4:5]
	s_cbranch_execnz .LBB319_819
	s_branch .LBB319_820
.Lfunc_end319:
	.size	_ZN4vllm22paged_attention_kernelIthLi120ELi32ELi128ELNS_18Fp8KVCacheDataTypeE1ELb0ELi512EEEvPfS2_PT_PKS3_PKT0_S9_ifPKiSB_iPKfiiiSD_SD_iiiii, .Lfunc_end319-_ZN4vllm22paged_attention_kernelIthLi120ELi32ELi128ELNS_18Fp8KVCacheDataTypeE1ELb0ELi512EEEvPfS2_PT_PKS3_PKT0_S9_ifPKiSB_iPKfiiiSD_SD_iiiii
                                        ; -- End function
	.section	.AMDGPU.csdata,"",@progbits
; Function info:
; codeLenInByte = 36436
; NumSgprs: 44
; NumVgprs: 64
; NumAgprs: 45
; TotalNumVgprs: 109
; ScratchSize: 148
; MemoryBound: 0
	.section	.text._ZN4vllm25paged_attention_v2_kernelIthLi120ELi32ELi128ELNS_18Fp8KVCacheDataTypeE1ELb0ELi512EEEvPfS2_PT_PKS3_PKT0_S9_ifPKiSB_iPKfiiiSD_SD_iiiii,"axG",@progbits,_ZN4vllm25paged_attention_v2_kernelIthLi120ELi32ELi128ELNS_18Fp8KVCacheDataTypeE1ELb0ELi512EEEvPfS2_PT_PKS3_PKT0_S9_ifPKiSB_iPKfiiiSD_SD_iiiii,comdat
	.protected	_ZN4vllm25paged_attention_v2_kernelIthLi120ELi32ELi128ELNS_18Fp8KVCacheDataTypeE1ELb0ELi512EEEvPfS2_PT_PKS3_PKT0_S9_ifPKiSB_iPKfiiiSD_SD_iiiii ; -- Begin function _ZN4vllm25paged_attention_v2_kernelIthLi120ELi32ELi128ELNS_18Fp8KVCacheDataTypeE1ELb0ELi512EEEvPfS2_PT_PKS3_PKT0_S9_ifPKiSB_iPKfiiiSD_SD_iiiii
	.globl	_ZN4vllm25paged_attention_v2_kernelIthLi120ELi32ELi128ELNS_18Fp8KVCacheDataTypeE1ELb0ELi512EEEvPfS2_PT_PKS3_PKT0_S9_ifPKiSB_iPKfiiiSD_SD_iiiii
	.p2align	8
	.type	_ZN4vllm25paged_attention_v2_kernelIthLi120ELi32ELi128ELNS_18Fp8KVCacheDataTypeE1ELb0ELi512EEEvPfS2_PT_PKS3_PKT0_S9_ifPKiSB_iPKfiiiSD_SD_iiiii,@function
_ZN4vllm25paged_attention_v2_kernelIthLi120ELi32ELi128ELNS_18Fp8KVCacheDataTypeE1ELb0ELi512EEEvPfS2_PT_PKS3_PKT0_S9_ifPKiSB_iPKfiiiSD_SD_iiiii: ; @_ZN4vllm25paged_attention_v2_kernelIthLi120ELi32ELi128ELNS_18Fp8KVCacheDataTypeE1ELb0ELi512EEEvPfS2_PT_PKS3_PKT0_S9_ifPKiSB_iPKfiiiSD_SD_iiiii
; %bb.0:
	s_add_u32 flat_scratch_lo, s6, s11
	s_addc_u32 flat_scratch_hi, s7, 0
	s_add_u32 s0, s0, s11
	s_load_dwordx8 s[24:31], s[4:5], 0x0
	s_load_dwordx8 s[16:23], s[4:5], 0x20
	s_load_dwordx2 s[6:7], s[4:5], 0x40
	s_load_dwordx2 s[34:35], s[4:5], 0x50
	s_load_dword s11, s[4:5], 0x48
	s_load_dwordx8 s[36:43], s[4:5], 0x58
	s_addc_u32 s1, s1, 0
	s_mov_b32 s12, s8
	s_add_u32 s8, s4, 0x90
	s_mov_b32 s13, s9
	s_addc_u32 s9, s5, 0
	s_mov_b32 s14, s10
	s_mov_b32 s15, 42
	v_mov_b32_e32 v31, v0
	s_waitcnt lgkmcnt(0)
	v_mov_b32_e32 v0, s24
	v_mov_b32_e32 v1, s25
	;; [unrolled: 1-line block ×28, first 2 shown]
	s_mov_b32 s32, 0
	s_getpc_b64 s[4:5]
	s_add_u32 s4, s4, _ZN4vllm22paged_attention_kernelIthLi120ELi32ELi128ELNS_18Fp8KVCacheDataTypeE1ELb0ELi512EEEvPfS2_PT_PKS3_PKT0_S9_ifPKiSB_iPKfiiiSD_SD_iiiii@rel32@lo+4
	s_addc_u32 s5, s5, _ZN4vllm22paged_attention_kernelIthLi120ELi32ELi128ELNS_18Fp8KVCacheDataTypeE1ELb0ELi512EEEvPfS2_PT_PKS3_PKT0_S9_ifPKiSB_iPKfiiiSD_SD_iiiii@rel32@hi+12
	s_swappc_b64 s[30:31], s[4:5]
	s_endpgm
	.section	.rodata,"a",@progbits
	.p2align	6, 0x0
	.amdhsa_kernel _ZN4vllm25paged_attention_v2_kernelIthLi120ELi32ELi128ELNS_18Fp8KVCacheDataTypeE1ELb0ELi512EEEvPfS2_PT_PKS3_PKT0_S9_ifPKiSB_iPKfiiiSD_SD_iiiii
		.amdhsa_group_segment_fixed_size 256
		.amdhsa_private_segment_fixed_size 148
		.amdhsa_kernarg_size 400
		.amdhsa_user_sgpr_count 8
		.amdhsa_user_sgpr_private_segment_buffer 1
		.amdhsa_user_sgpr_dispatch_ptr 0
		.amdhsa_user_sgpr_queue_ptr 0
		.amdhsa_user_sgpr_kernarg_segment_ptr 1
		.amdhsa_user_sgpr_dispatch_id 0
		.amdhsa_user_sgpr_flat_scratch_init 1
		.amdhsa_user_sgpr_kernarg_preload_length 0
		.amdhsa_user_sgpr_kernarg_preload_offset 0
		.amdhsa_user_sgpr_private_segment_size 0
		.amdhsa_uses_dynamic_stack 0
		.amdhsa_system_sgpr_private_segment_wavefront_offset 1
		.amdhsa_system_sgpr_workgroup_id_x 1
		.amdhsa_system_sgpr_workgroup_id_y 1
		.amdhsa_system_sgpr_workgroup_id_z 1
		.amdhsa_system_sgpr_workgroup_info 0
		.amdhsa_system_vgpr_workitem_id 0
		.amdhsa_next_free_vgpr 109
		.amdhsa_next_free_sgpr 44
		.amdhsa_accum_offset 64
		.amdhsa_reserve_vcc 1
		.amdhsa_reserve_flat_scratch 1
		.amdhsa_float_round_mode_32 0
		.amdhsa_float_round_mode_16_64 0
		.amdhsa_float_denorm_mode_32 3
		.amdhsa_float_denorm_mode_16_64 3
		.amdhsa_dx10_clamp 1
		.amdhsa_ieee_mode 1
		.amdhsa_fp16_overflow 0
		.amdhsa_tg_split 0
		.amdhsa_exception_fp_ieee_invalid_op 0
		.amdhsa_exception_fp_denorm_src 0
		.amdhsa_exception_fp_ieee_div_zero 0
		.amdhsa_exception_fp_ieee_overflow 0
		.amdhsa_exception_fp_ieee_underflow 0
		.amdhsa_exception_fp_ieee_inexact 0
		.amdhsa_exception_int_div_zero 0
	.end_amdhsa_kernel
	.section	.text._ZN4vllm25paged_attention_v2_kernelIthLi120ELi32ELi128ELNS_18Fp8KVCacheDataTypeE1ELb0ELi512EEEvPfS2_PT_PKS3_PKT0_S9_ifPKiSB_iPKfiiiSD_SD_iiiii,"axG",@progbits,_ZN4vllm25paged_attention_v2_kernelIthLi120ELi32ELi128ELNS_18Fp8KVCacheDataTypeE1ELb0ELi512EEEvPfS2_PT_PKS3_PKT0_S9_ifPKiSB_iPKfiiiSD_SD_iiiii,comdat
.Lfunc_end320:
	.size	_ZN4vllm25paged_attention_v2_kernelIthLi120ELi32ELi128ELNS_18Fp8KVCacheDataTypeE1ELb0ELi512EEEvPfS2_PT_PKS3_PKT0_S9_ifPKiSB_iPKfiiiSD_SD_iiiii, .Lfunc_end320-_ZN4vllm25paged_attention_v2_kernelIthLi120ELi32ELi128ELNS_18Fp8KVCacheDataTypeE1ELb0ELi512EEEvPfS2_PT_PKS3_PKT0_S9_ifPKiSB_iPKfiiiSD_SD_iiiii
                                        ; -- End function
	.section	.AMDGPU.csdata,"",@progbits
; Kernel info:
; codeLenInByte = 244
; NumSgprs: 50
; NumVgprs: 64
; NumAgprs: 45
; TotalNumVgprs: 109
; ScratchSize: 148
; MemoryBound: 0
; FloatMode: 240
; IeeeMode: 1
; LDSByteSize: 256 bytes/workgroup (compile time only)
; SGPRBlocks: 6
; VGPRBlocks: 13
; NumSGPRsForWavesPerEU: 50
; NumVGPRsForWavesPerEU: 109
; AccumOffset: 64
; Occupancy: 4
; WaveLimiterHint : 1
; COMPUTE_PGM_RSRC2:SCRATCH_EN: 1
; COMPUTE_PGM_RSRC2:USER_SGPR: 8
; COMPUTE_PGM_RSRC2:TRAP_HANDLER: 0
; COMPUTE_PGM_RSRC2:TGID_X_EN: 1
; COMPUTE_PGM_RSRC2:TGID_Y_EN: 1
; COMPUTE_PGM_RSRC2:TGID_Z_EN: 1
; COMPUTE_PGM_RSRC2:TIDIG_COMP_CNT: 0
; COMPUTE_PGM_RSRC3_GFX90A:ACCUM_OFFSET: 15
; COMPUTE_PGM_RSRC3_GFX90A:TG_SPLIT: 0
	.text
	.p2align	2                               ; -- Begin function _ZN4vllm22paged_attention_kernelIthLi128ELi32ELi128ELNS_18Fp8KVCacheDataTypeE1ELb0ELi512EEEvPfS2_PT_PKS3_PKT0_S9_ifPKiSB_iPKfiiiSD_SD_iiiii
	.type	_ZN4vllm22paged_attention_kernelIthLi128ELi32ELi128ELNS_18Fp8KVCacheDataTypeE1ELb0ELi512EEEvPfS2_PT_PKS3_PKT0_S9_ifPKiSB_iPKfiiiSD_SD_iiiii,@function
_ZN4vllm22paged_attention_kernelIthLi128ELi32ELi128ELNS_18Fp8KVCacheDataTypeE1ELb0ELi512EEEvPfS2_PT_PKS3_PKT0_S9_ifPKiSB_iPKfiiiSD_SD_iiiii: ; @_ZN4vllm22paged_attention_kernelIthLi128ELi32ELi128ELNS_18Fp8KVCacheDataTypeE1ELb0ELi512EEEvPfS2_PT_PKS3_PKT0_S9_ifPKiSB_iPKfiiiSD_SD_iiiii
; %bb.0:
	s_waitcnt vmcnt(0) expcnt(0) lgkmcnt(0)
	s_or_saveexec_b64 s[4:5], -1
	buffer_store_dword v63, off, s[0:3], s32 offset:156 ; 4-byte Folded Spill
	s_mov_b64 exec, s[4:5]
	buffer_store_dword v40, off, s[0:3], s32 offset:132 ; 4-byte Folded Spill
	buffer_store_dword v41, off, s[0:3], s32 offset:128 ; 4-byte Folded Spill
	;; [unrolled: 1-line block ×33, first 2 shown]
	buffer_store_dword a50, off, s[0:3], s32 ; 4-byte Folded Spill
	v_writelane_b32 v63, s34, 0
	v_writelane_b32 v63, s35, 1
	;; [unrolled: 1-line block ×8, first 2 shown]
	s_mov_b32 s22, s13
	s_ashr_i32 s23, s13, 31
	s_lshl_b64 s[4:5], s[22:23], 2
	v_accvgpr_write_b32 a1, v4
	v_accvgpr_write_b32 a15, v2
	v_mov_b32_e32 v2, s5
	v_add_co_u32_e32 v4, vcc, s4, v16
	v_accvgpr_write_b32 a0, v5
	v_addc_co_u32_e32 v5, vcc, v17, v2, vcc
	flat_load_dword v2, v[4:5]
	v_accvgpr_write_b32 a4, v26
	v_accvgpr_write_b32 a24, v24
	s_lshl_b32 s23, s14, 9
	v_accvgpr_write_b32 a5, v27
	v_accvgpr_write_b32 a25, v25
	;; [unrolled: 1-line block ×3, first 2 shown]
	v_mov_b32_e32 v29, v20
	v_mov_b32_e32 v28, v19
	v_accvgpr_write_b32 a27, v15
	v_accvgpr_write_b32 a29, v14
	;; [unrolled: 1-line block ×5, first 2 shown]
	s_waitcnt vmcnt(0) lgkmcnt(0)
	v_accvgpr_write_b32 a8, v2
	v_cmp_lt_i32_e32 vcc, s23, v2
	s_and_saveexec_b64 s[16:17], vcc
	s_cbranch_execz .LBB321_843
; %bb.1:
	v_accvgpr_write_b32 a13, v0
	v_sub_u32_e32 v0, 0, v12
	v_max_i32_e32 v0, v12, v0
	v_accvgpr_write_b32 a12, v1
	v_cvt_f32_u32_e32 v1, v0
	s_load_dword s4, s[8:9], 0x10
	s_load_dword s6, s[8:9], 0x0
	v_accvgpr_write_b32 a14, v3
	v_sub_u32_e32 v3, 0, v0
	v_rcp_iflag_f32_e32 v1, v1
	s_waitcnt lgkmcnt(0)
	s_lshr_b32 s4, s4, 16
	s_cmp_lg_u32 s4, 0
	s_cselect_b64 s[4:5], -1, 0
	v_mul_f32_e32 v1, 0x4f7ffffe, v1
	v_cvt_u32_f32_e32 v1, v1
	s_cmp_lg_u64 s[4:5], 0
	s_mov_b32 s18, s15
	s_addc_u32 s15, s6, 0
	v_mul_lo_u32 v3, v3, v1
	v_mul_hi_u32 v3, v1, v3
	s_abs_i32 s4, s15
	v_add_u32_e32 v1, v1, v3
	v_mul_hi_u32 v1, s4, v1
	v_mul_lo_u32 v3, v1, v0
	v_sub_u32_e32 v3, s4, v3
	v_add_u32_e32 v4, 1, v1
	v_cmp_ge_u32_e32 vcc, v3, v0
	v_cndmask_b32_e32 v1, v1, v4, vcc
	v_sub_u32_e32 v4, v3, v0
	v_cndmask_b32_e32 v3, v3, v4, vcc
	v_xor_b32_e32 v2, s15, v12
	v_add_u32_e32 v4, 1, v1
	v_cmp_ge_u32_e32 vcc, v3, v0
	v_ashrrev_i32_e32 v2, 31, v2
	v_cndmask_b32_e32 v0, v1, v4, vcc
	v_xor_b32_e32 v0, v0, v2
	v_sub_u32_e32 v1, v0, v2
	v_sub_u32_e32 v0, 0, v1
	v_max_i32_e32 v0, v1, v0
	v_cvt_f32_u32_e32 v2, v0
	v_sub_u32_e32 v3, 0, v0
	s_abs_i32 s6, s12
	v_cmp_ne_u64_e32 vcc, 0, v[28:29]
	v_rcp_iflag_f32_e32 v2, v2
	v_mul_f32_e32 v2, 0x4f7ffffe, v2
	v_cvt_u32_f32_e32 v2, v2
	v_mul_lo_u32 v3, v3, v2
	v_mul_hi_u32 v3, v2, v3
	v_add_u32_e32 v2, v2, v3
	v_mad_u64_u32 v[32:33], s[4:5], s6, v2, 0
	v_mov_b32_e32 v2, 0
	buffer_store_dword v2, off, s[0:3], s32 offset:152 ; 4-byte Folded Spill
	s_and_saveexec_b64 s[4:5], vcc
	s_cbranch_execz .LBB321_3
; %bb.2:
	s_ashr_i32 s13, s12, 31
	s_lshl_b64 s[10:11], s[12:13], 2
	v_mov_b32_e32 v3, s11
	v_add_co_u32_e32 v2, vcc, s10, v28
	v_addc_co_u32_e32 v3, vcc, v29, v3, vcc
	flat_load_dword v2, v[2:3]
	s_waitcnt vmcnt(0) lgkmcnt(0)
	buffer_store_dword v2, off, s[0:3], s32 offset:152 ; 4-byte Folded Spill
.LBB321_3:
	s_or_b64 exec, exec, s[4:5]
	v_and_b32_e32 v10, 0x3ff, v31
	v_lshlrev_b32_e32 v3, 3, v10
	s_ashr_i32 s7, s12, 31
	v_ashrrev_i32_e32 v2, 31, v1
	v_and_b32_e32 v1, 1, v10
	s_lshl_b32 s20, s12, 7
	v_cmp_gt_u32_e32 vcc, 32, v10
	v_accvgpr_write_b32 a16, v3
	s_and_saveexec_b64 s[4:5], vcc
	s_cbranch_execz .LBB321_5
; %bb.4:
	v_mul_lo_u32 v4, s22, v21
	v_ashrrev_i32_e32 v5, 31, v4
	v_lshlrev_b64 v[4:5], 1, v[4:5]
	v_add_co_u32_e32 v3, vcc, v6, v4
	s_ashr_i32 s21, s20, 31
	v_addc_co_u32_e32 v4, vcc, v7, v5, vcc
	s_lshl_b64 s[10:11], s[20:21], 1
	v_mov_b32_e32 v5, s11
	v_add_co_u32_e32 v3, vcc, s10, v3
	v_addc_co_u32_e32 v5, vcc, v4, v5, vcc
	v_accvgpr_read_b32 v4, a16
	v_add_co_u32_e32 v4, vcc, v3, v4
	v_addc_co_u32_e32 v5, vcc, 0, v5, vcc
	flat_load_dwordx2 v[4:5], v[4:5]
	v_lshlrev_b32_e32 v3, 2, v10
	v_and_b32_e32 v3, 0xff8, v3
	v_lshl_add_u32 v3, v1, 7, v3
	s_waitcnt vmcnt(0) lgkmcnt(0)
	ds_write_b64 v3, v[4:5]
.LBB321_5:
	s_or_b64 exec, exec, s[4:5]
	v_accvgpr_read_b32 v4, a8
	v_add_u32_e32 v3, 31, v4
	v_ashrrev_i32_e32 v4, 31, v3
	v_lshrrev_b32_e32 v4, 27, v4
	v_add_u32_e32 v3, v3, v4
	s_lshl_b32 s21, s14, 4
	v_ashrrev_i32_e32 v3, 5, v3
	s_add_i32 s4, s21, 16
	v_accvgpr_write_b32 a18, v3
	v_min_i32_e32 v6, s4, v3
	v_mul_lo_u32 v3, v33, v0
	v_sub_u32_e32 v3, s6, v3
	v_add_u32_e32 v4, 1, v33
	v_cmp_ge_u32_e32 vcc, v3, v0
	v_sub_u32_e32 v5, v3, v0
	v_cndmask_b32_e32 v4, v33, v4, vcc
	v_cndmask_b32_e32 v3, v3, v5, vcc
	v_add_u32_e32 v5, 1, v4
	v_cmp_ge_u32_e32 vcc, v3, v0
	v_xor_b32_e32 v2, s7, v2
	v_cndmask_b32_e32 v0, v4, v5, vcc
	v_lshrrev_b32_e32 v7, 6, v10
	v_xor_b32_e32 v0, v0, v2
	v_sub_u32_e32 v3, v0, v2
	v_mul_lo_u32 v18, s22, v18
	v_or_b32_e32 v0, s21, v7
	v_accvgpr_write_b32 a2, v10
	v_ashrrev_i32_e32 v19, 31, v18
	v_accvgpr_write_b32 a17, v7
	v_cmp_lt_i32_e64 s[4:5], v0, v6
	v_accvgpr_write_b32 a3, v6
	v_mov_b32_e32 v4, v0
	v_cmp_ge_i32_e32 vcc, v0, v6
	v_mbcnt_lo_u32_b32 v2, -1, 0
	s_waitcnt lgkmcnt(0)
	s_barrier
	s_waitcnt lgkmcnt(0)
                                        ; implicit-def: $sgpr19
                                        ; implicit-def: $agpr28
                                        ; implicit-def: $vgpr0
	s_and_saveexec_b64 s[6:7], vcc
	s_xor_b64 s[6:7], exec, s[6:7]
; %bb.6:
	v_mbcnt_hi_u32_b32 v0, -1, v2
	v_accvgpr_write_b32 a28, v0
	v_and_b32_e32 v0, 64, v0
	v_add_u32_e32 v0, 64, v0
	s_mov_b32 s19, 0xff7fffff
                                        ; implicit-def: $vgpr1
                                        ; kill: killed $vgpr1
                                        ; implicit-def: $agpr26
                                        ; implicit-def: $agpr24
                                        ; implicit-def: $vgpr8
                                        ; implicit-def: $vgpr9
                                        ; implicit-def: $vgpr1
                                        ; implicit-def: $vgpr2
; %bb.7:
	s_or_saveexec_b64 s[10:11], s[6:7]
	v_mov_b32_e32 v5, s19
	s_load_dword s36, s[8:9], 0x14
	s_load_dword s13, s[8:9], 0x8
	buffer_store_dword v5, off, s[0:3], s32 offset:148 ; 4-byte Folded Spill
	v_mul_lo_u32 v3, v3, v23
	v_ashrrev_i32_e32 v5, 31, v4
	v_accvgpr_write_b32 a11, v5
	v_accvgpr_write_b32 a22, v3
	v_ashrrev_i32_e32 v3, 31, v3
	v_accvgpr_write_b32 a10, v4
	v_accvgpr_write_b32 a23, v3
	v_lshlrev_b64 v[4:5], 2, v[18:19]
	v_accvgpr_read_b32 v3, a17
	v_accvgpr_write_b32 a21, v5
	v_lshlrev_b32_e32 v3, 5, v3
	v_accvgpr_write_b32 a20, v4
	v_accvgpr_write_b32 a19, v3
	s_xor_b64 exec, exec, s[10:11]
	s_cbranch_execz .LBB321_397
; %bb.8:
	v_accvgpr_read_b32 v0, a2
	v_bfe_u32 v3, v0, 1, 5
	v_accvgpr_read_b32 v0, a22
	v_add_co_u32_e32 v0, vcc, v8, v0
	v_accvgpr_read_b32 v4, a23
	v_addc_co_u32_e32 v4, vcc, v9, v4, vcc
	v_lshlrev_b32_e32 v5, 4, v3
	v_add_co_u32_e32 v6, vcc, v0, v5
	v_lshlrev_b32_e32 v0, 2, v1
	v_accvgpr_write_b32 a32, v0
	v_lshlrev_b32_e32 v0, 7, v1
	v_accvgpr_write_b32 a33, v0
	buffer_load_dword v0, off, s[0:3], s32 offset:152 ; 4-byte Folded Reload
	s_ashr_i32 s19, s18, 31
	v_addc_co_u32_e32 v7, vcc, 0, v4, vcc
	s_lshl_b64 s[8:9], s[18:19], 2
	v_accvgpr_read_b32 v4, a10
	v_accvgpr_write_b32 a31, v7
	s_getpc_b64 s[24:25]
	s_add_u32 s24, s24, llvm.amdgcn.dynlds.offset.table@rel32@lo+4
	s_addc_u32 s25, s25, llvm.amdgcn.dynlds.offset.table@rel32@hi+12
	v_accvgpr_read_b32 v5, a11
	v_accvgpr_write_b32 a30, v6
	v_cmp_eq_u32_e32 vcc, 0, v1
	s_add_u32 s24, s8, s24
	v_accvgpr_read_b32 v6, a20
	s_addc_u32 s25, s9, s25
	v_accvgpr_read_b32 v7, a21
	s_mov_b64 s[26:27], 0
	s_movk_i32 s19, 0x80
	s_movk_i32 s37, 0x7f
	s_mov_b32 s38, 0x8000
	s_mov_b32 s39, 0xffffff
	v_mov_b32_e32 v8, v4
	s_waitcnt vmcnt(0)
	v_cmp_neq_f32_e64 s[6:7], 0, v0
	v_lshlrev_b64 v[0:1], 2, v[4:5]
	v_add_co_u32_e64 v0, s[8:9], v6, v0
	v_addc_co_u32_e64 v1, s[8:9], v7, v1, s[8:9]
	v_accvgpr_read_b32 v5, a29
	v_add_co_u32_e64 v6, s[8:9], v5, v0
	v_accvgpr_read_b32 v0, a27
	v_addc_co_u32_e64 v7, s[8:9], v0, v1, s[8:9]
	v_accvgpr_read_b32 v0, a8
	v_sub_u32_e32 v0, 1, v0
	v_accvgpr_write_b32 a36, v0
	v_accvgpr_read_b32 v0, a19
	v_add3_u32 v0, s23, v0, v3
	v_accvgpr_write_b32 a37, v0
	v_lshlrev_b32_e32 v0, 2, v3
	v_accvgpr_read_b32 v1, a17
	v_lshl_or_b32 v0, v1, 7, v0
	v_accvgpr_write_b32 a38, v0
	v_mov_b32_e32 v0, 0xff7fffff
	buffer_store_dword v0, off, s[0:3], s32 offset:148 ; 4-byte Folded Spill
	v_mbcnt_hi_u32_b32 v0, -1, v2
	v_accvgpr_write_b32 a28, v0
	s_branch .LBB321_10
.LBB321_9:                              ;   in Loop: Header=BB321_10 Depth=1
	s_or_b64 exec, exec, s[28:29]
	v_accvgpr_read_b32 v6, a34
	v_accvgpr_read_b32 v1, a37
	;; [unrolled: 1-line block ×3, first 2 shown]
	v_add_co_u32_e64 v6, s[8:9], 8, v6
	v_add_u32_e32 v1, 64, v1
	v_add_u32_e32 v8, 2, v8
	v_addc_co_u32_e64 v7, s[8:9], 0, v7, s[8:9]
	v_accvgpr_write_b32 a37, v1
	v_accvgpr_read_b32 v1, a3
	v_cmp_ge_i32_e64 s[8:9], v8, v1
	v_accvgpr_read_b32 v1, a38
	v_add_u32_e32 v1, 0x100, v1
	s_or_b64 s[26:27], s[8:9], s[26:27]
	v_accvgpr_write_b32 a38, v1
	s_andn2_b64 exec, exec, s[26:27]
	s_cbranch_execz .LBB321_396
.LBB321_10:                             ; =>This Inner Loop Header: Depth=1
	flat_load_dword v0, v[6:7]
	v_accvgpr_read_b32 v4, a30
	s_waitcnt lgkmcnt(0)
	v_accvgpr_read_b32 v2, a6
	v_accvgpr_read_b32 v5, a31
	v_accvgpr_write_b32 a35, v7
	v_accvgpr_write_b32 a39, v8
	;; [unrolled: 1-line block ×3, first 2 shown]
	s_waitcnt vmcnt(0) lgkmcnt(0)
	v_mad_i64_i32 v[0:1], s[8:9], v0, v2, v[4:5]
	v_accvgpr_read_b32 v2, a32
	v_add_co_u32_e64 v28, s[8:9], v0, v2
	v_addc_co_u32_e64 v29, s[8:9], 0, v1, s[8:9]
	v_accvgpr_read_b32 v0, a24
	flat_load_dword v30, v[28:29]
	v_accvgpr_read_b32 v1, a25
	flat_load_dword v40, v[0:1]
	v_mov_b32_e32 v0, 0
	s_waitcnt vmcnt(0) lgkmcnt(0)
	v_cmp_ne_u16_sdwa s[8:9], v30, v0 src0_sel:BYTE_0 src1_sel:DWORD
	v_mov_b32_e32 v0, 0
	buffer_store_dword v0, off, s[0:3], s32 offset:136 ; 4-byte Folded Spill
	s_and_saveexec_b64 s[28:29], s[8:9]
	s_cbranch_execz .LBB321_16
; %bb.11:                               ;   in Loop: Header=BB321_10 Depth=1
	v_cmp_ne_u16_sdwa s[8:9], v30, s19 src0_sel:BYTE_0 src1_sel:DWORD
	v_bfrev_b32_e32 v0, 1
	buffer_store_dword v0, off, s[0:3], s32 offset:136 ; 4-byte Folded Spill
	s_and_saveexec_b64 s[30:31], s[8:9]
	s_cbranch_execz .LBB321_15
; %bb.12:                               ;   in Loop: Header=BB321_10 Depth=1
	v_and_b32_e32 v0, 0x7f, v30
	v_cmp_ne_u32_e64 s[8:9], s37, v0
	v_mov_b32_e32 v1, 0x7fc02000
	buffer_store_dword v1, off, s[0:3], s32 offset:136 ; 4-byte Folded Spill
	s_and_saveexec_b64 s[34:35], s[8:9]
	s_cbranch_execz .LBB321_14
; %bb.13:                               ;   in Loop: Header=BB321_10 Depth=1
	v_and_b32_e32 v1, 7, v30
	v_ffbh_u32_e32 v2, v1
	v_min_u32_e32 v5, 32, v2
	v_subrev_u32_e32 v2, 28, v5
	v_lshlrev_b64 v[2:3], v2, v[30:31]
	v_lshrrev_b32_e32 v4, 3, v0
	v_sub_u32_e32 v3, 29, v5
	v_cmp_gt_u32_e64 s[8:9], 8, v0
	v_and_b32_e32 v2, 7, v2
	v_cndmask_b32_e64 v0, v4, v3, s[8:9]
	v_mov_b32_e32 v3, 0x2000
	v_cndmask_b32_e64 v1, v1, v2, s[8:9]
	v_lshlrev_b32_e32 v2, 8, v30
	v_lshl_add_u32 v0, v0, 10, v3
	v_and_or_b32 v0, v2, s38, v0
	v_lshl_or_b32 v0, v1, 7, v0
	v_cvt_f32_f16_e32 v0, v0
	buffer_store_dword v0, off, s[0:3], s32 offset:136 ; 4-byte Folded Spill
.LBB321_14:                             ;   in Loop: Header=BB321_10 Depth=1
	s_or_b64 exec, exec, s[34:35]
.LBB321_15:                             ;   in Loop: Header=BB321_10 Depth=1
	s_or_b64 exec, exec, s[30:31]
.LBB321_16:                             ;   in Loop: Header=BB321_10 Depth=1
	s_or_b64 exec, exec, s[28:29]
	v_lshrrev_b16_e32 v32, 8, v30
	v_cmp_ne_u16_e64 s[8:9], 0, v32
	v_mov_b32_e32 v33, 0
	s_and_saveexec_b64 s[28:29], s[8:9]
	s_cbranch_execz .LBB321_22
; %bb.17:                               ;   in Loop: Header=BB321_10 Depth=1
	v_cmp_ne_u16_e64 s[8:9], s19, v32
	v_bfrev_b32_e32 v33, 1
	s_and_saveexec_b64 s[30:31], s[8:9]
	s_cbranch_execz .LBB321_21
; %bb.18:                               ;   in Loop: Header=BB321_10 Depth=1
	v_and_b32_e32 v0, 0x7f, v32
	v_cmp_ne_u32_e64 s[8:9], s37, v0
	v_mov_b32_e32 v33, 0x7fc02000
	s_and_saveexec_b64 s[34:35], s[8:9]
	s_cbranch_execz .LBB321_20
; %bb.19:                               ;   in Loop: Header=BB321_10 Depth=1
	v_and_b32_e32 v1, 7, v32
	v_ffbh_u32_e32 v2, v1
	v_min_u32_e32 v5, 32, v2
	v_subrev_u32_e32 v2, 28, v5
	v_lshlrev_b64 v[2:3], v2, v[32:33]
	v_lshrrev_b32_e32 v4, 3, v0
	v_sub_u32_e32 v3, 29, v5
	v_cmp_gt_u32_e64 s[8:9], 8, v0
	v_and_b32_e32 v2, 7, v2
	v_cndmask_b32_e64 v0, v4, v3, s[8:9]
	v_mov_b32_e32 v3, 0x2000
	v_cndmask_b32_e64 v1, v1, v2, s[8:9]
	v_lshlrev_b32_e32 v2, 8, v32
	v_lshl_add_u32 v0, v0, 10, v3
	v_and_or_b32 v0, v2, s38, v0
	v_lshl_or_b32 v0, v1, 7, v0
	v_cvt_f32_f16_e32 v33, v0
.LBB321_20:                             ;   in Loop: Header=BB321_10 Depth=1
	s_or_b64 exec, exec, s[34:35]
.LBB321_21:                             ;   in Loop: Header=BB321_10 Depth=1
	s_or_b64 exec, exec, s[30:31]
.LBB321_22:                             ;   in Loop: Header=BB321_10 Depth=1
	s_or_b64 exec, exec, s[28:29]
	v_lshrrev_b32_e32 v32, 16, v30
	v_mov_b32_e32 v0, 0
	v_cmp_ne_u16_sdwa s[8:9], v32, v0 src0_sel:BYTE_0 src1_sel:DWORD
	v_mov_b32_e32 v31, 0
	v_mov_b32_e32 v39, 0
	s_and_saveexec_b64 s[28:29], s[8:9]
	s_cbranch_execz .LBB321_28
; %bb.23:                               ;   in Loop: Header=BB321_10 Depth=1
	v_cmp_ne_u16_sdwa s[8:9], v32, s19 src0_sel:BYTE_0 src1_sel:DWORD
	v_bfrev_b32_e32 v39, 1
	s_and_saveexec_b64 s[30:31], s[8:9]
	s_cbranch_execz .LBB321_27
; %bb.24:                               ;   in Loop: Header=BB321_10 Depth=1
	v_bfe_u32 v0, v30, 16, 7
	v_cmp_ne_u32_e64 s[8:9], s37, v0
	v_mov_b32_e32 v39, 0x7fc02000
	s_and_saveexec_b64 s[34:35], s[8:9]
	s_cbranch_execz .LBB321_26
; %bb.25:                               ;   in Loop: Header=BB321_10 Depth=1
	v_and_b32_e32 v1, 7, v32
	v_ffbh_u32_e32 v2, v1
	v_min_u32_e32 v5, 32, v2
	v_subrev_u32_e32 v2, 28, v5
	v_lshlrev_b64 v[2:3], v2, v[32:33]
	v_lshrrev_b32_e32 v4, 3, v0
	v_sub_u32_e32 v3, 29, v5
	v_cmp_gt_u32_e64 s[8:9], 8, v0
	v_and_b32_e32 v2, 7, v2
	v_cndmask_b32_e64 v0, v4, v3, s[8:9]
	v_mov_b32_e32 v3, 0x2000
	v_cndmask_b32_e64 v1, v1, v2, s[8:9]
	v_lshlrev_b32_e32 v2, 8, v32
	v_lshl_add_u32 v0, v0, 10, v3
	v_and_or_b32 v0, v2, s38, v0
	v_lshl_or_b32 v0, v1, 7, v0
	v_cvt_f32_f16_e32 v39, v0
.LBB321_26:                             ;   in Loop: Header=BB321_10 Depth=1
	s_or_b64 exec, exec, s[34:35]
.LBB321_27:                             ;   in Loop: Header=BB321_10 Depth=1
	s_or_b64 exec, exec, s[30:31]
.LBB321_28:                             ;   in Loop: Header=BB321_10 Depth=1
	s_or_b64 exec, exec, s[28:29]
	v_cmp_lt_u32_e64 s[8:9], s39, v30
	s_and_saveexec_b64 s[28:29], s[8:9]
	s_cbranch_execz .LBB321_34
; %bb.29:                               ;   in Loop: Header=BB321_10 Depth=1
	v_lshrrev_b32_e32 v30, 24, v30
	v_cmp_ne_u32_e64 s[8:9], s19, v30
	v_bfrev_b32_e32 v31, 1
	s_and_saveexec_b64 s[30:31], s[8:9]
	s_cbranch_execz .LBB321_33
; %bb.30:                               ;   in Loop: Header=BB321_10 Depth=1
	v_and_b32_e32 v0, 0x7f, v30
	v_cmp_ne_u32_e64 s[8:9], s37, v0
	v_mov_b32_e32 v31, 0x7fc02000
	s_and_saveexec_b64 s[34:35], s[8:9]
	s_cbranch_execz .LBB321_32
; %bb.31:                               ;   in Loop: Header=BB321_10 Depth=1
	v_and_b32_e32 v1, 7, v30
	v_ffbh_u32_e32 v2, v1
	v_min_u32_e32 v5, 32, v2
	v_subrev_u32_e32 v2, 28, v5
	v_lshlrev_b64 v[2:3], v2, v[30:31]
	v_lshrrev_b32_e32 v4, 3, v0
	v_sub_u32_e32 v3, 29, v5
	v_cmp_gt_u32_e64 s[8:9], 8, v0
	v_and_b32_e32 v2, 7, v2
	v_cndmask_b32_e64 v0, v4, v3, s[8:9]
	v_mov_b32_e32 v3, 0x2000
	v_cndmask_b32_e64 v1, v1, v2, s[8:9]
	v_lshlrev_b32_e32 v2, 8, v30
	v_lshl_add_u32 v0, v0, 10, v3
	v_and_or_b32 v0, v2, s38, v0
	v_lshl_or_b32 v0, v1, 7, v0
	v_cvt_f32_f16_e32 v31, v0
.LBB321_32:                             ;   in Loop: Header=BB321_10 Depth=1
	s_or_b64 exec, exec, s[34:35]
.LBB321_33:                             ;   in Loop: Header=BB321_10 Depth=1
	s_or_b64 exec, exec, s[30:31]
.LBB321_34:                             ;   in Loop: Header=BB321_10 Depth=1
	s_or_b64 exec, exec, s[28:29]
	flat_load_dword v30, v[28:29] offset:8
	v_mov_b32_e32 v0, 0
	v_mov_b32_e32 v23, 0
	;; [unrolled: 1-line block ×3, first 2 shown]
	s_waitcnt vmcnt(0) lgkmcnt(0)
	v_cmp_ne_u16_sdwa s[8:9], v30, v0 src0_sel:BYTE_0 src1_sel:DWORD
	s_and_saveexec_b64 s[28:29], s[8:9]
	s_cbranch_execz .LBB321_40
; %bb.35:                               ;   in Loop: Header=BB321_10 Depth=1
	v_cmp_ne_u16_sdwa s[8:9], v30, s19 src0_sel:BYTE_0 src1_sel:DWORD
	v_bfrev_b32_e32 v19, 1
	s_and_saveexec_b64 s[30:31], s[8:9]
	s_cbranch_execz .LBB321_39
; %bb.36:                               ;   in Loop: Header=BB321_10 Depth=1
	v_and_b32_e32 v0, 0x7f, v30
	v_cmp_ne_u32_e64 s[8:9], s37, v0
	v_mov_b32_e32 v19, 0x7fc02000
	s_and_saveexec_b64 s[34:35], s[8:9]
	s_cbranch_execz .LBB321_38
; %bb.37:                               ;   in Loop: Header=BB321_10 Depth=1
	v_and_b32_e32 v1, 7, v30
	v_ffbh_u32_e32 v2, v1
	v_min_u32_e32 v5, 32, v2
	v_subrev_u32_e32 v2, 28, v5
	v_lshlrev_b64 v[2:3], v2, v[30:31]
	v_lshrrev_b32_e32 v4, 3, v0
	v_sub_u32_e32 v3, 29, v5
	v_cmp_gt_u32_e64 s[8:9], 8, v0
	v_and_b32_e32 v2, 7, v2
	v_cndmask_b32_e64 v0, v4, v3, s[8:9]
	v_mov_b32_e32 v3, 0x2000
	v_cndmask_b32_e64 v1, v1, v2, s[8:9]
	v_lshlrev_b32_e32 v2, 8, v30
	v_lshl_add_u32 v0, v0, 10, v3
	v_and_or_b32 v0, v2, s38, v0
	v_lshl_or_b32 v0, v1, 7, v0
	v_cvt_f32_f16_e32 v19, v0
.LBB321_38:                             ;   in Loop: Header=BB321_10 Depth=1
	s_or_b64 exec, exec, s[34:35]
.LBB321_39:                             ;   in Loop: Header=BB321_10 Depth=1
	s_or_b64 exec, exec, s[30:31]
.LBB321_40:                             ;   in Loop: Header=BB321_10 Depth=1
	s_or_b64 exec, exec, s[28:29]
	v_lshrrev_b16_e32 v32, 8, v30
	v_cmp_ne_u16_e64 s[8:9], 0, v32
	s_and_saveexec_b64 s[28:29], s[8:9]
	s_cbranch_execz .LBB321_46
; %bb.41:                               ;   in Loop: Header=BB321_10 Depth=1
	v_cmp_ne_u16_e64 s[8:9], s19, v32
	v_bfrev_b32_e32 v23, 1
	s_and_saveexec_b64 s[30:31], s[8:9]
	s_cbranch_execz .LBB321_45
; %bb.42:                               ;   in Loop: Header=BB321_10 Depth=1
	v_and_b32_e32 v0, 0x7f, v32
	v_cmp_ne_u32_e64 s[8:9], s37, v0
	v_mov_b32_e32 v23, 0x7fc02000
	s_and_saveexec_b64 s[34:35], s[8:9]
	s_cbranch_execz .LBB321_44
; %bb.43:                               ;   in Loop: Header=BB321_10 Depth=1
	v_and_b32_e32 v1, 7, v32
	v_ffbh_u32_e32 v2, v1
	v_min_u32_e32 v5, 32, v2
	v_subrev_u32_e32 v2, 28, v5
	v_lshlrev_b64 v[2:3], v2, v[32:33]
	v_lshrrev_b32_e32 v4, 3, v0
	v_sub_u32_e32 v3, 29, v5
	v_cmp_gt_u32_e64 s[8:9], 8, v0
	v_and_b32_e32 v2, 7, v2
	v_cndmask_b32_e64 v0, v4, v3, s[8:9]
	v_mov_b32_e32 v3, 0x2000
	v_cndmask_b32_e64 v1, v1, v2, s[8:9]
	v_lshlrev_b32_e32 v2, 8, v32
	v_lshl_add_u32 v0, v0, 10, v3
	v_and_or_b32 v0, v2, s38, v0
	v_lshl_or_b32 v0, v1, 7, v0
	v_cvt_f32_f16_e32 v23, v0
.LBB321_44:                             ;   in Loop: Header=BB321_10 Depth=1
	s_or_b64 exec, exec, s[34:35]
.LBB321_45:                             ;   in Loop: Header=BB321_10 Depth=1
	s_or_b64 exec, exec, s[30:31]
.LBB321_46:                             ;   in Loop: Header=BB321_10 Depth=1
	s_or_b64 exec, exec, s[28:29]
	v_lshrrev_b32_e32 v32, 16, v30
	v_mov_b32_e32 v0, 0
	v_cmp_ne_u16_sdwa s[8:9], v32, v0 src0_sel:BYTE_0 src1_sel:DWORD
	v_mov_b32_e32 v55, 0
	v_mov_b32_e32 v0, 0
	buffer_store_dword v0, off, s[0:3], s32 offset:140 ; 4-byte Folded Spill
	s_and_saveexec_b64 s[28:29], s[8:9]
	s_cbranch_execz .LBB321_52
; %bb.47:                               ;   in Loop: Header=BB321_10 Depth=1
	v_cmp_ne_u16_sdwa s[8:9], v32, s19 src0_sel:BYTE_0 src1_sel:DWORD
	v_bfrev_b32_e32 v0, 1
	buffer_store_dword v0, off, s[0:3], s32 offset:140 ; 4-byte Folded Spill
	s_and_saveexec_b64 s[30:31], s[8:9]
	s_cbranch_execz .LBB321_51
; %bb.48:                               ;   in Loop: Header=BB321_10 Depth=1
	v_bfe_u32 v0, v30, 16, 7
	v_cmp_ne_u32_e64 s[8:9], s37, v0
	v_mov_b32_e32 v1, 0x7fc02000
	buffer_store_dword v1, off, s[0:3], s32 offset:140 ; 4-byte Folded Spill
	s_and_saveexec_b64 s[34:35], s[8:9]
	s_cbranch_execz .LBB321_50
; %bb.49:                               ;   in Loop: Header=BB321_10 Depth=1
	v_and_b32_e32 v1, 7, v32
	v_ffbh_u32_e32 v2, v1
	v_min_u32_e32 v5, 32, v2
	v_subrev_u32_e32 v2, 28, v5
	v_lshlrev_b64 v[2:3], v2, v[32:33]
	v_lshrrev_b32_e32 v4, 3, v0
	v_sub_u32_e32 v3, 29, v5
	v_cmp_gt_u32_e64 s[8:9], 8, v0
	v_and_b32_e32 v2, 7, v2
	v_cndmask_b32_e64 v0, v4, v3, s[8:9]
	v_mov_b32_e32 v3, 0x2000
	v_cndmask_b32_e64 v1, v1, v2, s[8:9]
	v_lshlrev_b32_e32 v2, 8, v32
	v_lshl_add_u32 v0, v0, 10, v3
	v_and_or_b32 v0, v2, s38, v0
	v_lshl_or_b32 v0, v1, 7, v0
	v_cvt_f32_f16_e32 v0, v0
	buffer_store_dword v0, off, s[0:3], s32 offset:140 ; 4-byte Folded Spill
.LBB321_50:                             ;   in Loop: Header=BB321_10 Depth=1
	s_or_b64 exec, exec, s[34:35]
.LBB321_51:                             ;   in Loop: Header=BB321_10 Depth=1
	s_or_b64 exec, exec, s[30:31]
.LBB321_52:                             ;   in Loop: Header=BB321_10 Depth=1
	s_or_b64 exec, exec, s[28:29]
	v_cmp_lt_u32_e64 s[8:9], s39, v30
	s_and_saveexec_b64 s[28:29], s[8:9]
	s_cbranch_execz .LBB321_58
; %bb.53:                               ;   in Loop: Header=BB321_10 Depth=1
	v_lshrrev_b32_e32 v30, 24, v30
	v_cmp_ne_u32_e64 s[8:9], s19, v30
	v_bfrev_b32_e32 v55, 1
	s_and_saveexec_b64 s[30:31], s[8:9]
	s_cbranch_execz .LBB321_57
; %bb.54:                               ;   in Loop: Header=BB321_10 Depth=1
	v_and_b32_e32 v0, 0x7f, v30
	v_cmp_ne_u32_e64 s[8:9], s37, v0
	v_mov_b32_e32 v55, 0x7fc02000
	s_and_saveexec_b64 s[34:35], s[8:9]
	s_cbranch_execz .LBB321_56
; %bb.55:                               ;   in Loop: Header=BB321_10 Depth=1
	v_and_b32_e32 v1, 7, v30
	v_ffbh_u32_e32 v2, v1
	v_min_u32_e32 v5, 32, v2
	v_subrev_u32_e32 v2, 28, v5
	v_lshlrev_b64 v[2:3], v2, v[30:31]
	v_lshrrev_b32_e32 v4, 3, v0
	v_sub_u32_e32 v3, 29, v5
	v_cmp_gt_u32_e64 s[8:9], 8, v0
	v_and_b32_e32 v2, 7, v2
	v_cndmask_b32_e64 v0, v4, v3, s[8:9]
	v_mov_b32_e32 v3, 0x2000
	v_cndmask_b32_e64 v1, v1, v2, s[8:9]
	v_lshlrev_b32_e32 v2, 8, v30
	v_lshl_add_u32 v0, v0, 10, v3
	v_and_or_b32 v0, v2, s38, v0
	v_lshl_or_b32 v0, v1, 7, v0
	v_cvt_f32_f16_e32 v55, v0
.LBB321_56:                             ;   in Loop: Header=BB321_10 Depth=1
	s_or_b64 exec, exec, s[34:35]
.LBB321_57:                             ;   in Loop: Header=BB321_10 Depth=1
	s_or_b64 exec, exec, s[30:31]
.LBB321_58:                             ;   in Loop: Header=BB321_10 Depth=1
	s_or_b64 exec, exec, s[28:29]
	flat_load_dword v30, v[28:29] offset:512
	v_mov_b32_e32 v0, 0
	v_mov_b32_e32 v14, 0
	;; [unrolled: 1-line block ×3, first 2 shown]
	s_waitcnt vmcnt(0) lgkmcnt(0)
	v_cmp_ne_u16_sdwa s[8:9], v30, v0 src0_sel:BYTE_0 src1_sel:DWORD
	s_and_saveexec_b64 s[28:29], s[8:9]
	s_cbranch_execz .LBB321_64
; %bb.59:                               ;   in Loop: Header=BB321_10 Depth=1
	v_cmp_ne_u16_sdwa s[8:9], v30, s19 src0_sel:BYTE_0 src1_sel:DWORD
	v_bfrev_b32_e32 v38, 1
	s_and_saveexec_b64 s[30:31], s[8:9]
	s_cbranch_execz .LBB321_63
; %bb.60:                               ;   in Loop: Header=BB321_10 Depth=1
	v_and_b32_e32 v0, 0x7f, v30
	v_cmp_ne_u32_e64 s[8:9], s37, v0
	v_mov_b32_e32 v38, 0x7fc02000
	s_and_saveexec_b64 s[34:35], s[8:9]
	s_cbranch_execz .LBB321_62
; %bb.61:                               ;   in Loop: Header=BB321_10 Depth=1
	v_and_b32_e32 v1, 7, v30
	v_ffbh_u32_e32 v2, v1
	v_min_u32_e32 v5, 32, v2
	v_subrev_u32_e32 v2, 28, v5
	v_lshlrev_b64 v[2:3], v2, v[30:31]
	v_lshrrev_b32_e32 v4, 3, v0
	v_sub_u32_e32 v3, 29, v5
	v_cmp_gt_u32_e64 s[8:9], 8, v0
	v_and_b32_e32 v2, 7, v2
	v_cndmask_b32_e64 v0, v4, v3, s[8:9]
	v_mov_b32_e32 v3, 0x2000
	v_cndmask_b32_e64 v1, v1, v2, s[8:9]
	v_lshlrev_b32_e32 v2, 8, v30
	v_lshl_add_u32 v0, v0, 10, v3
	v_and_or_b32 v0, v2, s38, v0
	v_lshl_or_b32 v0, v1, 7, v0
	v_cvt_f32_f16_e32 v38, v0
.LBB321_62:                             ;   in Loop: Header=BB321_10 Depth=1
	s_or_b64 exec, exec, s[34:35]
.LBB321_63:                             ;   in Loop: Header=BB321_10 Depth=1
	s_or_b64 exec, exec, s[30:31]
.LBB321_64:                             ;   in Loop: Header=BB321_10 Depth=1
	s_or_b64 exec, exec, s[28:29]
	v_lshrrev_b16_e32 v32, 8, v30
	v_cmp_ne_u16_e64 s[8:9], 0, v32
	s_and_saveexec_b64 s[28:29], s[8:9]
	s_cbranch_execz .LBB321_70
; %bb.65:                               ;   in Loop: Header=BB321_10 Depth=1
	v_cmp_ne_u16_e64 s[8:9], s19, v32
	v_bfrev_b32_e32 v14, 1
	s_and_saveexec_b64 s[30:31], s[8:9]
	s_cbranch_execz .LBB321_69
; %bb.66:                               ;   in Loop: Header=BB321_10 Depth=1
	v_and_b32_e32 v0, 0x7f, v32
	v_cmp_ne_u32_e64 s[8:9], s37, v0
	v_mov_b32_e32 v14, 0x7fc02000
	s_and_saveexec_b64 s[34:35], s[8:9]
	s_cbranch_execz .LBB321_68
; %bb.67:                               ;   in Loop: Header=BB321_10 Depth=1
	v_and_b32_e32 v2, 7, v32
	v_lshrrev_b32_e32 v3, 3, v0
	v_cmp_gt_u32_e64 s[8:9], 8, v0
	v_ffbh_u32_e32 v0, v2
	v_min_u32_e32 v4, 32, v0
	v_subrev_u32_e32 v0, 28, v4
	v_lshlrev_b64 v[0:1], v0, v[32:33]
	v_sub_u32_e32 v1, 29, v4
	v_and_b32_e32 v0, 7, v0
	v_cndmask_b32_e64 v1, v3, v1, s[8:9]
	v_mov_b32_e32 v3, 0x2000
	v_cndmask_b32_e64 v0, v2, v0, s[8:9]
	v_lshlrev_b32_e32 v2, 8, v32
	v_lshl_add_u32 v1, v1, 10, v3
	v_and_or_b32 v1, v2, s38, v1
	v_lshl_or_b32 v0, v0, 7, v1
	v_cvt_f32_f16_e32 v14, v0
.LBB321_68:                             ;   in Loop: Header=BB321_10 Depth=1
	s_or_b64 exec, exec, s[34:35]
.LBB321_69:                             ;   in Loop: Header=BB321_10 Depth=1
	s_or_b64 exec, exec, s[30:31]
.LBB321_70:                             ;   in Loop: Header=BB321_10 Depth=1
	s_or_b64 exec, exec, s[28:29]
	v_lshrrev_b32_e32 v32, 16, v30
	v_mov_b32_e32 v0, 0
	v_cmp_ne_u16_sdwa s[8:9], v32, v0 src0_sel:BYTE_0 src1_sel:DWORD
	v_mov_b32_e32 v48, 0
	v_mov_b32_e32 v54, 0
	s_and_saveexec_b64 s[28:29], s[8:9]
	s_cbranch_execz .LBB321_76
; %bb.71:                               ;   in Loop: Header=BB321_10 Depth=1
	v_cmp_ne_u16_sdwa s[8:9], v32, s19 src0_sel:BYTE_0 src1_sel:DWORD
	v_bfrev_b32_e32 v54, 1
	s_and_saveexec_b64 s[30:31], s[8:9]
	s_cbranch_execz .LBB321_75
; %bb.72:                               ;   in Loop: Header=BB321_10 Depth=1
	v_bfe_u32 v0, v30, 16, 7
	v_cmp_ne_u32_e64 s[8:9], s37, v0
	v_mov_b32_e32 v54, 0x7fc02000
	s_and_saveexec_b64 s[34:35], s[8:9]
	s_cbranch_execz .LBB321_74
; %bb.73:                               ;   in Loop: Header=BB321_10 Depth=1
	v_and_b32_e32 v1, 7, v32
	v_ffbh_u32_e32 v2, v1
	v_min_u32_e32 v5, 32, v2
	v_subrev_u32_e32 v2, 28, v5
	v_lshlrev_b64 v[2:3], v2, v[32:33]
	v_lshrrev_b32_e32 v4, 3, v0
	v_sub_u32_e32 v3, 29, v5
	v_cmp_gt_u32_e64 s[8:9], 8, v0
	v_and_b32_e32 v2, 7, v2
	v_cndmask_b32_e64 v0, v4, v3, s[8:9]
	v_mov_b32_e32 v3, 0x2000
	v_cndmask_b32_e64 v1, v1, v2, s[8:9]
	v_lshlrev_b32_e32 v2, 8, v32
	v_lshl_add_u32 v0, v0, 10, v3
	v_and_or_b32 v0, v2, s38, v0
	v_lshl_or_b32 v0, v1, 7, v0
	v_cvt_f32_f16_e32 v54, v0
.LBB321_74:                             ;   in Loop: Header=BB321_10 Depth=1
	s_or_b64 exec, exec, s[34:35]
.LBB321_75:                             ;   in Loop: Header=BB321_10 Depth=1
	s_or_b64 exec, exec, s[30:31]
.LBB321_76:                             ;   in Loop: Header=BB321_10 Depth=1
	s_or_b64 exec, exec, s[28:29]
	v_cmp_lt_u32_e64 s[8:9], s39, v30
	s_and_saveexec_b64 s[28:29], s[8:9]
	s_cbranch_execz .LBB321_82
; %bb.77:                               ;   in Loop: Header=BB321_10 Depth=1
	v_lshrrev_b32_e32 v30, 24, v30
	v_cmp_ne_u32_e64 s[8:9], s19, v30
	v_bfrev_b32_e32 v48, 1
	s_and_saveexec_b64 s[30:31], s[8:9]
	s_cbranch_execz .LBB321_81
; %bb.78:                               ;   in Loop: Header=BB321_10 Depth=1
	v_and_b32_e32 v0, 0x7f, v30
	v_cmp_ne_u32_e64 s[8:9], s37, v0
	v_mov_b32_e32 v48, 0x7fc02000
	s_and_saveexec_b64 s[34:35], s[8:9]
	s_cbranch_execz .LBB321_80
; %bb.79:                               ;   in Loop: Header=BB321_10 Depth=1
	v_and_b32_e32 v1, 7, v30
	v_ffbh_u32_e32 v2, v1
	v_min_u32_e32 v5, 32, v2
	v_subrev_u32_e32 v2, 28, v5
	v_lshlrev_b64 v[2:3], v2, v[30:31]
	v_lshrrev_b32_e32 v4, 3, v0
	v_sub_u32_e32 v3, 29, v5
	v_cmp_gt_u32_e64 s[8:9], 8, v0
	v_and_b32_e32 v2, 7, v2
	v_cndmask_b32_e64 v0, v4, v3, s[8:9]
	v_mov_b32_e32 v3, 0x2000
	v_cndmask_b32_e64 v1, v1, v2, s[8:9]
	v_lshlrev_b32_e32 v2, 8, v30
	v_lshl_add_u32 v0, v0, 10, v3
	v_and_or_b32 v0, v2, s38, v0
	v_lshl_or_b32 v0, v1, 7, v0
	v_cvt_f32_f16_e32 v48, v0
.LBB321_80:                             ;   in Loop: Header=BB321_10 Depth=1
	s_or_b64 exec, exec, s[34:35]
.LBB321_81:                             ;   in Loop: Header=BB321_10 Depth=1
	s_or_b64 exec, exec, s[30:31]
.LBB321_82:                             ;   in Loop: Header=BB321_10 Depth=1
	s_or_b64 exec, exec, s[28:29]
	flat_load_dword v30, v[28:29] offset:520
	v_mov_b32_e32 v0, 0
	v_mov_b32_e32 v59, 0
	;; [unrolled: 1-line block ×3, first 2 shown]
	s_waitcnt vmcnt(0) lgkmcnt(0)
	v_cmp_ne_u16_sdwa s[8:9], v30, v0 src0_sel:BYTE_0 src1_sel:DWORD
	s_and_saveexec_b64 s[28:29], s[8:9]
	s_cbranch_execz .LBB321_88
; %bb.83:                               ;   in Loop: Header=BB321_10 Depth=1
	v_cmp_ne_u16_sdwa s[8:9], v30, s19 src0_sel:BYTE_0 src1_sel:DWORD
	v_bfrev_b32_e32 v60, 1
	s_and_saveexec_b64 s[30:31], s[8:9]
	s_cbranch_execz .LBB321_87
; %bb.84:                               ;   in Loop: Header=BB321_10 Depth=1
	v_and_b32_e32 v0, 0x7f, v30
	v_cmp_ne_u32_e64 s[8:9], s37, v0
	v_mov_b32_e32 v60, 0x7fc02000
	s_and_saveexec_b64 s[34:35], s[8:9]
	s_cbranch_execz .LBB321_86
; %bb.85:                               ;   in Loop: Header=BB321_10 Depth=1
	v_and_b32_e32 v1, 7, v30
	v_ffbh_u32_e32 v2, v1
	v_min_u32_e32 v5, 32, v2
	v_subrev_u32_e32 v2, 28, v5
	v_lshlrev_b64 v[2:3], v2, v[30:31]
	v_lshrrev_b32_e32 v4, 3, v0
	v_sub_u32_e32 v3, 29, v5
	v_cmp_gt_u32_e64 s[8:9], 8, v0
	v_and_b32_e32 v2, 7, v2
	v_cndmask_b32_e64 v0, v4, v3, s[8:9]
	v_mov_b32_e32 v3, 0x2000
	v_cndmask_b32_e64 v1, v1, v2, s[8:9]
	v_lshlrev_b32_e32 v2, 8, v30
	v_lshl_add_u32 v0, v0, 10, v3
	v_and_or_b32 v0, v2, s38, v0
	v_lshl_or_b32 v0, v1, 7, v0
	v_cvt_f32_f16_e32 v60, v0
.LBB321_86:                             ;   in Loop: Header=BB321_10 Depth=1
	s_or_b64 exec, exec, s[34:35]
.LBB321_87:                             ;   in Loop: Header=BB321_10 Depth=1
	s_or_b64 exec, exec, s[30:31]
.LBB321_88:                             ;   in Loop: Header=BB321_10 Depth=1
	s_or_b64 exec, exec, s[28:29]
	v_lshrrev_b16_e32 v32, 8, v30
	v_cmp_ne_u16_e64 s[8:9], 0, v32
	s_and_saveexec_b64 s[28:29], s[8:9]
	s_cbranch_execz .LBB321_94
; %bb.89:                               ;   in Loop: Header=BB321_10 Depth=1
	v_cmp_ne_u16_e64 s[8:9], s19, v32
	v_bfrev_b32_e32 v59, 1
	s_and_saveexec_b64 s[30:31], s[8:9]
	s_cbranch_execz .LBB321_93
; %bb.90:                               ;   in Loop: Header=BB321_10 Depth=1
	v_and_b32_e32 v0, 0x7f, v32
	v_cmp_ne_u32_e64 s[8:9], s37, v0
	v_mov_b32_e32 v59, 0x7fc02000
	s_and_saveexec_b64 s[34:35], s[8:9]
	s_cbranch_execz .LBB321_92
; %bb.91:                               ;   in Loop: Header=BB321_10 Depth=1
	v_and_b32_e32 v1, 7, v32
	v_ffbh_u32_e32 v2, v1
	v_min_u32_e32 v5, 32, v2
	v_subrev_u32_e32 v2, 28, v5
	v_lshlrev_b64 v[2:3], v2, v[32:33]
	v_lshrrev_b32_e32 v4, 3, v0
	v_sub_u32_e32 v3, 29, v5
	v_cmp_gt_u32_e64 s[8:9], 8, v0
	v_and_b32_e32 v2, 7, v2
	v_cndmask_b32_e64 v0, v4, v3, s[8:9]
	v_mov_b32_e32 v3, 0x2000
	v_cndmask_b32_e64 v1, v1, v2, s[8:9]
	v_lshlrev_b32_e32 v2, 8, v32
	v_lshl_add_u32 v0, v0, 10, v3
	v_and_or_b32 v0, v2, s38, v0
	v_lshl_or_b32 v0, v1, 7, v0
	v_cvt_f32_f16_e32 v59, v0
.LBB321_92:                             ;   in Loop: Header=BB321_10 Depth=1
	s_or_b64 exec, exec, s[34:35]
.LBB321_93:                             ;   in Loop: Header=BB321_10 Depth=1
	s_or_b64 exec, exec, s[30:31]
.LBB321_94:                             ;   in Loop: Header=BB321_10 Depth=1
	s_or_b64 exec, exec, s[28:29]
	v_lshrrev_b32_e32 v32, 16, v30
	v_mov_b32_e32 v0, 0
	v_cmp_ne_u16_sdwa s[8:9], v32, v0 src0_sel:BYTE_0 src1_sel:DWORD
	v_mov_b32_e32 v61, 0
	v_mov_b32_e32 v15, 0
	s_and_saveexec_b64 s[28:29], s[8:9]
	s_cbranch_execz .LBB321_100
; %bb.95:                               ;   in Loop: Header=BB321_10 Depth=1
	v_cmp_ne_u16_sdwa s[8:9], v32, s19 src0_sel:BYTE_0 src1_sel:DWORD
	v_bfrev_b32_e32 v15, 1
	s_and_saveexec_b64 s[30:31], s[8:9]
	s_cbranch_execz .LBB321_99
; %bb.96:                               ;   in Loop: Header=BB321_10 Depth=1
	v_bfe_u32 v0, v30, 16, 7
	v_cmp_ne_u32_e64 s[8:9], s37, v0
	v_mov_b32_e32 v15, 0x7fc02000
	s_and_saveexec_b64 s[34:35], s[8:9]
	s_cbranch_execz .LBB321_98
; %bb.97:                               ;   in Loop: Header=BB321_10 Depth=1
	v_and_b32_e32 v1, 7, v32
	v_ffbh_u32_e32 v2, v1
	v_min_u32_e32 v5, 32, v2
	v_subrev_u32_e32 v2, 28, v5
	v_lshlrev_b64 v[2:3], v2, v[32:33]
	v_lshrrev_b32_e32 v4, 3, v0
	v_sub_u32_e32 v3, 29, v5
	v_cmp_gt_u32_e64 s[8:9], 8, v0
	v_and_b32_e32 v2, 7, v2
	v_cndmask_b32_e64 v0, v4, v3, s[8:9]
	v_mov_b32_e32 v3, 0x2000
	v_cndmask_b32_e64 v1, v1, v2, s[8:9]
	v_lshlrev_b32_e32 v2, 8, v32
	v_lshl_add_u32 v0, v0, 10, v3
	v_and_or_b32 v0, v2, s38, v0
	v_lshl_or_b32 v0, v1, 7, v0
	v_cvt_f32_f16_e32 v15, v0
.LBB321_98:                             ;   in Loop: Header=BB321_10 Depth=1
	s_or_b64 exec, exec, s[34:35]
.LBB321_99:                             ;   in Loop: Header=BB321_10 Depth=1
	s_or_b64 exec, exec, s[30:31]
.LBB321_100:                            ;   in Loop: Header=BB321_10 Depth=1
	s_or_b64 exec, exec, s[28:29]
	v_cmp_lt_u32_e64 s[8:9], s39, v30
	s_and_saveexec_b64 s[28:29], s[8:9]
	s_cbranch_execz .LBB321_106
; %bb.101:                              ;   in Loop: Header=BB321_10 Depth=1
	v_lshrrev_b32_e32 v30, 24, v30
	v_cmp_ne_u32_e64 s[8:9], s19, v30
	v_bfrev_b32_e32 v61, 1
	s_and_saveexec_b64 s[30:31], s[8:9]
	s_cbranch_execz .LBB321_105
; %bb.102:                              ;   in Loop: Header=BB321_10 Depth=1
	v_and_b32_e32 v0, 0x7f, v30
	v_cmp_ne_u32_e64 s[8:9], s37, v0
	v_mov_b32_e32 v61, 0x7fc02000
	s_and_saveexec_b64 s[34:35], s[8:9]
	s_cbranch_execz .LBB321_104
; %bb.103:                              ;   in Loop: Header=BB321_10 Depth=1
	v_and_b32_e32 v1, 7, v30
	v_ffbh_u32_e32 v2, v1
	v_min_u32_e32 v5, 32, v2
	v_subrev_u32_e32 v2, 28, v5
	v_lshlrev_b64 v[2:3], v2, v[30:31]
	v_lshrrev_b32_e32 v4, 3, v0
	v_sub_u32_e32 v3, 29, v5
	v_cmp_gt_u32_e64 s[8:9], 8, v0
	v_and_b32_e32 v2, 7, v2
	v_cndmask_b32_e64 v0, v4, v3, s[8:9]
	v_mov_b32_e32 v3, 0x2000
	v_cndmask_b32_e64 v1, v1, v2, s[8:9]
	v_lshlrev_b32_e32 v2, 8, v30
	v_lshl_add_u32 v0, v0, 10, v3
	v_and_or_b32 v0, v2, s38, v0
	v_lshl_or_b32 v0, v1, 7, v0
	v_cvt_f32_f16_e32 v61, v0
.LBB321_104:                            ;   in Loop: Header=BB321_10 Depth=1
	s_or_b64 exec, exec, s[34:35]
.LBB321_105:                            ;   in Loop: Header=BB321_10 Depth=1
	s_or_b64 exec, exec, s[30:31]
.LBB321_106:                            ;   in Loop: Header=BB321_10 Depth=1
	s_or_b64 exec, exec, s[28:29]
	flat_load_dword v30, v[28:29] offset:1024
	v_mov_b32_e32 v0, 0
	v_mov_b32_e32 v50, 0
	;; [unrolled: 1-line block ×3, first 2 shown]
	s_waitcnt vmcnt(0) lgkmcnt(0)
	v_cmp_ne_u16_sdwa s[8:9], v30, v0 src0_sel:BYTE_0 src1_sel:DWORD
	s_and_saveexec_b64 s[28:29], s[8:9]
	s_cbranch_execz .LBB321_112
; %bb.107:                              ;   in Loop: Header=BB321_10 Depth=1
	v_cmp_ne_u16_sdwa s[8:9], v30, s19 src0_sel:BYTE_0 src1_sel:DWORD
	v_bfrev_b32_e32 v5, 1
	s_and_saveexec_b64 s[30:31], s[8:9]
	s_cbranch_execz .LBB321_111
; %bb.108:                              ;   in Loop: Header=BB321_10 Depth=1
	v_and_b32_e32 v0, 0x7f, v30
	v_cmp_ne_u32_e64 s[8:9], s37, v0
	v_mov_b32_e32 v5, 0x7fc02000
	s_and_saveexec_b64 s[34:35], s[8:9]
	s_cbranch_execz .LBB321_110
; %bb.109:                              ;   in Loop: Header=BB321_10 Depth=1
	v_and_b32_e32 v1, 7, v30
	v_ffbh_u32_e32 v2, v1
	v_min_u32_e32 v5, 32, v2
	v_subrev_u32_e32 v2, 28, v5
	v_lshlrev_b64 v[2:3], v2, v[30:31]
	v_lshrrev_b32_e32 v4, 3, v0
	v_sub_u32_e32 v3, 29, v5
	v_cmp_gt_u32_e64 s[8:9], 8, v0
	v_and_b32_e32 v2, 7, v2
	v_cndmask_b32_e64 v0, v4, v3, s[8:9]
	v_mov_b32_e32 v3, 0x2000
	v_cndmask_b32_e64 v1, v1, v2, s[8:9]
	v_lshlrev_b32_e32 v2, 8, v30
	v_lshl_add_u32 v0, v0, 10, v3
	v_and_or_b32 v0, v2, s38, v0
	v_lshl_or_b32 v0, v1, 7, v0
	v_cvt_f32_f16_e32 v5, v0
.LBB321_110:                            ;   in Loop: Header=BB321_10 Depth=1
	s_or_b64 exec, exec, s[34:35]
.LBB321_111:                            ;   in Loop: Header=BB321_10 Depth=1
	s_or_b64 exec, exec, s[30:31]
.LBB321_112:                            ;   in Loop: Header=BB321_10 Depth=1
	s_or_b64 exec, exec, s[28:29]
	v_lshrrev_b16_e32 v32, 8, v30
	v_cmp_ne_u16_e64 s[8:9], 0, v32
	s_and_saveexec_b64 s[28:29], s[8:9]
	s_cbranch_execz .LBB321_118
; %bb.113:                              ;   in Loop: Header=BB321_10 Depth=1
	v_cmp_ne_u16_e64 s[8:9], s19, v32
	v_bfrev_b32_e32 v50, 1
	s_and_saveexec_b64 s[30:31], s[8:9]
	s_cbranch_execz .LBB321_117
; %bb.114:                              ;   in Loop: Header=BB321_10 Depth=1
	v_and_b32_e32 v0, 0x7f, v32
	v_cmp_ne_u32_e64 s[8:9], s37, v0
	v_mov_b32_e32 v50, 0x7fc02000
	s_and_saveexec_b64 s[34:35], s[8:9]
	s_cbranch_execz .LBB321_116
; %bb.115:                              ;   in Loop: Header=BB321_10 Depth=1
	v_and_b32_e32 v2, 7, v32
	v_lshrrev_b32_e32 v3, 3, v0
	v_cmp_gt_u32_e64 s[8:9], 8, v0
	v_ffbh_u32_e32 v0, v2
	v_min_u32_e32 v4, 32, v0
	v_subrev_u32_e32 v0, 28, v4
	v_lshlrev_b64 v[0:1], v0, v[32:33]
	v_sub_u32_e32 v1, 29, v4
	v_and_b32_e32 v0, 7, v0
	v_cndmask_b32_e64 v1, v3, v1, s[8:9]
	v_mov_b32_e32 v3, 0x2000
	v_cndmask_b32_e64 v0, v2, v0, s[8:9]
	v_lshlrev_b32_e32 v2, 8, v32
	v_lshl_add_u32 v1, v1, 10, v3
	v_and_or_b32 v1, v2, s38, v1
	v_lshl_or_b32 v0, v0, 7, v1
	v_cvt_f32_f16_e32 v50, v0
.LBB321_116:                            ;   in Loop: Header=BB321_10 Depth=1
	s_or_b64 exec, exec, s[34:35]
.LBB321_117:                            ;   in Loop: Header=BB321_10 Depth=1
	s_or_b64 exec, exec, s[30:31]
.LBB321_118:                            ;   in Loop: Header=BB321_10 Depth=1
	s_or_b64 exec, exec, s[28:29]
	v_lshrrev_b32_e32 v32, 16, v30
	v_mov_b32_e32 v0, 0
	v_cmp_ne_u16_sdwa s[8:9], v32, v0 src0_sel:BYTE_0 src1_sel:DWORD
	v_mov_b32_e32 v4, 0
	v_mov_b32_e32 v0, 0
	buffer_store_dword v0, off, s[0:3], s32 offset:144 ; 4-byte Folded Spill
	s_mov_b64 s[28:29], exec
	s_and_b64 s[8:9], s[28:29], s[8:9]
	v_accvgpr_write_b32 a47, v5
	s_mov_b64 exec, s[8:9]
	s_cbranch_execz .LBB321_124
; %bb.119:                              ;   in Loop: Header=BB321_10 Depth=1
	v_cmp_ne_u16_sdwa s[8:9], v32, s19 src0_sel:BYTE_0 src1_sel:DWORD
	v_bfrev_b32_e32 v1, 1
	s_and_saveexec_b64 s[30:31], s[8:9]
	s_cbranch_execz .LBB321_123
; %bb.120:                              ;   in Loop: Header=BB321_10 Depth=1
	v_bfe_u32 v0, v30, 16, 7
	v_cmp_ne_u32_e64 s[8:9], s37, v0
	v_mov_b32_e32 v1, 0x7fc02000
	s_and_saveexec_b64 s[34:35], s[8:9]
	s_cbranch_execz .LBB321_122
; %bb.121:                              ;   in Loop: Header=BB321_10 Depth=1
	v_and_b32_e32 v1, 7, v32
	v_ffbh_u32_e32 v2, v1
	v_min_u32_e32 v5, 32, v2
	v_subrev_u32_e32 v2, 28, v5
	v_lshlrev_b64 v[2:3], v2, v[32:33]
	v_lshrrev_b32_e32 v4, 3, v0
	v_sub_u32_e32 v3, 29, v5
	v_cmp_gt_u32_e64 s[8:9], 8, v0
	v_and_b32_e32 v2, 7, v2
	v_cndmask_b32_e64 v0, v4, v3, s[8:9]
	v_mov_b32_e32 v3, 0x2000
	v_cndmask_b32_e64 v1, v1, v2, s[8:9]
	v_lshlrev_b32_e32 v2, 8, v32
	v_lshl_add_u32 v0, v0, 10, v3
	v_and_or_b32 v0, v2, s38, v0
	v_lshl_or_b32 v0, v1, 7, v0
	v_cvt_f32_f16_e32 v1, v0
	v_mov_b32_e32 v4, 0
.LBB321_122:                            ;   in Loop: Header=BB321_10 Depth=1
	s_or_b64 exec, exec, s[34:35]
.LBB321_123:                            ;   in Loop: Header=BB321_10 Depth=1
	s_or_b64 exec, exec, s[30:31]
	buffer_store_dword v1, off, s[0:3], s32 offset:144 ; 4-byte Folded Spill
.LBB321_124:                            ;   in Loop: Header=BB321_10 Depth=1
	s_or_b64 exec, exec, s[28:29]
	v_cmp_lt_u32_e64 s[8:9], s39, v30
	s_and_saveexec_b64 s[28:29], s[8:9]
	s_cbranch_execz .LBB321_130
; %bb.125:                              ;   in Loop: Header=BB321_10 Depth=1
	v_lshrrev_b32_e32 v30, 24, v30
	v_cmp_ne_u32_e64 s[8:9], s19, v30
	v_bfrev_b32_e32 v4, 1
	s_and_saveexec_b64 s[30:31], s[8:9]
	s_cbranch_execz .LBB321_129
; %bb.126:                              ;   in Loop: Header=BB321_10 Depth=1
	v_and_b32_e32 v0, 0x7f, v30
	v_cmp_ne_u32_e64 s[8:9], s37, v0
	v_mov_b32_e32 v4, 0x7fc02000
	s_and_saveexec_b64 s[34:35], s[8:9]
	s_cbranch_execz .LBB321_128
; %bb.127:                              ;   in Loop: Header=BB321_10 Depth=1
	v_and_b32_e32 v1, 7, v30
	v_ffbh_u32_e32 v2, v1
	v_min_u32_e32 v5, 32, v2
	v_subrev_u32_e32 v2, 28, v5
	v_lshlrev_b64 v[2:3], v2, v[30:31]
	v_lshrrev_b32_e32 v4, 3, v0
	v_sub_u32_e32 v3, 29, v5
	v_cmp_gt_u32_e64 s[8:9], 8, v0
	v_and_b32_e32 v2, 7, v2
	v_cndmask_b32_e64 v0, v4, v3, s[8:9]
	v_mov_b32_e32 v3, 0x2000
	v_cndmask_b32_e64 v1, v1, v2, s[8:9]
	v_lshlrev_b32_e32 v2, 8, v30
	v_lshl_add_u32 v0, v0, 10, v3
	v_and_or_b32 v0, v2, s38, v0
	v_lshl_or_b32 v0, v1, 7, v0
	v_cvt_f32_f16_e32 v4, v0
.LBB321_128:                            ;   in Loop: Header=BB321_10 Depth=1
	s_or_b64 exec, exec, s[34:35]
.LBB321_129:                            ;   in Loop: Header=BB321_10 Depth=1
	s_or_b64 exec, exec, s[30:31]
.LBB321_130:                            ;   in Loop: Header=BB321_10 Depth=1
	s_or_b64 exec, exec, s[28:29]
	flat_load_dword v30, v[28:29] offset:1032
	v_mov_b32_e32 v0, 0
	v_mov_b32_e32 v5, 0
	;; [unrolled: 1-line block ×3, first 2 shown]
	s_waitcnt vmcnt(0) lgkmcnt(0)
	v_cmp_ne_u16_sdwa s[8:9], v30, v0 src0_sel:BYTE_0 src1_sel:DWORD
	s_and_saveexec_b64 s[28:29], s[8:9]
	s_cbranch_execz .LBB321_136
; %bb.131:                              ;   in Loop: Header=BB321_10 Depth=1
	v_cmp_ne_u16_sdwa s[8:9], v30, s19 src0_sel:BYTE_0 src1_sel:DWORD
	v_bfrev_b32_e32 v52, 1
	s_and_saveexec_b64 s[30:31], s[8:9]
	s_cbranch_execz .LBB321_135
; %bb.132:                              ;   in Loop: Header=BB321_10 Depth=1
	v_and_b32_e32 v0, 0x7f, v30
	v_cmp_ne_u32_e64 s[8:9], s37, v0
	v_mov_b32_e32 v52, 0x7fc02000
	s_and_saveexec_b64 s[34:35], s[8:9]
	s_cbranch_execz .LBB321_134
; %bb.133:                              ;   in Loop: Header=BB321_10 Depth=1
	v_and_b32_e32 v1, 7, v30
	v_ffbh_u32_e32 v2, v1
	v_min_u32_e32 v6, 32, v2
	v_subrev_u32_e32 v2, 28, v6
	v_lshlrev_b64 v[2:3], v2, v[30:31]
	v_lshrrev_b32_e32 v5, 3, v0
	v_sub_u32_e32 v3, 29, v6
	v_cmp_gt_u32_e64 s[8:9], 8, v0
	v_and_b32_e32 v2, 7, v2
	v_cndmask_b32_e64 v0, v5, v3, s[8:9]
	v_mov_b32_e32 v3, 0x2000
	v_cndmask_b32_e64 v1, v1, v2, s[8:9]
	v_lshlrev_b32_e32 v2, 8, v30
	v_lshl_add_u32 v0, v0, 10, v3
	v_and_or_b32 v0, v2, s38, v0
	v_lshl_or_b32 v0, v1, 7, v0
	v_cvt_f32_f16_e32 v52, v0
	v_mov_b32_e32 v5, 0
.LBB321_134:                            ;   in Loop: Header=BB321_10 Depth=1
	s_or_b64 exec, exec, s[34:35]
.LBB321_135:                            ;   in Loop: Header=BB321_10 Depth=1
	s_or_b64 exec, exec, s[30:31]
.LBB321_136:                            ;   in Loop: Header=BB321_10 Depth=1
	s_or_b64 exec, exec, s[28:29]
	v_lshrrev_b16_e32 v32, 8, v30
	v_cmp_ne_u16_e64 s[8:9], 0, v32
	s_mov_b64 s[28:29], exec
	s_and_b64 s[8:9], s[28:29], s[8:9]
	v_accvgpr_write_b32 a48, v4
	s_mov_b64 exec, s[8:9]
	s_cbranch_execz .LBB321_142
; %bb.137:                              ;   in Loop: Header=BB321_10 Depth=1
	v_cmp_ne_u16_e64 s[8:9], s19, v32
	v_bfrev_b32_e32 v5, 1
	s_and_saveexec_b64 s[30:31], s[8:9]
	s_cbranch_execz .LBB321_141
; %bb.138:                              ;   in Loop: Header=BB321_10 Depth=1
	v_and_b32_e32 v0, 0x7f, v32
	v_cmp_ne_u32_e64 s[8:9], s37, v0
	v_mov_b32_e32 v5, 0x7fc02000
	s_and_saveexec_b64 s[34:35], s[8:9]
	s_cbranch_execz .LBB321_140
; %bb.139:                              ;   in Loop: Header=BB321_10 Depth=1
	v_and_b32_e32 v1, 7, v32
	v_ffbh_u32_e32 v2, v1
	v_min_u32_e32 v6, 32, v2
	v_subrev_u32_e32 v2, 28, v6
	v_lshlrev_b64 v[2:3], v2, v[32:33]
	v_lshrrev_b32_e32 v4, 3, v0
	v_sub_u32_e32 v3, 29, v6
	v_cmp_gt_u32_e64 s[8:9], 8, v0
	v_and_b32_e32 v2, 7, v2
	v_cndmask_b32_e64 v0, v4, v3, s[8:9]
	v_mov_b32_e32 v3, 0x2000
	v_cndmask_b32_e64 v1, v1, v2, s[8:9]
	v_lshlrev_b32_e32 v2, 8, v32
	v_lshl_add_u32 v0, v0, 10, v3
	v_and_or_b32 v0, v2, s38, v0
	v_lshl_or_b32 v0, v1, 7, v0
	v_cvt_f32_f16_e32 v5, v0
.LBB321_140:                            ;   in Loop: Header=BB321_10 Depth=1
	s_or_b64 exec, exec, s[34:35]
.LBB321_141:                            ;   in Loop: Header=BB321_10 Depth=1
	s_or_b64 exec, exec, s[30:31]
.LBB321_142:                            ;   in Loop: Header=BB321_10 Depth=1
	s_or_b64 exec, exec, s[28:29]
	v_lshrrev_b32_e32 v32, 16, v30
	v_mov_b32_e32 v0, 0
	v_cmp_ne_u16_sdwa s[8:9], v32, v0 src0_sel:BYTE_0 src1_sel:DWORD
	v_mov_b32_e32 v4, 0
	v_mov_b32_e32 v53, 0
	s_and_saveexec_b64 s[28:29], s[8:9]
	s_cbranch_execz .LBB321_148
; %bb.143:                              ;   in Loop: Header=BB321_10 Depth=1
	v_cmp_ne_u16_sdwa s[8:9], v32, s19 src0_sel:BYTE_0 src1_sel:DWORD
	v_bfrev_b32_e32 v53, 1
	s_and_saveexec_b64 s[30:31], s[8:9]
	s_cbranch_execz .LBB321_147
; %bb.144:                              ;   in Loop: Header=BB321_10 Depth=1
	v_bfe_u32 v0, v30, 16, 7
	v_cmp_ne_u32_e64 s[8:9], s37, v0
	v_mov_b32_e32 v53, 0x7fc02000
	s_and_saveexec_b64 s[34:35], s[8:9]
	s_cbranch_execz .LBB321_146
; %bb.145:                              ;   in Loop: Header=BB321_10 Depth=1
	v_and_b32_e32 v1, 7, v32
	v_ffbh_u32_e32 v2, v1
	v_min_u32_e32 v7, 32, v2
	v_subrev_u32_e32 v2, 28, v7
	v_lshlrev_b64 v[2:3], v2, v[32:33]
	v_lshrrev_b32_e32 v6, 3, v0
	v_sub_u32_e32 v3, 29, v7
	v_cmp_gt_u32_e64 s[8:9], 8, v0
	v_and_b32_e32 v2, 7, v2
	v_cndmask_b32_e64 v0, v6, v3, s[8:9]
	v_mov_b32_e32 v3, 0x2000
	v_cndmask_b32_e64 v1, v1, v2, s[8:9]
	v_lshlrev_b32_e32 v2, 8, v32
	v_lshl_add_u32 v0, v0, 10, v3
	v_and_or_b32 v0, v2, s38, v0
	v_lshl_or_b32 v0, v1, 7, v0
	v_cvt_f32_f16_e32 v53, v0
.LBB321_146:                            ;   in Loop: Header=BB321_10 Depth=1
	s_or_b64 exec, exec, s[34:35]
.LBB321_147:                            ;   in Loop: Header=BB321_10 Depth=1
	s_or_b64 exec, exec, s[30:31]
.LBB321_148:                            ;   in Loop: Header=BB321_10 Depth=1
	s_or_b64 exec, exec, s[28:29]
	v_cmp_lt_u32_e64 s[8:9], s39, v30
	s_and_saveexec_b64 s[28:29], s[8:9]
	s_cbranch_execz .LBB321_154
; %bb.149:                              ;   in Loop: Header=BB321_10 Depth=1
	v_lshrrev_b32_e32 v30, 24, v30
	v_cmp_ne_u32_e64 s[8:9], s19, v30
	v_bfrev_b32_e32 v4, 1
	s_and_saveexec_b64 s[30:31], s[8:9]
	s_cbranch_execz .LBB321_153
; %bb.150:                              ;   in Loop: Header=BB321_10 Depth=1
	v_and_b32_e32 v0, 0x7f, v30
	v_cmp_ne_u32_e64 s[8:9], s37, v0
	v_mov_b32_e32 v4, 0x7fc02000
	s_and_saveexec_b64 s[34:35], s[8:9]
	s_cbranch_execz .LBB321_152
; %bb.151:                              ;   in Loop: Header=BB321_10 Depth=1
	v_and_b32_e32 v1, 7, v30
	v_ffbh_u32_e32 v2, v1
	v_min_u32_e32 v7, 32, v2
	v_subrev_u32_e32 v2, 28, v7
	v_lshlrev_b64 v[2:3], v2, v[30:31]
	v_lshrrev_b32_e32 v6, 3, v0
	v_sub_u32_e32 v3, 29, v7
	v_cmp_gt_u32_e64 s[8:9], 8, v0
	v_and_b32_e32 v2, 7, v2
	v_cndmask_b32_e64 v0, v6, v3, s[8:9]
	v_mov_b32_e32 v3, 0x2000
	v_cndmask_b32_e64 v1, v1, v2, s[8:9]
	v_lshlrev_b32_e32 v2, 8, v30
	v_lshl_add_u32 v0, v0, 10, v3
	v_and_or_b32 v0, v2, s38, v0
	v_lshl_or_b32 v0, v1, 7, v0
	v_cvt_f32_f16_e32 v4, v0
.LBB321_152:                            ;   in Loop: Header=BB321_10 Depth=1
	s_or_b64 exec, exec, s[34:35]
.LBB321_153:                            ;   in Loop: Header=BB321_10 Depth=1
	s_or_b64 exec, exec, s[30:31]
.LBB321_154:                            ;   in Loop: Header=BB321_10 Depth=1
	s_or_b64 exec, exec, s[28:29]
	flat_load_dword v30, v[28:29] offset:1536
	v_mov_b32_e32 v0, 0
	v_mov_b32_e32 v10, 0
	;; [unrolled: 1-line block ×3, first 2 shown]
	s_waitcnt vmcnt(0) lgkmcnt(0)
	v_cmp_ne_u16_sdwa s[8:9], v30, v0 src0_sel:BYTE_0 src1_sel:DWORD
	s_and_saveexec_b64 s[28:29], s[8:9]
	s_cbranch_execz .LBB321_160
; %bb.155:                              ;   in Loop: Header=BB321_10 Depth=1
	v_cmp_ne_u16_sdwa s[8:9], v30, s19 src0_sel:BYTE_0 src1_sel:DWORD
	v_bfrev_b32_e32 v11, 1
	s_and_saveexec_b64 s[30:31], s[8:9]
	s_cbranch_execz .LBB321_159
; %bb.156:                              ;   in Loop: Header=BB321_10 Depth=1
	v_and_b32_e32 v0, 0x7f, v30
	v_cmp_ne_u32_e64 s[8:9], s37, v0
	v_mov_b32_e32 v11, 0x7fc02000
	s_and_saveexec_b64 s[34:35], s[8:9]
	s_cbranch_execz .LBB321_158
; %bb.157:                              ;   in Loop: Header=BB321_10 Depth=1
	v_and_b32_e32 v1, 7, v30
	v_ffbh_u32_e32 v2, v1
	v_min_u32_e32 v7, 32, v2
	v_subrev_u32_e32 v2, 28, v7
	v_lshlrev_b64 v[2:3], v2, v[30:31]
	v_lshrrev_b32_e32 v6, 3, v0
	v_sub_u32_e32 v3, 29, v7
	v_cmp_gt_u32_e64 s[8:9], 8, v0
	v_and_b32_e32 v2, 7, v2
	v_cndmask_b32_e64 v0, v6, v3, s[8:9]
	v_mov_b32_e32 v3, 0x2000
	v_cndmask_b32_e64 v1, v1, v2, s[8:9]
	v_lshlrev_b32_e32 v2, 8, v30
	v_lshl_add_u32 v0, v0, 10, v3
	v_and_or_b32 v0, v2, s38, v0
	v_lshl_or_b32 v0, v1, 7, v0
	v_cvt_f32_f16_e32 v11, v0
.LBB321_158:                            ;   in Loop: Header=BB321_10 Depth=1
	s_or_b64 exec, exec, s[34:35]
.LBB321_159:                            ;   in Loop: Header=BB321_10 Depth=1
	s_or_b64 exec, exec, s[30:31]
.LBB321_160:                            ;   in Loop: Header=BB321_10 Depth=1
	s_or_b64 exec, exec, s[28:29]
	v_lshrrev_b16_e32 v32, 8, v30
	v_cmp_ne_u16_e64 s[8:9], 0, v32
	s_and_saveexec_b64 s[28:29], s[8:9]
	s_cbranch_execz .LBB321_166
; %bb.161:                              ;   in Loop: Header=BB321_10 Depth=1
	v_cmp_ne_u16_e64 s[8:9], s19, v32
	v_bfrev_b32_e32 v10, 1
	s_and_saveexec_b64 s[30:31], s[8:9]
	s_cbranch_execz .LBB321_165
; %bb.162:                              ;   in Loop: Header=BB321_10 Depth=1
	v_and_b32_e32 v0, 0x7f, v32
	v_cmp_ne_u32_e64 s[8:9], s37, v0
	v_mov_b32_e32 v10, 0x7fc02000
	s_and_saveexec_b64 s[34:35], s[8:9]
	s_cbranch_execz .LBB321_164
; %bb.163:                              ;   in Loop: Header=BB321_10 Depth=1
	v_and_b32_e32 v2, 7, v32
	v_lshrrev_b32_e32 v3, 3, v0
	v_cmp_gt_u32_e64 s[8:9], 8, v0
	v_ffbh_u32_e32 v0, v2
	v_min_u32_e32 v6, 32, v0
	v_subrev_u32_e32 v0, 28, v6
	v_lshlrev_b64 v[0:1], v0, v[32:33]
	v_sub_u32_e32 v1, 29, v6
	v_and_b32_e32 v0, 7, v0
	v_cndmask_b32_e64 v1, v3, v1, s[8:9]
	v_mov_b32_e32 v3, 0x2000
	v_cndmask_b32_e64 v0, v2, v0, s[8:9]
	v_lshlrev_b32_e32 v2, 8, v32
	v_lshl_add_u32 v1, v1, 10, v3
	v_and_or_b32 v1, v2, s38, v1
	v_lshl_or_b32 v0, v0, 7, v1
	v_cvt_f32_f16_e32 v10, v0
.LBB321_164:                            ;   in Loop: Header=BB321_10 Depth=1
	s_or_b64 exec, exec, s[34:35]
.LBB321_165:                            ;   in Loop: Header=BB321_10 Depth=1
	s_or_b64 exec, exec, s[30:31]
.LBB321_166:                            ;   in Loop: Header=BB321_10 Depth=1
	s_or_b64 exec, exec, s[28:29]
	v_lshrrev_b32_e32 v32, 16, v30
	v_mov_b32_e32 v0, 0
	v_cmp_ne_u16_sdwa s[8:9], v32, v0 src0_sel:BYTE_0 src1_sel:DWORD
	v_mov_b32_e32 v34, 0
	v_mov_b32_e32 v51, 0
	s_and_saveexec_b64 s[28:29], s[8:9]
	s_cbranch_execz .LBB321_172
; %bb.167:                              ;   in Loop: Header=BB321_10 Depth=1
	v_cmp_ne_u16_sdwa s[8:9], v32, s19 src0_sel:BYTE_0 src1_sel:DWORD
	v_bfrev_b32_e32 v51, 1
	s_and_saveexec_b64 s[30:31], s[8:9]
	s_cbranch_execz .LBB321_171
; %bb.168:                              ;   in Loop: Header=BB321_10 Depth=1
	v_bfe_u32 v0, v30, 16, 7
	v_cmp_ne_u32_e64 s[8:9], s37, v0
	v_mov_b32_e32 v51, 0x7fc02000
	s_and_saveexec_b64 s[34:35], s[8:9]
	s_cbranch_execz .LBB321_170
; %bb.169:                              ;   in Loop: Header=BB321_10 Depth=1
	v_and_b32_e32 v1, 7, v32
	v_ffbh_u32_e32 v2, v1
	v_min_u32_e32 v7, 32, v2
	v_subrev_u32_e32 v2, 28, v7
	v_lshlrev_b64 v[2:3], v2, v[32:33]
	v_lshrrev_b32_e32 v6, 3, v0
	v_sub_u32_e32 v3, 29, v7
	v_cmp_gt_u32_e64 s[8:9], 8, v0
	v_and_b32_e32 v2, 7, v2
	v_cndmask_b32_e64 v0, v6, v3, s[8:9]
	v_mov_b32_e32 v3, 0x2000
	v_cndmask_b32_e64 v1, v1, v2, s[8:9]
	v_lshlrev_b32_e32 v2, 8, v32
	v_lshl_add_u32 v0, v0, 10, v3
	v_and_or_b32 v0, v2, s38, v0
	v_lshl_or_b32 v0, v1, 7, v0
	v_cvt_f32_f16_e32 v51, v0
.LBB321_170:                            ;   in Loop: Header=BB321_10 Depth=1
	s_or_b64 exec, exec, s[34:35]
.LBB321_171:                            ;   in Loop: Header=BB321_10 Depth=1
	s_or_b64 exec, exec, s[30:31]
.LBB321_172:                            ;   in Loop: Header=BB321_10 Depth=1
	s_or_b64 exec, exec, s[28:29]
	v_cmp_lt_u32_e64 s[8:9], s39, v30
	s_and_saveexec_b64 s[28:29], s[8:9]
	s_cbranch_execz .LBB321_178
; %bb.173:                              ;   in Loop: Header=BB321_10 Depth=1
	v_lshrrev_b32_e32 v30, 24, v30
	v_cmp_ne_u32_e64 s[8:9], s19, v30
	v_bfrev_b32_e32 v34, 1
	s_and_saveexec_b64 s[30:31], s[8:9]
	s_cbranch_execz .LBB321_177
; %bb.174:                              ;   in Loop: Header=BB321_10 Depth=1
	v_and_b32_e32 v0, 0x7f, v30
	v_cmp_ne_u32_e64 s[8:9], s37, v0
	v_mov_b32_e32 v34, 0x7fc02000
	s_and_saveexec_b64 s[34:35], s[8:9]
	s_cbranch_execz .LBB321_176
; %bb.175:                              ;   in Loop: Header=BB321_10 Depth=1
	v_and_b32_e32 v1, 7, v30
	v_ffbh_u32_e32 v2, v1
	v_min_u32_e32 v7, 32, v2
	v_subrev_u32_e32 v2, 28, v7
	v_lshlrev_b64 v[2:3], v2, v[30:31]
	v_lshrrev_b32_e32 v6, 3, v0
	v_sub_u32_e32 v3, 29, v7
	v_cmp_gt_u32_e64 s[8:9], 8, v0
	v_and_b32_e32 v2, 7, v2
	v_cndmask_b32_e64 v0, v6, v3, s[8:9]
	v_mov_b32_e32 v3, 0x2000
	v_cndmask_b32_e64 v1, v1, v2, s[8:9]
	v_lshlrev_b32_e32 v2, 8, v30
	v_lshl_add_u32 v0, v0, 10, v3
	v_and_or_b32 v0, v2, s38, v0
	v_lshl_or_b32 v0, v1, 7, v0
	v_cvt_f32_f16_e32 v34, v0
.LBB321_176:                            ;   in Loop: Header=BB321_10 Depth=1
	s_or_b64 exec, exec, s[34:35]
.LBB321_177:                            ;   in Loop: Header=BB321_10 Depth=1
	s_or_b64 exec, exec, s[30:31]
.LBB321_178:                            ;   in Loop: Header=BB321_10 Depth=1
	s_or_b64 exec, exec, s[28:29]
	flat_load_dword v30, v[28:29] offset:1544
	v_mov_b32_e32 v1, 0
	v_mov_b32_e32 v0, 0
	;; [unrolled: 1-line block ×3, first 2 shown]
	s_waitcnt vmcnt(0) lgkmcnt(0)
	v_cmp_ne_u16_sdwa s[8:9], v30, v0 src0_sel:BYTE_0 src1_sel:DWORD
	s_mov_b64 s[28:29], exec
	s_and_b64 s[8:9], s[28:29], s[8:9]
	v_accvgpr_write_b32 a50, v4
	s_mov_b64 exec, s[8:9]
	s_cbranch_execz .LBB321_184
; %bb.179:                              ;   in Loop: Header=BB321_10 Depth=1
	v_cmp_ne_u16_sdwa s[8:9], v30, s19 src0_sel:BYTE_0 src1_sel:DWORD
	v_bfrev_b32_e32 v21, 1
	s_and_saveexec_b64 s[30:31], s[8:9]
	s_cbranch_execz .LBB321_183
; %bb.180:                              ;   in Loop: Header=BB321_10 Depth=1
	v_and_b32_e32 v2, 0x7f, v30
	v_cmp_ne_u32_e64 s[8:9], s37, v2
	v_mov_b32_e32 v21, 0x7fc02000
	s_and_saveexec_b64 s[34:35], s[8:9]
	s_cbranch_execz .LBB321_182
; %bb.181:                              ;   in Loop: Header=BB321_10 Depth=1
	v_and_b32_e32 v0, 7, v30
	v_ffbh_u32_e32 v6, v0
	v_min_u32_e32 v8, 32, v6
	v_subrev_u32_e32 v6, 28, v8
	v_lshlrev_b64 v[6:7], v6, v[30:31]
	v_lshrrev_b32_e32 v3, 3, v2
	v_sub_u32_e32 v7, 29, v8
	v_cmp_gt_u32_e64 s[8:9], 8, v2
	v_cndmask_b32_e64 v2, v3, v7, s[8:9]
	v_mov_b32_e32 v4, 0x2000
	v_and_b32_e32 v6, 7, v6
	v_lshlrev_b32_e32 v3, 8, v30
	v_lshl_add_u32 v2, v2, 10, v4
	v_cndmask_b32_e64 v0, v0, v6, s[8:9]
	v_and_or_b32 v2, v3, s38, v2
	v_lshl_or_b32 v0, v0, 7, v2
	v_cvt_f32_f16_e32 v21, v0
.LBB321_182:                            ;   in Loop: Header=BB321_10 Depth=1
	s_or_b64 exec, exec, s[34:35]
.LBB321_183:                            ;   in Loop: Header=BB321_10 Depth=1
	s_or_b64 exec, exec, s[30:31]
.LBB321_184:                            ;   in Loop: Header=BB321_10 Depth=1
	s_or_b64 exec, exec, s[28:29]
	v_lshrrev_b16_e32 v32, 8, v30
	v_cmp_ne_u16_e64 s[8:9], 0, v32
	s_and_saveexec_b64 s[28:29], s[8:9]
	s_cbranch_execz .LBB321_190
; %bb.185:                              ;   in Loop: Header=BB321_10 Depth=1
	v_cmp_ne_u16_e64 s[8:9], s19, v32
	v_bfrev_b32_e32 v1, 1
	s_and_saveexec_b64 s[30:31], s[8:9]
	s_cbranch_execz .LBB321_189
; %bb.186:                              ;   in Loop: Header=BB321_10 Depth=1
	v_and_b32_e32 v2, 0x7f, v32
	v_cmp_ne_u32_e64 s[8:9], s37, v2
	v_mov_b32_e32 v1, 0x7fc02000
	s_and_saveexec_b64 s[34:35], s[8:9]
	s_cbranch_execz .LBB321_188
; %bb.187:                              ;   in Loop: Header=BB321_10 Depth=1
	v_and_b32_e32 v1, 7, v32
	v_ffbh_u32_e32 v6, v1
	v_min_u32_e32 v8, 32, v6
	v_subrev_u32_e32 v6, 28, v8
	v_lshlrev_b64 v[6:7], v6, v[32:33]
	v_lshrrev_b32_e32 v3, 3, v2
	v_sub_u32_e32 v7, 29, v8
	v_cmp_gt_u32_e64 s[8:9], 8, v2
	v_cndmask_b32_e64 v2, v3, v7, s[8:9]
	v_mov_b32_e32 v0, 0x2000
	v_and_b32_e32 v6, 7, v6
	v_lshlrev_b32_e32 v3, 8, v32
	v_lshl_add_u32 v2, v2, 10, v0
	v_cndmask_b32_e64 v1, v1, v6, s[8:9]
	v_and_or_b32 v2, v3, s38, v2
	v_lshl_or_b32 v1, v1, 7, v2
	v_cvt_f32_f16_e32 v1, v1
.LBB321_188:                            ;   in Loop: Header=BB321_10 Depth=1
	s_or_b64 exec, exec, s[34:35]
.LBB321_189:                            ;   in Loop: Header=BB321_10 Depth=1
	s_or_b64 exec, exec, s[30:31]
.LBB321_190:                            ;   in Loop: Header=BB321_10 Depth=1
	s_or_b64 exec, exec, s[28:29]
	v_lshrrev_b32_e32 v32, 16, v30
	v_mov_b32_e32 v0, 0
	v_cmp_ne_u16_sdwa s[8:9], v32, v0 src0_sel:BYTE_0 src1_sel:DWORD
	v_mov_b32_e32 v3, 0
	v_mov_b32_e32 v2, 0
	s_and_saveexec_b64 s[28:29], s[8:9]
	s_cbranch_execz .LBB321_196
; %bb.191:                              ;   in Loop: Header=BB321_10 Depth=1
	v_cmp_ne_u16_sdwa s[8:9], v32, s19 src0_sel:BYTE_0 src1_sel:DWORD
	v_bfrev_b32_e32 v2, 1
	s_and_saveexec_b64 s[30:31], s[8:9]
	s_cbranch_execz .LBB321_195
; %bb.192:                              ;   in Loop: Header=BB321_10 Depth=1
	v_bfe_u32 v6, v30, 16, 7
	v_cmp_ne_u32_e64 s[8:9], s37, v6
	v_mov_b32_e32 v2, 0x7fc02000
	s_and_saveexec_b64 s[34:35], s[8:9]
	s_cbranch_execz .LBB321_194
; %bb.193:                              ;   in Loop: Header=BB321_10 Depth=1
	v_and_b32_e32 v2, 7, v32
	v_ffbh_u32_e32 v8, v2
	v_min_u32_e32 v12, 32, v8
	v_subrev_u32_e32 v8, 28, v12
	v_lshlrev_b64 v[8:9], v8, v[32:33]
	v_lshrrev_b32_e32 v7, 3, v6
	v_sub_u32_e32 v9, 29, v12
	v_cmp_gt_u32_e64 s[8:9], 8, v6
	v_cndmask_b32_e64 v6, v7, v9, s[8:9]
	v_mov_b32_e32 v0, 0x2000
	v_and_b32_e32 v8, 7, v8
	v_lshlrev_b32_e32 v7, 8, v32
	v_lshl_add_u32 v6, v6, 10, v0
	v_cndmask_b32_e64 v2, v2, v8, s[8:9]
	v_and_or_b32 v6, v7, s38, v6
	v_lshl_or_b32 v2, v2, 7, v6
	v_cvt_f32_f16_e32 v2, v2
.LBB321_194:                            ;   in Loop: Header=BB321_10 Depth=1
	s_or_b64 exec, exec, s[34:35]
.LBB321_195:                            ;   in Loop: Header=BB321_10 Depth=1
	s_or_b64 exec, exec, s[30:31]
.LBB321_196:                            ;   in Loop: Header=BB321_10 Depth=1
	s_or_b64 exec, exec, s[28:29]
	v_cmp_lt_u32_e64 s[8:9], s39, v30
	s_and_saveexec_b64 s[28:29], s[8:9]
	s_cbranch_execz .LBB321_202
; %bb.197:                              ;   in Loop: Header=BB321_10 Depth=1
	v_lshrrev_b32_e32 v30, 24, v30
	v_cmp_ne_u32_e64 s[8:9], s19, v30
	v_bfrev_b32_e32 v3, 1
	s_and_saveexec_b64 s[30:31], s[8:9]
	s_cbranch_execz .LBB321_201
; %bb.198:                              ;   in Loop: Header=BB321_10 Depth=1
	v_and_b32_e32 v6, 0x7f, v30
	v_cmp_ne_u32_e64 s[8:9], s37, v6
	v_mov_b32_e32 v3, 0x7fc02000
	s_and_saveexec_b64 s[34:35], s[8:9]
	s_cbranch_execz .LBB321_200
; %bb.199:                              ;   in Loop: Header=BB321_10 Depth=1
	v_and_b32_e32 v3, 7, v30
	v_ffbh_u32_e32 v8, v3
	v_min_u32_e32 v12, 32, v8
	v_subrev_u32_e32 v8, 28, v12
	v_lshlrev_b64 v[8:9], v8, v[30:31]
	v_lshrrev_b32_e32 v7, 3, v6
	v_sub_u32_e32 v9, 29, v12
	v_cmp_gt_u32_e64 s[8:9], 8, v6
	v_cndmask_b32_e64 v6, v7, v9, s[8:9]
	v_mov_b32_e32 v0, 0x2000
	v_and_b32_e32 v8, 7, v8
	v_lshlrev_b32_e32 v7, 8, v30
	v_lshl_add_u32 v6, v6, 10, v0
	v_cndmask_b32_e64 v3, v3, v8, s[8:9]
	v_and_or_b32 v6, v7, s38, v6
	v_lshl_or_b32 v3, v3, 7, v6
	v_cvt_f32_f16_e32 v3, v3
.LBB321_200:                            ;   in Loop: Header=BB321_10 Depth=1
	s_or_b64 exec, exec, s[34:35]
.LBB321_201:                            ;   in Loop: Header=BB321_10 Depth=1
	s_or_b64 exec, exec, s[30:31]
.LBB321_202:                            ;   in Loop: Header=BB321_10 Depth=1
	s_or_b64 exec, exec, s[28:29]
	flat_load_dword v30, v[28:29] offset:2048
	v_mov_b32_e32 v0, 0
	v_mov_b32_e32 v16, 0
	;; [unrolled: 1-line block ×3, first 2 shown]
	s_waitcnt vmcnt(0) lgkmcnt(0)
	v_cmp_ne_u16_sdwa s[8:9], v30, v0 src0_sel:BYTE_0 src1_sel:DWORD
	s_and_saveexec_b64 s[28:29], s[8:9]
	s_cbranch_execz .LBB321_208
; %bb.203:                              ;   in Loop: Header=BB321_10 Depth=1
	v_cmp_ne_u16_sdwa s[8:9], v30, s19 src0_sel:BYTE_0 src1_sel:DWORD
	v_bfrev_b32_e32 v20, 1
	s_and_saveexec_b64 s[30:31], s[8:9]
	s_cbranch_execz .LBB321_207
; %bb.204:                              ;   in Loop: Header=BB321_10 Depth=1
	v_and_b32_e32 v6, 0x7f, v30
	v_cmp_ne_u32_e64 s[8:9], s37, v6
	v_mov_b32_e32 v20, 0x7fc02000
	s_and_saveexec_b64 s[34:35], s[8:9]
	s_cbranch_execz .LBB321_206
; %bb.205:                              ;   in Loop: Header=BB321_10 Depth=1
	v_and_b32_e32 v7, 7, v30
	v_ffbh_u32_e32 v8, v7
	v_min_u32_e32 v13, 32, v8
	v_subrev_u32_e32 v8, 28, v13
	v_lshlrev_b64 v[8:9], v8, v[30:31]
	v_lshrrev_b32_e32 v12, 3, v6
	v_sub_u32_e32 v9, 29, v13
	v_cmp_gt_u32_e64 s[8:9], 8, v6
	v_and_b32_e32 v8, 7, v8
	v_cndmask_b32_e64 v6, v12, v9, s[8:9]
	v_mov_b32_e32 v0, 0x2000
	v_cndmask_b32_e64 v7, v7, v8, s[8:9]
	v_lshlrev_b32_e32 v8, 8, v30
	v_lshl_add_u32 v6, v6, 10, v0
	v_and_or_b32 v6, v8, s38, v6
	v_lshl_or_b32 v6, v7, 7, v6
	v_cvt_f32_f16_e32 v20, v6
.LBB321_206:                            ;   in Loop: Header=BB321_10 Depth=1
	s_or_b64 exec, exec, s[34:35]
.LBB321_207:                            ;   in Loop: Header=BB321_10 Depth=1
	s_or_b64 exec, exec, s[30:31]
.LBB321_208:                            ;   in Loop: Header=BB321_10 Depth=1
	s_or_b64 exec, exec, s[28:29]
	v_lshrrev_b16_e32 v32, 8, v30
	v_cmp_ne_u16_e64 s[8:9], 0, v32
	s_and_saveexec_b64 s[28:29], s[8:9]
	s_cbranch_execz .LBB321_214
; %bb.209:                              ;   in Loop: Header=BB321_10 Depth=1
	v_cmp_ne_u16_e64 s[8:9], s19, v32
	v_bfrev_b32_e32 v16, 1
	s_and_saveexec_b64 s[30:31], s[8:9]
	s_cbranch_execz .LBB321_213
; %bb.210:                              ;   in Loop: Header=BB321_10 Depth=1
	v_and_b32_e32 v6, 0x7f, v32
	v_cmp_ne_u32_e64 s[8:9], s37, v6
	v_mov_b32_e32 v16, 0x7fc02000
	s_and_saveexec_b64 s[34:35], s[8:9]
	s_cbranch_execz .LBB321_212
; %bb.211:                              ;   in Loop: Header=BB321_10 Depth=1
	v_and_b32_e32 v7, 7, v32
	v_ffbh_u32_e32 v8, v7
	v_min_u32_e32 v13, 32, v8
	v_subrev_u32_e32 v8, 28, v13
	v_lshlrev_b64 v[8:9], v8, v[32:33]
	v_lshrrev_b32_e32 v12, 3, v6
	v_sub_u32_e32 v9, 29, v13
	v_cmp_gt_u32_e64 s[8:9], 8, v6
	v_and_b32_e32 v8, 7, v8
	v_cndmask_b32_e64 v6, v12, v9, s[8:9]
	v_mov_b32_e32 v0, 0x2000
	v_cndmask_b32_e64 v7, v7, v8, s[8:9]
	v_lshlrev_b32_e32 v8, 8, v32
	v_lshl_add_u32 v6, v6, 10, v0
	v_and_or_b32 v6, v8, s38, v6
	v_lshl_or_b32 v6, v7, 7, v6
	v_cvt_f32_f16_e32 v16, v6
.LBB321_212:                            ;   in Loop: Header=BB321_10 Depth=1
	s_or_b64 exec, exec, s[34:35]
.LBB321_213:                            ;   in Loop: Header=BB321_10 Depth=1
	s_or_b64 exec, exec, s[30:31]
.LBB321_214:                            ;   in Loop: Header=BB321_10 Depth=1
	s_or_b64 exec, exec, s[28:29]
	v_lshrrev_b32_e32 v32, 16, v30
	v_mov_b32_e32 v0, 0
	v_cmp_ne_u16_sdwa s[8:9], v32, v0 src0_sel:BYTE_0 src1_sel:DWORD
	v_mov_b32_e32 v12, 0
	v_mov_b32_e32 v35, 0
	s_and_saveexec_b64 s[28:29], s[8:9]
	s_cbranch_execz .LBB321_220
; %bb.215:                              ;   in Loop: Header=BB321_10 Depth=1
	v_cmp_ne_u16_sdwa s[8:9], v32, s19 src0_sel:BYTE_0 src1_sel:DWORD
	v_bfrev_b32_e32 v35, 1
	s_and_saveexec_b64 s[30:31], s[8:9]
	s_cbranch_execz .LBB321_219
; %bb.216:                              ;   in Loop: Header=BB321_10 Depth=1
	v_bfe_u32 v6, v30, 16, 7
	v_cmp_ne_u32_e64 s[8:9], s37, v6
	v_mov_b32_e32 v35, 0x7fc02000
	s_and_saveexec_b64 s[34:35], s[8:9]
	s_cbranch_execz .LBB321_218
; %bb.217:                              ;   in Loop: Header=BB321_10 Depth=1
	v_and_b32_e32 v7, 7, v32
	v_ffbh_u32_e32 v8, v7
	v_min_u32_e32 v17, 32, v8
	v_subrev_u32_e32 v8, 28, v17
	v_lshlrev_b64 v[8:9], v8, v[32:33]
	v_lshrrev_b32_e32 v13, 3, v6
	v_sub_u32_e32 v9, 29, v17
	v_cmp_gt_u32_e64 s[8:9], 8, v6
	v_and_b32_e32 v8, 7, v8
	v_cndmask_b32_e64 v6, v13, v9, s[8:9]
	v_mov_b32_e32 v0, 0x2000
	v_cndmask_b32_e64 v7, v7, v8, s[8:9]
	v_lshlrev_b32_e32 v8, 8, v32
	v_lshl_add_u32 v6, v6, 10, v0
	v_and_or_b32 v6, v8, s38, v6
	v_lshl_or_b32 v6, v7, 7, v6
	v_cvt_f32_f16_e32 v35, v6
.LBB321_218:                            ;   in Loop: Header=BB321_10 Depth=1
	s_or_b64 exec, exec, s[34:35]
.LBB321_219:                            ;   in Loop: Header=BB321_10 Depth=1
	s_or_b64 exec, exec, s[30:31]
.LBB321_220:                            ;   in Loop: Header=BB321_10 Depth=1
	s_or_b64 exec, exec, s[28:29]
	v_cmp_lt_u32_e64 s[8:9], s39, v30
	s_and_saveexec_b64 s[28:29], s[8:9]
	s_cbranch_execz .LBB321_226
; %bb.221:                              ;   in Loop: Header=BB321_10 Depth=1
	v_lshrrev_b32_e32 v30, 24, v30
	v_cmp_ne_u32_e64 s[8:9], s19, v30
	v_bfrev_b32_e32 v12, 1
	s_and_saveexec_b64 s[30:31], s[8:9]
	s_cbranch_execz .LBB321_225
; %bb.222:                              ;   in Loop: Header=BB321_10 Depth=1
	v_and_b32_e32 v6, 0x7f, v30
	v_cmp_ne_u32_e64 s[8:9], s37, v6
	v_mov_b32_e32 v12, 0x7fc02000
	s_and_saveexec_b64 s[34:35], s[8:9]
	s_cbranch_execz .LBB321_224
; %bb.223:                              ;   in Loop: Header=BB321_10 Depth=1
	v_and_b32_e32 v7, 7, v30
	v_ffbh_u32_e32 v8, v7
	v_min_u32_e32 v13, 32, v8
	v_subrev_u32_e32 v8, 28, v13
	v_lshlrev_b64 v[8:9], v8, v[30:31]
	v_lshrrev_b32_e32 v12, 3, v6
	v_sub_u32_e32 v9, 29, v13
	v_cmp_gt_u32_e64 s[8:9], 8, v6
	v_and_b32_e32 v8, 7, v8
	v_cndmask_b32_e64 v6, v12, v9, s[8:9]
	v_mov_b32_e32 v0, 0x2000
	v_cndmask_b32_e64 v7, v7, v8, s[8:9]
	v_lshlrev_b32_e32 v8, 8, v30
	v_lshl_add_u32 v6, v6, 10, v0
	v_and_or_b32 v6, v8, s38, v6
	v_lshl_or_b32 v6, v7, 7, v6
	v_cvt_f32_f16_e32 v12, v6
.LBB321_224:                            ;   in Loop: Header=BB321_10 Depth=1
	s_or_b64 exec, exec, s[34:35]
.LBB321_225:                            ;   in Loop: Header=BB321_10 Depth=1
	s_or_b64 exec, exec, s[30:31]
.LBB321_226:                            ;   in Loop: Header=BB321_10 Depth=1
	s_or_b64 exec, exec, s[28:29]
	flat_load_dword v30, v[28:29] offset:2056
	v_mov_b32_e32 v0, 0
	v_mov_b32_e32 v36, 0
	;; [unrolled: 1-line block ×3, first 2 shown]
	s_waitcnt vmcnt(0) lgkmcnt(0)
	v_cmp_ne_u16_sdwa s[8:9], v30, v0 src0_sel:BYTE_0 src1_sel:DWORD
	s_and_saveexec_b64 s[28:29], s[8:9]
	s_cbranch_execz .LBB321_232
; %bb.227:                              ;   in Loop: Header=BB321_10 Depth=1
	v_cmp_ne_u16_sdwa s[8:9], v30, s19 src0_sel:BYTE_0 src1_sel:DWORD
	v_bfrev_b32_e32 v13, 1
	s_and_saveexec_b64 s[30:31], s[8:9]
	s_cbranch_execz .LBB321_231
; %bb.228:                              ;   in Loop: Header=BB321_10 Depth=1
	v_and_b32_e32 v6, 0x7f, v30
	v_cmp_ne_u32_e64 s[8:9], s37, v6
	v_mov_b32_e32 v13, 0x7fc02000
	s_and_saveexec_b64 s[34:35], s[8:9]
	s_cbranch_execz .LBB321_230
; %bb.229:                              ;   in Loop: Header=BB321_10 Depth=1
	v_and_b32_e32 v7, 7, v30
	v_ffbh_u32_e32 v8, v7
	v_min_u32_e32 v17, 32, v8
	v_subrev_u32_e32 v8, 28, v17
	v_lshlrev_b64 v[8:9], v8, v[30:31]
	v_lshrrev_b32_e32 v13, 3, v6
	v_sub_u32_e32 v9, 29, v17
	v_cmp_gt_u32_e64 s[8:9], 8, v6
	v_and_b32_e32 v8, 7, v8
	v_cndmask_b32_e64 v6, v13, v9, s[8:9]
	v_mov_b32_e32 v0, 0x2000
	v_cndmask_b32_e64 v7, v7, v8, s[8:9]
	v_lshlrev_b32_e32 v8, 8, v30
	v_lshl_add_u32 v6, v6, 10, v0
	v_and_or_b32 v6, v8, s38, v6
	v_lshl_or_b32 v6, v7, 7, v6
	v_cvt_f32_f16_e32 v13, v6
.LBB321_230:                            ;   in Loop: Header=BB321_10 Depth=1
	s_or_b64 exec, exec, s[34:35]
.LBB321_231:                            ;   in Loop: Header=BB321_10 Depth=1
	s_or_b64 exec, exec, s[30:31]
.LBB321_232:                            ;   in Loop: Header=BB321_10 Depth=1
	s_or_b64 exec, exec, s[28:29]
	v_lshrrev_b16_e32 v32, 8, v30
	v_cmp_ne_u16_e64 s[8:9], 0, v32
	s_and_saveexec_b64 s[28:29], s[8:9]
	s_cbranch_execz .LBB321_238
; %bb.233:                              ;   in Loop: Header=BB321_10 Depth=1
	v_cmp_ne_u16_e64 s[8:9], s19, v32
	v_bfrev_b32_e32 v36, 1
	s_and_saveexec_b64 s[30:31], s[8:9]
	s_cbranch_execz .LBB321_237
; %bb.234:                              ;   in Loop: Header=BB321_10 Depth=1
	v_and_b32_e32 v6, 0x7f, v32
	v_cmp_ne_u32_e64 s[8:9], s37, v6
	v_mov_b32_e32 v36, 0x7fc02000
	s_and_saveexec_b64 s[34:35], s[8:9]
	s_cbranch_execz .LBB321_236
; %bb.235:                              ;   in Loop: Header=BB321_10 Depth=1
	v_and_b32_e32 v7, 7, v32
	v_ffbh_u32_e32 v8, v7
	v_min_u32_e32 v18, 32, v8
	v_subrev_u32_e32 v8, 28, v18
	v_lshlrev_b64 v[8:9], v8, v[32:33]
	v_lshrrev_b32_e32 v17, 3, v6
	v_sub_u32_e32 v9, 29, v18
	v_cmp_gt_u32_e64 s[8:9], 8, v6
	v_and_b32_e32 v8, 7, v8
	v_cndmask_b32_e64 v6, v17, v9, s[8:9]
	v_mov_b32_e32 v0, 0x2000
	v_cndmask_b32_e64 v7, v7, v8, s[8:9]
	v_lshlrev_b32_e32 v8, 8, v32
	v_lshl_add_u32 v6, v6, 10, v0
	v_and_or_b32 v6, v8, s38, v6
	v_lshl_or_b32 v6, v7, 7, v6
	v_cvt_f32_f16_e32 v36, v6
.LBB321_236:                            ;   in Loop: Header=BB321_10 Depth=1
	s_or_b64 exec, exec, s[34:35]
.LBB321_237:                            ;   in Loop: Header=BB321_10 Depth=1
	s_or_b64 exec, exec, s[30:31]
.LBB321_238:                            ;   in Loop: Header=BB321_10 Depth=1
	s_or_b64 exec, exec, s[28:29]
	v_lshrrev_b32_e32 v32, 16, v30
	v_mov_b32_e32 v0, 0
	v_cmp_ne_u16_sdwa s[8:9], v32, v0 src0_sel:BYTE_0 src1_sel:DWORD
	v_mov_b32_e32 v8, 0
	v_mov_b32_e32 v9, 0
	s_and_saveexec_b64 s[28:29], s[8:9]
	s_cbranch_execz .LBB321_244
; %bb.239:                              ;   in Loop: Header=BB321_10 Depth=1
	v_cmp_ne_u16_sdwa s[8:9], v32, s19 src0_sel:BYTE_0 src1_sel:DWORD
	v_bfrev_b32_e32 v9, 1
	s_and_saveexec_b64 s[30:31], s[8:9]
	s_cbranch_execz .LBB321_243
; %bb.240:                              ;   in Loop: Header=BB321_10 Depth=1
	v_bfe_u32 v6, v30, 16, 7
	v_cmp_ne_u32_e64 s[8:9], s37, v6
	v_mov_b32_e32 v9, 0x7fc02000
	s_and_saveexec_b64 s[34:35], s[8:9]
	s_cbranch_execz .LBB321_242
; %bb.241:                              ;   in Loop: Header=BB321_10 Depth=1
	v_and_b32_e32 v7, 7, v32
	v_ffbh_u32_e32 v17, v7
	v_min_u32_e32 v17, 32, v17
	v_lshrrev_b32_e32 v9, 3, v6
	v_subrev_u32_e32 v18, 28, v17
	v_sub_u32_e32 v17, 29, v17
	v_cmp_gt_u32_e64 s[8:9], 8, v6
	v_lshlrev_b64 v[24:25], v18, v[32:33]
	v_cndmask_b32_e64 v6, v9, v17, s[8:9]
	v_mov_b32_e32 v0, 0x2000
	v_and_b32_e32 v18, 7, v24
	v_lshlrev_b32_e32 v9, 8, v32
	v_lshl_add_u32 v6, v6, 10, v0
	v_cndmask_b32_e64 v7, v7, v18, s[8:9]
	v_and_or_b32 v6, v9, s38, v6
	v_lshl_or_b32 v6, v7, 7, v6
	v_cvt_f32_f16_e32 v9, v6
.LBB321_242:                            ;   in Loop: Header=BB321_10 Depth=1
	s_or_b64 exec, exec, s[34:35]
.LBB321_243:                            ;   in Loop: Header=BB321_10 Depth=1
	s_or_b64 exec, exec, s[30:31]
.LBB321_244:                            ;   in Loop: Header=BB321_10 Depth=1
	s_or_b64 exec, exec, s[28:29]
	v_cmp_lt_u32_e64 s[8:9], s39, v30
	s_and_saveexec_b64 s[28:29], s[8:9]
	s_cbranch_execz .LBB321_250
; %bb.245:                              ;   in Loop: Header=BB321_10 Depth=1
	v_lshrrev_b32_e32 v30, 24, v30
	v_cmp_ne_u32_e64 s[8:9], s19, v30
	v_bfrev_b32_e32 v8, 1
	s_and_saveexec_b64 s[30:31], s[8:9]
	s_cbranch_execz .LBB321_249
; %bb.246:                              ;   in Loop: Header=BB321_10 Depth=1
	v_and_b32_e32 v6, 0x7f, v30
	v_cmp_ne_u32_e64 s[8:9], s37, v6
	v_mov_b32_e32 v8, 0x7fc02000
	s_and_saveexec_b64 s[34:35], s[8:9]
	s_cbranch_execz .LBB321_248
; %bb.247:                              ;   in Loop: Header=BB321_10 Depth=1
	v_and_b32_e32 v7, 7, v30
	v_ffbh_u32_e32 v17, v7
	v_min_u32_e32 v17, 32, v17
	v_lshrrev_b32_e32 v8, 3, v6
	v_subrev_u32_e32 v18, 28, v17
	v_sub_u32_e32 v17, 29, v17
	v_cmp_gt_u32_e64 s[8:9], 8, v6
	v_lshlrev_b64 v[24:25], v18, v[30:31]
	v_cndmask_b32_e64 v6, v8, v17, s[8:9]
	v_mov_b32_e32 v0, 0x2000
	v_and_b32_e32 v18, 7, v24
	v_lshlrev_b32_e32 v8, 8, v30
	v_lshl_add_u32 v6, v6, 10, v0
	v_cndmask_b32_e64 v7, v7, v18, s[8:9]
	v_and_or_b32 v6, v8, s38, v6
	v_lshl_or_b32 v6, v7, 7, v6
	v_cvt_f32_f16_e32 v8, v6
.LBB321_248:                            ;   in Loop: Header=BB321_10 Depth=1
	s_or_b64 exec, exec, s[34:35]
.LBB321_249:                            ;   in Loop: Header=BB321_10 Depth=1
	s_or_b64 exec, exec, s[30:31]
.LBB321_250:                            ;   in Loop: Header=BB321_10 Depth=1
	s_or_b64 exec, exec, s[28:29]
	flat_load_dword v30, v[28:29] offset:2560
	v_mov_b32_e32 v0, 0
	v_mov_b32_e32 v22, 0
	;; [unrolled: 1-line block ×3, first 2 shown]
	s_waitcnt vmcnt(0) lgkmcnt(0)
	v_cmp_ne_u16_sdwa s[8:9], v30, v0 src0_sel:BYTE_0 src1_sel:DWORD
	s_and_saveexec_b64 s[28:29], s[8:9]
	s_cbranch_execz .LBB321_256
; %bb.251:                              ;   in Loop: Header=BB321_10 Depth=1
	v_cmp_ne_u16_sdwa s[8:9], v30, s19 src0_sel:BYTE_0 src1_sel:DWORD
	v_bfrev_b32_e32 v37, 1
	s_and_saveexec_b64 s[30:31], s[8:9]
	s_cbranch_execz .LBB321_255
; %bb.252:                              ;   in Loop: Header=BB321_10 Depth=1
	v_and_b32_e32 v6, 0x7f, v30
	v_cmp_ne_u32_e64 s[8:9], s37, v6
	v_mov_b32_e32 v37, 0x7fc02000
	s_and_saveexec_b64 s[34:35], s[8:9]
	s_cbranch_execz .LBB321_254
; %bb.253:                              ;   in Loop: Header=BB321_10 Depth=1
	v_and_b32_e32 v7, 7, v30
	v_ffbh_u32_e32 v18, v7
	v_min_u32_e32 v18, 32, v18
	v_lshrrev_b32_e32 v17, 3, v6
	v_subrev_u32_e32 v24, 28, v18
	v_sub_u32_e32 v18, 29, v18
	v_cmp_gt_u32_e64 s[8:9], 8, v6
	v_lshlrev_b64 v[24:25], v24, v[30:31]
	v_cndmask_b32_e64 v6, v17, v18, s[8:9]
	v_mov_b32_e32 v0, 0x2000
	v_and_b32_e32 v24, 7, v24
	v_lshlrev_b32_e32 v17, 8, v30
	v_lshl_add_u32 v6, v6, 10, v0
	v_cndmask_b32_e64 v7, v7, v24, s[8:9]
	v_and_or_b32 v6, v17, s38, v6
	v_lshl_or_b32 v6, v7, 7, v6
	v_cvt_f32_f16_e32 v37, v6
.LBB321_254:                            ;   in Loop: Header=BB321_10 Depth=1
	s_or_b64 exec, exec, s[34:35]
.LBB321_255:                            ;   in Loop: Header=BB321_10 Depth=1
	s_or_b64 exec, exec, s[30:31]
.LBB321_256:                            ;   in Loop: Header=BB321_10 Depth=1
	s_or_b64 exec, exec, s[28:29]
	v_lshrrev_b16_e32 v32, 8, v30
	v_cmp_ne_u16_e64 s[8:9], 0, v32
	s_and_saveexec_b64 s[28:29], s[8:9]
	s_cbranch_execz .LBB321_262
; %bb.257:                              ;   in Loop: Header=BB321_10 Depth=1
	v_cmp_ne_u16_e64 s[8:9], s19, v32
	v_bfrev_b32_e32 v22, 1
	s_and_saveexec_b64 s[30:31], s[8:9]
	s_cbranch_execz .LBB321_261
; %bb.258:                              ;   in Loop: Header=BB321_10 Depth=1
	v_and_b32_e32 v6, 0x7f, v32
	v_cmp_ne_u32_e64 s[8:9], s37, v6
	v_mov_b32_e32 v22, 0x7fc02000
	s_and_saveexec_b64 s[34:35], s[8:9]
	s_cbranch_execz .LBB321_260
; %bb.259:                              ;   in Loop: Header=BB321_10 Depth=1
	v_and_b32_e32 v17, 7, v32
	v_lshrrev_b32_e32 v18, 3, v6
	v_cmp_gt_u32_e64 s[8:9], 8, v6
	v_ffbh_u32_e32 v6, v17
	v_min_u32_e32 v22, 32, v6
	v_subrev_u32_e32 v6, 28, v22
	v_lshlrev_b64 v[6:7], v6, v[32:33]
	v_sub_u32_e32 v7, 29, v22
	v_and_b32_e32 v6, 7, v6
	v_cndmask_b32_e64 v7, v18, v7, s[8:9]
	v_mov_b32_e32 v0, 0x2000
	v_cndmask_b32_e64 v6, v17, v6, s[8:9]
	v_lshlrev_b32_e32 v17, 8, v32
	v_lshl_add_u32 v7, v7, 10, v0
	v_and_or_b32 v7, v17, s38, v7
	v_lshl_or_b32 v6, v6, 7, v7
	v_cvt_f32_f16_e32 v22, v6
.LBB321_260:                            ;   in Loop: Header=BB321_10 Depth=1
	s_or_b64 exec, exec, s[34:35]
.LBB321_261:                            ;   in Loop: Header=BB321_10 Depth=1
	s_or_b64 exec, exec, s[30:31]
.LBB321_262:                            ;   in Loop: Header=BB321_10 Depth=1
	s_or_b64 exec, exec, s[28:29]
	v_lshrrev_b32_e32 v32, 16, v30
	v_mov_b32_e32 v0, 0
	v_cmp_ne_u16_sdwa s[8:9], v32, v0 src0_sel:BYTE_0 src1_sel:DWORD
	v_mov_b32_e32 v25, 0
	v_mov_b32_e32 v24, 0
	s_and_saveexec_b64 s[28:29], s[8:9]
	s_cbranch_execz .LBB321_268
; %bb.263:                              ;   in Loop: Header=BB321_10 Depth=1
	v_cmp_ne_u16_sdwa s[8:9], v32, s19 src0_sel:BYTE_0 src1_sel:DWORD
	v_bfrev_b32_e32 v24, 1
	s_and_saveexec_b64 s[30:31], s[8:9]
	s_cbranch_execz .LBB321_267
; %bb.264:                              ;   in Loop: Header=BB321_10 Depth=1
	v_bfe_u32 v6, v30, 16, 7
	v_cmp_ne_u32_e64 s[8:9], s37, v6
	v_mov_b32_e32 v24, 0x7fc02000
	s_and_saveexec_b64 s[34:35], s[8:9]
	s_cbranch_execz .LBB321_266
; %bb.265:                              ;   in Loop: Header=BB321_10 Depth=1
	v_and_b32_e32 v7, 7, v32
	v_ffbh_u32_e32 v18, v7
	v_min_u32_e32 v18, 32, v18
	v_lshrrev_b32_e32 v17, 3, v6
	v_subrev_u32_e32 v24, 28, v18
	v_sub_u32_e32 v18, 29, v18
	v_cmp_gt_u32_e64 s[8:9], 8, v6
	v_lshlrev_b64 v[26:27], v24, v[32:33]
	v_cndmask_b32_e64 v6, v17, v18, s[8:9]
	v_mov_b32_e32 v0, 0x2000
	v_and_b32_e32 v24, 7, v26
	v_lshlrev_b32_e32 v17, 8, v32
	v_lshl_add_u32 v6, v6, 10, v0
	v_cndmask_b32_e64 v7, v7, v24, s[8:9]
	v_and_or_b32 v6, v17, s38, v6
	v_lshl_or_b32 v6, v7, 7, v6
	v_cvt_f32_f16_e32 v24, v6
.LBB321_266:                            ;   in Loop: Header=BB321_10 Depth=1
	s_or_b64 exec, exec, s[34:35]
.LBB321_267:                            ;   in Loop: Header=BB321_10 Depth=1
	s_or_b64 exec, exec, s[30:31]
.LBB321_268:                            ;   in Loop: Header=BB321_10 Depth=1
	s_or_b64 exec, exec, s[28:29]
	v_cmp_lt_u32_e64 s[8:9], s39, v30
	s_and_saveexec_b64 s[28:29], s[8:9]
	s_cbranch_execz .LBB321_274
; %bb.269:                              ;   in Loop: Header=BB321_10 Depth=1
	v_lshrrev_b32_e32 v30, 24, v30
	v_cmp_ne_u32_e64 s[8:9], s19, v30
	v_bfrev_b32_e32 v25, 1
	s_and_saveexec_b64 s[30:31], s[8:9]
	s_cbranch_execz .LBB321_273
; %bb.270:                              ;   in Loop: Header=BB321_10 Depth=1
	v_and_b32_e32 v6, 0x7f, v30
	v_cmp_ne_u32_e64 s[8:9], s37, v6
	v_mov_b32_e32 v25, 0x7fc02000
	s_and_saveexec_b64 s[34:35], s[8:9]
	s_cbranch_execz .LBB321_272
; %bb.271:                              ;   in Loop: Header=BB321_10 Depth=1
	v_and_b32_e32 v7, 7, v30
	v_ffbh_u32_e32 v18, v7
	v_min_u32_e32 v18, 32, v18
	v_lshrrev_b32_e32 v17, 3, v6
	v_subrev_u32_e32 v25, 28, v18
	v_sub_u32_e32 v18, 29, v18
	v_cmp_gt_u32_e64 s[8:9], 8, v6
	v_lshlrev_b64 v[26:27], v25, v[30:31]
	v_cndmask_b32_e64 v6, v17, v18, s[8:9]
	v_mov_b32_e32 v0, 0x2000
	v_and_b32_e32 v25, 7, v26
	v_lshlrev_b32_e32 v17, 8, v30
	v_lshl_add_u32 v6, v6, 10, v0
	v_cndmask_b32_e64 v7, v7, v25, s[8:9]
	v_and_or_b32 v6, v17, s38, v6
	v_lshl_or_b32 v6, v7, 7, v6
	v_cvt_f32_f16_e32 v25, v6
.LBB321_272:                            ;   in Loop: Header=BB321_10 Depth=1
	s_or_b64 exec, exec, s[34:35]
.LBB321_273:                            ;   in Loop: Header=BB321_10 Depth=1
	s_or_b64 exec, exec, s[30:31]
.LBB321_274:                            ;   in Loop: Header=BB321_10 Depth=1
	s_or_b64 exec, exec, s[28:29]
	flat_load_dword v30, v[28:29] offset:2568
	v_mov_b32_e32 v0, 0
	v_mov_b32_e32 v41, 0
	;; [unrolled: 1-line block ×3, first 2 shown]
	s_waitcnt vmcnt(0) lgkmcnt(0)
	v_cmp_ne_u16_sdwa s[8:9], v30, v0 src0_sel:BYTE_0 src1_sel:DWORD
	s_and_saveexec_b64 s[28:29], s[8:9]
	s_cbranch_execz .LBB321_280
; %bb.275:                              ;   in Loop: Header=BB321_10 Depth=1
	v_cmp_ne_u16_sdwa s[8:9], v30, s19 src0_sel:BYTE_0 src1_sel:DWORD
	v_bfrev_b32_e32 v42, 1
	s_and_saveexec_b64 s[30:31], s[8:9]
	s_cbranch_execz .LBB321_279
; %bb.276:                              ;   in Loop: Header=BB321_10 Depth=1
	v_and_b32_e32 v6, 0x7f, v30
	v_cmp_ne_u32_e64 s[8:9], s37, v6
	v_mov_b32_e32 v42, 0x7fc02000
	s_and_saveexec_b64 s[34:35], s[8:9]
	s_cbranch_execz .LBB321_278
; %bb.277:                              ;   in Loop: Header=BB321_10 Depth=1
	v_and_b32_e32 v7, 7, v30
	v_ffbh_u32_e32 v18, v7
	v_min_u32_e32 v18, 32, v18
	v_lshrrev_b32_e32 v17, 3, v6
	v_subrev_u32_e32 v26, 28, v18
	v_sub_u32_e32 v18, 29, v18
	v_cmp_gt_u32_e64 s[8:9], 8, v6
	v_lshlrev_b64 v[26:27], v26, v[30:31]
	v_cndmask_b32_e64 v6, v17, v18, s[8:9]
	v_mov_b32_e32 v0, 0x2000
	v_and_b32_e32 v26, 7, v26
	v_lshlrev_b32_e32 v17, 8, v30
	v_lshl_add_u32 v6, v6, 10, v0
	v_cndmask_b32_e64 v7, v7, v26, s[8:9]
	v_and_or_b32 v6, v17, s38, v6
	v_lshl_or_b32 v6, v7, 7, v6
	v_cvt_f32_f16_e32 v42, v6
.LBB321_278:                            ;   in Loop: Header=BB321_10 Depth=1
	s_or_b64 exec, exec, s[34:35]
.LBB321_279:                            ;   in Loop: Header=BB321_10 Depth=1
	s_or_b64 exec, exec, s[30:31]
.LBB321_280:                            ;   in Loop: Header=BB321_10 Depth=1
	s_or_b64 exec, exec, s[28:29]
	v_lshrrev_b16_e32 v32, 8, v30
	v_cmp_ne_u16_e64 s[8:9], 0, v32
	s_and_saveexec_b64 s[28:29], s[8:9]
	s_cbranch_execz .LBB321_286
; %bb.281:                              ;   in Loop: Header=BB321_10 Depth=1
	v_cmp_ne_u16_e64 s[8:9], s19, v32
	v_bfrev_b32_e32 v41, 1
	s_and_saveexec_b64 s[30:31], s[8:9]
	s_cbranch_execz .LBB321_285
; %bb.282:                              ;   in Loop: Header=BB321_10 Depth=1
	v_and_b32_e32 v6, 0x7f, v32
	v_cmp_ne_u32_e64 s[8:9], s37, v6
	v_mov_b32_e32 v41, 0x7fc02000
	s_and_saveexec_b64 s[34:35], s[8:9]
	s_cbranch_execz .LBB321_284
; %bb.283:                              ;   in Loop: Header=BB321_10 Depth=1
	v_and_b32_e32 v7, 7, v32
	v_ffbh_u32_e32 v18, v7
	v_min_u32_e32 v18, 32, v18
	v_lshrrev_b32_e32 v17, 3, v6
	v_subrev_u32_e32 v26, 28, v18
	v_sub_u32_e32 v18, 29, v18
	v_cmp_gt_u32_e64 s[8:9], 8, v6
	v_lshlrev_b64 v[26:27], v26, v[32:33]
	v_cndmask_b32_e64 v6, v17, v18, s[8:9]
	v_mov_b32_e32 v0, 0x2000
	v_and_b32_e32 v26, 7, v26
	v_lshlrev_b32_e32 v17, 8, v32
	v_lshl_add_u32 v6, v6, 10, v0
	v_cndmask_b32_e64 v7, v7, v26, s[8:9]
	v_and_or_b32 v6, v17, s38, v6
	v_lshl_or_b32 v6, v7, 7, v6
	v_cvt_f32_f16_e32 v41, v6
.LBB321_284:                            ;   in Loop: Header=BB321_10 Depth=1
	s_or_b64 exec, exec, s[34:35]
.LBB321_285:                            ;   in Loop: Header=BB321_10 Depth=1
	s_or_b64 exec, exec, s[30:31]
.LBB321_286:                            ;   in Loop: Header=BB321_10 Depth=1
	s_or_b64 exec, exec, s[28:29]
	v_lshrrev_b32_e32 v32, 16, v30
	v_mov_b32_e32 v0, 0
	v_cmp_ne_u16_sdwa s[8:9], v32, v0 src0_sel:BYTE_0 src1_sel:DWORD
	v_mov_b32_e32 v43, 0
	v_mov_b32_e32 v44, 0
	s_and_saveexec_b64 s[28:29], s[8:9]
	s_cbranch_execz .LBB321_292
; %bb.287:                              ;   in Loop: Header=BB321_10 Depth=1
	v_cmp_ne_u16_sdwa s[8:9], v32, s19 src0_sel:BYTE_0 src1_sel:DWORD
	v_bfrev_b32_e32 v44, 1
	s_and_saveexec_b64 s[30:31], s[8:9]
	s_cbranch_execz .LBB321_291
; %bb.288:                              ;   in Loop: Header=BB321_10 Depth=1
	v_bfe_u32 v6, v30, 16, 7
	v_cmp_ne_u32_e64 s[8:9], s37, v6
	v_mov_b32_e32 v44, 0x7fc02000
	s_and_saveexec_b64 s[34:35], s[8:9]
	s_cbranch_execz .LBB321_290
; %bb.289:                              ;   in Loop: Header=BB321_10 Depth=1
	v_and_b32_e32 v7, 7, v32
	v_ffbh_u32_e32 v18, v7
	v_min_u32_e32 v18, 32, v18
	v_lshrrev_b32_e32 v17, 3, v6
	v_subrev_u32_e32 v26, 28, v18
	v_sub_u32_e32 v18, 29, v18
	v_cmp_gt_u32_e64 s[8:9], 8, v6
	v_lshlrev_b64 v[26:27], v26, v[32:33]
	v_cndmask_b32_e64 v6, v17, v18, s[8:9]
	v_mov_b32_e32 v0, 0x2000
	v_and_b32_e32 v26, 7, v26
	v_lshlrev_b32_e32 v17, 8, v32
	v_lshl_add_u32 v6, v6, 10, v0
	v_cndmask_b32_e64 v7, v7, v26, s[8:9]
	v_and_or_b32 v6, v17, s38, v6
	v_lshl_or_b32 v6, v7, 7, v6
	v_cvt_f32_f16_e32 v44, v6
.LBB321_290:                            ;   in Loop: Header=BB321_10 Depth=1
	s_or_b64 exec, exec, s[34:35]
.LBB321_291:                            ;   in Loop: Header=BB321_10 Depth=1
	s_or_b64 exec, exec, s[30:31]
.LBB321_292:                            ;   in Loop: Header=BB321_10 Depth=1
	s_or_b64 exec, exec, s[28:29]
	v_cmp_lt_u32_e64 s[8:9], s39, v30
	s_and_saveexec_b64 s[28:29], s[8:9]
	s_cbranch_execz .LBB321_298
; %bb.293:                              ;   in Loop: Header=BB321_10 Depth=1
	v_lshrrev_b32_e32 v30, 24, v30
	v_cmp_ne_u32_e64 s[8:9], s19, v30
	v_bfrev_b32_e32 v43, 1
	s_and_saveexec_b64 s[30:31], s[8:9]
	s_cbranch_execz .LBB321_297
; %bb.294:                              ;   in Loop: Header=BB321_10 Depth=1
	v_and_b32_e32 v6, 0x7f, v30
	v_cmp_ne_u32_e64 s[8:9], s37, v6
	v_mov_b32_e32 v43, 0x7fc02000
	s_and_saveexec_b64 s[34:35], s[8:9]
	s_cbranch_execz .LBB321_296
; %bb.295:                              ;   in Loop: Header=BB321_10 Depth=1
	v_and_b32_e32 v7, 7, v30
	v_ffbh_u32_e32 v18, v7
	v_min_u32_e32 v18, 32, v18
	v_lshrrev_b32_e32 v17, 3, v6
	v_subrev_u32_e32 v26, 28, v18
	v_sub_u32_e32 v18, 29, v18
	v_cmp_gt_u32_e64 s[8:9], 8, v6
	v_lshlrev_b64 v[26:27], v26, v[30:31]
	v_cndmask_b32_e64 v6, v17, v18, s[8:9]
	v_mov_b32_e32 v0, 0x2000
	v_and_b32_e32 v26, 7, v26
	v_lshlrev_b32_e32 v17, 8, v30
	v_lshl_add_u32 v6, v6, 10, v0
	v_cndmask_b32_e64 v7, v7, v26, s[8:9]
	v_and_or_b32 v6, v17, s38, v6
	v_lshl_or_b32 v6, v7, 7, v6
	v_cvt_f32_f16_e32 v43, v6
.LBB321_296:                            ;   in Loop: Header=BB321_10 Depth=1
	s_or_b64 exec, exec, s[34:35]
.LBB321_297:                            ;   in Loop: Header=BB321_10 Depth=1
	s_or_b64 exec, exec, s[30:31]
.LBB321_298:                            ;   in Loop: Header=BB321_10 Depth=1
	s_or_b64 exec, exec, s[28:29]
	flat_load_dword v30, v[28:29] offset:3072
	v_mov_b32_e32 v0, 0
	v_mov_b32_e32 v45, 0
	;; [unrolled: 1-line block ×3, first 2 shown]
	s_waitcnt vmcnt(0) lgkmcnt(0)
	v_cmp_ne_u16_sdwa s[8:9], v30, v0 src0_sel:BYTE_0 src1_sel:DWORD
	s_and_saveexec_b64 s[28:29], s[8:9]
	s_cbranch_execz .LBB321_304
; %bb.299:                              ;   in Loop: Header=BB321_10 Depth=1
	v_cmp_ne_u16_sdwa s[8:9], v30, s19 src0_sel:BYTE_0 src1_sel:DWORD
	v_bfrev_b32_e32 v46, 1
	s_and_saveexec_b64 s[30:31], s[8:9]
	s_cbranch_execz .LBB321_303
; %bb.300:                              ;   in Loop: Header=BB321_10 Depth=1
	v_and_b32_e32 v6, 0x7f, v30
	v_cmp_ne_u32_e64 s[8:9], s37, v6
	v_mov_b32_e32 v46, 0x7fc02000
	s_and_saveexec_b64 s[34:35], s[8:9]
	s_cbranch_execz .LBB321_302
; %bb.301:                              ;   in Loop: Header=BB321_10 Depth=1
	v_and_b32_e32 v7, 7, v30
	v_ffbh_u32_e32 v18, v7
	v_min_u32_e32 v18, 32, v18
	v_lshrrev_b32_e32 v17, 3, v6
	v_subrev_u32_e32 v26, 28, v18
	v_sub_u32_e32 v18, 29, v18
	v_cmp_gt_u32_e64 s[8:9], 8, v6
	v_lshlrev_b64 v[26:27], v26, v[30:31]
	v_cndmask_b32_e64 v6, v17, v18, s[8:9]
	v_mov_b32_e32 v0, 0x2000
	v_and_b32_e32 v26, 7, v26
	v_lshlrev_b32_e32 v17, 8, v30
	v_lshl_add_u32 v6, v6, 10, v0
	v_cndmask_b32_e64 v7, v7, v26, s[8:9]
	v_and_or_b32 v6, v17, s38, v6
	v_lshl_or_b32 v6, v7, 7, v6
	v_cvt_f32_f16_e32 v46, v6
.LBB321_302:                            ;   in Loop: Header=BB321_10 Depth=1
	s_or_b64 exec, exec, s[34:35]
.LBB321_303:                            ;   in Loop: Header=BB321_10 Depth=1
	s_or_b64 exec, exec, s[30:31]
.LBB321_304:                            ;   in Loop: Header=BB321_10 Depth=1
	s_or_b64 exec, exec, s[28:29]
	v_lshrrev_b16_e32 v32, 8, v30
	v_cmp_ne_u16_e64 s[8:9], 0, v32
	s_and_saveexec_b64 s[28:29], s[8:9]
	s_cbranch_execz .LBB321_310
; %bb.305:                              ;   in Loop: Header=BB321_10 Depth=1
	v_cmp_ne_u16_e64 s[8:9], s19, v32
	v_bfrev_b32_e32 v45, 1
	s_and_saveexec_b64 s[30:31], s[8:9]
	s_cbranch_execz .LBB321_309
; %bb.306:                              ;   in Loop: Header=BB321_10 Depth=1
	v_and_b32_e32 v6, 0x7f, v32
	v_cmp_ne_u32_e64 s[8:9], s37, v6
	v_mov_b32_e32 v45, 0x7fc02000
	s_and_saveexec_b64 s[34:35], s[8:9]
	s_cbranch_execz .LBB321_308
; %bb.307:                              ;   in Loop: Header=BB321_10 Depth=1
	v_and_b32_e32 v7, 7, v32
	v_ffbh_u32_e32 v18, v7
	v_min_u32_e32 v18, 32, v18
	v_lshrrev_b32_e32 v17, 3, v6
	v_subrev_u32_e32 v26, 28, v18
	v_sub_u32_e32 v18, 29, v18
	v_cmp_gt_u32_e64 s[8:9], 8, v6
	v_lshlrev_b64 v[26:27], v26, v[32:33]
	v_cndmask_b32_e64 v6, v17, v18, s[8:9]
	v_mov_b32_e32 v0, 0x2000
	v_and_b32_e32 v26, 7, v26
	v_lshlrev_b32_e32 v17, 8, v32
	v_lshl_add_u32 v6, v6, 10, v0
	v_cndmask_b32_e64 v7, v7, v26, s[8:9]
	v_and_or_b32 v6, v17, s38, v6
	v_lshl_or_b32 v6, v7, 7, v6
	v_cvt_f32_f16_e32 v45, v6
.LBB321_308:                            ;   in Loop: Header=BB321_10 Depth=1
	s_or_b64 exec, exec, s[34:35]
.LBB321_309:                            ;   in Loop: Header=BB321_10 Depth=1
	s_or_b64 exec, exec, s[30:31]
.LBB321_310:                            ;   in Loop: Header=BB321_10 Depth=1
	s_or_b64 exec, exec, s[28:29]
	v_lshrrev_b32_e32 v32, 16, v30
	v_mov_b32_e32 v0, 0
	v_cmp_ne_u16_sdwa s[8:9], v32, v0 src0_sel:BYTE_0 src1_sel:DWORD
	v_mov_b32_e32 v47, 0
	v_mov_b32_e32 v56, 0
	s_and_saveexec_b64 s[28:29], s[8:9]
	s_cbranch_execz .LBB321_316
; %bb.311:                              ;   in Loop: Header=BB321_10 Depth=1
	v_cmp_ne_u16_sdwa s[8:9], v32, s19 src0_sel:BYTE_0 src1_sel:DWORD
	v_bfrev_b32_e32 v56, 1
	s_and_saveexec_b64 s[30:31], s[8:9]
	s_cbranch_execz .LBB321_315
; %bb.312:                              ;   in Loop: Header=BB321_10 Depth=1
	v_bfe_u32 v6, v30, 16, 7
	v_cmp_ne_u32_e64 s[8:9], s37, v6
	v_mov_b32_e32 v56, 0x7fc02000
	s_and_saveexec_b64 s[34:35], s[8:9]
	s_cbranch_execz .LBB321_314
; %bb.313:                              ;   in Loop: Header=BB321_10 Depth=1
	v_and_b32_e32 v7, 7, v32
	v_ffbh_u32_e32 v18, v7
	v_min_u32_e32 v18, 32, v18
	v_lshrrev_b32_e32 v17, 3, v6
	v_subrev_u32_e32 v26, 28, v18
	v_sub_u32_e32 v18, 29, v18
	v_cmp_gt_u32_e64 s[8:9], 8, v6
	v_lshlrev_b64 v[26:27], v26, v[32:33]
	v_cndmask_b32_e64 v6, v17, v18, s[8:9]
	v_mov_b32_e32 v0, 0x2000
	v_and_b32_e32 v26, 7, v26
	v_lshlrev_b32_e32 v17, 8, v32
	v_lshl_add_u32 v6, v6, 10, v0
	v_cndmask_b32_e64 v7, v7, v26, s[8:9]
	v_and_or_b32 v6, v17, s38, v6
	v_lshl_or_b32 v6, v7, 7, v6
	v_cvt_f32_f16_e32 v56, v6
.LBB321_314:                            ;   in Loop: Header=BB321_10 Depth=1
	s_or_b64 exec, exec, s[34:35]
.LBB321_315:                            ;   in Loop: Header=BB321_10 Depth=1
	s_or_b64 exec, exec, s[30:31]
.LBB321_316:                            ;   in Loop: Header=BB321_10 Depth=1
	s_or_b64 exec, exec, s[28:29]
	v_cmp_lt_u32_e64 s[8:9], s39, v30
	s_and_saveexec_b64 s[28:29], s[8:9]
	s_cbranch_execz .LBB321_322
; %bb.317:                              ;   in Loop: Header=BB321_10 Depth=1
	v_lshrrev_b32_e32 v30, 24, v30
	v_cmp_ne_u32_e64 s[8:9], s19, v30
	v_bfrev_b32_e32 v47, 1
	s_and_saveexec_b64 s[30:31], s[8:9]
	s_cbranch_execz .LBB321_321
; %bb.318:                              ;   in Loop: Header=BB321_10 Depth=1
	v_and_b32_e32 v6, 0x7f, v30
	v_cmp_ne_u32_e64 s[8:9], s37, v6
	v_mov_b32_e32 v47, 0x7fc02000
	s_and_saveexec_b64 s[34:35], s[8:9]
	s_cbranch_execz .LBB321_320
; %bb.319:                              ;   in Loop: Header=BB321_10 Depth=1
	v_and_b32_e32 v7, 7, v30
	v_ffbh_u32_e32 v18, v7
	v_min_u32_e32 v18, 32, v18
	v_lshrrev_b32_e32 v17, 3, v6
	v_subrev_u32_e32 v26, 28, v18
	v_sub_u32_e32 v18, 29, v18
	v_cmp_gt_u32_e64 s[8:9], 8, v6
	v_lshlrev_b64 v[26:27], v26, v[30:31]
	v_cndmask_b32_e64 v6, v17, v18, s[8:9]
	v_mov_b32_e32 v0, 0x2000
	v_and_b32_e32 v26, 7, v26
	v_lshlrev_b32_e32 v17, 8, v30
	v_lshl_add_u32 v6, v6, 10, v0
	v_cndmask_b32_e64 v7, v7, v26, s[8:9]
	v_and_or_b32 v6, v17, s38, v6
	v_lshl_or_b32 v6, v7, 7, v6
	v_cvt_f32_f16_e32 v47, v6
.LBB321_320:                            ;   in Loop: Header=BB321_10 Depth=1
	s_or_b64 exec, exec, s[34:35]
.LBB321_321:                            ;   in Loop: Header=BB321_10 Depth=1
	s_or_b64 exec, exec, s[30:31]
.LBB321_322:                            ;   in Loop: Header=BB321_10 Depth=1
	s_or_b64 exec, exec, s[28:29]
	flat_load_dword v30, v[28:29] offset:3080
	v_mov_b32_e32 v0, 0
	v_mov_b32_e32 v57, 0
	;; [unrolled: 1-line block ×3, first 2 shown]
	s_waitcnt vmcnt(0) lgkmcnt(0)
	v_cmp_ne_u16_sdwa s[8:9], v30, v0 src0_sel:BYTE_0 src1_sel:DWORD
	s_and_saveexec_b64 s[28:29], s[8:9]
	s_cbranch_execz .LBB321_328
; %bb.323:                              ;   in Loop: Header=BB321_10 Depth=1
	v_cmp_ne_u16_sdwa s[8:9], v30, s19 src0_sel:BYTE_0 src1_sel:DWORD
	v_bfrev_b32_e32 v58, 1
	s_and_saveexec_b64 s[30:31], s[8:9]
	s_cbranch_execz .LBB321_327
; %bb.324:                              ;   in Loop: Header=BB321_10 Depth=1
	v_and_b32_e32 v6, 0x7f, v30
	v_cmp_ne_u32_e64 s[8:9], s37, v6
	v_mov_b32_e32 v58, 0x7fc02000
	s_and_saveexec_b64 s[34:35], s[8:9]
	s_cbranch_execz .LBB321_326
; %bb.325:                              ;   in Loop: Header=BB321_10 Depth=1
	v_and_b32_e32 v7, 7, v30
	v_ffbh_u32_e32 v18, v7
	v_min_u32_e32 v18, 32, v18
	v_lshrrev_b32_e32 v17, 3, v6
	v_subrev_u32_e32 v26, 28, v18
	v_sub_u32_e32 v18, 29, v18
	v_cmp_gt_u32_e64 s[8:9], 8, v6
	v_lshlrev_b64 v[26:27], v26, v[30:31]
	v_cndmask_b32_e64 v6, v17, v18, s[8:9]
	v_mov_b32_e32 v0, 0x2000
	v_and_b32_e32 v26, 7, v26
	v_lshlrev_b32_e32 v17, 8, v30
	v_lshl_add_u32 v6, v6, 10, v0
	v_cndmask_b32_e64 v7, v7, v26, s[8:9]
	v_and_or_b32 v6, v17, s38, v6
	v_lshl_or_b32 v6, v7, 7, v6
	v_cvt_f32_f16_e32 v58, v6
.LBB321_326:                            ;   in Loop: Header=BB321_10 Depth=1
	s_or_b64 exec, exec, s[34:35]
.LBB321_327:                            ;   in Loop: Header=BB321_10 Depth=1
	s_or_b64 exec, exec, s[30:31]
.LBB321_328:                            ;   in Loop: Header=BB321_10 Depth=1
	s_or_b64 exec, exec, s[28:29]
	v_lshrrev_b16_e32 v32, 8, v30
	v_cmp_ne_u16_e64 s[8:9], 0, v32
	s_and_saveexec_b64 s[28:29], s[8:9]
	s_cbranch_execz .LBB321_334
; %bb.329:                              ;   in Loop: Header=BB321_10 Depth=1
	v_cmp_ne_u16_e64 s[8:9], s19, v32
	v_bfrev_b32_e32 v57, 1
	s_and_saveexec_b64 s[30:31], s[8:9]
	s_cbranch_execz .LBB321_333
; %bb.330:                              ;   in Loop: Header=BB321_10 Depth=1
	v_and_b32_e32 v6, 0x7f, v32
	v_cmp_ne_u32_e64 s[8:9], s37, v6
	v_mov_b32_e32 v57, 0x7fc02000
	s_and_saveexec_b64 s[34:35], s[8:9]
	s_cbranch_execz .LBB321_332
; %bb.331:                              ;   in Loop: Header=BB321_10 Depth=1
	v_and_b32_e32 v7, 7, v32
	v_ffbh_u32_e32 v18, v7
	v_min_u32_e32 v18, 32, v18
	v_lshrrev_b32_e32 v17, 3, v6
	v_subrev_u32_e32 v26, 28, v18
	v_sub_u32_e32 v18, 29, v18
	v_cmp_gt_u32_e64 s[8:9], 8, v6
	v_lshlrev_b64 v[26:27], v26, v[32:33]
	v_cndmask_b32_e64 v6, v17, v18, s[8:9]
	v_mov_b32_e32 v0, 0x2000
	v_and_b32_e32 v26, 7, v26
	v_lshlrev_b32_e32 v17, 8, v32
	v_lshl_add_u32 v6, v6, 10, v0
	v_cndmask_b32_e64 v7, v7, v26, s[8:9]
	v_and_or_b32 v6, v17, s38, v6
	v_lshl_or_b32 v6, v7, 7, v6
	v_cvt_f32_f16_e32 v57, v6
.LBB321_332:                            ;   in Loop: Header=BB321_10 Depth=1
	s_or_b64 exec, exec, s[34:35]
.LBB321_333:                            ;   in Loop: Header=BB321_10 Depth=1
	s_or_b64 exec, exec, s[30:31]
.LBB321_334:                            ;   in Loop: Header=BB321_10 Depth=1
	s_or_b64 exec, exec, s[28:29]
	v_lshrrev_b32_e32 v32, 16, v30
	v_mov_b32_e32 v0, 0
	v_cmp_ne_u16_sdwa s[8:9], v32, v0 src0_sel:BYTE_0 src1_sel:DWORD
	v_mov_b32_e32 v49, 0
	v_mov_b32_e32 v6, 0
	s_and_saveexec_b64 s[28:29], s[8:9]
	s_cbranch_execz .LBB321_340
; %bb.335:                              ;   in Loop: Header=BB321_10 Depth=1
	v_cmp_ne_u16_sdwa s[8:9], v32, s19 src0_sel:BYTE_0 src1_sel:DWORD
	v_bfrev_b32_e32 v6, 1
	s_and_saveexec_b64 s[30:31], s[8:9]
	s_cbranch_execz .LBB321_339
; %bb.336:                              ;   in Loop: Header=BB321_10 Depth=1
	v_bfe_u32 v7, v30, 16, 7
	v_cmp_ne_u32_e64 s[8:9], s37, v7
	v_mov_b32_e32 v6, 0x7fc02000
	s_and_saveexec_b64 s[34:35], s[8:9]
	s_cbranch_execz .LBB321_338
; %bb.337:                              ;   in Loop: Header=BB321_10 Depth=1
	v_and_b32_e32 v6, 7, v32
	v_ffbh_u32_e32 v18, v6
	v_min_u32_e32 v18, 32, v18
	v_lshrrev_b32_e32 v17, 3, v7
	v_subrev_u32_e32 v26, 28, v18
	v_sub_u32_e32 v18, 29, v18
	v_cmp_gt_u32_e64 s[8:9], 8, v7
	v_lshlrev_b64 v[26:27], v26, v[32:33]
	v_cndmask_b32_e64 v7, v17, v18, s[8:9]
	v_mov_b32_e32 v0, 0x2000
	v_and_b32_e32 v26, 7, v26
	v_lshlrev_b32_e32 v17, 8, v32
	v_lshl_add_u32 v7, v7, 10, v0
	v_cndmask_b32_e64 v6, v6, v26, s[8:9]
	v_and_or_b32 v7, v17, s38, v7
	v_lshl_or_b32 v6, v6, 7, v7
	v_cvt_f32_f16_e32 v6, v6
.LBB321_338:                            ;   in Loop: Header=BB321_10 Depth=1
	s_or_b64 exec, exec, s[34:35]
.LBB321_339:                            ;   in Loop: Header=BB321_10 Depth=1
	s_or_b64 exec, exec, s[30:31]
.LBB321_340:                            ;   in Loop: Header=BB321_10 Depth=1
	s_or_b64 exec, exec, s[28:29]
	v_cmp_lt_u32_e64 s[8:9], s39, v30
	s_and_saveexec_b64 s[28:29], s[8:9]
	s_cbranch_execz .LBB321_346
; %bb.341:                              ;   in Loop: Header=BB321_10 Depth=1
	v_lshrrev_b32_e32 v30, 24, v30
	v_cmp_ne_u32_e64 s[8:9], s19, v30
	v_bfrev_b32_e32 v49, 1
	s_and_saveexec_b64 s[30:31], s[8:9]
	s_cbranch_execz .LBB321_345
; %bb.342:                              ;   in Loop: Header=BB321_10 Depth=1
	v_and_b32_e32 v7, 0x7f, v30
	v_cmp_ne_u32_e64 s[8:9], s37, v7
	v_mov_b32_e32 v49, 0x7fc02000
	s_and_saveexec_b64 s[34:35], s[8:9]
	s_cbranch_execz .LBB321_344
; %bb.343:                              ;   in Loop: Header=BB321_10 Depth=1
	v_and_b32_e32 v17, 7, v30
	v_ffbh_u32_e32 v26, v17
	v_min_u32_e32 v32, 32, v26
	v_subrev_u32_e32 v26, 28, v32
	v_lshlrev_b64 v[26:27], v26, v[30:31]
	v_lshrrev_b32_e32 v18, 3, v7
	v_sub_u32_e32 v27, 29, v32
	v_cmp_gt_u32_e64 s[8:9], 8, v7
	v_cndmask_b32_e64 v7, v18, v27, s[8:9]
	v_mov_b32_e32 v0, 0x2000
	v_and_b32_e32 v26, 7, v26
	v_lshlrev_b32_e32 v18, 8, v30
	v_lshl_add_u32 v7, v7, 10, v0
	v_cndmask_b32_e64 v17, v17, v26, s[8:9]
	v_and_or_b32 v7, v18, s38, v7
	v_lshl_or_b32 v7, v17, 7, v7
	v_cvt_f32_f16_e32 v49, v7
.LBB321_344:                            ;   in Loop: Header=BB321_10 Depth=1
	s_or_b64 exec, exec, s[34:35]
.LBB321_345:                            ;   in Loop: Header=BB321_10 Depth=1
	s_or_b64 exec, exec, s[30:31]
.LBB321_346:                            ;   in Loop: Header=BB321_10 Depth=1
	s_or_b64 exec, exec, s[28:29]
	flat_load_dword v30, v[28:29] offset:3584
	v_mov_b32_e32 v0, 0
	v_mov_b32_e32 v7, 0
	;; [unrolled: 1-line block ×3, first 2 shown]
	s_waitcnt vmcnt(0) lgkmcnt(0)
	v_cmp_ne_u16_sdwa s[8:9], v30, v0 src0_sel:BYTE_0 src1_sel:DWORD
	s_and_saveexec_b64 s[28:29], s[8:9]
	s_cbranch_execz .LBB321_352
; %bb.347:                              ;   in Loop: Header=BB321_10 Depth=1
	v_cmp_ne_u16_sdwa s[8:9], v30, s19 src0_sel:BYTE_0 src1_sel:DWORD
	v_bfrev_b32_e32 v26, 1
	s_and_saveexec_b64 s[30:31], s[8:9]
	s_cbranch_execz .LBB321_351
; %bb.348:                              ;   in Loop: Header=BB321_10 Depth=1
	v_and_b32_e32 v17, 0x7f, v30
	v_cmp_ne_u32_e64 s[8:9], s37, v17
	v_mov_b32_e32 v26, 0x7fc02000
	s_and_saveexec_b64 s[34:35], s[8:9]
	s_cbranch_execz .LBB321_350
; %bb.349:                              ;   in Loop: Header=BB321_10 Depth=1
	v_and_b32_e32 v18, 7, v30
	v_ffbh_u32_e32 v26, v18
	v_mov_b32_e32 v0, v33
	v_min_u32_e32 v33, 32, v26
	v_subrev_u32_e32 v26, 28, v33
	v_lshlrev_b64 v[26:27], v26, v[30:31]
	v_lshrrev_b32_e32 v32, 3, v17
	v_sub_u32_e32 v27, 29, v33
	v_cmp_gt_u32_e64 s[8:9], 8, v17
	v_mov_b32_e32 v33, v0
	v_and_b32_e32 v26, 7, v26
	v_cndmask_b32_e64 v17, v32, v27, s[8:9]
	v_mov_b32_e32 v0, 0x2000
	v_cndmask_b32_e64 v18, v18, v26, s[8:9]
	v_lshlrev_b32_e32 v26, 8, v30
	v_lshl_add_u32 v17, v17, 10, v0
	v_and_or_b32 v17, v26, s38, v17
	v_lshl_or_b32 v17, v18, 7, v17
	v_cvt_f32_f16_e32 v26, v17
.LBB321_350:                            ;   in Loop: Header=BB321_10 Depth=1
	s_or_b64 exec, exec, s[34:35]
.LBB321_351:                            ;   in Loop: Header=BB321_10 Depth=1
	s_or_b64 exec, exec, s[30:31]
.LBB321_352:                            ;   in Loop: Header=BB321_10 Depth=1
	s_or_b64 exec, exec, s[28:29]
	v_lshrrev_b16_e32 v32, 8, v30
	v_cmp_ne_u16_e64 s[8:9], 0, v32
	s_mov_b64 s[28:29], exec
	s_and_b64 s[8:9], s[28:29], s[8:9]
	v_accvgpr_write_b32 a41, v38
	v_accvgpr_write_b32 a42, v48
	;; [unrolled: 1-line block ×6, first 2 shown]
	s_mov_b64 exec, s[8:9]
	s_cbranch_execz .LBB321_358
; %bb.353:                              ;   in Loop: Header=BB321_10 Depth=1
	v_cmp_ne_u16_e64 s[8:9], s19, v32
	v_bfrev_b32_e32 v7, 1
	s_and_saveexec_b64 s[30:31], s[8:9]
	s_cbranch_execz .LBB321_357
; %bb.354:                              ;   in Loop: Header=BB321_10 Depth=1
	v_and_b32_e32 v17, 0x7f, v32
	v_cmp_ne_u32_e64 s[8:9], s37, v17
	v_mov_b32_e32 v7, 0x7fc02000
	s_and_saveexec_b64 s[34:35], s[8:9]
	s_cbranch_execz .LBB321_356
; %bb.355:                              ;   in Loop: Header=BB321_10 Depth=1
	v_and_b32_e32 v7, 7, v32
	v_ffbh_u32_e32 v27, v7
	v_min_u32_e32 v27, 32, v27
	v_mov_b32_e32 v0, v33
	v_subrev_u32_e32 v33, 28, v27
	v_lshlrev_b64 v[60:61], v33, v[32:33]
	v_lshrrev_b32_e32 v18, 3, v17
	v_sub_u32_e32 v27, 29, v27
	v_and_b32_e32 v33, 7, v60
	v_cmp_gt_u32_e64 s[8:9], 8, v17
	v_cndmask_b32_e64 v17, v18, v27, s[8:9]
	v_cndmask_b32_e64 v7, v7, v33, s[8:9]
	v_mov_b32_e32 v33, v0
	v_mov_b32_e32 v0, 0x2000
	v_lshlrev_b32_e32 v18, 8, v32
	v_lshl_add_u32 v17, v17, 10, v0
	v_and_or_b32 v17, v18, s38, v17
	v_lshl_or_b32 v7, v7, 7, v17
	v_cvt_f32_f16_e32 v7, v7
.LBB321_356:                            ;   in Loop: Header=BB321_10 Depth=1
	s_or_b64 exec, exec, s[34:35]
.LBB321_357:                            ;   in Loop: Header=BB321_10 Depth=1
	s_or_b64 exec, exec, s[30:31]
.LBB321_358:                            ;   in Loop: Header=BB321_10 Depth=1
	s_or_b64 exec, exec, s[28:29]
	v_lshrrev_b32_e32 v32, 16, v30
	v_mov_b32_e32 v0, 0
	v_cmp_ne_u16_sdwa s[8:9], v32, v0 src0_sel:BYTE_0 src1_sel:DWORD
	v_mov_b32_e32 v27, 0
	v_mov_b32_e32 v59, 0
	s_and_saveexec_b64 s[28:29], s[8:9]
	s_cbranch_execz .LBB321_364
; %bb.359:                              ;   in Loop: Header=BB321_10 Depth=1
	v_cmp_ne_u16_sdwa s[8:9], v32, s19 src0_sel:BYTE_0 src1_sel:DWORD
	v_bfrev_b32_e32 v59, 1
	s_and_saveexec_b64 s[30:31], s[8:9]
	s_cbranch_execz .LBB321_363
; %bb.360:                              ;   in Loop: Header=BB321_10 Depth=1
	v_bfe_u32 v17, v30, 16, 7
	v_cmp_ne_u32_e64 s[8:9], s37, v17
	v_mov_b32_e32 v59, 0x7fc02000
	s_and_saveexec_b64 s[34:35], s[8:9]
	s_cbranch_execz .LBB321_362
; %bb.361:                              ;   in Loop: Header=BB321_10 Depth=1
	v_and_b32_e32 v18, 7, v32
	v_ffbh_u32_e32 v38, v18
	v_min_u32_e32 v38, 32, v38
	v_mov_b32_e32 v0, v33
	v_lshrrev_b32_e32 v33, 3, v17
	v_subrev_u32_e32 v48, 28, v38
	v_sub_u32_e32 v38, 29, v38
	v_cmp_gt_u32_e64 s[8:9], 8, v17
	v_lshlrev_b64 v[60:61], v48, v[32:33]
	v_cndmask_b32_e64 v17, v33, v38, s[8:9]
	v_mov_b32_e32 v33, v0
	v_mov_b32_e32 v0, 0x2000
	v_and_b32_e32 v48, 7, v60
	v_lshlrev_b32_e32 v32, 8, v32
	v_lshl_add_u32 v17, v17, 10, v0
	v_cndmask_b32_e64 v18, v18, v48, s[8:9]
	v_and_or_b32 v17, v32, s38, v17
	v_lshl_or_b32 v17, v18, 7, v17
	v_cvt_f32_f16_e32 v59, v17
.LBB321_362:                            ;   in Loop: Header=BB321_10 Depth=1
	s_or_b64 exec, exec, s[34:35]
.LBB321_363:                            ;   in Loop: Header=BB321_10 Depth=1
	s_or_b64 exec, exec, s[30:31]
.LBB321_364:                            ;   in Loop: Header=BB321_10 Depth=1
	s_or_b64 exec, exec, s[28:29]
	v_cmp_lt_u32_e64 s[8:9], s39, v30
	s_and_saveexec_b64 s[28:29], s[8:9]
	s_cbranch_execz .LBB321_370
; %bb.365:                              ;   in Loop: Header=BB321_10 Depth=1
	v_lshrrev_b32_e32 v30, 24, v30
	v_cmp_ne_u32_e64 s[8:9], s19, v30
	v_bfrev_b32_e32 v27, 1
	s_and_saveexec_b64 s[30:31], s[8:9]
	s_cbranch_execz .LBB321_369
; %bb.366:                              ;   in Loop: Header=BB321_10 Depth=1
	v_and_b32_e32 v17, 0x7f, v30
	v_cmp_ne_u32_e64 s[8:9], s37, v17
	v_mov_b32_e32 v27, 0x7fc02000
	s_and_saveexec_b64 s[34:35], s[8:9]
	s_cbranch_execz .LBB321_368
; %bb.367:                              ;   in Loop: Header=BB321_10 Depth=1
	v_and_b32_e32 v18, 7, v30
	v_ffbh_u32_e32 v32, v18
	v_min_u32_e32 v38, 32, v32
	v_subrev_u32_e32 v32, 28, v38
	v_mov_b32_e32 v0, v33
	v_lshlrev_b64 v[32:33], v32, v[30:31]
	v_lshrrev_b32_e32 v27, 3, v17
	v_sub_u32_e32 v33, 29, v38
	v_cmp_gt_u32_e64 s[8:9], 8, v17
	v_cndmask_b32_e64 v17, v27, v33, s[8:9]
	v_mov_b32_e32 v33, v0
	v_mov_b32_e32 v0, 0x2000
	v_and_b32_e32 v32, 7, v32
	v_lshlrev_b32_e32 v27, 8, v30
	v_lshl_add_u32 v17, v17, 10, v0
	v_cndmask_b32_e64 v18, v18, v32, s[8:9]
	v_and_or_b32 v17, v27, s38, v17
	v_lshl_or_b32 v17, v18, 7, v17
	v_cvt_f32_f16_e32 v27, v17
.LBB321_368:                            ;   in Loop: Header=BB321_10 Depth=1
	s_or_b64 exec, exec, s[34:35]
.LBB321_369:                            ;   in Loop: Header=BB321_10 Depth=1
	s_or_b64 exec, exec, s[30:31]
.LBB321_370:                            ;   in Loop: Header=BB321_10 Depth=1
	s_or_b64 exec, exec, s[28:29]
	flat_load_dword v28, v[28:29] offset:3592
	v_mov_b32_e32 v0, 0
	v_mov_b32_e32 v62, 0
	v_mov_b32_e32 v54, 0
	s_waitcnt vmcnt(0) lgkmcnt(0)
	v_cmp_ne_u16_sdwa s[8:9], v28, v0 src0_sel:BYTE_0 src1_sel:DWORD
	s_and_saveexec_b64 s[28:29], s[8:9]
	s_cbranch_execz .LBB321_376
; %bb.371:                              ;   in Loop: Header=BB321_10 Depth=1
	v_cmp_ne_u16_sdwa s[8:9], v28, s19 src0_sel:BYTE_0 src1_sel:DWORD
	v_bfrev_b32_e32 v54, 1
	s_and_saveexec_b64 s[30:31], s[8:9]
	s_cbranch_execz .LBB321_375
; %bb.372:                              ;   in Loop: Header=BB321_10 Depth=1
	v_and_b32_e32 v17, 0x7f, v28
	v_cmp_ne_u32_e64 s[8:9], s37, v17
	v_mov_b32_e32 v54, 0x7fc02000
	s_and_saveexec_b64 s[34:35], s[8:9]
	s_cbranch_execz .LBB321_374
; %bb.373:                              ;   in Loop: Header=BB321_10 Depth=1
	v_and_b32_e32 v18, 7, v28
	v_ffbh_u32_e32 v30, v18
	v_min_u32_e32 v30, 32, v30
	v_lshrrev_b32_e32 v29, 3, v17
	v_subrev_u32_e32 v32, 28, v30
	v_mov_b32_e32 v0, v33
	v_lshlrev_b64 v[32:33], v32, v[28:29]
	v_sub_u32_e32 v30, 29, v30
	v_cmp_gt_u32_e64 s[8:9], 8, v17
	v_mov_b32_e32 v33, v0
	v_cndmask_b32_e64 v17, v29, v30, s[8:9]
	v_mov_b32_e32 v0, 0x2000
	v_and_b32_e32 v32, 7, v32
	v_lshlrev_b32_e32 v29, 8, v28
	v_lshl_add_u32 v17, v17, 10, v0
	v_cndmask_b32_e64 v18, v18, v32, s[8:9]
	v_and_or_b32 v17, v29, s38, v17
	v_lshl_or_b32 v17, v18, 7, v17
	v_cvt_f32_f16_e32 v54, v17
.LBB321_374:                            ;   in Loop: Header=BB321_10 Depth=1
	s_or_b64 exec, exec, s[34:35]
.LBB321_375:                            ;   in Loop: Header=BB321_10 Depth=1
	s_or_b64 exec, exec, s[30:31]
.LBB321_376:                            ;   in Loop: Header=BB321_10 Depth=1
	s_or_b64 exec, exec, s[28:29]
	v_lshrrev_b16_e32 v30, 8, v28
	v_cmp_ne_u16_e64 s[8:9], 0, v30
	s_and_saveexec_b64 s[28:29], s[8:9]
	s_cbranch_execz .LBB321_382
; %bb.377:                              ;   in Loop: Header=BB321_10 Depth=1
	v_cmp_ne_u16_e64 s[8:9], s19, v30
	v_bfrev_b32_e32 v62, 1
	s_and_saveexec_b64 s[30:31], s[8:9]
	s_cbranch_execz .LBB321_381
; %bb.378:                              ;   in Loop: Header=BB321_10 Depth=1
	v_and_b32_e32 v17, 0x7f, v30
	v_cmp_ne_u32_e64 s[8:9], s37, v17
	v_mov_b32_e32 v62, 0x7fc02000
	s_and_saveexec_b64 s[34:35], s[8:9]
	s_cbranch_execz .LBB321_380
; %bb.379:                              ;   in Loop: Header=BB321_10 Depth=1
	v_and_b32_e32 v18, 7, v30
	v_ffbh_u32_e32 v32, v18
	v_min_u32_e32 v38, 32, v32
	v_subrev_u32_e32 v32, 28, v38
	v_mov_b32_e32 v0, v33
	v_lshlrev_b64 v[32:33], v32, v[30:31]
	v_lshrrev_b32_e32 v29, 3, v17
	v_sub_u32_e32 v33, 29, v38
	v_cmp_gt_u32_e64 s[8:9], 8, v17
	v_cndmask_b32_e64 v17, v29, v33, s[8:9]
	v_mov_b32_e32 v33, v0
	v_mov_b32_e32 v0, 0x2000
	v_and_b32_e32 v32, 7, v32
	v_lshlrev_b32_e32 v29, 8, v30
	v_lshl_add_u32 v17, v17, 10, v0
	v_cndmask_b32_e64 v18, v18, v32, s[8:9]
	v_and_or_b32 v17, v29, s38, v17
	v_lshl_or_b32 v17, v18, 7, v17
	v_cvt_f32_f16_e32 v62, v17
.LBB321_380:                            ;   in Loop: Header=BB321_10 Depth=1
	s_or_b64 exec, exec, s[34:35]
.LBB321_381:                            ;   in Loop: Header=BB321_10 Depth=1
	s_or_b64 exec, exec, s[30:31]
.LBB321_382:                            ;   in Loop: Header=BB321_10 Depth=1
	s_or_b64 exec, exec, s[28:29]
	v_lshrrev_b32_e32 v30, 16, v28
	v_mov_b32_e32 v0, 0
	v_cmp_ne_u16_sdwa s[8:9], v30, v0 src0_sel:BYTE_0 src1_sel:DWORD
	v_mov_b32_e32 v48, 0
	v_mov_b32_e32 v17, 0
	s_and_saveexec_b64 s[28:29], s[8:9]
	s_cbranch_execz .LBB321_388
; %bb.383:                              ;   in Loop: Header=BB321_10 Depth=1
	v_cmp_ne_u16_sdwa s[8:9], v30, s19 src0_sel:BYTE_0 src1_sel:DWORD
	v_bfrev_b32_e32 v17, 1
	s_and_saveexec_b64 s[30:31], s[8:9]
	s_cbranch_execz .LBB321_387
; %bb.384:                              ;   in Loop: Header=BB321_10 Depth=1
	v_bfe_u32 v18, v28, 16, 7
	v_cmp_ne_u32_e64 s[8:9], s37, v18
	v_mov_b32_e32 v17, 0x7fc02000
	s_and_saveexec_b64 s[34:35], s[8:9]
	s_cbranch_execz .LBB321_386
; %bb.385:                              ;   in Loop: Header=BB321_10 Depth=1
	v_and_b32_e32 v17, 7, v30
	v_ffbh_u32_e32 v32, v17
	v_min_u32_e32 v38, 32, v32
	v_subrev_u32_e32 v32, 28, v38
	v_mov_b32_e32 v0, v33
	v_lshlrev_b64 v[32:33], v32, v[30:31]
	v_lshrrev_b32_e32 v29, 3, v18
	v_sub_u32_e32 v33, 29, v38
	v_cmp_gt_u32_e64 s[8:9], 8, v18
	v_cndmask_b32_e64 v18, v29, v33, s[8:9]
	v_mov_b32_e32 v33, v0
	v_mov_b32_e32 v0, 0x2000
	v_and_b32_e32 v32, 7, v32
	v_lshlrev_b32_e32 v29, 8, v30
	v_lshl_add_u32 v18, v18, 10, v0
	v_cndmask_b32_e64 v17, v17, v32, s[8:9]
	v_and_or_b32 v18, v29, s38, v18
	v_lshl_or_b32 v17, v17, 7, v18
	v_cvt_f32_f16_e32 v17, v17
.LBB321_386:                            ;   in Loop: Header=BB321_10 Depth=1
	s_or_b64 exec, exec, s[34:35]
.LBB321_387:                            ;   in Loop: Header=BB321_10 Depth=1
	s_or_b64 exec, exec, s[30:31]
.LBB321_388:                            ;   in Loop: Header=BB321_10 Depth=1
	s_or_b64 exec, exec, s[28:29]
	v_accvgpr_write_b32 a49, v5
	v_accvgpr_write_b32 a40, v14
	v_cmp_lt_u32_e64 s[8:9], s39, v28
	s_and_saveexec_b64 s[28:29], s[8:9]
	s_cbranch_execz .LBB321_394
; %bb.389:                              ;   in Loop: Header=BB321_10 Depth=1
	v_lshrrev_b32_e32 v28, 24, v28
	v_cmp_ne_u32_e64 s[8:9], s19, v28
	v_bfrev_b32_e32 v48, 1
	s_and_saveexec_b64 s[30:31], s[8:9]
	s_cbranch_execz .LBB321_393
; %bb.390:                              ;   in Loop: Header=BB321_10 Depth=1
	v_and_b32_e32 v18, 0x7f, v28
	v_cmp_ne_u32_e64 s[8:9], s37, v18
	v_mov_b32_e32 v48, 0x7fc02000
	s_and_saveexec_b64 s[34:35], s[8:9]
	s_cbranch_execz .LBB321_392
; %bb.391:                              ;   in Loop: Header=BB321_10 Depth=1
	v_and_b32_e32 v29, 7, v28
	v_ffbh_u32_e32 v32, v29
	v_min_u32_e32 v38, 32, v32
	v_subrev_u32_e32 v32, 28, v38
	v_mov_b32_e32 v0, v33
	v_lshlrev_b64 v[32:33], v32, v[28:29]
	v_lshrrev_b32_e32 v30, 3, v18
	v_sub_u32_e32 v33, 29, v38
	v_cmp_gt_u32_e64 s[8:9], 8, v18
	v_cndmask_b32_e64 v18, v30, v33, s[8:9]
	v_mov_b32_e32 v33, v0
	v_mov_b32_e32 v0, 0x2000
	v_and_b32_e32 v32, 7, v32
	v_lshlrev_b32_e32 v28, 8, v28
	v_lshl_add_u32 v18, v18, 10, v0
	v_cndmask_b32_e64 v29, v29, v32, s[8:9]
	v_and_or_b32 v18, v28, s38, v18
	v_lshl_or_b32 v18, v29, 7, v18
	v_cvt_f32_f16_e32 v48, v18
.LBB321_392:                            ;   in Loop: Header=BB321_10 Depth=1
	s_or_b64 exec, exec, s[34:35]
.LBB321_393:                            ;   in Loop: Header=BB321_10 Depth=1
	s_or_b64 exec, exec, s[30:31]
.LBB321_394:                            ;   in Loop: Header=BB321_10 Depth=1
	s_or_b64 exec, exec, s[28:29]
	buffer_load_dword v0, off, s[0:3], s32 offset:136 ; 4-byte Folded Reload
	v_accvgpr_read_b32 v14, a33
	ds_read_b64 v[28:29], v14
	v_fma_mixlo_f16 v32, v40, v19, 0
	v_fma_mixlo_f16 v33, v40, v33, 0
	;; [unrolled: 1-line block ×4, first 2 shown]
	s_waitcnt lgkmcnt(0)
	v_lshrrev_b32_e32 v18, 16, v28
	v_and_b32_e32 v28, 0xffff, v28
	;;#ASMSTART
	v_cvt_f32_f16 v19, v28;
	;;#ASMEND
	;;#ASMSTART
	v_cvt_f32_f16 v18, v18;
	;;#ASMEND
	v_lshrrev_b32_e32 v30, 16, v29
	v_and_b32_e32 v29, 0xffff, v29
	v_and_b32_e32 v32, 0xffff, v32
	v_fma_mixlo_f16 v53, v40, v53, 0
	v_fma_mixlo_f16 v11, v40, v11, 0
	v_fma_mixlo_f16 v10, v40, v10, 0
	v_fma_mixlo_f16 v34, v40, v34, 0
	v_fma_mixlo_f16 v12, v40, v12, 0
	v_fma_mixlo_f16 v13, v40, v13, 0
	v_fma_mixlo_f16 v9, v40, v9, 0
	v_fma_mixlo_f16 v8, v40, v8, 0
	v_fma_mixlo_f16 v37, v40, v37, 0
	v_fma_mixlo_f16 v24, v40, v24, 0
	v_fma_mixlo_f16 v46, v40, v46, 0
	v_fma_mixlo_f16 v58, v40, v58, 0
	v_fma_mixlo_f16 v57, v40, v57, 0
	s_waitcnt vmcnt(0)
	v_fma_mixlo_f16 v38, v40, v0, 0
	v_and_b32_e32 v28, 0xffff, v38
	;;#ASMSTART
	v_cvt_f32_f16 v38, v28;
	;;#ASMEND
	v_and_b32_e32 v28, 0xffff, v33
	;;#ASMSTART
	v_cvt_f32_f16 v33, v28;
	;;#ASMEND
	;; [unrolled: 4-line block ×3, first 2 shown]
	;;#ASMSTART
	v_cvt_f32_f16 v5, v30;
	;;#ASMEND
	;;#ASMSTART
	v_cvt_f32_f16 v39, v28;
	;;#ASMEND
	v_and_b32_e32 v28, 0xffff, v61
	;;#ASMSTART
	v_cvt_f32_f16 v31, v28;
	;;#ASMEND
	ds_read_b64 v[28:29], v14 offset:8
	s_waitcnt lgkmcnt(0)
	v_and_b32_e32 v30, 0xffff, v28
	;;#ASMSTART
	v_cvt_f32_f16 v30, v30;
	;;#ASMEND
	v_lshrrev_b32_e32 v28, 16, v28
	;;#ASMSTART
	v_cvt_f32_f16 v28, v28;
	;;#ASMEND
	;;#ASMSTART
	v_cvt_f32_f16 v32, v32;
	;;#ASMEND
	v_mul_f32_e32 v30, v30, v32
	v_fmac_f32_e32 v30, v19, v38
	v_fma_mixlo_f16 v19, v40, v23, 0
	v_and_b32_e32 v19, 0xffff, v19
	;;#ASMSTART
	v_cvt_f32_f16 v19, v19;
	;;#ASMEND
	buffer_load_dword v0, off, s[0:3], s32 offset:140 ; 4-byte Folded Reload
	v_mul_f32_e32 v32, v28, v19
	v_fmac_f32_e32 v32, v18, v33
	v_lshrrev_b32_e32 v18, 16, v29
	v_and_b32_e32 v19, 0xffff, v29
	;;#ASMSTART
	v_cvt_f32_f16 v19, v19;
	;;#ASMEND
	;;#ASMSTART
	v_cvt_f32_f16 v18, v18;
	;;#ASMEND
	v_fma_mixlo_f16 v38, v40, v1, 0
	v_accvgpr_read_b32 v1, a49
	v_fma_mixlo_f16 v23, v40, v16, 0
	v_fma_mixlo_f16 v33, v40, v26, 0
	;; [unrolled: 1-line block ×9, first 2 shown]
	v_and_b32_e32 v2, 0xffff, v2
	s_waitcnt vmcnt(0)
	v_fma_mixlo_f16 v28, v40, v0, 0
	v_and_b32_e32 v28, 0xffff, v28
	;;#ASMSTART
	v_cvt_f32_f16 v28, v28;
	;;#ASMEND
	v_mul_f32_e32 v60, v19, v28
	v_fmac_f32_e32 v60, v4, v39
	v_fma_mixlo_f16 v4, v40, v55, 0
	v_and_b32_e32 v4, 0xffff, v4
	;;#ASMSTART
	v_cvt_f32_f16 v4, v4;
	;;#ASMEND
	ds_read_b64 v[28:29], v14 offset:16
	v_accvgpr_read_b32 v0, a41
	v_mul_f32_e32 v61, v18, v4
	v_fma_mixlo_f16 v4, v40, v0, 0
	v_fmac_f32_e32 v61, v5, v31
	s_waitcnt lgkmcnt(0)
	v_and_b32_e32 v5, 0xffff, v28
	v_lshrrev_b32_e32 v18, 16, v28
	v_and_b32_e32 v4, 0xffff, v4
	;;#ASMSTART
	v_cvt_f32_f16 v5, v5;
	;;#ASMEND
	;;#ASMSTART
	v_cvt_f32_f16 v18, v18;
	;;#ASMEND
	;; [unrolled: 3-line block ×3, first 2 shown]
	v_accvgpr_read_b32 v0, a40
	v_fmac_f32_e32 v30, v5, v4
	v_fma_mixlo_f16 v4, v40, v0, 0
	v_and_b32_e32 v4, 0xffff, v4
	v_accvgpr_read_b32 v0, a43
	;;#ASMSTART
	v_cvt_f32_f16 v4, v4;
	;;#ASMEND
	v_fmac_f32_e32 v32, v18, v4
	v_and_b32_e32 v5, 0xffff, v29
	v_fma_mixlo_f16 v18, v40, v0, 0
	v_lshrrev_b32_e32 v4, 16, v29
	;;#ASMSTART
	v_cvt_f32_f16 v5, v5;
	;;#ASMEND
	v_and_b32_e32 v18, 0xffff, v18
	v_accvgpr_read_b32 v0, a42
	;;#ASMSTART
	v_cvt_f32_f16 v4, v4;
	;;#ASMEND
	;;#ASMSTART
	v_cvt_f32_f16 v18, v18;
	;;#ASMEND
	v_fmac_f32_e32 v60, v5, v18
	v_fma_mixlo_f16 v5, v40, v0, 0
	v_and_b32_e32 v5, 0xffff, v5
	;;#ASMSTART
	v_cvt_f32_f16 v5, v5;
	;;#ASMEND
	ds_read_b64 v[28:29], v14 offset:24
	v_accvgpr_read_b32 v0, a45
	v_fmac_f32_e32 v61, v4, v5
	v_fma_mixlo_f16 v4, v40, v0, 0
	v_fma_mixlo_f16 v39, v40, v1, 0
	v_accvgpr_read_b32 v1, a50
	s_waitcnt lgkmcnt(0)
	v_and_b32_e32 v5, 0xffff, v28
	v_and_b32_e32 v4, 0xffff, v4
	v_fma_mixlo_f16 v31, v40, v51, 0
	v_fma_mixlo_f16 v51, v40, v52, 0
	;; [unrolled: 1-line block ×3, first 2 shown]
	v_accvgpr_read_b32 v1, a47
	;;#ASMSTART
	v_cvt_f32_f16 v5, v5;
	;;#ASMEND
	v_lshrrev_b32_e32 v18, 16, v28
	;;#ASMSTART
	v_cvt_f32_f16 v19, v18;
	;;#ASMEND
	;;#ASMSTART
	v_cvt_f32_f16 v4, v4;
	;;#ASMEND
	v_fma_mixlo_f16 v16, v40, v1, 0
	buffer_load_dword v1, off, s[0:3], s32 offset:144 ; 4-byte Folded Reload
	v_fma_mixlo_f16 v55, v40, v50, 0
	v_fma_mixlo_f16 v28, v40, v7, 0
	;; [unrolled: 1-line block ×12, first 2 shown]
	v_fmac_f32_e32 v30, v5, v4
	v_fma_mixlo_f16 v18, v40, v21, 0
	v_fma_mixlo_f16 v5, v40, v15, 0
	;; [unrolled: 1-line block ×6, first 2 shown]
	v_and_b32_e32 v3, 0xffff, v3
	s_waitcnt vmcnt(0)
	v_fma_mixlo_f16 v50, v40, v1, 0
	v_accvgpr_read_b32 v1, a48
	v_fma_mixlo_f16 v20, v40, v1, 0
	v_accvgpr_read_b32 v1, a44
	v_fma_mixlo_f16 v4, v40, v1, 0
	v_and_b32_e32 v4, 0xffff, v4
	v_accvgpr_read_b32 v1, a46
	;;#ASMSTART
	v_cvt_f32_f16 v4, v4;
	;;#ASMEND
	v_fma_mixlo_f16 v21, v40, v1, 0
	v_fma_mixlo_f16 v1, v40, v17, 0
	v_fmac_f32_e32 v32, v19, v4
	v_lshrrev_b32_e32 v4, 16, v29
	v_and_b32_e32 v17, 0xffff, v29
	;;#ASMSTART
	v_cvt_f32_f16 v17, v17;
	;;#ASMEND
	;;#ASMSTART
	v_cvt_f32_f16 v19, v4;
	;;#ASMEND
	v_and_b32_e32 v4, 0xffff, v5
	;;#ASMSTART
	v_cvt_f32_f16 v29, v4;
	;;#ASMEND
	v_and_b32_e32 v4, 0xffff, v21
	;;#ASMSTART
	v_cvt_f32_f16 v21, v4;
	;;#ASMEND
	ds_read_b64 v[4:5], v14 offset:32
	v_fmac_f32_e32 v60, v17, v29
	v_fmac_f32_e32 v61, v19, v21
	v_and_b32_e32 v1, 0xffff, v1
	s_waitcnt lgkmcnt(0)
	v_lshrrev_b32_e32 v17, 16, v4
	v_and_b32_e32 v4, 0xffff, v4
	;;#ASMSTART
	v_cvt_f32_f16 v19, v4;
	;;#ASMEND
	v_and_b32_e32 v4, 0xffff, v16
	;;#ASMSTART
	v_cvt_f32_f16 v17, v17;
	;;#ASMEND
	;;#ASMSTART
	v_cvt_f32_f16 v16, v4;
	;;#ASMEND
	v_and_b32_e32 v4, 0xffff, v55
	;;#ASMSTART
	v_cvt_f32_f16 v21, v4;
	;;#ASMEND
	v_lshrrev_b32_e32 v4, 16, v5
	v_and_b32_e32 v5, 0xffff, v5
	;;#ASMSTART
	v_cvt_f32_f16 v29, v5;
	;;#ASMEND
	;;#ASMSTART
	v_cvt_f32_f16 v48, v4;
	;;#ASMEND
	v_and_b32_e32 v4, 0xffff, v50
	;;#ASMSTART
	v_cvt_f32_f16 v50, v4;
	;;#ASMEND
	v_and_b32_e32 v4, 0xffff, v20
	;;#ASMSTART
	v_cvt_f32_f16 v20, v4;
	;;#ASMEND
	ds_read_b64 v[4:5], v14 offset:40
	v_fmac_f32_e32 v30, v19, v16
	v_fmac_f32_e32 v32, v17, v21
	v_fmac_f32_e32 v61, v48, v20
	v_fmac_f32_e32 v60, v29, v50
	s_waitcnt lgkmcnt(0)
	v_lshrrev_b32_e32 v16, 16, v4
	v_and_b32_e32 v4, 0xffff, v4
	;;#ASMSTART
	v_cvt_f32_f16 v17, v4;
	;;#ASMEND
	v_and_b32_e32 v4, 0xffff, v51
	;;#ASMSTART
	v_cvt_f32_f16 v16, v16;
	;;#ASMEND
	;;#ASMSTART
	v_cvt_f32_f16 v19, v4;
	;;#ASMEND
	v_and_b32_e32 v4, 0xffff, v39
	;;#ASMSTART
	v_cvt_f32_f16 v20, v4;
	;;#ASMEND
	v_lshrrev_b32_e32 v4, 16, v5
	v_and_b32_e32 v5, 0xffff, v5
	;;#ASMSTART
	v_cvt_f32_f16 v21, v5;
	;;#ASMEND
	;;#ASMSTART
	v_cvt_f32_f16 v29, v4;
	;;#ASMEND
	v_and_b32_e32 v4, 0xffff, v53
	;;#ASMSTART
	v_cvt_f32_f16 v39, v4;
	;;#ASMEND
	v_and_b32_e32 v4, 0xffff, v52
	;;#ASMSTART
	v_cvt_f32_f16 v48, v4;
	;;#ASMEND
	ds_read_b64 v[4:5], v14 offset:48
	v_fmac_f32_e32 v32, v16, v20
	v_fmac_f32_e32 v30, v17, v19
	v_fmac_f32_e32 v60, v21, v39
	v_fmac_f32_e32 v61, v29, v48
	;; [unrolled: 38-line block ×10, first 2 shown]
	s_waitcnt lgkmcnt(0)
	v_lshrrev_b32_e32 v6, 16, v4
	v_and_b32_e32 v4, 0xffff, v4
	;;#ASMSTART
	v_cvt_f32_f16 v8, v4;
	;;#ASMEND
	v_and_b32_e32 v4, 0xffff, v33
	;;#ASMSTART
	v_cvt_f32_f16 v6, v6;
	;;#ASMEND
	;;#ASMSTART
	v_cvt_f32_f16 v9, v4;
	;;#ASMEND
	v_and_b32_e32 v4, 0xffff, v28
	;;#ASMSTART
	v_cvt_f32_f16 v10, v4;
	;;#ASMEND
	v_lshrrev_b32_e32 v4, 16, v5
	v_and_b32_e32 v5, 0xffff, v5
	;;#ASMSTART
	v_cvt_f32_f16 v11, v5;
	;;#ASMEND
	;;#ASMSTART
	v_cvt_f32_f16 v12, v4;
	;;#ASMEND
	v_and_b32_e32 v4, 0xffff, v26
	;;#ASMSTART
	v_cvt_f32_f16 v13, v4;
	;;#ASMEND
	v_and_b32_e32 v4, 0xffff, v7
	;;#ASMSTART
	v_cvt_f32_f16 v7, v4;
	;;#ASMEND
	ds_read_b64 v[4:5], v14 offset:120
	v_fmac_f32_e32 v32, v6, v10
	v_fmac_f32_e32 v30, v8, v9
	v_and_b32_e32 v0, 0xffff, v54
	v_fmac_f32_e32 v60, v11, v13
	s_waitcnt lgkmcnt(0)
	v_lshrrev_b32_e32 v6, 16, v4
	v_and_b32_e32 v4, 0xffff, v4
	;;#ASMSTART
	v_cvt_f32_f16 v4, v4;
	;;#ASMEND
	;;#ASMSTART
	v_cvt_f32_f16 v6, v6;
	;;#ASMEND
	;; [unrolled: 3-line block ×4, first 2 shown]
	v_fmac_f32_e32 v30, v4, v3
	v_fmac_f32_e32 v32, v6, v2
	v_lshrrev_b32_e32 v2, 16, v5
	v_and_b32_e32 v3, 0xffff, v5
	v_fmac_f32_e32 v61, v12, v7
	;;#ASMSTART
	v_cvt_f32_f16 v3, v3;
	;;#ASMEND
	;;#ASMSTART
	v_cvt_f32_f16 v2, v2;
	;;#ASMEND
	;; [unrolled: 3-line block ×4, first 2 shown]
	v_fmac_f32_e32 v60, v3, v1
	v_fmac_f32_e32 v61, v2, v0
	v_add_f32_e32 v0, v30, v32
	v_add_f32_e32 v0, v0, v60
	v_accvgpr_read_b32 v3, a28
	v_add_f32_e32 v1, v61, v0
	v_and_b32_e32 v0, 64, v3
	v_xor_b32_e32 v2, 1, v3
	v_add_u32_e32 v0, 64, v0
	v_cmp_lt_i32_e64 s[8:9], v2, v0
	v_cndmask_b32_e64 v2, v3, v2, s[8:9]
	v_lshlrev_b32_e32 v2, 2, v2
	ds_bpermute_b32 v2, v2, v1
	s_mov_b64 s[28:29], exec
	s_and_b64 s[8:9], s[28:29], vcc
	v_accvgpr_read_b32 v8, a39
	s_mov_b64 exec, s[8:9]
	s_cbranch_execz .LBB321_9
; %bb.395:                              ;   in Loop: Header=BB321_10 Depth=1
	s_waitcnt lgkmcnt(0)
	v_add_f32_e32 v1, v1, v2
	buffer_load_dword v2, off, s[0:3], s32 offset:152 ; 4-byte Folded Reload
	v_accvgpr_read_b32 v3, a36
	v_accvgpr_read_b32 v5, a37
	v_add_u32_e32 v3, v3, v5
	v_cvt_f32_i32_e32 v3, v3
	s_load_dword s8, s[24:25], 0x0
	v_accvgpr_read_b32 v4, a26
	s_waitcnt vmcnt(0)
	v_mul_f32_e32 v2, v2, v3
	v_cndmask_b32_e64 v2, 0, v2, s[6:7]
	v_accvgpr_read_b32 v3, a38
	v_fmac_f32_e32 v2, v1, v4
	v_accvgpr_read_b32 v4, a8
	s_waitcnt lgkmcnt(0)
	v_add_u32_e32 v3, s8, v3
	v_cmp_lt_i32_e64 s[8:9], v5, v4
	v_cndmask_b32_e64 v1, 0, v2, s[8:9]
	ds_write_b32 v3, v1
	buffer_load_dword v3, off, s[0:3], s32 offset:148 ; 4-byte Folded Reload
	s_waitcnt vmcnt(0)
	v_max_f32_e32 v1, v3, v3
	v_max_f32_e32 v1, v1, v2
	v_cndmask_b32_e64 v3, v3, v1, s[8:9]
	buffer_store_dword v3, off, s[0:3], s32 offset:148 ; 4-byte Folded Spill
	s_branch .LBB321_9
.LBB321_396:
	s_or_b64 exec, exec, s[26:27]
.LBB321_397:
	s_or_b64 exec, exec, s[10:11]
	buffer_load_dword v15, off, s[0:3], s32 offset:148 ; 4-byte Folded Reload
	v_accvgpr_read_b32 v8, a28
	v_xor_b32_e32 v1, 32, v8
	v_cmp_lt_i32_e32 vcc, v1, v0
	v_cndmask_b32_e32 v1, v8, v1, vcc
	s_waitcnt lgkmcnt(0)
	v_lshlrev_b32_e32 v2, 2, v1
	v_xor_b32_e32 v4, 16, v8
	v_cmp_lt_i32_e32 vcc, v4, v0
	v_xor_b32_e32 v5, 8, v8
	v_xor_b32_e32 v6, 4, v8
	;; [unrolled: 1-line block ×3, first 2 shown]
	s_lshr_b32 s28, s36, 16
	s_waitcnt vmcnt(0)
	ds_bpermute_b32 v1, v2, v15
	v_max_f32_e32 v3, v15, v15
	s_waitcnt lgkmcnt(0)
	v_max_f32_e32 v1, v1, v1
	v_max_f32_e32 v1, v3, v1
	v_cndmask_b32_e32 v3, v8, v4, vcc
	v_lshlrev_b32_e32 v3, 2, v3
	ds_bpermute_b32 v4, v3, v1
	v_cmp_lt_i32_e32 vcc, v5, v0
	s_waitcnt lgkmcnt(0)
	v_max_f32_e32 v4, v4, v4
	v_max_f32_e32 v1, v1, v4
	v_cndmask_b32_e32 v4, v8, v5, vcc
	v_lshlrev_b32_e32 v4, 2, v4
	ds_bpermute_b32 v5, v4, v1
	v_cmp_lt_i32_e32 vcc, v6, v0
	;; [unrolled: 7-line block ×3, first 2 shown]
	s_waitcnt lgkmcnt(0)
	v_max_f32_e32 v6, v6, v6
	v_max_f32_e32 v1, v1, v6
	v_cndmask_b32_e32 v6, v8, v7, vcc
	v_lshlrev_b32_e32 v62, 2, v6
	ds_bpermute_b32 v7, v62, v1
	v_accvgpr_read_b32 v6, a2
	v_and_b32_e32 v23, 63, v6
	v_accvgpr_read_b32 v6, a17
	v_cmp_eq_u32_e32 vcc, 0, v23
	v_lshlrev_b32_e32 v6, 2, v6
	s_and_saveexec_b64 s[6:7], vcc
	s_cbranch_execz .LBB321_399
; %bb.398:
	s_waitcnt lgkmcnt(0)
	v_max_f32_e32 v7, v7, v7
	v_max_f32_e32 v1, v1, v1
	;; [unrolled: 1-line block ×3, first 2 shown]
	ds_write_b32 v6, v1 offset:256
.LBB321_399:
	s_or_b64 exec, exec, s[6:7]
	v_cmp_gt_u32_e64 s[6:7], 2, v23
	v_mov_b32_e32 v1, 0xff7fffff
	s_waitcnt lgkmcnt(0)
	v_lshlrev_b32_e32 v7, 2, v23
	s_barrier
	s_and_saveexec_b64 s[8:9], s[6:7]
	s_cbranch_execz .LBB321_401
; %bb.400:
	ds_read_b32 v1, v7 offset:256
.LBB321_401:
	s_or_b64 exec, exec, s[8:9]
	v_accvgpr_read_b32 v10, a28
	v_xor_b32_e32 v8, 1, v10
	v_cmp_lt_i32_e64 s[8:9], v8, v0
	v_cndmask_b32_e64 v0, v10, v8, s[8:9]
	v_lshlrev_b32_e32 v49, 2, v0
	s_waitcnt lgkmcnt(0)
	ds_bpermute_b32 v0, v49, v1
	v_accvgpr_read_b32 v8, a3
	v_max_f32_e32 v1, v1, v1
	v_subrev_u32_e32 v8, s21, v8
	v_lshl_add_u32 v9, v8, 5, s23
	s_waitcnt lgkmcnt(0)
	v_max_f32_e32 v0, v0, v0
	v_max_f32_e32 v0, v1, v0
	v_lshlrev_b32_e32 v1, 2, v10
	v_and_b32_e32 v8, 0xffffff00, v1
	ds_bpermute_b32 v0, v8, v0
	v_accvgpr_read_b32 v10, a8
	v_min_i32_e32 v9, v9, v10
	v_subrev_u32_e32 v1, s23, v9
	v_accvgpr_read_b32 v10, a2
	v_cmp_lt_i32_e64 s[8:9], v10, v1
	v_mov_b32_e32 v10, 0
	s_and_saveexec_b64 s[24:25], s[8:9]
	s_cbranch_execz .LBB321_405
; %bb.402:
	s_ashr_i32 s19, s18, 31
	s_lshl_b64 s[10:11], s[18:19], 2
	s_getpc_b64 s[26:27]
	s_add_u32 s26, s26, llvm.amdgcn.dynlds.offset.table@rel32@lo+4
	s_addc_u32 s27, s27, llvm.amdgcn.dynlds.offset.table@rel32@hi+12
	s_add_u32 s10, s10, s26
	s_addc_u32 s11, s11, s27
	s_load_dword s10, s[10:11], 0x0
	v_accvgpr_read_b32 v12, a2
	s_mov_b64 s[26:27], 0
	v_mov_b32_e32 v10, 0
	s_waitcnt lgkmcnt(0)
	v_lshl_add_u32 v11, v12, 2, s10
.LBB321_403:                            ; =>This Inner Loop Header: Depth=1
	ds_read_b32 v13, v11
	v_add_u32_e32 v12, 0x80, v12
	v_cmp_ge_i32_e64 s[10:11], v12, v1
	s_or_b64 s[26:27], s[10:11], s[26:27]
	s_waitcnt lgkmcnt(0)
	v_sub_f32_e32 v13, v13, v0
	v_mul_f32_e32 v13, 0x3fb8aa3b, v13
	v_exp_f32_e32 v13, v13
	ds_write_b32 v11, v13
	v_add_f32_e32 v10, v10, v13
	v_add_u32_e32 v11, 0x200, v11
	s_andn2_b64 exec, exec, s[26:27]
	s_cbranch_execnz .LBB321_403
; %bb.404:
	s_or_b64 exec, exec, s[26:27]
.LBB321_405:
	s_or_b64 exec, exec, s[24:25]
	ds_bpermute_b32 v2, v2, v10
	s_waitcnt lgkmcnt(0)
	v_add_f32_e32 v2, v10, v2
	ds_bpermute_b32 v3, v3, v2
	s_waitcnt lgkmcnt(0)
	v_add_f32_e32 v2, v2, v3
	;; [unrolled: 3-line block ×6, first 2 shown]
	s_and_saveexec_b64 s[10:11], vcc
	s_cbranch_execz .LBB321_407
; %bb.406:
	ds_write_b32 v6, v2 offset:264
.LBB321_407:
	s_or_b64 exec, exec, s[10:11]
	s_waitcnt lgkmcnt(0)
	s_barrier
	s_and_saveexec_b64 s[10:11], s[6:7]
	s_cbranch_execz .LBB321_409
; %bb.408:
	ds_read_b32 v2, v7 offset:264
.LBB321_409:
	s_or_b64 exec, exec, s[10:11]
	s_waitcnt lgkmcnt(0)
	ds_bpermute_b32 v3, v49, v2
	s_waitcnt lgkmcnt(0)
	v_add_f32_e32 v2, v2, v3
	ds_bpermute_b32 v2, v8, v2
	s_and_saveexec_b64 s[6:7], s[8:9]
	s_cbranch_execz .LBB321_422
; %bb.410:
	s_waitcnt lgkmcnt(0)
	v_add_f32_e32 v3, 0x358637bd, v2
	v_div_scale_f32 v4, s[8:9], v3, v3, 1.0
	v_rcp_f32_e32 v5, v4
	v_div_scale_f32 v6, vcc, 1.0, v3, 1.0
	s_movk_i32 s8, 0x7f
	v_fma_f32 v7, -v4, v5, 1.0
	v_fmac_f32_e32 v5, v7, v5
	v_mul_f32_e32 v7, v6, v5
	v_fma_f32 v8, -v4, v7, v6
	v_fmac_f32_e32 v7, v8, v5
	v_fma_f32 v4, -v4, v7, v6
	v_div_fmas_f32 v4, v4, v5, v7
	v_accvgpr_read_b32 v5, a2
	v_div_fixup_f32 v8, v4, v3, 1.0
	v_xad_u32 v3, v5, -1, v9
	v_subrev_u32_e32 v4, s23, v3
	v_cmp_lt_u32_e32 vcc, s8, v4
	s_mov_b64 s[10:11], -1
	v_accvgpr_read_b32 v3, a2
	s_and_saveexec_b64 s[8:9], vcc
	s_cbranch_execz .LBB321_419
; %bb.411:
	v_lshrrev_b32_e32 v3, 7, v4
	v_add_u32_e32 v5, -1, v3
	v_lshrrev_b32_e32 v4, 1, v5
	v_mov_b32_e32 v9, v8
	v_add_u32_e32 v4, 1, v4
	v_cmp_lt_u32_e32 vcc, 13, v5
	v_mov_b32_e32 v7, 0
	s_and_saveexec_b64 s[10:11], vcc
	s_cbranch_execz .LBB321_415
; %bb.412:
	s_ashr_i32 s19, s18, 31
	s_lshl_b64 s[24:25], s[18:19], 2
	s_getpc_b64 s[26:27]
	s_add_u32 s26, s26, llvm.amdgcn.dynlds.offset.table@rel32@lo+4
	s_addc_u32 s27, s27, llvm.amdgcn.dynlds.offset.table@rel32@hi+12
	s_add_u32 s24, s24, s26
	s_addc_u32 s25, s25, s27
	s_load_dword s21, s[24:25], 0x0
	v_accvgpr_read_b32 v6, a2
	v_and_b32_e32 v5, -8, v4
	s_mov_b32 s19, 0
	s_mov_b64 s[24:25], 0
	s_waitcnt lgkmcnt(0)
	v_lshl_add_u32 v6, v6, 2, s21
.LBB321_413:                            ; =>This Inner Loop Header: Depth=1
	ds_read2st64_b32 v[10:11], v6 offset1:2
	ds_read2st64_b32 v[12:13], v6 offset0:4 offset1:6
	ds_read2st64_b32 v[16:17], v6 offset0:8 offset1:10
	;; [unrolled: 1-line block ×3, first 2 shown]
	v_add_u32_e32 v5, -8, v5
	s_waitcnt lgkmcnt(3)
	v_pk_mul_f32 v[10:11], v[8:9], v[10:11]
	s_waitcnt lgkmcnt(2)
	v_pk_mul_f32 v[12:13], v[8:9], v[12:13]
	ds_write2st64_b32 v6, v10, v11 offset1:2
	ds_write2st64_b32 v6, v12, v13 offset0:4 offset1:6
	ds_read2st64_b32 v[12:13], v6 offset0:16 offset1:18
	s_waitcnt lgkmcnt(4)
	v_pk_mul_f32 v[10:11], v[8:9], v[16:17]
	ds_write2st64_b32 v6, v10, v11 offset0:8 offset1:10
	s_waitcnt lgkmcnt(4)
	v_pk_mul_f32 v[10:11], v[8:9], v[18:19]
	ds_write2st64_b32 v6, v10, v11 offset0:12 offset1:14
	ds_read2st64_b32 v[10:11], v6 offset0:20 offset1:22
	s_waitcnt lgkmcnt(3)
	v_pk_mul_f32 v[12:13], v[8:9], v[12:13]
	ds_read2st64_b32 v[16:17], v6 offset0:24 offset1:26
	ds_write2st64_b32 v6, v12, v13 offset0:16 offset1:18
	ds_read2st64_b32 v[12:13], v6 offset0:28 offset1:30
	s_waitcnt lgkmcnt(3)
	v_pk_mul_f32 v[10:11], v[8:9], v[10:11]
	ds_write2st64_b32 v6, v10, v11 offset0:20 offset1:22
	s_waitcnt lgkmcnt(3)
	v_pk_mul_f32 v[10:11], v[8:9], v[16:17]
	ds_write2st64_b32 v6, v10, v11 offset0:24 offset1:26
	s_waitcnt lgkmcnt(2)
	v_pk_mul_f32 v[10:11], v[8:9], v[12:13]
	s_add_i32 s19, s19, 16
	v_cmp_eq_u32_e32 vcc, 0, v5
	ds_write2st64_b32 v6, v10, v11 offset0:28 offset1:30
	v_add_u32_e32 v6, 0x2000, v6
	s_or_b64 s[24:25], vcc, s[24:25]
	v_mov_b32_e32 v7, s19
	s_andn2_b64 exec, exec, s[24:25]
	s_cbranch_execnz .LBB321_413
; %bb.414:
	s_or_b64 exec, exec, s[24:25]
.LBB321_415:
	s_or_b64 exec, exec, s[10:11]
	v_and_b32_e32 v4, 7, v4
	v_cmp_ne_u32_e32 vcc, 0, v4
	s_and_saveexec_b64 s[10:11], vcc
	s_cbranch_execz .LBB321_418
; %bb.416:
	s_ashr_i32 s19, s18, 31
	s_lshl_b64 s[24:25], s[18:19], 2
	s_getpc_b64 s[26:27]
	s_add_u32 s26, s26, llvm.amdgcn.dynlds.offset.table@rel32@lo+4
	s_addc_u32 s27, s27, llvm.amdgcn.dynlds.offset.table@rel32@hi+12
	s_add_u32 s24, s24, s26
	s_addc_u32 s25, s25, s27
	s_load_dword s19, s[24:25], 0x0
	v_accvgpr_read_b32 v6, a2
	v_lshlrev_b32_e32 v5, 9, v7
	v_lshlrev_b32_e32 v6, 2, v6
	s_mov_b64 s[24:25], 0
	s_waitcnt lgkmcnt(0)
	v_add3_u32 v5, v5, v6, s19
.LBB321_417:                            ; =>This Inner Loop Header: Depth=1
	ds_read2st64_b32 v[6:7], v5 offset1:2
	v_add_u32_e32 v4, -1, v4
	v_cmp_eq_u32_e32 vcc, 0, v4
	s_or_b64 s[24:25], vcc, s[24:25]
	s_waitcnt lgkmcnt(0)
	v_pk_mul_f32 v[6:7], v[8:9], v[6:7]
	ds_write2st64_b32 v5, v6, v7 offset1:2
	v_add_u32_e32 v5, 0x400, v5
	s_andn2_b64 exec, exec, s[24:25]
	s_cbranch_execnz .LBB321_417
.LBB321_418:
	s_or_b64 exec, exec, s[10:11]
	v_add_u32_e32 v4, 1, v3
	v_and_b32_e32 v5, 0x3fffffe, v4
	v_accvgpr_read_b32 v3, a2
	v_cmp_ne_u32_e32 vcc, v4, v5
	v_lshl_add_u32 v3, v5, 7, v3
	s_orn2_b64 s[10:11], vcc, exec
.LBB321_419:
	s_or_b64 exec, exec, s[8:9]
	s_and_b64 exec, exec, s[10:11]
	s_cbranch_execz .LBB321_422
; %bb.420:
	s_ashr_i32 s19, s18, 31
	s_lshl_b64 s[8:9], s[18:19], 2
	s_getpc_b64 s[10:11]
	s_add_u32 s10, s10, llvm.amdgcn.dynlds.offset.table@rel32@lo+4
	s_addc_u32 s11, s11, llvm.amdgcn.dynlds.offset.table@rel32@hi+12
	s_add_u32 s8, s8, s10
	s_addc_u32 s9, s9, s11
	s_load_dword s8, s[8:9], 0x0
	s_waitcnt lgkmcnt(0)
	v_lshl_add_u32 v4, v3, 2, s8
	s_mov_b64 s[8:9], 0
.LBB321_421:                            ; =>This Inner Loop Header: Depth=1
	ds_read_b32 v5, v4
	v_add_u32_e32 v3, 0x80, v3
	v_cmp_ge_i32_e32 vcc, v3, v1
	s_or_b64 s[8:9], vcc, s[8:9]
	s_waitcnt lgkmcnt(0)
	v_mul_f32_e32 v5, v8, v5
	ds_write_b32 v4, v5
	v_add_u32_e32 v4, 0x200, v4
	s_andn2_b64 exec, exec, s[8:9]
	s_cbranch_execnz .LBB321_421
.LBB321_422:
	s_or_b64 exec, exec, s[6:7]
	v_cmp_ne_u16_e64 s[6:7], s28, 0
	s_cmp_lg_u64 s[6:7], 0
	s_addc_u32 s21, s13, 0
	v_accvgpr_read_b32 v3, a2
	s_mul_i32 s6, s21, s22
	v_cmp_eq_u32_e32 vcc, 0, v3
	s_mul_i32 s6, s6, s15
	s_waitcnt lgkmcnt(0)
	s_barrier
	s_and_saveexec_b64 s[8:9], vcc
	s_cbranch_execz .LBB321_424
; %bb.423:
	s_mul_i32 s12, s21, s12
	s_ashr_i32 s7, s6, 31
	s_ashr_i32 s13, s12, 31
	;; [unrolled: 1-line block ×3, first 2 shown]
	s_lshl_b64 s[10:11], s[6:7], 2
	s_lshl_b64 s[12:13], s[12:13], 2
	;; [unrolled: 1-line block ×3, first 2 shown]
	s_add_u32 s7, s24, s12
	s_addc_u32 s12, s25, s13
	s_add_u32 s7, s7, s10
	s_addc_u32 s10, s12, s11
	v_accvgpr_read_b32 v4, a15
	v_mov_b32_e32 v1, s10
	v_add_co_u32_e32 v4, vcc, s7, v4
	v_accvgpr_read_b32 v5, a14
	v_addc_co_u32_e32 v5, vcc, v1, v5, vcc
	flat_store_dword v[4:5], v0
	v_accvgpr_read_b32 v0, a13
	v_add_co_u32_e32 v0, vcc, s7, v0
	v_accvgpr_read_b32 v4, a12
	v_addc_co_u32_e32 v1, vcc, v1, v4, vcc
	flat_store_dword v[0:1], v2
.LBB321_424:
	s_or_b64 exec, exec, s[8:9]
	v_mov_b32_e32 v1, 0
	v_and_b32_e32 v16, 3, v3
	v_mov_b32_e32 v0, 0
	v_mov_b32_e32 v3, 0
	;; [unrolled: 1-line block ×7, first 2 shown]
	s_and_saveexec_b64 s[8:9], s[4:5]
	s_cbranch_execz .LBB321_828
; %bb.425:
	v_accvgpr_read_b32 v0, a9
	v_accvgpr_read_b32 v1, a22
	;; [unrolled: 1-line block ×3, first 2 shown]
	v_add_co_u32_e32 v0, vcc, v0, v1
	v_accvgpr_read_b32 v1, a7
	v_accvgpr_read_b32 v4, a23
	v_and_b32_e32 v2, 24, v3
	s_ashr_i32 s19, s18, 31
	v_addc_co_u32_e32 v1, vcc, v1, v4, vcc
	v_and_b32_e32 v3, 0x1f8, v3
	s_lshl_b64 s[4:5], s[18:19], 2
	v_add_co_u32_e32 v20, vcc, v0, v3
	s_getpc_b64 s[10:11]
	s_add_u32 s10, s10, llvm.amdgcn.dynlds.offset.table@rel32@lo+4
	s_addc_u32 s11, s11, llvm.amdgcn.dynlds.offset.table@rel32@hi+12
	v_addc_co_u32_e32 v21, vcc, 0, v1, vcc
	v_accvgpr_read_b32 v0, a10
	s_add_u32 s4, s4, s10
	v_accvgpr_read_b32 v4, a18
	v_accvgpr_read_b32 v1, a11
	s_addc_u32 s5, s5, s11
	v_add_u32_e32 v38, -1, v4
	v_lshlrev_b64 v[0:1], 2, v[0:1]
	v_accvgpr_read_b32 v4, a20
	s_load_dword s4, s[4:5], 0x0
	v_accvgpr_read_b32 v5, a21
	v_add_co_u32_e32 v0, vcc, v4, v0
	v_addc_co_u32_e32 v1, vcc, v5, v1, vcc
	v_accvgpr_read_b32 v14, a29
	v_add_co_u32_e32 v14, vcc, v14, v0
	v_accvgpr_read_b32 v15, a27
	v_accvgpr_read_b32 v0, a19
	v_addc_co_u32_e32 v15, vcc, v15, v1, vcc
	v_add3_u32 v7, s23, v0, v2
	v_lshlrev_b32_e32 v0, 5, v16
	v_accvgpr_read_b32 v1, a17
	s_mov_b32 s10, -1
	v_lshl_or_b32 v0, v1, 7, v0
	v_mov_b32_e32 v8, 0
	s_mov_b32 s11, 0xffffff
	v_mov_b32_e32 v11, 0
	v_accvgpr_read_b32 v17, a8
	v_accvgpr_write_b32 a7, v16
	s_waitcnt lgkmcnt(0)
	v_add_u32_e32 v39, s4, v0
	s_mov_b64 s[12:13], 0
	s_movk_i32 s7, 0x80
	s_movk_i32 s15, 0x7f
	s_mov_b32 s19, 0x8000
	s_movk_i32 s28, 0x380
	s_mov_b32 s29, 0x3020706
	s_mov_b32 s30, 0x1000504
	;; [unrolled: 1-line block ×3, first 2 shown]
	v_mov_b32_e32 v48, 0x2000
	v_mov_b32_e32 v9, v8
	;; [unrolled: 1-line block ×8, first 2 shown]
	s_branch .LBB321_427
.LBB321_426:                            ;   in Loop: Header=BB321_427 Depth=1
	s_or_b64 exec, exec, s[4:5]
	v_add_f32_e32 v4, v4, v5
	v_add_f32_e32 v12, v12, v4
	;; [unrolled: 1-line block ×10, first 2 shown]
	;;#ASMSTART
	v_pk_mul_f16 v4, v40, v24;

	;;#ASMEND
	;;#ASMSTART
	v_pk_mul_f16 v5, v41, v10;

	;;#ASMEND
	;; [unrolled: 4-line block ×4, first 2 shown]
	;;#ASMSTART
	v_pk_add_f16 v4, v4, v5;

	;;#ASMEND
	;;#ASMSTART
	v_pk_add_f16 v4, v4, v6;

	;;#ASMEND
	;; [unrolled: 4-line block ×3, first 2 shown]
	v_lshrrev_b32_e32 v5, 16, v4
	v_and_b32_e32 v4, 0xffff, v4
	;;#ASMSTART
	v_cvt_f32_f16 v4, v4;
	;;#ASMEND
	;;#ASMSTART
	v_cvt_f32_f16 v5, v5;
	;;#ASMEND
	v_add_f32_e32 v4, v4, v5
	v_accvgpr_read_b32 v6, a10
	v_add_co_u32_e32 v14, vcc, 8, v14
	v_add_f32_e32 v16, v45, v46
	v_add_f32_e32 v1, v1, v4
	v_add_u32_e32 v6, 2, v6
	v_addc_co_u32_e32 v15, vcc, 0, v15, vcc
	v_accvgpr_read_b32 v4, a3
	v_add_f32_e32 v8, v8, v16
	v_add_f32_e32 v16, v47, v56
	v_cmp_ge_i32_e32 vcc, v6, v4
	v_add_f32_e32 v9, v9, v16
	v_add_u32_e32 v7, 64, v7
	v_accvgpr_write_b32 a10, v6
	s_or_b64 s[12:13], vcc, s[12:13]
	v_add_u32_e32 v39, 0x100, v39
	s_andn2_b64 exec, exec, s[12:13]
	s_cbranch_execz .LBB321_827
.LBB321_427:                            ; =>This Inner Loop Header: Depth=1
	flat_load_dword v10, v[14:15]
	ds_read2_b64 v[24:27], v39 offset1:1
	ds_read2_b64 v[28:31], v39 offset0:2 offset1:3
	v_accvgpr_read_b32 v16, a6
	s_waitcnt lgkmcnt(0)
	;;#ASMSTART
	v_cvt_f16_f32 v4, v24;

	;;#ASMEND
	;;#ASMSTART
	v_cvt_f16_f32 v5, v25;

	;;#ASMEND
	;; [unrolled: 4-line block ×6, first 2 shown]
	v_accvgpr_read_b32 v29, a5
	;;#ASMSTART
	v_cvt_f16_f32 v27, v30;

	;;#ASMEND
	;;#ASMSTART
	v_cvt_f16_f32 v34, v31;

	;;#ASMEND
	v_accvgpr_read_b32 v28, a4
	flat_load_dword v24, v[28:29]
	v_mov_b32_e32 v28, 0
	s_waitcnt vmcnt(0)
	v_mad_i64_i32 v[18:19], s[4:5], v10, v16, v[20:21]
	flat_load_dwordx2 v[30:31], v[18:19]
	s_waitcnt vmcnt(0) lgkmcnt(0)
	v_cmp_ne_u16_sdwa s[22:23], v30, v11 src0_sel:BYTE_0 src1_sel:DWORD
	s_and_saveexec_b64 s[4:5], s[22:23]
	s_cbranch_execz .LBB321_433
; %bb.428:                              ;   in Loop: Header=BB321_427 Depth=1
	v_cmp_ne_u16_sdwa s[24:25], v30, s7 src0_sel:BYTE_0 src1_sel:DWORD
	v_bfrev_b32_e32 v28, 1
	s_and_saveexec_b64 s[22:23], s[24:25]
	s_cbranch_execz .LBB321_432
; %bb.429:                              ;   in Loop: Header=BB321_427 Depth=1
	v_and_b32_e32 v10, 0x7f, v30
	v_cmp_ne_u32_e32 vcc, s15, v10
	v_mov_b32_e32 v28, 0x7fc02000
	s_and_saveexec_b64 s[24:25], vcc
	s_cbranch_execz .LBB321_431
; %bb.430:                              ;   in Loop: Header=BB321_427 Depth=1
	v_and_b32_e32 v16, 7, v30
	v_ffbh_u32_e32 v16, v16
	v_min_u32_e32 v16, 32, v16
	v_subrev_u32_e32 v28, 28, v16
	v_cmp_gt_u32_e32 vcc, 8, v10
	v_lshrrev_b32_e32 v32, 3, v10
	v_sub_u32_e32 v16, 29, v16
	v_cndmask_b32_e32 v10, 0, v28, vcc
	v_lshlrev_b64 v[28:29], v10, v[30:31]
	v_cndmask_b32_e32 v10, v32, v16, vcc
	v_lshlrev_b32_e32 v16, 7, v28
	v_lshlrev_b32_e32 v28, 8, v30
	v_lshl_add_u32 v10, v10, 10, v48
	v_and_or_b32 v10, v28, s19, v10
	v_and_or_b32 v10, v16, s28, v10
	v_cvt_f32_f16_e32 v28, v10
.LBB321_431:                            ;   in Loop: Header=BB321_427 Depth=1
	s_or_b64 exec, exec, s[24:25]
.LBB321_432:                            ;   in Loop: Header=BB321_427 Depth=1
	s_or_b64 exec, exec, s[22:23]
.LBB321_433:                            ;   in Loop: Header=BB321_427 Depth=1
	s_or_b64 exec, exec, s[4:5]
	v_lshrrev_b16_e32 v10, 8, v30
	v_cmp_ne_u16_e32 vcc, 0, v10
	v_mov_b32_e32 v29, 0
	v_mov_b32_e32 v32, 0
	s_and_saveexec_b64 s[4:5], vcc
	s_cbranch_execz .LBB321_439
; %bb.434:                              ;   in Loop: Header=BB321_427 Depth=1
	v_cmp_ne_u16_e32 vcc, s7, v10
	v_bfrev_b32_e32 v32, 1
	s_and_saveexec_b64 s[22:23], vcc
	s_cbranch_execz .LBB321_438
; %bb.435:                              ;   in Loop: Header=BB321_427 Depth=1
	v_and_b32_e32 v33, 0x7f, v10
	v_cmp_ne_u32_e32 vcc, s15, v33
	v_mov_b32_e32 v32, 0x7fc02000
	s_and_saveexec_b64 s[24:25], vcc
	s_cbranch_execz .LBB321_437
; %bb.436:                              ;   in Loop: Header=BB321_427 Depth=1
	v_and_b32_e32 v16, 7, v10
	v_ffbh_u32_e32 v35, v16
	v_min_u32_e32 v35, 32, v35
	v_lshrrev_b32_e32 v32, 3, v33
	v_subrev_u32_e32 v36, 28, v35
	v_sub_u32_e32 v35, 29, v35
	v_cmp_gt_u32_e32 vcc, 8, v33
	v_lshlrev_b64 v[50:51], v36, v[10:11]
	v_cndmask_b32_e32 v32, v32, v35, vcc
	v_and_b32_e32 v36, 7, v50
	v_lshlrev_b32_e32 v10, 8, v10
	v_lshl_add_u32 v32, v32, 10, v48
	v_cndmask_b32_e32 v16, v16, v36, vcc
	v_and_or_b32 v10, v10, s19, v32
	v_lshl_or_b32 v10, v16, 7, v10
	v_cvt_f32_f16_e32 v32, v10
.LBB321_437:                            ;   in Loop: Header=BB321_427 Depth=1
	s_or_b64 exec, exec, s[24:25]
.LBB321_438:                            ;   in Loop: Header=BB321_427 Depth=1
	s_or_b64 exec, exec, s[22:23]
.LBB321_439:                            ;   in Loop: Header=BB321_427 Depth=1
	s_or_b64 exec, exec, s[4:5]
	v_lshrrev_b32_e32 v10, 16, v30
	v_cmp_ne_u16_sdwa s[22:23], v10, v11 src0_sel:BYTE_0 src1_sel:DWORD
	s_and_saveexec_b64 s[4:5], s[22:23]
	s_cbranch_execz .LBB321_445
; %bb.440:                              ;   in Loop: Header=BB321_427 Depth=1
	v_cmp_ne_u16_sdwa s[24:25], v10, s7 src0_sel:BYTE_0 src1_sel:DWORD
	v_bfrev_b32_e32 v29, 1
	s_and_saveexec_b64 s[22:23], s[24:25]
	s_cbranch_execz .LBB321_444
; %bb.441:                              ;   in Loop: Header=BB321_427 Depth=1
	v_bfe_u32 v33, v30, 16, 7
	v_cmp_ne_u32_e32 vcc, s15, v33
	v_mov_b32_e32 v29, 0x7fc02000
	s_and_saveexec_b64 s[24:25], vcc
	s_cbranch_execz .LBB321_443
; %bb.442:                              ;   in Loop: Header=BB321_427 Depth=1
	v_and_b32_e32 v16, 7, v10
	v_ffbh_u32_e32 v35, v16
	v_min_u32_e32 v35, 32, v35
	v_lshrrev_b32_e32 v29, 3, v33
	v_subrev_u32_e32 v36, 28, v35
	v_sub_u32_e32 v35, 29, v35
	v_cmp_gt_u32_e32 vcc, 8, v33
	v_lshlrev_b64 v[50:51], v36, v[10:11]
	v_cndmask_b32_e32 v29, v29, v35, vcc
	v_and_b32_e32 v36, 7, v50
	v_lshlrev_b32_e32 v10, 8, v10
	v_lshl_add_u32 v29, v29, 10, v48
	v_cndmask_b32_e32 v16, v16, v36, vcc
	v_and_or_b32 v10, v10, s19, v29
	v_lshl_or_b32 v10, v16, 7, v10
	v_cvt_f32_f16_e32 v29, v10
.LBB321_443:                            ;   in Loop: Header=BB321_427 Depth=1
	s_or_b64 exec, exec, s[24:25]
.LBB321_444:                            ;   in Loop: Header=BB321_427 Depth=1
	s_or_b64 exec, exec, s[22:23]
.LBB321_445:                            ;   in Loop: Header=BB321_427 Depth=1
	s_or_b64 exec, exec, s[4:5]
	v_cmp_lt_u32_e32 vcc, s11, v30
	v_mov_b32_e32 v35, 0
	v_mov_b32_e32 v33, 0
	s_and_saveexec_b64 s[4:5], vcc
	s_cbranch_execz .LBB321_451
; %bb.446:                              ;   in Loop: Header=BB321_427 Depth=1
	v_lshrrev_b32_e32 v10, 24, v30
	v_cmp_ne_u32_e32 vcc, s7, v10
	v_bfrev_b32_e32 v33, 1
	s_and_saveexec_b64 s[22:23], vcc
	s_cbranch_execz .LBB321_450
; %bb.447:                              ;   in Loop: Header=BB321_427 Depth=1
	v_and_b32_e32 v50, 0x7f, v10
	v_cmp_ne_u32_e32 vcc, s15, v50
	v_mov_b32_e32 v33, 0x7fc02000
	s_and_saveexec_b64 s[24:25], vcc
	s_cbranch_execz .LBB321_449
; %bb.448:                              ;   in Loop: Header=BB321_427 Depth=1
	v_and_b32_e32 v16, 7, v10
	v_ffbh_u32_e32 v36, v16
	v_min_u32_e32 v36, 32, v36
	v_lshrrev_b32_e32 v33, 3, v50
	v_subrev_u32_e32 v37, 28, v36
	v_sub_u32_e32 v36, 29, v36
	v_cmp_gt_u32_e32 vcc, 8, v50
	v_lshlrev_b64 v[52:53], v37, v[10:11]
	v_cndmask_b32_e32 v33, v33, v36, vcc
	v_and_b32_e32 v37, 7, v52
	v_lshlrev_b32_e32 v10, 8, v10
	v_lshl_add_u32 v33, v33, 10, v48
	v_cndmask_b32_e32 v16, v16, v37, vcc
	v_and_or_b32 v10, v10, s19, v33
	v_lshl_or_b32 v10, v16, 7, v10
	v_cvt_f32_f16_e32 v33, v10
.LBB321_449:                            ;   in Loop: Header=BB321_427 Depth=1
	s_or_b64 exec, exec, s[24:25]
.LBB321_450:                            ;   in Loop: Header=BB321_427 Depth=1
	s_or_b64 exec, exec, s[22:23]
.LBB321_451:                            ;   in Loop: Header=BB321_427 Depth=1
	s_or_b64 exec, exec, s[4:5]
	v_mov_b32_e32 v10, v31
	v_cmp_ne_u16_sdwa s[22:23], v31, v11 src0_sel:BYTE_0 src1_sel:DWORD
	s_and_saveexec_b64 s[4:5], s[22:23]
	s_cbranch_execz .LBB321_457
; %bb.452:                              ;   in Loop: Header=BB321_427 Depth=1
	v_cmp_ne_u16_sdwa s[24:25], v31, s7 src0_sel:BYTE_0 src1_sel:DWORD
	v_bfrev_b32_e32 v35, 1
	s_and_saveexec_b64 s[22:23], s[24:25]
	s_cbranch_execz .LBB321_456
; %bb.453:                              ;   in Loop: Header=BB321_427 Depth=1
	v_and_b32_e32 v50, 0x7f, v31
	v_cmp_ne_u32_e32 vcc, s15, v50
	v_mov_b32_e32 v35, 0x7fc02000
	s_and_saveexec_b64 s[24:25], vcc
	s_cbranch_execz .LBB321_455
; %bb.454:                              ;   in Loop: Header=BB321_427 Depth=1
	v_and_b32_e32 v16, 7, v31
	v_ffbh_u32_e32 v16, v16
	v_min_u32_e32 v16, 32, v16
	v_lshrrev_b32_e32 v35, 3, v50
	v_subrev_u32_e32 v36, 28, v16
	v_sub_u32_e32 v16, 29, v16
	v_cmp_gt_u32_e32 vcc, 8, v50
	v_cndmask_b32_e32 v36, 0, v36, vcc
	v_cndmask_b32_e32 v16, v35, v16, vcc
	v_lshlrev_b64 v[50:51], v36, v[10:11]
	v_lshlrev_b32_e32 v36, 8, v31
	v_lshl_add_u32 v16, v16, 10, v48
	v_lshlrev_b32_e32 v35, 7, v50
	v_and_or_b32 v16, v36, s19, v16
	v_and_or_b32 v16, v35, s28, v16
	v_cvt_f32_f16_e32 v35, v16
.LBB321_455:                            ;   in Loop: Header=BB321_427 Depth=1
	s_or_b64 exec, exec, s[24:25]
.LBB321_456:                            ;   in Loop: Header=BB321_427 Depth=1
	s_or_b64 exec, exec, s[22:23]
.LBB321_457:                            ;   in Loop: Header=BB321_427 Depth=1
	s_or_b64 exec, exec, s[4:5]
	v_lshrrev_b16_e32 v10, 8, v10
	v_cmp_ne_u16_e32 vcc, 0, v10
	v_mov_b32_e32 v50, 0
	v_mov_b32_e32 v51, 0
	s_and_saveexec_b64 s[4:5], vcc
	s_cbranch_execz .LBB321_463
; %bb.458:                              ;   in Loop: Header=BB321_427 Depth=1
	v_cmp_ne_u16_e32 vcc, s7, v10
	v_bfrev_b32_e32 v51, 1
	s_and_saveexec_b64 s[22:23], vcc
	s_cbranch_execz .LBB321_462
; %bb.459:                              ;   in Loop: Header=BB321_427 Depth=1
	v_and_b32_e32 v52, 0x7f, v10
	v_cmp_ne_u32_e32 vcc, s15, v52
	v_mov_b32_e32 v51, 0x7fc02000
	s_and_saveexec_b64 s[24:25], vcc
	s_cbranch_execz .LBB321_461
; %bb.460:                              ;   in Loop: Header=BB321_427 Depth=1
	v_and_b32_e32 v16, 7, v10
	v_ffbh_u32_e32 v37, v16
	v_min_u32_e32 v37, 32, v37
	v_lshrrev_b32_e32 v36, 3, v52
	v_subrev_u32_e32 v51, 28, v37
	v_sub_u32_e32 v37, 29, v37
	v_cmp_gt_u32_e32 vcc, 8, v52
	v_lshlrev_b64 v[54:55], v51, v[10:11]
	v_cndmask_b32_e32 v36, v36, v37, vcc
	v_and_b32_e32 v51, 7, v54
	v_lshlrev_b32_e32 v10, 8, v10
	v_lshl_add_u32 v36, v36, 10, v48
	v_cndmask_b32_e32 v16, v16, v51, vcc
	v_and_or_b32 v10, v10, s19, v36
	v_lshl_or_b32 v10, v16, 7, v10
	v_cvt_f32_f16_e32 v51, v10
.LBB321_461:                            ;   in Loop: Header=BB321_427 Depth=1
	s_or_b64 exec, exec, s[24:25]
.LBB321_462:                            ;   in Loop: Header=BB321_427 Depth=1
	s_or_b64 exec, exec, s[22:23]
.LBB321_463:                            ;   in Loop: Header=BB321_427 Depth=1
	s_or_b64 exec, exec, s[4:5]
	v_lshrrev_b32_e32 v10, 16, v31
	v_cmp_ne_u16_sdwa s[22:23], v10, v11 src0_sel:BYTE_0 src1_sel:DWORD
	s_and_saveexec_b64 s[4:5], s[22:23]
	s_cbranch_execz .LBB321_469
; %bb.464:                              ;   in Loop: Header=BB321_427 Depth=1
	v_cmp_ne_u16_sdwa s[24:25], v10, s7 src0_sel:BYTE_0 src1_sel:DWORD
	v_bfrev_b32_e32 v50, 1
	s_and_saveexec_b64 s[22:23], s[24:25]
	s_cbranch_execz .LBB321_468
; %bb.465:                              ;   in Loop: Header=BB321_427 Depth=1
	v_bfe_u32 v52, v31, 16, 7
	v_cmp_ne_u32_e32 vcc, s15, v52
	v_mov_b32_e32 v50, 0x7fc02000
	s_and_saveexec_b64 s[24:25], vcc
	s_cbranch_execz .LBB321_467
; %bb.466:                              ;   in Loop: Header=BB321_427 Depth=1
	v_and_b32_e32 v16, 7, v10
	v_ffbh_u32_e32 v37, v16
	v_min_u32_e32 v37, 32, v37
	v_lshrrev_b32_e32 v36, 3, v52
	v_subrev_u32_e32 v50, 28, v37
	v_sub_u32_e32 v37, 29, v37
	v_cmp_gt_u32_e32 vcc, 8, v52
	v_lshlrev_b64 v[54:55], v50, v[10:11]
	v_cndmask_b32_e32 v36, v36, v37, vcc
	v_and_b32_e32 v50, 7, v54
	v_lshlrev_b32_e32 v10, 8, v10
	v_lshl_add_u32 v36, v36, 10, v48
	v_cndmask_b32_e32 v16, v16, v50, vcc
	v_and_or_b32 v10, v10, s19, v36
	v_lshl_or_b32 v10, v16, 7, v10
	v_cvt_f32_f16_e32 v50, v10
.LBB321_467:                            ;   in Loop: Header=BB321_427 Depth=1
	s_or_b64 exec, exec, s[24:25]
.LBB321_468:                            ;   in Loop: Header=BB321_427 Depth=1
	s_or_b64 exec, exec, s[22:23]
.LBB321_469:                            ;   in Loop: Header=BB321_427 Depth=1
	s_or_b64 exec, exec, s[4:5]
	v_cmp_lt_u64_e32 vcc, s[10:11], v[30:31]
	v_mov_b32_e32 v30, 0
	s_and_saveexec_b64 s[4:5], vcc
	s_cbranch_execz .LBB321_475
; %bb.470:                              ;   in Loop: Header=BB321_427 Depth=1
	v_lshrrev_b32_e32 v10, 24, v31
	v_cmp_ne_u32_e32 vcc, s7, v10
	v_bfrev_b32_e32 v30, 1
	s_and_saveexec_b64 s[22:23], vcc
	s_cbranch_execz .LBB321_474
; %bb.471:                              ;   in Loop: Header=BB321_427 Depth=1
	v_and_b32_e32 v31, 0x7f, v10
	v_cmp_ne_u32_e32 vcc, s15, v31
	v_mov_b32_e32 v30, 0x7fc02000
	s_and_saveexec_b64 s[24:25], vcc
	s_cbranch_execz .LBB321_473
; %bb.472:                              ;   in Loop: Header=BB321_427 Depth=1
	v_and_b32_e32 v16, 7, v10
	v_ffbh_u32_e32 v36, v16
	v_min_u32_e32 v36, 32, v36
	v_lshrrev_b32_e32 v30, 3, v31
	v_subrev_u32_e32 v37, 28, v36
	v_sub_u32_e32 v36, 29, v36
	v_cmp_gt_u32_e32 vcc, 8, v31
	v_lshlrev_b64 v[52:53], v37, v[10:11]
	v_cndmask_b32_e32 v30, v30, v36, vcc
	v_and_b32_e32 v37, 7, v52
	v_lshlrev_b32_e32 v10, 8, v10
	v_lshl_add_u32 v30, v30, 10, v48
	v_cndmask_b32_e32 v16, v16, v37, vcc
	v_and_or_b32 v10, v10, s19, v30
	v_lshl_or_b32 v10, v16, 7, v10
	v_cvt_f32_f16_e32 v30, v10
.LBB321_473:                            ;   in Loop: Header=BB321_427 Depth=1
	s_or_b64 exec, exec, s[24:25]
.LBB321_474:                            ;   in Loop: Header=BB321_427 Depth=1
	s_or_b64 exec, exec, s[22:23]
.LBB321_475:                            ;   in Loop: Header=BB321_427 Depth=1
	s_or_b64 exec, exec, s[4:5]
	v_pk_mul_f32 v[32:33], v[24:25], v[32:33] op_sel_hi:[0,1]
	v_pk_mul_f32 v[28:29], v[24:25], v[28:29] op_sel_hi:[0,1]
	v_cvt_f16_f32_e32 v10, v33
	v_cvt_f16_f32_e32 v16, v32
	;; [unrolled: 1-line block ×4, first 2 shown]
	v_accvgpr_read_b32 v32, a10
	v_pack_b32_f16 v16, v16, v10
	v_fma_mixlo_f16 v31, v24, v50, 0
	v_pack_b32_f16 v28, v28, v29
	v_perm_b32 v10, v28, v16, s29
	v_perm_b32 v28, v28, v16, s30
	v_fma_mixlo_f16 v16, v24, v51, 0
	v_lshlrev_b32_e32 v16, 16, v16
	v_fma_mixlo_f16 v29, v24, v35, 0
	v_or_b32_sdwa v29, v16, v29 dst_sel:DWORD dst_unused:UNUSED_PAD src0_sel:DWORD src1_sel:WORD_0
	v_fma_mixlo_f16 v16, v24, v30, 0
	v_lshlrev_b32_e32 v16, 16, v16
	v_cmp_eq_u32_e32 vcc, v38, v32
	v_or_b32_sdwa v24, v16, v31 dst_sel:DWORD dst_unused:UNUSED_PAD src0_sel:DWORD src1_sel:WORD_0
	v_add_u32_e32 v44, 1, v7
	v_or_b32_e32 v55, 3, v7
	v_or_b32_e32 v54, 2, v7
	v_or_b32_e32 v53, 5, v7
	v_or_b32_e32 v52, 4, v7
	v_or_b32_e32 v51, 7, v7
	v_or_b32_e32 v50, 6, v7
	s_and_saveexec_b64 s[22:23], vcc
	s_cbranch_execz .LBB321_477
; %bb.476:                              ;   in Loop: Header=BB321_427 Depth=1
	v_lshrrev_b32_e32 v16, 16, v28
	v_cmp_lt_i32_e64 s[4:5], v44, v17
	v_accvgpr_read_b32 v30, a8
	v_cndmask_b32_e64 v16, 0, v16, s[4:5]
	v_cmp_lt_i32_e64 s[4:5], v7, v30
	v_cndmask_b32_e64 v28, 0, v28, s[4:5]
	v_perm_b32 v28, v16, v28, s31
	v_lshrrev_b32_e32 v16, 16, v10
	v_cmp_lt_i32_e64 s[4:5], v55, v17
	v_cndmask_b32_e64 v16, 0, v16, s[4:5]
	v_cmp_lt_i32_e64 s[4:5], v54, v30
	v_cndmask_b32_e64 v10, 0, v10, s[4:5]
	v_perm_b32 v10, v16, v10, s31
	v_lshrrev_b32_e32 v16, 16, v29
	v_cmp_lt_i32_e64 s[4:5], v53, v17
	;; [unrolled: 6-line block ×3, first 2 shown]
	v_cndmask_b32_e64 v16, 0, v16, s[4:5]
	v_cmp_lt_i32_e64 s[4:5], v50, v30
	v_cndmask_b32_e64 v24, 0, v31, s[4:5]
	v_perm_b32 v24, v16, v24, s31
.LBB321_477:                            ;   in Loop: Header=BB321_427 Depth=1
	s_or_b64 exec, exec, s[22:23]
	v_and_b32_e32 v4, 0xffff, v4
	v_lshl_or_b32 v40, v5, 16, v4
	v_and_b32_e32 v4, 0xffff, v6
	v_lshl_or_b32 v41, v22, 16, v4
	;; [unrolled: 2-line block ×4, first 2 shown]
	;;#ASMSTART
	v_pk_mul_f16 v4, v40, v28;

	;;#ASMEND
	;;#ASMSTART
	v_pk_mul_f16 v5, v41, v10;

	;;#ASMEND
	;; [unrolled: 4-line block ×4, first 2 shown]
	;;#ASMSTART
	v_pk_add_f16 v4, v4, v5;

	;;#ASMEND
	;;#ASMSTART
	v_pk_add_f16 v4, v4, v6;

	;;#ASMEND
	;; [unrolled: 4-line block ×3, first 2 shown]
	v_lshrrev_b32_e32 v5, 16, v4
	v_and_b32_e32 v4, 0xffff, v4
	;;#ASMSTART
	v_cvt_f32_f16 v45, v4;
	;;#ASMEND
	;;#ASMSTART
	v_cvt_f32_f16 v46, v5;
	;;#ASMEND
	v_accvgpr_read_b32 v4, a4
	flat_load_dwordx2 v[32:33], v[18:19] offset:512
	v_accvgpr_read_b32 v5, a5
	flat_load_dword v24, v[4:5]
	v_mov_b32_e32 v30, 0
	v_mov_b32_e32 v28, 0
	s_waitcnt vmcnt(0) lgkmcnt(0)
	v_cmp_ne_u16_sdwa s[4:5], v32, v11 src0_sel:BYTE_0 src1_sel:DWORD
	s_and_saveexec_b64 s[22:23], s[4:5]
	s_cbranch_execz .LBB321_483
; %bb.478:                              ;   in Loop: Header=BB321_427 Depth=1
	v_cmp_ne_u16_sdwa s[4:5], v32, s7 src0_sel:BYTE_0 src1_sel:DWORD
	v_bfrev_b32_e32 v28, 1
	s_and_saveexec_b64 s[24:25], s[4:5]
	s_cbranch_execz .LBB321_482
; %bb.479:                              ;   in Loop: Header=BB321_427 Depth=1
	v_and_b32_e32 v4, 0x7f, v32
	v_cmp_ne_u32_e64 s[4:5], s15, v4
	v_mov_b32_e32 v28, 0x7fc02000
	s_and_saveexec_b64 s[26:27], s[4:5]
	s_cbranch_execz .LBB321_481
; %bb.480:                              ;   in Loop: Header=BB321_427 Depth=1
	v_and_b32_e32 v5, 7, v32
	v_ffbh_u32_e32 v5, v5
	v_min_u32_e32 v5, 32, v5
	v_subrev_u32_e32 v10, 28, v5
	v_cmp_gt_u32_e64 s[4:5], 8, v4
	v_lshrrev_b32_e32 v6, 3, v4
	v_cndmask_b32_e64 v4, 0, v10, s[4:5]
	v_sub_u32_e32 v16, 29, v5
	v_lshlrev_b64 v[4:5], v4, v[32:33]
	v_cndmask_b32_e64 v5, v6, v16, s[4:5]
	v_lshlrev_b32_e32 v6, 8, v32
	v_lshl_add_u32 v5, v5, 10, v48
	v_lshlrev_b32_e32 v4, 7, v4
	v_and_or_b32 v5, v6, s19, v5
	v_and_or_b32 v4, v4, s28, v5
	v_cvt_f32_f16_e32 v28, v4
.LBB321_481:                            ;   in Loop: Header=BB321_427 Depth=1
	s_or_b64 exec, exec, s[26:27]
.LBB321_482:                            ;   in Loop: Header=BB321_427 Depth=1
	s_or_b64 exec, exec, s[24:25]
.LBB321_483:                            ;   in Loop: Header=BB321_427 Depth=1
	s_or_b64 exec, exec, s[22:23]
	v_lshrrev_b16_e32 v10, 8, v32
	v_cmp_ne_u16_e64 s[4:5], 0, v10
	s_and_saveexec_b64 s[22:23], s[4:5]
	s_cbranch_execz .LBB321_489
; %bb.484:                              ;   in Loop: Header=BB321_427 Depth=1
	v_cmp_ne_u16_e64 s[4:5], s7, v10
	v_bfrev_b32_e32 v30, 1
	s_and_saveexec_b64 s[24:25], s[4:5]
	s_cbranch_execz .LBB321_488
; %bb.485:                              ;   in Loop: Header=BB321_427 Depth=1
	v_and_b32_e32 v4, 0x7f, v10
	v_cmp_ne_u32_e64 s[4:5], s15, v4
	v_mov_b32_e32 v30, 0x7fc02000
	s_and_saveexec_b64 s[26:27], s[4:5]
	s_cbranch_execz .LBB321_487
; %bb.486:                              ;   in Loop: Header=BB321_427 Depth=1
	v_and_b32_e32 v5, 7, v10
	v_ffbh_u32_e32 v16, v5
	v_min_u32_e32 v16, 32, v16
	v_lshrrev_b32_e32 v6, 3, v4
	v_subrev_u32_e32 v22, 28, v16
	v_sub_u32_e32 v16, 29, v16
	v_cmp_gt_u32_e64 s[4:5], 8, v4
	v_lshlrev_b64 v[26:27], v22, v[10:11]
	v_cndmask_b32_e64 v4, v6, v16, s[4:5]
	v_and_b32_e32 v22, 7, v26
	v_lshlrev_b32_e32 v6, 8, v10
	v_lshl_add_u32 v4, v4, 10, v48
	v_cndmask_b32_e64 v5, v5, v22, s[4:5]
	v_and_or_b32 v4, v6, s19, v4
	v_lshl_or_b32 v4, v5, 7, v4
	v_cvt_f32_f16_e32 v30, v4
.LBB321_487:                            ;   in Loop: Header=BB321_427 Depth=1
	s_or_b64 exec, exec, s[26:27]
.LBB321_488:                            ;   in Loop: Header=BB321_427 Depth=1
	s_or_b64 exec, exec, s[24:25]
.LBB321_489:                            ;   in Loop: Header=BB321_427 Depth=1
	s_or_b64 exec, exec, s[22:23]
	v_lshrrev_b32_e32 v10, 16, v32
	v_cmp_ne_u16_sdwa s[4:5], v10, v11 src0_sel:BYTE_0 src1_sel:DWORD
	v_mov_b32_e32 v31, 0
	v_mov_b32_e32 v29, 0
	s_and_saveexec_b64 s[22:23], s[4:5]
	s_cbranch_execz .LBB321_495
; %bb.490:                              ;   in Loop: Header=BB321_427 Depth=1
	v_cmp_ne_u16_sdwa s[4:5], v10, s7 src0_sel:BYTE_0 src1_sel:DWORD
	v_bfrev_b32_e32 v29, 1
	s_and_saveexec_b64 s[24:25], s[4:5]
	s_cbranch_execz .LBB321_494
; %bb.491:                              ;   in Loop: Header=BB321_427 Depth=1
	v_bfe_u32 v4, v32, 16, 7
	v_cmp_ne_u32_e64 s[4:5], s15, v4
	v_mov_b32_e32 v29, 0x7fc02000
	s_and_saveexec_b64 s[26:27], s[4:5]
	s_cbranch_execz .LBB321_493
; %bb.492:                              ;   in Loop: Header=BB321_427 Depth=1
	v_and_b32_e32 v5, 7, v10
	v_ffbh_u32_e32 v16, v5
	v_min_u32_e32 v16, 32, v16
	v_lshrrev_b32_e32 v6, 3, v4
	v_subrev_u32_e32 v22, 28, v16
	v_sub_u32_e32 v16, 29, v16
	v_cmp_gt_u32_e64 s[4:5], 8, v4
	v_lshlrev_b64 v[26:27], v22, v[10:11]
	v_cndmask_b32_e64 v4, v6, v16, s[4:5]
	v_and_b32_e32 v22, 7, v26
	v_lshlrev_b32_e32 v6, 8, v10
	v_lshl_add_u32 v4, v4, 10, v48
	v_cndmask_b32_e64 v5, v5, v22, s[4:5]
	v_and_or_b32 v4, v6, s19, v4
	v_lshl_or_b32 v4, v5, 7, v4
	v_cvt_f32_f16_e32 v29, v4
.LBB321_493:                            ;   in Loop: Header=BB321_427 Depth=1
	s_or_b64 exec, exec, s[26:27]
.LBB321_494:                            ;   in Loop: Header=BB321_427 Depth=1
	s_or_b64 exec, exec, s[24:25]
.LBB321_495:                            ;   in Loop: Header=BB321_427 Depth=1
	s_or_b64 exec, exec, s[22:23]
	v_cmp_lt_u32_e64 s[4:5], s11, v32
	s_and_saveexec_b64 s[22:23], s[4:5]
	s_cbranch_execz .LBB321_501
; %bb.496:                              ;   in Loop: Header=BB321_427 Depth=1
	v_lshrrev_b32_e32 v10, 24, v32
	v_cmp_ne_u32_e64 s[4:5], s7, v10
	v_bfrev_b32_e32 v31, 1
	s_and_saveexec_b64 s[24:25], s[4:5]
	s_cbranch_execz .LBB321_500
; %bb.497:                              ;   in Loop: Header=BB321_427 Depth=1
	v_and_b32_e32 v4, 0x7f, v10
	v_cmp_ne_u32_e64 s[4:5], s15, v4
	v_mov_b32_e32 v31, 0x7fc02000
	s_and_saveexec_b64 s[26:27], s[4:5]
	s_cbranch_execz .LBB321_499
; %bb.498:                              ;   in Loop: Header=BB321_427 Depth=1
	v_and_b32_e32 v5, 7, v10
	v_ffbh_u32_e32 v16, v5
	v_min_u32_e32 v16, 32, v16
	v_lshrrev_b32_e32 v6, 3, v4
	v_subrev_u32_e32 v22, 28, v16
	v_sub_u32_e32 v16, 29, v16
	v_cmp_gt_u32_e64 s[4:5], 8, v4
	v_lshlrev_b64 v[26:27], v22, v[10:11]
	v_cndmask_b32_e64 v4, v6, v16, s[4:5]
	v_and_b32_e32 v22, 7, v26
	v_lshlrev_b32_e32 v6, 8, v10
	v_lshl_add_u32 v4, v4, 10, v48
	v_cndmask_b32_e64 v5, v5, v22, s[4:5]
	v_and_or_b32 v4, v6, s19, v4
	v_lshl_or_b32 v4, v5, 7, v4
	v_cvt_f32_f16_e32 v31, v4
.LBB321_499:                            ;   in Loop: Header=BB321_427 Depth=1
	s_or_b64 exec, exec, s[26:27]
.LBB321_500:                            ;   in Loop: Header=BB321_427 Depth=1
	s_or_b64 exec, exec, s[24:25]
.LBB321_501:                            ;   in Loop: Header=BB321_427 Depth=1
	s_or_b64 exec, exec, s[22:23]
	v_mov_b32_e32 v10, v33
	v_cmp_ne_u16_sdwa s[4:5], v33, v11 src0_sel:BYTE_0 src1_sel:DWORD
	v_mov_b32_e32 v5, 0
	v_mov_b32_e32 v4, 0
	s_and_saveexec_b64 s[22:23], s[4:5]
	s_cbranch_execz .LBB321_507
; %bb.502:                              ;   in Loop: Header=BB321_427 Depth=1
	v_cmp_ne_u16_sdwa s[4:5], v33, s7 src0_sel:BYTE_0 src1_sel:DWORD
	v_bfrev_b32_e32 v4, 1
	s_and_saveexec_b64 s[24:25], s[4:5]
	s_cbranch_execz .LBB321_506
; %bb.503:                              ;   in Loop: Header=BB321_427 Depth=1
	v_and_b32_e32 v6, 0x7f, v33
	v_cmp_ne_u32_e64 s[4:5], s15, v6
	v_mov_b32_e32 v4, 0x7fc02000
	s_and_saveexec_b64 s[26:27], s[4:5]
	s_cbranch_execz .LBB321_505
; %bb.504:                              ;   in Loop: Header=BB321_427 Depth=1
	v_and_b32_e32 v4, 7, v33
	v_ffbh_u32_e32 v4, v4
	v_min_u32_e32 v4, 32, v4
	v_lshrrev_b32_e32 v16, 3, v6
	v_subrev_u32_e32 v22, 28, v4
	v_sub_u32_e32 v4, 29, v4
	v_cmp_gt_u32_e64 s[4:5], 8, v6
	v_cndmask_b32_e64 v6, 0, v22, s[4:5]
	v_cndmask_b32_e64 v4, v16, v4, s[4:5]
	v_lshlrev_b64 v[26:27], v6, v[10:11]
	v_lshlrev_b32_e32 v16, 8, v33
	v_lshl_add_u32 v4, v4, 10, v48
	v_lshlrev_b32_e32 v6, 7, v26
	v_and_or_b32 v4, v16, s19, v4
	v_and_or_b32 v4, v6, s28, v4
	v_cvt_f32_f16_e32 v4, v4
.LBB321_505:                            ;   in Loop: Header=BB321_427 Depth=1
	s_or_b64 exec, exec, s[26:27]
.LBB321_506:                            ;   in Loop: Header=BB321_427 Depth=1
	s_or_b64 exec, exec, s[24:25]
.LBB321_507:                            ;   in Loop: Header=BB321_427 Depth=1
	s_or_b64 exec, exec, s[22:23]
	v_lshrrev_b16_e32 v10, 8, v10
	v_cmp_ne_u16_e64 s[4:5], 0, v10
	s_and_saveexec_b64 s[22:23], s[4:5]
	s_cbranch_execz .LBB321_513
; %bb.508:                              ;   in Loop: Header=BB321_427 Depth=1
	v_cmp_ne_u16_e64 s[4:5], s7, v10
	v_bfrev_b32_e32 v5, 1
	s_and_saveexec_b64 s[24:25], s[4:5]
	s_cbranch_execz .LBB321_512
; %bb.509:                              ;   in Loop: Header=BB321_427 Depth=1
	v_and_b32_e32 v6, 0x7f, v10
	v_cmp_ne_u32_e64 s[4:5], s15, v6
	v_mov_b32_e32 v5, 0x7fc02000
	s_and_saveexec_b64 s[26:27], s[4:5]
	s_cbranch_execz .LBB321_511
; %bb.510:                              ;   in Loop: Header=BB321_427 Depth=1
	v_and_b32_e32 v5, 7, v10
	v_ffbh_u32_e32 v22, v5
	v_min_u32_e32 v22, 32, v22
	v_lshrrev_b32_e32 v16, 3, v6
	v_subrev_u32_e32 v25, 28, v22
	v_sub_u32_e32 v22, 29, v22
	v_cmp_gt_u32_e64 s[4:5], 8, v6
	v_lshlrev_b64 v[26:27], v25, v[10:11]
	v_cndmask_b32_e64 v6, v16, v22, s[4:5]
	v_and_b32_e32 v25, 7, v26
	v_lshlrev_b32_e32 v10, 8, v10
	v_lshl_add_u32 v6, v6, 10, v48
	v_cndmask_b32_e64 v5, v5, v25, s[4:5]
	v_and_or_b32 v6, v10, s19, v6
	v_lshl_or_b32 v5, v5, 7, v6
	v_cvt_f32_f16_e32 v5, v5
.LBB321_511:                            ;   in Loop: Header=BB321_427 Depth=1
	s_or_b64 exec, exec, s[26:27]
.LBB321_512:                            ;   in Loop: Header=BB321_427 Depth=1
	s_or_b64 exec, exec, s[24:25]
.LBB321_513:                            ;   in Loop: Header=BB321_427 Depth=1
	s_or_b64 exec, exec, s[22:23]
	v_lshrrev_b32_e32 v10, 16, v33
	v_cmp_ne_u16_sdwa s[4:5], v10, v11 src0_sel:BYTE_0 src1_sel:DWORD
	v_mov_b32_e32 v6, 0
	v_mov_b32_e32 v22, 0
	s_and_saveexec_b64 s[22:23], s[4:5]
	s_cbranch_execz .LBB321_519
; %bb.514:                              ;   in Loop: Header=BB321_427 Depth=1
	v_cmp_ne_u16_sdwa s[4:5], v10, s7 src0_sel:BYTE_0 src1_sel:DWORD
	v_bfrev_b32_e32 v22, 1
	s_and_saveexec_b64 s[24:25], s[4:5]
	s_cbranch_execz .LBB321_518
; %bb.515:                              ;   in Loop: Header=BB321_427 Depth=1
	v_bfe_u32 v25, v33, 16, 7
	v_cmp_ne_u32_e64 s[4:5], s15, v25
	v_mov_b32_e32 v22, 0x7fc02000
	s_and_saveexec_b64 s[26:27], s[4:5]
	s_cbranch_execz .LBB321_517
; %bb.516:                              ;   in Loop: Header=BB321_427 Depth=1
	v_and_b32_e32 v16, 7, v10
	v_ffbh_u32_e32 v26, v16
	v_min_u32_e32 v34, 32, v26
	v_subrev_u32_e32 v26, 28, v34
	v_lshlrev_b64 v[26:27], v26, v[10:11]
	v_lshrrev_b32_e32 v22, 3, v25
	v_sub_u32_e32 v27, 29, v34
	v_cmp_gt_u32_e64 s[4:5], 8, v25
	v_cndmask_b32_e64 v22, v22, v27, s[4:5]
	v_and_b32_e32 v26, 7, v26
	v_lshlrev_b32_e32 v10, 8, v10
	v_lshl_add_u32 v22, v22, 10, v48
	v_cndmask_b32_e64 v16, v16, v26, s[4:5]
	v_and_or_b32 v10, v10, s19, v22
	v_lshl_or_b32 v10, v16, 7, v10
	v_cvt_f32_f16_e32 v22, v10
.LBB321_517:                            ;   in Loop: Header=BB321_427 Depth=1
	s_or_b64 exec, exec, s[26:27]
.LBB321_518:                            ;   in Loop: Header=BB321_427 Depth=1
	s_or_b64 exec, exec, s[24:25]
.LBB321_519:                            ;   in Loop: Header=BB321_427 Depth=1
	s_or_b64 exec, exec, s[22:23]
	v_cmp_lt_u64_e64 s[4:5], s[10:11], v[32:33]
	s_and_saveexec_b64 s[22:23], s[4:5]
	s_cbranch_execz .LBB321_525
; %bb.520:                              ;   in Loop: Header=BB321_427 Depth=1
	v_lshrrev_b32_e32 v10, 24, v33
	v_cmp_ne_u32_e64 s[4:5], s7, v10
	v_bfrev_b32_e32 v6, 1
	s_and_saveexec_b64 s[24:25], s[4:5]
	s_cbranch_execz .LBB321_524
; %bb.521:                              ;   in Loop: Header=BB321_427 Depth=1
	v_and_b32_e32 v25, 0x7f, v10
	v_cmp_ne_u32_e64 s[4:5], s15, v25
	v_mov_b32_e32 v6, 0x7fc02000
	s_and_saveexec_b64 s[26:27], s[4:5]
	s_cbranch_execz .LBB321_523
; %bb.522:                              ;   in Loop: Header=BB321_427 Depth=1
	v_and_b32_e32 v6, 7, v10
	v_ffbh_u32_e32 v26, v6
	v_min_u32_e32 v32, 32, v26
	v_subrev_u32_e32 v26, 28, v32
	v_lshlrev_b64 v[26:27], v26, v[10:11]
	v_lshrrev_b32_e32 v16, 3, v25
	v_sub_u32_e32 v27, 29, v32
	v_cmp_gt_u32_e64 s[4:5], 8, v25
	v_cndmask_b32_e64 v16, v16, v27, s[4:5]
	v_and_b32_e32 v26, 7, v26
	v_lshlrev_b32_e32 v10, 8, v10
	v_lshl_add_u32 v16, v16, 10, v48
	v_cndmask_b32_e64 v6, v6, v26, s[4:5]
	v_and_or_b32 v10, v10, s19, v16
	v_lshl_or_b32 v6, v6, 7, v10
	v_cvt_f32_f16_e32 v6, v6
.LBB321_523:                            ;   in Loop: Header=BB321_427 Depth=1
	s_or_b64 exec, exec, s[26:27]
.LBB321_524:                            ;   in Loop: Header=BB321_427 Depth=1
	s_or_b64 exec, exec, s[24:25]
.LBB321_525:                            ;   in Loop: Header=BB321_427 Depth=1
	s_or_b64 exec, exec, s[22:23]
	v_pk_mul_f32 v[26:27], v[24:25], v[30:31] op_sel_hi:[0,1]
	v_pk_mul_f32 v[28:29], v[24:25], v[28:29] op_sel_hi:[0,1]
	v_cvt_f16_f32_e32 v10, v27
	v_cvt_f16_f32_e32 v16, v26
	;; [unrolled: 1-line block ×4, first 2 shown]
	v_fma_mixlo_f16 v5, v24, v5, 0
	v_lshlrev_b32_e32 v5, 16, v5
	v_fma_mixlo_f16 v4, v24, v4, 0
	v_or_b32_sdwa v4, v5, v4 dst_sel:DWORD dst_unused:UNUSED_PAD src0_sel:DWORD src1_sel:WORD_0
	v_fma_mixlo_f16 v5, v24, v6, 0
	v_pack_b32_f16 v16, v16, v10
	v_pack_b32_f16 v25, v26, v25
	v_fma_mixlo_f16 v22, v24, v22, 0
	v_lshlrev_b32_e32 v5, 16, v5
	v_perm_b32 v10, v25, v16, s29
	v_perm_b32 v25, v25, v16, s30
	v_or_b32_sdwa v5, v5, v22 dst_sel:DWORD dst_unused:UNUSED_PAD src0_sel:DWORD src1_sel:WORD_0
	s_and_saveexec_b64 s[22:23], vcc
	s_cbranch_execz .LBB321_527
; %bb.526:                              ;   in Loop: Header=BB321_427 Depth=1
	v_lshrrev_b32_e32 v6, 16, v25
	v_cmp_lt_i32_e64 s[4:5], v44, v17
	v_accvgpr_read_b32 v24, a8
	v_cndmask_b32_e64 v6, 0, v6, s[4:5]
	v_cmp_lt_i32_e64 s[4:5], v7, v24
	v_cndmask_b32_e64 v16, 0, v25, s[4:5]
	v_perm_b32 v25, v6, v16, s31
	v_lshrrev_b32_e32 v6, 16, v10
	v_cmp_lt_i32_e64 s[4:5], v55, v17
	v_cndmask_b32_e64 v6, 0, v6, s[4:5]
	v_cmp_lt_i32_e64 s[4:5], v54, v24
	v_cndmask_b32_e64 v10, 0, v10, s[4:5]
	v_perm_b32 v10, v6, v10, s31
	v_lshrrev_b32_e32 v6, 16, v4
	v_cmp_lt_i32_e64 s[4:5], v53, v17
	v_cndmask_b32_e64 v6, 0, v6, s[4:5]
	v_cmp_lt_i32_e64 s[4:5], v52, v24
	v_cndmask_b32_e64 v4, 0, v4, s[4:5]
	v_lshrrev_b32_e32 v5, 16, v5
	v_cmp_lt_i32_e64 s[4:5], v51, v17
	v_cndmask_b32_e64 v5, 0, v5, s[4:5]
	v_cmp_lt_i32_e64 s[4:5], v50, v24
	v_perm_b32 v4, v6, v4, s31
	v_cndmask_b32_e64 v6, 0, v22, s[4:5]
	v_perm_b32 v5, v5, v6, s31
.LBB321_527:                            ;   in Loop: Header=BB321_427 Depth=1
	s_or_b64 exec, exec, s[22:23]
	;;#ASMSTART
	v_pk_mul_f16 v6, v40, v25;

	;;#ASMEND
	;;#ASMSTART
	v_pk_mul_f16 v10, v41, v10;

	;;#ASMEND
	;; [unrolled: 4-line block ×4, first 2 shown]
	;;#ASMSTART
	v_pk_add_f16 v6, v6, v10;

	;;#ASMEND
	;;#ASMSTART
	v_pk_add_f16 v4, v6, v4;

	;;#ASMEND
	;; [unrolled: 4-line block ×3, first 2 shown]
	v_lshrrev_b32_e32 v5, 16, v4
	v_and_b32_e32 v4, 0xffff, v4
	;;#ASMSTART
	v_cvt_f32_f16 v47, v4;
	;;#ASMEND
	;;#ASMSTART
	v_cvt_f32_f16 v56, v5;
	;;#ASMEND
	v_accvgpr_read_b32 v4, a4
	flat_load_dwordx2 v[32:33], v[18:19] offset:1024
	v_accvgpr_read_b32 v5, a5
	flat_load_dword v24, v[4:5]
	v_mov_b32_e32 v30, 0
	v_mov_b32_e32 v28, 0
	s_waitcnt vmcnt(0) lgkmcnt(0)
	v_cmp_ne_u16_sdwa s[4:5], v32, v11 src0_sel:BYTE_0 src1_sel:DWORD
	s_and_saveexec_b64 s[22:23], s[4:5]
	s_cbranch_execz .LBB321_533
; %bb.528:                              ;   in Loop: Header=BB321_427 Depth=1
	v_cmp_ne_u16_sdwa s[4:5], v32, s7 src0_sel:BYTE_0 src1_sel:DWORD
	v_bfrev_b32_e32 v28, 1
	s_and_saveexec_b64 s[24:25], s[4:5]
	s_cbranch_execz .LBB321_532
; %bb.529:                              ;   in Loop: Header=BB321_427 Depth=1
	v_and_b32_e32 v4, 0x7f, v32
	v_cmp_ne_u32_e64 s[4:5], s15, v4
	v_mov_b32_e32 v28, 0x7fc02000
	s_and_saveexec_b64 s[26:27], s[4:5]
	s_cbranch_execz .LBB321_531
; %bb.530:                              ;   in Loop: Header=BB321_427 Depth=1
	v_and_b32_e32 v5, 7, v32
	v_ffbh_u32_e32 v5, v5
	v_min_u32_e32 v5, 32, v5
	v_subrev_u32_e32 v10, 28, v5
	v_cmp_gt_u32_e64 s[4:5], 8, v4
	v_lshrrev_b32_e32 v6, 3, v4
	v_cndmask_b32_e64 v4, 0, v10, s[4:5]
	v_sub_u32_e32 v16, 29, v5
	v_lshlrev_b64 v[4:5], v4, v[32:33]
	v_cndmask_b32_e64 v5, v6, v16, s[4:5]
	v_lshlrev_b32_e32 v6, 8, v32
	v_lshl_add_u32 v5, v5, 10, v48
	v_lshlrev_b32_e32 v4, 7, v4
	v_and_or_b32 v5, v6, s19, v5
	v_and_or_b32 v4, v4, s28, v5
	v_cvt_f32_f16_e32 v28, v4
.LBB321_531:                            ;   in Loop: Header=BB321_427 Depth=1
	s_or_b64 exec, exec, s[26:27]
.LBB321_532:                            ;   in Loop: Header=BB321_427 Depth=1
	s_or_b64 exec, exec, s[24:25]
.LBB321_533:                            ;   in Loop: Header=BB321_427 Depth=1
	s_or_b64 exec, exec, s[22:23]
	v_lshrrev_b16_e32 v10, 8, v32
	v_cmp_ne_u16_e64 s[4:5], 0, v10
	s_and_saveexec_b64 s[22:23], s[4:5]
	s_cbranch_execz .LBB321_539
; %bb.534:                              ;   in Loop: Header=BB321_427 Depth=1
	v_cmp_ne_u16_e64 s[4:5], s7, v10
	v_bfrev_b32_e32 v30, 1
	s_and_saveexec_b64 s[24:25], s[4:5]
	s_cbranch_execz .LBB321_538
; %bb.535:                              ;   in Loop: Header=BB321_427 Depth=1
	v_and_b32_e32 v4, 0x7f, v10
	v_cmp_ne_u32_e64 s[4:5], s15, v4
	v_mov_b32_e32 v30, 0x7fc02000
	s_and_saveexec_b64 s[26:27], s[4:5]
	s_cbranch_execz .LBB321_537
; %bb.536:                              ;   in Loop: Header=BB321_427 Depth=1
	v_and_b32_e32 v5, 7, v10
	v_ffbh_u32_e32 v16, v5
	v_min_u32_e32 v16, 32, v16
	v_lshrrev_b32_e32 v6, 3, v4
	v_subrev_u32_e32 v22, 28, v16
	v_sub_u32_e32 v16, 29, v16
	v_cmp_gt_u32_e64 s[4:5], 8, v4
	v_lshlrev_b64 v[26:27], v22, v[10:11]
	v_cndmask_b32_e64 v4, v6, v16, s[4:5]
	v_and_b32_e32 v22, 7, v26
	v_lshlrev_b32_e32 v6, 8, v10
	v_lshl_add_u32 v4, v4, 10, v48
	v_cndmask_b32_e64 v5, v5, v22, s[4:5]
	v_and_or_b32 v4, v6, s19, v4
	v_lshl_or_b32 v4, v5, 7, v4
	v_cvt_f32_f16_e32 v30, v4
.LBB321_537:                            ;   in Loop: Header=BB321_427 Depth=1
	s_or_b64 exec, exec, s[26:27]
.LBB321_538:                            ;   in Loop: Header=BB321_427 Depth=1
	s_or_b64 exec, exec, s[24:25]
.LBB321_539:                            ;   in Loop: Header=BB321_427 Depth=1
	s_or_b64 exec, exec, s[22:23]
	v_lshrrev_b32_e32 v10, 16, v32
	v_cmp_ne_u16_sdwa s[4:5], v10, v11 src0_sel:BYTE_0 src1_sel:DWORD
	v_mov_b32_e32 v31, 0
	v_mov_b32_e32 v29, 0
	s_and_saveexec_b64 s[22:23], s[4:5]
	s_cbranch_execz .LBB321_545
; %bb.540:                              ;   in Loop: Header=BB321_427 Depth=1
	v_cmp_ne_u16_sdwa s[4:5], v10, s7 src0_sel:BYTE_0 src1_sel:DWORD
	v_bfrev_b32_e32 v29, 1
	s_and_saveexec_b64 s[24:25], s[4:5]
	s_cbranch_execz .LBB321_544
; %bb.541:                              ;   in Loop: Header=BB321_427 Depth=1
	v_bfe_u32 v4, v32, 16, 7
	v_cmp_ne_u32_e64 s[4:5], s15, v4
	v_mov_b32_e32 v29, 0x7fc02000
	s_and_saveexec_b64 s[26:27], s[4:5]
	s_cbranch_execz .LBB321_543
; %bb.542:                              ;   in Loop: Header=BB321_427 Depth=1
	v_and_b32_e32 v5, 7, v10
	v_ffbh_u32_e32 v16, v5
	v_min_u32_e32 v16, 32, v16
	v_lshrrev_b32_e32 v6, 3, v4
	v_subrev_u32_e32 v22, 28, v16
	v_sub_u32_e32 v16, 29, v16
	v_cmp_gt_u32_e64 s[4:5], 8, v4
	v_lshlrev_b64 v[26:27], v22, v[10:11]
	v_cndmask_b32_e64 v4, v6, v16, s[4:5]
	v_and_b32_e32 v22, 7, v26
	v_lshlrev_b32_e32 v6, 8, v10
	v_lshl_add_u32 v4, v4, 10, v48
	v_cndmask_b32_e64 v5, v5, v22, s[4:5]
	v_and_or_b32 v4, v6, s19, v4
	v_lshl_or_b32 v4, v5, 7, v4
	v_cvt_f32_f16_e32 v29, v4
.LBB321_543:                            ;   in Loop: Header=BB321_427 Depth=1
	s_or_b64 exec, exec, s[26:27]
.LBB321_544:                            ;   in Loop: Header=BB321_427 Depth=1
	s_or_b64 exec, exec, s[24:25]
.LBB321_545:                            ;   in Loop: Header=BB321_427 Depth=1
	s_or_b64 exec, exec, s[22:23]
	v_cmp_lt_u32_e64 s[4:5], s11, v32
	s_and_saveexec_b64 s[22:23], s[4:5]
	s_cbranch_execz .LBB321_551
; %bb.546:                              ;   in Loop: Header=BB321_427 Depth=1
	v_lshrrev_b32_e32 v10, 24, v32
	v_cmp_ne_u32_e64 s[4:5], s7, v10
	v_bfrev_b32_e32 v31, 1
	s_and_saveexec_b64 s[24:25], s[4:5]
	s_cbranch_execz .LBB321_550
; %bb.547:                              ;   in Loop: Header=BB321_427 Depth=1
	v_and_b32_e32 v4, 0x7f, v10
	v_cmp_ne_u32_e64 s[4:5], s15, v4
	v_mov_b32_e32 v31, 0x7fc02000
	s_and_saveexec_b64 s[26:27], s[4:5]
	s_cbranch_execz .LBB321_549
; %bb.548:                              ;   in Loop: Header=BB321_427 Depth=1
	v_and_b32_e32 v5, 7, v10
	v_ffbh_u32_e32 v16, v5
	v_min_u32_e32 v16, 32, v16
	v_lshrrev_b32_e32 v6, 3, v4
	v_subrev_u32_e32 v22, 28, v16
	v_sub_u32_e32 v16, 29, v16
	v_cmp_gt_u32_e64 s[4:5], 8, v4
	v_lshlrev_b64 v[26:27], v22, v[10:11]
	v_cndmask_b32_e64 v4, v6, v16, s[4:5]
	v_and_b32_e32 v22, 7, v26
	v_lshlrev_b32_e32 v6, 8, v10
	v_lshl_add_u32 v4, v4, 10, v48
	v_cndmask_b32_e64 v5, v5, v22, s[4:5]
	v_and_or_b32 v4, v6, s19, v4
	v_lshl_or_b32 v4, v5, 7, v4
	v_cvt_f32_f16_e32 v31, v4
.LBB321_549:                            ;   in Loop: Header=BB321_427 Depth=1
	s_or_b64 exec, exec, s[26:27]
.LBB321_550:                            ;   in Loop: Header=BB321_427 Depth=1
	s_or_b64 exec, exec, s[24:25]
.LBB321_551:                            ;   in Loop: Header=BB321_427 Depth=1
	s_or_b64 exec, exec, s[22:23]
	v_mov_b32_e32 v10, v33
	v_cmp_ne_u16_sdwa s[4:5], v33, v11 src0_sel:BYTE_0 src1_sel:DWORD
	v_mov_b32_e32 v5, 0
	v_mov_b32_e32 v4, 0
	s_and_saveexec_b64 s[22:23], s[4:5]
	s_cbranch_execz .LBB321_557
; %bb.552:                              ;   in Loop: Header=BB321_427 Depth=1
	v_cmp_ne_u16_sdwa s[4:5], v33, s7 src0_sel:BYTE_0 src1_sel:DWORD
	v_bfrev_b32_e32 v4, 1
	s_and_saveexec_b64 s[24:25], s[4:5]
	s_cbranch_execz .LBB321_556
; %bb.553:                              ;   in Loop: Header=BB321_427 Depth=1
	v_and_b32_e32 v6, 0x7f, v33
	v_cmp_ne_u32_e64 s[4:5], s15, v6
	v_mov_b32_e32 v4, 0x7fc02000
	s_and_saveexec_b64 s[26:27], s[4:5]
	s_cbranch_execz .LBB321_555
; %bb.554:                              ;   in Loop: Header=BB321_427 Depth=1
	v_and_b32_e32 v4, 7, v33
	v_ffbh_u32_e32 v4, v4
	v_min_u32_e32 v4, 32, v4
	v_lshrrev_b32_e32 v16, 3, v6
	v_subrev_u32_e32 v22, 28, v4
	v_sub_u32_e32 v4, 29, v4
	v_cmp_gt_u32_e64 s[4:5], 8, v6
	v_cndmask_b32_e64 v6, 0, v22, s[4:5]
	v_cndmask_b32_e64 v4, v16, v4, s[4:5]
	v_lshlrev_b64 v[26:27], v6, v[10:11]
	v_lshlrev_b32_e32 v16, 8, v33
	v_lshl_add_u32 v4, v4, 10, v48
	v_lshlrev_b32_e32 v6, 7, v26
	v_and_or_b32 v4, v16, s19, v4
	v_and_or_b32 v4, v6, s28, v4
	v_cvt_f32_f16_e32 v4, v4
.LBB321_555:                            ;   in Loop: Header=BB321_427 Depth=1
	s_or_b64 exec, exec, s[26:27]
.LBB321_556:                            ;   in Loop: Header=BB321_427 Depth=1
	s_or_b64 exec, exec, s[24:25]
.LBB321_557:                            ;   in Loop: Header=BB321_427 Depth=1
	s_or_b64 exec, exec, s[22:23]
	v_lshrrev_b16_e32 v10, 8, v10
	v_cmp_ne_u16_e64 s[4:5], 0, v10
	s_and_saveexec_b64 s[22:23], s[4:5]
	s_cbranch_execz .LBB321_563
; %bb.558:                              ;   in Loop: Header=BB321_427 Depth=1
	v_cmp_ne_u16_e64 s[4:5], s7, v10
	v_bfrev_b32_e32 v5, 1
	s_and_saveexec_b64 s[24:25], s[4:5]
	s_cbranch_execz .LBB321_562
; %bb.559:                              ;   in Loop: Header=BB321_427 Depth=1
	v_and_b32_e32 v6, 0x7f, v10
	v_cmp_ne_u32_e64 s[4:5], s15, v6
	v_mov_b32_e32 v5, 0x7fc02000
	s_and_saveexec_b64 s[26:27], s[4:5]
	s_cbranch_execz .LBB321_561
; %bb.560:                              ;   in Loop: Header=BB321_427 Depth=1
	v_and_b32_e32 v5, 7, v10
	v_ffbh_u32_e32 v22, v5
	v_min_u32_e32 v22, 32, v22
	v_lshrrev_b32_e32 v16, 3, v6
	v_subrev_u32_e32 v25, 28, v22
	v_sub_u32_e32 v22, 29, v22
	v_cmp_gt_u32_e64 s[4:5], 8, v6
	v_lshlrev_b64 v[26:27], v25, v[10:11]
	v_cndmask_b32_e64 v6, v16, v22, s[4:5]
	v_and_b32_e32 v25, 7, v26
	v_lshlrev_b32_e32 v10, 8, v10
	v_lshl_add_u32 v6, v6, 10, v48
	v_cndmask_b32_e64 v5, v5, v25, s[4:5]
	v_and_or_b32 v6, v10, s19, v6
	v_lshl_or_b32 v5, v5, 7, v6
	v_cvt_f32_f16_e32 v5, v5
.LBB321_561:                            ;   in Loop: Header=BB321_427 Depth=1
	s_or_b64 exec, exec, s[26:27]
.LBB321_562:                            ;   in Loop: Header=BB321_427 Depth=1
	s_or_b64 exec, exec, s[24:25]
.LBB321_563:                            ;   in Loop: Header=BB321_427 Depth=1
	s_or_b64 exec, exec, s[22:23]
	v_lshrrev_b32_e32 v10, 16, v33
	v_cmp_ne_u16_sdwa s[4:5], v10, v11 src0_sel:BYTE_0 src1_sel:DWORD
	v_mov_b32_e32 v6, 0
	v_mov_b32_e32 v22, 0
	s_and_saveexec_b64 s[22:23], s[4:5]
	s_cbranch_execz .LBB321_569
; %bb.564:                              ;   in Loop: Header=BB321_427 Depth=1
	v_cmp_ne_u16_sdwa s[4:5], v10, s7 src0_sel:BYTE_0 src1_sel:DWORD
	v_bfrev_b32_e32 v22, 1
	s_and_saveexec_b64 s[24:25], s[4:5]
	s_cbranch_execz .LBB321_568
; %bb.565:                              ;   in Loop: Header=BB321_427 Depth=1
	v_bfe_u32 v25, v33, 16, 7
	v_cmp_ne_u32_e64 s[4:5], s15, v25
	v_mov_b32_e32 v22, 0x7fc02000
	s_and_saveexec_b64 s[26:27], s[4:5]
	s_cbranch_execz .LBB321_567
; %bb.566:                              ;   in Loop: Header=BB321_427 Depth=1
	v_and_b32_e32 v16, 7, v10
	v_ffbh_u32_e32 v26, v16
	v_min_u32_e32 v34, 32, v26
	v_subrev_u32_e32 v26, 28, v34
	v_lshlrev_b64 v[26:27], v26, v[10:11]
	v_lshrrev_b32_e32 v22, 3, v25
	v_sub_u32_e32 v27, 29, v34
	v_cmp_gt_u32_e64 s[4:5], 8, v25
	v_cndmask_b32_e64 v22, v22, v27, s[4:5]
	v_and_b32_e32 v26, 7, v26
	v_lshlrev_b32_e32 v10, 8, v10
	v_lshl_add_u32 v22, v22, 10, v48
	v_cndmask_b32_e64 v16, v16, v26, s[4:5]
	v_and_or_b32 v10, v10, s19, v22
	v_lshl_or_b32 v10, v16, 7, v10
	v_cvt_f32_f16_e32 v22, v10
.LBB321_567:                            ;   in Loop: Header=BB321_427 Depth=1
	s_or_b64 exec, exec, s[26:27]
.LBB321_568:                            ;   in Loop: Header=BB321_427 Depth=1
	s_or_b64 exec, exec, s[24:25]
.LBB321_569:                            ;   in Loop: Header=BB321_427 Depth=1
	s_or_b64 exec, exec, s[22:23]
	v_cmp_lt_u64_e64 s[4:5], s[10:11], v[32:33]
	s_and_saveexec_b64 s[22:23], s[4:5]
	s_cbranch_execz .LBB321_575
; %bb.570:                              ;   in Loop: Header=BB321_427 Depth=1
	v_lshrrev_b32_e32 v10, 24, v33
	v_cmp_ne_u32_e64 s[4:5], s7, v10
	v_bfrev_b32_e32 v6, 1
	s_and_saveexec_b64 s[24:25], s[4:5]
	s_cbranch_execz .LBB321_574
; %bb.571:                              ;   in Loop: Header=BB321_427 Depth=1
	v_and_b32_e32 v25, 0x7f, v10
	v_cmp_ne_u32_e64 s[4:5], s15, v25
	v_mov_b32_e32 v6, 0x7fc02000
	s_and_saveexec_b64 s[26:27], s[4:5]
	s_cbranch_execz .LBB321_573
; %bb.572:                              ;   in Loop: Header=BB321_427 Depth=1
	v_and_b32_e32 v6, 7, v10
	v_ffbh_u32_e32 v26, v6
	v_min_u32_e32 v32, 32, v26
	v_subrev_u32_e32 v26, 28, v32
	v_lshlrev_b64 v[26:27], v26, v[10:11]
	v_lshrrev_b32_e32 v16, 3, v25
	v_sub_u32_e32 v27, 29, v32
	v_cmp_gt_u32_e64 s[4:5], 8, v25
	v_cndmask_b32_e64 v16, v16, v27, s[4:5]
	v_and_b32_e32 v26, 7, v26
	v_lshlrev_b32_e32 v10, 8, v10
	v_lshl_add_u32 v16, v16, 10, v48
	v_cndmask_b32_e64 v6, v6, v26, s[4:5]
	v_and_or_b32 v10, v10, s19, v16
	v_lshl_or_b32 v6, v6, 7, v10
	v_cvt_f32_f16_e32 v6, v6
.LBB321_573:                            ;   in Loop: Header=BB321_427 Depth=1
	s_or_b64 exec, exec, s[26:27]
.LBB321_574:                            ;   in Loop: Header=BB321_427 Depth=1
	s_or_b64 exec, exec, s[24:25]
.LBB321_575:                            ;   in Loop: Header=BB321_427 Depth=1
	s_or_b64 exec, exec, s[22:23]
	v_pk_mul_f32 v[26:27], v[24:25], v[30:31] op_sel_hi:[0,1]
	v_pk_mul_f32 v[28:29], v[24:25], v[28:29] op_sel_hi:[0,1]
	v_cvt_f16_f32_e32 v10, v27
	v_cvt_f16_f32_e32 v16, v26
	;; [unrolled: 1-line block ×4, first 2 shown]
	v_fma_mixlo_f16 v5, v24, v5, 0
	v_lshlrev_b32_e32 v5, 16, v5
	v_fma_mixlo_f16 v4, v24, v4, 0
	v_or_b32_sdwa v4, v5, v4 dst_sel:DWORD dst_unused:UNUSED_PAD src0_sel:DWORD src1_sel:WORD_0
	v_fma_mixlo_f16 v5, v24, v6, 0
	v_pack_b32_f16 v16, v16, v10
	v_pack_b32_f16 v25, v26, v25
	v_fma_mixlo_f16 v22, v24, v22, 0
	v_lshlrev_b32_e32 v5, 16, v5
	v_perm_b32 v10, v25, v16, s29
	v_perm_b32 v25, v25, v16, s30
	v_or_b32_sdwa v5, v5, v22 dst_sel:DWORD dst_unused:UNUSED_PAD src0_sel:DWORD src1_sel:WORD_0
	s_and_saveexec_b64 s[22:23], vcc
	s_cbranch_execz .LBB321_577
; %bb.576:                              ;   in Loop: Header=BB321_427 Depth=1
	v_lshrrev_b32_e32 v6, 16, v25
	v_cmp_lt_i32_e64 s[4:5], v44, v17
	v_accvgpr_read_b32 v24, a8
	v_cndmask_b32_e64 v6, 0, v6, s[4:5]
	v_cmp_lt_i32_e64 s[4:5], v7, v24
	v_cndmask_b32_e64 v16, 0, v25, s[4:5]
	v_perm_b32 v25, v6, v16, s31
	v_lshrrev_b32_e32 v6, 16, v10
	v_cmp_lt_i32_e64 s[4:5], v55, v17
	v_cndmask_b32_e64 v6, 0, v6, s[4:5]
	v_cmp_lt_i32_e64 s[4:5], v54, v24
	v_cndmask_b32_e64 v10, 0, v10, s[4:5]
	v_perm_b32 v10, v6, v10, s31
	v_lshrrev_b32_e32 v6, 16, v4
	v_cmp_lt_i32_e64 s[4:5], v53, v17
	v_cndmask_b32_e64 v6, 0, v6, s[4:5]
	v_cmp_lt_i32_e64 s[4:5], v52, v24
	v_cndmask_b32_e64 v4, 0, v4, s[4:5]
	v_lshrrev_b32_e32 v5, 16, v5
	v_cmp_lt_i32_e64 s[4:5], v51, v17
	v_cndmask_b32_e64 v5, 0, v5, s[4:5]
	v_cmp_lt_i32_e64 s[4:5], v50, v24
	v_perm_b32 v4, v6, v4, s31
	v_cndmask_b32_e64 v6, 0, v22, s[4:5]
	v_perm_b32 v5, v5, v6, s31
.LBB321_577:                            ;   in Loop: Header=BB321_427 Depth=1
	s_or_b64 exec, exec, s[22:23]
	;;#ASMSTART
	v_pk_mul_f16 v6, v40, v25;

	;;#ASMEND
	;;#ASMSTART
	v_pk_mul_f16 v10, v41, v10;

	;;#ASMEND
	;; [unrolled: 4-line block ×4, first 2 shown]
	;;#ASMSTART
	v_pk_add_f16 v6, v6, v10;

	;;#ASMEND
	;;#ASMSTART
	v_pk_add_f16 v4, v6, v4;

	;;#ASMEND
	;; [unrolled: 4-line block ×3, first 2 shown]
	v_lshrrev_b32_e32 v5, 16, v4
	v_and_b32_e32 v4, 0xffff, v4
	v_accvgpr_read_b32 v25, a5
	;;#ASMSTART
	v_cvt_f32_f16 v4, v4;
	;;#ASMEND
	;;#ASMSTART
	v_cvt_f32_f16 v5, v5;
	;;#ASMEND
	flat_load_dwordx2 v[32:33], v[18:19] offset:1536
	v_accvgpr_read_b32 v24, a4
	flat_load_dword v24, v[24:25]
	v_mov_b32_e32 v30, 0
	v_mov_b32_e32 v28, 0
	s_waitcnt vmcnt(0) lgkmcnt(0)
	v_cmp_ne_u16_sdwa s[4:5], v32, v11 src0_sel:BYTE_0 src1_sel:DWORD
	s_and_saveexec_b64 s[22:23], s[4:5]
	s_cbranch_execz .LBB321_583
; %bb.578:                              ;   in Loop: Header=BB321_427 Depth=1
	v_cmp_ne_u16_sdwa s[4:5], v32, s7 src0_sel:BYTE_0 src1_sel:DWORD
	v_bfrev_b32_e32 v28, 1
	s_and_saveexec_b64 s[24:25], s[4:5]
	s_cbranch_execz .LBB321_582
; %bb.579:                              ;   in Loop: Header=BB321_427 Depth=1
	v_and_b32_e32 v6, 0x7f, v32
	v_cmp_ne_u32_e64 s[4:5], s15, v6
	v_mov_b32_e32 v28, 0x7fc02000
	s_and_saveexec_b64 s[26:27], s[4:5]
	s_cbranch_execz .LBB321_581
; %bb.580:                              ;   in Loop: Header=BB321_427 Depth=1
	v_and_b32_e32 v10, 7, v32
	v_ffbh_u32_e32 v10, v10
	v_min_u32_e32 v10, 32, v10
	v_subrev_u32_e32 v22, 28, v10
	v_cmp_gt_u32_e64 s[4:5], 8, v6
	v_lshrrev_b32_e32 v16, 3, v6
	v_sub_u32_e32 v10, 29, v10
	v_cndmask_b32_e64 v6, 0, v22, s[4:5]
	v_lshlrev_b64 v[26:27], v6, v[32:33]
	v_cndmask_b32_e64 v6, v16, v10, s[4:5]
	v_lshlrev_b32_e32 v16, 8, v32
	v_lshl_add_u32 v6, v6, 10, v48
	v_lshlrev_b32_e32 v10, 7, v26
	v_and_or_b32 v6, v16, s19, v6
	v_and_or_b32 v6, v10, s28, v6
	v_cvt_f32_f16_e32 v28, v6
.LBB321_581:                            ;   in Loop: Header=BB321_427 Depth=1
	s_or_b64 exec, exec, s[26:27]
.LBB321_582:                            ;   in Loop: Header=BB321_427 Depth=1
	s_or_b64 exec, exec, s[24:25]
.LBB321_583:                            ;   in Loop: Header=BB321_427 Depth=1
	s_or_b64 exec, exec, s[22:23]
	v_lshrrev_b16_e32 v10, 8, v32
	v_cmp_ne_u16_e64 s[4:5], 0, v10
	s_and_saveexec_b64 s[22:23], s[4:5]
	s_cbranch_execz .LBB321_589
; %bb.584:                              ;   in Loop: Header=BB321_427 Depth=1
	v_cmp_ne_u16_e64 s[4:5], s7, v10
	v_bfrev_b32_e32 v30, 1
	s_and_saveexec_b64 s[24:25], s[4:5]
	s_cbranch_execz .LBB321_588
; %bb.585:                              ;   in Loop: Header=BB321_427 Depth=1
	v_and_b32_e32 v6, 0x7f, v10
	v_cmp_ne_u32_e64 s[4:5], s15, v6
	v_mov_b32_e32 v30, 0x7fc02000
	s_and_saveexec_b64 s[26:27], s[4:5]
	s_cbranch_execz .LBB321_587
; %bb.586:                              ;   in Loop: Header=BB321_427 Depth=1
	v_and_b32_e32 v16, 7, v10
	v_ffbh_u32_e32 v25, v16
	v_min_u32_e32 v25, 32, v25
	v_lshrrev_b32_e32 v22, 3, v6
	v_subrev_u32_e32 v26, 28, v25
	v_sub_u32_e32 v25, 29, v25
	v_cmp_gt_u32_e64 s[4:5], 8, v6
	v_lshlrev_b64 v[26:27], v26, v[10:11]
	v_cndmask_b32_e64 v6, v22, v25, s[4:5]
	v_and_b32_e32 v26, 7, v26
	v_lshlrev_b32_e32 v10, 8, v10
	v_lshl_add_u32 v6, v6, 10, v48
	v_cndmask_b32_e64 v16, v16, v26, s[4:5]
	v_and_or_b32 v6, v10, s19, v6
	v_lshl_or_b32 v6, v16, 7, v6
	v_cvt_f32_f16_e32 v30, v6
.LBB321_587:                            ;   in Loop: Header=BB321_427 Depth=1
	s_or_b64 exec, exec, s[26:27]
.LBB321_588:                            ;   in Loop: Header=BB321_427 Depth=1
	s_or_b64 exec, exec, s[24:25]
.LBB321_589:                            ;   in Loop: Header=BB321_427 Depth=1
	s_or_b64 exec, exec, s[22:23]
	v_lshrrev_b32_e32 v10, 16, v32
	v_cmp_ne_u16_sdwa s[4:5], v10, v11 src0_sel:BYTE_0 src1_sel:DWORD
	v_mov_b32_e32 v31, 0
	v_mov_b32_e32 v29, 0
	s_and_saveexec_b64 s[22:23], s[4:5]
	s_cbranch_execz .LBB321_595
; %bb.590:                              ;   in Loop: Header=BB321_427 Depth=1
	v_cmp_ne_u16_sdwa s[4:5], v10, s7 src0_sel:BYTE_0 src1_sel:DWORD
	v_bfrev_b32_e32 v29, 1
	s_and_saveexec_b64 s[24:25], s[4:5]
	s_cbranch_execz .LBB321_594
; %bb.591:                              ;   in Loop: Header=BB321_427 Depth=1
	v_bfe_u32 v6, v32, 16, 7
	v_cmp_ne_u32_e64 s[4:5], s15, v6
	v_mov_b32_e32 v29, 0x7fc02000
	s_and_saveexec_b64 s[26:27], s[4:5]
	s_cbranch_execz .LBB321_593
; %bb.592:                              ;   in Loop: Header=BB321_427 Depth=1
	v_and_b32_e32 v16, 7, v10
	v_ffbh_u32_e32 v25, v16
	v_min_u32_e32 v25, 32, v25
	v_lshrrev_b32_e32 v22, 3, v6
	v_subrev_u32_e32 v26, 28, v25
	v_sub_u32_e32 v25, 29, v25
	v_cmp_gt_u32_e64 s[4:5], 8, v6
	v_lshlrev_b64 v[26:27], v26, v[10:11]
	v_cndmask_b32_e64 v6, v22, v25, s[4:5]
	v_and_b32_e32 v26, 7, v26
	v_lshlrev_b32_e32 v10, 8, v10
	v_lshl_add_u32 v6, v6, 10, v48
	v_cndmask_b32_e64 v16, v16, v26, s[4:5]
	v_and_or_b32 v6, v10, s19, v6
	v_lshl_or_b32 v6, v16, 7, v6
	v_cvt_f32_f16_e32 v29, v6
.LBB321_593:                            ;   in Loop: Header=BB321_427 Depth=1
	s_or_b64 exec, exec, s[26:27]
.LBB321_594:                            ;   in Loop: Header=BB321_427 Depth=1
	s_or_b64 exec, exec, s[24:25]
.LBB321_595:                            ;   in Loop: Header=BB321_427 Depth=1
	s_or_b64 exec, exec, s[22:23]
	v_cmp_lt_u32_e64 s[4:5], s11, v32
	s_and_saveexec_b64 s[22:23], s[4:5]
	s_cbranch_execz .LBB321_601
; %bb.596:                              ;   in Loop: Header=BB321_427 Depth=1
	v_lshrrev_b32_e32 v10, 24, v32
	v_cmp_ne_u32_e64 s[4:5], s7, v10
	v_bfrev_b32_e32 v31, 1
	s_and_saveexec_b64 s[24:25], s[4:5]
	s_cbranch_execz .LBB321_600
; %bb.597:                              ;   in Loop: Header=BB321_427 Depth=1
	v_and_b32_e32 v6, 0x7f, v10
	v_cmp_ne_u32_e64 s[4:5], s15, v6
	v_mov_b32_e32 v31, 0x7fc02000
	s_and_saveexec_b64 s[26:27], s[4:5]
	s_cbranch_execz .LBB321_599
; %bb.598:                              ;   in Loop: Header=BB321_427 Depth=1
	v_and_b32_e32 v16, 7, v10
	v_ffbh_u32_e32 v25, v16
	v_min_u32_e32 v25, 32, v25
	v_lshrrev_b32_e32 v22, 3, v6
	v_subrev_u32_e32 v26, 28, v25
	v_sub_u32_e32 v25, 29, v25
	v_cmp_gt_u32_e64 s[4:5], 8, v6
	v_lshlrev_b64 v[26:27], v26, v[10:11]
	v_cndmask_b32_e64 v6, v22, v25, s[4:5]
	v_and_b32_e32 v26, 7, v26
	v_lshlrev_b32_e32 v10, 8, v10
	v_lshl_add_u32 v6, v6, 10, v48
	v_cndmask_b32_e64 v16, v16, v26, s[4:5]
	v_and_or_b32 v6, v10, s19, v6
	v_lshl_or_b32 v6, v16, 7, v6
	v_cvt_f32_f16_e32 v31, v6
.LBB321_599:                            ;   in Loop: Header=BB321_427 Depth=1
	s_or_b64 exec, exec, s[26:27]
.LBB321_600:                            ;   in Loop: Header=BB321_427 Depth=1
	s_or_b64 exec, exec, s[24:25]
.LBB321_601:                            ;   in Loop: Header=BB321_427 Depth=1
	s_or_b64 exec, exec, s[22:23]
	v_mov_b32_e32 v10, v33
	v_cmp_ne_u16_sdwa s[4:5], v33, v11 src0_sel:BYTE_0 src1_sel:DWORD
	v_mov_b32_e32 v22, 0
	v_mov_b32_e32 v6, 0
	s_and_saveexec_b64 s[22:23], s[4:5]
	s_cbranch_execz .LBB321_607
; %bb.602:                              ;   in Loop: Header=BB321_427 Depth=1
	v_cmp_ne_u16_sdwa s[4:5], v33, s7 src0_sel:BYTE_0 src1_sel:DWORD
	v_bfrev_b32_e32 v6, 1
	s_and_saveexec_b64 s[24:25], s[4:5]
	s_cbranch_execz .LBB321_606
; %bb.603:                              ;   in Loop: Header=BB321_427 Depth=1
	v_and_b32_e32 v25, 0x7f, v33
	v_cmp_ne_u32_e64 s[4:5], s15, v25
	v_mov_b32_e32 v6, 0x7fc02000
	s_and_saveexec_b64 s[26:27], s[4:5]
	s_cbranch_execz .LBB321_605
; %bb.604:                              ;   in Loop: Header=BB321_427 Depth=1
	v_and_b32_e32 v6, 7, v33
	v_ffbh_u32_e32 v6, v6
	v_min_u32_e32 v6, 32, v6
	v_lshrrev_b32_e32 v16, 3, v25
	v_subrev_u32_e32 v26, 28, v6
	v_sub_u32_e32 v6, 29, v6
	v_cmp_gt_u32_e64 s[4:5], 8, v25
	v_cndmask_b32_e64 v25, 0, v26, s[4:5]
	v_cndmask_b32_e64 v6, v16, v6, s[4:5]
	v_lshlrev_b64 v[26:27], v25, v[10:11]
	v_lshlrev_b32_e32 v25, 8, v33
	v_lshl_add_u32 v6, v6, 10, v48
	v_lshlrev_b32_e32 v16, 7, v26
	v_and_or_b32 v6, v25, s19, v6
	v_and_or_b32 v6, v16, s28, v6
	v_cvt_f32_f16_e32 v6, v6
.LBB321_605:                            ;   in Loop: Header=BB321_427 Depth=1
	s_or_b64 exec, exec, s[26:27]
.LBB321_606:                            ;   in Loop: Header=BB321_427 Depth=1
	s_or_b64 exec, exec, s[24:25]
.LBB321_607:                            ;   in Loop: Header=BB321_427 Depth=1
	s_or_b64 exec, exec, s[22:23]
	v_lshrrev_b16_e32 v10, 8, v10
	v_cmp_ne_u16_e64 s[4:5], 0, v10
	s_and_saveexec_b64 s[22:23], s[4:5]
	s_cbranch_execz .LBB321_613
; %bb.608:                              ;   in Loop: Header=BB321_427 Depth=1
	v_cmp_ne_u16_e64 s[4:5], s7, v10
	v_bfrev_b32_e32 v22, 1
	s_and_saveexec_b64 s[24:25], s[4:5]
	s_cbranch_execz .LBB321_612
; %bb.609:                              ;   in Loop: Header=BB321_427 Depth=1
	v_and_b32_e32 v25, 0x7f, v10
	v_cmp_ne_u32_e64 s[4:5], s15, v25
	v_mov_b32_e32 v22, 0x7fc02000
	s_and_saveexec_b64 s[26:27], s[4:5]
	s_cbranch_execz .LBB321_611
; %bb.610:                              ;   in Loop: Header=BB321_427 Depth=1
	v_and_b32_e32 v16, 7, v10
	v_ffbh_u32_e32 v26, v16
	v_min_u32_e32 v34, 32, v26
	v_subrev_u32_e32 v26, 28, v34
	v_lshlrev_b64 v[26:27], v26, v[10:11]
	v_lshrrev_b32_e32 v22, 3, v25
	v_sub_u32_e32 v27, 29, v34
	v_cmp_gt_u32_e64 s[4:5], 8, v25
	v_cndmask_b32_e64 v22, v22, v27, s[4:5]
	v_and_b32_e32 v26, 7, v26
	v_lshlrev_b32_e32 v10, 8, v10
	v_lshl_add_u32 v22, v22, 10, v48
	v_cndmask_b32_e64 v16, v16, v26, s[4:5]
	v_and_or_b32 v10, v10, s19, v22
	v_lshl_or_b32 v10, v16, 7, v10
	v_cvt_f32_f16_e32 v22, v10
.LBB321_611:                            ;   in Loop: Header=BB321_427 Depth=1
	s_or_b64 exec, exec, s[26:27]
.LBB321_612:                            ;   in Loop: Header=BB321_427 Depth=1
	s_or_b64 exec, exec, s[24:25]
.LBB321_613:                            ;   in Loop: Header=BB321_427 Depth=1
	s_or_b64 exec, exec, s[22:23]
	v_lshrrev_b32_e32 v10, 16, v33
	v_cmp_ne_u16_sdwa s[4:5], v10, v11 src0_sel:BYTE_0 src1_sel:DWORD
	v_mov_b32_e32 v25, 0
	v_mov_b32_e32 v26, 0
	s_and_saveexec_b64 s[22:23], s[4:5]
	s_cbranch_execz .LBB321_619
; %bb.614:                              ;   in Loop: Header=BB321_427 Depth=1
	v_cmp_ne_u16_sdwa s[4:5], v10, s7 src0_sel:BYTE_0 src1_sel:DWORD
	v_bfrev_b32_e32 v26, 1
	s_and_saveexec_b64 s[24:25], s[4:5]
	s_cbranch_execz .LBB321_618
; %bb.615:                              ;   in Loop: Header=BB321_427 Depth=1
	v_bfe_u32 v27, v33, 16, 7
	v_cmp_ne_u32_e64 s[4:5], s15, v27
	v_mov_b32_e32 v26, 0x7fc02000
	s_and_saveexec_b64 s[26:27], s[4:5]
	s_cbranch_execz .LBB321_617
; %bb.616:                              ;   in Loop: Header=BB321_427 Depth=1
	v_and_b32_e32 v16, 7, v10
	v_ffbh_u32_e32 v34, v16
	v_min_u32_e32 v36, 32, v34
	v_subrev_u32_e32 v34, 28, v36
	v_lshlrev_b64 v[34:35], v34, v[10:11]
	v_lshrrev_b32_e32 v26, 3, v27
	v_sub_u32_e32 v35, 29, v36
	v_cmp_gt_u32_e64 s[4:5], 8, v27
	v_cndmask_b32_e64 v26, v26, v35, s[4:5]
	v_and_b32_e32 v34, 7, v34
	v_lshlrev_b32_e32 v10, 8, v10
	v_lshl_add_u32 v26, v26, 10, v48
	v_cndmask_b32_e64 v16, v16, v34, s[4:5]
	v_and_or_b32 v10, v10, s19, v26
	v_lshl_or_b32 v10, v16, 7, v10
	v_cvt_f32_f16_e32 v26, v10
.LBB321_617:                            ;   in Loop: Header=BB321_427 Depth=1
	s_or_b64 exec, exec, s[26:27]
.LBB321_618:                            ;   in Loop: Header=BB321_427 Depth=1
	s_or_b64 exec, exec, s[24:25]
.LBB321_619:                            ;   in Loop: Header=BB321_427 Depth=1
	s_or_b64 exec, exec, s[22:23]
	v_cmp_lt_u64_e64 s[4:5], s[10:11], v[32:33]
	s_and_saveexec_b64 s[22:23], s[4:5]
	s_cbranch_execz .LBB321_625
; %bb.620:                              ;   in Loop: Header=BB321_427 Depth=1
	v_lshrrev_b32_e32 v10, 24, v33
	v_cmp_ne_u32_e64 s[4:5], s7, v10
	v_bfrev_b32_e32 v25, 1
	s_and_saveexec_b64 s[24:25], s[4:5]
	s_cbranch_execz .LBB321_624
; %bb.621:                              ;   in Loop: Header=BB321_427 Depth=1
	v_and_b32_e32 v27, 0x7f, v10
	v_cmp_ne_u32_e64 s[4:5], s15, v27
	v_mov_b32_e32 v25, 0x7fc02000
	s_and_saveexec_b64 s[26:27], s[4:5]
	s_cbranch_execz .LBB321_623
; %bb.622:                              ;   in Loop: Header=BB321_427 Depth=1
	v_and_b32_e32 v16, 7, v10
	v_ffbh_u32_e32 v32, v16
	v_min_u32_e32 v34, 32, v32
	v_subrev_u32_e32 v32, 28, v34
	v_lshlrev_b64 v[32:33], v32, v[10:11]
	v_lshrrev_b32_e32 v25, 3, v27
	v_sub_u32_e32 v33, 29, v34
	v_cmp_gt_u32_e64 s[4:5], 8, v27
	v_cndmask_b32_e64 v25, v25, v33, s[4:5]
	v_and_b32_e32 v32, 7, v32
	v_lshlrev_b32_e32 v10, 8, v10
	v_lshl_add_u32 v25, v25, 10, v48
	v_cndmask_b32_e64 v16, v16, v32, s[4:5]
	v_and_or_b32 v10, v10, s19, v25
	v_lshl_or_b32 v10, v16, 7, v10
	v_cvt_f32_f16_e32 v25, v10
.LBB321_623:                            ;   in Loop: Header=BB321_427 Depth=1
	s_or_b64 exec, exec, s[26:27]
.LBB321_624:                            ;   in Loop: Header=BB321_427 Depth=1
	s_or_b64 exec, exec, s[24:25]
.LBB321_625:                            ;   in Loop: Header=BB321_427 Depth=1
	s_or_b64 exec, exec, s[22:23]
	v_pk_mul_f32 v[30:31], v[24:25], v[30:31] op_sel_hi:[0,1]
	v_pk_mul_f32 v[28:29], v[24:25], v[28:29] op_sel_hi:[0,1]
	v_cvt_f16_f32_e32 v10, v31
	v_cvt_f16_f32_e32 v16, v30
	;; [unrolled: 1-line block ×4, first 2 shown]
	v_fma_mixlo_f16 v6, v24, v6, 0
	v_pack_b32_f16 v16, v16, v10
	v_fma_mixlo_f16 v26, v24, v26, 0
	v_pack_b32_f16 v27, v28, v27
	v_perm_b32 v10, v27, v16, s29
	v_perm_b32 v27, v27, v16, s30
	v_fma_mixlo_f16 v16, v24, v22, 0
	v_lshlrev_b32_e32 v16, 16, v16
	v_or_b32_sdwa v6, v16, v6 dst_sel:DWORD dst_unused:UNUSED_PAD src0_sel:DWORD src1_sel:WORD_0
	v_fma_mixlo_f16 v16, v24, v25, 0
	v_lshlrev_b32_e32 v16, 16, v16
	v_or_b32_sdwa v22, v16, v26 dst_sel:DWORD dst_unused:UNUSED_PAD src0_sel:DWORD src1_sel:WORD_0
	s_and_saveexec_b64 s[22:23], vcc
	s_cbranch_execz .LBB321_627
; %bb.626:                              ;   in Loop: Header=BB321_427 Depth=1
	v_lshrrev_b32_e32 v16, 16, v27
	v_cmp_lt_i32_e64 s[4:5], v44, v17
	v_accvgpr_read_b32 v28, a8
	v_cndmask_b32_e64 v16, 0, v16, s[4:5]
	v_cmp_lt_i32_e64 s[4:5], v7, v28
	v_cndmask_b32_e64 v24, 0, v27, s[4:5]
	v_perm_b32 v27, v16, v24, s31
	v_lshrrev_b32_e32 v16, 16, v10
	v_cmp_lt_i32_e64 s[4:5], v55, v17
	v_cndmask_b32_e64 v16, 0, v16, s[4:5]
	v_cmp_lt_i32_e64 s[4:5], v54, v28
	v_cndmask_b32_e64 v10, 0, v10, s[4:5]
	v_perm_b32 v10, v16, v10, s31
	v_lshrrev_b32_e32 v16, 16, v6
	v_cmp_lt_i32_e64 s[4:5], v53, v17
	;; [unrolled: 6-line block ×3, first 2 shown]
	v_cndmask_b32_e64 v16, 0, v16, s[4:5]
	v_cmp_lt_i32_e64 s[4:5], v50, v28
	v_cndmask_b32_e64 v22, 0, v26, s[4:5]
	v_perm_b32 v22, v16, v22, s31
.LBB321_627:                            ;   in Loop: Header=BB321_427 Depth=1
	s_or_b64 exec, exec, s[22:23]
	;;#ASMSTART
	v_pk_mul_f16 v16, v40, v27;

	;;#ASMEND
	;;#ASMSTART
	v_pk_mul_f16 v10, v41, v10;

	;;#ASMEND
	;; [unrolled: 4-line block ×4, first 2 shown]
	;;#ASMSTART
	v_pk_add_f16 v10, v16, v10;

	;;#ASMEND
	;;#ASMSTART
	v_pk_add_f16 v6, v10, v6;

	;;#ASMEND
	;; [unrolled: 4-line block ×3, first 2 shown]
	v_accvgpr_read_b32 v25, a5
	v_lshrrev_b32_e32 v10, 16, v6
	v_and_b32_e32 v6, 0xffff, v6
	;;#ASMSTART
	v_cvt_f32_f16 v34, v6;
	;;#ASMEND
	;;#ASMSTART
	v_cvt_f32_f16 v57, v10;
	;;#ASMEND
	flat_load_dwordx2 v[32:33], v[18:19] offset:2048
	v_accvgpr_read_b32 v24, a4
	flat_load_dword v24, v[24:25]
	v_mov_b32_e32 v30, 0
	v_mov_b32_e32 v28, 0
	s_waitcnt vmcnt(0) lgkmcnt(0)
	v_cmp_ne_u16_sdwa s[4:5], v32, v11 src0_sel:BYTE_0 src1_sel:DWORD
	s_and_saveexec_b64 s[22:23], s[4:5]
	s_cbranch_execz .LBB321_633
; %bb.628:                              ;   in Loop: Header=BB321_427 Depth=1
	v_cmp_ne_u16_sdwa s[4:5], v32, s7 src0_sel:BYTE_0 src1_sel:DWORD
	v_bfrev_b32_e32 v28, 1
	s_and_saveexec_b64 s[24:25], s[4:5]
	s_cbranch_execz .LBB321_632
; %bb.629:                              ;   in Loop: Header=BB321_427 Depth=1
	v_and_b32_e32 v6, 0x7f, v32
	v_cmp_ne_u32_e64 s[4:5], s15, v6
	v_mov_b32_e32 v28, 0x7fc02000
	s_and_saveexec_b64 s[26:27], s[4:5]
	s_cbranch_execz .LBB321_631
; %bb.630:                              ;   in Loop: Header=BB321_427 Depth=1
	v_and_b32_e32 v10, 7, v32
	v_ffbh_u32_e32 v10, v10
	v_min_u32_e32 v10, 32, v10
	v_subrev_u32_e32 v22, 28, v10
	v_cmp_gt_u32_e64 s[4:5], 8, v6
	v_lshrrev_b32_e32 v16, 3, v6
	v_sub_u32_e32 v10, 29, v10
	v_cndmask_b32_e64 v6, 0, v22, s[4:5]
	v_lshlrev_b64 v[26:27], v6, v[32:33]
	v_cndmask_b32_e64 v6, v16, v10, s[4:5]
	v_lshlrev_b32_e32 v16, 8, v32
	v_lshl_add_u32 v6, v6, 10, v48
	v_lshlrev_b32_e32 v10, 7, v26
	v_and_or_b32 v6, v16, s19, v6
	v_and_or_b32 v6, v10, s28, v6
	v_cvt_f32_f16_e32 v28, v6
.LBB321_631:                            ;   in Loop: Header=BB321_427 Depth=1
	s_or_b64 exec, exec, s[26:27]
.LBB321_632:                            ;   in Loop: Header=BB321_427 Depth=1
	s_or_b64 exec, exec, s[24:25]
.LBB321_633:                            ;   in Loop: Header=BB321_427 Depth=1
	s_or_b64 exec, exec, s[22:23]
	v_lshrrev_b16_e32 v10, 8, v32
	v_cmp_ne_u16_e64 s[4:5], 0, v10
	s_and_saveexec_b64 s[22:23], s[4:5]
	s_cbranch_execz .LBB321_639
; %bb.634:                              ;   in Loop: Header=BB321_427 Depth=1
	v_cmp_ne_u16_e64 s[4:5], s7, v10
	v_bfrev_b32_e32 v30, 1
	s_and_saveexec_b64 s[24:25], s[4:5]
	s_cbranch_execz .LBB321_638
; %bb.635:                              ;   in Loop: Header=BB321_427 Depth=1
	v_and_b32_e32 v6, 0x7f, v10
	v_cmp_ne_u32_e64 s[4:5], s15, v6
	v_mov_b32_e32 v30, 0x7fc02000
	s_and_saveexec_b64 s[26:27], s[4:5]
	s_cbranch_execz .LBB321_637
; %bb.636:                              ;   in Loop: Header=BB321_427 Depth=1
	v_and_b32_e32 v16, 7, v10
	v_ffbh_u32_e32 v25, v16
	v_min_u32_e32 v25, 32, v25
	v_lshrrev_b32_e32 v22, 3, v6
	v_subrev_u32_e32 v26, 28, v25
	v_sub_u32_e32 v25, 29, v25
	v_cmp_gt_u32_e64 s[4:5], 8, v6
	v_lshlrev_b64 v[26:27], v26, v[10:11]
	v_cndmask_b32_e64 v6, v22, v25, s[4:5]
	v_and_b32_e32 v26, 7, v26
	v_lshlrev_b32_e32 v10, 8, v10
	v_lshl_add_u32 v6, v6, 10, v48
	v_cndmask_b32_e64 v16, v16, v26, s[4:5]
	v_and_or_b32 v6, v10, s19, v6
	v_lshl_or_b32 v6, v16, 7, v6
	v_cvt_f32_f16_e32 v30, v6
.LBB321_637:                            ;   in Loop: Header=BB321_427 Depth=1
	s_or_b64 exec, exec, s[26:27]
.LBB321_638:                            ;   in Loop: Header=BB321_427 Depth=1
	s_or_b64 exec, exec, s[24:25]
.LBB321_639:                            ;   in Loop: Header=BB321_427 Depth=1
	s_or_b64 exec, exec, s[22:23]
	v_lshrrev_b32_e32 v10, 16, v32
	v_cmp_ne_u16_sdwa s[4:5], v10, v11 src0_sel:BYTE_0 src1_sel:DWORD
	v_mov_b32_e32 v31, 0
	v_mov_b32_e32 v29, 0
	s_and_saveexec_b64 s[22:23], s[4:5]
	s_cbranch_execz .LBB321_645
; %bb.640:                              ;   in Loop: Header=BB321_427 Depth=1
	v_cmp_ne_u16_sdwa s[4:5], v10, s7 src0_sel:BYTE_0 src1_sel:DWORD
	v_bfrev_b32_e32 v29, 1
	s_and_saveexec_b64 s[24:25], s[4:5]
	s_cbranch_execz .LBB321_644
; %bb.641:                              ;   in Loop: Header=BB321_427 Depth=1
	v_bfe_u32 v6, v32, 16, 7
	v_cmp_ne_u32_e64 s[4:5], s15, v6
	v_mov_b32_e32 v29, 0x7fc02000
	s_and_saveexec_b64 s[26:27], s[4:5]
	s_cbranch_execz .LBB321_643
; %bb.642:                              ;   in Loop: Header=BB321_427 Depth=1
	v_and_b32_e32 v16, 7, v10
	v_ffbh_u32_e32 v25, v16
	v_min_u32_e32 v25, 32, v25
	v_lshrrev_b32_e32 v22, 3, v6
	v_subrev_u32_e32 v26, 28, v25
	v_sub_u32_e32 v25, 29, v25
	v_cmp_gt_u32_e64 s[4:5], 8, v6
	v_lshlrev_b64 v[26:27], v26, v[10:11]
	v_cndmask_b32_e64 v6, v22, v25, s[4:5]
	v_and_b32_e32 v26, 7, v26
	v_lshlrev_b32_e32 v10, 8, v10
	v_lshl_add_u32 v6, v6, 10, v48
	v_cndmask_b32_e64 v16, v16, v26, s[4:5]
	v_and_or_b32 v6, v10, s19, v6
	v_lshl_or_b32 v6, v16, 7, v6
	v_cvt_f32_f16_e32 v29, v6
.LBB321_643:                            ;   in Loop: Header=BB321_427 Depth=1
	s_or_b64 exec, exec, s[26:27]
.LBB321_644:                            ;   in Loop: Header=BB321_427 Depth=1
	s_or_b64 exec, exec, s[24:25]
.LBB321_645:                            ;   in Loop: Header=BB321_427 Depth=1
	s_or_b64 exec, exec, s[22:23]
	v_cmp_lt_u32_e64 s[4:5], s11, v32
	s_and_saveexec_b64 s[22:23], s[4:5]
	s_cbranch_execz .LBB321_651
; %bb.646:                              ;   in Loop: Header=BB321_427 Depth=1
	v_lshrrev_b32_e32 v10, 24, v32
	v_cmp_ne_u32_e64 s[4:5], s7, v10
	v_bfrev_b32_e32 v31, 1
	s_and_saveexec_b64 s[24:25], s[4:5]
	s_cbranch_execz .LBB321_650
; %bb.647:                              ;   in Loop: Header=BB321_427 Depth=1
	v_and_b32_e32 v6, 0x7f, v10
	v_cmp_ne_u32_e64 s[4:5], s15, v6
	v_mov_b32_e32 v31, 0x7fc02000
	s_and_saveexec_b64 s[26:27], s[4:5]
	s_cbranch_execz .LBB321_649
; %bb.648:                              ;   in Loop: Header=BB321_427 Depth=1
	v_and_b32_e32 v16, 7, v10
	v_ffbh_u32_e32 v25, v16
	v_min_u32_e32 v25, 32, v25
	v_lshrrev_b32_e32 v22, 3, v6
	v_subrev_u32_e32 v26, 28, v25
	v_sub_u32_e32 v25, 29, v25
	v_cmp_gt_u32_e64 s[4:5], 8, v6
	v_lshlrev_b64 v[26:27], v26, v[10:11]
	v_cndmask_b32_e64 v6, v22, v25, s[4:5]
	v_and_b32_e32 v26, 7, v26
	v_lshlrev_b32_e32 v10, 8, v10
	v_lshl_add_u32 v6, v6, 10, v48
	v_cndmask_b32_e64 v16, v16, v26, s[4:5]
	v_and_or_b32 v6, v10, s19, v6
	v_lshl_or_b32 v6, v16, 7, v6
	v_cvt_f32_f16_e32 v31, v6
.LBB321_649:                            ;   in Loop: Header=BB321_427 Depth=1
	s_or_b64 exec, exec, s[26:27]
.LBB321_650:                            ;   in Loop: Header=BB321_427 Depth=1
	s_or_b64 exec, exec, s[24:25]
.LBB321_651:                            ;   in Loop: Header=BB321_427 Depth=1
	s_or_b64 exec, exec, s[22:23]
	v_mov_b32_e32 v10, v33
	v_cmp_ne_u16_sdwa s[4:5], v33, v11 src0_sel:BYTE_0 src1_sel:DWORD
	v_mov_b32_e32 v22, 0
	v_mov_b32_e32 v6, 0
	s_and_saveexec_b64 s[22:23], s[4:5]
	s_cbranch_execz .LBB321_657
; %bb.652:                              ;   in Loop: Header=BB321_427 Depth=1
	v_cmp_ne_u16_sdwa s[4:5], v33, s7 src0_sel:BYTE_0 src1_sel:DWORD
	v_bfrev_b32_e32 v6, 1
	s_and_saveexec_b64 s[24:25], s[4:5]
	s_cbranch_execz .LBB321_656
; %bb.653:                              ;   in Loop: Header=BB321_427 Depth=1
	v_and_b32_e32 v25, 0x7f, v33
	v_cmp_ne_u32_e64 s[4:5], s15, v25
	v_mov_b32_e32 v6, 0x7fc02000
	s_and_saveexec_b64 s[26:27], s[4:5]
	s_cbranch_execz .LBB321_655
; %bb.654:                              ;   in Loop: Header=BB321_427 Depth=1
	v_and_b32_e32 v6, 7, v33
	v_ffbh_u32_e32 v6, v6
	v_min_u32_e32 v6, 32, v6
	v_lshrrev_b32_e32 v16, 3, v25
	v_subrev_u32_e32 v26, 28, v6
	v_sub_u32_e32 v6, 29, v6
	v_cmp_gt_u32_e64 s[4:5], 8, v25
	v_cndmask_b32_e64 v25, 0, v26, s[4:5]
	v_cndmask_b32_e64 v6, v16, v6, s[4:5]
	v_lshlrev_b64 v[26:27], v25, v[10:11]
	v_lshlrev_b32_e32 v25, 8, v33
	v_lshl_add_u32 v6, v6, 10, v48
	v_lshlrev_b32_e32 v16, 7, v26
	v_and_or_b32 v6, v25, s19, v6
	v_and_or_b32 v6, v16, s28, v6
	v_cvt_f32_f16_e32 v6, v6
.LBB321_655:                            ;   in Loop: Header=BB321_427 Depth=1
	s_or_b64 exec, exec, s[26:27]
.LBB321_656:                            ;   in Loop: Header=BB321_427 Depth=1
	s_or_b64 exec, exec, s[24:25]
.LBB321_657:                            ;   in Loop: Header=BB321_427 Depth=1
	s_or_b64 exec, exec, s[22:23]
	v_lshrrev_b16_e32 v10, 8, v10
	v_cmp_ne_u16_e64 s[4:5], 0, v10
	s_and_saveexec_b64 s[22:23], s[4:5]
	s_cbranch_execz .LBB321_663
; %bb.658:                              ;   in Loop: Header=BB321_427 Depth=1
	v_cmp_ne_u16_e64 s[4:5], s7, v10
	v_bfrev_b32_e32 v22, 1
	s_and_saveexec_b64 s[24:25], s[4:5]
	s_cbranch_execz .LBB321_662
; %bb.659:                              ;   in Loop: Header=BB321_427 Depth=1
	v_and_b32_e32 v25, 0x7f, v10
	v_cmp_ne_u32_e64 s[4:5], s15, v25
	v_mov_b32_e32 v22, 0x7fc02000
	s_and_saveexec_b64 s[26:27], s[4:5]
	s_cbranch_execz .LBB321_661
; %bb.660:                              ;   in Loop: Header=BB321_427 Depth=1
	v_and_b32_e32 v16, 7, v10
	v_ffbh_u32_e32 v26, v16
	v_min_u32_e32 v35, 32, v26
	v_subrev_u32_e32 v26, 28, v35
	v_lshlrev_b64 v[26:27], v26, v[10:11]
	v_lshrrev_b32_e32 v22, 3, v25
	v_sub_u32_e32 v27, 29, v35
	v_cmp_gt_u32_e64 s[4:5], 8, v25
	v_cndmask_b32_e64 v22, v22, v27, s[4:5]
	v_and_b32_e32 v26, 7, v26
	v_lshlrev_b32_e32 v10, 8, v10
	v_lshl_add_u32 v22, v22, 10, v48
	v_cndmask_b32_e64 v16, v16, v26, s[4:5]
	v_and_or_b32 v10, v10, s19, v22
	v_lshl_or_b32 v10, v16, 7, v10
	v_cvt_f32_f16_e32 v22, v10
.LBB321_661:                            ;   in Loop: Header=BB321_427 Depth=1
	s_or_b64 exec, exec, s[26:27]
.LBB321_662:                            ;   in Loop: Header=BB321_427 Depth=1
	s_or_b64 exec, exec, s[24:25]
.LBB321_663:                            ;   in Loop: Header=BB321_427 Depth=1
	s_or_b64 exec, exec, s[22:23]
	v_lshrrev_b32_e32 v10, 16, v33
	v_cmp_ne_u16_sdwa s[4:5], v10, v11 src0_sel:BYTE_0 src1_sel:DWORD
	v_mov_b32_e32 v25, 0
	v_mov_b32_e32 v26, 0
	s_and_saveexec_b64 s[22:23], s[4:5]
	s_cbranch_execz .LBB321_669
; %bb.664:                              ;   in Loop: Header=BB321_427 Depth=1
	v_cmp_ne_u16_sdwa s[4:5], v10, s7 src0_sel:BYTE_0 src1_sel:DWORD
	v_bfrev_b32_e32 v26, 1
	s_and_saveexec_b64 s[24:25], s[4:5]
	s_cbranch_execz .LBB321_668
; %bb.665:                              ;   in Loop: Header=BB321_427 Depth=1
	v_bfe_u32 v27, v33, 16, 7
	v_cmp_ne_u32_e64 s[4:5], s15, v27
	v_mov_b32_e32 v26, 0x7fc02000
	s_and_saveexec_b64 s[26:27], s[4:5]
	s_cbranch_execz .LBB321_667
; %bb.666:                              ;   in Loop: Header=BB321_427 Depth=1
	v_and_b32_e32 v16, 7, v10
	v_ffbh_u32_e32 v35, v16
	v_min_u32_e32 v35, 32, v35
	v_lshrrev_b32_e32 v26, 3, v27
	v_subrev_u32_e32 v36, 28, v35
	v_sub_u32_e32 v35, 29, v35
	v_cmp_gt_u32_e64 s[4:5], 8, v27
	v_lshlrev_b64 v[58:59], v36, v[10:11]
	v_cndmask_b32_e64 v26, v26, v35, s[4:5]
	v_and_b32_e32 v36, 7, v58
	v_lshlrev_b32_e32 v10, 8, v10
	v_lshl_add_u32 v26, v26, 10, v48
	v_cndmask_b32_e64 v16, v16, v36, s[4:5]
	v_and_or_b32 v10, v10, s19, v26
	v_lshl_or_b32 v10, v16, 7, v10
	v_cvt_f32_f16_e32 v26, v10
.LBB321_667:                            ;   in Loop: Header=BB321_427 Depth=1
	s_or_b64 exec, exec, s[26:27]
.LBB321_668:                            ;   in Loop: Header=BB321_427 Depth=1
	s_or_b64 exec, exec, s[24:25]
.LBB321_669:                            ;   in Loop: Header=BB321_427 Depth=1
	s_or_b64 exec, exec, s[22:23]
	v_cmp_lt_u64_e64 s[4:5], s[10:11], v[32:33]
	s_and_saveexec_b64 s[22:23], s[4:5]
	s_cbranch_execz .LBB321_675
; %bb.670:                              ;   in Loop: Header=BB321_427 Depth=1
	v_lshrrev_b32_e32 v10, 24, v33
	v_cmp_ne_u32_e64 s[4:5], s7, v10
	v_bfrev_b32_e32 v25, 1
	s_and_saveexec_b64 s[24:25], s[4:5]
	s_cbranch_execz .LBB321_674
; %bb.671:                              ;   in Loop: Header=BB321_427 Depth=1
	v_and_b32_e32 v27, 0x7f, v10
	v_cmp_ne_u32_e64 s[4:5], s15, v27
	v_mov_b32_e32 v25, 0x7fc02000
	s_and_saveexec_b64 s[26:27], s[4:5]
	s_cbranch_execz .LBB321_673
; %bb.672:                              ;   in Loop: Header=BB321_427 Depth=1
	v_and_b32_e32 v16, 7, v10
	v_ffbh_u32_e32 v32, v16
	v_min_u32_e32 v35, 32, v32
	v_subrev_u32_e32 v32, 28, v35
	v_lshlrev_b64 v[32:33], v32, v[10:11]
	v_lshrrev_b32_e32 v25, 3, v27
	v_sub_u32_e32 v33, 29, v35
	v_cmp_gt_u32_e64 s[4:5], 8, v27
	v_cndmask_b32_e64 v25, v25, v33, s[4:5]
	v_and_b32_e32 v32, 7, v32
	v_lshlrev_b32_e32 v10, 8, v10
	v_lshl_add_u32 v25, v25, 10, v48
	v_cndmask_b32_e64 v16, v16, v32, s[4:5]
	v_and_or_b32 v10, v10, s19, v25
	v_lshl_or_b32 v10, v16, 7, v10
	v_cvt_f32_f16_e32 v25, v10
.LBB321_673:                            ;   in Loop: Header=BB321_427 Depth=1
	s_or_b64 exec, exec, s[26:27]
.LBB321_674:                            ;   in Loop: Header=BB321_427 Depth=1
	s_or_b64 exec, exec, s[24:25]
.LBB321_675:                            ;   in Loop: Header=BB321_427 Depth=1
	s_or_b64 exec, exec, s[22:23]
	v_pk_mul_f32 v[30:31], v[24:25], v[30:31] op_sel_hi:[0,1]
	v_pk_mul_f32 v[28:29], v[24:25], v[28:29] op_sel_hi:[0,1]
	v_cvt_f16_f32_e32 v10, v31
	v_cvt_f16_f32_e32 v16, v30
	v_cvt_f16_f32_e32 v27, v29
	v_cvt_f16_f32_e32 v28, v28
	v_fma_mixlo_f16 v6, v24, v6, 0
	v_pack_b32_f16 v16, v16, v10
	v_fma_mixlo_f16 v26, v24, v26, 0
	v_pack_b32_f16 v27, v28, v27
	v_perm_b32 v10, v27, v16, s29
	v_perm_b32 v27, v27, v16, s30
	v_fma_mixlo_f16 v16, v24, v22, 0
	v_lshlrev_b32_e32 v16, 16, v16
	v_or_b32_sdwa v6, v16, v6 dst_sel:DWORD dst_unused:UNUSED_PAD src0_sel:DWORD src1_sel:WORD_0
	v_fma_mixlo_f16 v16, v24, v25, 0
	v_lshlrev_b32_e32 v16, 16, v16
	v_or_b32_sdwa v22, v16, v26 dst_sel:DWORD dst_unused:UNUSED_PAD src0_sel:DWORD src1_sel:WORD_0
	s_and_saveexec_b64 s[22:23], vcc
	s_cbranch_execz .LBB321_677
; %bb.676:                              ;   in Loop: Header=BB321_427 Depth=1
	v_lshrrev_b32_e32 v16, 16, v27
	v_cmp_lt_i32_e64 s[4:5], v44, v17
	v_accvgpr_read_b32 v28, a8
	v_cndmask_b32_e64 v16, 0, v16, s[4:5]
	v_cmp_lt_i32_e64 s[4:5], v7, v28
	v_cndmask_b32_e64 v24, 0, v27, s[4:5]
	v_perm_b32 v27, v16, v24, s31
	v_lshrrev_b32_e32 v16, 16, v10
	v_cmp_lt_i32_e64 s[4:5], v55, v17
	v_cndmask_b32_e64 v16, 0, v16, s[4:5]
	v_cmp_lt_i32_e64 s[4:5], v54, v28
	v_cndmask_b32_e64 v10, 0, v10, s[4:5]
	v_perm_b32 v10, v16, v10, s31
	v_lshrrev_b32_e32 v16, 16, v6
	v_cmp_lt_i32_e64 s[4:5], v53, v17
	;; [unrolled: 6-line block ×3, first 2 shown]
	v_cndmask_b32_e64 v16, 0, v16, s[4:5]
	v_cmp_lt_i32_e64 s[4:5], v50, v28
	v_cndmask_b32_e64 v22, 0, v26, s[4:5]
	v_perm_b32 v22, v16, v22, s31
.LBB321_677:                            ;   in Loop: Header=BB321_427 Depth=1
	s_or_b64 exec, exec, s[22:23]
	;;#ASMSTART
	v_pk_mul_f16 v16, v40, v27;

	;;#ASMEND
	;;#ASMSTART
	v_pk_mul_f16 v10, v41, v10;

	;;#ASMEND
	;; [unrolled: 4-line block ×4, first 2 shown]
	;;#ASMSTART
	v_pk_add_f16 v10, v16, v10;

	;;#ASMEND
	;;#ASMSTART
	v_pk_add_f16 v6, v10, v6;

	;;#ASMEND
	;; [unrolled: 4-line block ×3, first 2 shown]
	v_accvgpr_read_b32 v25, a5
	v_lshrrev_b32_e32 v10, 16, v6
	v_and_b32_e32 v6, 0xffff, v6
	;;#ASMSTART
	v_cvt_f32_f16 v35, v6;
	;;#ASMEND
	;;#ASMSTART
	v_cvt_f32_f16 v58, v10;
	;;#ASMEND
	flat_load_dwordx2 v[32:33], v[18:19] offset:2560
	v_accvgpr_read_b32 v24, a4
	flat_load_dword v24, v[24:25]
	v_mov_b32_e32 v30, 0
	v_mov_b32_e32 v28, 0
	s_waitcnt vmcnt(0) lgkmcnt(0)
	v_cmp_ne_u16_sdwa s[4:5], v32, v11 src0_sel:BYTE_0 src1_sel:DWORD
	s_and_saveexec_b64 s[22:23], s[4:5]
	s_cbranch_execz .LBB321_683
; %bb.678:                              ;   in Loop: Header=BB321_427 Depth=1
	v_cmp_ne_u16_sdwa s[4:5], v32, s7 src0_sel:BYTE_0 src1_sel:DWORD
	v_bfrev_b32_e32 v28, 1
	s_and_saveexec_b64 s[24:25], s[4:5]
	s_cbranch_execz .LBB321_682
; %bb.679:                              ;   in Loop: Header=BB321_427 Depth=1
	v_and_b32_e32 v6, 0x7f, v32
	v_cmp_ne_u32_e64 s[4:5], s15, v6
	v_mov_b32_e32 v28, 0x7fc02000
	s_and_saveexec_b64 s[26:27], s[4:5]
	s_cbranch_execz .LBB321_681
; %bb.680:                              ;   in Loop: Header=BB321_427 Depth=1
	v_and_b32_e32 v10, 7, v32
	v_ffbh_u32_e32 v10, v10
	v_min_u32_e32 v10, 32, v10
	v_subrev_u32_e32 v22, 28, v10
	v_cmp_gt_u32_e64 s[4:5], 8, v6
	v_lshrrev_b32_e32 v16, 3, v6
	v_sub_u32_e32 v10, 29, v10
	v_cndmask_b32_e64 v6, 0, v22, s[4:5]
	v_lshlrev_b64 v[26:27], v6, v[32:33]
	v_cndmask_b32_e64 v6, v16, v10, s[4:5]
	v_lshlrev_b32_e32 v16, 8, v32
	v_lshl_add_u32 v6, v6, 10, v48
	v_lshlrev_b32_e32 v10, 7, v26
	v_and_or_b32 v6, v16, s19, v6
	v_and_or_b32 v6, v10, s28, v6
	v_cvt_f32_f16_e32 v28, v6
.LBB321_681:                            ;   in Loop: Header=BB321_427 Depth=1
	s_or_b64 exec, exec, s[26:27]
.LBB321_682:                            ;   in Loop: Header=BB321_427 Depth=1
	s_or_b64 exec, exec, s[24:25]
.LBB321_683:                            ;   in Loop: Header=BB321_427 Depth=1
	s_or_b64 exec, exec, s[22:23]
	v_lshrrev_b16_e32 v10, 8, v32
	v_cmp_ne_u16_e64 s[4:5], 0, v10
	s_and_saveexec_b64 s[22:23], s[4:5]
	s_cbranch_execz .LBB321_689
; %bb.684:                              ;   in Loop: Header=BB321_427 Depth=1
	v_cmp_ne_u16_e64 s[4:5], s7, v10
	v_bfrev_b32_e32 v30, 1
	s_and_saveexec_b64 s[24:25], s[4:5]
	s_cbranch_execz .LBB321_688
; %bb.685:                              ;   in Loop: Header=BB321_427 Depth=1
	v_and_b32_e32 v6, 0x7f, v10
	v_cmp_ne_u32_e64 s[4:5], s15, v6
	v_mov_b32_e32 v30, 0x7fc02000
	s_and_saveexec_b64 s[26:27], s[4:5]
	s_cbranch_execz .LBB321_687
; %bb.686:                              ;   in Loop: Header=BB321_427 Depth=1
	v_and_b32_e32 v16, 7, v10
	v_ffbh_u32_e32 v25, v16
	v_min_u32_e32 v25, 32, v25
	v_lshrrev_b32_e32 v22, 3, v6
	v_subrev_u32_e32 v26, 28, v25
	v_sub_u32_e32 v25, 29, v25
	v_cmp_gt_u32_e64 s[4:5], 8, v6
	v_lshlrev_b64 v[26:27], v26, v[10:11]
	v_cndmask_b32_e64 v6, v22, v25, s[4:5]
	v_and_b32_e32 v26, 7, v26
	v_lshlrev_b32_e32 v10, 8, v10
	v_lshl_add_u32 v6, v6, 10, v48
	v_cndmask_b32_e64 v16, v16, v26, s[4:5]
	v_and_or_b32 v6, v10, s19, v6
	v_lshl_or_b32 v6, v16, 7, v6
	v_cvt_f32_f16_e32 v30, v6
.LBB321_687:                            ;   in Loop: Header=BB321_427 Depth=1
	s_or_b64 exec, exec, s[26:27]
.LBB321_688:                            ;   in Loop: Header=BB321_427 Depth=1
	s_or_b64 exec, exec, s[24:25]
.LBB321_689:                            ;   in Loop: Header=BB321_427 Depth=1
	s_or_b64 exec, exec, s[22:23]
	v_lshrrev_b32_e32 v10, 16, v32
	v_cmp_ne_u16_sdwa s[4:5], v10, v11 src0_sel:BYTE_0 src1_sel:DWORD
	v_mov_b32_e32 v31, 0
	v_mov_b32_e32 v29, 0
	s_and_saveexec_b64 s[22:23], s[4:5]
	s_cbranch_execz .LBB321_695
; %bb.690:                              ;   in Loop: Header=BB321_427 Depth=1
	v_cmp_ne_u16_sdwa s[4:5], v10, s7 src0_sel:BYTE_0 src1_sel:DWORD
	v_bfrev_b32_e32 v29, 1
	s_and_saveexec_b64 s[24:25], s[4:5]
	s_cbranch_execz .LBB321_694
; %bb.691:                              ;   in Loop: Header=BB321_427 Depth=1
	v_bfe_u32 v6, v32, 16, 7
	v_cmp_ne_u32_e64 s[4:5], s15, v6
	v_mov_b32_e32 v29, 0x7fc02000
	s_and_saveexec_b64 s[26:27], s[4:5]
	s_cbranch_execz .LBB321_693
; %bb.692:                              ;   in Loop: Header=BB321_427 Depth=1
	v_and_b32_e32 v16, 7, v10
	v_ffbh_u32_e32 v25, v16
	v_min_u32_e32 v25, 32, v25
	v_lshrrev_b32_e32 v22, 3, v6
	v_subrev_u32_e32 v26, 28, v25
	v_sub_u32_e32 v25, 29, v25
	v_cmp_gt_u32_e64 s[4:5], 8, v6
	v_lshlrev_b64 v[26:27], v26, v[10:11]
	v_cndmask_b32_e64 v6, v22, v25, s[4:5]
	v_and_b32_e32 v26, 7, v26
	v_lshlrev_b32_e32 v10, 8, v10
	v_lshl_add_u32 v6, v6, 10, v48
	v_cndmask_b32_e64 v16, v16, v26, s[4:5]
	v_and_or_b32 v6, v10, s19, v6
	v_lshl_or_b32 v6, v16, 7, v6
	v_cvt_f32_f16_e32 v29, v6
.LBB321_693:                            ;   in Loop: Header=BB321_427 Depth=1
	s_or_b64 exec, exec, s[26:27]
.LBB321_694:                            ;   in Loop: Header=BB321_427 Depth=1
	s_or_b64 exec, exec, s[24:25]
.LBB321_695:                            ;   in Loop: Header=BB321_427 Depth=1
	s_or_b64 exec, exec, s[22:23]
	v_cmp_lt_u32_e64 s[4:5], s11, v32
	s_and_saveexec_b64 s[22:23], s[4:5]
	s_cbranch_execz .LBB321_701
; %bb.696:                              ;   in Loop: Header=BB321_427 Depth=1
	v_lshrrev_b32_e32 v10, 24, v32
	v_cmp_ne_u32_e64 s[4:5], s7, v10
	v_bfrev_b32_e32 v31, 1
	s_and_saveexec_b64 s[24:25], s[4:5]
	s_cbranch_execz .LBB321_700
; %bb.697:                              ;   in Loop: Header=BB321_427 Depth=1
	v_and_b32_e32 v6, 0x7f, v10
	v_cmp_ne_u32_e64 s[4:5], s15, v6
	v_mov_b32_e32 v31, 0x7fc02000
	s_and_saveexec_b64 s[26:27], s[4:5]
	s_cbranch_execz .LBB321_699
; %bb.698:                              ;   in Loop: Header=BB321_427 Depth=1
	v_and_b32_e32 v16, 7, v10
	v_ffbh_u32_e32 v25, v16
	v_min_u32_e32 v25, 32, v25
	v_lshrrev_b32_e32 v22, 3, v6
	v_subrev_u32_e32 v26, 28, v25
	v_sub_u32_e32 v25, 29, v25
	v_cmp_gt_u32_e64 s[4:5], 8, v6
	v_lshlrev_b64 v[26:27], v26, v[10:11]
	v_cndmask_b32_e64 v6, v22, v25, s[4:5]
	v_and_b32_e32 v26, 7, v26
	v_lshlrev_b32_e32 v10, 8, v10
	v_lshl_add_u32 v6, v6, 10, v48
	v_cndmask_b32_e64 v16, v16, v26, s[4:5]
	v_and_or_b32 v6, v10, s19, v6
	v_lshl_or_b32 v6, v16, 7, v6
	v_cvt_f32_f16_e32 v31, v6
.LBB321_699:                            ;   in Loop: Header=BB321_427 Depth=1
	s_or_b64 exec, exec, s[26:27]
.LBB321_700:                            ;   in Loop: Header=BB321_427 Depth=1
	s_or_b64 exec, exec, s[24:25]
.LBB321_701:                            ;   in Loop: Header=BB321_427 Depth=1
	s_or_b64 exec, exec, s[22:23]
	v_mov_b32_e32 v10, v33
	v_cmp_ne_u16_sdwa s[4:5], v33, v11 src0_sel:BYTE_0 src1_sel:DWORD
	v_mov_b32_e32 v22, 0
	v_mov_b32_e32 v6, 0
	s_and_saveexec_b64 s[22:23], s[4:5]
	s_cbranch_execz .LBB321_707
; %bb.702:                              ;   in Loop: Header=BB321_427 Depth=1
	v_cmp_ne_u16_sdwa s[4:5], v33, s7 src0_sel:BYTE_0 src1_sel:DWORD
	v_bfrev_b32_e32 v6, 1
	s_and_saveexec_b64 s[24:25], s[4:5]
	s_cbranch_execz .LBB321_706
; %bb.703:                              ;   in Loop: Header=BB321_427 Depth=1
	v_and_b32_e32 v25, 0x7f, v33
	v_cmp_ne_u32_e64 s[4:5], s15, v25
	v_mov_b32_e32 v6, 0x7fc02000
	s_and_saveexec_b64 s[26:27], s[4:5]
	s_cbranch_execz .LBB321_705
; %bb.704:                              ;   in Loop: Header=BB321_427 Depth=1
	v_and_b32_e32 v6, 7, v33
	v_ffbh_u32_e32 v6, v6
	v_min_u32_e32 v6, 32, v6
	v_lshrrev_b32_e32 v16, 3, v25
	v_subrev_u32_e32 v26, 28, v6
	v_sub_u32_e32 v6, 29, v6
	v_cmp_gt_u32_e64 s[4:5], 8, v25
	v_cndmask_b32_e64 v25, 0, v26, s[4:5]
	v_cndmask_b32_e64 v6, v16, v6, s[4:5]
	v_lshlrev_b64 v[26:27], v25, v[10:11]
	v_lshlrev_b32_e32 v25, 8, v33
	v_lshl_add_u32 v6, v6, 10, v48
	v_lshlrev_b32_e32 v16, 7, v26
	v_and_or_b32 v6, v25, s19, v6
	v_and_or_b32 v6, v16, s28, v6
	v_cvt_f32_f16_e32 v6, v6
.LBB321_705:                            ;   in Loop: Header=BB321_427 Depth=1
	s_or_b64 exec, exec, s[26:27]
.LBB321_706:                            ;   in Loop: Header=BB321_427 Depth=1
	s_or_b64 exec, exec, s[24:25]
.LBB321_707:                            ;   in Loop: Header=BB321_427 Depth=1
	s_or_b64 exec, exec, s[22:23]
	v_lshrrev_b16_e32 v10, 8, v10
	v_cmp_ne_u16_e64 s[4:5], 0, v10
	s_and_saveexec_b64 s[22:23], s[4:5]
	s_cbranch_execz .LBB321_713
; %bb.708:                              ;   in Loop: Header=BB321_427 Depth=1
	v_cmp_ne_u16_e64 s[4:5], s7, v10
	v_bfrev_b32_e32 v22, 1
	s_and_saveexec_b64 s[24:25], s[4:5]
	s_cbranch_execz .LBB321_712
; %bb.709:                              ;   in Loop: Header=BB321_427 Depth=1
	v_and_b32_e32 v25, 0x7f, v10
	v_cmp_ne_u32_e64 s[4:5], s15, v25
	v_mov_b32_e32 v22, 0x7fc02000
	s_and_saveexec_b64 s[26:27], s[4:5]
	s_cbranch_execz .LBB321_711
; %bb.710:                              ;   in Loop: Header=BB321_427 Depth=1
	v_and_b32_e32 v16, 7, v10
	v_ffbh_u32_e32 v26, v16
	v_min_u32_e32 v36, 32, v26
	v_subrev_u32_e32 v26, 28, v36
	v_lshlrev_b64 v[26:27], v26, v[10:11]
	v_lshrrev_b32_e32 v22, 3, v25
	v_sub_u32_e32 v27, 29, v36
	v_cmp_gt_u32_e64 s[4:5], 8, v25
	v_cndmask_b32_e64 v22, v22, v27, s[4:5]
	v_and_b32_e32 v26, 7, v26
	v_lshlrev_b32_e32 v10, 8, v10
	v_lshl_add_u32 v22, v22, 10, v48
	v_cndmask_b32_e64 v16, v16, v26, s[4:5]
	v_and_or_b32 v10, v10, s19, v22
	v_lshl_or_b32 v10, v16, 7, v10
	v_cvt_f32_f16_e32 v22, v10
.LBB321_711:                            ;   in Loop: Header=BB321_427 Depth=1
	s_or_b64 exec, exec, s[26:27]
.LBB321_712:                            ;   in Loop: Header=BB321_427 Depth=1
	s_or_b64 exec, exec, s[24:25]
.LBB321_713:                            ;   in Loop: Header=BB321_427 Depth=1
	s_or_b64 exec, exec, s[22:23]
	v_lshrrev_b32_e32 v10, 16, v33
	v_cmp_ne_u16_sdwa s[4:5], v10, v11 src0_sel:BYTE_0 src1_sel:DWORD
	v_mov_b32_e32 v25, 0
	v_mov_b32_e32 v26, 0
	s_and_saveexec_b64 s[22:23], s[4:5]
	s_cbranch_execz .LBB321_719
; %bb.714:                              ;   in Loop: Header=BB321_427 Depth=1
	v_cmp_ne_u16_sdwa s[4:5], v10, s7 src0_sel:BYTE_0 src1_sel:DWORD
	v_bfrev_b32_e32 v26, 1
	s_and_saveexec_b64 s[24:25], s[4:5]
	s_cbranch_execz .LBB321_718
; %bb.715:                              ;   in Loop: Header=BB321_427 Depth=1
	v_bfe_u32 v27, v33, 16, 7
	v_cmp_ne_u32_e64 s[4:5], s15, v27
	v_mov_b32_e32 v26, 0x7fc02000
	s_and_saveexec_b64 s[26:27], s[4:5]
	s_cbranch_execz .LBB321_717
; %bb.716:                              ;   in Loop: Header=BB321_427 Depth=1
	v_and_b32_e32 v16, 7, v10
	v_ffbh_u32_e32 v36, v16
	v_min_u32_e32 v36, 32, v36
	v_lshrrev_b32_e32 v26, 3, v27
	v_subrev_u32_e32 v37, 28, v36
	v_sub_u32_e32 v36, 29, v36
	v_cmp_gt_u32_e64 s[4:5], 8, v27
	v_lshlrev_b64 v[60:61], v37, v[10:11]
	v_cndmask_b32_e64 v26, v26, v36, s[4:5]
	v_and_b32_e32 v37, 7, v60
	v_lshlrev_b32_e32 v10, 8, v10
	v_lshl_add_u32 v26, v26, 10, v48
	v_cndmask_b32_e64 v16, v16, v37, s[4:5]
	v_and_or_b32 v10, v10, s19, v26
	v_lshl_or_b32 v10, v16, 7, v10
	v_cvt_f32_f16_e32 v26, v10
.LBB321_717:                            ;   in Loop: Header=BB321_427 Depth=1
	s_or_b64 exec, exec, s[26:27]
.LBB321_718:                            ;   in Loop: Header=BB321_427 Depth=1
	s_or_b64 exec, exec, s[24:25]
.LBB321_719:                            ;   in Loop: Header=BB321_427 Depth=1
	s_or_b64 exec, exec, s[22:23]
	v_cmp_lt_u64_e64 s[4:5], s[10:11], v[32:33]
	s_and_saveexec_b64 s[22:23], s[4:5]
	s_cbranch_execz .LBB321_725
; %bb.720:                              ;   in Loop: Header=BB321_427 Depth=1
	v_lshrrev_b32_e32 v10, 24, v33
	v_cmp_ne_u32_e64 s[4:5], s7, v10
	v_bfrev_b32_e32 v25, 1
	s_and_saveexec_b64 s[24:25], s[4:5]
	s_cbranch_execz .LBB321_724
; %bb.721:                              ;   in Loop: Header=BB321_427 Depth=1
	v_and_b32_e32 v27, 0x7f, v10
	v_cmp_ne_u32_e64 s[4:5], s15, v27
	v_mov_b32_e32 v25, 0x7fc02000
	s_and_saveexec_b64 s[26:27], s[4:5]
	s_cbranch_execz .LBB321_723
; %bb.722:                              ;   in Loop: Header=BB321_427 Depth=1
	v_and_b32_e32 v16, 7, v10
	v_ffbh_u32_e32 v32, v16
	v_min_u32_e32 v36, 32, v32
	v_subrev_u32_e32 v32, 28, v36
	v_lshlrev_b64 v[32:33], v32, v[10:11]
	v_lshrrev_b32_e32 v25, 3, v27
	v_sub_u32_e32 v33, 29, v36
	v_cmp_gt_u32_e64 s[4:5], 8, v27
	v_cndmask_b32_e64 v25, v25, v33, s[4:5]
	v_and_b32_e32 v32, 7, v32
	v_lshlrev_b32_e32 v10, 8, v10
	v_lshl_add_u32 v25, v25, 10, v48
	v_cndmask_b32_e64 v16, v16, v32, s[4:5]
	v_and_or_b32 v10, v10, s19, v25
	v_lshl_or_b32 v10, v16, 7, v10
	v_cvt_f32_f16_e32 v25, v10
.LBB321_723:                            ;   in Loop: Header=BB321_427 Depth=1
	s_or_b64 exec, exec, s[26:27]
.LBB321_724:                            ;   in Loop: Header=BB321_427 Depth=1
	s_or_b64 exec, exec, s[24:25]
.LBB321_725:                            ;   in Loop: Header=BB321_427 Depth=1
	s_or_b64 exec, exec, s[22:23]
	v_pk_mul_f32 v[30:31], v[24:25], v[30:31] op_sel_hi:[0,1]
	v_pk_mul_f32 v[28:29], v[24:25], v[28:29] op_sel_hi:[0,1]
	v_cvt_f16_f32_e32 v10, v31
	v_cvt_f16_f32_e32 v16, v30
	;; [unrolled: 1-line block ×4, first 2 shown]
	v_fma_mixlo_f16 v6, v24, v6, 0
	v_pack_b32_f16 v16, v16, v10
	v_fma_mixlo_f16 v26, v24, v26, 0
	v_pack_b32_f16 v27, v28, v27
	v_perm_b32 v10, v27, v16, s29
	v_perm_b32 v27, v27, v16, s30
	v_fma_mixlo_f16 v16, v24, v22, 0
	v_lshlrev_b32_e32 v16, 16, v16
	v_or_b32_sdwa v6, v16, v6 dst_sel:DWORD dst_unused:UNUSED_PAD src0_sel:DWORD src1_sel:WORD_0
	v_fma_mixlo_f16 v16, v24, v25, 0
	v_lshlrev_b32_e32 v16, 16, v16
	v_or_b32_sdwa v22, v16, v26 dst_sel:DWORD dst_unused:UNUSED_PAD src0_sel:DWORD src1_sel:WORD_0
	s_and_saveexec_b64 s[22:23], vcc
	s_cbranch_execz .LBB321_727
; %bb.726:                              ;   in Loop: Header=BB321_427 Depth=1
	v_lshrrev_b32_e32 v16, 16, v27
	v_cmp_lt_i32_e64 s[4:5], v44, v17
	v_accvgpr_read_b32 v28, a8
	v_cndmask_b32_e64 v16, 0, v16, s[4:5]
	v_cmp_lt_i32_e64 s[4:5], v7, v28
	v_cndmask_b32_e64 v24, 0, v27, s[4:5]
	v_perm_b32 v27, v16, v24, s31
	v_lshrrev_b32_e32 v16, 16, v10
	v_cmp_lt_i32_e64 s[4:5], v55, v17
	v_cndmask_b32_e64 v16, 0, v16, s[4:5]
	v_cmp_lt_i32_e64 s[4:5], v54, v28
	v_cndmask_b32_e64 v10, 0, v10, s[4:5]
	v_perm_b32 v10, v16, v10, s31
	v_lshrrev_b32_e32 v16, 16, v6
	v_cmp_lt_i32_e64 s[4:5], v53, v17
	;; [unrolled: 6-line block ×3, first 2 shown]
	v_cndmask_b32_e64 v16, 0, v16, s[4:5]
	v_cmp_lt_i32_e64 s[4:5], v50, v28
	v_cndmask_b32_e64 v22, 0, v26, s[4:5]
	v_perm_b32 v22, v16, v22, s31
.LBB321_727:                            ;   in Loop: Header=BB321_427 Depth=1
	s_or_b64 exec, exec, s[22:23]
	;;#ASMSTART
	v_pk_mul_f16 v16, v40, v27;

	;;#ASMEND
	;;#ASMSTART
	v_pk_mul_f16 v10, v41, v10;

	;;#ASMEND
	;; [unrolled: 4-line block ×4, first 2 shown]
	;;#ASMSTART
	v_pk_add_f16 v10, v16, v10;

	;;#ASMEND
	;;#ASMSTART
	v_pk_add_f16 v6, v10, v6;

	;;#ASMEND
	;; [unrolled: 4-line block ×3, first 2 shown]
	v_accvgpr_read_b32 v25, a5
	v_lshrrev_b32_e32 v10, 16, v6
	v_and_b32_e32 v6, 0xffff, v6
	;;#ASMSTART
	v_cvt_f32_f16 v22, v6;
	;;#ASMEND
	;;#ASMSTART
	v_cvt_f32_f16 v59, v10;
	;;#ASMEND
	flat_load_dwordx2 v[32:33], v[18:19] offset:3072
	v_accvgpr_read_b32 v24, a4
	flat_load_dword v24, v[24:25]
	v_mov_b32_e32 v30, 0
	v_mov_b32_e32 v28, 0
	s_waitcnt vmcnt(0) lgkmcnt(0)
	v_cmp_ne_u16_sdwa s[4:5], v32, v11 src0_sel:BYTE_0 src1_sel:DWORD
	s_and_saveexec_b64 s[22:23], s[4:5]
	s_cbranch_execz .LBB321_733
; %bb.728:                              ;   in Loop: Header=BB321_427 Depth=1
	v_cmp_ne_u16_sdwa s[4:5], v32, s7 src0_sel:BYTE_0 src1_sel:DWORD
	v_bfrev_b32_e32 v28, 1
	s_and_saveexec_b64 s[24:25], s[4:5]
	s_cbranch_execz .LBB321_732
; %bb.729:                              ;   in Loop: Header=BB321_427 Depth=1
	v_and_b32_e32 v6, 0x7f, v32
	v_cmp_ne_u32_e64 s[4:5], s15, v6
	v_mov_b32_e32 v28, 0x7fc02000
	s_and_saveexec_b64 s[26:27], s[4:5]
	s_cbranch_execz .LBB321_731
; %bb.730:                              ;   in Loop: Header=BB321_427 Depth=1
	v_and_b32_e32 v10, 7, v32
	v_ffbh_u32_e32 v10, v10
	v_min_u32_e32 v10, 32, v10
	v_subrev_u32_e32 v25, 28, v10
	v_cmp_gt_u32_e64 s[4:5], 8, v6
	v_lshrrev_b32_e32 v16, 3, v6
	v_sub_u32_e32 v10, 29, v10
	v_cndmask_b32_e64 v6, 0, v25, s[4:5]
	v_lshlrev_b64 v[26:27], v6, v[32:33]
	v_cndmask_b32_e64 v6, v16, v10, s[4:5]
	v_lshlrev_b32_e32 v16, 8, v32
	v_lshl_add_u32 v6, v6, 10, v48
	v_lshlrev_b32_e32 v10, 7, v26
	v_and_or_b32 v6, v16, s19, v6
	v_and_or_b32 v6, v10, s28, v6
	v_cvt_f32_f16_e32 v28, v6
.LBB321_731:                            ;   in Loop: Header=BB321_427 Depth=1
	s_or_b64 exec, exec, s[26:27]
.LBB321_732:                            ;   in Loop: Header=BB321_427 Depth=1
	s_or_b64 exec, exec, s[24:25]
.LBB321_733:                            ;   in Loop: Header=BB321_427 Depth=1
	s_or_b64 exec, exec, s[22:23]
	v_lshrrev_b16_e32 v10, 8, v32
	v_cmp_ne_u16_e64 s[4:5], 0, v10
	s_and_saveexec_b64 s[22:23], s[4:5]
	s_cbranch_execz .LBB321_739
; %bb.734:                              ;   in Loop: Header=BB321_427 Depth=1
	v_cmp_ne_u16_e64 s[4:5], s7, v10
	v_bfrev_b32_e32 v30, 1
	s_and_saveexec_b64 s[24:25], s[4:5]
	s_cbranch_execz .LBB321_738
; %bb.735:                              ;   in Loop: Header=BB321_427 Depth=1
	v_and_b32_e32 v6, 0x7f, v10
	v_cmp_ne_u32_e64 s[4:5], s15, v6
	v_mov_b32_e32 v30, 0x7fc02000
	s_and_saveexec_b64 s[26:27], s[4:5]
	s_cbranch_execz .LBB321_737
; %bb.736:                              ;   in Loop: Header=BB321_427 Depth=1
	v_and_b32_e32 v16, 7, v10
	v_ffbh_u32_e32 v26, v16
	v_min_u32_e32 v29, 32, v26
	v_subrev_u32_e32 v26, 28, v29
	v_lshlrev_b64 v[26:27], v26, v[10:11]
	v_lshrrev_b32_e32 v25, 3, v6
	v_sub_u32_e32 v27, 29, v29
	v_cmp_gt_u32_e64 s[4:5], 8, v6
	v_cndmask_b32_e64 v6, v25, v27, s[4:5]
	v_and_b32_e32 v26, 7, v26
	v_lshlrev_b32_e32 v10, 8, v10
	v_lshl_add_u32 v6, v6, 10, v48
	v_cndmask_b32_e64 v16, v16, v26, s[4:5]
	v_and_or_b32 v6, v10, s19, v6
	v_lshl_or_b32 v6, v16, 7, v6
	v_cvt_f32_f16_e32 v30, v6
.LBB321_737:                            ;   in Loop: Header=BB321_427 Depth=1
	s_or_b64 exec, exec, s[26:27]
.LBB321_738:                            ;   in Loop: Header=BB321_427 Depth=1
	s_or_b64 exec, exec, s[24:25]
.LBB321_739:                            ;   in Loop: Header=BB321_427 Depth=1
	s_or_b64 exec, exec, s[22:23]
	v_lshrrev_b32_e32 v10, 16, v32
	v_cmp_ne_u16_sdwa s[4:5], v10, v11 src0_sel:BYTE_0 src1_sel:DWORD
	v_mov_b32_e32 v31, 0
	v_mov_b32_e32 v29, 0
	s_and_saveexec_b64 s[22:23], s[4:5]
	s_cbranch_execz .LBB321_745
; %bb.740:                              ;   in Loop: Header=BB321_427 Depth=1
	v_cmp_ne_u16_sdwa s[4:5], v10, s7 src0_sel:BYTE_0 src1_sel:DWORD
	v_bfrev_b32_e32 v29, 1
	s_and_saveexec_b64 s[24:25], s[4:5]
	s_cbranch_execz .LBB321_744
; %bb.741:                              ;   in Loop: Header=BB321_427 Depth=1
	v_bfe_u32 v6, v32, 16, 7
	v_cmp_ne_u32_e64 s[4:5], s15, v6
	v_mov_b32_e32 v29, 0x7fc02000
	s_and_saveexec_b64 s[26:27], s[4:5]
	s_cbranch_execz .LBB321_743
; %bb.742:                              ;   in Loop: Header=BB321_427 Depth=1
	v_and_b32_e32 v16, 7, v10
	v_ffbh_u32_e32 v26, v16
	v_min_u32_e32 v29, 32, v26
	v_subrev_u32_e32 v26, 28, v29
	v_lshlrev_b64 v[26:27], v26, v[10:11]
	v_lshrrev_b32_e32 v25, 3, v6
	v_sub_u32_e32 v27, 29, v29
	v_cmp_gt_u32_e64 s[4:5], 8, v6
	v_cndmask_b32_e64 v6, v25, v27, s[4:5]
	v_and_b32_e32 v26, 7, v26
	v_lshlrev_b32_e32 v10, 8, v10
	v_lshl_add_u32 v6, v6, 10, v48
	v_cndmask_b32_e64 v16, v16, v26, s[4:5]
	v_and_or_b32 v6, v10, s19, v6
	v_lshl_or_b32 v6, v16, 7, v6
	v_cvt_f32_f16_e32 v29, v6
.LBB321_743:                            ;   in Loop: Header=BB321_427 Depth=1
	s_or_b64 exec, exec, s[26:27]
.LBB321_744:                            ;   in Loop: Header=BB321_427 Depth=1
	s_or_b64 exec, exec, s[24:25]
.LBB321_745:                            ;   in Loop: Header=BB321_427 Depth=1
	s_or_b64 exec, exec, s[22:23]
	v_cmp_lt_u32_e64 s[4:5], s11, v32
	s_and_saveexec_b64 s[22:23], s[4:5]
	s_cbranch_execz .LBB321_751
; %bb.746:                              ;   in Loop: Header=BB321_427 Depth=1
	v_lshrrev_b32_e32 v10, 24, v32
	v_cmp_ne_u32_e64 s[4:5], s7, v10
	v_bfrev_b32_e32 v31, 1
	s_and_saveexec_b64 s[24:25], s[4:5]
	s_cbranch_execz .LBB321_750
; %bb.747:                              ;   in Loop: Header=BB321_427 Depth=1
	v_and_b32_e32 v6, 0x7f, v10
	v_cmp_ne_u32_e64 s[4:5], s15, v6
	v_mov_b32_e32 v31, 0x7fc02000
	s_and_saveexec_b64 s[26:27], s[4:5]
	s_cbranch_execz .LBB321_749
; %bb.748:                              ;   in Loop: Header=BB321_427 Depth=1
	v_and_b32_e32 v16, 7, v10
	v_ffbh_u32_e32 v26, v16
	v_min_u32_e32 v31, 32, v26
	v_subrev_u32_e32 v26, 28, v31
	v_lshlrev_b64 v[26:27], v26, v[10:11]
	v_lshrrev_b32_e32 v25, 3, v6
	v_sub_u32_e32 v27, 29, v31
	v_cmp_gt_u32_e64 s[4:5], 8, v6
	v_cndmask_b32_e64 v6, v25, v27, s[4:5]
	v_and_b32_e32 v26, 7, v26
	v_lshlrev_b32_e32 v10, 8, v10
	v_lshl_add_u32 v6, v6, 10, v48
	v_cndmask_b32_e64 v16, v16, v26, s[4:5]
	v_and_or_b32 v6, v10, s19, v6
	v_lshl_or_b32 v6, v16, 7, v6
	v_cvt_f32_f16_e32 v31, v6
.LBB321_749:                            ;   in Loop: Header=BB321_427 Depth=1
	s_or_b64 exec, exec, s[26:27]
.LBB321_750:                            ;   in Loop: Header=BB321_427 Depth=1
	s_or_b64 exec, exec, s[24:25]
.LBB321_751:                            ;   in Loop: Header=BB321_427 Depth=1
	s_or_b64 exec, exec, s[22:23]
	v_mov_b32_e32 v10, v33
	v_cmp_ne_u16_sdwa s[4:5], v33, v11 src0_sel:BYTE_0 src1_sel:DWORD
	v_mov_b32_e32 v25, 0
	v_mov_b32_e32 v6, 0
	s_and_saveexec_b64 s[22:23], s[4:5]
	s_cbranch_execz .LBB321_757
; %bb.752:                              ;   in Loop: Header=BB321_427 Depth=1
	v_cmp_ne_u16_sdwa s[4:5], v33, s7 src0_sel:BYTE_0 src1_sel:DWORD
	v_bfrev_b32_e32 v6, 1
	s_and_saveexec_b64 s[24:25], s[4:5]
	s_cbranch_execz .LBB321_756
; %bb.753:                              ;   in Loop: Header=BB321_427 Depth=1
	v_and_b32_e32 v26, 0x7f, v33
	v_cmp_ne_u32_e64 s[4:5], s15, v26
	v_mov_b32_e32 v6, 0x7fc02000
	s_and_saveexec_b64 s[26:27], s[4:5]
	s_cbranch_execz .LBB321_755
; %bb.754:                              ;   in Loop: Header=BB321_427 Depth=1
	v_and_b32_e32 v6, 7, v33
	v_ffbh_u32_e32 v6, v6
	v_min_u32_e32 v6, 32, v6
	v_subrev_u32_e32 v27, 28, v6
	v_cmp_gt_u32_e64 s[4:5], 8, v26
	v_lshrrev_b32_e32 v16, 3, v26
	v_sub_u32_e32 v6, 29, v6
	v_cndmask_b32_e64 v26, 0, v27, s[4:5]
	v_lshlrev_b64 v[26:27], v26, v[10:11]
	v_cndmask_b32_e64 v6, v16, v6, s[4:5]
	v_lshlrev_b32_e32 v16, 7, v26
	v_lshlrev_b32_e32 v26, 8, v33
	v_lshl_add_u32 v6, v6, 10, v48
	v_and_or_b32 v6, v26, s19, v6
	v_and_or_b32 v6, v16, s28, v6
	v_cvt_f32_f16_e32 v6, v6
.LBB321_755:                            ;   in Loop: Header=BB321_427 Depth=1
	s_or_b64 exec, exec, s[26:27]
.LBB321_756:                            ;   in Loop: Header=BB321_427 Depth=1
	s_or_b64 exec, exec, s[24:25]
.LBB321_757:                            ;   in Loop: Header=BB321_427 Depth=1
	s_or_b64 exec, exec, s[22:23]
	v_lshrrev_b16_e32 v10, 8, v10
	v_cmp_ne_u16_e64 s[4:5], 0, v10
	s_and_saveexec_b64 s[22:23], s[4:5]
	s_cbranch_execz .LBB321_763
; %bb.758:                              ;   in Loop: Header=BB321_427 Depth=1
	v_cmp_ne_u16_e64 s[4:5], s7, v10
	v_bfrev_b32_e32 v25, 1
	s_and_saveexec_b64 s[24:25], s[4:5]
	s_cbranch_execz .LBB321_762
; %bb.759:                              ;   in Loop: Header=BB321_427 Depth=1
	v_and_b32_e32 v26, 0x7f, v10
	v_cmp_ne_u32_e64 s[4:5], s15, v26
	v_mov_b32_e32 v25, 0x7fc02000
	s_and_saveexec_b64 s[26:27], s[4:5]
	s_cbranch_execz .LBB321_761
; %bb.760:                              ;   in Loop: Header=BB321_427 Depth=1
	v_and_b32_e32 v16, 7, v10
	v_ffbh_u32_e32 v27, v16
	v_min_u32_e32 v27, 32, v27
	v_lshrrev_b32_e32 v25, 3, v26
	v_subrev_u32_e32 v36, 28, v27
	v_sub_u32_e32 v27, 29, v27
	v_cmp_gt_u32_e64 s[4:5], 8, v26
	v_lshlrev_b64 v[60:61], v36, v[10:11]
	v_cndmask_b32_e64 v25, v25, v27, s[4:5]
	v_and_b32_e32 v36, 7, v60
	v_lshlrev_b32_e32 v10, 8, v10
	v_lshl_add_u32 v25, v25, 10, v48
	v_cndmask_b32_e64 v16, v16, v36, s[4:5]
	v_and_or_b32 v10, v10, s19, v25
	v_lshl_or_b32 v10, v16, 7, v10
	v_cvt_f32_f16_e32 v25, v10
.LBB321_761:                            ;   in Loop: Header=BB321_427 Depth=1
	s_or_b64 exec, exec, s[26:27]
.LBB321_762:                            ;   in Loop: Header=BB321_427 Depth=1
	s_or_b64 exec, exec, s[24:25]
.LBB321_763:                            ;   in Loop: Header=BB321_427 Depth=1
	s_or_b64 exec, exec, s[22:23]
	v_lshrrev_b32_e32 v10, 16, v33
	v_cmp_ne_u16_sdwa s[4:5], v10, v11 src0_sel:BYTE_0 src1_sel:DWORD
	v_mov_b32_e32 v26, 0
	v_mov_b32_e32 v27, 0
	s_and_saveexec_b64 s[22:23], s[4:5]
	s_cbranch_execz .LBB321_769
; %bb.764:                              ;   in Loop: Header=BB321_427 Depth=1
	v_cmp_ne_u16_sdwa s[4:5], v10, s7 src0_sel:BYTE_0 src1_sel:DWORD
	v_bfrev_b32_e32 v27, 1
	s_and_saveexec_b64 s[24:25], s[4:5]
	s_cbranch_execz .LBB321_768
; %bb.765:                              ;   in Loop: Header=BB321_427 Depth=1
	v_bfe_u32 v60, v33, 16, 7
	v_cmp_ne_u32_e64 s[4:5], s15, v60
	v_mov_b32_e32 v27, 0x7fc02000
	s_and_saveexec_b64 s[26:27], s[4:5]
	s_cbranch_execz .LBB321_767
; %bb.766:                              ;   in Loop: Header=BB321_427 Depth=1
	v_and_b32_e32 v16, 7, v10
	v_ffbh_u32_e32 v36, v16
	v_min_u32_e32 v61, 32, v36
	v_subrev_u32_e32 v36, 28, v61
	v_lshlrev_b64 v[36:37], v36, v[10:11]
	v_lshrrev_b32_e32 v27, 3, v60
	v_sub_u32_e32 v37, 29, v61
	v_cmp_gt_u32_e64 s[4:5], 8, v60
	v_cndmask_b32_e64 v27, v27, v37, s[4:5]
	v_and_b32_e32 v36, 7, v36
	v_lshlrev_b32_e32 v10, 8, v10
	v_lshl_add_u32 v27, v27, 10, v48
	v_cndmask_b32_e64 v16, v16, v36, s[4:5]
	v_and_or_b32 v10, v10, s19, v27
	v_lshl_or_b32 v10, v16, 7, v10
	v_cvt_f32_f16_e32 v27, v10
.LBB321_767:                            ;   in Loop: Header=BB321_427 Depth=1
	s_or_b64 exec, exec, s[26:27]
.LBB321_768:                            ;   in Loop: Header=BB321_427 Depth=1
	s_or_b64 exec, exec, s[24:25]
.LBB321_769:                            ;   in Loop: Header=BB321_427 Depth=1
	s_or_b64 exec, exec, s[22:23]
	v_cmp_lt_u64_e64 s[4:5], s[10:11], v[32:33]
	s_and_saveexec_b64 s[22:23], s[4:5]
	s_cbranch_execz .LBB321_775
; %bb.770:                              ;   in Loop: Header=BB321_427 Depth=1
	v_lshrrev_b32_e32 v10, 24, v33
	v_cmp_ne_u32_e64 s[4:5], s7, v10
	v_bfrev_b32_e32 v26, 1
	s_and_saveexec_b64 s[24:25], s[4:5]
	s_cbranch_execz .LBB321_774
; %bb.771:                              ;   in Loop: Header=BB321_427 Depth=1
	v_and_b32_e32 v32, 0x7f, v10
	v_cmp_ne_u32_e64 s[4:5], s15, v32
	v_mov_b32_e32 v26, 0x7fc02000
	s_and_saveexec_b64 s[26:27], s[4:5]
	s_cbranch_execz .LBB321_773
; %bb.772:                              ;   in Loop: Header=BB321_427 Depth=1
	v_and_b32_e32 v16, 7, v10
	v_ffbh_u32_e32 v33, v16
	v_min_u32_e32 v33, 32, v33
	v_lshrrev_b32_e32 v26, 3, v32
	v_subrev_u32_e32 v36, 28, v33
	v_sub_u32_e32 v33, 29, v33
	v_cmp_gt_u32_e64 s[4:5], 8, v32
	v_lshlrev_b64 v[36:37], v36, v[10:11]
	v_cndmask_b32_e64 v26, v26, v33, s[4:5]
	v_and_b32_e32 v36, 7, v36
	v_lshlrev_b32_e32 v10, 8, v10
	v_lshl_add_u32 v26, v26, 10, v48
	v_cndmask_b32_e64 v16, v16, v36, s[4:5]
	v_and_or_b32 v10, v10, s19, v26
	v_lshl_or_b32 v10, v16, 7, v10
	v_cvt_f32_f16_e32 v26, v10
.LBB321_773:                            ;   in Loop: Header=BB321_427 Depth=1
	s_or_b64 exec, exec, s[26:27]
.LBB321_774:                            ;   in Loop: Header=BB321_427 Depth=1
	s_or_b64 exec, exec, s[24:25]
.LBB321_775:                            ;   in Loop: Header=BB321_427 Depth=1
	s_or_b64 exec, exec, s[22:23]
	v_pk_mul_f32 v[30:31], v[24:25], v[30:31] op_sel_hi:[0,1]
	v_pk_mul_f32 v[28:29], v[24:25], v[28:29] op_sel_hi:[0,1]
	v_cvt_f16_f32_e32 v10, v31
	v_cvt_f16_f32_e32 v16, v30
	;; [unrolled: 1-line block ×4, first 2 shown]
	v_fma_mixlo_f16 v6, v24, v6, 0
	v_pack_b32_f16 v16, v16, v10
	v_pack_b32_f16 v28, v28, v29
	v_perm_b32 v10, v28, v16, s29
	v_perm_b32 v28, v28, v16, s30
	v_fma_mixlo_f16 v16, v24, v25, 0
	v_lshlrev_b32_e32 v16, 16, v16
	v_or_b32_sdwa v6, v16, v6 dst_sel:DWORD dst_unused:UNUSED_PAD src0_sel:DWORD src1_sel:WORD_0
	v_fma_mixlo_f16 v16, v24, v26, 0
	v_fma_mixlo_f16 v25, v24, v27, 0
	v_lshlrev_b32_e32 v16, 16, v16
	v_or_b32_sdwa v24, v16, v25 dst_sel:DWORD dst_unused:UNUSED_PAD src0_sel:DWORD src1_sel:WORD_0
	s_and_saveexec_b64 s[22:23], vcc
	s_cbranch_execz .LBB321_777
; %bb.776:                              ;   in Loop: Header=BB321_427 Depth=1
	v_lshrrev_b32_e32 v16, 16, v28
	v_cmp_lt_i32_e64 s[4:5], v44, v17
	v_accvgpr_read_b32 v30, a8
	v_cndmask_b32_e64 v16, 0, v16, s[4:5]
	v_cmp_lt_i32_e64 s[4:5], v7, v30
	v_cndmask_b32_e64 v26, 0, v28, s[4:5]
	v_perm_b32 v28, v16, v26, s31
	v_lshrrev_b32_e32 v16, 16, v10
	v_cmp_lt_i32_e64 s[4:5], v55, v17
	v_cndmask_b32_e64 v16, 0, v16, s[4:5]
	v_cmp_lt_i32_e64 s[4:5], v54, v30
	v_cndmask_b32_e64 v10, 0, v10, s[4:5]
	v_perm_b32 v10, v16, v10, s31
	v_lshrrev_b32_e32 v16, 16, v6
	v_cmp_lt_i32_e64 s[4:5], v53, v17
	;; [unrolled: 6-line block ×3, first 2 shown]
	v_cndmask_b32_e64 v16, 0, v16, s[4:5]
	v_cmp_lt_i32_e64 s[4:5], v50, v30
	v_cndmask_b32_e64 v24, 0, v25, s[4:5]
	v_perm_b32 v24, v16, v24, s31
.LBB321_777:                            ;   in Loop: Header=BB321_427 Depth=1
	s_or_b64 exec, exec, s[22:23]
	;;#ASMSTART
	v_pk_mul_f16 v16, v40, v28;

	;;#ASMEND
	;;#ASMSTART
	v_pk_mul_f16 v10, v41, v10;

	;;#ASMEND
	;; [unrolled: 4-line block ×4, first 2 shown]
	;;#ASMSTART
	v_pk_add_f16 v10, v16, v10;

	;;#ASMEND
	;;#ASMSTART
	v_pk_add_f16 v6, v10, v6;

	;;#ASMEND
	;; [unrolled: 4-line block ×3, first 2 shown]
	v_lshrrev_b32_e32 v10, 16, v6
	v_and_b32_e32 v6, 0xffff, v6
	;;#ASMSTART
	v_cvt_f32_f16 v6, v6;
	;;#ASMEND
	;;#ASMSTART
	v_cvt_f32_f16 v26, v10;
	;;#ASMEND
	flat_load_dwordx2 v[30:31], v[18:19] offset:3584
	v_accvgpr_read_b32 v19, a5
	v_accvgpr_read_b32 v18, a4
	flat_load_dword v18, v[18:19]
	v_mov_b32_e32 v28, 0
	v_mov_b32_e32 v24, 0
	s_waitcnt vmcnt(0) lgkmcnt(0)
	v_cmp_ne_u16_sdwa s[4:5], v30, v11 src0_sel:BYTE_0 src1_sel:DWORD
	s_and_saveexec_b64 s[22:23], s[4:5]
	s_cbranch_execz .LBB321_783
; %bb.778:                              ;   in Loop: Header=BB321_427 Depth=1
	v_cmp_ne_u16_sdwa s[4:5], v30, s7 src0_sel:BYTE_0 src1_sel:DWORD
	v_bfrev_b32_e32 v24, 1
	s_and_saveexec_b64 s[24:25], s[4:5]
	s_cbranch_execz .LBB321_782
; %bb.779:                              ;   in Loop: Header=BB321_427 Depth=1
	v_and_b32_e32 v10, 0x7f, v30
	v_cmp_ne_u32_e64 s[4:5], s15, v10
	v_mov_b32_e32 v24, 0x7fc02000
	s_and_saveexec_b64 s[26:27], s[4:5]
	s_cbranch_execz .LBB321_781
; %bb.780:                              ;   in Loop: Header=BB321_427 Depth=1
	v_and_b32_e32 v16, 7, v30
	v_ffbh_u32_e32 v16, v16
	v_min_u32_e32 v16, 32, v16
	v_subrev_u32_e32 v24, 28, v16
	v_cmp_gt_u32_e64 s[4:5], 8, v10
	v_lshrrev_b32_e32 v19, 3, v10
	v_sub_u32_e32 v16, 29, v16
	v_cndmask_b32_e64 v10, 0, v24, s[4:5]
	v_lshlrev_b64 v[24:25], v10, v[30:31]
	v_cndmask_b32_e64 v10, v19, v16, s[4:5]
	v_lshlrev_b32_e32 v19, 8, v30
	v_lshl_add_u32 v10, v10, 10, v48
	v_lshlrev_b32_e32 v16, 7, v24
	v_and_or_b32 v10, v19, s19, v10
	v_and_or_b32 v10, v16, s28, v10
	v_cvt_f32_f16_e32 v24, v10
.LBB321_781:                            ;   in Loop: Header=BB321_427 Depth=1
	s_or_b64 exec, exec, s[26:27]
.LBB321_782:                            ;   in Loop: Header=BB321_427 Depth=1
	s_or_b64 exec, exec, s[24:25]
.LBB321_783:                            ;   in Loop: Header=BB321_427 Depth=1
	s_or_b64 exec, exec, s[22:23]
	v_lshrrev_b16_e32 v10, 8, v30
	v_cmp_ne_u16_e64 s[4:5], 0, v10
	s_and_saveexec_b64 s[22:23], s[4:5]
	s_cbranch_execz .LBB321_789
; %bb.784:                              ;   in Loop: Header=BB321_427 Depth=1
	v_cmp_ne_u16_e64 s[4:5], s7, v10
	v_bfrev_b32_e32 v28, 1
	s_and_saveexec_b64 s[24:25], s[4:5]
	s_cbranch_execz .LBB321_788
; %bb.785:                              ;   in Loop: Header=BB321_427 Depth=1
	v_and_b32_e32 v19, 0x7f, v10
	v_cmp_ne_u32_e64 s[4:5], s15, v19
	v_mov_b32_e32 v28, 0x7fc02000
	s_and_saveexec_b64 s[26:27], s[4:5]
	s_cbranch_execz .LBB321_787
; %bb.786:                              ;   in Loop: Header=BB321_427 Depth=1
	v_and_b32_e32 v16, 7, v10
	v_ffbh_u32_e32 v27, v16
	v_min_u32_e32 v27, 32, v27
	v_lshrrev_b32_e32 v25, 3, v19
	v_subrev_u32_e32 v28, 28, v27
	v_sub_u32_e32 v27, 29, v27
	v_cmp_gt_u32_e64 s[4:5], 8, v19
	v_lshlrev_b64 v[28:29], v28, v[10:11]
	v_cndmask_b32_e64 v19, v25, v27, s[4:5]
	v_and_b32_e32 v28, 7, v28
	v_lshlrev_b32_e32 v10, 8, v10
	v_lshl_add_u32 v19, v19, 10, v48
	v_cndmask_b32_e64 v16, v16, v28, s[4:5]
	v_and_or_b32 v10, v10, s19, v19
	v_lshl_or_b32 v10, v16, 7, v10
	v_cvt_f32_f16_e32 v28, v10
.LBB321_787:                            ;   in Loop: Header=BB321_427 Depth=1
	s_or_b64 exec, exec, s[26:27]
.LBB321_788:                            ;   in Loop: Header=BB321_427 Depth=1
	s_or_b64 exec, exec, s[24:25]
.LBB321_789:                            ;   in Loop: Header=BB321_427 Depth=1
	s_or_b64 exec, exec, s[22:23]
	v_lshrrev_b32_e32 v10, 16, v30
	v_cmp_ne_u16_sdwa s[4:5], v10, v11 src0_sel:BYTE_0 src1_sel:DWORD
	v_mov_b32_e32 v29, 0
	v_mov_b32_e32 v25, 0
	s_and_saveexec_b64 s[22:23], s[4:5]
	s_cbranch_execz .LBB321_795
; %bb.790:                              ;   in Loop: Header=BB321_427 Depth=1
	v_cmp_ne_u16_sdwa s[4:5], v10, s7 src0_sel:BYTE_0 src1_sel:DWORD
	v_bfrev_b32_e32 v25, 1
	s_and_saveexec_b64 s[24:25], s[4:5]
	s_cbranch_execz .LBB321_794
; %bb.791:                              ;   in Loop: Header=BB321_427 Depth=1
	v_bfe_u32 v19, v30, 16, 7
	v_cmp_ne_u32_e64 s[4:5], s15, v19
	v_mov_b32_e32 v25, 0x7fc02000
	s_and_saveexec_b64 s[26:27], s[4:5]
	s_cbranch_execz .LBB321_793
; %bb.792:                              ;   in Loop: Header=BB321_427 Depth=1
	v_and_b32_e32 v16, 7, v10
	v_ffbh_u32_e32 v27, v16
	v_min_u32_e32 v27, 32, v27
	v_lshrrev_b32_e32 v25, 3, v19
	v_subrev_u32_e32 v32, 28, v27
	v_sub_u32_e32 v27, 29, v27
	v_cmp_gt_u32_e64 s[4:5], 8, v19
	v_lshlrev_b64 v[32:33], v32, v[10:11]
	v_cndmask_b32_e64 v19, v25, v27, s[4:5]
	v_and_b32_e32 v32, 7, v32
	v_lshlrev_b32_e32 v10, 8, v10
	v_lshl_add_u32 v19, v19, 10, v48
	v_cndmask_b32_e64 v16, v16, v32, s[4:5]
	v_and_or_b32 v10, v10, s19, v19
	v_lshl_or_b32 v10, v16, 7, v10
	v_cvt_f32_f16_e32 v25, v10
.LBB321_793:                            ;   in Loop: Header=BB321_427 Depth=1
	s_or_b64 exec, exec, s[26:27]
.LBB321_794:                            ;   in Loop: Header=BB321_427 Depth=1
	s_or_b64 exec, exec, s[24:25]
.LBB321_795:                            ;   in Loop: Header=BB321_427 Depth=1
	s_or_b64 exec, exec, s[22:23]
	v_cmp_lt_u32_e64 s[4:5], s11, v30
	s_and_saveexec_b64 s[22:23], s[4:5]
	s_cbranch_execz .LBB321_801
; %bb.796:                              ;   in Loop: Header=BB321_427 Depth=1
	v_lshrrev_b32_e32 v10, 24, v30
	v_cmp_ne_u32_e64 s[4:5], s7, v10
	v_bfrev_b32_e32 v29, 1
	s_and_saveexec_b64 s[24:25], s[4:5]
	s_cbranch_execz .LBB321_800
; %bb.797:                              ;   in Loop: Header=BB321_427 Depth=1
	v_and_b32_e32 v19, 0x7f, v10
	v_cmp_ne_u32_e64 s[4:5], s15, v19
	v_mov_b32_e32 v29, 0x7fc02000
	s_and_saveexec_b64 s[26:27], s[4:5]
	s_cbranch_execz .LBB321_799
; %bb.798:                              ;   in Loop: Header=BB321_427 Depth=1
	v_and_b32_e32 v16, 7, v10
	v_ffbh_u32_e32 v29, v16
	v_min_u32_e32 v29, 32, v29
	v_lshrrev_b32_e32 v27, 3, v19
	v_subrev_u32_e32 v32, 28, v29
	v_sub_u32_e32 v29, 29, v29
	v_cmp_gt_u32_e64 s[4:5], 8, v19
	v_lshlrev_b64 v[32:33], v32, v[10:11]
	v_cndmask_b32_e64 v19, v27, v29, s[4:5]
	v_and_b32_e32 v32, 7, v32
	v_lshlrev_b32_e32 v10, 8, v10
	v_lshl_add_u32 v19, v19, 10, v48
	v_cndmask_b32_e64 v16, v16, v32, s[4:5]
	v_and_or_b32 v10, v10, s19, v19
	v_lshl_or_b32 v10, v16, 7, v10
	v_cvt_f32_f16_e32 v29, v10
.LBB321_799:                            ;   in Loop: Header=BB321_427 Depth=1
	s_or_b64 exec, exec, s[26:27]
.LBB321_800:                            ;   in Loop: Header=BB321_427 Depth=1
	s_or_b64 exec, exec, s[24:25]
.LBB321_801:                            ;   in Loop: Header=BB321_427 Depth=1
	s_or_b64 exec, exec, s[22:23]
	v_mov_b32_e32 v10, v31
	v_cmp_ne_u16_sdwa s[4:5], v31, v11 src0_sel:BYTE_0 src1_sel:DWORD
	v_mov_b32_e32 v27, 0
	v_mov_b32_e32 v19, 0
	s_and_saveexec_b64 s[22:23], s[4:5]
	s_cbranch_execz .LBB321_807
; %bb.802:                              ;   in Loop: Header=BB321_427 Depth=1
	v_cmp_ne_u16_sdwa s[4:5], v31, s7 src0_sel:BYTE_0 src1_sel:DWORD
	v_bfrev_b32_e32 v19, 1
	s_and_saveexec_b64 s[24:25], s[4:5]
	s_cbranch_execz .LBB321_806
; %bb.803:                              ;   in Loop: Header=BB321_427 Depth=1
	v_and_b32_e32 v32, 0x7f, v31
	v_cmp_ne_u32_e64 s[4:5], s15, v32
	v_mov_b32_e32 v19, 0x7fc02000
	s_and_saveexec_b64 s[26:27], s[4:5]
	s_cbranch_execz .LBB321_805
; %bb.804:                              ;   in Loop: Header=BB321_427 Depth=1
	v_and_b32_e32 v16, 7, v31
	v_ffbh_u32_e32 v16, v16
	v_min_u32_e32 v16, 32, v16
	v_subrev_u32_e32 v33, 28, v16
	v_cmp_gt_u32_e64 s[4:5], 8, v32
	v_lshrrev_b32_e32 v19, 3, v32
	v_sub_u32_e32 v16, 29, v16
	v_cndmask_b32_e64 v32, 0, v33, s[4:5]
	v_lshlrev_b64 v[32:33], v32, v[10:11]
	v_cndmask_b32_e64 v16, v19, v16, s[4:5]
	v_lshlrev_b32_e32 v19, 7, v32
	v_lshlrev_b32_e32 v32, 8, v31
	v_lshl_add_u32 v16, v16, 10, v48
	v_and_or_b32 v16, v32, s19, v16
	v_and_or_b32 v16, v19, s28, v16
	v_cvt_f32_f16_e32 v19, v16
.LBB321_805:                            ;   in Loop: Header=BB321_427 Depth=1
	s_or_b64 exec, exec, s[26:27]
.LBB321_806:                            ;   in Loop: Header=BB321_427 Depth=1
	s_or_b64 exec, exec, s[24:25]
.LBB321_807:                            ;   in Loop: Header=BB321_427 Depth=1
	s_or_b64 exec, exec, s[22:23]
	v_lshrrev_b16_e32 v10, 8, v10
	v_cmp_ne_u16_e64 s[4:5], 0, v10
	s_and_saveexec_b64 s[22:23], s[4:5]
	s_cbranch_execz .LBB321_813
; %bb.808:                              ;   in Loop: Header=BB321_427 Depth=1
	v_cmp_ne_u16_e64 s[4:5], s7, v10
	v_bfrev_b32_e32 v27, 1
	s_and_saveexec_b64 s[24:25], s[4:5]
	s_cbranch_execz .LBB321_812
; %bb.809:                              ;   in Loop: Header=BB321_427 Depth=1
	v_and_b32_e32 v32, 0x7f, v10
	v_cmp_ne_u32_e64 s[4:5], s15, v32
	v_mov_b32_e32 v27, 0x7fc02000
	s_and_saveexec_b64 s[26:27], s[4:5]
	s_cbranch_execz .LBB321_811
; %bb.810:                              ;   in Loop: Header=BB321_427 Depth=1
	v_and_b32_e32 v16, 7, v10
	v_ffbh_u32_e32 v33, v16
	v_min_u32_e32 v33, 32, v33
	v_lshrrev_b32_e32 v27, 3, v32
	v_subrev_u32_e32 v36, 28, v33
	v_sub_u32_e32 v33, 29, v33
	v_cmp_gt_u32_e64 s[4:5], 8, v32
	v_lshlrev_b64 v[36:37], v36, v[10:11]
	v_cndmask_b32_e64 v27, v27, v33, s[4:5]
	v_and_b32_e32 v36, 7, v36
	v_lshlrev_b32_e32 v10, 8, v10
	v_lshl_add_u32 v27, v27, 10, v48
	v_cndmask_b32_e64 v16, v16, v36, s[4:5]
	v_and_or_b32 v10, v10, s19, v27
	v_lshl_or_b32 v10, v16, 7, v10
	v_cvt_f32_f16_e32 v27, v10
.LBB321_811:                            ;   in Loop: Header=BB321_427 Depth=1
	s_or_b64 exec, exec, s[26:27]
.LBB321_812:                            ;   in Loop: Header=BB321_427 Depth=1
	s_or_b64 exec, exec, s[24:25]
.LBB321_813:                            ;   in Loop: Header=BB321_427 Depth=1
	s_or_b64 exec, exec, s[22:23]
	v_lshrrev_b32_e32 v10, 16, v31
	v_cmp_ne_u16_sdwa s[4:5], v10, v11 src0_sel:BYTE_0 src1_sel:DWORD
	v_mov_b32_e32 v32, 0
	v_mov_b32_e32 v33, 0
	s_and_saveexec_b64 s[22:23], s[4:5]
	s_cbranch_execz .LBB321_819
; %bb.814:                              ;   in Loop: Header=BB321_427 Depth=1
	v_cmp_ne_u16_sdwa s[4:5], v10, s7 src0_sel:BYTE_0 src1_sel:DWORD
	v_bfrev_b32_e32 v33, 1
	s_and_saveexec_b64 s[24:25], s[4:5]
	s_cbranch_execz .LBB321_818
; %bb.815:                              ;   in Loop: Header=BB321_427 Depth=1
	v_bfe_u32 v60, v31, 16, 7
	v_cmp_ne_u32_e64 s[4:5], s15, v60
	v_mov_b32_e32 v33, 0x7fc02000
	s_and_saveexec_b64 s[26:27], s[4:5]
	s_cbranch_execz .LBB321_817
; %bb.816:                              ;   in Loop: Header=BB321_427 Depth=1
	v_and_b32_e32 v16, 7, v10
	v_ffbh_u32_e32 v36, v16
	v_min_u32_e32 v61, 32, v36
	v_subrev_u32_e32 v36, 28, v61
	v_lshlrev_b64 v[36:37], v36, v[10:11]
	v_lshrrev_b32_e32 v33, 3, v60
	v_sub_u32_e32 v37, 29, v61
	v_cmp_gt_u32_e64 s[4:5], 8, v60
	v_cndmask_b32_e64 v33, v33, v37, s[4:5]
	v_and_b32_e32 v36, 7, v36
	v_lshlrev_b32_e32 v10, 8, v10
	v_lshl_add_u32 v33, v33, 10, v48
	v_cndmask_b32_e64 v16, v16, v36, s[4:5]
	v_and_or_b32 v10, v10, s19, v33
	v_lshl_or_b32 v10, v16, 7, v10
	v_cvt_f32_f16_e32 v33, v10
.LBB321_817:                            ;   in Loop: Header=BB321_427 Depth=1
	s_or_b64 exec, exec, s[26:27]
.LBB321_818:                            ;   in Loop: Header=BB321_427 Depth=1
	s_or_b64 exec, exec, s[24:25]
.LBB321_819:                            ;   in Loop: Header=BB321_427 Depth=1
	s_or_b64 exec, exec, s[22:23]
	v_cmp_lt_u64_e64 s[4:5], s[10:11], v[30:31]
	s_and_saveexec_b64 s[22:23], s[4:5]
	s_cbranch_execz .LBB321_825
; %bb.820:                              ;   in Loop: Header=BB321_427 Depth=1
	v_lshrrev_b32_e32 v10, 24, v31
	v_cmp_ne_u32_e64 s[4:5], s7, v10
	v_bfrev_b32_e32 v32, 1
	s_and_saveexec_b64 s[24:25], s[4:5]
	s_cbranch_execz .LBB321_824
; %bb.821:                              ;   in Loop: Header=BB321_427 Depth=1
	v_and_b32_e32 v30, 0x7f, v10
	v_cmp_ne_u32_e64 s[4:5], s15, v30
	v_mov_b32_e32 v32, 0x7fc02000
	s_and_saveexec_b64 s[26:27], s[4:5]
	s_cbranch_execz .LBB321_823
; %bb.822:                              ;   in Loop: Header=BB321_427 Depth=1
	v_and_b32_e32 v16, 7, v10
	v_ffbh_u32_e32 v32, v16
	v_min_u32_e32 v32, 32, v32
	v_lshrrev_b32_e32 v31, 3, v30
	v_subrev_u32_e32 v36, 28, v32
	v_sub_u32_e32 v32, 29, v32
	v_cmp_gt_u32_e64 s[4:5], 8, v30
	v_lshlrev_b64 v[36:37], v36, v[10:11]
	v_cndmask_b32_e64 v30, v31, v32, s[4:5]
	v_and_b32_e32 v36, 7, v36
	v_lshlrev_b32_e32 v10, 8, v10
	v_lshl_add_u32 v30, v30, 10, v48
	v_cndmask_b32_e64 v16, v16, v36, s[4:5]
	v_and_or_b32 v10, v10, s19, v30
	v_lshl_or_b32 v10, v16, 7, v10
	v_cvt_f32_f16_e32 v32, v10
.LBB321_823:                            ;   in Loop: Header=BB321_427 Depth=1
	s_or_b64 exec, exec, s[26:27]
.LBB321_824:                            ;   in Loop: Header=BB321_427 Depth=1
	s_or_b64 exec, exec, s[24:25]
.LBB321_825:                            ;   in Loop: Header=BB321_427 Depth=1
	s_or_b64 exec, exec, s[22:23]
	v_pk_mul_f32 v[28:29], v[18:19], v[28:29] op_sel_hi:[0,1]
	v_pk_mul_f32 v[24:25], v[18:19], v[24:25] op_sel_hi:[0,1]
	v_cvt_f16_f32_e32 v10, v29
	v_cvt_f16_f32_e32 v16, v28
	;; [unrolled: 1-line block ×4, first 2 shown]
	v_fma_mixlo_f16 v19, v18, v19, 0
	v_pack_b32_f16 v16, v16, v10
	v_pack_b32_f16 v24, v24, v25
	v_perm_b32 v10, v24, v16, s29
	v_perm_b32 v24, v24, v16, s30
	v_fma_mixlo_f16 v16, v18, v27, 0
	v_lshlrev_b32_e32 v16, 16, v16
	v_or_b32_sdwa v19, v16, v19 dst_sel:DWORD dst_unused:UNUSED_PAD src0_sel:DWORD src1_sel:WORD_0
	v_fma_mixlo_f16 v16, v18, v32, 0
	v_fma_mixlo_f16 v25, v18, v33, 0
	v_lshlrev_b32_e32 v16, 16, v16
	v_or_b32_sdwa v18, v16, v25 dst_sel:DWORD dst_unused:UNUSED_PAD src0_sel:DWORD src1_sel:WORD_0
	s_and_saveexec_b64 s[4:5], vcc
	s_cbranch_execz .LBB321_426
; %bb.826:                              ;   in Loop: Header=BB321_427 Depth=1
	v_lshrrev_b32_e32 v16, 16, v24
	v_cmp_lt_i32_e32 vcc, v44, v17
	v_accvgpr_read_b32 v28, a8
	v_cndmask_b32_e32 v16, 0, v16, vcc
	v_cmp_lt_i32_e32 vcc, v7, v28
	v_cndmask_b32_e32 v24, 0, v24, vcc
	v_perm_b32 v24, v16, v24, s31
	v_lshrrev_b32_e32 v16, 16, v10
	v_cmp_lt_i32_e32 vcc, v55, v17
	v_cndmask_b32_e32 v16, 0, v16, vcc
	v_cmp_lt_i32_e32 vcc, v54, v28
	v_cndmask_b32_e32 v10, 0, v10, vcc
	v_perm_b32 v10, v16, v10, s31
	v_lshrrev_b32_e32 v16, 16, v19
	v_cmp_lt_i32_e32 vcc, v53, v17
	;; [unrolled: 6-line block ×3, first 2 shown]
	v_cndmask_b32_e32 v16, 0, v16, vcc
	v_cmp_lt_i32_e32 vcc, v50, v28
	v_cndmask_b32_e32 v18, 0, v25, vcc
	v_perm_b32 v18, v16, v18, s31
	s_branch .LBB321_426
.LBB321_827:
	s_or_b64 exec, exec, s[12:13]
	v_accvgpr_read_b32 v16, a7
.LBB321_828:
	s_or_b64 exec, exec, s[8:9]
	ds_bpermute_b32 v4, v62, v8
	ds_bpermute_b32 v5, v62, v9
	;; [unrolled: 1-line block ×8, first 2 shown]
	s_waitcnt lgkmcnt(0)
	v_pk_add_f32 v[4:5], v[8:9], v[4:5]
	ds_bpermute_b32 v8, v49, v4
	ds_bpermute_b32 v9, v49, v5
	v_pk_add_f32 v[6:7], v[12:13], v[6:7]
	v_pk_add_f32 v[2:3], v[2:3], v[10:11]
	;; [unrolled: 1-line block ×3, first 2 shown]
	ds_bpermute_b32 v12, v49, v6
	ds_bpermute_b32 v13, v49, v7
	;; [unrolled: 1-line block ×6, first 2 shown]
	s_waitcnt lgkmcnt(0)
	v_pk_add_f32 v[8:9], v[4:5], v[8:9]
	v_accvgpr_read_b32 v4, a2
	v_and_b32_e32 v4, 0x3c3, v4
	v_pk_add_f32 v[6:7], v[6:7], v[12:13]
	v_pk_add_f32 v[2:3], v[2:3], v[10:11]
	;; [unrolled: 1-line block ×3, first 2 shown]
	v_cmp_eq_u32_e32 vcc, 64, v4
	s_barrier
	s_and_saveexec_b64 s[4:5], vcc
	s_cbranch_execz .LBB321_830
; %bb.829:
	s_ashr_i32 s19, s18, 31
	s_lshl_b64 s[8:9], s[18:19], 2
	s_getpc_b64 s[10:11]
	s_add_u32 s10, s10, llvm.amdgcn.dynlds.offset.table@rel32@lo+4
	s_addc_u32 s11, s11, llvm.amdgcn.dynlds.offset.table@rel32@hi+12
	s_add_u32 s8, s8, s10
	s_addc_u32 s9, s9, s11
	s_load_dword s7, s[8:9], 0x0
	s_waitcnt lgkmcnt(0)
	v_add_u32_e32 v5, s7, v23
	ds_write2_b32 v5, v8, v9 offset1:16
	ds_write2_b32 v5, v6, v7 offset0:32 offset1:48
	ds_write2_b32 v5, v2, v3 offset0:64 offset1:80
	;; [unrolled: 1-line block ×3, first 2 shown]
.LBB321_830:
	s_or_b64 exec, exec, s[4:5]
	v_accvgpr_read_b32 v5, a2
	v_cmp_gt_u32_e32 vcc, 64, v5
	s_waitcnt lgkmcnt(0)
	s_barrier
	s_and_saveexec_b64 s[4:5], vcc
	s_cbranch_execz .LBB321_841
; %bb.831:
	v_accvgpr_read_b32 v5, a2
	v_cmp_eq_u32_e32 vcc, 0, v16
	v_lshrrev_b32_e32 v5, 2, v5
	s_and_saveexec_b64 s[8:9], vcc
	s_cbranch_execnz .LBB321_844
; %bb.832:
	s_or_b64 exec, exec, s[8:9]
	s_and_saveexec_b64 s[8:9], vcc
	s_cbranch_execnz .LBB321_845
.LBB321_833:
	s_or_b64 exec, exec, s[8:9]
	s_and_saveexec_b64 s[8:9], vcc
	s_cbranch_execnz .LBB321_846
.LBB321_834:
	s_or_b64 exec, exec, s[8:9]
	s_and_saveexec_b64 s[8:9], vcc
	s_cbranch_execnz .LBB321_847
.LBB321_835:
	s_or_b64 exec, exec, s[8:9]
	s_and_saveexec_b64 s[8:9], vcc
	s_cbranch_execnz .LBB321_848
.LBB321_836:
	s_or_b64 exec, exec, s[8:9]
	s_and_saveexec_b64 s[8:9], vcc
	s_cbranch_execnz .LBB321_849
.LBB321_837:
	s_or_b64 exec, exec, s[8:9]
	s_and_saveexec_b64 s[8:9], vcc
	s_cbranch_execnz .LBB321_850
.LBB321_838:
	s_or_b64 exec, exec, s[8:9]
	s_and_saveexec_b64 s[8:9], vcc
	s_cbranch_execz .LBB321_840
.LBB321_839:
	s_ashr_i32 s19, s18, 31
	s_lshl_b64 s[10:11], s[18:19], 2
	s_getpc_b64 s[12:13]
	s_add_u32 s12, s12, llvm.amdgcn.dynlds.offset.table@rel32@lo+4
	s_addc_u32 s13, s13, llvm.amdgcn.dynlds.offset.table@rel32@hi+12
	s_add_u32 s10, s10, s12
	s_addc_u32 s11, s11, s13
	s_load_dword s7, s[10:11], 0x0
	s_waitcnt lgkmcnt(0)
	v_lshl_add_u32 v5, v5, 2, s7
	ds_read_b32 v5, v5 offset:448
	s_waitcnt lgkmcnt(0)
	v_add_f32_e32 v1, v1, v5
.LBB321_840:
	s_or_b64 exec, exec, s[8:9]
.LBB321_841:
	s_or_b64 exec, exec, s[4:5]
	v_cmp_eq_u32_e32 vcc, 0, v4
	s_barrier
	s_and_b64 exec, exec, vcc
	s_cbranch_execz .LBB321_843
; %bb.842:
	s_lshl_b32 s4, s6, 7
	s_mul_i32 s6, s20, s21
	s_lshl_b32 s8, s14, 7
	s_ashr_i32 s5, s4, 31
	s_ashr_i32 s7, s6, 31
	;; [unrolled: 1-line block ×3, first 2 shown]
	s_lshl_b64 s[4:5], s[4:5], 1
	s_lshl_b64 s[6:7], s[6:7], 1
	;; [unrolled: 1-line block ×3, first 2 shown]
	s_add_u32 s6, s8, s6
	s_addc_u32 s7, s9, s7
	s_add_u32 s4, s6, s4
	s_addc_u32 s5, s7, s5
	v_accvgpr_read_b32 v5, a1
	v_mov_b32_e32 v4, s5
	v_add_co_u32_e32 v5, vcc, s4, v5
	v_accvgpr_read_b32 v10, a0
	v_addc_co_u32_e32 v10, vcc, v4, v10, vcc
	v_accvgpr_read_b32 v4, a2
	v_lshrrev_b32_e32 v4, 1, v4
	v_add_co_u32_e32 v4, vcc, v5, v4
	v_addc_co_u32_e32 v5, vcc, 0, v10, vcc
	;;#ASMSTART
	v_cvt_f16_f32 v8, v8;

	;;#ASMEND
	flat_store_short v[4:5], v8
	;;#ASMSTART
	v_cvt_f16_f32 v8, v9;

	;;#ASMEND
	flat_store_short v[4:5], v8 offset:32
	;;#ASMSTART
	v_cvt_f16_f32 v6, v6;

	;;#ASMEND
	flat_store_short v[4:5], v6 offset:64
	;; [unrolled: 5-line block ×7, first 2 shown]
.LBB321_843:
	s_or_b64 exec, exec, s[16:17]
	buffer_load_dword a50, off, s[0:3], s32 ; 4-byte Folded Reload
	buffer_load_dword a49, off, s[0:3], s32 offset:4 ; 4-byte Folded Reload
	buffer_load_dword a48, off, s[0:3], s32 offset:8 ; 4-byte Folded Reload
	;; [unrolled: 1-line block ×33, first 2 shown]
	v_readlane_b32 s30, v63, 6
	v_readlane_b32 s31, v63, 7
	;; [unrolled: 1-line block ×8, first 2 shown]
	s_or_saveexec_b64 s[4:5], -1
	buffer_load_dword v63, off, s[0:3], s32 offset:156 ; 4-byte Folded Reload
	s_mov_b64 exec, s[4:5]
	s_waitcnt vmcnt(0) lgkmcnt(0)
	s_setpc_b64 s[30:31]
.LBB321_844:
	s_ashr_i32 s19, s18, 31
	s_lshl_b64 s[10:11], s[18:19], 2
	s_getpc_b64 s[12:13]
	s_add_u32 s12, s12, llvm.amdgcn.dynlds.offset.table@rel32@lo+4
	s_addc_u32 s13, s13, llvm.amdgcn.dynlds.offset.table@rel32@hi+12
	s_add_u32 s10, s10, s12
	s_addc_u32 s11, s11, s13
	s_load_dword s7, s[10:11], 0x0
	s_waitcnt lgkmcnt(0)
	v_lshl_add_u32 v10, v5, 2, s7
	ds_read_b32 v10, v10
	s_waitcnt lgkmcnt(0)
	v_add_f32_e32 v8, v8, v10
	s_or_b64 exec, exec, s[8:9]
	s_and_saveexec_b64 s[8:9], vcc
	s_cbranch_execz .LBB321_833
.LBB321_845:
	s_ashr_i32 s19, s18, 31
	s_lshl_b64 s[10:11], s[18:19], 2
	s_getpc_b64 s[12:13]
	s_add_u32 s12, s12, llvm.amdgcn.dynlds.offset.table@rel32@lo+4
	s_addc_u32 s13, s13, llvm.amdgcn.dynlds.offset.table@rel32@hi+12
	s_add_u32 s10, s10, s12
	s_addc_u32 s11, s11, s13
	s_load_dword s7, s[10:11], 0x0
	s_waitcnt lgkmcnt(0)
	v_lshl_add_u32 v10, v5, 2, s7
	ds_read_b32 v10, v10 offset:64
	s_waitcnt lgkmcnt(0)
	v_add_f32_e32 v9, v9, v10
	s_or_b64 exec, exec, s[8:9]
	s_and_saveexec_b64 s[8:9], vcc
	s_cbranch_execz .LBB321_834
.LBB321_846:
	s_ashr_i32 s19, s18, 31
	s_lshl_b64 s[10:11], s[18:19], 2
	s_getpc_b64 s[12:13]
	s_add_u32 s12, s12, llvm.amdgcn.dynlds.offset.table@rel32@lo+4
	s_addc_u32 s13, s13, llvm.amdgcn.dynlds.offset.table@rel32@hi+12
	s_add_u32 s10, s10, s12
	s_addc_u32 s11, s11, s13
	s_load_dword s7, s[10:11], 0x0
	s_waitcnt lgkmcnt(0)
	v_lshl_add_u32 v10, v5, 2, s7
	ds_read_b32 v10, v10 offset:128
	s_waitcnt lgkmcnt(0)
	v_add_f32_e32 v6, v6, v10
	s_or_b64 exec, exec, s[8:9]
	s_and_saveexec_b64 s[8:9], vcc
	s_cbranch_execz .LBB321_835
.LBB321_847:
	s_ashr_i32 s19, s18, 31
	s_lshl_b64 s[10:11], s[18:19], 2
	s_getpc_b64 s[12:13]
	s_add_u32 s12, s12, llvm.amdgcn.dynlds.offset.table@rel32@lo+4
	s_addc_u32 s13, s13, llvm.amdgcn.dynlds.offset.table@rel32@hi+12
	s_add_u32 s10, s10, s12
	s_addc_u32 s11, s11, s13
	s_load_dword s7, s[10:11], 0x0
	s_waitcnt lgkmcnt(0)
	v_lshl_add_u32 v10, v5, 2, s7
	ds_read_b32 v10, v10 offset:192
	s_waitcnt lgkmcnt(0)
	v_add_f32_e32 v7, v7, v10
	s_or_b64 exec, exec, s[8:9]
	s_and_saveexec_b64 s[8:9], vcc
	s_cbranch_execz .LBB321_836
.LBB321_848:
	s_ashr_i32 s19, s18, 31
	s_lshl_b64 s[10:11], s[18:19], 2
	s_getpc_b64 s[12:13]
	s_add_u32 s12, s12, llvm.amdgcn.dynlds.offset.table@rel32@lo+4
	s_addc_u32 s13, s13, llvm.amdgcn.dynlds.offset.table@rel32@hi+12
	s_add_u32 s10, s10, s12
	s_addc_u32 s11, s11, s13
	s_load_dword s7, s[10:11], 0x0
	s_waitcnt lgkmcnt(0)
	v_lshl_add_u32 v10, v5, 2, s7
	ds_read_b32 v10, v10 offset:256
	s_waitcnt lgkmcnt(0)
	v_add_f32_e32 v2, v2, v10
	s_or_b64 exec, exec, s[8:9]
	s_and_saveexec_b64 s[8:9], vcc
	s_cbranch_execz .LBB321_837
.LBB321_849:
	s_ashr_i32 s19, s18, 31
	s_lshl_b64 s[10:11], s[18:19], 2
	s_getpc_b64 s[12:13]
	s_add_u32 s12, s12, llvm.amdgcn.dynlds.offset.table@rel32@lo+4
	s_addc_u32 s13, s13, llvm.amdgcn.dynlds.offset.table@rel32@hi+12
	s_add_u32 s10, s10, s12
	s_addc_u32 s11, s11, s13
	s_load_dword s7, s[10:11], 0x0
	s_waitcnt lgkmcnt(0)
	v_lshl_add_u32 v10, v5, 2, s7
	ds_read_b32 v10, v10 offset:320
	s_waitcnt lgkmcnt(0)
	v_add_f32_e32 v3, v3, v10
	s_or_b64 exec, exec, s[8:9]
	s_and_saveexec_b64 s[8:9], vcc
	s_cbranch_execz .LBB321_838
.LBB321_850:
	s_ashr_i32 s19, s18, 31
	s_lshl_b64 s[10:11], s[18:19], 2
	s_getpc_b64 s[12:13]
	s_add_u32 s12, s12, llvm.amdgcn.dynlds.offset.table@rel32@lo+4
	s_addc_u32 s13, s13, llvm.amdgcn.dynlds.offset.table@rel32@hi+12
	s_add_u32 s10, s10, s12
	s_addc_u32 s11, s11, s13
	s_load_dword s7, s[10:11], 0x0
	s_waitcnt lgkmcnt(0)
	v_lshl_add_u32 v10, v5, 2, s7
	ds_read_b32 v10, v10 offset:384
	s_waitcnt lgkmcnt(0)
	v_add_f32_e32 v0, v0, v10
	s_or_b64 exec, exec, s[8:9]
	s_and_saveexec_b64 s[8:9], vcc
	s_cbranch_execnz .LBB321_839
	s_branch .LBB321_840
.Lfunc_end321:
	.size	_ZN4vllm22paged_attention_kernelIthLi128ELi32ELi128ELNS_18Fp8KVCacheDataTypeE1ELb0ELi512EEEvPfS2_PT_PKS3_PKT0_S9_ifPKiSB_iPKfiiiSD_SD_iiiii, .Lfunc_end321-_ZN4vllm22paged_attention_kernelIthLi128ELi32ELi128ELNS_18Fp8KVCacheDataTypeE1ELb0ELi512EEEvPfS2_PT_PKS3_PKT0_S9_ifPKiSB_iPKfiiiSD_SD_iiiii
                                        ; -- End function
	.section	.AMDGPU.csdata,"",@progbits
; Function info:
; codeLenInByte = 36856
; NumSgprs: 44
; NumVgprs: 64
; NumAgprs: 51
; TotalNumVgprs: 115
; ScratchSize: 164
; MemoryBound: 0
	.section	.text._ZN4vllm25paged_attention_v2_kernelIthLi128ELi32ELi128ELNS_18Fp8KVCacheDataTypeE1ELb0ELi512EEEvPfS2_PT_PKS3_PKT0_S9_ifPKiSB_iPKfiiiSD_SD_iiiii,"axG",@progbits,_ZN4vllm25paged_attention_v2_kernelIthLi128ELi32ELi128ELNS_18Fp8KVCacheDataTypeE1ELb0ELi512EEEvPfS2_PT_PKS3_PKT0_S9_ifPKiSB_iPKfiiiSD_SD_iiiii,comdat
	.protected	_ZN4vllm25paged_attention_v2_kernelIthLi128ELi32ELi128ELNS_18Fp8KVCacheDataTypeE1ELb0ELi512EEEvPfS2_PT_PKS3_PKT0_S9_ifPKiSB_iPKfiiiSD_SD_iiiii ; -- Begin function _ZN4vllm25paged_attention_v2_kernelIthLi128ELi32ELi128ELNS_18Fp8KVCacheDataTypeE1ELb0ELi512EEEvPfS2_PT_PKS3_PKT0_S9_ifPKiSB_iPKfiiiSD_SD_iiiii
	.globl	_ZN4vllm25paged_attention_v2_kernelIthLi128ELi32ELi128ELNS_18Fp8KVCacheDataTypeE1ELb0ELi512EEEvPfS2_PT_PKS3_PKT0_S9_ifPKiSB_iPKfiiiSD_SD_iiiii
	.p2align	8
	.type	_ZN4vllm25paged_attention_v2_kernelIthLi128ELi32ELi128ELNS_18Fp8KVCacheDataTypeE1ELb0ELi512EEEvPfS2_PT_PKS3_PKT0_S9_ifPKiSB_iPKfiiiSD_SD_iiiii,@function
_ZN4vllm25paged_attention_v2_kernelIthLi128ELi32ELi128ELNS_18Fp8KVCacheDataTypeE1ELb0ELi512EEEvPfS2_PT_PKS3_PKT0_S9_ifPKiSB_iPKfiiiSD_SD_iiiii: ; @_ZN4vllm25paged_attention_v2_kernelIthLi128ELi32ELi128ELNS_18Fp8KVCacheDataTypeE1ELb0ELi512EEEvPfS2_PT_PKS3_PKT0_S9_ifPKiSB_iPKfiiiSD_SD_iiiii
; %bb.0:
	s_add_u32 flat_scratch_lo, s6, s11
	s_addc_u32 flat_scratch_hi, s7, 0
	s_add_u32 s0, s0, s11
	s_load_dwordx8 s[24:31], s[4:5], 0x0
	s_load_dwordx8 s[16:23], s[4:5], 0x20
	s_load_dwordx2 s[6:7], s[4:5], 0x40
	s_load_dwordx2 s[34:35], s[4:5], 0x50
	s_load_dword s11, s[4:5], 0x48
	s_load_dwordx8 s[36:43], s[4:5], 0x58
	s_addc_u32 s1, s1, 0
	s_mov_b32 s12, s8
	s_add_u32 s8, s4, 0x90
	s_mov_b32 s13, s9
	s_addc_u32 s9, s5, 0
	s_mov_b32 s14, s10
	s_mov_b32 s15, 44
	v_mov_b32_e32 v31, v0
	s_waitcnt lgkmcnt(0)
	v_mov_b32_e32 v0, s24
	v_mov_b32_e32 v1, s25
	v_mov_b32_e32 v2, s26
	v_mov_b32_e32 v3, s27
	v_mov_b32_e32 v4, s28
	v_mov_b32_e32 v5, s29
	v_mov_b32_e32 v6, s30
	v_mov_b32_e32 v7, s31
	v_mov_b32_e32 v8, s16
	v_mov_b32_e32 v9, s17
	v_mov_b32_e32 v10, s18
	v_mov_b32_e32 v11, s19
	v_mov_b32_e32 v12, s20
	v_mov_b32_e32 v13, s21
	v_mov_b32_e32 v14, s22
	v_mov_b32_e32 v15, s23
	v_mov_b32_e32 v16, s6
	v_mov_b32_e32 v17, s7
	v_mov_b32_e32 v18, s11
	v_mov_b32_e32 v19, s34
	v_mov_b32_e32 v20, s35
	v_mov_b32_e32 v21, s36
	v_mov_b32_e32 v22, s37
	v_mov_b32_e32 v23, s38
	v_mov_b32_e32 v24, s40
	v_mov_b32_e32 v25, s41
	v_mov_b32_e32 v26, s42
	v_mov_b32_e32 v27, s43
	s_mov_b32 s32, 0
	s_getpc_b64 s[4:5]
	s_add_u32 s4, s4, _ZN4vllm22paged_attention_kernelIthLi128ELi32ELi128ELNS_18Fp8KVCacheDataTypeE1ELb0ELi512EEEvPfS2_PT_PKS3_PKT0_S9_ifPKiSB_iPKfiiiSD_SD_iiiii@rel32@lo+4
	s_addc_u32 s5, s5, _ZN4vllm22paged_attention_kernelIthLi128ELi32ELi128ELNS_18Fp8KVCacheDataTypeE1ELb0ELi512EEEvPfS2_PT_PKS3_PKT0_S9_ifPKiSB_iPKfiiiSD_SD_iiiii@rel32@hi+12
	s_swappc_b64 s[30:31], s[4:5]
	s_endpgm
	.section	.rodata,"a",@progbits
	.p2align	6, 0x0
	.amdhsa_kernel _ZN4vllm25paged_attention_v2_kernelIthLi128ELi32ELi128ELNS_18Fp8KVCacheDataTypeE1ELb0ELi512EEEvPfS2_PT_PKS3_PKT0_S9_ifPKiSB_iPKfiiiSD_SD_iiiii
		.amdhsa_group_segment_fixed_size 272
		.amdhsa_private_segment_fixed_size 164
		.amdhsa_kernarg_size 400
		.amdhsa_user_sgpr_count 8
		.amdhsa_user_sgpr_private_segment_buffer 1
		.amdhsa_user_sgpr_dispatch_ptr 0
		.amdhsa_user_sgpr_queue_ptr 0
		.amdhsa_user_sgpr_kernarg_segment_ptr 1
		.amdhsa_user_sgpr_dispatch_id 0
		.amdhsa_user_sgpr_flat_scratch_init 1
		.amdhsa_user_sgpr_kernarg_preload_length 0
		.amdhsa_user_sgpr_kernarg_preload_offset 0
		.amdhsa_user_sgpr_private_segment_size 0
		.amdhsa_uses_dynamic_stack 0
		.amdhsa_system_sgpr_private_segment_wavefront_offset 1
		.amdhsa_system_sgpr_workgroup_id_x 1
		.amdhsa_system_sgpr_workgroup_id_y 1
		.amdhsa_system_sgpr_workgroup_id_z 1
		.amdhsa_system_sgpr_workgroup_info 0
		.amdhsa_system_vgpr_workitem_id 0
		.amdhsa_next_free_vgpr 115
		.amdhsa_next_free_sgpr 44
		.amdhsa_accum_offset 64
		.amdhsa_reserve_vcc 1
		.amdhsa_reserve_flat_scratch 1
		.amdhsa_float_round_mode_32 0
		.amdhsa_float_round_mode_16_64 0
		.amdhsa_float_denorm_mode_32 3
		.amdhsa_float_denorm_mode_16_64 3
		.amdhsa_dx10_clamp 1
		.amdhsa_ieee_mode 1
		.amdhsa_fp16_overflow 0
		.amdhsa_tg_split 0
		.amdhsa_exception_fp_ieee_invalid_op 0
		.amdhsa_exception_fp_denorm_src 0
		.amdhsa_exception_fp_ieee_div_zero 0
		.amdhsa_exception_fp_ieee_overflow 0
		.amdhsa_exception_fp_ieee_underflow 0
		.amdhsa_exception_fp_ieee_inexact 0
		.amdhsa_exception_int_div_zero 0
	.end_amdhsa_kernel
	.section	.text._ZN4vllm25paged_attention_v2_kernelIthLi128ELi32ELi128ELNS_18Fp8KVCacheDataTypeE1ELb0ELi512EEEvPfS2_PT_PKS3_PKT0_S9_ifPKiSB_iPKfiiiSD_SD_iiiii,"axG",@progbits,_ZN4vllm25paged_attention_v2_kernelIthLi128ELi32ELi128ELNS_18Fp8KVCacheDataTypeE1ELb0ELi512EEEvPfS2_PT_PKS3_PKT0_S9_ifPKiSB_iPKfiiiSD_SD_iiiii,comdat
.Lfunc_end322:
	.size	_ZN4vllm25paged_attention_v2_kernelIthLi128ELi32ELi128ELNS_18Fp8KVCacheDataTypeE1ELb0ELi512EEEvPfS2_PT_PKS3_PKT0_S9_ifPKiSB_iPKfiiiSD_SD_iiiii, .Lfunc_end322-_ZN4vllm25paged_attention_v2_kernelIthLi128ELi32ELi128ELNS_18Fp8KVCacheDataTypeE1ELb0ELi512EEEvPfS2_PT_PKS3_PKT0_S9_ifPKiSB_iPKfiiiSD_SD_iiiii
                                        ; -- End function
	.section	.AMDGPU.csdata,"",@progbits
; Kernel info:
; codeLenInByte = 244
; NumSgprs: 50
; NumVgprs: 64
; NumAgprs: 51
; TotalNumVgprs: 115
; ScratchSize: 164
; MemoryBound: 0
; FloatMode: 240
; IeeeMode: 1
; LDSByteSize: 272 bytes/workgroup (compile time only)
; SGPRBlocks: 6
; VGPRBlocks: 14
; NumSGPRsForWavesPerEU: 50
; NumVGPRsForWavesPerEU: 115
; AccumOffset: 64
; Occupancy: 4
; WaveLimiterHint : 1
; COMPUTE_PGM_RSRC2:SCRATCH_EN: 1
; COMPUTE_PGM_RSRC2:USER_SGPR: 8
; COMPUTE_PGM_RSRC2:TRAP_HANDLER: 0
; COMPUTE_PGM_RSRC2:TGID_X_EN: 1
; COMPUTE_PGM_RSRC2:TGID_Y_EN: 1
; COMPUTE_PGM_RSRC2:TGID_Z_EN: 1
; COMPUTE_PGM_RSRC2:TIDIG_COMP_CNT: 0
; COMPUTE_PGM_RSRC3_GFX90A:ACCUM_OFFSET: 15
; COMPUTE_PGM_RSRC3_GFX90A:TG_SPLIT: 0
	.text
	.p2align	2                               ; -- Begin function _ZN4vllm22paged_attention_kernelIthLi192ELi32ELi128ELNS_18Fp8KVCacheDataTypeE1ELb0ELi512EEEvPfS2_PT_PKS3_PKT0_S9_ifPKiSB_iPKfiiiSD_SD_iiiii
	.type	_ZN4vllm22paged_attention_kernelIthLi192ELi32ELi128ELNS_18Fp8KVCacheDataTypeE1ELb0ELi512EEEvPfS2_PT_PKS3_PKT0_S9_ifPKiSB_iPKfiiiSD_SD_iiiii,@function
_ZN4vllm22paged_attention_kernelIthLi192ELi32ELi128ELNS_18Fp8KVCacheDataTypeE1ELb0ELi512EEEvPfS2_PT_PKS3_PKT0_S9_ifPKiSB_iPKfiiiSD_SD_iiiii: ; @_ZN4vllm22paged_attention_kernelIthLi192ELi32ELi128ELNS_18Fp8KVCacheDataTypeE1ELb0ELi512EEEvPfS2_PT_PKS3_PKT0_S9_ifPKiSB_iPKfiiiSD_SD_iiiii
; %bb.0:
	s_waitcnt vmcnt(0) expcnt(0) lgkmcnt(0)
	s_or_saveexec_b64 s[4:5], -1
	buffer_store_dword v63, off, s[0:3], s32 offset:420 ; 4-byte Folded Spill
	s_mov_b64 exec, s[4:5]
	buffer_store_dword v40, off, s[0:3], s32 offset:184 ; 4-byte Folded Spill
	buffer_store_dword v41, off, s[0:3], s32 offset:180 ; 4-byte Folded Spill
	buffer_store_dword v42, off, s[0:3], s32 offset:176 ; 4-byte Folded Spill
	buffer_store_dword v43, off, s[0:3], s32 offset:172 ; 4-byte Folded Spill
	buffer_store_dword v44, off, s[0:3], s32 offset:168 ; 4-byte Folded Spill
	buffer_store_dword v45, off, s[0:3], s32 offset:164 ; 4-byte Folded Spill
	buffer_store_dword v46, off, s[0:3], s32 offset:160 ; 4-byte Folded Spill
	buffer_store_dword v47, off, s[0:3], s32 offset:156 ; 4-byte Folded Spill
	buffer_store_dword v56, off, s[0:3], s32 offset:152 ; 4-byte Folded Spill
	buffer_store_dword v57, off, s[0:3], s32 offset:148 ; 4-byte Folded Spill
	buffer_store_dword v58, off, s[0:3], s32 offset:144 ; 4-byte Folded Spill
	buffer_store_dword v59, off, s[0:3], s32 offset:140 ; 4-byte Folded Spill
	buffer_store_dword v60, off, s[0:3], s32 offset:136 ; 4-byte Folded Spill
	buffer_store_dword v61, off, s[0:3], s32 offset:132 ; 4-byte Folded Spill
	buffer_store_dword v62, off, s[0:3], s32 offset:128 ; 4-byte Folded Spill
	buffer_store_dword a32, off, s[0:3], s32 offset:124 ; 4-byte Folded Spill
	buffer_store_dword a33, off, s[0:3], s32 offset:120 ; 4-byte Folded Spill
	buffer_store_dword a34, off, s[0:3], s32 offset:116 ; 4-byte Folded Spill
	buffer_store_dword a35, off, s[0:3], s32 offset:112 ; 4-byte Folded Spill
	buffer_store_dword a36, off, s[0:3], s32 offset:108 ; 4-byte Folded Spill
	buffer_store_dword a37, off, s[0:3], s32 offset:104 ; 4-byte Folded Spill
	buffer_store_dword a38, off, s[0:3], s32 offset:100 ; 4-byte Folded Spill
	buffer_store_dword a39, off, s[0:3], s32 offset:96 ; 4-byte Folded Spill
	buffer_store_dword a40, off, s[0:3], s32 offset:92 ; 4-byte Folded Spill
	buffer_store_dword a41, off, s[0:3], s32 offset:88 ; 4-byte Folded Spill
	buffer_store_dword a42, off, s[0:3], s32 offset:84 ; 4-byte Folded Spill
	buffer_store_dword a43, off, s[0:3], s32 offset:80 ; 4-byte Folded Spill
	buffer_store_dword a44, off, s[0:3], s32 offset:76 ; 4-byte Folded Spill
	buffer_store_dword a45, off, s[0:3], s32 offset:72 ; 4-byte Folded Spill
	buffer_store_dword a46, off, s[0:3], s32 offset:68 ; 4-byte Folded Spill
	buffer_store_dword a47, off, s[0:3], s32 offset:64 ; 4-byte Folded Spill
	buffer_store_dword a48, off, s[0:3], s32 offset:60 ; 4-byte Folded Spill
	buffer_store_dword a49, off, s[0:3], s32 offset:56 ; 4-byte Folded Spill
	buffer_store_dword a50, off, s[0:3], s32 offset:52 ; 4-byte Folded Spill
	buffer_store_dword a51, off, s[0:3], s32 offset:48 ; 4-byte Folded Spill
	buffer_store_dword a52, off, s[0:3], s32 offset:44 ; 4-byte Folded Spill
	buffer_store_dword a53, off, s[0:3], s32 offset:40 ; 4-byte Folded Spill
	buffer_store_dword a54, off, s[0:3], s32 offset:36 ; 4-byte Folded Spill
	buffer_store_dword a55, off, s[0:3], s32 offset:32 ; 4-byte Folded Spill
	buffer_store_dword a56, off, s[0:3], s32 offset:28 ; 4-byte Folded Spill
	buffer_store_dword a57, off, s[0:3], s32 offset:24 ; 4-byte Folded Spill
	buffer_store_dword a58, off, s[0:3], s32 offset:20 ; 4-byte Folded Spill
	buffer_store_dword a59, off, s[0:3], s32 offset:16 ; 4-byte Folded Spill
	buffer_store_dword a60, off, s[0:3], s32 offset:12 ; 4-byte Folded Spill
	buffer_store_dword a61, off, s[0:3], s32 offset:8 ; 4-byte Folded Spill
	buffer_store_dword a62, off, s[0:3], s32 offset:4 ; 4-byte Folded Spill
	buffer_store_dword a63, off, s[0:3], s32 ; 4-byte Folded Spill
	v_writelane_b32 v63, s34, 0
	v_writelane_b32 v63, s35, 1
	;; [unrolled: 1-line block ×8, first 2 shown]
	s_mov_b32 s22, s13
	s_ashr_i32 s23, s13, 31
	s_lshl_b64 s[4:5], s[22:23], 2
	buffer_store_dword v15, off, s[0:3], s32 offset:348 ; 4-byte Folded Spill
	buffer_store_dword v14, off, s[0:3], s32 offset:352 ; 4-byte Folded Spill
	;; [unrolled: 1-line block ×7, first 2 shown]
	v_mov_b32_e32 v2, s5
	v_add_co_u32_e32 v4, vcc, s4, v16
	v_addc_co_u32_e32 v5, vcc, v17, v2, vcc
	flat_load_dword v2, v[4:5]
	v_accvgpr_write_b32 a4, v26
	v_accvgpr_write_b32 a27, v25
	s_lshl_b32 s23, s14, 9
	v_accvgpr_write_b32 a5, v27
	v_accvgpr_write_b32 a26, v24
	;; [unrolled: 1-line block ×3, first 2 shown]
	v_mov_b32_e32 v29, v20
	v_mov_b32_e32 v28, v19
	v_accvgpr_write_b32 a28, v13
	s_waitcnt vmcnt(0) lgkmcnt(0)
	v_accvgpr_write_b32 a8, v2
	v_cmp_lt_i32_e32 vcc, s23, v2
	s_and_saveexec_b64 s[16:17], vcc
	s_cbranch_execz .LBB323_1241
; %bb.1:
	buffer_store_dword v3, off, s[0:3], s32 offset:416 ; 4-byte Folded Spill
	buffer_store_dword v0, off, s[0:3], s32 offset:412 ; 4-byte Folded Spill
	;; [unrolled: 1-line block ×3, first 2 shown]
	v_sub_u32_e32 v0, 0, v12
	v_max_i32_e32 v0, v12, v0
	v_cvt_f32_u32_e32 v1, v0
	s_load_dword s4, s[8:9], 0x10
	s_load_dword s6, s[8:9], 0x0
	v_sub_u32_e32 v3, 0, v0
	s_mov_b32 s18, s15
	v_rcp_iflag_f32_e32 v1, v1
	s_waitcnt lgkmcnt(0)
	s_lshr_b32 s4, s4, 16
	s_cmp_lg_u32 s4, 0
	s_cselect_b64 s[4:5], -1, 0
	v_mul_f32_e32 v1, 0x4f7ffffe, v1
	v_cvt_u32_f32_e32 v1, v1
	s_cmp_lg_u64 s[4:5], 0
	s_addc_u32 s15, s6, 0
	s_abs_i32 s4, s15
	v_mul_lo_u32 v3, v3, v1
	v_mul_hi_u32 v3, v1, v3
	v_add_u32_e32 v1, v1, v3
	v_mul_hi_u32 v1, s4, v1
	v_mul_lo_u32 v3, v1, v0
	v_sub_u32_e32 v3, s4, v3
	v_add_u32_e32 v4, 1, v1
	v_cmp_ge_u32_e32 vcc, v3, v0
	v_cndmask_b32_e32 v1, v1, v4, vcc
	v_sub_u32_e32 v4, v3, v0
	v_cndmask_b32_e32 v3, v3, v4, vcc
	v_xor_b32_e32 v2, s15, v12
	v_add_u32_e32 v4, 1, v1
	v_cmp_ge_u32_e32 vcc, v3, v0
	v_ashrrev_i32_e32 v2, 31, v2
	v_cndmask_b32_e32 v0, v1, v4, vcc
	v_xor_b32_e32 v0, v0, v2
	v_sub_u32_e32 v1, v0, v2
	v_sub_u32_e32 v0, 0, v1
	v_max_i32_e32 v0, v1, v0
	v_cvt_f32_u32_e32 v2, v0
	v_sub_u32_e32 v3, 0, v0
	s_abs_i32 s6, s12
	v_cmp_ne_u64_e32 vcc, 0, v[28:29]
	v_rcp_iflag_f32_e32 v2, v2
	v_mul_f32_e32 v2, 0x4f7ffffe, v2
	v_cvt_u32_f32_e32 v2, v2
	v_mul_lo_u32 v3, v3, v2
	v_mul_hi_u32 v3, v2, v3
	v_add_u32_e32 v2, v2, v3
	v_mad_u64_u32 v[32:33], s[4:5], s6, v2, 0
	v_mov_b32_e32 v2, 0
	buffer_store_dword v2, off, s[0:3], s32 offset:340 ; 4-byte Folded Spill
	s_and_saveexec_b64 s[4:5], vcc
	s_cbranch_execz .LBB323_3
; %bb.2:
	s_ashr_i32 s13, s12, 31
	s_lshl_b64 s[10:11], s[12:13], 2
	v_mov_b32_e32 v3, s11
	v_add_co_u32_e32 v2, vcc, s10, v28
	v_addc_co_u32_e32 v3, vcc, v29, v3, vcc
	flat_load_dword v2, v[2:3]
	s_waitcnt vmcnt(0) lgkmcnt(0)
	buffer_store_dword v2, off, s[0:3], s32 offset:340 ; 4-byte Folded Spill
.LBB323_3:
	s_or_b64 exec, exec, s[4:5]
	v_and_b32_e32 v20, 0x3ff, v31
	s_ashr_i32 s7, s12, 31
	v_ashrrev_i32_e32 v2, 31, v1
	v_and_b32_e32 v1, 1, v20
	s_movk_i32 s10, 0xc0
	s_mul_i32 s20, s12, 0xc0
	v_cmp_gt_u32_e32 vcc, 48, v20
	v_lshlrev_b32_e32 v3, 3, v20
	buffer_store_dword v3, off, s[0:3], s32 offset:404 ; 4-byte Folded Spill
	s_and_saveexec_b64 s[4:5], vcc
	s_cbranch_execz .LBB323_5
; %bb.4:
	v_mul_lo_u32 v4, s22, v21
	v_ashrrev_i32_e32 v5, 31, v4
	v_lshlrev_b64 v[4:5], 1, v[4:5]
	v_add_co_u32_e32 v3, vcc, v6, v4
	s_ashr_i32 s21, s20, 31
	v_addc_co_u32_e32 v4, vcc, v7, v5, vcc
	s_lshl_b64 s[24:25], s[20:21], 1
	v_mov_b32_e32 v5, s25
	v_add_co_u32_e32 v3, vcc, s24, v3
	v_addc_co_u32_e32 v5, vcc, v4, v5, vcc
	v_lshlrev_b32_e32 v4, 3, v20
	v_add_co_u32_e32 v4, vcc, v3, v4
	v_addc_co_u32_e32 v5, vcc, 0, v5, vcc
	flat_load_dwordx2 v[4:5], v[4:5]
	v_lshlrev_b32_e32 v3, 2, v20
	v_and_b32_e32 v3, 0xff8, v3
	v_mad_u32_u24 v3, v1, s10, v3
	s_waitcnt vmcnt(0) lgkmcnt(0)
	ds_write_b64 v3, v[4:5]
.LBB323_5:
	s_or_b64 exec, exec, s[4:5]
	v_accvgpr_read_b32 v4, a8
	v_add_u32_e32 v3, 31, v4
	v_ashrrev_i32_e32 v4, 31, v3
	v_lshrrev_b32_e32 v4, 27, v4
	v_add_u32_e32 v3, v3, v4
	s_lshl_b32 s21, s14, 4
	v_ashrrev_i32_e32 v3, 5, v3
	s_add_i32 s4, s21, 16
	buffer_store_dword v3, off, s[0:3], s32 offset:400 ; 4-byte Folded Spill
	v_min_i32_e32 v6, s4, v3
	v_mul_lo_u32 v3, v33, v0
	v_sub_u32_e32 v3, s6, v3
	v_add_u32_e32 v4, 1, v33
	v_cmp_ge_u32_e32 vcc, v3, v0
	v_sub_u32_e32 v5, v3, v0
	v_cndmask_b32_e32 v4, v33, v4, vcc
	v_cndmask_b32_e32 v3, v3, v5, vcc
	v_add_u32_e32 v5, 1, v4
	v_cmp_ge_u32_e32 vcc, v3, v0
	v_xor_b32_e32 v2, s7, v2
	v_cndmask_b32_e32 v0, v4, v5, vcc
	v_lshrrev_b32_e32 v7, 6, v20
	v_xor_b32_e32 v0, v0, v2
	v_sub_u32_e32 v3, v0, v2
	v_mul_lo_u32 v18, s22, v18
	v_or_b32_e32 v0, s21, v7
	v_ashrrev_i32_e32 v19, 31, v18
	v_cmp_lt_i32_e64 s[4:5], v0, v6
	v_accvgpr_write_b32 a3, v6
	v_mov_b32_e32 v4, v0
	v_cmp_ge_i32_e32 vcc, v0, v6
	v_mbcnt_lo_u32_b32 v2, -1, 0
	s_waitcnt lgkmcnt(0)
	s_barrier
	buffer_store_dword v7, off, s[0:3], s32 offset:344 ; 4-byte Folded Spill
                                        ; implicit-def: $sgpr19
                                        ; implicit-def: $agpr29
                                        ; implicit-def: $vgpr0
	s_and_saveexec_b64 s[6:7], vcc
	s_xor_b64 s[6:7], exec, s[6:7]
; %bb.6:
	v_mbcnt_hi_u32_b32 v0, -1, v2
	v_accvgpr_write_b32 a29, v0
	v_and_b32_e32 v0, 64, v0
	v_add_u32_e32 v0, 64, v0
	s_mov_b32 s19, 0xff7fffff
                                        ; implicit-def: $vgpr1
                                        ; kill: killed $vgpr1
                                        ; implicit-def: $agpr28
                                        ; implicit-def: $agpr26
                                        ; implicit-def: $vgpr8
                                        ; implicit-def: $vgpr9
                                        ; implicit-def: $vgpr1
                                        ; implicit-def: $vgpr2
; %bb.7:
	s_or_saveexec_b64 s[10:11], s[6:7]
	v_ashrrev_i32_e32 v5, 31, v4
	v_mul_lo_u32 v3, v3, v23
	v_accvgpr_write_b32 a11, v5
	s_load_dword s36, s[8:9], 0x14
	s_load_dword s13, s[8:9], 0x8
	v_accvgpr_write_b32 a10, v4
	buffer_store_dword v3, off, s[0:3], s32 offset:396 ; 4-byte Folded Spill
	v_ashrrev_i32_e32 v3, 31, v3
	v_lshlrev_b64 v[4:5], 2, v[18:19]
	buffer_store_dword v3, off, s[0:3], s32 offset:392 ; 4-byte Folded Spill
	buffer_store_dword v4, off, s[0:3], s32 offset:384 ; 4-byte Folded Spill
	s_nop 0
	buffer_store_dword v5, off, s[0:3], s32 offset:388 ; 4-byte Folded Spill
	buffer_load_dword v3, off, s[0:3], s32 offset:344 ; 4-byte Folded Reload
	v_mov_b32_e32 v6, s19
	s_waitcnt vmcnt(0)
	v_lshlrev_b32_e32 v3, 5, v3
	buffer_store_dword v3, off, s[0:3], s32 offset:380 ; 4-byte Folded Spill
	buffer_store_dword v20, off, s[0:3], s32 offset:356 ; 4-byte Folded Spill
	s_xor_b64 exec, exec, s[10:11]
	s_cbranch_execz .LBB323_589
; %bb.8:
	buffer_load_dword v0, off, s[0:3], s32 offset:396 ; 4-byte Folded Reload
	buffer_load_dword v4, off, s[0:3], s32 offset:392 ; 4-byte Folded Reload
	v_bfe_u32 v3, v20, 1, 5
	v_lshlrev_b32_e32 v5, 4, v3
	v_cmp_eq_u32_e64 s[6:7], 0, v1
	s_ashr_i32 s19, s18, 31
	s_lshl_b64 s[24:25], s[18:19], 2
	s_getpc_b64 s[26:27]
	s_add_u32 s26, s26, llvm.amdgcn.dynlds.offset.table@rel32@lo+4
	s_addc_u32 s27, s27, llvm.amdgcn.dynlds.offset.table@rel32@hi+12
	s_add_u32 s24, s24, s26
	v_mov_b32_e32 v21, 0
	s_addc_u32 s25, s25, s27
	s_mov_b64 s[26:27], 0
	s_movk_i32 s19, 0x80
	s_movk_i32 s37, 0x7f
	s_mov_b32 s38, 0x8000
	s_mov_b32 s39, 0xffffff
	s_waitcnt vmcnt(1)
	v_add_co_u32_e32 v0, vcc, v8, v0
	s_waitcnt vmcnt(0)
	v_addc_co_u32_e32 v4, vcc, v9, v4, vcc
	v_add_co_u32_e32 v6, vcc, v0, v5
	v_lshlrev_b32_e32 v0, 2, v1
	v_accvgpr_write_b32 a32, v0
	v_mul_u32_u24_e32 v0, 0xc0, v1
	v_accvgpr_write_b32 a33, v0
	buffer_load_dword v0, off, s[0:3], s32 offset:340 ; 4-byte Folded Reload
	v_addc_co_u32_e32 v7, vcc, 0, v4, vcc
	v_accvgpr_write_b32 a31, v7
	v_accvgpr_write_b32 a30, v6
	v_accvgpr_read_b32 v4, a10
	buffer_load_dword v6, off, s[0:3], s32 offset:384 ; 4-byte Folded Reload
	buffer_load_dword v7, off, s[0:3], s32 offset:388 ; 4-byte Folded Reload
	v_accvgpr_read_b32 v5, a11
	v_mov_b32_e32 v8, v4
	s_waitcnt vmcnt(2)
	v_cmp_neq_f32_e64 s[8:9], 0, v0
	v_lshlrev_b64 v[0:1], 2, v[4:5]
	buffer_load_dword v5, off, s[0:3], s32 offset:352 ; 4-byte Folded Reload
	s_waitcnt vmcnt(2)
	v_add_co_u32_e32 v0, vcc, v6, v0
	s_waitcnt vmcnt(1)
	v_addc_co_u32_e32 v1, vcc, v7, v1, vcc
	s_waitcnt vmcnt(0)
	v_add_co_u32_e32 v6, vcc, v5, v0
	buffer_load_dword v0, off, s[0:3], s32 offset:348 ; 4-byte Folded Reload
	s_waitcnt vmcnt(0)
	v_addc_co_u32_e32 v7, vcc, v0, v1, vcc
	v_accvgpr_read_b32 v0, a8
	v_sub_u32_e32 v0, 1, v0
	v_accvgpr_write_b32 a36, v0
	buffer_load_dword v0, off, s[0:3], s32 offset:380 ; 4-byte Folded Reload
	buffer_load_dword v1, off, s[0:3], s32 offset:344 ; 4-byte Folded Reload
	s_waitcnt vmcnt(1)
	v_add3_u32 v0, s23, v0, v3
	v_accvgpr_write_b32 a37, v0
	v_lshlrev_b32_e32 v0, 2, v3
	s_waitcnt vmcnt(0)
	v_lshl_or_b32 v0, v1, 7, v0
	v_accvgpr_write_b32 a38, v0
	v_mov_b32_e32 v0, 0xff7fffff
	buffer_store_dword v0, off, s[0:3], s32 offset:336 ; 4-byte Folded Spill
	v_mbcnt_hi_u32_b32 v0, -1, v2
	v_accvgpr_write_b32 a29, v0
	s_branch .LBB323_10
.LBB323_9:                              ;   in Loop: Header=BB323_10 Depth=1
	s_or_b64 exec, exec, s[28:29]
	v_accvgpr_read_b32 v6, a34
	v_accvgpr_read_b32 v1, a37
	;; [unrolled: 1-line block ×3, first 2 shown]
	v_add_co_u32_e32 v6, vcc, 8, v6
	v_add_u32_e32 v1, 64, v1
	v_add_u32_e32 v8, 2, v8
	v_addc_co_u32_e32 v7, vcc, 0, v7, vcc
	v_accvgpr_write_b32 a37, v1
	v_accvgpr_read_b32 v1, a3
	v_cmp_ge_i32_e32 vcc, v8, v1
	v_accvgpr_read_b32 v1, a38
	v_add_u32_e32 v1, 0x100, v1
	s_or_b64 s[26:27], vcc, s[26:27]
	v_accvgpr_write_b32 a38, v1
	s_andn2_b64 exec, exec, s[26:27]
	s_cbranch_execz .LBB323_588
.LBB323_10:                             ; =>This Inner Loop Header: Depth=1
	flat_load_dword v0, v[6:7]
	v_accvgpr_read_b32 v4, a30
	s_waitcnt lgkmcnt(0)
	v_accvgpr_read_b32 v2, a6
	v_accvgpr_read_b32 v5, a31
	v_accvgpr_write_b32 a35, v7
	v_accvgpr_write_b32 a39, v8
	;; [unrolled: 1-line block ×3, first 2 shown]
	v_mov_b32_e32 v62, 0
	s_waitcnt vmcnt(0) lgkmcnt(0)
	v_mad_i64_i32 v[0:1], s[28:29], v0, v2, v[4:5]
	v_accvgpr_read_b32 v2, a32
	v_add_co_u32_e32 v28, vcc, v0, v2
	v_addc_co_u32_e32 v29, vcc, 0, v1, vcc
	v_accvgpr_read_b32 v0, a26
	flat_load_dword v30, v[28:29]
	v_accvgpr_read_b32 v1, a27
	flat_load_dword v5, v[0:1]
	s_waitcnt vmcnt(0) lgkmcnt(0)
	v_cmp_ne_u16_sdwa vcc, v30, v21 src0_sel:BYTE_0 src1_sel:DWORD
	s_and_saveexec_b64 s[28:29], vcc
	s_cbranch_execz .LBB323_16
; %bb.11:                               ;   in Loop: Header=BB323_10 Depth=1
	v_cmp_ne_u16_sdwa vcc, v30, s19 src0_sel:BYTE_0 src1_sel:DWORD
	v_bfrev_b32_e32 v62, 1
	s_and_saveexec_b64 s[30:31], vcc
	s_cbranch_execz .LBB323_15
; %bb.12:                               ;   in Loop: Header=BB323_10 Depth=1
	v_and_b32_e32 v0, 0x7f, v30
	v_cmp_ne_u32_e32 vcc, s37, v0
	v_mov_b32_e32 v62, 0x7fc02000
	s_and_saveexec_b64 s[34:35], vcc
	s_cbranch_execz .LBB323_14
; %bb.13:                               ;   in Loop: Header=BB323_10 Depth=1
	v_and_b32_e32 v1, 7, v30
	v_ffbh_u32_e32 v2, v1
	v_min_u32_e32 v6, 32, v2
	v_subrev_u32_e32 v2, 28, v6
	v_lshlrev_b64 v[2:3], v2, v[30:31]
	v_lshrrev_b32_e32 v4, 3, v0
	v_sub_u32_e32 v3, 29, v6
	v_cmp_gt_u32_e32 vcc, 8, v0
	v_and_b32_e32 v2, 7, v2
	v_cndmask_b32_e32 v0, v4, v3, vcc
	v_mov_b32_e32 v3, 0x2000
	v_cndmask_b32_e32 v1, v1, v2, vcc
	v_lshlrev_b32_e32 v2, 8, v30
	v_lshl_add_u32 v0, v0, 10, v3
	v_and_or_b32 v0, v2, s38, v0
	v_lshl_or_b32 v0, v1, 7, v0
	v_cvt_f32_f16_e32 v62, v0
.LBB323_14:                             ;   in Loop: Header=BB323_10 Depth=1
	s_or_b64 exec, exec, s[34:35]
.LBB323_15:                             ;   in Loop: Header=BB323_10 Depth=1
	s_or_b64 exec, exec, s[30:31]
.LBB323_16:                             ;   in Loop: Header=BB323_10 Depth=1
	s_or_b64 exec, exec, s[28:29]
	v_lshrrev_b16_e32 v32, 8, v30
	v_cmp_ne_u16_e32 vcc, 0, v32
	v_mov_b32_e32 v47, 0
	s_and_saveexec_b64 s[28:29], vcc
	s_cbranch_execz .LBB323_22
; %bb.17:                               ;   in Loop: Header=BB323_10 Depth=1
	v_cmp_ne_u16_e32 vcc, s19, v32
	v_bfrev_b32_e32 v47, 1
	s_and_saveexec_b64 s[30:31], vcc
	s_cbranch_execz .LBB323_21
; %bb.18:                               ;   in Loop: Header=BB323_10 Depth=1
	v_and_b32_e32 v0, 0x7f, v32
	v_cmp_ne_u32_e32 vcc, s37, v0
	v_mov_b32_e32 v47, 0x7fc02000
	s_and_saveexec_b64 s[34:35], vcc
	s_cbranch_execz .LBB323_20
; %bb.19:                               ;   in Loop: Header=BB323_10 Depth=1
	v_and_b32_e32 v1, 7, v32
	v_ffbh_u32_e32 v2, v1
	v_min_u32_e32 v6, 32, v2
	v_subrev_u32_e32 v2, 28, v6
	v_lshlrev_b64 v[2:3], v2, v[32:33]
	v_lshrrev_b32_e32 v4, 3, v0
	v_sub_u32_e32 v3, 29, v6
	v_cmp_gt_u32_e32 vcc, 8, v0
	v_and_b32_e32 v2, 7, v2
	v_cndmask_b32_e32 v0, v4, v3, vcc
	v_mov_b32_e32 v3, 0x2000
	v_cndmask_b32_e32 v1, v1, v2, vcc
	v_lshlrev_b32_e32 v2, 8, v32
	v_lshl_add_u32 v0, v0, 10, v3
	v_and_or_b32 v0, v2, s38, v0
	v_lshl_or_b32 v0, v1, 7, v0
	v_cvt_f32_f16_e32 v47, v0
.LBB323_20:                             ;   in Loop: Header=BB323_10 Depth=1
	s_or_b64 exec, exec, s[34:35]
.LBB323_21:                             ;   in Loop: Header=BB323_10 Depth=1
	s_or_b64 exec, exec, s[30:31]
.LBB323_22:                             ;   in Loop: Header=BB323_10 Depth=1
	s_or_b64 exec, exec, s[28:29]
	v_lshrrev_b32_e32 v32, 16, v30
	v_cmp_ne_u16_sdwa vcc, v32, v21 src0_sel:BYTE_0 src1_sel:DWORD
	v_mov_b32_e32 v59, 0
	v_mov_b32_e32 v0, 0
	buffer_store_dword v0, off, s[0:3], s32 offset:188 ; 4-byte Folded Spill
	s_and_saveexec_b64 s[28:29], vcc
	s_cbranch_execz .LBB323_28
; %bb.23:                               ;   in Loop: Header=BB323_10 Depth=1
	v_cmp_ne_u16_sdwa vcc, v32, s19 src0_sel:BYTE_0 src1_sel:DWORD
	v_bfrev_b32_e32 v0, 1
	buffer_store_dword v0, off, s[0:3], s32 offset:188 ; 4-byte Folded Spill
	s_and_saveexec_b64 s[30:31], vcc
	s_cbranch_execz .LBB323_27
; %bb.24:                               ;   in Loop: Header=BB323_10 Depth=1
	v_bfe_u32 v0, v30, 16, 7
	v_cmp_ne_u32_e32 vcc, s37, v0
	v_mov_b32_e32 v1, 0x7fc02000
	buffer_store_dword v1, off, s[0:3], s32 offset:188 ; 4-byte Folded Spill
	s_and_saveexec_b64 s[34:35], vcc
	s_cbranch_execz .LBB323_26
; %bb.25:                               ;   in Loop: Header=BB323_10 Depth=1
	v_and_b32_e32 v1, 7, v32
	v_ffbh_u32_e32 v2, v1
	v_min_u32_e32 v6, 32, v2
	v_subrev_u32_e32 v2, 28, v6
	v_lshlrev_b64 v[2:3], v2, v[32:33]
	v_lshrrev_b32_e32 v4, 3, v0
	v_sub_u32_e32 v3, 29, v6
	v_cmp_gt_u32_e32 vcc, 8, v0
	v_and_b32_e32 v2, 7, v2
	v_cndmask_b32_e32 v0, v4, v3, vcc
	v_mov_b32_e32 v3, 0x2000
	v_cndmask_b32_e32 v1, v1, v2, vcc
	v_lshlrev_b32_e32 v2, 8, v32
	v_lshl_add_u32 v0, v0, 10, v3
	v_and_or_b32 v0, v2, s38, v0
	v_lshl_or_b32 v0, v1, 7, v0
	v_cvt_f32_f16_e32 v0, v0
	buffer_store_dword v0, off, s[0:3], s32 offset:188 ; 4-byte Folded Spill
.LBB323_26:                             ;   in Loop: Header=BB323_10 Depth=1
	s_or_b64 exec, exec, s[34:35]
.LBB323_27:                             ;   in Loop: Header=BB323_10 Depth=1
	s_or_b64 exec, exec, s[30:31]
.LBB323_28:                             ;   in Loop: Header=BB323_10 Depth=1
	s_or_b64 exec, exec, s[28:29]
	v_cmp_lt_u32_e32 vcc, s39, v30
	s_and_saveexec_b64 s[28:29], vcc
	s_cbranch_execz .LBB323_34
; %bb.29:                               ;   in Loop: Header=BB323_10 Depth=1
	v_lshrrev_b32_e32 v30, 24, v30
	v_cmp_ne_u32_e32 vcc, s19, v30
	v_bfrev_b32_e32 v59, 1
	s_and_saveexec_b64 s[30:31], vcc
	s_cbranch_execz .LBB323_33
; %bb.30:                               ;   in Loop: Header=BB323_10 Depth=1
	v_and_b32_e32 v0, 0x7f, v30
	v_cmp_ne_u32_e32 vcc, s37, v0
	v_mov_b32_e32 v59, 0x7fc02000
	s_and_saveexec_b64 s[34:35], vcc
	s_cbranch_execz .LBB323_32
; %bb.31:                               ;   in Loop: Header=BB323_10 Depth=1
	v_and_b32_e32 v1, 7, v30
	v_ffbh_u32_e32 v2, v1
	v_min_u32_e32 v6, 32, v2
	v_subrev_u32_e32 v2, 28, v6
	v_lshlrev_b64 v[2:3], v2, v[30:31]
	v_lshrrev_b32_e32 v4, 3, v0
	v_sub_u32_e32 v3, 29, v6
	v_cmp_gt_u32_e32 vcc, 8, v0
	v_and_b32_e32 v2, 7, v2
	v_cndmask_b32_e32 v0, v4, v3, vcc
	v_mov_b32_e32 v3, 0x2000
	v_cndmask_b32_e32 v1, v1, v2, vcc
	v_lshlrev_b32_e32 v2, 8, v30
	v_lshl_add_u32 v0, v0, 10, v3
	v_and_or_b32 v0, v2, s38, v0
	v_lshl_or_b32 v0, v1, 7, v0
	v_cvt_f32_f16_e32 v59, v0
.LBB323_32:                             ;   in Loop: Header=BB323_10 Depth=1
	s_or_b64 exec, exec, s[34:35]
.LBB323_33:                             ;   in Loop: Header=BB323_10 Depth=1
	s_or_b64 exec, exec, s[30:31]
.LBB323_34:                             ;   in Loop: Header=BB323_10 Depth=1
	s_or_b64 exec, exec, s[28:29]
	flat_load_dword v30, v[28:29] offset:8
	v_mov_b32_e32 v0, 0
	buffer_store_dword v0, off, s[0:3], s32 offset:192 ; 4-byte Folded Spill
	v_mov_b32_e32 v0, 0
	buffer_store_dword v0, off, s[0:3], s32 offset:196 ; 4-byte Folded Spill
	s_waitcnt vmcnt(0) lgkmcnt(0)
	v_cmp_ne_u16_sdwa vcc, v30, v21 src0_sel:BYTE_0 src1_sel:DWORD
	s_and_saveexec_b64 s[28:29], vcc
	s_cbranch_execz .LBB323_40
; %bb.35:                               ;   in Loop: Header=BB323_10 Depth=1
	v_cmp_ne_u16_sdwa vcc, v30, s19 src0_sel:BYTE_0 src1_sel:DWORD
	v_bfrev_b32_e32 v0, 1
	buffer_store_dword v0, off, s[0:3], s32 offset:196 ; 4-byte Folded Spill
	s_and_saveexec_b64 s[30:31], vcc
	s_cbranch_execz .LBB323_39
; %bb.36:                               ;   in Loop: Header=BB323_10 Depth=1
	v_and_b32_e32 v0, 0x7f, v30
	v_cmp_ne_u32_e32 vcc, s37, v0
	v_mov_b32_e32 v1, 0x7fc02000
	buffer_store_dword v1, off, s[0:3], s32 offset:196 ; 4-byte Folded Spill
	s_and_saveexec_b64 s[34:35], vcc
	s_cbranch_execz .LBB323_38
; %bb.37:                               ;   in Loop: Header=BB323_10 Depth=1
	v_and_b32_e32 v1, 7, v30
	v_ffbh_u32_e32 v2, v1
	v_min_u32_e32 v6, 32, v2
	v_subrev_u32_e32 v2, 28, v6
	v_lshlrev_b64 v[2:3], v2, v[30:31]
	v_lshrrev_b32_e32 v4, 3, v0
	v_sub_u32_e32 v3, 29, v6
	v_cmp_gt_u32_e32 vcc, 8, v0
	v_and_b32_e32 v2, 7, v2
	v_cndmask_b32_e32 v0, v4, v3, vcc
	v_mov_b32_e32 v3, 0x2000
	v_cndmask_b32_e32 v1, v1, v2, vcc
	v_lshlrev_b32_e32 v2, 8, v30
	v_lshl_add_u32 v0, v0, 10, v3
	v_and_or_b32 v0, v2, s38, v0
	v_lshl_or_b32 v0, v1, 7, v0
	v_cvt_f32_f16_e32 v0, v0
	buffer_store_dword v0, off, s[0:3], s32 offset:196 ; 4-byte Folded Spill
.LBB323_38:                             ;   in Loop: Header=BB323_10 Depth=1
	s_or_b64 exec, exec, s[34:35]
.LBB323_39:                             ;   in Loop: Header=BB323_10 Depth=1
	s_or_b64 exec, exec, s[30:31]
.LBB323_40:                             ;   in Loop: Header=BB323_10 Depth=1
	s_or_b64 exec, exec, s[28:29]
	v_lshrrev_b16_e32 v32, 8, v30
	v_cmp_ne_u16_e32 vcc, 0, v32
	s_and_saveexec_b64 s[28:29], vcc
	s_cbranch_execz .LBB323_46
; %bb.41:                               ;   in Loop: Header=BB323_10 Depth=1
	v_cmp_ne_u16_e32 vcc, s19, v32
	v_bfrev_b32_e32 v0, 1
	buffer_store_dword v0, off, s[0:3], s32 offset:192 ; 4-byte Folded Spill
	s_and_saveexec_b64 s[30:31], vcc
	s_cbranch_execz .LBB323_45
; %bb.42:                               ;   in Loop: Header=BB323_10 Depth=1
	v_and_b32_e32 v0, 0x7f, v32
	v_cmp_ne_u32_e32 vcc, s37, v0
	v_mov_b32_e32 v1, 0x7fc02000
	buffer_store_dword v1, off, s[0:3], s32 offset:192 ; 4-byte Folded Spill
	s_and_saveexec_b64 s[34:35], vcc
	s_cbranch_execz .LBB323_44
; %bb.43:                               ;   in Loop: Header=BB323_10 Depth=1
	v_and_b32_e32 v1, 7, v32
	v_ffbh_u32_e32 v2, v1
	v_min_u32_e32 v6, 32, v2
	v_subrev_u32_e32 v2, 28, v6
	v_lshlrev_b64 v[2:3], v2, v[32:33]
	v_lshrrev_b32_e32 v4, 3, v0
	v_sub_u32_e32 v3, 29, v6
	v_cmp_gt_u32_e32 vcc, 8, v0
	v_and_b32_e32 v2, 7, v2
	v_cndmask_b32_e32 v0, v4, v3, vcc
	v_mov_b32_e32 v3, 0x2000
	v_cndmask_b32_e32 v1, v1, v2, vcc
	v_lshlrev_b32_e32 v2, 8, v32
	v_lshl_add_u32 v0, v0, 10, v3
	v_and_or_b32 v0, v2, s38, v0
	v_lshl_or_b32 v0, v1, 7, v0
	v_cvt_f32_f16_e32 v0, v0
	buffer_store_dword v0, off, s[0:3], s32 offset:192 ; 4-byte Folded Spill
.LBB323_44:                             ;   in Loop: Header=BB323_10 Depth=1
	s_or_b64 exec, exec, s[34:35]
.LBB323_45:                             ;   in Loop: Header=BB323_10 Depth=1
	s_or_b64 exec, exec, s[30:31]
.LBB323_46:                             ;   in Loop: Header=BB323_10 Depth=1
	s_or_b64 exec, exec, s[28:29]
	v_lshrrev_b32_e32 v32, 16, v30
	v_mov_b32_e32 v0, 0
	v_cmp_ne_u16_sdwa vcc, v32, v21 src0_sel:BYTE_0 src1_sel:DWORD
	buffer_store_dword v0, off, s[0:3], s32 offset:200 ; 4-byte Folded Spill
	v_mov_b32_e32 v0, 0
	buffer_store_dword v0, off, s[0:3], s32 offset:204 ; 4-byte Folded Spill
	s_and_saveexec_b64 s[28:29], vcc
	s_cbranch_execz .LBB323_52
; %bb.47:                               ;   in Loop: Header=BB323_10 Depth=1
	v_cmp_ne_u16_sdwa vcc, v32, s19 src0_sel:BYTE_0 src1_sel:DWORD
	v_bfrev_b32_e32 v0, 1
	buffer_store_dword v0, off, s[0:3], s32 offset:204 ; 4-byte Folded Spill
	s_and_saveexec_b64 s[30:31], vcc
	s_cbranch_execz .LBB323_51
; %bb.48:                               ;   in Loop: Header=BB323_10 Depth=1
	v_bfe_u32 v0, v30, 16, 7
	v_cmp_ne_u32_e32 vcc, s37, v0
	v_mov_b32_e32 v1, 0x7fc02000
	buffer_store_dword v1, off, s[0:3], s32 offset:204 ; 4-byte Folded Spill
	s_and_saveexec_b64 s[34:35], vcc
	s_cbranch_execz .LBB323_50
; %bb.49:                               ;   in Loop: Header=BB323_10 Depth=1
	v_and_b32_e32 v1, 7, v32
	v_ffbh_u32_e32 v2, v1
	v_min_u32_e32 v6, 32, v2
	v_subrev_u32_e32 v2, 28, v6
	v_lshlrev_b64 v[2:3], v2, v[32:33]
	v_lshrrev_b32_e32 v4, 3, v0
	v_sub_u32_e32 v3, 29, v6
	v_cmp_gt_u32_e32 vcc, 8, v0
	v_and_b32_e32 v2, 7, v2
	v_cndmask_b32_e32 v0, v4, v3, vcc
	v_mov_b32_e32 v3, 0x2000
	v_cndmask_b32_e32 v1, v1, v2, vcc
	v_lshlrev_b32_e32 v2, 8, v32
	v_lshl_add_u32 v0, v0, 10, v3
	v_and_or_b32 v0, v2, s38, v0
	v_lshl_or_b32 v0, v1, 7, v0
	v_cvt_f32_f16_e32 v0, v0
	buffer_store_dword v0, off, s[0:3], s32 offset:204 ; 4-byte Folded Spill
.LBB323_50:                             ;   in Loop: Header=BB323_10 Depth=1
	s_or_b64 exec, exec, s[34:35]
.LBB323_51:                             ;   in Loop: Header=BB323_10 Depth=1
	s_or_b64 exec, exec, s[30:31]
.LBB323_52:                             ;   in Loop: Header=BB323_10 Depth=1
	s_or_b64 exec, exec, s[28:29]
	v_cmp_lt_u32_e32 vcc, s39, v30
	s_and_saveexec_b64 s[28:29], vcc
	s_cbranch_execz .LBB323_58
; %bb.53:                               ;   in Loop: Header=BB323_10 Depth=1
	v_lshrrev_b32_e32 v30, 24, v30
	v_cmp_ne_u32_e32 vcc, s19, v30
	v_bfrev_b32_e32 v0, 1
	buffer_store_dword v0, off, s[0:3], s32 offset:200 ; 4-byte Folded Spill
	s_and_saveexec_b64 s[30:31], vcc
	s_cbranch_execz .LBB323_57
; %bb.54:                               ;   in Loop: Header=BB323_10 Depth=1
	v_and_b32_e32 v0, 0x7f, v30
	v_cmp_ne_u32_e32 vcc, s37, v0
	v_mov_b32_e32 v1, 0x7fc02000
	buffer_store_dword v1, off, s[0:3], s32 offset:200 ; 4-byte Folded Spill
	s_and_saveexec_b64 s[34:35], vcc
	s_cbranch_execz .LBB323_56
; %bb.55:                               ;   in Loop: Header=BB323_10 Depth=1
	v_and_b32_e32 v1, 7, v30
	v_ffbh_u32_e32 v2, v1
	v_min_u32_e32 v6, 32, v2
	v_subrev_u32_e32 v2, 28, v6
	v_lshlrev_b64 v[2:3], v2, v[30:31]
	v_lshrrev_b32_e32 v4, 3, v0
	v_sub_u32_e32 v3, 29, v6
	v_cmp_gt_u32_e32 vcc, 8, v0
	v_and_b32_e32 v2, 7, v2
	v_cndmask_b32_e32 v0, v4, v3, vcc
	v_mov_b32_e32 v3, 0x2000
	v_cndmask_b32_e32 v1, v1, v2, vcc
	v_lshlrev_b32_e32 v2, 8, v30
	v_lshl_add_u32 v0, v0, 10, v3
	v_and_or_b32 v0, v2, s38, v0
	v_lshl_or_b32 v0, v1, 7, v0
	v_cvt_f32_f16_e32 v0, v0
	buffer_store_dword v0, off, s[0:3], s32 offset:200 ; 4-byte Folded Spill
.LBB323_56:                             ;   in Loop: Header=BB323_10 Depth=1
	s_or_b64 exec, exec, s[34:35]
.LBB323_57:                             ;   in Loop: Header=BB323_10 Depth=1
	s_or_b64 exec, exec, s[30:31]
.LBB323_58:                             ;   in Loop: Header=BB323_10 Depth=1
	s_or_b64 exec, exec, s[28:29]
	flat_load_dword v30, v[28:29] offset:512
	v_mov_b32_e32 v0, 0
	buffer_store_dword v0, off, s[0:3], s32 offset:212 ; 4-byte Folded Spill
	v_mov_b32_e32 v0, 0
	buffer_store_dword v0, off, s[0:3], s32 offset:208 ; 4-byte Folded Spill
	s_waitcnt vmcnt(0) lgkmcnt(0)
	v_cmp_ne_u16_sdwa vcc, v30, v21 src0_sel:BYTE_0 src1_sel:DWORD
	s_and_saveexec_b64 s[28:29], vcc
	s_cbranch_execz .LBB323_64
; %bb.59:                               ;   in Loop: Header=BB323_10 Depth=1
	v_cmp_ne_u16_sdwa vcc, v30, s19 src0_sel:BYTE_0 src1_sel:DWORD
	v_bfrev_b32_e32 v0, 1
	buffer_store_dword v0, off, s[0:3], s32 offset:208 ; 4-byte Folded Spill
	s_and_saveexec_b64 s[30:31], vcc
	s_cbranch_execz .LBB323_63
; %bb.60:                               ;   in Loop: Header=BB323_10 Depth=1
	v_and_b32_e32 v0, 0x7f, v30
	v_cmp_ne_u32_e32 vcc, s37, v0
	v_mov_b32_e32 v1, 0x7fc02000
	buffer_store_dword v1, off, s[0:3], s32 offset:208 ; 4-byte Folded Spill
	s_and_saveexec_b64 s[34:35], vcc
	s_cbranch_execz .LBB323_62
; %bb.61:                               ;   in Loop: Header=BB323_10 Depth=1
	v_and_b32_e32 v1, 7, v30
	v_ffbh_u32_e32 v2, v1
	v_min_u32_e32 v6, 32, v2
	v_subrev_u32_e32 v2, 28, v6
	v_lshlrev_b64 v[2:3], v2, v[30:31]
	v_lshrrev_b32_e32 v4, 3, v0
	v_sub_u32_e32 v3, 29, v6
	v_cmp_gt_u32_e32 vcc, 8, v0
	v_and_b32_e32 v2, 7, v2
	v_cndmask_b32_e32 v0, v4, v3, vcc
	v_mov_b32_e32 v3, 0x2000
	v_cndmask_b32_e32 v1, v1, v2, vcc
	v_lshlrev_b32_e32 v2, 8, v30
	v_lshl_add_u32 v0, v0, 10, v3
	v_and_or_b32 v0, v2, s38, v0
	v_lshl_or_b32 v0, v1, 7, v0
	v_cvt_f32_f16_e32 v0, v0
	buffer_store_dword v0, off, s[0:3], s32 offset:208 ; 4-byte Folded Spill
.LBB323_62:                             ;   in Loop: Header=BB323_10 Depth=1
	s_or_b64 exec, exec, s[34:35]
.LBB323_63:                             ;   in Loop: Header=BB323_10 Depth=1
	s_or_b64 exec, exec, s[30:31]
.LBB323_64:                             ;   in Loop: Header=BB323_10 Depth=1
	s_or_b64 exec, exec, s[28:29]
	v_lshrrev_b16_e32 v32, 8, v30
	v_cmp_ne_u16_e32 vcc, 0, v32
	s_and_saveexec_b64 s[28:29], vcc
	s_cbranch_execz .LBB323_70
; %bb.65:                               ;   in Loop: Header=BB323_10 Depth=1
	v_cmp_ne_u16_e32 vcc, s19, v32
	v_bfrev_b32_e32 v0, 1
	buffer_store_dword v0, off, s[0:3], s32 offset:212 ; 4-byte Folded Spill
	s_and_saveexec_b64 s[30:31], vcc
	s_cbranch_execz .LBB323_69
; %bb.66:                               ;   in Loop: Header=BB323_10 Depth=1
	v_and_b32_e32 v0, 0x7f, v32
	v_cmp_ne_u32_e32 vcc, s37, v0
	v_mov_b32_e32 v1, 0x7fc02000
	buffer_store_dword v1, off, s[0:3], s32 offset:212 ; 4-byte Folded Spill
	s_and_saveexec_b64 s[34:35], vcc
	s_cbranch_execz .LBB323_68
; %bb.67:                               ;   in Loop: Header=BB323_10 Depth=1
	v_and_b32_e32 v2, 7, v32
	v_lshrrev_b32_e32 v3, 3, v0
	v_cmp_gt_u32_e32 vcc, 8, v0
	v_ffbh_u32_e32 v0, v2
	v_min_u32_e32 v4, 32, v0
	v_subrev_u32_e32 v0, 28, v4
	v_lshlrev_b64 v[0:1], v0, v[32:33]
	v_sub_u32_e32 v1, 29, v4
	v_and_b32_e32 v0, 7, v0
	v_cndmask_b32_e32 v1, v3, v1, vcc
	v_mov_b32_e32 v3, 0x2000
	v_cndmask_b32_e32 v0, v2, v0, vcc
	v_lshlrev_b32_e32 v2, 8, v32
	v_lshl_add_u32 v1, v1, 10, v3
	v_and_or_b32 v1, v2, s38, v1
	v_lshl_or_b32 v0, v0, 7, v1
	v_cvt_f32_f16_e32 v0, v0
	buffer_store_dword v0, off, s[0:3], s32 offset:212 ; 4-byte Folded Spill
.LBB323_68:                             ;   in Loop: Header=BB323_10 Depth=1
	s_or_b64 exec, exec, s[34:35]
.LBB323_69:                             ;   in Loop: Header=BB323_10 Depth=1
	s_or_b64 exec, exec, s[30:31]
.LBB323_70:                             ;   in Loop: Header=BB323_10 Depth=1
	s_or_b64 exec, exec, s[28:29]
	v_lshrrev_b32_e32 v32, 16, v30
	v_mov_b32_e32 v0, 0
	v_cmp_ne_u16_sdwa vcc, v32, v21 src0_sel:BYTE_0 src1_sel:DWORD
	buffer_store_dword v0, off, s[0:3], s32 offset:216 ; 4-byte Folded Spill
	v_mov_b32_e32 v0, 0
	buffer_store_dword v0, off, s[0:3], s32 offset:220 ; 4-byte Folded Spill
	s_and_saveexec_b64 s[28:29], vcc
	s_cbranch_execz .LBB323_76
; %bb.71:                               ;   in Loop: Header=BB323_10 Depth=1
	v_cmp_ne_u16_sdwa vcc, v32, s19 src0_sel:BYTE_0 src1_sel:DWORD
	v_bfrev_b32_e32 v0, 1
	buffer_store_dword v0, off, s[0:3], s32 offset:220 ; 4-byte Folded Spill
	s_and_saveexec_b64 s[30:31], vcc
	s_cbranch_execz .LBB323_75
; %bb.72:                               ;   in Loop: Header=BB323_10 Depth=1
	v_bfe_u32 v0, v30, 16, 7
	v_cmp_ne_u32_e32 vcc, s37, v0
	v_mov_b32_e32 v1, 0x7fc02000
	buffer_store_dword v1, off, s[0:3], s32 offset:220 ; 4-byte Folded Spill
	s_and_saveexec_b64 s[34:35], vcc
	s_cbranch_execz .LBB323_74
; %bb.73:                               ;   in Loop: Header=BB323_10 Depth=1
	v_and_b32_e32 v1, 7, v32
	v_ffbh_u32_e32 v2, v1
	v_min_u32_e32 v6, 32, v2
	v_subrev_u32_e32 v2, 28, v6
	v_lshlrev_b64 v[2:3], v2, v[32:33]
	v_lshrrev_b32_e32 v4, 3, v0
	v_sub_u32_e32 v3, 29, v6
	v_cmp_gt_u32_e32 vcc, 8, v0
	v_and_b32_e32 v2, 7, v2
	v_cndmask_b32_e32 v0, v4, v3, vcc
	v_mov_b32_e32 v3, 0x2000
	v_cndmask_b32_e32 v1, v1, v2, vcc
	v_lshlrev_b32_e32 v2, 8, v32
	v_lshl_add_u32 v0, v0, 10, v3
	v_and_or_b32 v0, v2, s38, v0
	v_lshl_or_b32 v0, v1, 7, v0
	v_cvt_f32_f16_e32 v0, v0
	buffer_store_dword v0, off, s[0:3], s32 offset:220 ; 4-byte Folded Spill
.LBB323_74:                             ;   in Loop: Header=BB323_10 Depth=1
	s_or_b64 exec, exec, s[34:35]
.LBB323_75:                             ;   in Loop: Header=BB323_10 Depth=1
	s_or_b64 exec, exec, s[30:31]
.LBB323_76:                             ;   in Loop: Header=BB323_10 Depth=1
	s_or_b64 exec, exec, s[28:29]
	v_cmp_lt_u32_e32 vcc, s39, v30
	s_and_saveexec_b64 s[28:29], vcc
	s_cbranch_execz .LBB323_82
; %bb.77:                               ;   in Loop: Header=BB323_10 Depth=1
	v_lshrrev_b32_e32 v30, 24, v30
	v_cmp_ne_u32_e32 vcc, s19, v30
	v_bfrev_b32_e32 v0, 1
	buffer_store_dword v0, off, s[0:3], s32 offset:216 ; 4-byte Folded Spill
	s_and_saveexec_b64 s[30:31], vcc
	s_cbranch_execz .LBB323_81
; %bb.78:                               ;   in Loop: Header=BB323_10 Depth=1
	v_and_b32_e32 v0, 0x7f, v30
	v_cmp_ne_u32_e32 vcc, s37, v0
	v_mov_b32_e32 v1, 0x7fc02000
	buffer_store_dword v1, off, s[0:3], s32 offset:216 ; 4-byte Folded Spill
	s_and_saveexec_b64 s[34:35], vcc
	s_cbranch_execz .LBB323_80
; %bb.79:                               ;   in Loop: Header=BB323_10 Depth=1
	v_and_b32_e32 v1, 7, v30
	v_ffbh_u32_e32 v2, v1
	v_min_u32_e32 v6, 32, v2
	v_subrev_u32_e32 v2, 28, v6
	v_lshlrev_b64 v[2:3], v2, v[30:31]
	v_lshrrev_b32_e32 v4, 3, v0
	v_sub_u32_e32 v3, 29, v6
	v_cmp_gt_u32_e32 vcc, 8, v0
	v_and_b32_e32 v2, 7, v2
	v_cndmask_b32_e32 v0, v4, v3, vcc
	v_mov_b32_e32 v3, 0x2000
	v_cndmask_b32_e32 v1, v1, v2, vcc
	v_lshlrev_b32_e32 v2, 8, v30
	v_lshl_add_u32 v0, v0, 10, v3
	v_and_or_b32 v0, v2, s38, v0
	v_lshl_or_b32 v0, v1, 7, v0
	v_cvt_f32_f16_e32 v0, v0
	buffer_store_dword v0, off, s[0:3], s32 offset:216 ; 4-byte Folded Spill
.LBB323_80:                             ;   in Loop: Header=BB323_10 Depth=1
	s_or_b64 exec, exec, s[34:35]
.LBB323_81:                             ;   in Loop: Header=BB323_10 Depth=1
	s_or_b64 exec, exec, s[30:31]
.LBB323_82:                             ;   in Loop: Header=BB323_10 Depth=1
	s_or_b64 exec, exec, s[28:29]
	flat_load_dword v30, v[28:29] offset:520
	v_mov_b32_e32 v0, 0
	buffer_store_dword v0, off, s[0:3], s32 offset:224 ; 4-byte Folded Spill
	v_mov_b32_e32 v0, 0
	buffer_store_dword v0, off, s[0:3], s32 offset:228 ; 4-byte Folded Spill
	s_waitcnt vmcnt(0) lgkmcnt(0)
	v_cmp_ne_u16_sdwa vcc, v30, v21 src0_sel:BYTE_0 src1_sel:DWORD
	s_and_saveexec_b64 s[28:29], vcc
	s_cbranch_execz .LBB323_88
; %bb.83:                               ;   in Loop: Header=BB323_10 Depth=1
	v_cmp_ne_u16_sdwa vcc, v30, s19 src0_sel:BYTE_0 src1_sel:DWORD
	v_bfrev_b32_e32 v0, 1
	buffer_store_dword v0, off, s[0:3], s32 offset:228 ; 4-byte Folded Spill
	s_and_saveexec_b64 s[30:31], vcc
	s_cbranch_execz .LBB323_87
; %bb.84:                               ;   in Loop: Header=BB323_10 Depth=1
	v_and_b32_e32 v0, 0x7f, v30
	v_cmp_ne_u32_e32 vcc, s37, v0
	v_mov_b32_e32 v1, 0x7fc02000
	buffer_store_dword v1, off, s[0:3], s32 offset:228 ; 4-byte Folded Spill
	s_and_saveexec_b64 s[34:35], vcc
	s_cbranch_execz .LBB323_86
; %bb.85:                               ;   in Loop: Header=BB323_10 Depth=1
	v_and_b32_e32 v1, 7, v30
	v_ffbh_u32_e32 v2, v1
	v_min_u32_e32 v6, 32, v2
	v_subrev_u32_e32 v2, 28, v6
	v_lshlrev_b64 v[2:3], v2, v[30:31]
	v_lshrrev_b32_e32 v4, 3, v0
	v_sub_u32_e32 v3, 29, v6
	v_cmp_gt_u32_e32 vcc, 8, v0
	v_and_b32_e32 v2, 7, v2
	v_cndmask_b32_e32 v0, v4, v3, vcc
	v_mov_b32_e32 v3, 0x2000
	v_cndmask_b32_e32 v1, v1, v2, vcc
	v_lshlrev_b32_e32 v2, 8, v30
	v_lshl_add_u32 v0, v0, 10, v3
	v_and_or_b32 v0, v2, s38, v0
	v_lshl_or_b32 v0, v1, 7, v0
	v_cvt_f32_f16_e32 v0, v0
	buffer_store_dword v0, off, s[0:3], s32 offset:228 ; 4-byte Folded Spill
.LBB323_86:                             ;   in Loop: Header=BB323_10 Depth=1
	s_or_b64 exec, exec, s[34:35]
.LBB323_87:                             ;   in Loop: Header=BB323_10 Depth=1
	s_or_b64 exec, exec, s[30:31]
.LBB323_88:                             ;   in Loop: Header=BB323_10 Depth=1
	s_or_b64 exec, exec, s[28:29]
	v_lshrrev_b16_e32 v32, 8, v30
	v_cmp_ne_u16_e32 vcc, 0, v32
	s_and_saveexec_b64 s[28:29], vcc
	s_cbranch_execz .LBB323_94
; %bb.89:                               ;   in Loop: Header=BB323_10 Depth=1
	v_cmp_ne_u16_e32 vcc, s19, v32
	v_bfrev_b32_e32 v0, 1
	buffer_store_dword v0, off, s[0:3], s32 offset:224 ; 4-byte Folded Spill
	s_and_saveexec_b64 s[30:31], vcc
	s_cbranch_execz .LBB323_93
; %bb.90:                               ;   in Loop: Header=BB323_10 Depth=1
	v_and_b32_e32 v0, 0x7f, v32
	v_cmp_ne_u32_e32 vcc, s37, v0
	v_mov_b32_e32 v1, 0x7fc02000
	buffer_store_dword v1, off, s[0:3], s32 offset:224 ; 4-byte Folded Spill
	s_and_saveexec_b64 s[34:35], vcc
	s_cbranch_execz .LBB323_92
; %bb.91:                               ;   in Loop: Header=BB323_10 Depth=1
	v_and_b32_e32 v1, 7, v32
	v_ffbh_u32_e32 v2, v1
	v_min_u32_e32 v6, 32, v2
	v_subrev_u32_e32 v2, 28, v6
	v_lshlrev_b64 v[2:3], v2, v[32:33]
	v_lshrrev_b32_e32 v4, 3, v0
	v_sub_u32_e32 v3, 29, v6
	v_cmp_gt_u32_e32 vcc, 8, v0
	v_and_b32_e32 v2, 7, v2
	v_cndmask_b32_e32 v0, v4, v3, vcc
	v_mov_b32_e32 v3, 0x2000
	v_cndmask_b32_e32 v1, v1, v2, vcc
	v_lshlrev_b32_e32 v2, 8, v32
	v_lshl_add_u32 v0, v0, 10, v3
	v_and_or_b32 v0, v2, s38, v0
	v_lshl_or_b32 v0, v1, 7, v0
	v_cvt_f32_f16_e32 v0, v0
	buffer_store_dword v0, off, s[0:3], s32 offset:224 ; 4-byte Folded Spill
.LBB323_92:                             ;   in Loop: Header=BB323_10 Depth=1
	s_or_b64 exec, exec, s[34:35]
.LBB323_93:                             ;   in Loop: Header=BB323_10 Depth=1
	s_or_b64 exec, exec, s[30:31]
.LBB323_94:                             ;   in Loop: Header=BB323_10 Depth=1
	s_or_b64 exec, exec, s[28:29]
	v_lshrrev_b32_e32 v32, 16, v30
	v_mov_b32_e32 v0, 0
	v_cmp_ne_u16_sdwa vcc, v32, v21 src0_sel:BYTE_0 src1_sel:DWORD
	buffer_store_dword v0, off, s[0:3], s32 offset:232 ; 4-byte Folded Spill
	v_mov_b32_e32 v0, 0
	buffer_store_dword v0, off, s[0:3], s32 offset:236 ; 4-byte Folded Spill
	s_and_saveexec_b64 s[28:29], vcc
	s_cbranch_execz .LBB323_100
; %bb.95:                               ;   in Loop: Header=BB323_10 Depth=1
	v_cmp_ne_u16_sdwa vcc, v32, s19 src0_sel:BYTE_0 src1_sel:DWORD
	v_bfrev_b32_e32 v0, 1
	buffer_store_dword v0, off, s[0:3], s32 offset:236 ; 4-byte Folded Spill
	s_and_saveexec_b64 s[30:31], vcc
	s_cbranch_execz .LBB323_99
; %bb.96:                               ;   in Loop: Header=BB323_10 Depth=1
	v_bfe_u32 v0, v30, 16, 7
	v_cmp_ne_u32_e32 vcc, s37, v0
	v_mov_b32_e32 v1, 0x7fc02000
	buffer_store_dword v1, off, s[0:3], s32 offset:236 ; 4-byte Folded Spill
	s_and_saveexec_b64 s[34:35], vcc
	s_cbranch_execz .LBB323_98
; %bb.97:                               ;   in Loop: Header=BB323_10 Depth=1
	v_and_b32_e32 v1, 7, v32
	v_ffbh_u32_e32 v2, v1
	v_min_u32_e32 v6, 32, v2
	v_subrev_u32_e32 v2, 28, v6
	v_lshlrev_b64 v[2:3], v2, v[32:33]
	v_lshrrev_b32_e32 v4, 3, v0
	v_sub_u32_e32 v3, 29, v6
	v_cmp_gt_u32_e32 vcc, 8, v0
	v_and_b32_e32 v2, 7, v2
	v_cndmask_b32_e32 v0, v4, v3, vcc
	v_mov_b32_e32 v3, 0x2000
	v_cndmask_b32_e32 v1, v1, v2, vcc
	v_lshlrev_b32_e32 v2, 8, v32
	v_lshl_add_u32 v0, v0, 10, v3
	v_and_or_b32 v0, v2, s38, v0
	v_lshl_or_b32 v0, v1, 7, v0
	v_cvt_f32_f16_e32 v0, v0
	buffer_store_dword v0, off, s[0:3], s32 offset:236 ; 4-byte Folded Spill
.LBB323_98:                             ;   in Loop: Header=BB323_10 Depth=1
	s_or_b64 exec, exec, s[34:35]
.LBB323_99:                             ;   in Loop: Header=BB323_10 Depth=1
	s_or_b64 exec, exec, s[30:31]
.LBB323_100:                            ;   in Loop: Header=BB323_10 Depth=1
	s_or_b64 exec, exec, s[28:29]
	v_cmp_lt_u32_e32 vcc, s39, v30
	s_and_saveexec_b64 s[28:29], vcc
	s_cbranch_execz .LBB323_106
; %bb.101:                              ;   in Loop: Header=BB323_10 Depth=1
	v_lshrrev_b32_e32 v30, 24, v30
	v_cmp_ne_u32_e32 vcc, s19, v30
	v_bfrev_b32_e32 v0, 1
	buffer_store_dword v0, off, s[0:3], s32 offset:232 ; 4-byte Folded Spill
	s_and_saveexec_b64 s[30:31], vcc
	s_cbranch_execz .LBB323_105
; %bb.102:                              ;   in Loop: Header=BB323_10 Depth=1
	v_and_b32_e32 v0, 0x7f, v30
	v_cmp_ne_u32_e32 vcc, s37, v0
	v_mov_b32_e32 v1, 0x7fc02000
	buffer_store_dword v1, off, s[0:3], s32 offset:232 ; 4-byte Folded Spill
	s_and_saveexec_b64 s[34:35], vcc
	s_cbranch_execz .LBB323_104
; %bb.103:                              ;   in Loop: Header=BB323_10 Depth=1
	v_and_b32_e32 v1, 7, v30
	v_ffbh_u32_e32 v2, v1
	v_min_u32_e32 v6, 32, v2
	v_subrev_u32_e32 v2, 28, v6
	v_lshlrev_b64 v[2:3], v2, v[30:31]
	v_lshrrev_b32_e32 v4, 3, v0
	v_sub_u32_e32 v3, 29, v6
	v_cmp_gt_u32_e32 vcc, 8, v0
	v_and_b32_e32 v2, 7, v2
	v_cndmask_b32_e32 v0, v4, v3, vcc
	v_mov_b32_e32 v3, 0x2000
	v_cndmask_b32_e32 v1, v1, v2, vcc
	v_lshlrev_b32_e32 v2, 8, v30
	v_lshl_add_u32 v0, v0, 10, v3
	v_and_or_b32 v0, v2, s38, v0
	v_lshl_or_b32 v0, v1, 7, v0
	v_cvt_f32_f16_e32 v0, v0
	buffer_store_dword v0, off, s[0:3], s32 offset:232 ; 4-byte Folded Spill
.LBB323_104:                            ;   in Loop: Header=BB323_10 Depth=1
	s_or_b64 exec, exec, s[34:35]
.LBB323_105:                            ;   in Loop: Header=BB323_10 Depth=1
	s_or_b64 exec, exec, s[30:31]
.LBB323_106:                            ;   in Loop: Header=BB323_10 Depth=1
	s_or_b64 exec, exec, s[28:29]
	flat_load_dword v30, v[28:29] offset:1024
	v_mov_b32_e32 v0, 0
	buffer_store_dword v0, off, s[0:3], s32 offset:244 ; 4-byte Folded Spill
	v_mov_b32_e32 v0, 0
	buffer_store_dword v0, off, s[0:3], s32 offset:240 ; 4-byte Folded Spill
	s_waitcnt vmcnt(0) lgkmcnt(0)
	v_cmp_ne_u16_sdwa vcc, v30, v21 src0_sel:BYTE_0 src1_sel:DWORD
	s_and_saveexec_b64 s[28:29], vcc
	s_cbranch_execz .LBB323_112
; %bb.107:                              ;   in Loop: Header=BB323_10 Depth=1
	v_cmp_ne_u16_sdwa vcc, v30, s19 src0_sel:BYTE_0 src1_sel:DWORD
	v_bfrev_b32_e32 v0, 1
	buffer_store_dword v0, off, s[0:3], s32 offset:240 ; 4-byte Folded Spill
	s_and_saveexec_b64 s[30:31], vcc
	s_cbranch_execz .LBB323_111
; %bb.108:                              ;   in Loop: Header=BB323_10 Depth=1
	v_and_b32_e32 v0, 0x7f, v30
	v_cmp_ne_u32_e32 vcc, s37, v0
	v_mov_b32_e32 v1, 0x7fc02000
	buffer_store_dword v1, off, s[0:3], s32 offset:240 ; 4-byte Folded Spill
	s_and_saveexec_b64 s[34:35], vcc
	s_cbranch_execz .LBB323_110
; %bb.109:                              ;   in Loop: Header=BB323_10 Depth=1
	v_and_b32_e32 v1, 7, v30
	v_ffbh_u32_e32 v2, v1
	v_min_u32_e32 v6, 32, v2
	v_subrev_u32_e32 v2, 28, v6
	v_lshlrev_b64 v[2:3], v2, v[30:31]
	v_lshrrev_b32_e32 v4, 3, v0
	v_sub_u32_e32 v3, 29, v6
	v_cmp_gt_u32_e32 vcc, 8, v0
	v_and_b32_e32 v2, 7, v2
	v_cndmask_b32_e32 v0, v4, v3, vcc
	v_mov_b32_e32 v3, 0x2000
	v_cndmask_b32_e32 v1, v1, v2, vcc
	v_lshlrev_b32_e32 v2, 8, v30
	v_lshl_add_u32 v0, v0, 10, v3
	v_and_or_b32 v0, v2, s38, v0
	v_lshl_or_b32 v0, v1, 7, v0
	v_cvt_f32_f16_e32 v0, v0
	buffer_store_dword v0, off, s[0:3], s32 offset:240 ; 4-byte Folded Spill
.LBB323_110:                            ;   in Loop: Header=BB323_10 Depth=1
	s_or_b64 exec, exec, s[34:35]
.LBB323_111:                            ;   in Loop: Header=BB323_10 Depth=1
	s_or_b64 exec, exec, s[30:31]
.LBB323_112:                            ;   in Loop: Header=BB323_10 Depth=1
	s_or_b64 exec, exec, s[28:29]
	v_lshrrev_b16_e32 v32, 8, v30
	v_cmp_ne_u16_e32 vcc, 0, v32
	s_and_saveexec_b64 s[28:29], vcc
	s_cbranch_execz .LBB323_118
; %bb.113:                              ;   in Loop: Header=BB323_10 Depth=1
	v_cmp_ne_u16_e32 vcc, s19, v32
	v_bfrev_b32_e32 v0, 1
	buffer_store_dword v0, off, s[0:3], s32 offset:244 ; 4-byte Folded Spill
	s_and_saveexec_b64 s[30:31], vcc
	s_cbranch_execz .LBB323_117
; %bb.114:                              ;   in Loop: Header=BB323_10 Depth=1
	v_and_b32_e32 v0, 0x7f, v32
	v_cmp_ne_u32_e32 vcc, s37, v0
	v_mov_b32_e32 v1, 0x7fc02000
	buffer_store_dword v1, off, s[0:3], s32 offset:244 ; 4-byte Folded Spill
	s_and_saveexec_b64 s[34:35], vcc
	s_cbranch_execz .LBB323_116
; %bb.115:                              ;   in Loop: Header=BB323_10 Depth=1
	v_and_b32_e32 v2, 7, v32
	v_lshrrev_b32_e32 v3, 3, v0
	v_cmp_gt_u32_e32 vcc, 8, v0
	v_ffbh_u32_e32 v0, v2
	v_min_u32_e32 v4, 32, v0
	v_subrev_u32_e32 v0, 28, v4
	v_lshlrev_b64 v[0:1], v0, v[32:33]
	v_sub_u32_e32 v1, 29, v4
	v_and_b32_e32 v0, 7, v0
	v_cndmask_b32_e32 v1, v3, v1, vcc
	v_mov_b32_e32 v3, 0x2000
	v_cndmask_b32_e32 v0, v2, v0, vcc
	v_lshlrev_b32_e32 v2, 8, v32
	v_lshl_add_u32 v1, v1, 10, v3
	v_and_or_b32 v1, v2, s38, v1
	v_lshl_or_b32 v0, v0, 7, v1
	v_cvt_f32_f16_e32 v0, v0
	buffer_store_dword v0, off, s[0:3], s32 offset:244 ; 4-byte Folded Spill
.LBB323_116:                            ;   in Loop: Header=BB323_10 Depth=1
	s_or_b64 exec, exec, s[34:35]
.LBB323_117:                            ;   in Loop: Header=BB323_10 Depth=1
	s_or_b64 exec, exec, s[30:31]
.LBB323_118:                            ;   in Loop: Header=BB323_10 Depth=1
	s_or_b64 exec, exec, s[28:29]
	v_lshrrev_b32_e32 v32, 16, v30
	v_mov_b32_e32 v0, 0
	v_cmp_ne_u16_sdwa vcc, v32, v21 src0_sel:BYTE_0 src1_sel:DWORD
	buffer_store_dword v0, off, s[0:3], s32 offset:248 ; 4-byte Folded Spill
	v_mov_b32_e32 v0, 0
	buffer_store_dword v0, off, s[0:3], s32 offset:252 ; 4-byte Folded Spill
	s_and_saveexec_b64 s[28:29], vcc
	s_cbranch_execz .LBB323_124
; %bb.119:                              ;   in Loop: Header=BB323_10 Depth=1
	v_cmp_ne_u16_sdwa vcc, v32, s19 src0_sel:BYTE_0 src1_sel:DWORD
	v_bfrev_b32_e32 v0, 1
	buffer_store_dword v0, off, s[0:3], s32 offset:252 ; 4-byte Folded Spill
	s_and_saveexec_b64 s[30:31], vcc
	s_cbranch_execz .LBB323_123
; %bb.120:                              ;   in Loop: Header=BB323_10 Depth=1
	v_bfe_u32 v0, v30, 16, 7
	v_cmp_ne_u32_e32 vcc, s37, v0
	v_mov_b32_e32 v1, 0x7fc02000
	buffer_store_dword v1, off, s[0:3], s32 offset:252 ; 4-byte Folded Spill
	s_and_saveexec_b64 s[34:35], vcc
	s_cbranch_execz .LBB323_122
; %bb.121:                              ;   in Loop: Header=BB323_10 Depth=1
	v_and_b32_e32 v1, 7, v32
	v_ffbh_u32_e32 v2, v1
	v_min_u32_e32 v6, 32, v2
	v_subrev_u32_e32 v2, 28, v6
	v_lshlrev_b64 v[2:3], v2, v[32:33]
	v_lshrrev_b32_e32 v4, 3, v0
	v_sub_u32_e32 v3, 29, v6
	v_cmp_gt_u32_e32 vcc, 8, v0
	v_and_b32_e32 v2, 7, v2
	v_cndmask_b32_e32 v0, v4, v3, vcc
	v_mov_b32_e32 v3, 0x2000
	v_cndmask_b32_e32 v1, v1, v2, vcc
	v_lshlrev_b32_e32 v2, 8, v32
	v_lshl_add_u32 v0, v0, 10, v3
	v_and_or_b32 v0, v2, s38, v0
	v_lshl_or_b32 v0, v1, 7, v0
	v_cvt_f32_f16_e32 v0, v0
	buffer_store_dword v0, off, s[0:3], s32 offset:252 ; 4-byte Folded Spill
.LBB323_122:                            ;   in Loop: Header=BB323_10 Depth=1
	s_or_b64 exec, exec, s[34:35]
.LBB323_123:                            ;   in Loop: Header=BB323_10 Depth=1
	s_or_b64 exec, exec, s[30:31]
.LBB323_124:                            ;   in Loop: Header=BB323_10 Depth=1
	s_or_b64 exec, exec, s[28:29]
	v_cmp_lt_u32_e32 vcc, s39, v30
	s_and_saveexec_b64 s[28:29], vcc
	s_cbranch_execz .LBB323_130
; %bb.125:                              ;   in Loop: Header=BB323_10 Depth=1
	v_lshrrev_b32_e32 v30, 24, v30
	v_cmp_ne_u32_e32 vcc, s19, v30
	v_bfrev_b32_e32 v0, 1
	buffer_store_dword v0, off, s[0:3], s32 offset:248 ; 4-byte Folded Spill
	s_and_saveexec_b64 s[30:31], vcc
	s_cbranch_execz .LBB323_129
; %bb.126:                              ;   in Loop: Header=BB323_10 Depth=1
	v_and_b32_e32 v0, 0x7f, v30
	v_cmp_ne_u32_e32 vcc, s37, v0
	v_mov_b32_e32 v1, 0x7fc02000
	buffer_store_dword v1, off, s[0:3], s32 offset:248 ; 4-byte Folded Spill
	s_and_saveexec_b64 s[34:35], vcc
	s_cbranch_execz .LBB323_128
; %bb.127:                              ;   in Loop: Header=BB323_10 Depth=1
	v_and_b32_e32 v1, 7, v30
	v_ffbh_u32_e32 v2, v1
	v_min_u32_e32 v6, 32, v2
	v_subrev_u32_e32 v2, 28, v6
	v_lshlrev_b64 v[2:3], v2, v[30:31]
	v_lshrrev_b32_e32 v4, 3, v0
	v_sub_u32_e32 v3, 29, v6
	v_cmp_gt_u32_e32 vcc, 8, v0
	v_and_b32_e32 v2, 7, v2
	v_cndmask_b32_e32 v0, v4, v3, vcc
	v_mov_b32_e32 v3, 0x2000
	v_cndmask_b32_e32 v1, v1, v2, vcc
	v_lshlrev_b32_e32 v2, 8, v30
	v_lshl_add_u32 v0, v0, 10, v3
	v_and_or_b32 v0, v2, s38, v0
	v_lshl_or_b32 v0, v1, 7, v0
	v_cvt_f32_f16_e32 v0, v0
	buffer_store_dword v0, off, s[0:3], s32 offset:248 ; 4-byte Folded Spill
.LBB323_128:                            ;   in Loop: Header=BB323_10 Depth=1
	s_or_b64 exec, exec, s[34:35]
.LBB323_129:                            ;   in Loop: Header=BB323_10 Depth=1
	s_or_b64 exec, exec, s[30:31]
.LBB323_130:                            ;   in Loop: Header=BB323_10 Depth=1
	s_or_b64 exec, exec, s[28:29]
	flat_load_dword v30, v[28:29] offset:1032
	v_mov_b32_e32 v61, 0
	v_mov_b32_e32 v0, 0
	buffer_store_dword v0, off, s[0:3], s32 offset:256 ; 4-byte Folded Spill
	s_waitcnt vmcnt(0) lgkmcnt(0)
	v_cmp_ne_u16_sdwa vcc, v30, v21 src0_sel:BYTE_0 src1_sel:DWORD
	s_and_saveexec_b64 s[28:29], vcc
	s_cbranch_execz .LBB323_136
; %bb.131:                              ;   in Loop: Header=BB323_10 Depth=1
	v_cmp_ne_u16_sdwa vcc, v30, s19 src0_sel:BYTE_0 src1_sel:DWORD
	v_bfrev_b32_e32 v0, 1
	buffer_store_dword v0, off, s[0:3], s32 offset:256 ; 4-byte Folded Spill
	s_and_saveexec_b64 s[30:31], vcc
	s_cbranch_execz .LBB323_135
; %bb.132:                              ;   in Loop: Header=BB323_10 Depth=1
	v_and_b32_e32 v0, 0x7f, v30
	v_cmp_ne_u32_e32 vcc, s37, v0
	v_mov_b32_e32 v1, 0x7fc02000
	buffer_store_dword v1, off, s[0:3], s32 offset:256 ; 4-byte Folded Spill
	s_and_saveexec_b64 s[34:35], vcc
	s_cbranch_execz .LBB323_134
; %bb.133:                              ;   in Loop: Header=BB323_10 Depth=1
	v_and_b32_e32 v1, 7, v30
	v_ffbh_u32_e32 v2, v1
	v_min_u32_e32 v6, 32, v2
	v_subrev_u32_e32 v2, 28, v6
	v_lshlrev_b64 v[2:3], v2, v[30:31]
	v_lshrrev_b32_e32 v4, 3, v0
	v_sub_u32_e32 v3, 29, v6
	v_cmp_gt_u32_e32 vcc, 8, v0
	v_and_b32_e32 v2, 7, v2
	v_cndmask_b32_e32 v0, v4, v3, vcc
	v_mov_b32_e32 v3, 0x2000
	v_cndmask_b32_e32 v1, v1, v2, vcc
	v_lshlrev_b32_e32 v2, 8, v30
	v_lshl_add_u32 v0, v0, 10, v3
	v_and_or_b32 v0, v2, s38, v0
	v_lshl_or_b32 v0, v1, 7, v0
	v_cvt_f32_f16_e32 v0, v0
	buffer_store_dword v0, off, s[0:3], s32 offset:256 ; 4-byte Folded Spill
.LBB323_134:                            ;   in Loop: Header=BB323_10 Depth=1
	s_or_b64 exec, exec, s[34:35]
.LBB323_135:                            ;   in Loop: Header=BB323_10 Depth=1
	s_or_b64 exec, exec, s[30:31]
.LBB323_136:                            ;   in Loop: Header=BB323_10 Depth=1
	s_or_b64 exec, exec, s[28:29]
	v_lshrrev_b16_e32 v32, 8, v30
	v_cmp_ne_u16_e32 vcc, 0, v32
	s_and_saveexec_b64 s[28:29], vcc
	s_cbranch_execz .LBB323_142
; %bb.137:                              ;   in Loop: Header=BB323_10 Depth=1
	v_cmp_ne_u16_e32 vcc, s19, v32
	v_bfrev_b32_e32 v61, 1
	s_and_saveexec_b64 s[30:31], vcc
	s_cbranch_execz .LBB323_141
; %bb.138:                              ;   in Loop: Header=BB323_10 Depth=1
	v_and_b32_e32 v0, 0x7f, v32
	v_cmp_ne_u32_e32 vcc, s37, v0
	v_mov_b32_e32 v61, 0x7fc02000
	s_and_saveexec_b64 s[34:35], vcc
	s_cbranch_execz .LBB323_140
; %bb.139:                              ;   in Loop: Header=BB323_10 Depth=1
	v_and_b32_e32 v1, 7, v32
	v_ffbh_u32_e32 v2, v1
	v_min_u32_e32 v6, 32, v2
	v_subrev_u32_e32 v2, 28, v6
	v_lshlrev_b64 v[2:3], v2, v[32:33]
	v_lshrrev_b32_e32 v4, 3, v0
	v_sub_u32_e32 v3, 29, v6
	v_cmp_gt_u32_e32 vcc, 8, v0
	v_and_b32_e32 v2, 7, v2
	v_cndmask_b32_e32 v0, v4, v3, vcc
	v_mov_b32_e32 v3, 0x2000
	v_cndmask_b32_e32 v1, v1, v2, vcc
	v_lshlrev_b32_e32 v2, 8, v32
	v_lshl_add_u32 v0, v0, 10, v3
	v_and_or_b32 v0, v2, s38, v0
	v_lshl_or_b32 v0, v1, 7, v0
	v_cvt_f32_f16_e32 v61, v0
.LBB323_140:                            ;   in Loop: Header=BB323_10 Depth=1
	s_or_b64 exec, exec, s[34:35]
.LBB323_141:                            ;   in Loop: Header=BB323_10 Depth=1
	s_or_b64 exec, exec, s[30:31]
.LBB323_142:                            ;   in Loop: Header=BB323_10 Depth=1
	s_or_b64 exec, exec, s[28:29]
	v_lshrrev_b32_e32 v32, 16, v30
	v_mov_b32_e32 v0, 0
	v_cmp_ne_u16_sdwa vcc, v32, v21 src0_sel:BYTE_0 src1_sel:DWORD
	buffer_store_dword v0, off, s[0:3], s32 offset:260 ; 4-byte Folded Spill
	v_mov_b32_e32 v0, 0
	buffer_store_dword v0, off, s[0:3], s32 offset:264 ; 4-byte Folded Spill
	s_and_saveexec_b64 s[28:29], vcc
	s_cbranch_execz .LBB323_148
; %bb.143:                              ;   in Loop: Header=BB323_10 Depth=1
	v_cmp_ne_u16_sdwa vcc, v32, s19 src0_sel:BYTE_0 src1_sel:DWORD
	v_bfrev_b32_e32 v0, 1
	buffer_store_dword v0, off, s[0:3], s32 offset:264 ; 4-byte Folded Spill
	s_and_saveexec_b64 s[30:31], vcc
	s_cbranch_execz .LBB323_147
; %bb.144:                              ;   in Loop: Header=BB323_10 Depth=1
	v_bfe_u32 v0, v30, 16, 7
	v_cmp_ne_u32_e32 vcc, s37, v0
	v_mov_b32_e32 v1, 0x7fc02000
	buffer_store_dword v1, off, s[0:3], s32 offset:264 ; 4-byte Folded Spill
	s_and_saveexec_b64 s[34:35], vcc
	s_cbranch_execz .LBB323_146
; %bb.145:                              ;   in Loop: Header=BB323_10 Depth=1
	v_and_b32_e32 v1, 7, v32
	v_ffbh_u32_e32 v2, v1
	v_min_u32_e32 v6, 32, v2
	v_subrev_u32_e32 v2, 28, v6
	v_lshlrev_b64 v[2:3], v2, v[32:33]
	v_lshrrev_b32_e32 v4, 3, v0
	v_sub_u32_e32 v3, 29, v6
	v_cmp_gt_u32_e32 vcc, 8, v0
	v_and_b32_e32 v2, 7, v2
	v_cndmask_b32_e32 v0, v4, v3, vcc
	v_mov_b32_e32 v3, 0x2000
	v_cndmask_b32_e32 v1, v1, v2, vcc
	v_lshlrev_b32_e32 v2, 8, v32
	v_lshl_add_u32 v0, v0, 10, v3
	v_and_or_b32 v0, v2, s38, v0
	v_lshl_or_b32 v0, v1, 7, v0
	v_cvt_f32_f16_e32 v0, v0
	buffer_store_dword v0, off, s[0:3], s32 offset:264 ; 4-byte Folded Spill
.LBB323_146:                            ;   in Loop: Header=BB323_10 Depth=1
	s_or_b64 exec, exec, s[34:35]
.LBB323_147:                            ;   in Loop: Header=BB323_10 Depth=1
	s_or_b64 exec, exec, s[30:31]
.LBB323_148:                            ;   in Loop: Header=BB323_10 Depth=1
	s_or_b64 exec, exec, s[28:29]
	v_cmp_lt_u32_e32 vcc, s39, v30
	s_and_saveexec_b64 s[28:29], vcc
	s_cbranch_execz .LBB323_154
; %bb.149:                              ;   in Loop: Header=BB323_10 Depth=1
	v_lshrrev_b32_e32 v30, 24, v30
	v_cmp_ne_u32_e32 vcc, s19, v30
	v_bfrev_b32_e32 v0, 1
	buffer_store_dword v0, off, s[0:3], s32 offset:260 ; 4-byte Folded Spill
	s_and_saveexec_b64 s[30:31], vcc
	s_cbranch_execz .LBB323_153
; %bb.150:                              ;   in Loop: Header=BB323_10 Depth=1
	v_and_b32_e32 v0, 0x7f, v30
	v_cmp_ne_u32_e32 vcc, s37, v0
	v_mov_b32_e32 v1, 0x7fc02000
	buffer_store_dword v1, off, s[0:3], s32 offset:260 ; 4-byte Folded Spill
	s_and_saveexec_b64 s[34:35], vcc
	s_cbranch_execz .LBB323_152
; %bb.151:                              ;   in Loop: Header=BB323_10 Depth=1
	v_and_b32_e32 v1, 7, v30
	v_ffbh_u32_e32 v2, v1
	v_min_u32_e32 v6, 32, v2
	v_subrev_u32_e32 v2, 28, v6
	v_lshlrev_b64 v[2:3], v2, v[30:31]
	v_lshrrev_b32_e32 v4, 3, v0
	v_sub_u32_e32 v3, 29, v6
	v_cmp_gt_u32_e32 vcc, 8, v0
	v_and_b32_e32 v2, 7, v2
	v_cndmask_b32_e32 v0, v4, v3, vcc
	v_mov_b32_e32 v3, 0x2000
	v_cndmask_b32_e32 v1, v1, v2, vcc
	v_lshlrev_b32_e32 v2, 8, v30
	v_lshl_add_u32 v0, v0, 10, v3
	v_and_or_b32 v0, v2, s38, v0
	v_lshl_or_b32 v0, v1, 7, v0
	v_cvt_f32_f16_e32 v0, v0
	buffer_store_dword v0, off, s[0:3], s32 offset:260 ; 4-byte Folded Spill
.LBB323_152:                            ;   in Loop: Header=BB323_10 Depth=1
	s_or_b64 exec, exec, s[34:35]
.LBB323_153:                            ;   in Loop: Header=BB323_10 Depth=1
	s_or_b64 exec, exec, s[30:31]
.LBB323_154:                            ;   in Loop: Header=BB323_10 Depth=1
	s_or_b64 exec, exec, s[28:29]
	flat_load_dword v30, v[28:29] offset:1536
	v_mov_b32_e32 v0, 0
	v_mov_b32_e32 v60, 0
	buffer_store_dword v0, off, s[0:3], s32 offset:268 ; 4-byte Folded Spill
	s_waitcnt vmcnt(0) lgkmcnt(0)
	v_cmp_ne_u16_sdwa vcc, v30, v21 src0_sel:BYTE_0 src1_sel:DWORD
	s_and_saveexec_b64 s[28:29], vcc
	s_cbranch_execz .LBB323_160
; %bb.155:                              ;   in Loop: Header=BB323_10 Depth=1
	v_cmp_ne_u16_sdwa vcc, v30, s19 src0_sel:BYTE_0 src1_sel:DWORD
	v_bfrev_b32_e32 v60, 1
	s_and_saveexec_b64 s[30:31], vcc
	s_cbranch_execz .LBB323_159
; %bb.156:                              ;   in Loop: Header=BB323_10 Depth=1
	v_and_b32_e32 v0, 0x7f, v30
	v_cmp_ne_u32_e32 vcc, s37, v0
	v_mov_b32_e32 v60, 0x7fc02000
	s_and_saveexec_b64 s[34:35], vcc
	s_cbranch_execz .LBB323_158
; %bb.157:                              ;   in Loop: Header=BB323_10 Depth=1
	v_and_b32_e32 v1, 7, v30
	v_ffbh_u32_e32 v2, v1
	v_min_u32_e32 v6, 32, v2
	v_subrev_u32_e32 v2, 28, v6
	v_lshlrev_b64 v[2:3], v2, v[30:31]
	v_lshrrev_b32_e32 v4, 3, v0
	v_sub_u32_e32 v3, 29, v6
	v_cmp_gt_u32_e32 vcc, 8, v0
	v_and_b32_e32 v2, 7, v2
	v_cndmask_b32_e32 v0, v4, v3, vcc
	v_mov_b32_e32 v3, 0x2000
	v_cndmask_b32_e32 v1, v1, v2, vcc
	v_lshlrev_b32_e32 v2, 8, v30
	v_lshl_add_u32 v0, v0, 10, v3
	v_and_or_b32 v0, v2, s38, v0
	v_lshl_or_b32 v0, v1, 7, v0
	v_cvt_f32_f16_e32 v60, v0
.LBB323_158:                            ;   in Loop: Header=BB323_10 Depth=1
	s_or_b64 exec, exec, s[34:35]
.LBB323_159:                            ;   in Loop: Header=BB323_10 Depth=1
	s_or_b64 exec, exec, s[30:31]
.LBB323_160:                            ;   in Loop: Header=BB323_10 Depth=1
	s_or_b64 exec, exec, s[28:29]
	v_lshrrev_b16_e32 v32, 8, v30
	v_cmp_ne_u16_e32 vcc, 0, v32
	s_and_saveexec_b64 s[28:29], vcc
	s_cbranch_execz .LBB323_166
; %bb.161:                              ;   in Loop: Header=BB323_10 Depth=1
	v_cmp_ne_u16_e32 vcc, s19, v32
	v_bfrev_b32_e32 v0, 1
	buffer_store_dword v0, off, s[0:3], s32 offset:268 ; 4-byte Folded Spill
	s_and_saveexec_b64 s[30:31], vcc
	s_cbranch_execz .LBB323_165
; %bb.162:                              ;   in Loop: Header=BB323_10 Depth=1
	v_and_b32_e32 v0, 0x7f, v32
	v_cmp_ne_u32_e32 vcc, s37, v0
	v_mov_b32_e32 v1, 0x7fc02000
	buffer_store_dword v1, off, s[0:3], s32 offset:268 ; 4-byte Folded Spill
	s_and_saveexec_b64 s[34:35], vcc
	s_cbranch_execz .LBB323_164
; %bb.163:                              ;   in Loop: Header=BB323_10 Depth=1
	v_and_b32_e32 v2, 7, v32
	v_lshrrev_b32_e32 v3, 3, v0
	v_cmp_gt_u32_e32 vcc, 8, v0
	v_ffbh_u32_e32 v0, v2
	v_min_u32_e32 v4, 32, v0
	v_subrev_u32_e32 v0, 28, v4
	v_lshlrev_b64 v[0:1], v0, v[32:33]
	v_sub_u32_e32 v1, 29, v4
	v_and_b32_e32 v0, 7, v0
	v_cndmask_b32_e32 v1, v3, v1, vcc
	v_mov_b32_e32 v3, 0x2000
	v_cndmask_b32_e32 v0, v2, v0, vcc
	v_lshlrev_b32_e32 v2, 8, v32
	v_lshl_add_u32 v1, v1, 10, v3
	v_and_or_b32 v1, v2, s38, v1
	v_lshl_or_b32 v0, v0, 7, v1
	v_cvt_f32_f16_e32 v0, v0
	buffer_store_dword v0, off, s[0:3], s32 offset:268 ; 4-byte Folded Spill
.LBB323_164:                            ;   in Loop: Header=BB323_10 Depth=1
	s_or_b64 exec, exec, s[34:35]
.LBB323_165:                            ;   in Loop: Header=BB323_10 Depth=1
	s_or_b64 exec, exec, s[30:31]
.LBB323_166:                            ;   in Loop: Header=BB323_10 Depth=1
	s_or_b64 exec, exec, s[28:29]
	v_lshrrev_b32_e32 v32, 16, v30
	v_mov_b32_e32 v0, 0
	v_cmp_ne_u16_sdwa vcc, v32, v21 src0_sel:BYTE_0 src1_sel:DWORD
	buffer_store_dword v0, off, s[0:3], s32 offset:272 ; 4-byte Folded Spill
	v_mov_b32_e32 v0, 0
	buffer_store_dword v0, off, s[0:3], s32 offset:276 ; 4-byte Folded Spill
	s_and_saveexec_b64 s[28:29], vcc
	s_cbranch_execz .LBB323_172
; %bb.167:                              ;   in Loop: Header=BB323_10 Depth=1
	v_cmp_ne_u16_sdwa vcc, v32, s19 src0_sel:BYTE_0 src1_sel:DWORD
	v_bfrev_b32_e32 v0, 1
	buffer_store_dword v0, off, s[0:3], s32 offset:276 ; 4-byte Folded Spill
	s_and_saveexec_b64 s[30:31], vcc
	s_cbranch_execz .LBB323_171
; %bb.168:                              ;   in Loop: Header=BB323_10 Depth=1
	v_bfe_u32 v0, v30, 16, 7
	v_cmp_ne_u32_e32 vcc, s37, v0
	v_mov_b32_e32 v1, 0x7fc02000
	buffer_store_dword v1, off, s[0:3], s32 offset:276 ; 4-byte Folded Spill
	s_and_saveexec_b64 s[34:35], vcc
	s_cbranch_execz .LBB323_170
; %bb.169:                              ;   in Loop: Header=BB323_10 Depth=1
	v_and_b32_e32 v1, 7, v32
	v_ffbh_u32_e32 v2, v1
	v_min_u32_e32 v6, 32, v2
	v_subrev_u32_e32 v2, 28, v6
	v_lshlrev_b64 v[2:3], v2, v[32:33]
	v_lshrrev_b32_e32 v4, 3, v0
	v_sub_u32_e32 v3, 29, v6
	v_cmp_gt_u32_e32 vcc, 8, v0
	v_and_b32_e32 v2, 7, v2
	v_cndmask_b32_e32 v0, v4, v3, vcc
	v_mov_b32_e32 v3, 0x2000
	v_cndmask_b32_e32 v1, v1, v2, vcc
	v_lshlrev_b32_e32 v2, 8, v32
	v_lshl_add_u32 v0, v0, 10, v3
	v_and_or_b32 v0, v2, s38, v0
	v_lshl_or_b32 v0, v1, 7, v0
	v_cvt_f32_f16_e32 v0, v0
	buffer_store_dword v0, off, s[0:3], s32 offset:276 ; 4-byte Folded Spill
.LBB323_170:                            ;   in Loop: Header=BB323_10 Depth=1
	s_or_b64 exec, exec, s[34:35]
.LBB323_171:                            ;   in Loop: Header=BB323_10 Depth=1
	s_or_b64 exec, exec, s[30:31]
.LBB323_172:                            ;   in Loop: Header=BB323_10 Depth=1
	s_or_b64 exec, exec, s[28:29]
	v_cmp_lt_u32_e32 vcc, s39, v30
	s_and_saveexec_b64 s[28:29], vcc
	s_cbranch_execz .LBB323_178
; %bb.173:                              ;   in Loop: Header=BB323_10 Depth=1
	v_lshrrev_b32_e32 v30, 24, v30
	v_cmp_ne_u32_e32 vcc, s19, v30
	v_bfrev_b32_e32 v0, 1
	buffer_store_dword v0, off, s[0:3], s32 offset:272 ; 4-byte Folded Spill
	s_and_saveexec_b64 s[30:31], vcc
	s_cbranch_execz .LBB323_177
; %bb.174:                              ;   in Loop: Header=BB323_10 Depth=1
	v_and_b32_e32 v0, 0x7f, v30
	v_cmp_ne_u32_e32 vcc, s37, v0
	v_mov_b32_e32 v1, 0x7fc02000
	buffer_store_dword v1, off, s[0:3], s32 offset:272 ; 4-byte Folded Spill
	s_and_saveexec_b64 s[34:35], vcc
	s_cbranch_execz .LBB323_176
; %bb.175:                              ;   in Loop: Header=BB323_10 Depth=1
	v_and_b32_e32 v1, 7, v30
	v_ffbh_u32_e32 v2, v1
	v_min_u32_e32 v6, 32, v2
	v_subrev_u32_e32 v2, 28, v6
	v_lshlrev_b64 v[2:3], v2, v[30:31]
	v_lshrrev_b32_e32 v4, 3, v0
	v_sub_u32_e32 v3, 29, v6
	v_cmp_gt_u32_e32 vcc, 8, v0
	v_and_b32_e32 v2, 7, v2
	v_cndmask_b32_e32 v0, v4, v3, vcc
	v_mov_b32_e32 v3, 0x2000
	v_cndmask_b32_e32 v1, v1, v2, vcc
	v_lshlrev_b32_e32 v2, 8, v30
	v_lshl_add_u32 v0, v0, 10, v3
	v_and_or_b32 v0, v2, s38, v0
	v_lshl_or_b32 v0, v1, 7, v0
	v_cvt_f32_f16_e32 v0, v0
	buffer_store_dword v0, off, s[0:3], s32 offset:272 ; 4-byte Folded Spill
.LBB323_176:                            ;   in Loop: Header=BB323_10 Depth=1
	s_or_b64 exec, exec, s[34:35]
.LBB323_177:                            ;   in Loop: Header=BB323_10 Depth=1
	s_or_b64 exec, exec, s[30:31]
.LBB323_178:                            ;   in Loop: Header=BB323_10 Depth=1
	s_or_b64 exec, exec, s[28:29]
	flat_load_dword v30, v[28:29] offset:1544
	v_mov_b32_e32 v0, 0
	buffer_store_dword v0, off, s[0:3], s32 offset:280 ; 4-byte Folded Spill
	v_mov_b32_e32 v0, 0
	buffer_store_dword v0, off, s[0:3], s32 offset:284 ; 4-byte Folded Spill
	s_waitcnt vmcnt(0) lgkmcnt(0)
	v_cmp_ne_u16_sdwa vcc, v30, v21 src0_sel:BYTE_0 src1_sel:DWORD
	s_and_saveexec_b64 s[28:29], vcc
	s_cbranch_execz .LBB323_184
; %bb.179:                              ;   in Loop: Header=BB323_10 Depth=1
	v_cmp_ne_u16_sdwa vcc, v30, s19 src0_sel:BYTE_0 src1_sel:DWORD
	v_bfrev_b32_e32 v0, 1
	buffer_store_dword v0, off, s[0:3], s32 offset:284 ; 4-byte Folded Spill
	s_and_saveexec_b64 s[30:31], vcc
	s_cbranch_execz .LBB323_183
; %bb.180:                              ;   in Loop: Header=BB323_10 Depth=1
	v_and_b32_e32 v0, 0x7f, v30
	v_cmp_ne_u32_e32 vcc, s37, v0
	v_mov_b32_e32 v1, 0x7fc02000
	buffer_store_dword v1, off, s[0:3], s32 offset:284 ; 4-byte Folded Spill
	s_and_saveexec_b64 s[34:35], vcc
	s_cbranch_execz .LBB323_182
; %bb.181:                              ;   in Loop: Header=BB323_10 Depth=1
	v_and_b32_e32 v1, 7, v30
	v_ffbh_u32_e32 v2, v1
	v_min_u32_e32 v6, 32, v2
	v_subrev_u32_e32 v2, 28, v6
	v_lshlrev_b64 v[2:3], v2, v[30:31]
	v_lshrrev_b32_e32 v4, 3, v0
	v_sub_u32_e32 v3, 29, v6
	v_cmp_gt_u32_e32 vcc, 8, v0
	v_and_b32_e32 v2, 7, v2
	v_cndmask_b32_e32 v0, v4, v3, vcc
	v_mov_b32_e32 v3, 0x2000
	v_cndmask_b32_e32 v1, v1, v2, vcc
	v_lshlrev_b32_e32 v2, 8, v30
	v_lshl_add_u32 v0, v0, 10, v3
	v_and_or_b32 v0, v2, s38, v0
	v_lshl_or_b32 v0, v1, 7, v0
	v_cvt_f32_f16_e32 v0, v0
	buffer_store_dword v0, off, s[0:3], s32 offset:284 ; 4-byte Folded Spill
.LBB323_182:                            ;   in Loop: Header=BB323_10 Depth=1
	s_or_b64 exec, exec, s[34:35]
.LBB323_183:                            ;   in Loop: Header=BB323_10 Depth=1
	s_or_b64 exec, exec, s[30:31]
.LBB323_184:                            ;   in Loop: Header=BB323_10 Depth=1
	s_or_b64 exec, exec, s[28:29]
	v_lshrrev_b16_e32 v32, 8, v30
	v_cmp_ne_u16_e32 vcc, 0, v32
	s_and_saveexec_b64 s[28:29], vcc
	s_cbranch_execz .LBB323_190
; %bb.185:                              ;   in Loop: Header=BB323_10 Depth=1
	v_cmp_ne_u16_e32 vcc, s19, v32
	v_bfrev_b32_e32 v0, 1
	buffer_store_dword v0, off, s[0:3], s32 offset:280 ; 4-byte Folded Spill
	s_and_saveexec_b64 s[30:31], vcc
	s_cbranch_execz .LBB323_189
; %bb.186:                              ;   in Loop: Header=BB323_10 Depth=1
	v_and_b32_e32 v0, 0x7f, v32
	v_cmp_ne_u32_e32 vcc, s37, v0
	v_mov_b32_e32 v1, 0x7fc02000
	buffer_store_dword v1, off, s[0:3], s32 offset:280 ; 4-byte Folded Spill
	s_and_saveexec_b64 s[34:35], vcc
	s_cbranch_execz .LBB323_188
; %bb.187:                              ;   in Loop: Header=BB323_10 Depth=1
	v_and_b32_e32 v1, 7, v32
	v_ffbh_u32_e32 v2, v1
	v_min_u32_e32 v6, 32, v2
	v_subrev_u32_e32 v2, 28, v6
	v_lshlrev_b64 v[2:3], v2, v[32:33]
	v_lshrrev_b32_e32 v4, 3, v0
	v_sub_u32_e32 v3, 29, v6
	v_cmp_gt_u32_e32 vcc, 8, v0
	v_and_b32_e32 v2, 7, v2
	v_cndmask_b32_e32 v0, v4, v3, vcc
	v_mov_b32_e32 v3, 0x2000
	v_cndmask_b32_e32 v1, v1, v2, vcc
	v_lshlrev_b32_e32 v2, 8, v32
	v_lshl_add_u32 v0, v0, 10, v3
	v_and_or_b32 v0, v2, s38, v0
	v_lshl_or_b32 v0, v1, 7, v0
	v_cvt_f32_f16_e32 v0, v0
	buffer_store_dword v0, off, s[0:3], s32 offset:280 ; 4-byte Folded Spill
.LBB323_188:                            ;   in Loop: Header=BB323_10 Depth=1
	s_or_b64 exec, exec, s[34:35]
.LBB323_189:                            ;   in Loop: Header=BB323_10 Depth=1
	s_or_b64 exec, exec, s[30:31]
.LBB323_190:                            ;   in Loop: Header=BB323_10 Depth=1
	s_or_b64 exec, exec, s[28:29]
	v_lshrrev_b32_e32 v32, 16, v30
	v_mov_b32_e32 v0, 0
	v_cmp_ne_u16_sdwa vcc, v32, v21 src0_sel:BYTE_0 src1_sel:DWORD
	buffer_store_dword v0, off, s[0:3], s32 offset:288 ; 4-byte Folded Spill
	v_mov_b32_e32 v0, 0
	buffer_store_dword v0, off, s[0:3], s32 offset:292 ; 4-byte Folded Spill
	s_and_saveexec_b64 s[28:29], vcc
	s_cbranch_execz .LBB323_196
; %bb.191:                              ;   in Loop: Header=BB323_10 Depth=1
	v_cmp_ne_u16_sdwa vcc, v32, s19 src0_sel:BYTE_0 src1_sel:DWORD
	v_bfrev_b32_e32 v0, 1
	buffer_store_dword v0, off, s[0:3], s32 offset:292 ; 4-byte Folded Spill
	s_and_saveexec_b64 s[30:31], vcc
	s_cbranch_execz .LBB323_195
; %bb.192:                              ;   in Loop: Header=BB323_10 Depth=1
	v_bfe_u32 v0, v30, 16, 7
	v_cmp_ne_u32_e32 vcc, s37, v0
	v_mov_b32_e32 v1, 0x7fc02000
	buffer_store_dword v1, off, s[0:3], s32 offset:292 ; 4-byte Folded Spill
	s_and_saveexec_b64 s[34:35], vcc
	s_cbranch_execz .LBB323_194
; %bb.193:                              ;   in Loop: Header=BB323_10 Depth=1
	v_and_b32_e32 v1, 7, v32
	v_ffbh_u32_e32 v2, v1
	v_min_u32_e32 v6, 32, v2
	v_subrev_u32_e32 v2, 28, v6
	v_lshlrev_b64 v[2:3], v2, v[32:33]
	v_lshrrev_b32_e32 v4, 3, v0
	v_sub_u32_e32 v3, 29, v6
	v_cmp_gt_u32_e32 vcc, 8, v0
	v_and_b32_e32 v2, 7, v2
	v_cndmask_b32_e32 v0, v4, v3, vcc
	v_mov_b32_e32 v3, 0x2000
	v_cndmask_b32_e32 v1, v1, v2, vcc
	v_lshlrev_b32_e32 v2, 8, v32
	v_lshl_add_u32 v0, v0, 10, v3
	v_and_or_b32 v0, v2, s38, v0
	v_lshl_or_b32 v0, v1, 7, v0
	v_cvt_f32_f16_e32 v0, v0
	buffer_store_dword v0, off, s[0:3], s32 offset:292 ; 4-byte Folded Spill
.LBB323_194:                            ;   in Loop: Header=BB323_10 Depth=1
	s_or_b64 exec, exec, s[34:35]
.LBB323_195:                            ;   in Loop: Header=BB323_10 Depth=1
	s_or_b64 exec, exec, s[30:31]
.LBB323_196:                            ;   in Loop: Header=BB323_10 Depth=1
	s_or_b64 exec, exec, s[28:29]
	v_cmp_lt_u32_e32 vcc, s39, v30
	s_and_saveexec_b64 s[28:29], vcc
	s_cbranch_execz .LBB323_202
; %bb.197:                              ;   in Loop: Header=BB323_10 Depth=1
	v_lshrrev_b32_e32 v30, 24, v30
	v_cmp_ne_u32_e32 vcc, s19, v30
	v_bfrev_b32_e32 v0, 1
	buffer_store_dword v0, off, s[0:3], s32 offset:288 ; 4-byte Folded Spill
	s_and_saveexec_b64 s[30:31], vcc
	s_cbranch_execz .LBB323_201
; %bb.198:                              ;   in Loop: Header=BB323_10 Depth=1
	v_and_b32_e32 v0, 0x7f, v30
	v_cmp_ne_u32_e32 vcc, s37, v0
	v_mov_b32_e32 v1, 0x7fc02000
	buffer_store_dword v1, off, s[0:3], s32 offset:288 ; 4-byte Folded Spill
	s_and_saveexec_b64 s[34:35], vcc
	s_cbranch_execz .LBB323_200
; %bb.199:                              ;   in Loop: Header=BB323_10 Depth=1
	v_and_b32_e32 v1, 7, v30
	v_ffbh_u32_e32 v2, v1
	v_min_u32_e32 v6, 32, v2
	v_subrev_u32_e32 v2, 28, v6
	v_lshlrev_b64 v[2:3], v2, v[30:31]
	v_lshrrev_b32_e32 v4, 3, v0
	v_sub_u32_e32 v3, 29, v6
	v_cmp_gt_u32_e32 vcc, 8, v0
	v_and_b32_e32 v2, 7, v2
	v_cndmask_b32_e32 v0, v4, v3, vcc
	v_mov_b32_e32 v3, 0x2000
	v_cndmask_b32_e32 v1, v1, v2, vcc
	v_lshlrev_b32_e32 v2, 8, v30
	v_lshl_add_u32 v0, v0, 10, v3
	v_and_or_b32 v0, v2, s38, v0
	v_lshl_or_b32 v0, v1, 7, v0
	v_cvt_f32_f16_e32 v0, v0
	buffer_store_dword v0, off, s[0:3], s32 offset:288 ; 4-byte Folded Spill
.LBB323_200:                            ;   in Loop: Header=BB323_10 Depth=1
	s_or_b64 exec, exec, s[34:35]
.LBB323_201:                            ;   in Loop: Header=BB323_10 Depth=1
	s_or_b64 exec, exec, s[30:31]
.LBB323_202:                            ;   in Loop: Header=BB323_10 Depth=1
	s_or_b64 exec, exec, s[28:29]
	flat_load_dword v30, v[28:29] offset:2048
	v_mov_b32_e32 v0, 0
	buffer_store_dword v0, off, s[0:3], s32 offset:296 ; 4-byte Folded Spill
	v_mov_b32_e32 v0, 0
	buffer_store_dword v0, off, s[0:3], s32 offset:300 ; 4-byte Folded Spill
	s_waitcnt vmcnt(0) lgkmcnt(0)
	v_cmp_ne_u16_sdwa vcc, v30, v21 src0_sel:BYTE_0 src1_sel:DWORD
	s_and_saveexec_b64 s[28:29], vcc
	s_cbranch_execz .LBB323_208
; %bb.203:                              ;   in Loop: Header=BB323_10 Depth=1
	v_cmp_ne_u16_sdwa vcc, v30, s19 src0_sel:BYTE_0 src1_sel:DWORD
	v_bfrev_b32_e32 v0, 1
	buffer_store_dword v0, off, s[0:3], s32 offset:300 ; 4-byte Folded Spill
	s_and_saveexec_b64 s[30:31], vcc
	s_cbranch_execz .LBB323_207
; %bb.204:                              ;   in Loop: Header=BB323_10 Depth=1
	v_and_b32_e32 v0, 0x7f, v30
	v_cmp_ne_u32_e32 vcc, s37, v0
	v_mov_b32_e32 v1, 0x7fc02000
	buffer_store_dword v1, off, s[0:3], s32 offset:300 ; 4-byte Folded Spill
	s_and_saveexec_b64 s[34:35], vcc
	s_cbranch_execz .LBB323_206
; %bb.205:                              ;   in Loop: Header=BB323_10 Depth=1
	v_and_b32_e32 v1, 7, v30
	v_ffbh_u32_e32 v2, v1
	v_min_u32_e32 v6, 32, v2
	v_subrev_u32_e32 v2, 28, v6
	v_lshlrev_b64 v[2:3], v2, v[30:31]
	v_lshrrev_b32_e32 v4, 3, v0
	v_sub_u32_e32 v3, 29, v6
	v_cmp_gt_u32_e32 vcc, 8, v0
	v_and_b32_e32 v2, 7, v2
	v_cndmask_b32_e32 v0, v4, v3, vcc
	v_mov_b32_e32 v3, 0x2000
	v_cndmask_b32_e32 v1, v1, v2, vcc
	v_lshlrev_b32_e32 v2, 8, v30
	v_lshl_add_u32 v0, v0, 10, v3
	v_and_or_b32 v0, v2, s38, v0
	v_lshl_or_b32 v0, v1, 7, v0
	v_cvt_f32_f16_e32 v0, v0
	buffer_store_dword v0, off, s[0:3], s32 offset:300 ; 4-byte Folded Spill
.LBB323_206:                            ;   in Loop: Header=BB323_10 Depth=1
	s_or_b64 exec, exec, s[34:35]
.LBB323_207:                            ;   in Loop: Header=BB323_10 Depth=1
	s_or_b64 exec, exec, s[30:31]
.LBB323_208:                            ;   in Loop: Header=BB323_10 Depth=1
	s_or_b64 exec, exec, s[28:29]
	v_lshrrev_b16_e32 v32, 8, v30
	v_cmp_ne_u16_e32 vcc, 0, v32
	s_and_saveexec_b64 s[28:29], vcc
	s_cbranch_execz .LBB323_214
; %bb.209:                              ;   in Loop: Header=BB323_10 Depth=1
	v_cmp_ne_u16_e32 vcc, s19, v32
	v_bfrev_b32_e32 v0, 1
	buffer_store_dword v0, off, s[0:3], s32 offset:296 ; 4-byte Folded Spill
	s_and_saveexec_b64 s[30:31], vcc
	s_cbranch_execz .LBB323_213
; %bb.210:                              ;   in Loop: Header=BB323_10 Depth=1
	v_and_b32_e32 v0, 0x7f, v32
	v_cmp_ne_u32_e32 vcc, s37, v0
	v_mov_b32_e32 v1, 0x7fc02000
	buffer_store_dword v1, off, s[0:3], s32 offset:296 ; 4-byte Folded Spill
	s_and_saveexec_b64 s[34:35], vcc
	s_cbranch_execz .LBB323_212
; %bb.211:                              ;   in Loop: Header=BB323_10 Depth=1
	v_and_b32_e32 v1, 7, v32
	v_ffbh_u32_e32 v2, v1
	v_min_u32_e32 v6, 32, v2
	v_subrev_u32_e32 v2, 28, v6
	v_lshlrev_b64 v[2:3], v2, v[32:33]
	v_lshrrev_b32_e32 v4, 3, v0
	v_sub_u32_e32 v3, 29, v6
	v_cmp_gt_u32_e32 vcc, 8, v0
	v_and_b32_e32 v2, 7, v2
	v_cndmask_b32_e32 v0, v4, v3, vcc
	v_mov_b32_e32 v3, 0x2000
	v_cndmask_b32_e32 v1, v1, v2, vcc
	v_lshlrev_b32_e32 v2, 8, v32
	v_lshl_add_u32 v0, v0, 10, v3
	v_and_or_b32 v0, v2, s38, v0
	v_lshl_or_b32 v0, v1, 7, v0
	v_cvt_f32_f16_e32 v0, v0
	buffer_store_dword v0, off, s[0:3], s32 offset:296 ; 4-byte Folded Spill
.LBB323_212:                            ;   in Loop: Header=BB323_10 Depth=1
	s_or_b64 exec, exec, s[34:35]
.LBB323_213:                            ;   in Loop: Header=BB323_10 Depth=1
	s_or_b64 exec, exec, s[30:31]
.LBB323_214:                            ;   in Loop: Header=BB323_10 Depth=1
	s_or_b64 exec, exec, s[28:29]
	v_lshrrev_b32_e32 v32, 16, v30
	v_mov_b32_e32 v0, 0
	v_cmp_ne_u16_sdwa vcc, v32, v21 src0_sel:BYTE_0 src1_sel:DWORD
	buffer_store_dword v0, off, s[0:3], s32 offset:304 ; 4-byte Folded Spill
	v_mov_b32_e32 v0, 0
	buffer_store_dword v0, off, s[0:3], s32 offset:308 ; 4-byte Folded Spill
	s_and_saveexec_b64 s[28:29], vcc
	s_cbranch_execz .LBB323_220
; %bb.215:                              ;   in Loop: Header=BB323_10 Depth=1
	v_cmp_ne_u16_sdwa vcc, v32, s19 src0_sel:BYTE_0 src1_sel:DWORD
	v_bfrev_b32_e32 v0, 1
	buffer_store_dword v0, off, s[0:3], s32 offset:308 ; 4-byte Folded Spill
	s_and_saveexec_b64 s[30:31], vcc
	s_cbranch_execz .LBB323_219
; %bb.216:                              ;   in Loop: Header=BB323_10 Depth=1
	v_bfe_u32 v0, v30, 16, 7
	v_cmp_ne_u32_e32 vcc, s37, v0
	v_mov_b32_e32 v1, 0x7fc02000
	buffer_store_dword v1, off, s[0:3], s32 offset:308 ; 4-byte Folded Spill
	s_and_saveexec_b64 s[34:35], vcc
	s_cbranch_execz .LBB323_218
; %bb.217:                              ;   in Loop: Header=BB323_10 Depth=1
	v_and_b32_e32 v1, 7, v32
	v_ffbh_u32_e32 v2, v1
	v_min_u32_e32 v6, 32, v2
	v_subrev_u32_e32 v2, 28, v6
	v_lshlrev_b64 v[2:3], v2, v[32:33]
	v_lshrrev_b32_e32 v4, 3, v0
	v_sub_u32_e32 v3, 29, v6
	v_cmp_gt_u32_e32 vcc, 8, v0
	v_and_b32_e32 v2, 7, v2
	v_cndmask_b32_e32 v0, v4, v3, vcc
	v_mov_b32_e32 v3, 0x2000
	v_cndmask_b32_e32 v1, v1, v2, vcc
	v_lshlrev_b32_e32 v2, 8, v32
	v_lshl_add_u32 v0, v0, 10, v3
	v_and_or_b32 v0, v2, s38, v0
	v_lshl_or_b32 v0, v1, 7, v0
	v_cvt_f32_f16_e32 v0, v0
	buffer_store_dword v0, off, s[0:3], s32 offset:308 ; 4-byte Folded Spill
.LBB323_218:                            ;   in Loop: Header=BB323_10 Depth=1
	s_or_b64 exec, exec, s[34:35]
.LBB323_219:                            ;   in Loop: Header=BB323_10 Depth=1
	s_or_b64 exec, exec, s[30:31]
.LBB323_220:                            ;   in Loop: Header=BB323_10 Depth=1
	s_or_b64 exec, exec, s[28:29]
	v_cmp_lt_u32_e32 vcc, s39, v30
	s_and_saveexec_b64 s[28:29], vcc
	s_cbranch_execz .LBB323_226
; %bb.221:                              ;   in Loop: Header=BB323_10 Depth=1
	v_lshrrev_b32_e32 v30, 24, v30
	v_cmp_ne_u32_e32 vcc, s19, v30
	v_bfrev_b32_e32 v0, 1
	buffer_store_dword v0, off, s[0:3], s32 offset:304 ; 4-byte Folded Spill
	s_and_saveexec_b64 s[30:31], vcc
	s_cbranch_execz .LBB323_225
; %bb.222:                              ;   in Loop: Header=BB323_10 Depth=1
	v_and_b32_e32 v0, 0x7f, v30
	v_cmp_ne_u32_e32 vcc, s37, v0
	v_mov_b32_e32 v1, 0x7fc02000
	buffer_store_dword v1, off, s[0:3], s32 offset:304 ; 4-byte Folded Spill
	s_and_saveexec_b64 s[34:35], vcc
	s_cbranch_execz .LBB323_224
; %bb.223:                              ;   in Loop: Header=BB323_10 Depth=1
	v_and_b32_e32 v1, 7, v30
	v_ffbh_u32_e32 v2, v1
	v_min_u32_e32 v6, 32, v2
	v_subrev_u32_e32 v2, 28, v6
	v_lshlrev_b64 v[2:3], v2, v[30:31]
	v_lshrrev_b32_e32 v4, 3, v0
	v_sub_u32_e32 v3, 29, v6
	v_cmp_gt_u32_e32 vcc, 8, v0
	v_and_b32_e32 v2, 7, v2
	v_cndmask_b32_e32 v0, v4, v3, vcc
	v_mov_b32_e32 v3, 0x2000
	v_cndmask_b32_e32 v1, v1, v2, vcc
	v_lshlrev_b32_e32 v2, 8, v30
	v_lshl_add_u32 v0, v0, 10, v3
	v_and_or_b32 v0, v2, s38, v0
	v_lshl_or_b32 v0, v1, 7, v0
	v_cvt_f32_f16_e32 v0, v0
	buffer_store_dword v0, off, s[0:3], s32 offset:304 ; 4-byte Folded Spill
.LBB323_224:                            ;   in Loop: Header=BB323_10 Depth=1
	s_or_b64 exec, exec, s[34:35]
.LBB323_225:                            ;   in Loop: Header=BB323_10 Depth=1
	s_or_b64 exec, exec, s[30:31]
.LBB323_226:                            ;   in Loop: Header=BB323_10 Depth=1
	s_or_b64 exec, exec, s[28:29]
	flat_load_dword v30, v[28:29] offset:2056
	v_mov_b32_e32 v0, 0
	buffer_store_dword v0, off, s[0:3], s32 offset:312 ; 4-byte Folded Spill
	v_mov_b32_e32 v0, 0
	buffer_store_dword v0, off, s[0:3], s32 offset:316 ; 4-byte Folded Spill
	s_waitcnt vmcnt(0) lgkmcnt(0)
	v_cmp_ne_u16_sdwa vcc, v30, v21 src0_sel:BYTE_0 src1_sel:DWORD
	s_and_saveexec_b64 s[28:29], vcc
	s_cbranch_execz .LBB323_232
; %bb.227:                              ;   in Loop: Header=BB323_10 Depth=1
	v_cmp_ne_u16_sdwa vcc, v30, s19 src0_sel:BYTE_0 src1_sel:DWORD
	v_bfrev_b32_e32 v0, 1
	buffer_store_dword v0, off, s[0:3], s32 offset:316 ; 4-byte Folded Spill
	s_and_saveexec_b64 s[30:31], vcc
	s_cbranch_execz .LBB323_231
; %bb.228:                              ;   in Loop: Header=BB323_10 Depth=1
	v_and_b32_e32 v0, 0x7f, v30
	v_cmp_ne_u32_e32 vcc, s37, v0
	v_mov_b32_e32 v1, 0x7fc02000
	buffer_store_dword v1, off, s[0:3], s32 offset:316 ; 4-byte Folded Spill
	s_and_saveexec_b64 s[34:35], vcc
	s_cbranch_execz .LBB323_230
; %bb.229:                              ;   in Loop: Header=BB323_10 Depth=1
	v_and_b32_e32 v1, 7, v30
	v_ffbh_u32_e32 v2, v1
	v_min_u32_e32 v6, 32, v2
	v_subrev_u32_e32 v2, 28, v6
	v_lshlrev_b64 v[2:3], v2, v[30:31]
	v_lshrrev_b32_e32 v4, 3, v0
	v_sub_u32_e32 v3, 29, v6
	v_cmp_gt_u32_e32 vcc, 8, v0
	v_and_b32_e32 v2, 7, v2
	v_cndmask_b32_e32 v0, v4, v3, vcc
	v_mov_b32_e32 v3, 0x2000
	v_cndmask_b32_e32 v1, v1, v2, vcc
	v_lshlrev_b32_e32 v2, 8, v30
	v_lshl_add_u32 v0, v0, 10, v3
	v_and_or_b32 v0, v2, s38, v0
	v_lshl_or_b32 v0, v1, 7, v0
	v_cvt_f32_f16_e32 v0, v0
	buffer_store_dword v0, off, s[0:3], s32 offset:316 ; 4-byte Folded Spill
.LBB323_230:                            ;   in Loop: Header=BB323_10 Depth=1
	s_or_b64 exec, exec, s[34:35]
.LBB323_231:                            ;   in Loop: Header=BB323_10 Depth=1
	s_or_b64 exec, exec, s[30:31]
.LBB323_232:                            ;   in Loop: Header=BB323_10 Depth=1
	s_or_b64 exec, exec, s[28:29]
	v_lshrrev_b16_e32 v32, 8, v30
	v_cmp_ne_u16_e32 vcc, 0, v32
	s_and_saveexec_b64 s[28:29], vcc
	s_cbranch_execz .LBB323_238
; %bb.233:                              ;   in Loop: Header=BB323_10 Depth=1
	v_cmp_ne_u16_e32 vcc, s19, v32
	v_bfrev_b32_e32 v0, 1
	buffer_store_dword v0, off, s[0:3], s32 offset:312 ; 4-byte Folded Spill
	s_and_saveexec_b64 s[30:31], vcc
	s_cbranch_execz .LBB323_237
; %bb.234:                              ;   in Loop: Header=BB323_10 Depth=1
	v_and_b32_e32 v0, 0x7f, v32
	v_cmp_ne_u32_e32 vcc, s37, v0
	v_mov_b32_e32 v1, 0x7fc02000
	buffer_store_dword v1, off, s[0:3], s32 offset:312 ; 4-byte Folded Spill
	s_and_saveexec_b64 s[34:35], vcc
	s_cbranch_execz .LBB323_236
; %bb.235:                              ;   in Loop: Header=BB323_10 Depth=1
	v_and_b32_e32 v1, 7, v32
	v_ffbh_u32_e32 v2, v1
	v_min_u32_e32 v6, 32, v2
	v_subrev_u32_e32 v2, 28, v6
	v_lshlrev_b64 v[2:3], v2, v[32:33]
	v_lshrrev_b32_e32 v4, 3, v0
	v_sub_u32_e32 v3, 29, v6
	v_cmp_gt_u32_e32 vcc, 8, v0
	v_and_b32_e32 v2, 7, v2
	v_cndmask_b32_e32 v0, v4, v3, vcc
	v_mov_b32_e32 v3, 0x2000
	v_cndmask_b32_e32 v1, v1, v2, vcc
	v_lshlrev_b32_e32 v2, 8, v32
	v_lshl_add_u32 v0, v0, 10, v3
	v_and_or_b32 v0, v2, s38, v0
	v_lshl_or_b32 v0, v1, 7, v0
	v_cvt_f32_f16_e32 v0, v0
	buffer_store_dword v0, off, s[0:3], s32 offset:312 ; 4-byte Folded Spill
.LBB323_236:                            ;   in Loop: Header=BB323_10 Depth=1
	s_or_b64 exec, exec, s[34:35]
.LBB323_237:                            ;   in Loop: Header=BB323_10 Depth=1
	s_or_b64 exec, exec, s[30:31]
.LBB323_238:                            ;   in Loop: Header=BB323_10 Depth=1
	s_or_b64 exec, exec, s[28:29]
	v_lshrrev_b32_e32 v32, 16, v30
	v_mov_b32_e32 v0, 0
	v_cmp_ne_u16_sdwa vcc, v32, v21 src0_sel:BYTE_0 src1_sel:DWORD
	buffer_store_dword v0, off, s[0:3], s32 offset:320 ; 4-byte Folded Spill
	v_mov_b32_e32 v0, 0
	buffer_store_dword v0, off, s[0:3], s32 offset:324 ; 4-byte Folded Spill
	s_and_saveexec_b64 s[28:29], vcc
	s_cbranch_execz .LBB323_244
; %bb.239:                              ;   in Loop: Header=BB323_10 Depth=1
	v_cmp_ne_u16_sdwa vcc, v32, s19 src0_sel:BYTE_0 src1_sel:DWORD
	v_bfrev_b32_e32 v0, 1
	buffer_store_dword v0, off, s[0:3], s32 offset:324 ; 4-byte Folded Spill
	s_and_saveexec_b64 s[30:31], vcc
	s_cbranch_execz .LBB323_243
; %bb.240:                              ;   in Loop: Header=BB323_10 Depth=1
	v_bfe_u32 v0, v30, 16, 7
	v_cmp_ne_u32_e32 vcc, s37, v0
	v_mov_b32_e32 v1, 0x7fc02000
	buffer_store_dword v1, off, s[0:3], s32 offset:324 ; 4-byte Folded Spill
	s_and_saveexec_b64 s[34:35], vcc
	s_cbranch_execz .LBB323_242
; %bb.241:                              ;   in Loop: Header=BB323_10 Depth=1
	v_and_b32_e32 v1, 7, v32
	v_ffbh_u32_e32 v2, v1
	v_min_u32_e32 v6, 32, v2
	v_subrev_u32_e32 v2, 28, v6
	v_lshlrev_b64 v[2:3], v2, v[32:33]
	v_lshrrev_b32_e32 v4, 3, v0
	v_sub_u32_e32 v3, 29, v6
	v_cmp_gt_u32_e32 vcc, 8, v0
	v_and_b32_e32 v2, 7, v2
	v_cndmask_b32_e32 v0, v4, v3, vcc
	v_mov_b32_e32 v3, 0x2000
	v_cndmask_b32_e32 v1, v1, v2, vcc
	v_lshlrev_b32_e32 v2, 8, v32
	v_lshl_add_u32 v0, v0, 10, v3
	v_and_or_b32 v0, v2, s38, v0
	v_lshl_or_b32 v0, v1, 7, v0
	v_cvt_f32_f16_e32 v0, v0
	buffer_store_dword v0, off, s[0:3], s32 offset:324 ; 4-byte Folded Spill
.LBB323_242:                            ;   in Loop: Header=BB323_10 Depth=1
	s_or_b64 exec, exec, s[34:35]
.LBB323_243:                            ;   in Loop: Header=BB323_10 Depth=1
	s_or_b64 exec, exec, s[30:31]
.LBB323_244:                            ;   in Loop: Header=BB323_10 Depth=1
	s_or_b64 exec, exec, s[28:29]
	v_cmp_lt_u32_e32 vcc, s39, v30
	s_and_saveexec_b64 s[28:29], vcc
	s_cbranch_execz .LBB323_250
; %bb.245:                              ;   in Loop: Header=BB323_10 Depth=1
	v_lshrrev_b32_e32 v30, 24, v30
	v_cmp_ne_u32_e32 vcc, s19, v30
	v_bfrev_b32_e32 v0, 1
	buffer_store_dword v0, off, s[0:3], s32 offset:320 ; 4-byte Folded Spill
	s_and_saveexec_b64 s[30:31], vcc
	s_cbranch_execz .LBB323_249
; %bb.246:                              ;   in Loop: Header=BB323_10 Depth=1
	v_and_b32_e32 v0, 0x7f, v30
	v_cmp_ne_u32_e32 vcc, s37, v0
	v_mov_b32_e32 v1, 0x7fc02000
	buffer_store_dword v1, off, s[0:3], s32 offset:320 ; 4-byte Folded Spill
	s_and_saveexec_b64 s[34:35], vcc
	s_cbranch_execz .LBB323_248
; %bb.247:                              ;   in Loop: Header=BB323_10 Depth=1
	v_and_b32_e32 v1, 7, v30
	v_ffbh_u32_e32 v2, v1
	v_min_u32_e32 v6, 32, v2
	v_subrev_u32_e32 v2, 28, v6
	v_lshlrev_b64 v[2:3], v2, v[30:31]
	v_lshrrev_b32_e32 v4, 3, v0
	v_sub_u32_e32 v3, 29, v6
	v_cmp_gt_u32_e32 vcc, 8, v0
	v_and_b32_e32 v2, 7, v2
	v_cndmask_b32_e32 v0, v4, v3, vcc
	v_mov_b32_e32 v3, 0x2000
	v_cndmask_b32_e32 v1, v1, v2, vcc
	v_lshlrev_b32_e32 v2, 8, v30
	v_lshl_add_u32 v0, v0, 10, v3
	v_and_or_b32 v0, v2, s38, v0
	v_lshl_or_b32 v0, v1, 7, v0
	v_cvt_f32_f16_e32 v0, v0
	buffer_store_dword v0, off, s[0:3], s32 offset:320 ; 4-byte Folded Spill
.LBB323_248:                            ;   in Loop: Header=BB323_10 Depth=1
	s_or_b64 exec, exec, s[34:35]
.LBB323_249:                            ;   in Loop: Header=BB323_10 Depth=1
	s_or_b64 exec, exec, s[30:31]
.LBB323_250:                            ;   in Loop: Header=BB323_10 Depth=1
	s_or_b64 exec, exec, s[28:29]
	flat_load_dword v30, v[28:29] offset:2560
	v_mov_b32_e32 v0, 0
	buffer_store_dword v0, off, s[0:3], s32 offset:332 ; 4-byte Folded Spill
	v_mov_b32_e32 v0, 0
	buffer_store_dword v0, off, s[0:3], s32 offset:328 ; 4-byte Folded Spill
	s_waitcnt vmcnt(0) lgkmcnt(0)
	v_cmp_ne_u16_sdwa vcc, v30, v21 src0_sel:BYTE_0 src1_sel:DWORD
	s_and_saveexec_b64 s[28:29], vcc
	s_cbranch_execz .LBB323_256
; %bb.251:                              ;   in Loop: Header=BB323_10 Depth=1
	v_cmp_ne_u16_sdwa vcc, v30, s19 src0_sel:BYTE_0 src1_sel:DWORD
	v_bfrev_b32_e32 v0, 1
	buffer_store_dword v0, off, s[0:3], s32 offset:328 ; 4-byte Folded Spill
	s_and_saveexec_b64 s[30:31], vcc
	s_cbranch_execz .LBB323_255
; %bb.252:                              ;   in Loop: Header=BB323_10 Depth=1
	v_and_b32_e32 v0, 0x7f, v30
	v_cmp_ne_u32_e32 vcc, s37, v0
	v_mov_b32_e32 v1, 0x7fc02000
	buffer_store_dword v1, off, s[0:3], s32 offset:328 ; 4-byte Folded Spill
	s_and_saveexec_b64 s[34:35], vcc
	s_cbranch_execz .LBB323_254
; %bb.253:                              ;   in Loop: Header=BB323_10 Depth=1
	v_and_b32_e32 v1, 7, v30
	v_ffbh_u32_e32 v2, v1
	v_min_u32_e32 v6, 32, v2
	v_subrev_u32_e32 v2, 28, v6
	v_lshlrev_b64 v[2:3], v2, v[30:31]
	v_lshrrev_b32_e32 v4, 3, v0
	v_sub_u32_e32 v3, 29, v6
	v_cmp_gt_u32_e32 vcc, 8, v0
	v_and_b32_e32 v2, 7, v2
	v_cndmask_b32_e32 v0, v4, v3, vcc
	v_mov_b32_e32 v3, 0x2000
	v_cndmask_b32_e32 v1, v1, v2, vcc
	v_lshlrev_b32_e32 v2, 8, v30
	v_lshl_add_u32 v0, v0, 10, v3
	v_and_or_b32 v0, v2, s38, v0
	v_lshl_or_b32 v0, v1, 7, v0
	v_cvt_f32_f16_e32 v0, v0
	buffer_store_dword v0, off, s[0:3], s32 offset:328 ; 4-byte Folded Spill
.LBB323_254:                            ;   in Loop: Header=BB323_10 Depth=1
	s_or_b64 exec, exec, s[34:35]
.LBB323_255:                            ;   in Loop: Header=BB323_10 Depth=1
	s_or_b64 exec, exec, s[30:31]
.LBB323_256:                            ;   in Loop: Header=BB323_10 Depth=1
	s_or_b64 exec, exec, s[28:29]
	v_lshrrev_b16_e32 v32, 8, v30
	v_cmp_ne_u16_e32 vcc, 0, v32
	s_and_saveexec_b64 s[28:29], vcc
	s_cbranch_execz .LBB323_262
; %bb.257:                              ;   in Loop: Header=BB323_10 Depth=1
	v_cmp_ne_u16_e32 vcc, s19, v32
	v_bfrev_b32_e32 v0, 1
	buffer_store_dword v0, off, s[0:3], s32 offset:332 ; 4-byte Folded Spill
	s_and_saveexec_b64 s[30:31], vcc
	s_cbranch_execz .LBB323_261
; %bb.258:                              ;   in Loop: Header=BB323_10 Depth=1
	v_and_b32_e32 v0, 0x7f, v32
	v_cmp_ne_u32_e32 vcc, s37, v0
	v_mov_b32_e32 v1, 0x7fc02000
	buffer_store_dword v1, off, s[0:3], s32 offset:332 ; 4-byte Folded Spill
	s_and_saveexec_b64 s[34:35], vcc
	s_cbranch_execz .LBB323_260
; %bb.259:                              ;   in Loop: Header=BB323_10 Depth=1
	v_and_b32_e32 v2, 7, v32
	v_lshrrev_b32_e32 v3, 3, v0
	v_cmp_gt_u32_e32 vcc, 8, v0
	v_ffbh_u32_e32 v0, v2
	v_min_u32_e32 v4, 32, v0
	v_subrev_u32_e32 v0, 28, v4
	v_lshlrev_b64 v[0:1], v0, v[32:33]
	v_sub_u32_e32 v1, 29, v4
	v_and_b32_e32 v0, 7, v0
	v_cndmask_b32_e32 v1, v3, v1, vcc
	v_mov_b32_e32 v3, 0x2000
	v_cndmask_b32_e32 v0, v2, v0, vcc
	v_lshlrev_b32_e32 v2, 8, v32
	v_lshl_add_u32 v1, v1, 10, v3
	v_and_or_b32 v1, v2, s38, v1
	v_lshl_or_b32 v0, v0, 7, v1
	v_cvt_f32_f16_e32 v0, v0
	buffer_store_dword v0, off, s[0:3], s32 offset:332 ; 4-byte Folded Spill
.LBB323_260:                            ;   in Loop: Header=BB323_10 Depth=1
	s_or_b64 exec, exec, s[34:35]
.LBB323_261:                            ;   in Loop: Header=BB323_10 Depth=1
	s_or_b64 exec, exec, s[30:31]
.LBB323_262:                            ;   in Loop: Header=BB323_10 Depth=1
	s_or_b64 exec, exec, s[28:29]
	v_lshrrev_b32_e32 v32, 16, v30
	v_cmp_ne_u16_sdwa vcc, v32, v21 src0_sel:BYTE_0 src1_sel:DWORD
	v_mov_b32_e32 v2, 0
	v_mov_b32_e32 v18, 0
	s_and_saveexec_b64 s[28:29], vcc
	s_cbranch_execz .LBB323_268
; %bb.263:                              ;   in Loop: Header=BB323_10 Depth=1
	v_cmp_ne_u16_sdwa vcc, v32, s19 src0_sel:BYTE_0 src1_sel:DWORD
	v_bfrev_b32_e32 v18, 1
	s_and_saveexec_b64 s[30:31], vcc
	s_cbranch_execz .LBB323_267
; %bb.264:                              ;   in Loop: Header=BB323_10 Depth=1
	v_bfe_u32 v0, v30, 16, 7
	v_cmp_ne_u32_e32 vcc, s37, v0
	v_mov_b32_e32 v18, 0x7fc02000
	s_and_saveexec_b64 s[34:35], vcc
	s_cbranch_execz .LBB323_266
; %bb.265:                              ;   in Loop: Header=BB323_10 Depth=1
	v_and_b32_e32 v1, 7, v32
	v_ffbh_u32_e32 v4, v1
	v_min_u32_e32 v4, 32, v4
	v_lshrrev_b32_e32 v3, 3, v0
	v_subrev_u32_e32 v6, 28, v4
	v_sub_u32_e32 v4, 29, v4
	v_cmp_gt_u32_e32 vcc, 8, v0
	v_lshlrev_b64 v[6:7], v6, v[32:33]
	v_cndmask_b32_e32 v0, v3, v4, vcc
	v_mov_b32_e32 v4, 0x2000
	v_and_b32_e32 v6, 7, v6
	v_lshlrev_b32_e32 v3, 8, v32
	v_lshl_add_u32 v0, v0, 10, v4
	v_cndmask_b32_e32 v1, v1, v6, vcc
	v_and_or_b32 v0, v3, s38, v0
	v_lshl_or_b32 v0, v1, 7, v0
	v_cvt_f32_f16_e32 v18, v0
.LBB323_266:                            ;   in Loop: Header=BB323_10 Depth=1
	s_or_b64 exec, exec, s[34:35]
.LBB323_267:                            ;   in Loop: Header=BB323_10 Depth=1
	s_or_b64 exec, exec, s[30:31]
.LBB323_268:                            ;   in Loop: Header=BB323_10 Depth=1
	s_or_b64 exec, exec, s[28:29]
	v_cmp_lt_u32_e32 vcc, s39, v30
	s_and_saveexec_b64 s[28:29], vcc
	s_cbranch_execz .LBB323_274
; %bb.269:                              ;   in Loop: Header=BB323_10 Depth=1
	v_lshrrev_b32_e32 v30, 24, v30
	v_cmp_ne_u32_e32 vcc, s19, v30
	v_bfrev_b32_e32 v2, 1
	s_and_saveexec_b64 s[30:31], vcc
	s_cbranch_execz .LBB323_273
; %bb.270:                              ;   in Loop: Header=BB323_10 Depth=1
	v_and_b32_e32 v0, 0x7f, v30
	v_cmp_ne_u32_e32 vcc, s37, v0
	v_mov_b32_e32 v2, 0x7fc02000
	s_and_saveexec_b64 s[34:35], vcc
	s_cbranch_execz .LBB323_272
; %bb.271:                              ;   in Loop: Header=BB323_10 Depth=1
	v_and_b32_e32 v1, 7, v30
	v_ffbh_u32_e32 v2, v1
	v_min_u32_e32 v6, 32, v2
	v_subrev_u32_e32 v2, 28, v6
	v_lshlrev_b64 v[2:3], v2, v[30:31]
	v_lshrrev_b32_e32 v4, 3, v0
	v_sub_u32_e32 v3, 29, v6
	v_cmp_gt_u32_e32 vcc, 8, v0
	v_and_b32_e32 v2, 7, v2
	v_cndmask_b32_e32 v0, v4, v3, vcc
	v_mov_b32_e32 v3, 0x2000
	v_cndmask_b32_e32 v1, v1, v2, vcc
	v_lshlrev_b32_e32 v2, 8, v30
	v_lshl_add_u32 v0, v0, 10, v3
	v_and_or_b32 v0, v2, s38, v0
	v_lshl_or_b32 v0, v1, 7, v0
	v_cvt_f32_f16_e32 v2, v0
.LBB323_272:                            ;   in Loop: Header=BB323_10 Depth=1
	s_or_b64 exec, exec, s[34:35]
.LBB323_273:                            ;   in Loop: Header=BB323_10 Depth=1
	s_or_b64 exec, exec, s[30:31]
.LBB323_274:                            ;   in Loop: Header=BB323_10 Depth=1
	s_or_b64 exec, exec, s[28:29]
	flat_load_dword v30, v[28:29] offset:2568
	v_mov_b32_e32 v1, 0
	v_mov_b32_e32 v38, 0
	s_waitcnt vmcnt(0) lgkmcnt(0)
	v_cmp_ne_u16_sdwa vcc, v30, v21 src0_sel:BYTE_0 src1_sel:DWORD
	s_and_saveexec_b64 s[28:29], vcc
	s_cbranch_execz .LBB323_280
; %bb.275:                              ;   in Loop: Header=BB323_10 Depth=1
	v_cmp_ne_u16_sdwa vcc, v30, s19 src0_sel:BYTE_0 src1_sel:DWORD
	v_bfrev_b32_e32 v38, 1
	s_and_saveexec_b64 s[30:31], vcc
	s_cbranch_execz .LBB323_279
; %bb.276:                              ;   in Loop: Header=BB323_10 Depth=1
	v_and_b32_e32 v0, 0x7f, v30
	v_cmp_ne_u32_e32 vcc, s37, v0
	v_mov_b32_e32 v38, 0x7fc02000
	s_and_saveexec_b64 s[34:35], vcc
	s_cbranch_execz .LBB323_278
; %bb.277:                              ;   in Loop: Header=BB323_10 Depth=1
	v_and_b32_e32 v3, 7, v30
	v_ffbh_u32_e32 v6, v3
	v_min_u32_e32 v8, 32, v6
	v_subrev_u32_e32 v6, 28, v8
	v_lshlrev_b64 v[6:7], v6, v[30:31]
	v_lshrrev_b32_e32 v4, 3, v0
	v_sub_u32_e32 v7, 29, v8
	v_and_b32_e32 v6, 7, v6
	v_cmp_gt_u32_e32 vcc, 8, v0
	v_cndmask_b32_e32 v0, v4, v7, vcc
	v_cndmask_b32_e32 v3, v3, v6, vcc
	v_mov_b32_e32 v6, 0x2000
	v_lshlrev_b32_e32 v4, 8, v30
	v_lshl_add_u32 v0, v0, 10, v6
	v_and_or_b32 v0, v4, s38, v0
	v_lshl_or_b32 v0, v3, 7, v0
	v_cvt_f32_f16_e32 v38, v0
.LBB323_278:                            ;   in Loop: Header=BB323_10 Depth=1
	s_or_b64 exec, exec, s[34:35]
.LBB323_279:                            ;   in Loop: Header=BB323_10 Depth=1
	s_or_b64 exec, exec, s[30:31]
.LBB323_280:                            ;   in Loop: Header=BB323_10 Depth=1
	s_or_b64 exec, exec, s[28:29]
	v_lshrrev_b16_e32 v32, 8, v30
	v_cmp_ne_u16_e32 vcc, 0, v32
	s_and_saveexec_b64 s[28:29], vcc
	s_cbranch_execz .LBB323_286
; %bb.281:                              ;   in Loop: Header=BB323_10 Depth=1
	v_cmp_ne_u16_e32 vcc, s19, v32
	v_bfrev_b32_e32 v1, 1
	s_and_saveexec_b64 s[30:31], vcc
	s_cbranch_execz .LBB323_285
; %bb.282:                              ;   in Loop: Header=BB323_10 Depth=1
	v_and_b32_e32 v0, 0x7f, v32
	v_cmp_ne_u32_e32 vcc, s37, v0
	v_mov_b32_e32 v1, 0x7fc02000
	s_and_saveexec_b64 s[34:35], vcc
	s_cbranch_execz .LBB323_284
; %bb.283:                              ;   in Loop: Header=BB323_10 Depth=1
	v_and_b32_e32 v1, 7, v32
	v_ffbh_u32_e32 v4, v1
	v_min_u32_e32 v4, 32, v4
	v_lshrrev_b32_e32 v3, 3, v0
	v_subrev_u32_e32 v6, 28, v4
	v_sub_u32_e32 v4, 29, v4
	v_cmp_gt_u32_e32 vcc, 8, v0
	v_lshlrev_b64 v[6:7], v6, v[32:33]
	v_cndmask_b32_e32 v0, v3, v4, vcc
	v_mov_b32_e32 v4, 0x2000
	v_and_b32_e32 v6, 7, v6
	v_lshlrev_b32_e32 v3, 8, v32
	v_lshl_add_u32 v0, v0, 10, v4
	v_cndmask_b32_e32 v1, v1, v6, vcc
	v_and_or_b32 v0, v3, s38, v0
	v_lshl_or_b32 v0, v1, 7, v0
	v_cvt_f32_f16_e32 v1, v0
.LBB323_284:                            ;   in Loop: Header=BB323_10 Depth=1
	s_or_b64 exec, exec, s[34:35]
.LBB323_285:                            ;   in Loop: Header=BB323_10 Depth=1
	s_or_b64 exec, exec, s[30:31]
.LBB323_286:                            ;   in Loop: Header=BB323_10 Depth=1
	s_or_b64 exec, exec, s[28:29]
	v_lshrrev_b32_e32 v32, 16, v30
	v_cmp_ne_u16_sdwa vcc, v32, v21 src0_sel:BYTE_0 src1_sel:DWORD
	v_mov_b32_e32 v16, 0
	v_mov_b32_e32 v20, 0
	s_and_saveexec_b64 s[28:29], vcc
	s_cbranch_execz .LBB323_292
; %bb.287:                              ;   in Loop: Header=BB323_10 Depth=1
	v_cmp_ne_u16_sdwa vcc, v32, s19 src0_sel:BYTE_0 src1_sel:DWORD
	v_bfrev_b32_e32 v20, 1
	s_and_saveexec_b64 s[30:31], vcc
	s_cbranch_execz .LBB323_291
; %bb.288:                              ;   in Loop: Header=BB323_10 Depth=1
	v_bfe_u32 v0, v30, 16, 7
	v_cmp_ne_u32_e32 vcc, s37, v0
	v_mov_b32_e32 v20, 0x7fc02000
	s_and_saveexec_b64 s[34:35], vcc
	s_cbranch_execz .LBB323_290
; %bb.289:                              ;   in Loop: Header=BB323_10 Depth=1
	v_and_b32_e32 v3, 7, v32
	v_ffbh_u32_e32 v6, v3
	v_min_u32_e32 v8, 32, v6
	v_subrev_u32_e32 v6, 28, v8
	v_lshlrev_b64 v[6:7], v6, v[32:33]
	v_lshrrev_b32_e32 v4, 3, v0
	v_sub_u32_e32 v7, 29, v8
	v_and_b32_e32 v6, 7, v6
	v_cmp_gt_u32_e32 vcc, 8, v0
	v_cndmask_b32_e32 v0, v4, v7, vcc
	v_cndmask_b32_e32 v3, v3, v6, vcc
	v_mov_b32_e32 v6, 0x2000
	v_lshlrev_b32_e32 v4, 8, v32
	v_lshl_add_u32 v0, v0, 10, v6
	v_and_or_b32 v0, v4, s38, v0
	v_lshl_or_b32 v0, v3, 7, v0
	v_cvt_f32_f16_e32 v20, v0
.LBB323_290:                            ;   in Loop: Header=BB323_10 Depth=1
	s_or_b64 exec, exec, s[34:35]
.LBB323_291:                            ;   in Loop: Header=BB323_10 Depth=1
	s_or_b64 exec, exec, s[30:31]
.LBB323_292:                            ;   in Loop: Header=BB323_10 Depth=1
	s_or_b64 exec, exec, s[28:29]
	v_cmp_lt_u32_e32 vcc, s39, v30
	s_and_saveexec_b64 s[28:29], vcc
	s_cbranch_execz .LBB323_298
; %bb.293:                              ;   in Loop: Header=BB323_10 Depth=1
	v_lshrrev_b32_e32 v30, 24, v30
	v_cmp_ne_u32_e32 vcc, s19, v30
	v_bfrev_b32_e32 v16, 1
	s_and_saveexec_b64 s[30:31], vcc
	s_cbranch_execz .LBB323_297
; %bb.294:                              ;   in Loop: Header=BB323_10 Depth=1
	v_and_b32_e32 v0, 0x7f, v30
	v_cmp_ne_u32_e32 vcc, s37, v0
	v_mov_b32_e32 v16, 0x7fc02000
	s_and_saveexec_b64 s[34:35], vcc
	s_cbranch_execz .LBB323_296
; %bb.295:                              ;   in Loop: Header=BB323_10 Depth=1
	v_and_b32_e32 v3, 7, v30
	v_ffbh_u32_e32 v6, v3
	v_min_u32_e32 v8, 32, v6
	v_subrev_u32_e32 v6, 28, v8
	v_lshlrev_b64 v[6:7], v6, v[30:31]
	v_lshrrev_b32_e32 v4, 3, v0
	v_sub_u32_e32 v7, 29, v8
	v_and_b32_e32 v6, 7, v6
	v_cmp_gt_u32_e32 vcc, 8, v0
	v_cndmask_b32_e32 v0, v4, v7, vcc
	v_cndmask_b32_e32 v3, v3, v6, vcc
	v_mov_b32_e32 v6, 0x2000
	v_lshlrev_b32_e32 v4, 8, v30
	v_lshl_add_u32 v0, v0, 10, v6
	v_and_or_b32 v0, v4, s38, v0
	v_lshl_or_b32 v0, v3, 7, v0
	v_cvt_f32_f16_e32 v16, v0
.LBB323_296:                            ;   in Loop: Header=BB323_10 Depth=1
	s_or_b64 exec, exec, s[34:35]
.LBB323_297:                            ;   in Loop: Header=BB323_10 Depth=1
	s_or_b64 exec, exec, s[30:31]
.LBB323_298:                            ;   in Loop: Header=BB323_10 Depth=1
	s_or_b64 exec, exec, s[28:29]
	flat_load_dword v30, v[28:29] offset:3072
	v_mov_b32_e32 v10, 0
	v_mov_b32_e32 v4, 0
	s_waitcnt vmcnt(0) lgkmcnt(0)
	v_cmp_ne_u16_sdwa vcc, v30, v21 src0_sel:BYTE_0 src1_sel:DWORD
	s_and_saveexec_b64 s[28:29], vcc
	s_cbranch_execz .LBB323_304
; %bb.299:                              ;   in Loop: Header=BB323_10 Depth=1
	v_cmp_ne_u16_sdwa vcc, v30, s19 src0_sel:BYTE_0 src1_sel:DWORD
	v_bfrev_b32_e32 v4, 1
	s_and_saveexec_b64 s[30:31], vcc
	s_cbranch_execz .LBB323_303
; %bb.300:                              ;   in Loop: Header=BB323_10 Depth=1
	v_and_b32_e32 v0, 0x7f, v30
	v_cmp_ne_u32_e32 vcc, s37, v0
	v_mov_b32_e32 v4, 0x7fc02000
	s_and_saveexec_b64 s[34:35], vcc
	s_cbranch_execz .LBB323_302
; %bb.301:                              ;   in Loop: Header=BB323_10 Depth=1
	v_and_b32_e32 v3, 7, v30
	v_ffbh_u32_e32 v6, v3
	v_min_u32_e32 v8, 32, v6
	v_subrev_u32_e32 v6, 28, v8
	v_lshlrev_b64 v[6:7], v6, v[30:31]
	v_lshrrev_b32_e32 v4, 3, v0
	v_sub_u32_e32 v7, 29, v8
	v_and_b32_e32 v6, 7, v6
	v_cmp_gt_u32_e32 vcc, 8, v0
	v_cndmask_b32_e32 v0, v4, v7, vcc
	v_cndmask_b32_e32 v3, v3, v6, vcc
	v_mov_b32_e32 v6, 0x2000
	v_lshlrev_b32_e32 v4, 8, v30
	v_lshl_add_u32 v0, v0, 10, v6
	v_and_or_b32 v0, v4, s38, v0
	v_lshl_or_b32 v0, v3, 7, v0
	v_cvt_f32_f16_e32 v4, v0
.LBB323_302:                            ;   in Loop: Header=BB323_10 Depth=1
	s_or_b64 exec, exec, s[34:35]
.LBB323_303:                            ;   in Loop: Header=BB323_10 Depth=1
	s_or_b64 exec, exec, s[30:31]
.LBB323_304:                            ;   in Loop: Header=BB323_10 Depth=1
	s_or_b64 exec, exec, s[28:29]
	v_lshrrev_b16_e32 v32, 8, v30
	v_cmp_ne_u16_e32 vcc, 0, v32
	s_and_saveexec_b64 s[28:29], vcc
	s_cbranch_execz .LBB323_310
; %bb.305:                              ;   in Loop: Header=BB323_10 Depth=1
	v_cmp_ne_u16_e32 vcc, s19, v32
	v_bfrev_b32_e32 v10, 1
	s_and_saveexec_b64 s[30:31], vcc
	s_cbranch_execz .LBB323_309
; %bb.306:                              ;   in Loop: Header=BB323_10 Depth=1
	v_and_b32_e32 v0, 0x7f, v32
	v_cmp_ne_u32_e32 vcc, s37, v0
	v_mov_b32_e32 v10, 0x7fc02000
	s_and_saveexec_b64 s[34:35], vcc
	s_cbranch_execz .LBB323_308
; %bb.307:                              ;   in Loop: Header=BB323_10 Depth=1
	v_and_b32_e32 v3, 7, v32
	v_ffbh_u32_e32 v6, v3
	v_min_u32_e32 v9, 32, v6
	v_subrev_u32_e32 v6, 28, v9
	v_lshlrev_b64 v[6:7], v6, v[32:33]
	v_lshrrev_b32_e32 v8, 3, v0
	v_sub_u32_e32 v7, 29, v9
	v_cmp_gt_u32_e32 vcc, 8, v0
	v_and_b32_e32 v6, 7, v6
	v_cndmask_b32_e32 v0, v8, v7, vcc
	v_mov_b32_e32 v7, 0x2000
	v_cndmask_b32_e32 v3, v3, v6, vcc
	v_lshlrev_b32_e32 v6, 8, v32
	v_lshl_add_u32 v0, v0, 10, v7
	v_and_or_b32 v0, v6, s38, v0
	v_lshl_or_b32 v0, v3, 7, v0
	v_cvt_f32_f16_e32 v10, v0
.LBB323_308:                            ;   in Loop: Header=BB323_10 Depth=1
	s_or_b64 exec, exec, s[34:35]
.LBB323_309:                            ;   in Loop: Header=BB323_10 Depth=1
	s_or_b64 exec, exec, s[30:31]
.LBB323_310:                            ;   in Loop: Header=BB323_10 Depth=1
	s_or_b64 exec, exec, s[28:29]
	v_lshrrev_b32_e32 v32, 16, v30
	v_cmp_ne_u16_sdwa vcc, v32, v21 src0_sel:BYTE_0 src1_sel:DWORD
	v_mov_b32_e32 v58, 0
	v_mov_b32_e32 v11, 0
	s_and_saveexec_b64 s[28:29], vcc
	s_cbranch_execz .LBB323_316
; %bb.311:                              ;   in Loop: Header=BB323_10 Depth=1
	v_cmp_ne_u16_sdwa vcc, v32, s19 src0_sel:BYTE_0 src1_sel:DWORD
	v_bfrev_b32_e32 v11, 1
	s_and_saveexec_b64 s[30:31], vcc
	s_cbranch_execz .LBB323_315
; %bb.312:                              ;   in Loop: Header=BB323_10 Depth=1
	v_bfe_u32 v0, v30, 16, 7
	v_cmp_ne_u32_e32 vcc, s37, v0
	v_mov_b32_e32 v11, 0x7fc02000
	s_and_saveexec_b64 s[34:35], vcc
	s_cbranch_execz .LBB323_314
; %bb.313:                              ;   in Loop: Header=BB323_10 Depth=1
	v_and_b32_e32 v3, 7, v32
	v_ffbh_u32_e32 v6, v3
	v_min_u32_e32 v9, 32, v6
	v_subrev_u32_e32 v6, 28, v9
	v_lshlrev_b64 v[6:7], v6, v[32:33]
	v_lshrrev_b32_e32 v8, 3, v0
	v_sub_u32_e32 v7, 29, v9
	v_cmp_gt_u32_e32 vcc, 8, v0
	v_and_b32_e32 v6, 7, v6
	v_cndmask_b32_e32 v0, v8, v7, vcc
	v_mov_b32_e32 v7, 0x2000
	v_cndmask_b32_e32 v3, v3, v6, vcc
	v_lshlrev_b32_e32 v6, 8, v32
	v_lshl_add_u32 v0, v0, 10, v7
	v_and_or_b32 v0, v6, s38, v0
	v_lshl_or_b32 v0, v3, 7, v0
	v_cvt_f32_f16_e32 v11, v0
.LBB323_314:                            ;   in Loop: Header=BB323_10 Depth=1
	s_or_b64 exec, exec, s[34:35]
.LBB323_315:                            ;   in Loop: Header=BB323_10 Depth=1
	s_or_b64 exec, exec, s[30:31]
.LBB323_316:                            ;   in Loop: Header=BB323_10 Depth=1
	s_or_b64 exec, exec, s[28:29]
	v_cmp_lt_u32_e32 vcc, s39, v30
	s_and_saveexec_b64 s[28:29], vcc
	s_cbranch_execz .LBB323_322
; %bb.317:                              ;   in Loop: Header=BB323_10 Depth=1
	v_lshrrev_b32_e32 v30, 24, v30
	v_cmp_ne_u32_e32 vcc, s19, v30
	v_bfrev_b32_e32 v58, 1
	s_and_saveexec_b64 s[30:31], vcc
	s_cbranch_execz .LBB323_321
; %bb.318:                              ;   in Loop: Header=BB323_10 Depth=1
	v_and_b32_e32 v0, 0x7f, v30
	v_cmp_ne_u32_e32 vcc, s37, v0
	v_mov_b32_e32 v58, 0x7fc02000
	s_and_saveexec_b64 s[34:35], vcc
	s_cbranch_execz .LBB323_320
; %bb.319:                              ;   in Loop: Header=BB323_10 Depth=1
	v_and_b32_e32 v3, 7, v30
	v_ffbh_u32_e32 v6, v3
	v_min_u32_e32 v9, 32, v6
	v_subrev_u32_e32 v6, 28, v9
	v_lshlrev_b64 v[6:7], v6, v[30:31]
	v_lshrrev_b32_e32 v8, 3, v0
	v_sub_u32_e32 v7, 29, v9
	v_cmp_gt_u32_e32 vcc, 8, v0
	v_and_b32_e32 v6, 7, v6
	v_cndmask_b32_e32 v0, v8, v7, vcc
	v_mov_b32_e32 v7, 0x2000
	v_cndmask_b32_e32 v3, v3, v6, vcc
	v_lshlrev_b32_e32 v6, 8, v30
	v_lshl_add_u32 v0, v0, 10, v7
	v_and_or_b32 v0, v6, s38, v0
	v_lshl_or_b32 v0, v3, 7, v0
	v_cvt_f32_f16_e32 v58, v0
.LBB323_320:                            ;   in Loop: Header=BB323_10 Depth=1
	s_or_b64 exec, exec, s[34:35]
.LBB323_321:                            ;   in Loop: Header=BB323_10 Depth=1
	s_or_b64 exec, exec, s[30:31]
.LBB323_322:                            ;   in Loop: Header=BB323_10 Depth=1
	s_or_b64 exec, exec, s[28:29]
	flat_load_dword v30, v[28:29] offset:3080
	v_mov_b32_e32 v34, 0
	v_mov_b32_e32 v45, 0
	s_waitcnt vmcnt(0) lgkmcnt(0)
	v_cmp_ne_u16_sdwa vcc, v30, v21 src0_sel:BYTE_0 src1_sel:DWORD
	s_and_saveexec_b64 s[28:29], vcc
	s_cbranch_execz .LBB323_328
; %bb.323:                              ;   in Loop: Header=BB323_10 Depth=1
	v_cmp_ne_u16_sdwa vcc, v30, s19 src0_sel:BYTE_0 src1_sel:DWORD
	v_bfrev_b32_e32 v45, 1
	s_and_saveexec_b64 s[30:31], vcc
	s_cbranch_execz .LBB323_327
; %bb.324:                              ;   in Loop: Header=BB323_10 Depth=1
	v_and_b32_e32 v0, 0x7f, v30
	v_cmp_ne_u32_e32 vcc, s37, v0
	v_mov_b32_e32 v45, 0x7fc02000
	s_and_saveexec_b64 s[34:35], vcc
	s_cbranch_execz .LBB323_326
; %bb.325:                              ;   in Loop: Header=BB323_10 Depth=1
	v_and_b32_e32 v3, 7, v30
	v_ffbh_u32_e32 v6, v3
	v_min_u32_e32 v9, 32, v6
	v_subrev_u32_e32 v6, 28, v9
	v_lshlrev_b64 v[6:7], v6, v[30:31]
	v_lshrrev_b32_e32 v8, 3, v0
	v_sub_u32_e32 v7, 29, v9
	v_cmp_gt_u32_e32 vcc, 8, v0
	v_and_b32_e32 v6, 7, v6
	v_cndmask_b32_e32 v0, v8, v7, vcc
	v_mov_b32_e32 v7, 0x2000
	v_cndmask_b32_e32 v3, v3, v6, vcc
	v_lshlrev_b32_e32 v6, 8, v30
	v_lshl_add_u32 v0, v0, 10, v7
	v_and_or_b32 v0, v6, s38, v0
	v_lshl_or_b32 v0, v3, 7, v0
	v_cvt_f32_f16_e32 v45, v0
.LBB323_326:                            ;   in Loop: Header=BB323_10 Depth=1
	s_or_b64 exec, exec, s[34:35]
.LBB323_327:                            ;   in Loop: Header=BB323_10 Depth=1
	s_or_b64 exec, exec, s[30:31]
.LBB323_328:                            ;   in Loop: Header=BB323_10 Depth=1
	s_or_b64 exec, exec, s[28:29]
	v_lshrrev_b16_e32 v32, 8, v30
	v_cmp_ne_u16_e32 vcc, 0, v32
	s_and_saveexec_b64 s[28:29], vcc
	s_cbranch_execz .LBB323_334
; %bb.329:                              ;   in Loop: Header=BB323_10 Depth=1
	v_cmp_ne_u16_e32 vcc, s19, v32
	v_bfrev_b32_e32 v34, 1
	s_and_saveexec_b64 s[30:31], vcc
	s_cbranch_execz .LBB323_333
; %bb.330:                              ;   in Loop: Header=BB323_10 Depth=1
	v_and_b32_e32 v0, 0x7f, v32
	v_cmp_ne_u32_e32 vcc, s37, v0
	v_mov_b32_e32 v34, 0x7fc02000
	s_and_saveexec_b64 s[34:35], vcc
	s_cbranch_execz .LBB323_332
; %bb.331:                              ;   in Loop: Header=BB323_10 Depth=1
	v_and_b32_e32 v3, 7, v32
	v_ffbh_u32_e32 v6, v3
	v_min_u32_e32 v9, 32, v6
	v_subrev_u32_e32 v6, 28, v9
	v_lshlrev_b64 v[6:7], v6, v[32:33]
	v_lshrrev_b32_e32 v8, 3, v0
	v_sub_u32_e32 v7, 29, v9
	v_cmp_gt_u32_e32 vcc, 8, v0
	v_and_b32_e32 v6, 7, v6
	v_cndmask_b32_e32 v0, v8, v7, vcc
	v_mov_b32_e32 v7, 0x2000
	v_cndmask_b32_e32 v3, v3, v6, vcc
	v_lshlrev_b32_e32 v6, 8, v32
	v_lshl_add_u32 v0, v0, 10, v7
	v_and_or_b32 v0, v6, s38, v0
	v_lshl_or_b32 v0, v3, 7, v0
	v_cvt_f32_f16_e32 v34, v0
.LBB323_332:                            ;   in Loop: Header=BB323_10 Depth=1
	s_or_b64 exec, exec, s[34:35]
.LBB323_333:                            ;   in Loop: Header=BB323_10 Depth=1
	s_or_b64 exec, exec, s[30:31]
.LBB323_334:                            ;   in Loop: Header=BB323_10 Depth=1
	s_or_b64 exec, exec, s[28:29]
	v_lshrrev_b32_e32 v32, 16, v30
	v_cmp_ne_u16_sdwa vcc, v32, v21 src0_sel:BYTE_0 src1_sel:DWORD
	v_mov_b32_e32 v46, 0
	v_mov_b32_e32 v44, 0
	s_and_saveexec_b64 s[28:29], vcc
	s_cbranch_execz .LBB323_340
; %bb.335:                              ;   in Loop: Header=BB323_10 Depth=1
	v_cmp_ne_u16_sdwa vcc, v32, s19 src0_sel:BYTE_0 src1_sel:DWORD
	v_bfrev_b32_e32 v44, 1
	s_and_saveexec_b64 s[30:31], vcc
	s_cbranch_execz .LBB323_339
; %bb.336:                              ;   in Loop: Header=BB323_10 Depth=1
	v_bfe_u32 v0, v30, 16, 7
	v_cmp_ne_u32_e32 vcc, s37, v0
	v_mov_b32_e32 v44, 0x7fc02000
	s_and_saveexec_b64 s[34:35], vcc
	s_cbranch_execz .LBB323_338
; %bb.337:                              ;   in Loop: Header=BB323_10 Depth=1
	v_and_b32_e32 v3, 7, v32
	v_ffbh_u32_e32 v6, v3
	v_min_u32_e32 v9, 32, v6
	v_subrev_u32_e32 v6, 28, v9
	v_lshlrev_b64 v[6:7], v6, v[32:33]
	v_lshrrev_b32_e32 v8, 3, v0
	v_sub_u32_e32 v7, 29, v9
	v_cmp_gt_u32_e32 vcc, 8, v0
	v_and_b32_e32 v6, 7, v6
	v_cndmask_b32_e32 v0, v8, v7, vcc
	v_mov_b32_e32 v7, 0x2000
	v_cndmask_b32_e32 v3, v3, v6, vcc
	v_lshlrev_b32_e32 v6, 8, v32
	v_lshl_add_u32 v0, v0, 10, v7
	v_and_or_b32 v0, v6, s38, v0
	v_lshl_or_b32 v0, v3, 7, v0
	v_cvt_f32_f16_e32 v44, v0
.LBB323_338:                            ;   in Loop: Header=BB323_10 Depth=1
	s_or_b64 exec, exec, s[34:35]
.LBB323_339:                            ;   in Loop: Header=BB323_10 Depth=1
	s_or_b64 exec, exec, s[30:31]
.LBB323_340:                            ;   in Loop: Header=BB323_10 Depth=1
	s_or_b64 exec, exec, s[28:29]
	v_cmp_lt_u32_e32 vcc, s39, v30
	s_and_saveexec_b64 s[28:29], vcc
	s_cbranch_execz .LBB323_346
; %bb.341:                              ;   in Loop: Header=BB323_10 Depth=1
	v_lshrrev_b32_e32 v30, 24, v30
	v_cmp_ne_u32_e32 vcc, s19, v30
	v_bfrev_b32_e32 v46, 1
	s_and_saveexec_b64 s[30:31], vcc
	s_cbranch_execz .LBB323_345
; %bb.342:                              ;   in Loop: Header=BB323_10 Depth=1
	v_and_b32_e32 v0, 0x7f, v30
	v_cmp_ne_u32_e32 vcc, s37, v0
	v_mov_b32_e32 v46, 0x7fc02000
	s_and_saveexec_b64 s[34:35], vcc
	s_cbranch_execz .LBB323_344
; %bb.343:                              ;   in Loop: Header=BB323_10 Depth=1
	v_and_b32_e32 v3, 7, v30
	v_ffbh_u32_e32 v6, v3
	v_min_u32_e32 v9, 32, v6
	v_subrev_u32_e32 v6, 28, v9
	v_lshlrev_b64 v[6:7], v6, v[30:31]
	v_lshrrev_b32_e32 v8, 3, v0
	v_sub_u32_e32 v7, 29, v9
	v_cmp_gt_u32_e32 vcc, 8, v0
	v_and_b32_e32 v6, 7, v6
	v_cndmask_b32_e32 v0, v8, v7, vcc
	v_mov_b32_e32 v7, 0x2000
	v_cndmask_b32_e32 v3, v3, v6, vcc
	v_lshlrev_b32_e32 v6, 8, v30
	v_lshl_add_u32 v0, v0, 10, v7
	v_and_or_b32 v0, v6, s38, v0
	v_lshl_or_b32 v0, v3, 7, v0
	v_cvt_f32_f16_e32 v46, v0
.LBB323_344:                            ;   in Loop: Header=BB323_10 Depth=1
	s_or_b64 exec, exec, s[34:35]
.LBB323_345:                            ;   in Loop: Header=BB323_10 Depth=1
	s_or_b64 exec, exec, s[30:31]
.LBB323_346:                            ;   in Loop: Header=BB323_10 Depth=1
	s_or_b64 exec, exec, s[28:29]
	flat_load_dword v30, v[28:29] offset:3584
	v_mov_b32_e32 v6, 0
	v_mov_b32_e32 v36, 0
	s_waitcnt vmcnt(0) lgkmcnt(0)
	v_cmp_ne_u16_sdwa vcc, v30, v21 src0_sel:BYTE_0 src1_sel:DWORD
	s_and_saveexec_b64 s[28:29], vcc
	s_cbranch_execz .LBB323_352
; %bb.347:                              ;   in Loop: Header=BB323_10 Depth=1
	v_cmp_ne_u16_sdwa vcc, v30, s19 src0_sel:BYTE_0 src1_sel:DWORD
	v_bfrev_b32_e32 v36, 1
	s_and_saveexec_b64 s[30:31], vcc
	s_cbranch_execz .LBB323_351
; %bb.348:                              ;   in Loop: Header=BB323_10 Depth=1
	v_and_b32_e32 v0, 0x7f, v30
	v_cmp_ne_u32_e32 vcc, s37, v0
	v_mov_b32_e32 v36, 0x7fc02000
	s_and_saveexec_b64 s[34:35], vcc
	s_cbranch_execz .LBB323_350
; %bb.349:                              ;   in Loop: Header=BB323_10 Depth=1
	v_and_b32_e32 v3, 7, v30
	v_ffbh_u32_e32 v8, v3
	v_min_u32_e32 v12, 32, v8
	v_subrev_u32_e32 v8, 28, v12
	v_lshlrev_b64 v[8:9], v8, v[30:31]
	v_lshrrev_b32_e32 v7, 3, v0
	v_sub_u32_e32 v9, 29, v12
	v_and_b32_e32 v8, 7, v8
	v_cmp_gt_u32_e32 vcc, 8, v0
	v_cndmask_b32_e32 v0, v7, v9, vcc
	v_cndmask_b32_e32 v3, v3, v8, vcc
	v_mov_b32_e32 v8, 0x2000
	v_lshlrev_b32_e32 v7, 8, v30
	v_lshl_add_u32 v0, v0, 10, v8
	v_and_or_b32 v0, v7, s38, v0
	v_lshl_or_b32 v0, v3, 7, v0
	v_cvt_f32_f16_e32 v36, v0
.LBB323_350:                            ;   in Loop: Header=BB323_10 Depth=1
	s_or_b64 exec, exec, s[34:35]
.LBB323_351:                            ;   in Loop: Header=BB323_10 Depth=1
	s_or_b64 exec, exec, s[30:31]
.LBB323_352:                            ;   in Loop: Header=BB323_10 Depth=1
	s_or_b64 exec, exec, s[28:29]
	v_lshrrev_b16_e32 v32, 8, v30
	v_cmp_ne_u16_e32 vcc, 0, v32
	s_and_saveexec_b64 s[28:29], vcc
	s_cbranch_execz .LBB323_358
; %bb.353:                              ;   in Loop: Header=BB323_10 Depth=1
	v_cmp_ne_u16_e32 vcc, s19, v32
	v_bfrev_b32_e32 v6, 1
	s_and_saveexec_b64 s[30:31], vcc
	s_cbranch_execz .LBB323_357
; %bb.354:                              ;   in Loop: Header=BB323_10 Depth=1
	v_and_b32_e32 v0, 0x7f, v32
	v_cmp_ne_u32_e32 vcc, s37, v0
	v_mov_b32_e32 v6, 0x7fc02000
	s_and_saveexec_b64 s[34:35], vcc
	s_cbranch_execz .LBB323_356
; %bb.355:                              ;   in Loop: Header=BB323_10 Depth=1
	v_and_b32_e32 v3, 7, v32
	v_ffbh_u32_e32 v6, v3
	v_min_u32_e32 v9, 32, v6
	v_subrev_u32_e32 v6, 28, v9
	v_lshlrev_b64 v[6:7], v6, v[32:33]
	v_lshrrev_b32_e32 v8, 3, v0
	v_sub_u32_e32 v7, 29, v9
	v_cmp_gt_u32_e32 vcc, 8, v0
	v_and_b32_e32 v6, 7, v6
	v_cndmask_b32_e32 v0, v8, v7, vcc
	v_mov_b32_e32 v7, 0x2000
	v_cndmask_b32_e32 v3, v3, v6, vcc
	v_lshlrev_b32_e32 v6, 8, v32
	v_lshl_add_u32 v0, v0, 10, v7
	v_and_or_b32 v0, v6, s38, v0
	v_lshl_or_b32 v0, v3, 7, v0
	v_cvt_f32_f16_e32 v6, v0
.LBB323_356:                            ;   in Loop: Header=BB323_10 Depth=1
	s_or_b64 exec, exec, s[34:35]
.LBB323_357:                            ;   in Loop: Header=BB323_10 Depth=1
	s_or_b64 exec, exec, s[30:31]
.LBB323_358:                            ;   in Loop: Header=BB323_10 Depth=1
	s_or_b64 exec, exec, s[28:29]
	v_lshrrev_b32_e32 v32, 16, v30
	v_cmp_ne_u16_sdwa vcc, v32, v21 src0_sel:BYTE_0 src1_sel:DWORD
	v_mov_b32_e32 v7, 0
	v_mov_b32_e32 v55, 0
	s_and_saveexec_b64 s[28:29], vcc
	s_cbranch_execz .LBB323_364
; %bb.359:                              ;   in Loop: Header=BB323_10 Depth=1
	v_cmp_ne_u16_sdwa vcc, v32, s19 src0_sel:BYTE_0 src1_sel:DWORD
	v_bfrev_b32_e32 v55, 1
	s_and_saveexec_b64 s[30:31], vcc
	s_cbranch_execz .LBB323_363
; %bb.360:                              ;   in Loop: Header=BB323_10 Depth=1
	v_bfe_u32 v0, v30, 16, 7
	v_cmp_ne_u32_e32 vcc, s37, v0
	v_mov_b32_e32 v55, 0x7fc02000
	s_and_saveexec_b64 s[34:35], vcc
	s_cbranch_execz .LBB323_362
; %bb.361:                              ;   in Loop: Header=BB323_10 Depth=1
	v_and_b32_e32 v3, 7, v32
	v_ffbh_u32_e32 v8, v3
	v_min_u32_e32 v13, 32, v8
	v_subrev_u32_e32 v8, 28, v13
	v_lshlrev_b64 v[8:9], v8, v[32:33]
	v_lshrrev_b32_e32 v12, 3, v0
	v_sub_u32_e32 v9, 29, v13
	v_cmp_gt_u32_e32 vcc, 8, v0
	v_and_b32_e32 v8, 7, v8
	v_cndmask_b32_e32 v0, v12, v9, vcc
	v_mov_b32_e32 v9, 0x2000
	v_cndmask_b32_e32 v3, v3, v8, vcc
	v_lshlrev_b32_e32 v8, 8, v32
	v_lshl_add_u32 v0, v0, 10, v9
	v_and_or_b32 v0, v8, s38, v0
	v_lshl_or_b32 v0, v3, 7, v0
	v_cvt_f32_f16_e32 v55, v0
.LBB323_362:                            ;   in Loop: Header=BB323_10 Depth=1
	s_or_b64 exec, exec, s[34:35]
.LBB323_363:                            ;   in Loop: Header=BB323_10 Depth=1
	s_or_b64 exec, exec, s[30:31]
.LBB323_364:                            ;   in Loop: Header=BB323_10 Depth=1
	s_or_b64 exec, exec, s[28:29]
	v_cmp_lt_u32_e32 vcc, s39, v30
	s_and_saveexec_b64 s[28:29], vcc
	s_cbranch_execz .LBB323_370
; %bb.365:                              ;   in Loop: Header=BB323_10 Depth=1
	v_lshrrev_b32_e32 v30, 24, v30
	v_cmp_ne_u32_e32 vcc, s19, v30
	v_bfrev_b32_e32 v7, 1
	s_and_saveexec_b64 s[30:31], vcc
	s_cbranch_execz .LBB323_369
; %bb.366:                              ;   in Loop: Header=BB323_10 Depth=1
	v_and_b32_e32 v0, 0x7f, v30
	v_cmp_ne_u32_e32 vcc, s37, v0
	v_mov_b32_e32 v7, 0x7fc02000
	s_and_saveexec_b64 s[34:35], vcc
	s_cbranch_execz .LBB323_368
; %bb.367:                              ;   in Loop: Header=BB323_10 Depth=1
	v_and_b32_e32 v3, 7, v30
	v_ffbh_u32_e32 v8, v3
	v_min_u32_e32 v12, 32, v8
	v_subrev_u32_e32 v8, 28, v12
	v_lshlrev_b64 v[8:9], v8, v[30:31]
	v_lshrrev_b32_e32 v7, 3, v0
	v_sub_u32_e32 v9, 29, v12
	v_and_b32_e32 v8, 7, v8
	v_cmp_gt_u32_e32 vcc, 8, v0
	v_cndmask_b32_e32 v0, v7, v9, vcc
	v_cndmask_b32_e32 v3, v3, v8, vcc
	v_mov_b32_e32 v8, 0x2000
	v_lshlrev_b32_e32 v7, 8, v30
	v_lshl_add_u32 v0, v0, 10, v8
	v_and_or_b32 v0, v7, s38, v0
	v_lshl_or_b32 v0, v3, 7, v0
	v_cvt_f32_f16_e32 v7, v0
.LBB323_368:                            ;   in Loop: Header=BB323_10 Depth=1
	s_or_b64 exec, exec, s[34:35]
.LBB323_369:                            ;   in Loop: Header=BB323_10 Depth=1
	s_or_b64 exec, exec, s[30:31]
.LBB323_370:                            ;   in Loop: Header=BB323_10 Depth=1
	s_or_b64 exec, exec, s[28:29]
	flat_load_dword v30, v[28:29] offset:3592
	v_mov_b32_e32 v23, 0
	v_mov_b32_e32 v33, 0
	s_waitcnt vmcnt(0) lgkmcnt(0)
	v_cmp_ne_u16_sdwa vcc, v30, v21 src0_sel:BYTE_0 src1_sel:DWORD
	s_and_saveexec_b64 s[28:29], vcc
	s_cbranch_execz .LBB323_376
; %bb.371:                              ;   in Loop: Header=BB323_10 Depth=1
	v_cmp_ne_u16_sdwa vcc, v30, s19 src0_sel:BYTE_0 src1_sel:DWORD
	v_bfrev_b32_e32 v33, 1
	s_and_saveexec_b64 s[30:31], vcc
	s_cbranch_execz .LBB323_375
; %bb.372:                              ;   in Loop: Header=BB323_10 Depth=1
	v_and_b32_e32 v0, 0x7f, v30
	v_cmp_ne_u32_e32 vcc, s37, v0
	v_mov_b32_e32 v33, 0x7fc02000
	s_and_saveexec_b64 s[34:35], vcc
	s_cbranch_execz .LBB323_374
; %bb.373:                              ;   in Loop: Header=BB323_10 Depth=1
	v_and_b32_e32 v3, 7, v30
	v_ffbh_u32_e32 v8, v3
	v_min_u32_e32 v13, 32, v8
	v_subrev_u32_e32 v8, 28, v13
	v_lshlrev_b64 v[8:9], v8, v[30:31]
	v_lshrrev_b32_e32 v12, 3, v0
	v_sub_u32_e32 v9, 29, v13
	v_cmp_gt_u32_e32 vcc, 8, v0
	v_and_b32_e32 v8, 7, v8
	v_cndmask_b32_e32 v0, v12, v9, vcc
	v_mov_b32_e32 v9, 0x2000
	v_cndmask_b32_e32 v3, v3, v8, vcc
	v_lshlrev_b32_e32 v8, 8, v30
	v_lshl_add_u32 v0, v0, 10, v9
	v_and_or_b32 v0, v8, s38, v0
	v_lshl_or_b32 v0, v3, 7, v0
	v_cvt_f32_f16_e32 v33, v0
.LBB323_374:                            ;   in Loop: Header=BB323_10 Depth=1
	s_or_b64 exec, exec, s[34:35]
.LBB323_375:                            ;   in Loop: Header=BB323_10 Depth=1
	s_or_b64 exec, exec, s[30:31]
.LBB323_376:                            ;   in Loop: Header=BB323_10 Depth=1
	s_or_b64 exec, exec, s[28:29]
	v_lshrrev_b16_e32 v32, 8, v30
	v_cmp_ne_u16_e32 vcc, 0, v32
	s_and_saveexec_b64 s[28:29], vcc
	s_cbranch_execz .LBB323_382
; %bb.377:                              ;   in Loop: Header=BB323_10 Depth=1
	v_cmp_ne_u16_e32 vcc, s19, v32
	v_bfrev_b32_e32 v23, 1
	s_and_saveexec_b64 s[30:31], vcc
	s_cbranch_execz .LBB323_381
; %bb.378:                              ;   in Loop: Header=BB323_10 Depth=1
	v_and_b32_e32 v0, 0x7f, v32
	v_cmp_ne_u32_e32 vcc, s37, v0
	v_mov_b32_e32 v23, 0x7fc02000
	s_and_saveexec_b64 s[34:35], vcc
	s_cbranch_execz .LBB323_380
; %bb.379:                              ;   in Loop: Header=BB323_10 Depth=1
	v_and_b32_e32 v3, 7, v32
	v_ffbh_u32_e32 v8, v3
	v_min_u32_e32 v13, 32, v8
	v_subrev_u32_e32 v8, 28, v13
	v_lshlrev_b64 v[8:9], v8, v[32:33]
	v_lshrrev_b32_e32 v12, 3, v0
	v_sub_u32_e32 v9, 29, v13
	v_cmp_gt_u32_e32 vcc, 8, v0
	v_and_b32_e32 v8, 7, v8
	v_cndmask_b32_e32 v0, v12, v9, vcc
	v_mov_b32_e32 v9, 0x2000
	v_cndmask_b32_e32 v3, v3, v8, vcc
	v_lshlrev_b32_e32 v8, 8, v32
	v_lshl_add_u32 v0, v0, 10, v9
	v_and_or_b32 v0, v8, s38, v0
	v_lshl_or_b32 v0, v3, 7, v0
	v_cvt_f32_f16_e32 v23, v0
.LBB323_380:                            ;   in Loop: Header=BB323_10 Depth=1
	s_or_b64 exec, exec, s[34:35]
.LBB323_381:                            ;   in Loop: Header=BB323_10 Depth=1
	s_or_b64 exec, exec, s[30:31]
.LBB323_382:                            ;   in Loop: Header=BB323_10 Depth=1
	s_or_b64 exec, exec, s[28:29]
	v_lshrrev_b32_e32 v32, 16, v30
	v_cmp_ne_u16_sdwa vcc, v32, v21 src0_sel:BYTE_0 src1_sel:DWORD
	v_mov_b32_e32 v48, 0
	v_mov_b32_e32 v19, 0
	s_and_saveexec_b64 s[28:29], vcc
	s_cbranch_execz .LBB323_388
; %bb.383:                              ;   in Loop: Header=BB323_10 Depth=1
	v_cmp_ne_u16_sdwa vcc, v32, s19 src0_sel:BYTE_0 src1_sel:DWORD
	v_bfrev_b32_e32 v19, 1
	s_and_saveexec_b64 s[30:31], vcc
	s_cbranch_execz .LBB323_387
; %bb.384:                              ;   in Loop: Header=BB323_10 Depth=1
	v_bfe_u32 v0, v30, 16, 7
	v_cmp_ne_u32_e32 vcc, s37, v0
	v_mov_b32_e32 v19, 0x7fc02000
	s_and_saveexec_b64 s[34:35], vcc
	s_cbranch_execz .LBB323_386
; %bb.385:                              ;   in Loop: Header=BB323_10 Depth=1
	v_and_b32_e32 v3, 7, v32
	v_ffbh_u32_e32 v8, v3
	v_min_u32_e32 v13, 32, v8
	v_subrev_u32_e32 v8, 28, v13
	v_lshlrev_b64 v[8:9], v8, v[32:33]
	v_lshrrev_b32_e32 v12, 3, v0
	v_sub_u32_e32 v9, 29, v13
	v_cmp_gt_u32_e32 vcc, 8, v0
	v_and_b32_e32 v8, 7, v8
	v_cndmask_b32_e32 v0, v12, v9, vcc
	v_mov_b32_e32 v9, 0x2000
	v_cndmask_b32_e32 v3, v3, v8, vcc
	v_lshlrev_b32_e32 v8, 8, v32
	v_lshl_add_u32 v0, v0, 10, v9
	v_and_or_b32 v0, v8, s38, v0
	v_lshl_or_b32 v0, v3, 7, v0
	v_cvt_f32_f16_e32 v19, v0
.LBB323_386:                            ;   in Loop: Header=BB323_10 Depth=1
	s_or_b64 exec, exec, s[34:35]
.LBB323_387:                            ;   in Loop: Header=BB323_10 Depth=1
	s_or_b64 exec, exec, s[30:31]
.LBB323_388:                            ;   in Loop: Header=BB323_10 Depth=1
	s_or_b64 exec, exec, s[28:29]
	v_cmp_lt_u32_e32 vcc, s39, v30
	s_and_saveexec_b64 s[28:29], vcc
	s_cbranch_execz .LBB323_394
; %bb.389:                              ;   in Loop: Header=BB323_10 Depth=1
	v_lshrrev_b32_e32 v30, 24, v30
	v_cmp_ne_u32_e32 vcc, s19, v30
	v_bfrev_b32_e32 v48, 1
	s_and_saveexec_b64 s[30:31], vcc
	s_cbranch_execz .LBB323_393
; %bb.390:                              ;   in Loop: Header=BB323_10 Depth=1
	v_and_b32_e32 v0, 0x7f, v30
	v_cmp_ne_u32_e32 vcc, s37, v0
	v_mov_b32_e32 v48, 0x7fc02000
	s_and_saveexec_b64 s[34:35], vcc
	s_cbranch_execz .LBB323_392
; %bb.391:                              ;   in Loop: Header=BB323_10 Depth=1
	v_and_b32_e32 v3, 7, v30
	v_ffbh_u32_e32 v8, v3
	v_min_u32_e32 v13, 32, v8
	v_subrev_u32_e32 v8, 28, v13
	v_lshlrev_b64 v[8:9], v8, v[30:31]
	v_lshrrev_b32_e32 v12, 3, v0
	v_sub_u32_e32 v9, 29, v13
	v_cmp_gt_u32_e32 vcc, 8, v0
	v_and_b32_e32 v8, 7, v8
	v_cndmask_b32_e32 v0, v12, v9, vcc
	v_mov_b32_e32 v9, 0x2000
	v_cndmask_b32_e32 v3, v3, v8, vcc
	v_lshlrev_b32_e32 v8, 8, v30
	v_lshl_add_u32 v0, v0, 10, v9
	v_and_or_b32 v0, v8, s38, v0
	v_lshl_or_b32 v0, v3, 7, v0
	v_cvt_f32_f16_e32 v48, v0
.LBB323_392:                            ;   in Loop: Header=BB323_10 Depth=1
	s_or_b64 exec, exec, s[34:35]
.LBB323_393:                            ;   in Loop: Header=BB323_10 Depth=1
	s_or_b64 exec, exec, s[30:31]
.LBB323_394:                            ;   in Loop: Header=BB323_10 Depth=1
	s_or_b64 exec, exec, s[28:29]
	v_add_co_u32_e32 v8, vcc, 0x1000, v28
	v_addc_co_u32_e32 v9, vcc, 0, v29, vcc
	flat_load_dword v30, v[8:9]
	v_mov_b32_e32 v50, 0
	v_mov_b32_e32 v51, 0
	s_waitcnt vmcnt(0) lgkmcnt(0)
	v_cmp_ne_u16_sdwa vcc, v30, v21 src0_sel:BYTE_0 src1_sel:DWORD
	s_and_saveexec_b64 s[28:29], vcc
	s_cbranch_execz .LBB323_400
; %bb.395:                              ;   in Loop: Header=BB323_10 Depth=1
	v_cmp_ne_u16_sdwa vcc, v30, s19 src0_sel:BYTE_0 src1_sel:DWORD
	v_bfrev_b32_e32 v51, 1
	s_and_saveexec_b64 s[30:31], vcc
	s_cbranch_execz .LBB323_399
; %bb.396:                              ;   in Loop: Header=BB323_10 Depth=1
	v_and_b32_e32 v0, 0x7f, v30
	v_cmp_ne_u32_e32 vcc, s37, v0
	v_mov_b32_e32 v51, 0x7fc02000
	s_and_saveexec_b64 s[34:35], vcc
	s_cbranch_execz .LBB323_398
; %bb.397:                              ;   in Loop: Header=BB323_10 Depth=1
	v_and_b32_e32 v3, 7, v30
	v_ffbh_u32_e32 v8, v3
	v_min_u32_e32 v13, 32, v8
	v_subrev_u32_e32 v8, 28, v13
	v_lshlrev_b64 v[8:9], v8, v[30:31]
	v_lshrrev_b32_e32 v12, 3, v0
	v_sub_u32_e32 v9, 29, v13
	v_cmp_gt_u32_e32 vcc, 8, v0
	v_and_b32_e32 v8, 7, v8
	v_cndmask_b32_e32 v0, v12, v9, vcc
	v_mov_b32_e32 v9, 0x2000
	v_cndmask_b32_e32 v3, v3, v8, vcc
	v_lshlrev_b32_e32 v8, 8, v30
	v_lshl_add_u32 v0, v0, 10, v9
	v_and_or_b32 v0, v8, s38, v0
	v_lshl_or_b32 v0, v3, 7, v0
	v_cvt_f32_f16_e32 v51, v0
.LBB323_398:                            ;   in Loop: Header=BB323_10 Depth=1
	s_or_b64 exec, exec, s[34:35]
.LBB323_399:                            ;   in Loop: Header=BB323_10 Depth=1
	s_or_b64 exec, exec, s[30:31]
.LBB323_400:                            ;   in Loop: Header=BB323_10 Depth=1
	s_or_b64 exec, exec, s[28:29]
	v_lshrrev_b16_e32 v32, 8, v30
	v_cmp_ne_u16_e32 vcc, 0, v32
	s_and_saveexec_b64 s[28:29], vcc
	s_cbranch_execz .LBB323_406
; %bb.401:                              ;   in Loop: Header=BB323_10 Depth=1
	v_cmp_ne_u16_e32 vcc, s19, v32
	v_bfrev_b32_e32 v50, 1
	s_and_saveexec_b64 s[30:31], vcc
	s_cbranch_execz .LBB323_405
; %bb.402:                              ;   in Loop: Header=BB323_10 Depth=1
	v_and_b32_e32 v0, 0x7f, v32
	v_cmp_ne_u32_e32 vcc, s37, v0
	v_mov_b32_e32 v50, 0x7fc02000
	s_and_saveexec_b64 s[34:35], vcc
	s_cbranch_execz .LBB323_404
; %bb.403:                              ;   in Loop: Header=BB323_10 Depth=1
	v_and_b32_e32 v3, 7, v32
	v_ffbh_u32_e32 v8, v3
	v_min_u32_e32 v13, 32, v8
	v_subrev_u32_e32 v8, 28, v13
	v_lshlrev_b64 v[8:9], v8, v[32:33]
	v_lshrrev_b32_e32 v12, 3, v0
	v_sub_u32_e32 v9, 29, v13
	v_cmp_gt_u32_e32 vcc, 8, v0
	v_and_b32_e32 v8, 7, v8
	v_cndmask_b32_e32 v0, v12, v9, vcc
	v_mov_b32_e32 v9, 0x2000
	v_cndmask_b32_e32 v3, v3, v8, vcc
	v_lshlrev_b32_e32 v8, 8, v32
	v_lshl_add_u32 v0, v0, 10, v9
	v_and_or_b32 v0, v8, s38, v0
	v_lshl_or_b32 v0, v3, 7, v0
	v_cvt_f32_f16_e32 v50, v0
.LBB323_404:                            ;   in Loop: Header=BB323_10 Depth=1
	s_or_b64 exec, exec, s[34:35]
.LBB323_405:                            ;   in Loop: Header=BB323_10 Depth=1
	s_or_b64 exec, exec, s[30:31]
.LBB323_406:                            ;   in Loop: Header=BB323_10 Depth=1
	s_or_b64 exec, exec, s[28:29]
	v_lshrrev_b32_e32 v32, 16, v30
	v_cmp_ne_u16_sdwa vcc, v32, v21 src0_sel:BYTE_0 src1_sel:DWORD
	v_mov_b32_e32 v52, 0
	v_mov_b32_e32 v17, 0
	s_and_saveexec_b64 s[28:29], vcc
	s_cbranch_execz .LBB323_412
; %bb.407:                              ;   in Loop: Header=BB323_10 Depth=1
	v_cmp_ne_u16_sdwa vcc, v32, s19 src0_sel:BYTE_0 src1_sel:DWORD
	v_bfrev_b32_e32 v17, 1
	s_and_saveexec_b64 s[30:31], vcc
	s_cbranch_execz .LBB323_411
; %bb.408:                              ;   in Loop: Header=BB323_10 Depth=1
	v_bfe_u32 v0, v30, 16, 7
	v_cmp_ne_u32_e32 vcc, s37, v0
	v_mov_b32_e32 v17, 0x7fc02000
	s_and_saveexec_b64 s[34:35], vcc
	s_cbranch_execz .LBB323_410
; %bb.409:                              ;   in Loop: Header=BB323_10 Depth=1
	v_and_b32_e32 v3, 7, v32
	v_ffbh_u32_e32 v8, v3
	v_min_u32_e32 v13, 32, v8
	v_subrev_u32_e32 v8, 28, v13
	v_lshlrev_b64 v[8:9], v8, v[32:33]
	v_lshrrev_b32_e32 v12, 3, v0
	v_sub_u32_e32 v9, 29, v13
	v_cmp_gt_u32_e32 vcc, 8, v0
	v_and_b32_e32 v8, 7, v8
	v_cndmask_b32_e32 v0, v12, v9, vcc
	v_mov_b32_e32 v9, 0x2000
	v_cndmask_b32_e32 v3, v3, v8, vcc
	v_lshlrev_b32_e32 v8, 8, v32
	v_lshl_add_u32 v0, v0, 10, v9
	v_and_or_b32 v0, v8, s38, v0
	v_lshl_or_b32 v0, v3, 7, v0
	v_cvt_f32_f16_e32 v17, v0
.LBB323_410:                            ;   in Loop: Header=BB323_10 Depth=1
	s_or_b64 exec, exec, s[34:35]
.LBB323_411:                            ;   in Loop: Header=BB323_10 Depth=1
	s_or_b64 exec, exec, s[30:31]
.LBB323_412:                            ;   in Loop: Header=BB323_10 Depth=1
	s_or_b64 exec, exec, s[28:29]
	v_cmp_lt_u32_e32 vcc, s39, v30
	s_and_saveexec_b64 s[28:29], vcc
	s_cbranch_execz .LBB323_418
; %bb.413:                              ;   in Loop: Header=BB323_10 Depth=1
	v_lshrrev_b32_e32 v30, 24, v30
	v_cmp_ne_u32_e32 vcc, s19, v30
	v_bfrev_b32_e32 v52, 1
	s_and_saveexec_b64 s[30:31], vcc
	s_cbranch_execz .LBB323_417
; %bb.414:                              ;   in Loop: Header=BB323_10 Depth=1
	v_and_b32_e32 v0, 0x7f, v30
	v_cmp_ne_u32_e32 vcc, s37, v0
	v_mov_b32_e32 v52, 0x7fc02000
	s_and_saveexec_b64 s[34:35], vcc
	s_cbranch_execz .LBB323_416
; %bb.415:                              ;   in Loop: Header=BB323_10 Depth=1
	v_and_b32_e32 v3, 7, v30
	v_ffbh_u32_e32 v8, v3
	v_min_u32_e32 v13, 32, v8
	v_subrev_u32_e32 v8, 28, v13
	v_lshlrev_b64 v[8:9], v8, v[30:31]
	v_lshrrev_b32_e32 v12, 3, v0
	v_sub_u32_e32 v9, 29, v13
	v_cmp_gt_u32_e32 vcc, 8, v0
	v_and_b32_e32 v8, 7, v8
	v_cndmask_b32_e32 v0, v12, v9, vcc
	v_mov_b32_e32 v9, 0x2000
	v_cndmask_b32_e32 v3, v3, v8, vcc
	v_lshlrev_b32_e32 v8, 8, v30
	v_lshl_add_u32 v0, v0, 10, v9
	v_and_or_b32 v0, v8, s38, v0
	v_lshl_or_b32 v0, v3, 7, v0
	v_cvt_f32_f16_e32 v52, v0
.LBB323_416:                            ;   in Loop: Header=BB323_10 Depth=1
	s_or_b64 exec, exec, s[34:35]
.LBB323_417:                            ;   in Loop: Header=BB323_10 Depth=1
	s_or_b64 exec, exec, s[30:31]
.LBB323_418:                            ;   in Loop: Header=BB323_10 Depth=1
	s_or_b64 exec, exec, s[28:29]
	v_add_co_u32_e32 v8, vcc, 0x1000, v28
	v_addc_co_u32_e32 v9, vcc, 0, v29, vcc
	flat_load_dword v30, v[8:9] offset:8
	v_mov_b32_e32 v56, 0
	v_mov_b32_e32 v31, 0
	s_waitcnt vmcnt(0) lgkmcnt(0)
	v_cmp_ne_u16_sdwa vcc, v30, v21 src0_sel:BYTE_0 src1_sel:DWORD
	s_and_saveexec_b64 s[28:29], vcc
	s_cbranch_execz .LBB323_424
; %bb.419:                              ;   in Loop: Header=BB323_10 Depth=1
	v_cmp_ne_u16_sdwa vcc, v30, s19 src0_sel:BYTE_0 src1_sel:DWORD
	v_bfrev_b32_e32 v31, 1
	s_and_saveexec_b64 s[30:31], vcc
	s_cbranch_execz .LBB323_423
; %bb.420:                              ;   in Loop: Header=BB323_10 Depth=1
	v_and_b32_e32 v0, 0x7f, v30
	v_cmp_ne_u32_e32 vcc, s37, v0
	v_mov_b32_e32 v31, 0x7fc02000
	s_and_saveexec_b64 s[34:35], vcc
	s_cbranch_execz .LBB323_422
; %bb.421:                              ;   in Loop: Header=BB323_10 Depth=1
	v_and_b32_e32 v3, 7, v30
	v_ffbh_u32_e32 v8, v3
	v_min_u32_e32 v13, 32, v8
	v_subrev_u32_e32 v8, 28, v13
	v_lshlrev_b64 v[8:9], v8, v[30:31]
	v_lshrrev_b32_e32 v12, 3, v0
	v_sub_u32_e32 v9, 29, v13
	v_cmp_gt_u32_e32 vcc, 8, v0
	v_and_b32_e32 v8, 7, v8
	v_cndmask_b32_e32 v0, v12, v9, vcc
	v_mov_b32_e32 v9, 0x2000
	v_cndmask_b32_e32 v3, v3, v8, vcc
	v_lshlrev_b32_e32 v8, 8, v30
	v_lshl_add_u32 v0, v0, 10, v9
	v_and_or_b32 v0, v8, s38, v0
	v_lshl_or_b32 v0, v3, 7, v0
	v_cvt_f32_f16_e32 v31, v0
.LBB323_422:                            ;   in Loop: Header=BB323_10 Depth=1
	s_or_b64 exec, exec, s[34:35]
.LBB323_423:                            ;   in Loop: Header=BB323_10 Depth=1
	s_or_b64 exec, exec, s[30:31]
.LBB323_424:                            ;   in Loop: Header=BB323_10 Depth=1
	s_or_b64 exec, exec, s[28:29]
	v_lshrrev_b16_e32 v32, 8, v30
	v_cmp_ne_u16_e32 vcc, 0, v32
	s_and_saveexec_b64 s[28:29], vcc
	s_cbranch_execz .LBB323_430
; %bb.425:                              ;   in Loop: Header=BB323_10 Depth=1
	v_cmp_ne_u16_e32 vcc, s19, v32
	v_bfrev_b32_e32 v56, 1
	s_and_saveexec_b64 s[30:31], vcc
	s_cbranch_execz .LBB323_429
; %bb.426:                              ;   in Loop: Header=BB323_10 Depth=1
	v_and_b32_e32 v0, 0x7f, v32
	v_cmp_ne_u32_e32 vcc, s37, v0
	v_mov_b32_e32 v56, 0x7fc02000
	s_and_saveexec_b64 s[34:35], vcc
	s_cbranch_execz .LBB323_428
; %bb.427:                              ;   in Loop: Header=BB323_10 Depth=1
	v_and_b32_e32 v3, 7, v32
	v_ffbh_u32_e32 v8, v3
	v_min_u32_e32 v13, 32, v8
	v_subrev_u32_e32 v8, 28, v13
	v_lshlrev_b64 v[8:9], v8, v[32:33]
	v_lshrrev_b32_e32 v12, 3, v0
	v_sub_u32_e32 v9, 29, v13
	v_cmp_gt_u32_e32 vcc, 8, v0
	v_and_b32_e32 v8, 7, v8
	v_cndmask_b32_e32 v0, v12, v9, vcc
	v_mov_b32_e32 v9, 0x2000
	v_cndmask_b32_e32 v3, v3, v8, vcc
	v_lshlrev_b32_e32 v8, 8, v32
	v_lshl_add_u32 v0, v0, 10, v9
	v_and_or_b32 v0, v8, s38, v0
	v_lshl_or_b32 v0, v3, 7, v0
	v_cvt_f32_f16_e32 v56, v0
.LBB323_428:                            ;   in Loop: Header=BB323_10 Depth=1
	s_or_b64 exec, exec, s[34:35]
.LBB323_429:                            ;   in Loop: Header=BB323_10 Depth=1
	s_or_b64 exec, exec, s[30:31]
.LBB323_430:                            ;   in Loop: Header=BB323_10 Depth=1
	s_or_b64 exec, exec, s[28:29]
	v_lshrrev_b32_e32 v32, 16, v30
	v_cmp_ne_u16_sdwa vcc, v32, v21 src0_sel:BYTE_0 src1_sel:DWORD
	v_mov_b32_e32 v0, 0
	v_mov_b32_e32 v57, 0
	s_and_saveexec_b64 s[28:29], vcc
	s_cbranch_execz .LBB323_436
; %bb.431:                              ;   in Loop: Header=BB323_10 Depth=1
	v_cmp_ne_u16_sdwa vcc, v32, s19 src0_sel:BYTE_0 src1_sel:DWORD
	v_bfrev_b32_e32 v57, 1
	s_and_saveexec_b64 s[30:31], vcc
	s_cbranch_execz .LBB323_435
; %bb.432:                              ;   in Loop: Header=BB323_10 Depth=1
	v_bfe_u32 v3, v30, 16, 7
	v_cmp_ne_u32_e32 vcc, s37, v3
	v_mov_b32_e32 v57, 0x7fc02000
	s_and_saveexec_b64 s[34:35], vcc
	s_cbranch_execz .LBB323_434
; %bb.433:                              ;   in Loop: Header=BB323_10 Depth=1
	v_and_b32_e32 v12, 7, v32
	v_ffbh_u32_e32 v8, v12
	v_min_u32_e32 v14, 32, v8
	v_subrev_u32_e32 v8, 28, v14
	v_lshlrev_b64 v[8:9], v8, v[32:33]
	v_lshrrev_b32_e32 v13, 3, v3
	v_sub_u32_e32 v9, 29, v14
	v_and_b32_e32 v8, 7, v8
	v_cmp_gt_u32_e32 vcc, 8, v3
	v_cndmask_b32_e32 v3, v13, v9, vcc
	v_cndmask_b32_e32 v8, v12, v8, vcc
	v_mov_b32_e32 v12, 0x2000
	v_lshlrev_b32_e32 v9, 8, v32
	v_lshl_add_u32 v3, v3, 10, v12
	v_and_or_b32 v3, v9, s38, v3
	v_lshl_or_b32 v3, v8, 7, v3
	v_cvt_f32_f16_e32 v57, v3
.LBB323_434:                            ;   in Loop: Header=BB323_10 Depth=1
	s_or_b64 exec, exec, s[34:35]
.LBB323_435:                            ;   in Loop: Header=BB323_10 Depth=1
	s_or_b64 exec, exec, s[30:31]
.LBB323_436:                            ;   in Loop: Header=BB323_10 Depth=1
	s_or_b64 exec, exec, s[28:29]
	v_cmp_lt_u32_e32 vcc, s39, v30
	s_and_saveexec_b64 s[28:29], vcc
	s_cbranch_execz .LBB323_442
; %bb.437:                              ;   in Loop: Header=BB323_10 Depth=1
	v_lshrrev_b32_e32 v30, 24, v30
	v_cmp_ne_u32_e32 vcc, s19, v30
	v_bfrev_b32_e32 v0, 1
	s_and_saveexec_b64 s[30:31], vcc
	s_cbranch_execz .LBB323_441
; %bb.438:                              ;   in Loop: Header=BB323_10 Depth=1
	v_and_b32_e32 v3, 0x7f, v30
	v_cmp_ne_u32_e32 vcc, s37, v3
	v_mov_b32_e32 v0, 0x7fc02000
	s_and_saveexec_b64 s[34:35], vcc
	s_cbranch_execz .LBB323_440
; %bb.439:                              ;   in Loop: Header=BB323_10 Depth=1
	v_and_b32_e32 v0, 7, v30
	v_ffbh_u32_e32 v8, v0
	v_min_u32_e32 v13, 32, v8
	v_subrev_u32_e32 v8, 28, v13
	v_lshlrev_b64 v[8:9], v8, v[30:31]
	v_lshrrev_b32_e32 v12, 3, v3
	v_sub_u32_e32 v9, 29, v13
	v_cmp_gt_u32_e32 vcc, 8, v3
	v_and_b32_e32 v8, 7, v8
	v_cndmask_b32_e32 v3, v12, v9, vcc
	v_mov_b32_e32 v9, 0x2000
	v_cndmask_b32_e32 v0, v0, v8, vcc
	v_lshlrev_b32_e32 v8, 8, v30
	v_lshl_add_u32 v3, v3, 10, v9
	v_and_or_b32 v3, v8, s38, v3
	v_lshl_or_b32 v0, v0, 7, v3
	v_cvt_f32_f16_e32 v0, v0
.LBB323_440:                            ;   in Loop: Header=BB323_10 Depth=1
	s_or_b64 exec, exec, s[34:35]
.LBB323_441:                            ;   in Loop: Header=BB323_10 Depth=1
	s_or_b64 exec, exec, s[30:31]
.LBB323_442:                            ;   in Loop: Header=BB323_10 Depth=1
	s_or_b64 exec, exec, s[28:29]
	v_add_co_u32_e32 v8, vcc, 0x1000, v28
	v_addc_co_u32_e32 v9, vcc, 0, v29, vcc
	flat_load_dword v30, v[8:9] offset:512
	v_mov_b32_e32 v24, 0
	v_mov_b32_e32 v22, 0
	s_waitcnt vmcnt(0) lgkmcnt(0)
	v_cmp_ne_u16_sdwa vcc, v30, v21 src0_sel:BYTE_0 src1_sel:DWORD
	s_and_saveexec_b64 s[28:29], vcc
	s_cbranch_execz .LBB323_448
; %bb.443:                              ;   in Loop: Header=BB323_10 Depth=1
	v_cmp_ne_u16_sdwa vcc, v30, s19 src0_sel:BYTE_0 src1_sel:DWORD
	v_bfrev_b32_e32 v22, 1
	s_and_saveexec_b64 s[30:31], vcc
	s_cbranch_execz .LBB323_447
; %bb.444:                              ;   in Loop: Header=BB323_10 Depth=1
	v_and_b32_e32 v3, 0x7f, v30
	v_cmp_ne_u32_e32 vcc, s37, v3
	v_mov_b32_e32 v22, 0x7fc02000
	s_and_saveexec_b64 s[34:35], vcc
	s_cbranch_execz .LBB323_446
; %bb.445:                              ;   in Loop: Header=BB323_10 Depth=1
	v_and_b32_e32 v12, 7, v30
	v_ffbh_u32_e32 v8, v12
	v_min_u32_e32 v14, 32, v8
	v_subrev_u32_e32 v8, 28, v14
	v_lshlrev_b64 v[8:9], v8, v[30:31]
	v_lshrrev_b32_e32 v13, 3, v3
	v_sub_u32_e32 v9, 29, v14
	v_and_b32_e32 v8, 7, v8
	v_cmp_gt_u32_e32 vcc, 8, v3
	v_cndmask_b32_e32 v3, v13, v9, vcc
	v_cndmask_b32_e32 v8, v12, v8, vcc
	v_mov_b32_e32 v12, 0x2000
	v_lshlrev_b32_e32 v9, 8, v30
	v_lshl_add_u32 v3, v3, 10, v12
	v_and_or_b32 v3, v9, s38, v3
	v_lshl_or_b32 v3, v8, 7, v3
	v_cvt_f32_f16_e32 v22, v3
.LBB323_446:                            ;   in Loop: Header=BB323_10 Depth=1
	s_or_b64 exec, exec, s[34:35]
.LBB323_447:                            ;   in Loop: Header=BB323_10 Depth=1
	s_or_b64 exec, exec, s[30:31]
.LBB323_448:                            ;   in Loop: Header=BB323_10 Depth=1
	s_or_b64 exec, exec, s[28:29]
	v_lshrrev_b16_e32 v32, 8, v30
	v_cmp_ne_u16_e32 vcc, 0, v32
	s_and_saveexec_b64 s[28:29], vcc
	s_cbranch_execz .LBB323_454
; %bb.449:                              ;   in Loop: Header=BB323_10 Depth=1
	v_cmp_ne_u16_e32 vcc, s19, v32
	v_bfrev_b32_e32 v24, 1
	s_and_saveexec_b64 s[30:31], vcc
	s_cbranch_execz .LBB323_453
; %bb.450:                              ;   in Loop: Header=BB323_10 Depth=1
	v_and_b32_e32 v3, 0x7f, v32
	v_cmp_ne_u32_e32 vcc, s37, v3
	v_mov_b32_e32 v24, 0x7fc02000
	s_and_saveexec_b64 s[34:35], vcc
	s_cbranch_execz .LBB323_452
; %bb.451:                              ;   in Loop: Header=BB323_10 Depth=1
	v_and_b32_e32 v12, 7, v32
	v_lshrrev_b32_e32 v13, 3, v3
	v_cmp_gt_u32_e32 vcc, 8, v3
	v_ffbh_u32_e32 v3, v12
	v_min_u32_e32 v3, 32, v3
	v_subrev_u32_e32 v8, 28, v3
	v_lshlrev_b64 v[8:9], v8, v[32:33]
	v_sub_u32_e32 v3, 29, v3
	v_and_b32_e32 v8, 7, v8
	v_cndmask_b32_e32 v3, v13, v3, vcc
	v_cndmask_b32_e32 v8, v12, v8, vcc
	v_mov_b32_e32 v12, 0x2000
	v_lshlrev_b32_e32 v9, 8, v32
	v_lshl_add_u32 v3, v3, 10, v12
	v_and_or_b32 v3, v9, s38, v3
	v_lshl_or_b32 v3, v8, 7, v3
	v_cvt_f32_f16_e32 v24, v3
.LBB323_452:                            ;   in Loop: Header=BB323_10 Depth=1
	s_or_b64 exec, exec, s[34:35]
.LBB323_453:                            ;   in Loop: Header=BB323_10 Depth=1
	s_or_b64 exec, exec, s[30:31]
.LBB323_454:                            ;   in Loop: Header=BB323_10 Depth=1
	s_or_b64 exec, exec, s[28:29]
	v_lshrrev_b32_e32 v32, 16, v30
	v_cmp_ne_u16_sdwa vcc, v32, v21 src0_sel:BYTE_0 src1_sel:DWORD
	v_mov_b32_e32 v25, 0
	v_mov_b32_e32 v35, 0
	s_and_saveexec_b64 s[28:29], vcc
	s_cbranch_execz .LBB323_460
; %bb.455:                              ;   in Loop: Header=BB323_10 Depth=1
	v_cmp_ne_u16_sdwa vcc, v32, s19 src0_sel:BYTE_0 src1_sel:DWORD
	v_bfrev_b32_e32 v35, 1
	s_and_saveexec_b64 s[30:31], vcc
	s_cbranch_execz .LBB323_459
; %bb.456:                              ;   in Loop: Header=BB323_10 Depth=1
	v_bfe_u32 v3, v30, 16, 7
	v_cmp_ne_u32_e32 vcc, s37, v3
	v_mov_b32_e32 v35, 0x7fc02000
	s_and_saveexec_b64 s[34:35], vcc
	s_cbranch_execz .LBB323_458
; %bb.457:                              ;   in Loop: Header=BB323_10 Depth=1
	v_and_b32_e32 v12, 7, v32
	v_lshrrev_b32_e32 v13, 3, v3
	v_cmp_gt_u32_e32 vcc, 8, v3
	v_ffbh_u32_e32 v3, v12
	v_min_u32_e32 v3, 32, v3
	v_subrev_u32_e32 v8, 28, v3
	v_lshlrev_b64 v[8:9], v8, v[32:33]
	v_sub_u32_e32 v3, 29, v3
	v_and_b32_e32 v8, 7, v8
	v_cndmask_b32_e32 v3, v13, v3, vcc
	v_cndmask_b32_e32 v8, v12, v8, vcc
	v_mov_b32_e32 v12, 0x2000
	v_lshlrev_b32_e32 v9, 8, v32
	v_lshl_add_u32 v3, v3, 10, v12
	v_and_or_b32 v3, v9, s38, v3
	v_lshl_or_b32 v3, v8, 7, v3
	v_cvt_f32_f16_e32 v35, v3
.LBB323_458:                            ;   in Loop: Header=BB323_10 Depth=1
	s_or_b64 exec, exec, s[34:35]
.LBB323_459:                            ;   in Loop: Header=BB323_10 Depth=1
	s_or_b64 exec, exec, s[30:31]
.LBB323_460:                            ;   in Loop: Header=BB323_10 Depth=1
	s_or_b64 exec, exec, s[28:29]
	v_cmp_lt_u32_e32 vcc, s39, v30
	s_and_saveexec_b64 s[28:29], vcc
	s_cbranch_execz .LBB323_466
; %bb.461:                              ;   in Loop: Header=BB323_10 Depth=1
	v_lshrrev_b32_e32 v30, 24, v30
	v_cmp_ne_u32_e32 vcc, s19, v30
	v_bfrev_b32_e32 v25, 1
	s_and_saveexec_b64 s[30:31], vcc
	s_cbranch_execz .LBB323_465
; %bb.462:                              ;   in Loop: Header=BB323_10 Depth=1
	v_and_b32_e32 v3, 0x7f, v30
	v_cmp_ne_u32_e32 vcc, s37, v3
	v_mov_b32_e32 v25, 0x7fc02000
	s_and_saveexec_b64 s[34:35], vcc
	s_cbranch_execz .LBB323_464
; %bb.463:                              ;   in Loop: Header=BB323_10 Depth=1
	v_and_b32_e32 v12, 7, v30
	v_lshrrev_b32_e32 v13, 3, v3
	v_cmp_gt_u32_e32 vcc, 8, v3
	v_ffbh_u32_e32 v3, v12
	v_min_u32_e32 v3, 32, v3
	v_subrev_u32_e32 v8, 28, v3
	v_lshlrev_b64 v[8:9], v8, v[30:31]
	v_sub_u32_e32 v3, 29, v3
	v_and_b32_e32 v8, 7, v8
	v_cndmask_b32_e32 v3, v13, v3, vcc
	v_cndmask_b32_e32 v8, v12, v8, vcc
	v_mov_b32_e32 v12, 0x2000
	v_lshlrev_b32_e32 v9, 8, v30
	v_lshl_add_u32 v3, v3, 10, v12
	v_and_or_b32 v3, v9, s38, v3
	v_lshl_or_b32 v3, v8, 7, v3
	v_cvt_f32_f16_e32 v25, v3
.LBB323_464:                            ;   in Loop: Header=BB323_10 Depth=1
	s_or_b64 exec, exec, s[34:35]
.LBB323_465:                            ;   in Loop: Header=BB323_10 Depth=1
	s_or_b64 exec, exec, s[30:31]
.LBB323_466:                            ;   in Loop: Header=BB323_10 Depth=1
	s_or_b64 exec, exec, s[28:29]
	v_add_co_u32_e32 v8, vcc, 0x1200, v28
	v_addc_co_u32_e32 v9, vcc, 0, v29, vcc
	flat_load_dword v30, v[8:9] offset:8
	v_mov_b32_e32 v8, 0
	v_mov_b32_e32 v9, 0
	s_waitcnt vmcnt(0) lgkmcnt(0)
	v_cmp_ne_u16_sdwa vcc, v30, v21 src0_sel:BYTE_0 src1_sel:DWORD
	s_and_saveexec_b64 s[28:29], vcc
	s_cbranch_execz .LBB323_472
; %bb.467:                              ;   in Loop: Header=BB323_10 Depth=1
	v_cmp_ne_u16_sdwa vcc, v30, s19 src0_sel:BYTE_0 src1_sel:DWORD
	v_bfrev_b32_e32 v9, 1
	s_and_saveexec_b64 s[30:31], vcc
	s_cbranch_execz .LBB323_471
; %bb.468:                              ;   in Loop: Header=BB323_10 Depth=1
	v_and_b32_e32 v3, 0x7f, v30
	v_cmp_ne_u32_e32 vcc, s37, v3
	v_mov_b32_e32 v9, 0x7fc02000
	s_and_saveexec_b64 s[34:35], vcc
	s_cbranch_execz .LBB323_470
; %bb.469:                              ;   in Loop: Header=BB323_10 Depth=1
	v_and_b32_e32 v9, 7, v30
	v_lshrrev_b32_e32 v14, 3, v3
	v_cmp_gt_u32_e32 vcc, 8, v3
	v_ffbh_u32_e32 v3, v9
	v_min_u32_e32 v3, 32, v3
	v_subrev_u32_e32 v12, 28, v3
	v_lshlrev_b64 v[12:13], v12, v[30:31]
	v_sub_u32_e32 v3, 29, v3
	v_and_b32_e32 v12, 7, v12
	v_cndmask_b32_e32 v3, v14, v3, vcc
	v_mov_b32_e32 v13, 0x2000
	v_cndmask_b32_e32 v9, v9, v12, vcc
	v_lshlrev_b32_e32 v12, 8, v30
	v_lshl_add_u32 v3, v3, 10, v13
	v_and_or_b32 v3, v12, s38, v3
	v_lshl_or_b32 v3, v9, 7, v3
	v_cvt_f32_f16_e32 v9, v3
.LBB323_470:                            ;   in Loop: Header=BB323_10 Depth=1
	s_or_b64 exec, exec, s[34:35]
.LBB323_471:                            ;   in Loop: Header=BB323_10 Depth=1
	s_or_b64 exec, exec, s[30:31]
.LBB323_472:                            ;   in Loop: Header=BB323_10 Depth=1
	s_or_b64 exec, exec, s[28:29]
	v_lshrrev_b16_e32 v32, 8, v30
	v_cmp_ne_u16_e32 vcc, 0, v32
	s_and_saveexec_b64 s[28:29], vcc
	s_cbranch_execz .LBB323_478
; %bb.473:                              ;   in Loop: Header=BB323_10 Depth=1
	v_cmp_ne_u16_e32 vcc, s19, v32
	v_bfrev_b32_e32 v8, 1
	s_and_saveexec_b64 s[30:31], vcc
	s_cbranch_execz .LBB323_477
; %bb.474:                              ;   in Loop: Header=BB323_10 Depth=1
	v_and_b32_e32 v3, 0x7f, v32
	v_cmp_ne_u32_e32 vcc, s37, v3
	v_mov_b32_e32 v8, 0x7fc02000
	s_and_saveexec_b64 s[34:35], vcc
	s_cbranch_execz .LBB323_476
; %bb.475:                              ;   in Loop: Header=BB323_10 Depth=1
	v_and_b32_e32 v8, 7, v32
	v_lshrrev_b32_e32 v14, 3, v3
	v_cmp_gt_u32_e32 vcc, 8, v3
	v_ffbh_u32_e32 v3, v8
	v_min_u32_e32 v3, 32, v3
	v_subrev_u32_e32 v12, 28, v3
	v_lshlrev_b64 v[12:13], v12, v[32:33]
	v_sub_u32_e32 v3, 29, v3
	v_and_b32_e32 v12, 7, v12
	v_cndmask_b32_e32 v3, v14, v3, vcc
	v_mov_b32_e32 v13, 0x2000
	v_cndmask_b32_e32 v8, v8, v12, vcc
	v_lshlrev_b32_e32 v12, 8, v32
	v_lshl_add_u32 v3, v3, 10, v13
	v_and_or_b32 v3, v12, s38, v3
	v_lshl_or_b32 v3, v8, 7, v3
	v_cvt_f32_f16_e32 v8, v3
.LBB323_476:                            ;   in Loop: Header=BB323_10 Depth=1
	s_or_b64 exec, exec, s[34:35]
.LBB323_477:                            ;   in Loop: Header=BB323_10 Depth=1
	s_or_b64 exec, exec, s[30:31]
.LBB323_478:                            ;   in Loop: Header=BB323_10 Depth=1
	s_or_b64 exec, exec, s[28:29]
	v_lshrrev_b32_e32 v32, 16, v30
	v_cmp_ne_u16_sdwa vcc, v32, v21 src0_sel:BYTE_0 src1_sel:DWORD
	v_mov_b32_e32 v26, 0
	v_mov_b32_e32 v13, 0
	s_and_saveexec_b64 s[28:29], vcc
	s_cbranch_execz .LBB323_484
; %bb.479:                              ;   in Loop: Header=BB323_10 Depth=1
	v_cmp_ne_u16_sdwa vcc, v32, s19 src0_sel:BYTE_0 src1_sel:DWORD
	v_bfrev_b32_e32 v13, 1
	s_and_saveexec_b64 s[30:31], vcc
	s_cbranch_execz .LBB323_483
; %bb.480:                              ;   in Loop: Header=BB323_10 Depth=1
	v_bfe_u32 v3, v30, 16, 7
	v_cmp_ne_u32_e32 vcc, s37, v3
	v_mov_b32_e32 v13, 0x7fc02000
	s_and_saveexec_b64 s[34:35], vcc
	s_cbranch_execz .LBB323_482
; %bb.481:                              ;   in Loop: Header=BB323_10 Depth=1
	v_and_b32_e32 v14, 7, v32
	v_lshrrev_b32_e32 v15, 3, v3
	v_cmp_gt_u32_e32 vcc, 8, v3
	v_ffbh_u32_e32 v3, v14
	v_min_u32_e32 v3, 32, v3
	v_subrev_u32_e32 v12, 28, v3
	v_lshlrev_b64 v[12:13], v12, v[32:33]
	v_sub_u32_e32 v3, 29, v3
	v_and_b32_e32 v12, 7, v12
	v_cndmask_b32_e32 v3, v15, v3, vcc
	v_cndmask_b32_e32 v12, v14, v12, vcc
	v_mov_b32_e32 v14, 0x2000
	v_lshlrev_b32_e32 v13, 8, v32
	v_lshl_add_u32 v3, v3, 10, v14
	v_and_or_b32 v3, v13, s38, v3
	v_lshl_or_b32 v3, v12, 7, v3
	v_cvt_f32_f16_e32 v13, v3
.LBB323_482:                            ;   in Loop: Header=BB323_10 Depth=1
	s_or_b64 exec, exec, s[34:35]
.LBB323_483:                            ;   in Loop: Header=BB323_10 Depth=1
	s_or_b64 exec, exec, s[30:31]
.LBB323_484:                            ;   in Loop: Header=BB323_10 Depth=1
	s_or_b64 exec, exec, s[28:29]
	v_cmp_lt_u32_e32 vcc, s39, v30
	s_and_saveexec_b64 s[28:29], vcc
	s_cbranch_execz .LBB323_490
; %bb.485:                              ;   in Loop: Header=BB323_10 Depth=1
	v_lshrrev_b32_e32 v30, 24, v30
	v_cmp_ne_u32_e32 vcc, s19, v30
	v_bfrev_b32_e32 v26, 1
	s_and_saveexec_b64 s[30:31], vcc
	s_cbranch_execz .LBB323_489
; %bb.486:                              ;   in Loop: Header=BB323_10 Depth=1
	v_and_b32_e32 v3, 0x7f, v30
	v_cmp_ne_u32_e32 vcc, s37, v3
	v_mov_b32_e32 v26, 0x7fc02000
	s_and_saveexec_b64 s[34:35], vcc
	s_cbranch_execz .LBB323_488
; %bb.487:                              ;   in Loop: Header=BB323_10 Depth=1
	v_and_b32_e32 v12, 7, v30
	v_lshrrev_b32_e32 v26, 3, v3
	v_cmp_gt_u32_e32 vcc, 8, v3
	v_ffbh_u32_e32 v3, v12
	v_min_u32_e32 v3, 32, v3
	v_subrev_u32_e32 v14, 28, v3
	v_lshlrev_b64 v[14:15], v14, v[30:31]
	v_sub_u32_e32 v3, 29, v3
	v_and_b32_e32 v14, 7, v14
	v_cndmask_b32_e32 v3, v26, v3, vcc
	v_mov_b32_e32 v15, 0x2000
	v_cndmask_b32_e32 v12, v12, v14, vcc
	v_lshlrev_b32_e32 v14, 8, v30
	v_lshl_add_u32 v3, v3, 10, v15
	v_and_or_b32 v3, v14, s38, v3
	v_lshl_or_b32 v3, v12, 7, v3
	v_cvt_f32_f16_e32 v26, v3
.LBB323_488:                            ;   in Loop: Header=BB323_10 Depth=1
	s_or_b64 exec, exec, s[34:35]
.LBB323_489:                            ;   in Loop: Header=BB323_10 Depth=1
	s_or_b64 exec, exec, s[30:31]
.LBB323_490:                            ;   in Loop: Header=BB323_10 Depth=1
	s_or_b64 exec, exec, s[28:29]
	v_add_co_u32_e32 v14, vcc, 0x1000, v28
	v_addc_co_u32_e32 v15, vcc, 0, v29, vcc
	flat_load_dword v30, v[14:15] offset:1024
	v_mov_b32_e32 v12, 0
	v_mov_b32_e32 v14, 0
	s_waitcnt vmcnt(0) lgkmcnt(0)
	v_cmp_ne_u16_sdwa vcc, v30, v21 src0_sel:BYTE_0 src1_sel:DWORD
	s_and_saveexec_b64 s[28:29], vcc
	s_cbranch_execz .LBB323_496
; %bb.491:                              ;   in Loop: Header=BB323_10 Depth=1
	v_cmp_ne_u16_sdwa vcc, v30, s19 src0_sel:BYTE_0 src1_sel:DWORD
	v_bfrev_b32_e32 v14, 1
	s_and_saveexec_b64 s[30:31], vcc
	s_cbranch_execz .LBB323_495
; %bb.492:                              ;   in Loop: Header=BB323_10 Depth=1
	v_and_b32_e32 v3, 0x7f, v30
	v_cmp_ne_u32_e32 vcc, s37, v3
	v_mov_b32_e32 v14, 0x7fc02000
	s_and_saveexec_b64 s[34:35], vcc
	s_cbranch_execz .LBB323_494
; %bb.493:                              ;   in Loop: Header=BB323_10 Depth=1
	v_and_b32_e32 v27, 7, v30
	v_lshrrev_b32_e32 v32, 3, v3
	v_cmp_gt_u32_e32 vcc, 8, v3
	v_ffbh_u32_e32 v3, v27
	v_min_u32_e32 v3, 32, v3
	v_subrev_u32_e32 v14, 28, v3
	v_lshlrev_b64 v[14:15], v14, v[30:31]
	v_sub_u32_e32 v3, 29, v3
	v_and_b32_e32 v14, 7, v14
	v_cndmask_b32_e32 v3, v32, v3, vcc
	v_cndmask_b32_e32 v14, v27, v14, vcc
	v_mov_b32_e32 v27, 0x2000
	v_lshlrev_b32_e32 v15, 8, v30
	v_lshl_add_u32 v3, v3, 10, v27
	v_and_or_b32 v3, v15, s38, v3
	v_lshl_or_b32 v3, v14, 7, v3
	v_cvt_f32_f16_e32 v14, v3
.LBB323_494:                            ;   in Loop: Header=BB323_10 Depth=1
	s_or_b64 exec, exec, s[34:35]
.LBB323_495:                            ;   in Loop: Header=BB323_10 Depth=1
	s_or_b64 exec, exec, s[30:31]
.LBB323_496:                            ;   in Loop: Header=BB323_10 Depth=1
	s_or_b64 exec, exec, s[28:29]
	v_lshrrev_b16_e32 v32, 8, v30
	v_cmp_ne_u16_e32 vcc, 0, v32
	s_and_saveexec_b64 s[28:29], vcc
	s_cbranch_execz .LBB323_502
; %bb.497:                              ;   in Loop: Header=BB323_10 Depth=1
	v_cmp_ne_u16_e32 vcc, s19, v32
	v_bfrev_b32_e32 v12, 1
	s_and_saveexec_b64 s[30:31], vcc
	s_cbranch_execz .LBB323_501
; %bb.498:                              ;   in Loop: Header=BB323_10 Depth=1
	v_and_b32_e32 v3, 0x7f, v32
	v_cmp_ne_u32_e32 vcc, s37, v3
	v_mov_b32_e32 v12, 0x7fc02000
	s_and_saveexec_b64 s[34:35], vcc
	s_cbranch_execz .LBB323_500
; %bb.499:                              ;   in Loop: Header=BB323_10 Depth=1
	v_and_b32_e32 v12, 7, v32
	v_lshrrev_b32_e32 v15, 3, v3
	v_cmp_gt_u32_e32 vcc, 8, v3
	v_ffbh_u32_e32 v3, v12
	v_min_u32_e32 v3, 32, v3
	v_subrev_u32_e32 v27, 28, v3
	v_lshlrev_b64 v[40:41], v27, v[32:33]
	v_sub_u32_e32 v3, 29, v3
	v_and_b32_e32 v27, 7, v40
	v_cndmask_b32_e32 v3, v15, v3, vcc
	v_cndmask_b32_e32 v12, v12, v27, vcc
	v_mov_b32_e32 v27, 0x2000
	v_lshlrev_b32_e32 v15, 8, v32
	v_lshl_add_u32 v3, v3, 10, v27
	v_and_or_b32 v3, v15, s38, v3
	v_lshl_or_b32 v3, v12, 7, v3
	v_cvt_f32_f16_e32 v12, v3
.LBB323_500:                            ;   in Loop: Header=BB323_10 Depth=1
	s_or_b64 exec, exec, s[34:35]
.LBB323_501:                            ;   in Loop: Header=BB323_10 Depth=1
	s_or_b64 exec, exec, s[30:31]
.LBB323_502:                            ;   in Loop: Header=BB323_10 Depth=1
	s_or_b64 exec, exec, s[28:29]
	v_lshrrev_b32_e32 v32, 16, v30
	v_cmp_ne_u16_sdwa vcc, v32, v21 src0_sel:BYTE_0 src1_sel:DWORD
	v_mov_b32_e32 v3, 0
	v_mov_b32_e32 v15, 0
	s_and_saveexec_b64 s[28:29], vcc
	s_cbranch_execz .LBB323_508
; %bb.503:                              ;   in Loop: Header=BB323_10 Depth=1
	v_cmp_ne_u16_sdwa vcc, v32, s19 src0_sel:BYTE_0 src1_sel:DWORD
	v_bfrev_b32_e32 v15, 1
	s_and_saveexec_b64 s[30:31], vcc
	s_cbranch_execz .LBB323_507
; %bb.504:                              ;   in Loop: Header=BB323_10 Depth=1
	v_bfe_u32 v27, v30, 16, 7
	v_cmp_ne_u32_e32 vcc, s37, v27
	v_mov_b32_e32 v15, 0x7fc02000
	s_and_saveexec_b64 s[34:35], vcc
	s_cbranch_execz .LBB323_506
; %bb.505:                              ;   in Loop: Header=BB323_10 Depth=1
	v_and_b32_e32 v15, 7, v32
	v_lshrrev_b32_e32 v37, 3, v27
	v_cmp_gt_u32_e32 vcc, 8, v27
	v_ffbh_u32_e32 v27, v15
	v_min_u32_e32 v27, 32, v27
	v_subrev_u32_e32 v39, 28, v27
	v_sub_u32_e32 v27, 29, v27
	v_lshlrev_b64 v[40:41], v39, v[32:33]
	v_cndmask_b32_e32 v27, v37, v27, vcc
	v_mov_b32_e32 v37, 0x2000
	v_and_b32_e32 v39, 7, v40
	v_lshlrev_b32_e32 v32, 8, v32
	v_lshl_add_u32 v27, v27, 10, v37
	v_cndmask_b32_e32 v15, v15, v39, vcc
	v_and_or_b32 v27, v32, s38, v27
	v_lshl_or_b32 v15, v15, 7, v27
	v_cvt_f32_f16_e32 v15, v15
.LBB323_506:                            ;   in Loop: Header=BB323_10 Depth=1
	s_or_b64 exec, exec, s[34:35]
.LBB323_507:                            ;   in Loop: Header=BB323_10 Depth=1
	s_or_b64 exec, exec, s[30:31]
.LBB323_508:                            ;   in Loop: Header=BB323_10 Depth=1
	s_or_b64 exec, exec, s[28:29]
	v_cmp_lt_u32_e32 vcc, s39, v30
	s_and_saveexec_b64 s[28:29], vcc
	s_cbranch_execz .LBB323_514
; %bb.509:                              ;   in Loop: Header=BB323_10 Depth=1
	v_lshrrev_b32_e32 v30, 24, v30
	v_cmp_ne_u32_e32 vcc, s19, v30
	v_bfrev_b32_e32 v3, 1
	s_and_saveexec_b64 s[30:31], vcc
	s_cbranch_execz .LBB323_513
; %bb.510:                              ;   in Loop: Header=BB323_10 Depth=1
	v_and_b32_e32 v27, 0x7f, v30
	v_cmp_ne_u32_e32 vcc, s37, v27
	v_mov_b32_e32 v3, 0x7fc02000
	s_and_saveexec_b64 s[34:35], vcc
	s_cbranch_execz .LBB323_512
; %bb.511:                              ;   in Loop: Header=BB323_10 Depth=1
	v_and_b32_e32 v3, 7, v30
	v_lshrrev_b32_e32 v32, 3, v27
	v_cmp_gt_u32_e32 vcc, 8, v27
	v_ffbh_u32_e32 v27, v3
	v_min_u32_e32 v27, 32, v27
	v_subrev_u32_e32 v37, 28, v27
	v_sub_u32_e32 v27, 29, v27
	v_lshlrev_b64 v[40:41], v37, v[30:31]
	v_cndmask_b32_e32 v27, v32, v27, vcc
	v_mov_b32_e32 v32, 0x2000
	v_and_b32_e32 v37, 7, v40
	v_lshlrev_b32_e32 v30, 8, v30
	v_lshl_add_u32 v27, v27, 10, v32
	v_cndmask_b32_e32 v3, v3, v37, vcc
	v_and_or_b32 v27, v30, s38, v27
	v_lshl_or_b32 v3, v3, 7, v27
	v_cvt_f32_f16_e32 v3, v3
.LBB323_512:                            ;   in Loop: Header=BB323_10 Depth=1
	s_or_b64 exec, exec, s[34:35]
.LBB323_513:                            ;   in Loop: Header=BB323_10 Depth=1
	s_or_b64 exec, exec, s[30:31]
.LBB323_514:                            ;   in Loop: Header=BB323_10 Depth=1
	s_or_b64 exec, exec, s[28:29]
	v_add_co_u32_e32 v40, vcc, 0x1400, v28
	v_addc_co_u32_e32 v41, vcc, 0, v29, vcc
	flat_load_dword v30, v[40:41] offset:8
	v_mov_b32_e32 v37, 0
	v_mov_b32_e32 v39, 0
	s_waitcnt vmcnt(0) lgkmcnt(0)
	v_cmp_ne_u16_sdwa vcc, v30, v21 src0_sel:BYTE_0 src1_sel:DWORD
	s_and_saveexec_b64 s[28:29], vcc
	s_cbranch_execz .LBB323_520
; %bb.515:                              ;   in Loop: Header=BB323_10 Depth=1
	v_cmp_ne_u16_sdwa vcc, v30, s19 src0_sel:BYTE_0 src1_sel:DWORD
	v_bfrev_b32_e32 v39, 1
	s_and_saveexec_b64 s[30:31], vcc
	s_cbranch_execz .LBB323_519
; %bb.516:                              ;   in Loop: Header=BB323_10 Depth=1
	v_and_b32_e32 v27, 0x7f, v30
	v_cmp_ne_u32_e32 vcc, s37, v27
	v_mov_b32_e32 v39, 0x7fc02000
	s_and_saveexec_b64 s[34:35], vcc
	s_cbranch_execz .LBB323_518
; %bb.517:                              ;   in Loop: Header=BB323_10 Depth=1
	v_and_b32_e32 v32, 7, v30
	v_lshrrev_b32_e32 v39, 3, v27
	v_cmp_gt_u32_e32 vcc, 8, v27
	v_ffbh_u32_e32 v27, v32
	v_min_u32_e32 v27, 32, v27
	v_subrev_u32_e32 v49, 28, v27
	v_lshlrev_b64 v[40:41], v49, v[30:31]
	v_sub_u32_e32 v27, 29, v27
	v_and_b32_e32 v49, 7, v40
	v_cndmask_b32_e32 v27, v39, v27, vcc
	v_cndmask_b32_e32 v32, v32, v49, vcc
	v_mov_b32_e32 v49, 0x2000
	v_lshlrev_b32_e32 v39, 8, v30
	v_lshl_add_u32 v27, v27, 10, v49
	v_and_or_b32 v27, v39, s38, v27
	v_lshl_or_b32 v27, v32, 7, v27
	v_cvt_f32_f16_e32 v39, v27
.LBB323_518:                            ;   in Loop: Header=BB323_10 Depth=1
	s_or_b64 exec, exec, s[34:35]
.LBB323_519:                            ;   in Loop: Header=BB323_10 Depth=1
	s_or_b64 exec, exec, s[30:31]
.LBB323_520:                            ;   in Loop: Header=BB323_10 Depth=1
	s_or_b64 exec, exec, s[28:29]
	v_lshrrev_b16_e32 v32, 8, v30
	v_cmp_ne_u16_e32 vcc, 0, v32
	s_and_saveexec_b64 s[28:29], vcc
	s_cbranch_execz .LBB323_526
; %bb.521:                              ;   in Loop: Header=BB323_10 Depth=1
	v_cmp_ne_u16_e32 vcc, s19, v32
	v_bfrev_b32_e32 v37, 1
	s_and_saveexec_b64 s[30:31], vcc
	s_cbranch_execz .LBB323_525
; %bb.522:                              ;   in Loop: Header=BB323_10 Depth=1
	v_and_b32_e32 v27, 0x7f, v32
	v_cmp_ne_u32_e32 vcc, s37, v27
	v_mov_b32_e32 v37, 0x7fc02000
	s_and_saveexec_b64 s[34:35], vcc
	s_cbranch_execz .LBB323_524
; %bb.523:                              ;   in Loop: Header=BB323_10 Depth=1
	v_and_b32_e32 v37, 7, v32
	v_lshrrev_b32_e32 v49, 3, v27
	v_cmp_gt_u32_e32 vcc, 8, v27
	v_ffbh_u32_e32 v27, v37
	v_min_u32_e32 v27, 32, v27
	v_subrev_u32_e32 v53, 28, v27
	v_sub_u32_e32 v27, 29, v27
	v_lshlrev_b64 v[40:41], v53, v[32:33]
	v_cndmask_b32_e32 v27, v49, v27, vcc
	v_mov_b32_e32 v49, 0x2000
	v_and_b32_e32 v53, 7, v40
	v_lshlrev_b32_e32 v32, 8, v32
	v_lshl_add_u32 v27, v27, 10, v49
	v_cndmask_b32_e32 v37, v37, v53, vcc
	v_and_or_b32 v27, v32, s38, v27
	v_lshl_or_b32 v27, v37, 7, v27
	v_cvt_f32_f16_e32 v37, v27
.LBB323_524:                            ;   in Loop: Header=BB323_10 Depth=1
	s_or_b64 exec, exec, s[34:35]
.LBB323_525:                            ;   in Loop: Header=BB323_10 Depth=1
	s_or_b64 exec, exec, s[30:31]
.LBB323_526:                            ;   in Loop: Header=BB323_10 Depth=1
	s_or_b64 exec, exec, s[28:29]
	v_lshrrev_b32_e32 v32, 16, v30
	v_cmp_ne_u16_sdwa vcc, v32, v21 src0_sel:BYTE_0 src1_sel:DWORD
	v_mov_b32_e32 v53, 0
	v_mov_b32_e32 v54, 0
	s_and_saveexec_b64 s[28:29], vcc
	s_cbranch_execz .LBB323_532
; %bb.527:                              ;   in Loop: Header=BB323_10 Depth=1
	v_cmp_ne_u16_sdwa vcc, v32, s19 src0_sel:BYTE_0 src1_sel:DWORD
	v_bfrev_b32_e32 v54, 1
	s_and_saveexec_b64 s[30:31], vcc
	s_cbranch_execz .LBB323_531
; %bb.528:                              ;   in Loop: Header=BB323_10 Depth=1
	v_bfe_u32 v27, v30, 16, 7
	v_cmp_ne_u32_e32 vcc, s37, v27
	v_mov_b32_e32 v54, 0x7fc02000
	s_and_saveexec_b64 s[34:35], vcc
	s_cbranch_execz .LBB323_530
; %bb.529:                              ;   in Loop: Header=BB323_10 Depth=1
	v_and_b32_e32 v49, 7, v32
	v_lshrrev_b32_e32 v54, 3, v27
	v_cmp_gt_u32_e32 vcc, 8, v27
	v_ffbh_u32_e32 v27, v49
	v_min_u32_e32 v27, 32, v27
	v_subrev_u32_e32 v40, 28, v27
	v_sub_u32_e32 v27, 29, v27
	v_lshlrev_b64 v[40:41], v40, v[32:33]
	v_cndmask_b32_e32 v27, v54, v27, vcc
	v_mov_b32_e32 v54, 0x2000
	v_and_b32_e32 v40, 7, v40
	v_lshlrev_b32_e32 v32, 8, v32
	v_lshl_add_u32 v27, v27, 10, v54
	v_cndmask_b32_e32 v49, v49, v40, vcc
	v_and_or_b32 v27, v32, s38, v27
	v_lshl_or_b32 v27, v49, 7, v27
	v_cvt_f32_f16_e32 v54, v27
.LBB323_530:                            ;   in Loop: Header=BB323_10 Depth=1
	s_or_b64 exec, exec, s[34:35]
.LBB323_531:                            ;   in Loop: Header=BB323_10 Depth=1
	s_or_b64 exec, exec, s[30:31]
.LBB323_532:                            ;   in Loop: Header=BB323_10 Depth=1
	s_or_b64 exec, exec, s[28:29]
	v_cmp_lt_u32_e32 vcc, s39, v30
	s_and_saveexec_b64 s[28:29], vcc
	s_cbranch_execz .LBB323_538
; %bb.533:                              ;   in Loop: Header=BB323_10 Depth=1
	v_lshrrev_b32_e32 v30, 24, v30
	v_cmp_ne_u32_e32 vcc, s19, v30
	v_bfrev_b32_e32 v53, 1
	s_and_saveexec_b64 s[30:31], vcc
	s_cbranch_execz .LBB323_537
; %bb.534:                              ;   in Loop: Header=BB323_10 Depth=1
	v_and_b32_e32 v27, 0x7f, v30
	v_cmp_ne_u32_e32 vcc, s37, v27
	v_mov_b32_e32 v53, 0x7fc02000
	s_and_saveexec_b64 s[34:35], vcc
	s_cbranch_execz .LBB323_536
; %bb.535:                              ;   in Loop: Header=BB323_10 Depth=1
	v_and_b32_e32 v32, 7, v30
	v_lshrrev_b32_e32 v49, 3, v27
	v_cmp_gt_u32_e32 vcc, 8, v27
	v_ffbh_u32_e32 v27, v32
	v_min_u32_e32 v27, 32, v27
	v_subrev_u32_e32 v53, 28, v27
	v_sub_u32_e32 v27, 29, v27
	v_lshlrev_b64 v[40:41], v53, v[30:31]
	v_cndmask_b32_e32 v27, v49, v27, vcc
	v_mov_b32_e32 v49, 0x2000
	v_and_b32_e32 v53, 7, v40
	v_lshlrev_b32_e32 v30, 8, v30
	v_lshl_add_u32 v27, v27, 10, v49
	v_cndmask_b32_e32 v32, v32, v53, vcc
	v_and_or_b32 v27, v30, s38, v27
	v_lshl_or_b32 v27, v32, 7, v27
	v_cvt_f32_f16_e32 v53, v27
.LBB323_536:                            ;   in Loop: Header=BB323_10 Depth=1
	s_or_b64 exec, exec, s[34:35]
.LBB323_537:                            ;   in Loop: Header=BB323_10 Depth=1
	s_or_b64 exec, exec, s[30:31]
.LBB323_538:                            ;   in Loop: Header=BB323_10 Depth=1
	s_or_b64 exec, exec, s[28:29]
	v_add_co_u32_e32 v40, vcc, 0x1000, v28
	v_addc_co_u32_e32 v41, vcc, 0, v29, vcc
	flat_load_dword v30, v[40:41] offset:1536
	v_mov_b32_e32 v40, 0
	v_mov_b32_e32 v41, 0
	s_waitcnt vmcnt(0) lgkmcnt(0)
	v_cmp_ne_u16_sdwa vcc, v30, v21 src0_sel:BYTE_0 src1_sel:DWORD
	s_and_saveexec_b64 s[28:29], vcc
	s_cbranch_execz .LBB323_544
; %bb.539:                              ;   in Loop: Header=BB323_10 Depth=1
	v_cmp_ne_u16_sdwa vcc, v30, s19 src0_sel:BYTE_0 src1_sel:DWORD
	v_bfrev_b32_e32 v41, 1
	s_and_saveexec_b64 s[30:31], vcc
	s_cbranch_execz .LBB323_543
; %bb.540:                              ;   in Loop: Header=BB323_10 Depth=1
	v_and_b32_e32 v27, 0x7f, v30
	v_cmp_ne_u32_e32 vcc, s37, v27
	v_mov_b32_e32 v41, 0x7fc02000
	s_and_saveexec_b64 s[34:35], vcc
	s_cbranch_execz .LBB323_542
; %bb.541:                              ;   in Loop: Header=BB323_10 Depth=1
	v_and_b32_e32 v32, 7, v30
	v_lshrrev_b32_e32 v49, 3, v27
	v_cmp_gt_u32_e32 vcc, 8, v27
	v_ffbh_u32_e32 v27, v32
	v_min_u32_e32 v27, 32, v27
	v_subrev_u32_e32 v41, 28, v27
	v_lshlrev_b64 v[42:43], v41, v[30:31]
	v_sub_u32_e32 v27, 29, v27
	v_and_b32_e32 v41, 7, v42
	v_cndmask_b32_e32 v27, v49, v27, vcc
	v_cndmask_b32_e32 v32, v32, v41, vcc
	v_mov_b32_e32 v41, 0x2000
	v_lshlrev_b32_e32 v49, 8, v30
	v_lshl_add_u32 v27, v27, 10, v41
	v_and_or_b32 v27, v49, s38, v27
	v_lshl_or_b32 v27, v32, 7, v27
	v_cvt_f32_f16_e32 v41, v27
.LBB323_542:                            ;   in Loop: Header=BB323_10 Depth=1
	s_or_b64 exec, exec, s[34:35]
.LBB323_543:                            ;   in Loop: Header=BB323_10 Depth=1
	s_or_b64 exec, exec, s[30:31]
.LBB323_544:                            ;   in Loop: Header=BB323_10 Depth=1
	s_or_b64 exec, exec, s[28:29]
	v_lshrrev_b16_e32 v32, 8, v30
	v_cmp_ne_u16_e32 vcc, 0, v32
	s_and_saveexec_b64 s[28:29], vcc
	s_cbranch_execz .LBB323_550
; %bb.545:                              ;   in Loop: Header=BB323_10 Depth=1
	v_cmp_ne_u16_e32 vcc, s19, v32
	v_bfrev_b32_e32 v40, 1
	s_and_saveexec_b64 s[30:31], vcc
	s_cbranch_execz .LBB323_549
; %bb.546:                              ;   in Loop: Header=BB323_10 Depth=1
	v_and_b32_e32 v27, 0x7f, v32
	v_cmp_ne_u32_e32 vcc, s37, v27
	v_mov_b32_e32 v40, 0x7fc02000
	s_and_saveexec_b64 s[34:35], vcc
	s_cbranch_execz .LBB323_548
; %bb.547:                              ;   in Loop: Header=BB323_10 Depth=1
	v_and_b32_e32 v49, 7, v32
	v_lshrrev_b32_e32 v40, 3, v27
	v_cmp_gt_u32_e32 vcc, 8, v27
	v_ffbh_u32_e32 v27, v49
	v_min_u32_e32 v27, 32, v27
	v_subrev_u32_e32 v42, 28, v27
	v_sub_u32_e32 v27, 29, v27
	v_lshlrev_b64 v[42:43], v42, v[32:33]
	v_cndmask_b32_e32 v27, v40, v27, vcc
	v_mov_b32_e32 v40, 0x2000
	v_and_b32_e32 v42, 7, v42
	v_lshlrev_b32_e32 v32, 8, v32
	v_lshl_add_u32 v27, v27, 10, v40
	v_cndmask_b32_e32 v49, v49, v42, vcc
	v_and_or_b32 v27, v32, s38, v27
	v_lshl_or_b32 v27, v49, 7, v27
	v_cvt_f32_f16_e32 v40, v27
.LBB323_548:                            ;   in Loop: Header=BB323_10 Depth=1
	s_or_b64 exec, exec, s[34:35]
.LBB323_549:                            ;   in Loop: Header=BB323_10 Depth=1
	s_or_b64 exec, exec, s[30:31]
.LBB323_550:                            ;   in Loop: Header=BB323_10 Depth=1
	s_or_b64 exec, exec, s[28:29]
	v_lshrrev_b32_e32 v32, 16, v30
	v_mov_b32_e32 v49, 0
	v_mov_b32_e32 v42, 0
	v_cmp_ne_u16_sdwa vcc, v32, v21 src0_sel:BYTE_0 src1_sel:DWORD
	s_mov_b64 s[28:29], exec
	s_and_b64 vcc, s[28:29], vcc
	v_accvgpr_write_b32 a41, v47
	v_accvgpr_write_b32 a42, v59
	s_mov_b64 exec, vcc
	s_cbranch_execz .LBB323_556
; %bb.551:                              ;   in Loop: Header=BB323_10 Depth=1
	v_cmp_ne_u16_sdwa vcc, v32, s19 src0_sel:BYTE_0 src1_sel:DWORD
	v_bfrev_b32_e32 v42, 1
	s_and_saveexec_b64 s[30:31], vcc
	s_cbranch_execz .LBB323_555
; %bb.552:                              ;   in Loop: Header=BB323_10 Depth=1
	v_bfe_u32 v27, v30, 16, 7
	v_cmp_ne_u32_e32 vcc, s37, v27
	v_mov_b32_e32 v42, 0x7fc02000
	s_and_saveexec_b64 s[34:35], vcc
	s_cbranch_execz .LBB323_554
; %bb.553:                              ;   in Loop: Header=BB323_10 Depth=1
	v_and_b32_e32 v47, 7, v32
	v_lshrrev_b32_e32 v59, 3, v27
	v_cmp_gt_u32_e32 vcc, 8, v27
	v_ffbh_u32_e32 v27, v47
	v_min_u32_e32 v27, 32, v27
	v_subrev_u32_e32 v42, 28, v27
	v_lshlrev_b64 v[42:43], v42, v[32:33]
	v_sub_u32_e32 v27, 29, v27
	v_cndmask_b32_e32 v27, v59, v27, vcc
	v_mov_b32_e32 v43, 0x2000
	v_and_b32_e32 v42, 7, v42
	v_lshlrev_b32_e32 v32, 8, v32
	v_lshl_add_u32 v27, v27, 10, v43
	v_cndmask_b32_e32 v42, v47, v42, vcc
	v_and_or_b32 v27, v32, s38, v27
	v_lshl_or_b32 v27, v42, 7, v27
	v_cvt_f32_f16_e32 v42, v27
.LBB323_554:                            ;   in Loop: Header=BB323_10 Depth=1
	s_or_b64 exec, exec, s[34:35]
.LBB323_555:                            ;   in Loop: Header=BB323_10 Depth=1
	s_or_b64 exec, exec, s[30:31]
.LBB323_556:                            ;   in Loop: Header=BB323_10 Depth=1
	s_or_b64 exec, exec, s[28:29]
	v_cmp_lt_u32_e32 vcc, s39, v30
	s_and_saveexec_b64 s[28:29], vcc
	s_cbranch_execz .LBB323_562
; %bb.557:                              ;   in Loop: Header=BB323_10 Depth=1
	v_lshrrev_b32_e32 v30, 24, v30
	v_cmp_ne_u32_e32 vcc, s19, v30
	v_bfrev_b32_e32 v49, 1
	s_and_saveexec_b64 s[30:31], vcc
	s_cbranch_execz .LBB323_561
; %bb.558:                              ;   in Loop: Header=BB323_10 Depth=1
	v_and_b32_e32 v27, 0x7f, v30
	v_cmp_ne_u32_e32 vcc, s37, v27
	v_mov_b32_e32 v49, 0x7fc02000
	s_and_saveexec_b64 s[34:35], vcc
	s_cbranch_execz .LBB323_560
; %bb.559:                              ;   in Loop: Header=BB323_10 Depth=1
	v_and_b32_e32 v32, 7, v30
	v_lshrrev_b32_e32 v49, 3, v27
	v_cmp_gt_u32_e32 vcc, 8, v27
	v_ffbh_u32_e32 v27, v32
	v_min_u32_e32 v27, 32, v27
	v_subrev_u32_e32 v43, 28, v27
	v_sub_u32_e32 v27, 29, v27
	v_mov_b32_e32 v47, v61
	v_mov_b32_e32 v59, v60
	v_lshlrev_b64 v[60:61], v43, v[30:31]
	v_cndmask_b32_e32 v27, v49, v27, vcc
	v_mov_b32_e32 v49, 0x2000
	v_and_b32_e32 v43, 7, v60
	v_lshlrev_b32_e32 v30, 8, v30
	v_lshl_add_u32 v27, v27, 10, v49
	v_cndmask_b32_e32 v32, v32, v43, vcc
	v_and_or_b32 v27, v30, s38, v27
	v_lshl_or_b32 v27, v32, 7, v27
	v_cvt_f32_f16_e32 v49, v27
	v_mov_b32_e32 v61, v47
	v_mov_b32_e32 v60, v59
.LBB323_560:                            ;   in Loop: Header=BB323_10 Depth=1
	s_or_b64 exec, exec, s[34:35]
.LBB323_561:                            ;   in Loop: Header=BB323_10 Depth=1
	s_or_b64 exec, exec, s[30:31]
.LBB323_562:                            ;   in Loop: Header=BB323_10 Depth=1
	s_or_b64 exec, exec, s[28:29]
	v_add_co_u32_e32 v28, vcc, 0x1600, v28
	v_addc_co_u32_e32 v29, vcc, 0, v29, vcc
	flat_load_dword v28, v[28:29] offset:8
	v_mov_b32_e32 v32, 0
	v_mov_b32_e32 v47, 0
	s_waitcnt vmcnt(0) lgkmcnt(0)
	v_cmp_ne_u16_sdwa vcc, v28, v21 src0_sel:BYTE_0 src1_sel:DWORD
	s_and_saveexec_b64 s[28:29], vcc
	s_cbranch_execz .LBB323_568
; %bb.563:                              ;   in Loop: Header=BB323_10 Depth=1
	v_cmp_ne_u16_sdwa vcc, v28, s19 src0_sel:BYTE_0 src1_sel:DWORD
	v_bfrev_b32_e32 v47, 1
	s_and_saveexec_b64 s[30:31], vcc
	s_cbranch_execz .LBB323_567
; %bb.564:                              ;   in Loop: Header=BB323_10 Depth=1
	v_and_b32_e32 v27, 0x7f, v28
	v_cmp_ne_u32_e32 vcc, s37, v27
	v_mov_b32_e32 v47, 0x7fc02000
	s_and_saveexec_b64 s[34:35], vcc
	s_cbranch_execz .LBB323_566
; %bb.565:                              ;   in Loop: Header=BB323_10 Depth=1
	v_and_b32_e32 v29, 7, v28
	v_lshrrev_b32_e32 v30, 3, v27
	v_cmp_gt_u32_e32 vcc, 8, v27
	v_ffbh_u32_e32 v27, v29
	v_min_u32_e32 v27, 32, v27
	v_subrev_u32_e32 v43, 28, v27
	v_mov_b32_e32 v47, v61
	v_mov_b32_e32 v59, v60
	v_lshlrev_b64 v[60:61], v43, v[28:29]
	v_sub_u32_e32 v27, 29, v27
	v_and_b32_e32 v43, 7, v60
	v_cndmask_b32_e32 v27, v30, v27, vcc
	v_cndmask_b32_e32 v29, v29, v43, vcc
	v_mov_b32_e32 v43, 0x2000
	v_lshlrev_b32_e32 v30, 8, v28
	v_lshl_add_u32 v27, v27, 10, v43
	v_and_or_b32 v27, v30, s38, v27
	v_lshl_or_b32 v27, v29, 7, v27
	v_mov_b32_e32 v61, v47
	v_cvt_f32_f16_e32 v47, v27
	v_mov_b32_e32 v60, v59
.LBB323_566:                            ;   in Loop: Header=BB323_10 Depth=1
	s_or_b64 exec, exec, s[34:35]
.LBB323_567:                            ;   in Loop: Header=BB323_10 Depth=1
	s_or_b64 exec, exec, s[30:31]
.LBB323_568:                            ;   in Loop: Header=BB323_10 Depth=1
	s_or_b64 exec, exec, s[28:29]
	v_lshrrev_b16_e32 v30, 8, v28
	v_cmp_ne_u16_e32 vcc, 0, v30
	s_and_saveexec_b64 s[28:29], vcc
	s_cbranch_execz .LBB323_574
; %bb.569:                              ;   in Loop: Header=BB323_10 Depth=1
	v_cmp_ne_u16_e32 vcc, s19, v30
	v_bfrev_b32_e32 v32, 1
	s_and_saveexec_b64 s[30:31], vcc
	s_cbranch_execz .LBB323_573
; %bb.570:                              ;   in Loop: Header=BB323_10 Depth=1
	v_and_b32_e32 v27, 0x7f, v30
	v_cmp_ne_u32_e32 vcc, s37, v27
	v_mov_b32_e32 v32, 0x7fc02000
	s_and_saveexec_b64 s[34:35], vcc
	s_cbranch_execz .LBB323_572
; %bb.571:                              ;   in Loop: Header=BB323_10 Depth=1
	v_and_b32_e32 v29, 7, v30
	v_lshrrev_b32_e32 v32, 3, v27
	v_cmp_gt_u32_e32 vcc, 8, v27
	v_ffbh_u32_e32 v27, v29
	v_min_u32_e32 v27, 32, v27
	v_subrev_u32_e32 v43, 28, v27
	v_sub_u32_e32 v27, 29, v27
	v_mov_b32_e32 v59, v61
	v_accvgpr_write_b32 a40, v60
	v_lshlrev_b64 v[60:61], v43, v[30:31]
	v_cndmask_b32_e32 v27, v32, v27, vcc
	v_mov_b32_e32 v32, 0x2000
	v_and_b32_e32 v43, 7, v60
	v_lshlrev_b32_e32 v30, 8, v30
	v_lshl_add_u32 v27, v27, 10, v32
	v_cndmask_b32_e32 v29, v29, v43, vcc
	v_and_or_b32 v27, v30, s38, v27
	v_lshl_or_b32 v27, v29, 7, v27
	v_cvt_f32_f16_e32 v32, v27
	v_mov_b32_e32 v61, v59
	v_accvgpr_read_b32 v60, a40
.LBB323_572:                            ;   in Loop: Header=BB323_10 Depth=1
	s_or_b64 exec, exec, s[34:35]
.LBB323_573:                            ;   in Loop: Header=BB323_10 Depth=1
	s_or_b64 exec, exec, s[30:31]
.LBB323_574:                            ;   in Loop: Header=BB323_10 Depth=1
	s_or_b64 exec, exec, s[28:29]
	v_lshrrev_b32_e32 v30, 16, v28
	v_cmp_ne_u16_sdwa vcc, v30, v21 src0_sel:BYTE_0 src1_sel:DWORD
	v_mov_b32_e32 v27, 0
	v_mov_b32_e32 v43, 0
	s_and_saveexec_b64 s[28:29], vcc
	s_cbranch_execz .LBB323_580
; %bb.575:                              ;   in Loop: Header=BB323_10 Depth=1
	v_cmp_ne_u16_sdwa vcc, v30, s19 src0_sel:BYTE_0 src1_sel:DWORD
	v_bfrev_b32_e32 v43, 1
	s_and_saveexec_b64 s[30:31], vcc
	s_cbranch_execz .LBB323_579
; %bb.576:                              ;   in Loop: Header=BB323_10 Depth=1
	v_bfe_u32 v29, v28, 16, 7
	v_cmp_ne_u32_e32 vcc, s37, v29
	v_mov_b32_e32 v43, 0x7fc02000
	s_and_saveexec_b64 s[34:35], vcc
	s_cbranch_execz .LBB323_578
; %bb.577:                              ;   in Loop: Header=BB323_10 Depth=1
	v_and_b32_e32 v43, 7, v30
	v_lshrrev_b32_e32 v59, 3, v29
	v_cmp_gt_u32_e32 vcc, 8, v29
	v_ffbh_u32_e32 v29, v43
	v_min_u32_e32 v29, 32, v29
	v_accvgpr_write_b32 a43, v60
	v_subrev_u32_e32 v60, 28, v29
	v_sub_u32_e32 v29, 29, v29
	v_accvgpr_write_b32 a40, v61
	v_lshlrev_b64 v[60:61], v60, v[30:31]
	v_cndmask_b32_e32 v29, v59, v29, vcc
	v_mov_b32_e32 v59, 0x2000
	v_and_b32_e32 v60, 7, v60
	v_lshlrev_b32_e32 v30, 8, v30
	v_lshl_add_u32 v29, v29, 10, v59
	v_cndmask_b32_e32 v43, v43, v60, vcc
	v_and_or_b32 v29, v30, s38, v29
	v_lshl_or_b32 v29, v43, 7, v29
	v_cvt_f32_f16_e32 v43, v29
	v_accvgpr_read_b32 v61, a40
	v_accvgpr_read_b32 v60, a43
.LBB323_578:                            ;   in Loop: Header=BB323_10 Depth=1
	s_or_b64 exec, exec, s[34:35]
.LBB323_579:                            ;   in Loop: Header=BB323_10 Depth=1
	s_or_b64 exec, exec, s[30:31]
.LBB323_580:                            ;   in Loop: Header=BB323_10 Depth=1
	s_or_b64 exec, exec, s[28:29]
	v_accvgpr_write_b32 a40, v62
	v_cmp_lt_u32_e32 vcc, s39, v28
	s_and_saveexec_b64 s[28:29], vcc
	s_cbranch_execz .LBB323_586
; %bb.581:                              ;   in Loop: Header=BB323_10 Depth=1
	v_lshrrev_b32_e32 v28, 24, v28
	v_cmp_ne_u32_e32 vcc, s19, v28
	v_bfrev_b32_e32 v27, 1
	s_and_saveexec_b64 s[30:31], vcc
	s_cbranch_execz .LBB323_585
; %bb.582:                              ;   in Loop: Header=BB323_10 Depth=1
	v_and_b32_e32 v29, 0x7f, v28
	v_cmp_ne_u32_e32 vcc, s37, v29
	v_mov_b32_e32 v27, 0x7fc02000
	s_and_saveexec_b64 s[34:35], vcc
	s_cbranch_execz .LBB323_584
; %bb.583:                              ;   in Loop: Header=BB323_10 Depth=1
	v_and_b32_e32 v27, 7, v28
	v_lshrrev_b32_e32 v30, 3, v29
	v_cmp_gt_u32_e32 vcc, 8, v29
	v_ffbh_u32_e32 v29, v27
	v_min_u32_e32 v29, 32, v29
	v_subrev_u32_e32 v59, 28, v29
	v_mov_b32_e32 v62, v61
	v_accvgpr_write_b32 a43, v60
	v_lshlrev_b64 v[60:61], v59, v[28:29]
	v_sub_u32_e32 v29, 29, v29
	v_cndmask_b32_e32 v29, v30, v29, vcc
	v_mov_b32_e32 v30, 0x2000
	v_and_b32_e32 v59, 7, v60
	v_lshlrev_b32_e32 v28, 8, v28
	v_lshl_add_u32 v29, v29, 10, v30
	v_cndmask_b32_e32 v27, v27, v59, vcc
	v_and_or_b32 v28, v28, s38, v29
	v_lshl_or_b32 v27, v27, 7, v28
	v_cvt_f32_f16_e32 v27, v27
	v_mov_b32_e32 v61, v62
	v_accvgpr_read_b32 v60, a43
.LBB323_584:                            ;   in Loop: Header=BB323_10 Depth=1
	s_or_b64 exec, exec, s[34:35]
.LBB323_585:                            ;   in Loop: Header=BB323_10 Depth=1
	s_or_b64 exec, exec, s[30:31]
.LBB323_586:                            ;   in Loop: Header=BB323_10 Depth=1
	s_or_b64 exec, exec, s[28:29]
	v_fma_mixlo_f16 v0, v5, v0, 0
	v_accvgpr_write_b32 a2, v0
	v_fma_mixlo_f16 v0, v5, v50, 0
	v_accvgpr_write_b32 a25, v0
	;; [unrolled: 2-line block ×16, first 2 shown]
	buffer_load_dword v0, off, s[0:3], s32 offset:332 ; 4-byte Folded Reload
	v_fma_mixlo_f16 v3, v5, v3, 0
	v_accvgpr_write_b32 a52, v3
	v_fma_mixlo_f16 v3, v5, v8, 0
	v_accvgpr_write_b32 a58, v3
	;; [unrolled: 2-line block ×3, first 2 shown]
	v_fma_mixlo_f16 v3, v5, v13, 0
	v_fma_mixlo_f16 v12, v5, v12, 0
	v_accvgpr_write_b32 a54, v12
	v_fma_mixlo_f16 v12, v5, v14, 0
	v_accvgpr_write_b32 a55, v12
	;; [unrolled: 2-line block ×19, first 2 shown]
	v_fma_mixlo_f16 v3, v5, v57, 0
	v_fma_mixlo_f16 v30, v5, v58, 0
	;; [unrolled: 1-line block ×10, first 2 shown]
	v_accvgpr_read_b32 v8, a33
	v_fma_mixlo_f16 v14, v5, v1, 0
	v_fma_mixlo_f16 v60, v5, v60, 0
	;; [unrolled: 1-line block ×3, first 2 shown]
	v_accvgpr_write_b32 a20, v3
	s_waitcnt vmcnt(0)
	v_fma_mixlo_f16 v13, v5, v0, 0
	buffer_load_dword v0, off, s[0:3], s32 offset:328 ; 4-byte Folded Reload
	s_waitcnt vmcnt(0)
	v_fma_mixlo_f16 v50, v5, v0, 0
	buffer_load_dword v0, off, s[0:3], s32 offset:312 ; 4-byte Folded Reload
	;; [unrolled: 3-line block ×29, first 2 shown]
	v_and_b32_e32 v10, 0xffff, v10
	s_waitcnt vmcnt(0)
	v_fma_mixlo_f16 v11, v5, v0, 0
	buffer_load_dword v0, off, s[0:3], s32 offset:220 ; 4-byte Folded Reload
	s_waitcnt vmcnt(0)
	v_fma_mixlo_f16 v40, v5, v0, 0
	buffer_load_dword v0, off, s[0:3], s32 offset:216 ; 4-byte Folded Reload
	;; [unrolled: 3-line block ×4, first 2 shown]
	v_and_b32_e32 v4, 0xffff, v4
	s_waitcnt vmcnt(0)
	v_fma_mixlo_f16 v2, v5, v0, 0
	buffer_load_dword v0, off, s[0:3], s32 offset:204 ; 4-byte Folded Reload
	v_and_b32_e32 v2, 0xffff, v2
	s_waitcnt vmcnt(0)
	v_fma_mixlo_f16 v38, v5, v0, 0
	buffer_load_dword v0, off, s[0:3], s32 offset:200 ; 4-byte Folded Reload
	s_waitcnt vmcnt(0)
	v_fma_mixlo_f16 v7, v5, v0, 0
	v_accvgpr_read_b32 v0, a41
	v_fma_mixlo_f16 v44, v5, v0, 0
	v_accvgpr_read_b32 v0, a40
	v_fma_mixlo_f16 v56, v5, v0, 0
	buffer_load_dword v0, off, s[0:3], s32 offset:188 ; 4-byte Folded Reload
	s_waitcnt vmcnt(0)
	v_fma_mixlo_f16 v42, v5, v0, 0
	v_accvgpr_read_b32 v0, a42
	v_fma_mixlo_f16 v49, v5, v0, 0
	v_fma_mixlo_f16 v0, v5, v32, 0
	v_accvgpr_write_b32 a42, v0
	v_fma_mixlo_f16 v0, v5, v47, 0
	v_accvgpr_write_b32 a49, v0
	;; [unrolled: 2-line block ×4, first 2 shown]
	ds_read_b64 v[0:1], v8
	s_waitcnt lgkmcnt(0)
	v_lshrrev_b32_e32 v5, 16, v0
	v_and_b32_e32 v0, 0xffff, v0
	;;#ASMSTART
	v_cvt_f32_f16 v27, v0;
	;;#ASMEND
	v_and_b32_e32 v0, 0xffff, v56
	;;#ASMSTART
	v_cvt_f32_f16 v32, v5;
	;;#ASMEND
	;;#ASMSTART
	v_cvt_f32_f16 v5, v0;
	;;#ASMEND
	v_and_b32_e32 v0, 0xffff, v44
	;;#ASMSTART
	v_cvt_f32_f16 v43, v0;
	;;#ASMEND
	v_lshrrev_b32_e32 v0, 16, v1
	v_and_b32_e32 v1, 0xffff, v1
	;;#ASMSTART
	v_cvt_f32_f16 v44, v1;
	;;#ASMEND
	;;#ASMSTART
	v_cvt_f32_f16 v47, v0;
	;;#ASMEND
	v_and_b32_e32 v0, 0xffff, v42
	;;#ASMSTART
	v_cvt_f32_f16 v42, v0;
	;;#ASMEND
	v_and_b32_e32 v0, 0xffff, v49
	;;#ASMSTART
	v_cvt_f32_f16 v49, v0;
	;;#ASMEND
	ds_read_b64 v[0:1], v8 offset:8
	s_waitcnt lgkmcnt(0)
	v_lshrrev_b32_e32 v56, 16, v0
	v_and_b32_e32 v0, 0xffff, v0
	;;#ASMSTART
	v_cvt_f32_f16 v0, v0;
	;;#ASMEND
	;;#ASMSTART
	v_cvt_f32_f16 v56, v56;
	;;#ASMEND
	;;#ASMSTART
	v_cvt_f32_f16 v2, v2;
	;;#ASMEND
	;;#ASMSTART
	v_cvt_f32_f16 v3, v4;
	;;#ASMEND
	v_mul_f32_e32 v4, v0, v2
	v_lshrrev_b32_e32 v0, 16, v1
	v_and_b32_e32 v1, 0xffff, v1
	v_fmac_f32_e32 v4, v27, v5
	v_mul_f32_e32 v5, v56, v3
	;;#ASMSTART
	v_cvt_f32_f16 v1, v1;
	;;#ASMEND
	;;#ASMSTART
	v_cvt_f32_f16 v0, v0;
	;;#ASMEND
	v_and_b32_e32 v2, 0xffff, v38
	v_and_b32_e32 v3, 0xffff, v7
	;;#ASMSTART
	v_cvt_f32_f16 v2, v2;
	;;#ASMEND
	;;#ASMSTART
	v_cvt_f32_f16 v3, v3;
	;;#ASMEND
	v_mul_f32_e32 v7, v1, v2
	v_mul_f32_e32 v38, v0, v3
	ds_read_b64 v[0:1], v8 offset:16
	v_and_b32_e32 v3, 0xffff, v11
	v_fmac_f32_e32 v5, v32, v43
	v_fmac_f32_e32 v7, v44, v42
	;; [unrolled: 1-line block ×3, first 2 shown]
	s_waitcnt lgkmcnt(0)
	v_lshrrev_b32_e32 v2, 16, v0
	v_and_b32_e32 v0, 0xffff, v0
	;;#ASMSTART
	v_cvt_f32_f16 v0, v0;
	;;#ASMEND
	;;#ASMSTART
	v_cvt_f32_f16 v2, v2;
	;;#ASMEND
	;;#ASMSTART
	v_cvt_f32_f16 v3, v3;
	;;#ASMEND
	v_fmac_f32_e32 v4, v0, v3
	v_lshrrev_b32_e32 v0, 16, v1
	v_and_b32_e32 v1, 0xffff, v1
	;;#ASMSTART
	v_cvt_f32_f16 v10, v10;
	;;#ASMEND
	v_fmac_f32_e32 v5, v2, v10
	;;#ASMSTART
	v_cvt_f32_f16 v1, v1;
	;;#ASMEND
	;;#ASMSTART
	v_cvt_f32_f16 v0, v0;
	;;#ASMEND
	v_and_b32_e32 v2, 0xffff, v40
	v_and_b32_e32 v3, 0xffff, v20
	;;#ASMSTART
	v_cvt_f32_f16 v2, v2;
	;;#ASMEND
	;;#ASMSTART
	v_cvt_f32_f16 v3, v3;
	;;#ASMEND
	v_fmac_f32_e32 v7, v1, v2
	v_fmac_f32_e32 v38, v0, v3
	ds_read_b64 v[0:1], v8 offset:24
	v_and_b32_e32 v3, 0xffff, v16
	v_and_b32_e32 v10, 0xffff, v31
	s_waitcnt lgkmcnt(0)
	v_lshrrev_b32_e32 v2, 16, v0
	v_and_b32_e32 v0, 0xffff, v0
	;;#ASMSTART
	v_cvt_f32_f16 v0, v0;
	;;#ASMEND
	;;#ASMSTART
	v_cvt_f32_f16 v2, v2;
	;;#ASMEND
	;;#ASMSTART
	v_cvt_f32_f16 v3, v3;
	;;#ASMEND
	v_fmac_f32_e32 v4, v0, v3
	v_lshrrev_b32_e32 v0, 16, v1
	v_and_b32_e32 v1, 0xffff, v1
	;;#ASMSTART
	v_cvt_f32_f16 v10, v10;
	;;#ASMEND
	v_fmac_f32_e32 v5, v2, v10
	;;#ASMSTART
	v_cvt_f32_f16 v1, v1;
	;;#ASMEND
	;;#ASMSTART
	v_cvt_f32_f16 v0, v0;
	;;#ASMEND
	v_and_b32_e32 v2, 0xffff, v17
	v_and_b32_e32 v3, 0xffff, v52
	;;#ASMSTART
	v_cvt_f32_f16 v2, v2;
	;;#ASMEND
	;;#ASMSTART
	v_cvt_f32_f16 v3, v3;
	;;#ASMEND
	v_fmac_f32_e32 v7, v1, v2
	v_fmac_f32_e32 v38, v0, v3
	ds_read_b64 v[0:1], v8 offset:32
	v_and_b32_e32 v3, 0xffff, v58
	v_and_b32_e32 v10, 0xffff, v46
	s_waitcnt lgkmcnt(0)
	v_lshrrev_b32_e32 v2, 16, v0
	v_and_b32_e32 v0, 0xffff, v0
	;;#ASMSTART
	v_cvt_f32_f16 v0, v0;
	;;#ASMEND
	;;#ASMSTART
	v_cvt_f32_f16 v2, v2;
	;;#ASMEND
	;;#ASMSTART
	v_cvt_f32_f16 v3, v3;
	;;#ASMEND
	v_fmac_f32_e32 v4, v0, v3
	v_lshrrev_b32_e32 v0, 16, v1
	v_and_b32_e32 v1, 0xffff, v1
	;;#ASMSTART
	v_cvt_f32_f16 v10, v10;
	;;#ASMEND
	v_fmac_f32_e32 v5, v2, v10
	;;#ASMSTART
	v_cvt_f32_f16 v1, v1;
	;;#ASMEND
	;;#ASMSTART
	v_cvt_f32_f16 v0, v0;
	;;#ASMEND
	v_and_b32_e32 v2, 0xffff, v45
	v_and_b32_e32 v3, 0xffff, v34
	;;#ASMSTART
	v_cvt_f32_f16 v2, v2;
	;;#ASMEND
	;;#ASMSTART
	v_cvt_f32_f16 v3, v3;
	;;#ASMEND
	v_fmac_f32_e32 v7, v1, v2
	v_fmac_f32_e32 v38, v0, v3
	ds_read_b64 v[0:1], v8 offset:40
	v_and_b32_e32 v3, 0xffff, v62
	v_and_b32_e32 v10, 0xffff, v61
	s_waitcnt lgkmcnt(0)
	v_lshrrev_b32_e32 v2, 16, v0
	v_and_b32_e32 v0, 0xffff, v0
	;;#ASMSTART
	v_cvt_f32_f16 v0, v0;
	;;#ASMEND
	;;#ASMSTART
	v_cvt_f32_f16 v2, v2;
	;;#ASMEND
	;;#ASMSTART
	v_cvt_f32_f16 v3, v3;
	;;#ASMEND
	v_fmac_f32_e32 v4, v0, v3
	v_lshrrev_b32_e32 v0, 16, v1
	v_and_b32_e32 v1, 0xffff, v1
	;;#ASMSTART
	v_cvt_f32_f16 v10, v10;
	;;#ASMEND
	v_fmac_f32_e32 v5, v2, v10
	;;#ASMSTART
	v_cvt_f32_f16 v1, v1;
	;;#ASMEND
	;;#ASMSTART
	v_cvt_f32_f16 v0, v0;
	;;#ASMEND
	v_and_b32_e32 v2, 0xffff, v57
	v_and_b32_e32 v3, 0xffff, v6
	;;#ASMSTART
	v_cvt_f32_f16 v2, v2;
	;;#ASMEND
	;;#ASMSTART
	v_cvt_f32_f16 v3, v3;
	;;#ASMEND
	v_fmac_f32_e32 v7, v1, v2
	v_fmac_f32_e32 v38, v0, v3
	ds_read_b64 v[0:1], v8 offset:48
	v_and_b32_e32 v3, 0xffff, v60
	v_and_b32_e32 v6, 0xffff, v59
	s_waitcnt lgkmcnt(0)
	v_lshrrev_b32_e32 v2, 16, v0
	v_and_b32_e32 v0, 0xffff, v0
	;;#ASMSTART
	v_cvt_f32_f16 v0, v0;
	;;#ASMEND
	;;#ASMSTART
	v_cvt_f32_f16 v2, v2;
	;;#ASMEND
	;;#ASMSTART
	v_cvt_f32_f16 v3, v3;
	;;#ASMEND
	v_fmac_f32_e32 v4, v0, v3
	v_lshrrev_b32_e32 v0, 16, v1
	v_and_b32_e32 v1, 0xffff, v1
	;;#ASMSTART
	v_cvt_f32_f16 v6, v6;
	;;#ASMEND
	v_fmac_f32_e32 v5, v2, v6
	;;#ASMSTART
	v_cvt_f32_f16 v1, v1;
	;;#ASMEND
	;;#ASMSTART
	v_cvt_f32_f16 v0, v0;
	;;#ASMEND
	v_and_b32_e32 v2, 0xffff, v23
	v_and_b32_e32 v3, 0xffff, v53
	;;#ASMSTART
	v_cvt_f32_f16 v2, v2;
	;;#ASMEND
	;;#ASMSTART
	v_cvt_f32_f16 v3, v3;
	;;#ASMEND
	v_fmac_f32_e32 v7, v1, v2
	v_fmac_f32_e32 v38, v0, v3
	ds_read_b64 v[0:1], v8 offset:56
	v_and_b32_e32 v3, 0xffff, v48
	v_and_b32_e32 v6, 0xffff, v36
	s_waitcnt lgkmcnt(0)
	v_lshrrev_b32_e32 v2, 16, v0
	v_and_b32_e32 v0, 0xffff, v0
	;;#ASMSTART
	v_cvt_f32_f16 v0, v0;
	;;#ASMEND
	;;#ASMSTART
	v_cvt_f32_f16 v2, v2;
	;;#ASMEND
	;;#ASMSTART
	v_cvt_f32_f16 v3, v3;
	;;#ASMEND
	v_fmac_f32_e32 v4, v0, v3
	v_lshrrev_b32_e32 v0, 16, v1
	v_and_b32_e32 v1, 0xffff, v1
	;;#ASMSTART
	v_cvt_f32_f16 v6, v6;
	;;#ASMEND
	v_fmac_f32_e32 v5, v2, v6
	;;#ASMSTART
	v_cvt_f32_f16 v1, v1;
	;;#ASMEND
	;;#ASMSTART
	v_cvt_f32_f16 v0, v0;
	;;#ASMEND
	v_and_b32_e32 v2, 0xffff, v54
	v_and_b32_e32 v3, 0xffff, v51
	;;#ASMSTART
	v_cvt_f32_f16 v2, v2;
	;;#ASMEND
	;;#ASMSTART
	v_cvt_f32_f16 v3, v3;
	;;#ASMEND
	v_fmac_f32_e32 v7, v1, v2
	v_fmac_f32_e32 v38, v0, v3
	ds_read_b64 v[0:1], v8 offset:64
	v_and_b32_e32 v3, 0xffff, v39
	v_and_b32_e32 v6, 0xffff, v9
	s_waitcnt lgkmcnt(0)
	v_lshrrev_b32_e32 v2, 16, v0
	v_and_b32_e32 v0, 0xffff, v0
	;;#ASMSTART
	v_cvt_f32_f16 v0, v0;
	;;#ASMEND
	;;#ASMSTART
	v_cvt_f32_f16 v2, v2;
	;;#ASMEND
	;;#ASMSTART
	v_cvt_f32_f16 v3, v3;
	;;#ASMEND
	v_fmac_f32_e32 v4, v0, v3
	v_lshrrev_b32_e32 v0, 16, v1
	v_and_b32_e32 v1, 0xffff, v1
	;;#ASMSTART
	v_cvt_f32_f16 v6, v6;
	;;#ASMEND
	v_fmac_f32_e32 v5, v2, v6
	;;#ASMSTART
	v_cvt_f32_f16 v1, v1;
	;;#ASMEND
	;;#ASMSTART
	v_cvt_f32_f16 v0, v0;
	;;#ASMEND
	v_and_b32_e32 v2, 0xffff, v18
	v_and_b32_e32 v3, 0xffff, v37
	;;#ASMSTART
	v_cvt_f32_f16 v2, v2;
	;;#ASMEND
	;;#ASMSTART
	v_cvt_f32_f16 v3, v3;
	;;#ASMEND
	v_fmac_f32_e32 v7, v1, v2
	v_fmac_f32_e32 v38, v0, v3
	ds_read_b64 v[0:1], v8 offset:72
	v_and_b32_e32 v3, 0xffff, v33
	v_and_b32_e32 v6, 0xffff, v12
	s_waitcnt lgkmcnt(0)
	v_lshrrev_b32_e32 v2, 16, v0
	v_and_b32_e32 v0, 0xffff, v0
	;;#ASMSTART
	v_cvt_f32_f16 v0, v0;
	;;#ASMEND
	;;#ASMSTART
	v_cvt_f32_f16 v2, v2;
	;;#ASMEND
	;;#ASMSTART
	v_cvt_f32_f16 v3, v3;
	;;#ASMEND
	v_fmac_f32_e32 v4, v0, v3
	v_lshrrev_b32_e32 v0, 16, v1
	v_and_b32_e32 v1, 0xffff, v1
	;;#ASMSTART
	v_cvt_f32_f16 v6, v6;
	;;#ASMEND
	v_fmac_f32_e32 v5, v2, v6
	;;#ASMSTART
	v_cvt_f32_f16 v1, v1;
	;;#ASMEND
	;;#ASMSTART
	v_cvt_f32_f16 v0, v0;
	;;#ASMEND
	v_and_b32_e32 v2, 0xffff, v19
	v_and_b32_e32 v3, 0xffff, v28
	;;#ASMSTART
	v_cvt_f32_f16 v2, v2;
	;;#ASMEND
	;;#ASMSTART
	v_cvt_f32_f16 v3, v3;
	;;#ASMEND
	v_fmac_f32_e32 v7, v1, v2
	v_fmac_f32_e32 v38, v0, v3
	ds_read_b64 v[0:1], v8 offset:80
	v_and_b32_e32 v3, 0xffff, v50
	v_and_b32_e32 v6, 0xffff, v13
	s_waitcnt lgkmcnt(0)
	v_lshrrev_b32_e32 v2, 16, v0
	v_and_b32_e32 v0, 0xffff, v0
	;;#ASMSTART
	v_cvt_f32_f16 v0, v0;
	;;#ASMEND
	;;#ASMSTART
	v_cvt_f32_f16 v2, v2;
	;;#ASMEND
	;; [unrolled: 3-line block ×4, first 2 shown]
	v_fmac_f32_e32 v4, v0, v3
	v_fmac_f32_e32 v5, v2, v6
	v_lshrrev_b32_e32 v0, 16, v1
	v_and_b32_e32 v1, 0xffff, v1
	v_and_b32_e32 v2, 0xffff, v29
	;; [unrolled: 1-line block ×3, first 2 shown]
	;;#ASMSTART
	v_cvt_f32_f16 v1, v1;
	;;#ASMEND
	;;#ASMSTART
	v_cvt_f32_f16 v0, v0;
	;;#ASMEND
	;; [unrolled: 3-line block ×4, first 2 shown]
	ds_read_b64 v[28:29], v8 offset:88
	v_fmac_f32_e32 v7, v1, v2
	v_fmac_f32_e32 v38, v0, v3
	v_and_b32_e32 v2, 0xffff, v41
	v_and_b32_e32 v3, 0xffff, v14
	s_waitcnt lgkmcnt(0)
	v_lshrrev_b32_e32 v0, 16, v28
	v_and_b32_e32 v1, 0xffff, v28
	;;#ASMSTART
	v_cvt_f32_f16 v1, v1;
	;;#ASMEND
	;;#ASMSTART
	v_cvt_f32_f16 v0, v0;
	;;#ASMEND
	;; [unrolled: 3-line block ×4, first 2 shown]
	v_fmac_f32_e32 v4, v1, v2
	v_fmac_f32_e32 v5, v0, v3
	v_lshrrev_b32_e32 v0, 16, v29
	v_and_b32_e32 v1, 0xffff, v29
	;;#ASMSTART
	v_cvt_f32_f16 v1, v1;
	;;#ASMEND
	;;#ASMSTART
	v_cvt_f32_f16 v0, v0;
	;;#ASMEND
	v_and_b32_e32 v2, 0xffff, v15
	v_and_b32_e32 v3, 0xffff, v22
	;;#ASMSTART
	v_cvt_f32_f16 v2, v2;
	;;#ASMEND
	;;#ASMSTART
	v_cvt_f32_f16 v3, v3;
	;;#ASMEND
	v_fmac_f32_e32 v7, v1, v2
	v_fmac_f32_e32 v38, v0, v3
	ds_read_b64 v[0:1], v8 offset:96
	v_and_b32_e32 v3, 0xffff, v24
	v_and_b32_e32 v6, 0xffff, v25
	s_waitcnt lgkmcnt(0)
	v_lshrrev_b32_e32 v2, 16, v0
	v_and_b32_e32 v0, 0xffff, v0
	;;#ASMSTART
	v_cvt_f32_f16 v0, v0;
	;;#ASMEND
	;;#ASMSTART
	v_cvt_f32_f16 v2, v2;
	;;#ASMEND
	;; [unrolled: 3-line block ×4, first 2 shown]
	v_fmac_f32_e32 v4, v0, v3
	v_fmac_f32_e32 v5, v2, v6
	v_lshrrev_b32_e32 v0, 16, v1
	v_and_b32_e32 v1, 0xffff, v1
	v_and_b32_e32 v2, 0xffff, v26
	;; [unrolled: 1-line block ×3, first 2 shown]
	;;#ASMSTART
	v_cvt_f32_f16 v1, v1;
	;;#ASMEND
	;;#ASMSTART
	v_cvt_f32_f16 v0, v0;
	;;#ASMEND
	;; [unrolled: 3-line block ×4, first 2 shown]
	ds_read_b64 v[28:29], v8 offset:104
	v_fmac_f32_e32 v38, v0, v3
	v_accvgpr_read_b32 v3, a9
	v_fmac_f32_e32 v7, v1, v2
	v_and_b32_e32 v2, 0xffff, v35
	s_waitcnt lgkmcnt(0)
	v_lshrrev_b32_e32 v0, 16, v28
	v_and_b32_e32 v1, 0xffff, v28
	v_and_b32_e32 v3, 0xffff, v3
	;;#ASMSTART
	v_cvt_f32_f16 v1, v1;
	;;#ASMEND
	;;#ASMSTART
	v_cvt_f32_f16 v0, v0;
	;;#ASMEND
	;;#ASMSTART
	v_cvt_f32_f16 v2, v2;
	;;#ASMEND
	;;#ASMSTART
	v_cvt_f32_f16 v3, v3;
	;;#ASMEND
	v_fmac_f32_e32 v4, v1, v2
	v_fmac_f32_e32 v5, v0, v3
	v_lshrrev_b32_e32 v0, 16, v29
	v_and_b32_e32 v1, 0xffff, v29
	v_accvgpr_read_b32 v2, a7
	v_accvgpr_read_b32 v3, a17
	;;#ASMSTART
	v_cvt_f32_f16 v1, v1;
	;;#ASMEND
	;;#ASMSTART
	v_cvt_f32_f16 v0, v0;
	;;#ASMEND
	v_and_b32_e32 v2, 0xffff, v2
	v_and_b32_e32 v3, 0xffff, v3
	;;#ASMSTART
	v_cvt_f32_f16 v2, v2;
	;;#ASMEND
	;;#ASMSTART
	v_cvt_f32_f16 v3, v3;
	;;#ASMEND
	v_fmac_f32_e32 v7, v1, v2
	v_fmac_f32_e32 v38, v0, v3
	ds_read_b64 v[0:1], v8 offset:112
	v_accvgpr_read_b32 v3, a13
	v_and_b32_e32 v3, 0xffff, v3
	v_accvgpr_read_b32 v6, a12
	v_and_b32_e32 v6, 0xffff, v6
	s_waitcnt lgkmcnt(0)
	v_lshrrev_b32_e32 v2, 16, v0
	v_and_b32_e32 v0, 0xffff, v0
	;;#ASMSTART
	v_cvt_f32_f16 v0, v0;
	;;#ASMEND
	;;#ASMSTART
	v_cvt_f32_f16 v2, v2;
	;;#ASMEND
	;;#ASMSTART
	v_cvt_f32_f16 v3, v3;
	;;#ASMEND
	;;#ASMSTART
	v_cvt_f32_f16 v6, v6;
	;;#ASMEND
	v_fmac_f32_e32 v4, v0, v3
	v_fmac_f32_e32 v5, v2, v6
	v_lshrrev_b32_e32 v0, 16, v1
	v_and_b32_e32 v1, 0xffff, v1
	v_accvgpr_read_b32 v2, a19
	v_accvgpr_read_b32 v3, a16
	;;#ASMSTART
	v_cvt_f32_f16 v1, v1;
	;;#ASMEND
	;;#ASMSTART
	v_cvt_f32_f16 v0, v0;
	;;#ASMEND
	v_and_b32_e32 v2, 0xffff, v2
	v_and_b32_e32 v3, 0xffff, v3
	;;#ASMSTART
	v_cvt_f32_f16 v2, v2;
	;;#ASMEND
	;;#ASMSTART
	v_cvt_f32_f16 v3, v3;
	;;#ASMEND
	v_fmac_f32_e32 v7, v1, v2
	v_fmac_f32_e32 v38, v0, v3
	ds_read_b64 v[0:1], v8 offset:120
	v_accvgpr_read_b32 v3, a15
	v_and_b32_e32 v3, 0xffff, v3
	v_accvgpr_read_b32 v6, a14
	v_and_b32_e32 v6, 0xffff, v6
	s_waitcnt lgkmcnt(0)
	v_lshrrev_b32_e32 v2, 16, v0
	;; [unrolled: 42-line block ×10, first 2 shown]
	v_and_b32_e32 v0, 0xffff, v0
	;;#ASMSTART
	v_cvt_f32_f16 v0, v0;
	;;#ASMEND
	;;#ASMSTART
	v_cvt_f32_f16 v2, v2;
	;;#ASMEND
	;; [unrolled: 3-line block ×4, first 2 shown]
	v_fmac_f32_e32 v4, v0, v3
	v_fmac_f32_e32 v5, v2, v6
	v_lshrrev_b32_e32 v0, 16, v1
	v_and_b32_e32 v1, 0xffff, v1
	v_accvgpr_read_b32 v2, a41
	v_accvgpr_read_b32 v3, a40
	;;#ASMSTART
	v_cvt_f32_f16 v1, v1;
	;;#ASMEND
	;;#ASMSTART
	v_cvt_f32_f16 v0, v0;
	;;#ASMEND
	v_and_b32_e32 v2, 0xffff, v2
	v_and_b32_e32 v3, 0xffff, v3
	;;#ASMSTART
	v_cvt_f32_f16 v2, v2;
	;;#ASMEND
	;;#ASMSTART
	v_cvt_f32_f16 v3, v3;
	;;#ASMEND
	v_fmac_f32_e32 v7, v1, v2
	v_fmac_f32_e32 v38, v0, v3
	v_add_f32_e32 v0, v4, v5
	v_add_f32_e32 v0, v0, v7
	v_accvgpr_read_b32 v3, a29
	v_add_f32_e32 v1, v38, v0
	v_and_b32_e32 v0, 64, v3
	v_xor_b32_e32 v2, 1, v3
	v_add_u32_e32 v0, 64, v0
	v_cmp_lt_i32_e32 vcc, v2, v0
	v_cndmask_b32_e32 v2, v3, v2, vcc
	v_lshlrev_b32_e32 v2, 2, v2
	ds_bpermute_b32 v2, v2, v1
	s_mov_b64 s[28:29], exec
	s_and_b64 vcc, s[28:29], s[6:7]
	v_accvgpr_read_b32 v8, a39
	s_mov_b64 exec, vcc
	s_cbranch_execz .LBB323_9
; %bb.587:                              ;   in Loop: Header=BB323_10 Depth=1
	s_waitcnt lgkmcnt(0)
	v_add_f32_e32 v1, v1, v2
	buffer_load_dword v2, off, s[0:3], s32 offset:340 ; 4-byte Folded Reload
	v_accvgpr_read_b32 v3, a36
	v_accvgpr_read_b32 v5, a37
	v_add_u32_e32 v3, v3, v5
	v_cvt_f32_i32_e32 v3, v3
	s_load_dword vcc_lo, s[24:25], 0x0
	v_accvgpr_read_b32 v4, a28
	s_waitcnt vmcnt(0)
	v_mul_f32_e32 v2, v2, v3
	v_cndmask_b32_e64 v2, 0, v2, s[8:9]
	v_accvgpr_read_b32 v3, a38
	v_fmac_f32_e32 v2, v1, v4
	v_accvgpr_read_b32 v4, a8
	s_waitcnt lgkmcnt(0)
	v_add_u32_e32 v3, vcc_lo, v3
	v_cmp_lt_i32_e32 vcc, v5, v4
	v_cndmask_b32_e32 v1, 0, v2, vcc
	ds_write_b32 v3, v1
	buffer_load_dword v3, off, s[0:3], s32 offset:336 ; 4-byte Folded Reload
	s_waitcnt vmcnt(0)
	v_max_f32_e32 v1, v3, v3
	v_max_f32_e32 v1, v1, v2
	v_cndmask_b32_e32 v3, v3, v1, vcc
	buffer_store_dword v3, off, s[0:3], s32 offset:336 ; 4-byte Folded Spill
	s_branch .LBB323_9
.LBB323_588:
	s_or_b64 exec, exec, s[26:27]
	buffer_load_dword v20, off, s[0:3], s32 offset:356 ; 4-byte Folded Reload
	buffer_load_dword v6, off, s[0:3], s32 offset:336 ; 4-byte Folded Reload
.LBB323_589:
	s_or_b64 exec, exec, s[10:11]
	v_accvgpr_read_b32 v8, a29
	v_xor_b32_e32 v1, 32, v8
	v_cmp_lt_i32_e32 vcc, v1, v0
	v_cndmask_b32_e32 v1, v8, v1, vcc
	s_waitcnt lgkmcnt(0)
	v_lshlrev_b32_e32 v2, 2, v1
	s_waitcnt vmcnt(0)
	ds_bpermute_b32 v1, v2, v6
	v_xor_b32_e32 v4, 16, v8
	v_max_f32_e32 v3, v6, v6
	v_cmp_lt_i32_e32 vcc, v4, v0
	v_xor_b32_e32 v5, 8, v8
	s_waitcnt lgkmcnt(0)
	v_max_f32_e32 v1, v1, v1
	v_max_f32_e32 v1, v3, v1
	v_cndmask_b32_e32 v3, v8, v4, vcc
	v_lshlrev_b32_e32 v3, 2, v3
	ds_bpermute_b32 v4, v3, v1
	v_cmp_lt_i32_e32 vcc, v5, v0
	v_xor_b32_e32 v6, 4, v8
	v_xor_b32_e32 v7, 2, v8
	v_and_b32_e32 v26, 63, v20
	s_waitcnt lgkmcnt(0)
	v_max_f32_e32 v4, v4, v4
	v_max_f32_e32 v1, v1, v4
	v_cndmask_b32_e32 v4, v8, v5, vcc
	v_lshlrev_b32_e32 v4, 2, v4
	ds_bpermute_b32 v5, v4, v1
	v_cmp_lt_i32_e32 vcc, v6, v0
	s_lshr_b32 s28, s36, 16
	s_waitcnt lgkmcnt(0)
	v_max_f32_e32 v5, v5, v5
	v_max_f32_e32 v1, v1, v5
	v_cndmask_b32_e32 v5, v8, v6, vcc
	v_lshlrev_b32_e32 v5, 2, v5
	ds_bpermute_b32 v6, v5, v1
	v_cmp_lt_i32_e32 vcc, v7, v0
	s_waitcnt lgkmcnt(0)
	v_max_f32_e32 v6, v6, v6
	v_max_f32_e32 v1, v1, v6
	v_cndmask_b32_e32 v6, v8, v7, vcc
	v_lshlrev_b32_e32 v27, 2, v6
	buffer_load_dword v6, off, s[0:3], s32 offset:344 ; 4-byte Folded Reload
	ds_bpermute_b32 v7, v27, v1
	v_cmp_eq_u32_e32 vcc, 0, v26
	s_waitcnt vmcnt(0)
	v_lshlrev_b32_e32 v6, 2, v6
	s_and_saveexec_b64 s[6:7], vcc
	s_cbranch_execz .LBB323_591
; %bb.590:
	s_waitcnt lgkmcnt(0)
	v_max_f32_e32 v7, v7, v7
	v_max_f32_e32 v1, v1, v1
	;; [unrolled: 1-line block ×3, first 2 shown]
	ds_write_b32 v6, v1 offset:384
.LBB323_591:
	s_or_b64 exec, exec, s[6:7]
	v_cmp_gt_u32_e64 s[6:7], 2, v26
	v_mov_b32_e32 v1, 0xff7fffff
	s_waitcnt lgkmcnt(0)
	v_lshlrev_b32_e32 v7, 2, v26
	s_barrier
	s_and_saveexec_b64 s[8:9], s[6:7]
	s_cbranch_execz .LBB323_593
; %bb.592:
	ds_read_b32 v1, v7 offset:384
.LBB323_593:
	s_or_b64 exec, exec, s[8:9]
	v_accvgpr_read_b32 v10, a29
	v_xor_b32_e32 v8, 1, v10
	v_cmp_lt_i32_e64 s[8:9], v8, v0
	v_cndmask_b32_e64 v0, v10, v8, s[8:9]
	v_lshlrev_b32_e32 v28, 2, v0
	s_waitcnt lgkmcnt(0)
	ds_bpermute_b32 v0, v28, v1
	v_accvgpr_read_b32 v8, a3
	v_max_f32_e32 v1, v1, v1
	v_subrev_u32_e32 v8, s21, v8
	v_lshl_add_u32 v9, v8, 5, s23
	s_waitcnt lgkmcnt(0)
	v_max_f32_e32 v0, v0, v0
	v_max_f32_e32 v0, v1, v0
	v_lshlrev_b32_e32 v1, 2, v10
	v_and_b32_e32 v8, 0xffffff00, v1
	ds_bpermute_b32 v0, v8, v0
	v_accvgpr_read_b32 v10, a8
	v_min_i32_e32 v9, v9, v10
	v_subrev_u32_e32 v1, s23, v9
	v_cmp_lt_i32_e64 s[8:9], v20, v1
	v_mov_b32_e32 v10, 0
	s_and_saveexec_b64 s[24:25], s[8:9]
	s_cbranch_execz .LBB323_597
; %bb.594:
	s_ashr_i32 s19, s18, 31
	s_lshl_b64 s[10:11], s[18:19], 2
	s_getpc_b64 s[26:27]
	s_add_u32 s26, s26, llvm.amdgcn.dynlds.offset.table@rel32@lo+4
	s_addc_u32 s27, s27, llvm.amdgcn.dynlds.offset.table@rel32@hi+12
	s_add_u32 s10, s10, s26
	s_addc_u32 s11, s11, s27
	s_load_dword s10, s[10:11], 0x0
	s_mov_b64 s[26:27], 0
	v_mov_b32_e32 v10, 0
	v_mov_b32_e32 v12, v20
	s_waitcnt lgkmcnt(0)
	v_lshl_add_u32 v11, v20, 2, s10
.LBB323_595:                            ; =>This Inner Loop Header: Depth=1
	ds_read_b32 v13, v11
	v_add_u32_e32 v12, 0x80, v12
	v_cmp_ge_i32_e64 s[10:11], v12, v1
	s_or_b64 s[26:27], s[10:11], s[26:27]
	s_waitcnt lgkmcnt(0)
	v_sub_f32_e32 v13, v13, v0
	v_mul_f32_e32 v13, 0x3fb8aa3b, v13
	v_exp_f32_e32 v13, v13
	ds_write_b32 v11, v13
	v_add_f32_e32 v10, v10, v13
	v_add_u32_e32 v11, 0x200, v11
	s_andn2_b64 exec, exec, s[26:27]
	s_cbranch_execnz .LBB323_595
; %bb.596:
	s_or_b64 exec, exec, s[26:27]
.LBB323_597:
	s_or_b64 exec, exec, s[24:25]
	ds_bpermute_b32 v2, v2, v10
	s_waitcnt lgkmcnt(0)
	v_add_f32_e32 v2, v10, v2
	ds_bpermute_b32 v3, v3, v2
	s_waitcnt lgkmcnt(0)
	v_add_f32_e32 v2, v2, v3
	;; [unrolled: 3-line block ×6, first 2 shown]
	s_and_saveexec_b64 s[10:11], vcc
	s_cbranch_execz .LBB323_599
; %bb.598:
	ds_write_b32 v6, v2 offset:392
.LBB323_599:
	s_or_b64 exec, exec, s[10:11]
	s_waitcnt lgkmcnt(0)
	s_barrier
	s_and_saveexec_b64 s[10:11], s[6:7]
	s_cbranch_execz .LBB323_601
; %bb.600:
	ds_read_b32 v2, v7 offset:392
.LBB323_601:
	s_or_b64 exec, exec, s[10:11]
	s_waitcnt lgkmcnt(0)
	ds_bpermute_b32 v3, v28, v2
	s_waitcnt lgkmcnt(0)
	v_add_f32_e32 v2, v2, v3
	ds_bpermute_b32 v2, v8, v2
	s_and_saveexec_b64 s[6:7], s[8:9]
	s_cbranch_execz .LBB323_614
; %bb.602:
	s_waitcnt lgkmcnt(0)
	v_add_f32_e32 v3, 0x358637bd, v2
	v_div_scale_f32 v4, s[8:9], v3, v3, 1.0
	v_rcp_f32_e32 v5, v4
	v_div_scale_f32 v6, vcc, 1.0, v3, 1.0
	s_movk_i32 s8, 0x7f
	v_fma_f32 v7, -v4, v5, 1.0
	v_fmac_f32_e32 v5, v7, v5
	v_mul_f32_e32 v7, v6, v5
	v_fma_f32 v8, -v4, v7, v6
	v_fmac_f32_e32 v7, v8, v5
	v_fma_f32 v4, -v4, v7, v6
	v_div_fmas_f32 v4, v4, v5, v7
	v_div_fixup_f32 v8, v4, v3, 1.0
	v_xad_u32 v3, v20, -1, v9
	v_subrev_u32_e32 v4, s23, v3
	v_cmp_lt_u32_e32 vcc, s8, v4
	s_mov_b64 s[10:11], -1
	v_mov_b32_e32 v3, v20
	s_and_saveexec_b64 s[8:9], vcc
	s_cbranch_execz .LBB323_611
; %bb.603:
	v_lshrrev_b32_e32 v3, 7, v4
	v_add_u32_e32 v5, -1, v3
	v_lshrrev_b32_e32 v4, 1, v5
	v_mov_b32_e32 v9, v8
	v_add_u32_e32 v4, 1, v4
	v_cmp_lt_u32_e32 vcc, 13, v5
	v_mov_b32_e32 v7, 0
	s_and_saveexec_b64 s[10:11], vcc
	s_cbranch_execz .LBB323_607
; %bb.604:
	s_ashr_i32 s19, s18, 31
	s_lshl_b64 s[24:25], s[18:19], 2
	s_getpc_b64 s[26:27]
	s_add_u32 s26, s26, llvm.amdgcn.dynlds.offset.table@rel32@lo+4
	s_addc_u32 s27, s27, llvm.amdgcn.dynlds.offset.table@rel32@hi+12
	s_add_u32 s24, s24, s26
	s_addc_u32 s25, s25, s27
	s_load_dword s21, s[24:25], 0x0
	v_and_b32_e32 v5, -8, v4
	s_mov_b32 s19, 0
	s_mov_b64 s[24:25], 0
	s_waitcnt lgkmcnt(0)
	v_lshl_add_u32 v6, v20, 2, s21
.LBB323_605:                            ; =>This Inner Loop Header: Depth=1
	ds_read2st64_b32 v[10:11], v6 offset1:2
	ds_read2st64_b32 v[12:13], v6 offset0:4 offset1:6
	ds_read2st64_b32 v[14:15], v6 offset0:8 offset1:10
	;; [unrolled: 1-line block ×3, first 2 shown]
	v_add_u32_e32 v5, -8, v5
	s_waitcnt lgkmcnt(3)
	v_pk_mul_f32 v[10:11], v[8:9], v[10:11]
	s_waitcnt lgkmcnt(2)
	v_pk_mul_f32 v[12:13], v[8:9], v[12:13]
	ds_write2st64_b32 v6, v10, v11 offset1:2
	ds_write2st64_b32 v6, v12, v13 offset0:4 offset1:6
	ds_read2st64_b32 v[12:13], v6 offset0:16 offset1:18
	s_waitcnt lgkmcnt(4)
	v_pk_mul_f32 v[10:11], v[8:9], v[14:15]
	ds_write2st64_b32 v6, v10, v11 offset0:8 offset1:10
	s_waitcnt lgkmcnt(4)
	v_pk_mul_f32 v[10:11], v[8:9], v[16:17]
	ds_write2st64_b32 v6, v10, v11 offset0:12 offset1:14
	ds_read2st64_b32 v[10:11], v6 offset0:20 offset1:22
	s_waitcnt lgkmcnt(3)
	v_pk_mul_f32 v[12:13], v[8:9], v[12:13]
	ds_read2st64_b32 v[14:15], v6 offset0:24 offset1:26
	ds_write2st64_b32 v6, v12, v13 offset0:16 offset1:18
	ds_read2st64_b32 v[12:13], v6 offset0:28 offset1:30
	s_waitcnt lgkmcnt(3)
	v_pk_mul_f32 v[10:11], v[8:9], v[10:11]
	ds_write2st64_b32 v6, v10, v11 offset0:20 offset1:22
	s_waitcnt lgkmcnt(3)
	v_pk_mul_f32 v[10:11], v[8:9], v[14:15]
	ds_write2st64_b32 v6, v10, v11 offset0:24 offset1:26
	s_waitcnt lgkmcnt(2)
	v_pk_mul_f32 v[10:11], v[8:9], v[12:13]
	s_add_i32 s19, s19, 16
	v_cmp_eq_u32_e32 vcc, 0, v5
	ds_write2st64_b32 v6, v10, v11 offset0:28 offset1:30
	v_add_u32_e32 v6, 0x2000, v6
	s_or_b64 s[24:25], vcc, s[24:25]
	v_mov_b32_e32 v7, s19
	s_andn2_b64 exec, exec, s[24:25]
	s_cbranch_execnz .LBB323_605
; %bb.606:
	s_or_b64 exec, exec, s[24:25]
.LBB323_607:
	s_or_b64 exec, exec, s[10:11]
	v_and_b32_e32 v4, 7, v4
	v_cmp_ne_u32_e32 vcc, 0, v4
	s_and_saveexec_b64 s[10:11], vcc
	s_cbranch_execz .LBB323_610
; %bb.608:
	s_ashr_i32 s19, s18, 31
	s_lshl_b64 s[24:25], s[18:19], 2
	s_getpc_b64 s[26:27]
	s_add_u32 s26, s26, llvm.amdgcn.dynlds.offset.table@rel32@lo+4
	s_addc_u32 s27, s27, llvm.amdgcn.dynlds.offset.table@rel32@hi+12
	s_add_u32 s24, s24, s26
	s_addc_u32 s25, s25, s27
	s_load_dword s19, s[24:25], 0x0
	v_lshlrev_b32_e32 v5, 9, v7
	v_lshlrev_b32_e32 v6, 2, v20
	s_mov_b64 s[24:25], 0
	s_waitcnt lgkmcnt(0)
	v_add3_u32 v5, v5, v6, s19
.LBB323_609:                            ; =>This Inner Loop Header: Depth=1
	ds_read2st64_b32 v[6:7], v5 offset1:2
	v_add_u32_e32 v4, -1, v4
	v_cmp_eq_u32_e32 vcc, 0, v4
	s_or_b64 s[24:25], vcc, s[24:25]
	s_waitcnt lgkmcnt(0)
	v_pk_mul_f32 v[6:7], v[8:9], v[6:7]
	ds_write2st64_b32 v5, v6, v7 offset1:2
	v_add_u32_e32 v5, 0x400, v5
	s_andn2_b64 exec, exec, s[24:25]
	s_cbranch_execnz .LBB323_609
.LBB323_610:
	s_or_b64 exec, exec, s[10:11]
	v_add_u32_e32 v4, 1, v3
	v_and_b32_e32 v5, 0x3fffffe, v4
	v_cmp_ne_u32_e32 vcc, v4, v5
	v_lshl_add_u32 v3, v5, 7, v20
	s_orn2_b64 s[10:11], vcc, exec
.LBB323_611:
	s_or_b64 exec, exec, s[8:9]
	s_and_b64 exec, exec, s[10:11]
	s_cbranch_execz .LBB323_614
; %bb.612:
	s_ashr_i32 s19, s18, 31
	s_lshl_b64 s[8:9], s[18:19], 2
	s_getpc_b64 s[10:11]
	s_add_u32 s10, s10, llvm.amdgcn.dynlds.offset.table@rel32@lo+4
	s_addc_u32 s11, s11, llvm.amdgcn.dynlds.offset.table@rel32@hi+12
	s_add_u32 s8, s8, s10
	s_addc_u32 s9, s9, s11
	s_load_dword s8, s[8:9], 0x0
	s_waitcnt lgkmcnt(0)
	v_lshl_add_u32 v4, v3, 2, s8
	s_mov_b64 s[8:9], 0
.LBB323_613:                            ; =>This Inner Loop Header: Depth=1
	ds_read_b32 v5, v4
	v_add_u32_e32 v3, 0x80, v3
	v_cmp_ge_i32_e32 vcc, v3, v1
	s_or_b64 s[8:9], vcc, s[8:9]
	s_waitcnt lgkmcnt(0)
	v_mul_f32_e32 v5, v8, v5
	ds_write_b32 v4, v5
	v_add_u32_e32 v4, 0x200, v4
	s_andn2_b64 exec, exec, s[8:9]
	s_cbranch_execnz .LBB323_613
.LBB323_614:
	s_or_b64 exec, exec, s[6:7]
	v_cmp_ne_u16_e64 s[6:7], s28, 0
	s_cmp_lg_u64 s[6:7], 0
	s_addc_u32 s21, s13, 0
	s_mul_i32 s6, s21, s22
	v_cmp_eq_u32_e32 vcc, 0, v20
	s_mul_i32 s6, s6, s15
	s_waitcnt lgkmcnt(0)
	s_barrier
	s_and_saveexec_b64 s[8:9], vcc
	s_cbranch_execz .LBB323_616
; %bb.615:
	buffer_load_dword v3, off, s[0:3], s32 offset:376 ; 4-byte Folded Reload
	s_mul_i32 s12, s21, s12
	s_ashr_i32 s7, s6, 31
	s_ashr_i32 s13, s12, 31
	;; [unrolled: 1-line block ×3, first 2 shown]
	s_lshl_b64 s[10:11], s[6:7], 2
	s_lshl_b64 s[12:13], s[12:13], 2
	s_lshl_b64 s[24:25], s[14:15], 2
	s_add_u32 s7, s24, s12
	s_addc_u32 s12, s25, s13
	s_add_u32 s7, s7, s10
	s_addc_u32 s10, s12, s11
	v_mov_b32_e32 v1, s10
	s_waitcnt vmcnt(0)
	v_add_co_u32_e32 v4, vcc, s7, v3
	buffer_load_dword v3, off, s[0:3], s32 offset:416 ; 4-byte Folded Reload
	s_waitcnt vmcnt(0)
	v_addc_co_u32_e32 v5, vcc, v1, v3, vcc
	flat_store_dword v[4:5], v0
	buffer_load_dword v0, off, s[0:3], s32 offset:412 ; 4-byte Folded Reload
	s_nop 0
	buffer_load_dword v3, off, s[0:3], s32 offset:408 ; 4-byte Folded Reload
	s_waitcnt vmcnt(0)
	v_add_co_u32_e32 v0, vcc, s7, v0
	v_addc_co_u32_e32 v1, vcc, v1, v3, vcc
	flat_store_dword v[0:1], v2
.LBB323_616:
	s_or_b64 exec, exec, s[8:9]
	v_mov_b32_e32 v24, 0
	v_and_b32_e32 v29, 3, v20
	v_mov_b32_e32 v25, 0
	v_mov_b32_e32 v20, 0
	;; [unrolled: 1-line block ×11, first 2 shown]
	s_and_saveexec_b64 s[8:9], s[4:5]
	s_cbranch_execz .LBB323_1220
; %bb.617:
	s_ashr_i32 s19, s18, 31
	s_lshl_b64 s[4:5], s[18:19], 2
	s_getpc_b64 s[10:11]
	s_add_u32 s10, s10, llvm.amdgcn.dynlds.offset.table@rel32@lo+4
	s_addc_u32 s11, s11, llvm.amdgcn.dynlds.offset.table@rel32@hi+12
	s_add_u32 s4, s4, s10
	s_addc_u32 s5, s5, s11
	buffer_load_dword v1, off, s[0:3], s32 offset:404 ; 4-byte Folded Reload
	s_load_dword s4, s[4:5], 0x0
	buffer_load_dword v3, off, s[0:3], s32 offset:396 ; 4-byte Folded Reload
	buffer_load_dword v0, off, s[0:3], s32 offset:372 ; 4-byte Folded Reload
	s_mov_b32 s10, -1
	v_accvgpr_write_b32 a16, v28
	v_accvgpr_write_b32 a15, v27
	;; [unrolled: 1-line block ×3, first 2 shown]
	s_mov_b32 s11, 0xffffff
	v_mov_b32_e32 v31, 0
	v_accvgpr_read_b32 v17, a8
	v_accvgpr_write_b32 a7, v29
	s_mov_b64 s[12:13], 0
	s_movk_i32 s7, 0x80
	s_movk_i32 s15, 0x7f
	s_mov_b32 s19, 0x8000
	s_movk_i32 s28, 0x380
	s_mov_b32 s29, 0x3020706
	s_mov_b32 s30, 0x1000504
	;; [unrolled: 1-line block ×3, first 2 shown]
	v_mov_b32_e32 v39, 0x2000
	v_mov_b32_e32 v9, 0
	;; [unrolled: 1-line block ×9, first 2 shown]
	s_waitcnt vmcnt(0)
	v_and_b32_e32 v2, 24, v1
	v_add_co_u32_e32 v4, vcc, v0, v3
	buffer_load_dword v3, off, s[0:3], s32 offset:392 ; 4-byte Folded Reload
	buffer_load_dword v0, off, s[0:3], s32 offset:368 ; 4-byte Folded Reload
	s_waitcnt vmcnt(0)
	v_addc_co_u32_e32 v5, vcc, v0, v3, vcc
	buffer_load_dword v0, off, s[0:3], s32 offset:400 ; 4-byte Folded Reload
	v_accvgpr_write_b32 a13, v5
	v_accvgpr_write_b32 a12, v4
	s_waitcnt vmcnt(0)
	v_add_u32_e32 v0, -1, v0
	v_accvgpr_write_b32 a17, v0
	v_and_b32_e32 v0, 0x1f8, v1
	v_or_b32_e32 v4, 0x1000, v0
	v_accvgpr_write_b32 a20, v4
	v_or_b32_e32 v4, 0x1200, v0
	v_accvgpr_write_b32 a24, v4
	;; [unrolled: 2-line block ×3, first 2 shown]
	buffer_load_dword v4, off, s[0:3], s32 offset:384 ; 4-byte Folded Reload
	buffer_load_dword v5, off, s[0:3], s32 offset:388 ; 4-byte Folded Reload
	;; [unrolled: 1-line block ×3, first 2 shown]
	v_accvgpr_write_b32 a18, v0
	v_or_b32_e32 v0, 0x1600, v0
	v_accvgpr_write_b32 a28, v0
	v_accvgpr_read_b32 v0, a10
	v_accvgpr_read_b32 v1, a11
	v_lshlrev_b64 v[0:1], 2, v[0:1]
	s_waitcnt vmcnt(0)
	v_add_co_u32_e32 v0, vcc, v4, v0
	v_addc_co_u32_e32 v1, vcc, v5, v1, vcc
	v_add_co_u32_e32 v14, vcc, v3, v0
	buffer_load_dword v0, off, s[0:3], s32 offset:348 ; 4-byte Folded Reload
	v_mov_b32_e32 v3, 0
	s_waitcnt vmcnt(0)
	v_addc_co_u32_e32 v15, vcc, v0, v1, vcc
	buffer_load_dword v0, off, s[0:3], s32 offset:380 ; 4-byte Folded Reload
	buffer_load_dword v1, off, s[0:3], s32 offset:344 ; 4-byte Folded Reload
	s_waitcnt vmcnt(0)
	v_add3_u32 v7, s23, v0, v2
	v_lshlrev_b32_e32 v0, 5, v29
	v_lshl_or_b32 v0, v1, 7, v0
	s_waitcnt lgkmcnt(0)
	v_add_u32_e32 v23, s4, v0
	v_mov_b32_e32 v1, 0
	v_mov_b32_e32 v0, 0
	;; [unrolled: 1-line block ×3, first 2 shown]
	s_branch .LBB323_619
.LBB323_618:                            ;   in Loop: Header=BB323_619 Depth=1
	s_or_b64 exec, exec, s[4:5]
	v_add_f32_e32 v4, v27, v54
	v_add_f32_e32 v0, v0, v4
	;; [unrolled: 1-line block ×16, first 2 shown]
	v_accvgpr_read_b32 v4, a22
	v_accvgpr_read_b32 v5, a23
	v_add_f32_e32 v4, v4, v5
	v_add_f32_e32 v20, v20, v4
	v_accvgpr_read_b32 v4, a19
	v_accvgpr_read_b32 v5, a21
	v_add_f32_e32 v4, v4, v5
	v_add_f32_e32 v25, v25, v4
	;; [unrolled: 1-line block ×4, first 2 shown]
	;;#ASMSTART
	v_pk_mul_f16 v4, v59, v48;

	;;#ASMEND
	;;#ASMSTART
	v_pk_mul_f16 v5, v60, v30;

	;;#ASMEND
	;; [unrolled: 4-line block ×4, first 2 shown]
	;;#ASMSTART
	v_pk_add_f16 v4, v4, v5;

	;;#ASMEND
	;;#ASMSTART
	v_pk_add_f16 v4, v4, v6;

	;;#ASMEND
	;; [unrolled: 4-line block ×3, first 2 shown]
	v_lshrrev_b32_e32 v5, 16, v4
	v_and_b32_e32 v4, 0xffff, v4
	;;#ASMSTART
	v_cvt_f32_f16 v4, v4;
	;;#ASMEND
	;;#ASMSTART
	v_cvt_f32_f16 v5, v5;
	;;#ASMEND
	v_add_f32_e32 v4, v4, v5
	v_accvgpr_read_b32 v6, a10
	v_add_co_u32_e32 v14, vcc, 8, v14
	v_add_f32_e32 v1, v1, v4
	v_add_u32_e32 v6, 2, v6
	v_addc_co_u32_e32 v15, vcc, 0, v15, vcc
	v_accvgpr_read_b32 v4, a3
	v_cmp_ge_i32_e32 vcc, v6, v4
	v_add_u32_e32 v7, 64, v7
	v_accvgpr_write_b32 a10, v6
	s_or_b64 s[12:13], vcc, s[12:13]
	v_add_u32_e32 v23, 0x100, v23
	s_andn2_b64 exec, exec, s[12:13]
	s_cbranch_execz .LBB323_1219
.LBB323_619:                            ; =>This Inner Loop Header: Depth=1
	flat_load_dword v16, v[14:15]
	ds_read2_b64 v[26:29], v23 offset1:1
	ds_read2_b64 v[32:35], v23 offset0:2 offset1:3
	v_accvgpr_read_b32 v18, a6
	v_mov_b32_e32 v52, 0
	s_waitcnt lgkmcnt(0)
	;;#ASMSTART
	v_cvt_f16_f32 v4, v26;

	;;#ASMEND
	;;#ASMSTART
	v_cvt_f16_f32 v5, v27;

	;;#ASMEND
	;; [unrolled: 4-line block ×4, first 2 shown]
	v_accvgpr_read_b32 v29, a13
	v_accvgpr_read_b32 v28, a12
	;;#ASMSTART
	v_cvt_f16_f32 v11, v32;

	;;#ASMEND
	;;#ASMSTART
	v_cvt_f16_f32 v22, v33;

	;;#ASMEND
	;; [unrolled: 4-line block ×4, first 2 shown]
	s_waitcnt vmcnt(0)
	v_mad_i64_i32 v[18:19], s[4:5], v16, v18, v[28:29]
	v_accvgpr_read_b32 v16, a18
	v_add_co_u32_e32 v48, vcc, v18, v16
	v_addc_co_u32_e32 v49, vcc, 0, v19, vcc
	v_accvgpr_read_b32 v29, a5
	flat_load_dwordx2 v[54:55], v[48:49]
	v_accvgpr_read_b32 v28, a4
	flat_load_dword v50, v[28:29]
	s_waitcnt vmcnt(0) lgkmcnt(0)
	v_cmp_ne_u16_sdwa s[22:23], v54, v31 src0_sel:BYTE_0 src1_sel:DWORD
	s_and_saveexec_b64 s[4:5], s[22:23]
	s_cbranch_execz .LBB323_625
; %bb.620:                              ;   in Loop: Header=BB323_619 Depth=1
	v_cmp_ne_u16_sdwa s[24:25], v54, s7 src0_sel:BYTE_0 src1_sel:DWORD
	v_bfrev_b32_e32 v52, 1
	s_and_saveexec_b64 s[22:23], s[24:25]
	s_cbranch_execz .LBB323_624
; %bb.621:                              ;   in Loop: Header=BB323_619 Depth=1
	v_and_b32_e32 v16, 0x7f, v54
	v_cmp_ne_u32_e32 vcc, s15, v16
	v_mov_b32_e32 v52, 0x7fc02000
	s_and_saveexec_b64 s[24:25], vcc
	s_cbranch_execz .LBB323_623
; %bb.622:                              ;   in Loop: Header=BB323_619 Depth=1
	v_and_b32_e32 v28, 7, v54
	v_ffbh_u32_e32 v28, v28
	v_min_u32_e32 v28, 32, v28
	v_subrev_u32_e32 v29, 28, v28
	v_cmp_gt_u32_e32 vcc, 8, v16
	v_lshrrev_b32_e32 v30, 3, v16
	v_sub_u32_e32 v32, 29, v28
	v_cndmask_b32_e32 v16, 0, v29, vcc
	v_lshlrev_b64 v[28:29], v16, v[54:55]
	v_cndmask_b32_e32 v16, v30, v32, vcc
	v_lshlrev_b32_e32 v29, 8, v54
	v_lshl_add_u32 v16, v16, 10, v39
	v_lshlrev_b32_e32 v28, 7, v28
	v_and_or_b32 v16, v29, s19, v16
	v_and_or_b32 v16, v28, s28, v16
	v_cvt_f32_f16_e32 v52, v16
.LBB323_623:                            ;   in Loop: Header=BB323_619 Depth=1
	s_or_b64 exec, exec, s[24:25]
.LBB323_624:                            ;   in Loop: Header=BB323_619 Depth=1
	s_or_b64 exec, exec, s[22:23]
.LBB323_625:                            ;   in Loop: Header=BB323_619 Depth=1
	s_or_b64 exec, exec, s[4:5]
	v_lshrrev_b16_e32 v30, 8, v54
	v_cmp_ne_u16_e32 vcc, 0, v30
	v_mov_b32_e32 v53, 0
	v_mov_b32_e32 v40, 0
	s_and_saveexec_b64 s[4:5], vcc
	s_cbranch_execz .LBB323_631
; %bb.626:                              ;   in Loop: Header=BB323_619 Depth=1
	v_cmp_ne_u16_e32 vcc, s7, v30
	v_bfrev_b32_e32 v40, 1
	s_and_saveexec_b64 s[22:23], vcc
	s_cbranch_execz .LBB323_630
; %bb.627:                              ;   in Loop: Header=BB323_619 Depth=1
	v_and_b32_e32 v16, 0x7f, v30
	v_cmp_ne_u32_e32 vcc, s15, v16
	v_mov_b32_e32 v40, 0x7fc02000
	s_and_saveexec_b64 s[24:25], vcc
	s_cbranch_execz .LBB323_629
; %bb.628:                              ;   in Loop: Header=BB323_619 Depth=1
	v_and_b32_e32 v32, 7, v30
	v_ffbh_u32_e32 v28, v32
	v_min_u32_e32 v34, 32, v28
	v_subrev_u32_e32 v28, 28, v34
	v_lshlrev_b64 v[28:29], v28, v[30:31]
	v_lshrrev_b32_e32 v33, 3, v16
	v_sub_u32_e32 v29, 29, v34
	v_cmp_gt_u32_e32 vcc, 8, v16
	v_cndmask_b32_e32 v16, v33, v29, vcc
	v_and_b32_e32 v28, 7, v28
	v_lshlrev_b32_e32 v29, 8, v30
	v_lshl_add_u32 v16, v16, 10, v39
	v_cndmask_b32_e32 v28, v32, v28, vcc
	v_and_or_b32 v16, v29, s19, v16
	v_lshl_or_b32 v16, v28, 7, v16
	v_cvt_f32_f16_e32 v40, v16
.LBB323_629:                            ;   in Loop: Header=BB323_619 Depth=1
	s_or_b64 exec, exec, s[24:25]
.LBB323_630:                            ;   in Loop: Header=BB323_619 Depth=1
	s_or_b64 exec, exec, s[22:23]
.LBB323_631:                            ;   in Loop: Header=BB323_619 Depth=1
	s_or_b64 exec, exec, s[4:5]
	v_lshrrev_b32_e32 v30, 16, v54
	v_cmp_ne_u16_sdwa s[22:23], v30, v31 src0_sel:BYTE_0 src1_sel:DWORD
	s_and_saveexec_b64 s[4:5], s[22:23]
	s_cbranch_execz .LBB323_637
; %bb.632:                              ;   in Loop: Header=BB323_619 Depth=1
	v_cmp_ne_u16_sdwa s[24:25], v30, s7 src0_sel:BYTE_0 src1_sel:DWORD
	v_bfrev_b32_e32 v53, 1
	s_and_saveexec_b64 s[22:23], s[24:25]
	s_cbranch_execz .LBB323_636
; %bb.633:                              ;   in Loop: Header=BB323_619 Depth=1
	v_bfe_u32 v16, v54, 16, 7
	v_cmp_ne_u32_e32 vcc, s15, v16
	v_mov_b32_e32 v53, 0x7fc02000
	s_and_saveexec_b64 s[24:25], vcc
	s_cbranch_execz .LBB323_635
; %bb.634:                              ;   in Loop: Header=BB323_619 Depth=1
	v_and_b32_e32 v32, 7, v30
	v_ffbh_u32_e32 v28, v32
	v_min_u32_e32 v34, 32, v28
	v_subrev_u32_e32 v28, 28, v34
	v_lshlrev_b64 v[28:29], v28, v[30:31]
	v_lshrrev_b32_e32 v33, 3, v16
	v_sub_u32_e32 v29, 29, v34
	v_cmp_gt_u32_e32 vcc, 8, v16
	v_cndmask_b32_e32 v16, v33, v29, vcc
	v_and_b32_e32 v28, 7, v28
	v_lshlrev_b32_e32 v29, 8, v30
	v_lshl_add_u32 v16, v16, 10, v39
	v_cndmask_b32_e32 v28, v32, v28, vcc
	v_and_or_b32 v16, v29, s19, v16
	v_lshl_or_b32 v16, v28, 7, v16
	v_cvt_f32_f16_e32 v53, v16
.LBB323_635:                            ;   in Loop: Header=BB323_619 Depth=1
	s_or_b64 exec, exec, s[24:25]
.LBB323_636:                            ;   in Loop: Header=BB323_619 Depth=1
	s_or_b64 exec, exec, s[22:23]
.LBB323_637:                            ;   in Loop: Header=BB323_619 Depth=1
	s_or_b64 exec, exec, s[4:5]
	v_cmp_lt_u32_e32 vcc, s11, v54
	v_mov_b32_e32 v16, 0
	v_mov_b32_e32 v41, 0
	s_and_saveexec_b64 s[4:5], vcc
	s_cbranch_execz .LBB323_643
; %bb.638:                              ;   in Loop: Header=BB323_619 Depth=1
	v_lshrrev_b32_e32 v30, 24, v54
	v_cmp_ne_u32_e32 vcc, s7, v30
	v_bfrev_b32_e32 v41, 1
	s_and_saveexec_b64 s[22:23], vcc
	s_cbranch_execz .LBB323_642
; %bb.639:                              ;   in Loop: Header=BB323_619 Depth=1
	v_and_b32_e32 v28, 0x7f, v30
	v_cmp_ne_u32_e32 vcc, s15, v28
	v_mov_b32_e32 v41, 0x7fc02000
	s_and_saveexec_b64 s[24:25], vcc
	s_cbranch_execz .LBB323_641
; %bb.640:                              ;   in Loop: Header=BB323_619 Depth=1
	v_and_b32_e32 v29, 7, v30
	v_ffbh_u32_e32 v32, v29
	v_min_u32_e32 v35, 32, v32
	v_subrev_u32_e32 v32, 28, v35
	v_lshlrev_b64 v[32:33], v32, v[30:31]
	v_lshrrev_b32_e32 v34, 3, v28
	v_sub_u32_e32 v33, 29, v35
	v_cmp_gt_u32_e32 vcc, 8, v28
	v_cndmask_b32_e32 v28, v34, v33, vcc
	v_and_b32_e32 v32, 7, v32
	v_lshlrev_b32_e32 v30, 8, v30
	v_lshl_add_u32 v28, v28, 10, v39
	v_cndmask_b32_e32 v29, v29, v32, vcc
	v_and_or_b32 v28, v30, s19, v28
	v_lshl_or_b32 v28, v29, 7, v28
	v_cvt_f32_f16_e32 v41, v28
.LBB323_641:                            ;   in Loop: Header=BB323_619 Depth=1
	s_or_b64 exec, exec, s[24:25]
.LBB323_642:                            ;   in Loop: Header=BB323_619 Depth=1
	s_or_b64 exec, exec, s[22:23]
.LBB323_643:                            ;   in Loop: Header=BB323_619 Depth=1
	s_or_b64 exec, exec, s[4:5]
	v_mov_b32_e32 v30, v55
	v_cmp_ne_u16_sdwa s[22:23], v55, v31 src0_sel:BYTE_0 src1_sel:DWORD
	s_and_saveexec_b64 s[4:5], s[22:23]
	s_cbranch_execz .LBB323_649
; %bb.644:                              ;   in Loop: Header=BB323_619 Depth=1
	v_cmp_ne_u16_sdwa s[24:25], v55, s7 src0_sel:BYTE_0 src1_sel:DWORD
	v_bfrev_b32_e32 v16, 1
	s_and_saveexec_b64 s[22:23], s[24:25]
	s_cbranch_execz .LBB323_648
; %bb.645:                              ;   in Loop: Header=BB323_619 Depth=1
	v_and_b32_e32 v28, 0x7f, v55
	v_cmp_ne_u32_e32 vcc, s15, v28
	v_mov_b32_e32 v16, 0x7fc02000
	s_and_saveexec_b64 s[24:25], vcc
	s_cbranch_execz .LBB323_647
; %bb.646:                              ;   in Loop: Header=BB323_619 Depth=1
	v_and_b32_e32 v16, 7, v55
	v_ffbh_u32_e32 v16, v16
	v_min_u32_e32 v16, 32, v16
	v_subrev_u32_e32 v29, 28, v16
	v_cmp_gt_u32_e32 vcc, 8, v28
	v_lshrrev_b32_e32 v32, 3, v28
	v_sub_u32_e32 v16, 29, v16
	v_cndmask_b32_e32 v28, 0, v29, vcc
	v_lshlrev_b64 v[28:29], v28, v[30:31]
	v_cndmask_b32_e32 v16, v32, v16, vcc
	v_lshlrev_b32_e32 v29, 8, v55
	v_lshl_add_u32 v16, v16, 10, v39
	v_lshlrev_b32_e32 v28, 7, v28
	v_and_or_b32 v16, v29, s19, v16
	v_and_or_b32 v16, v28, s28, v16
	v_cvt_f32_f16_e32 v16, v16
.LBB323_647:                            ;   in Loop: Header=BB323_619 Depth=1
	s_or_b64 exec, exec, s[24:25]
.LBB323_648:                            ;   in Loop: Header=BB323_619 Depth=1
	s_or_b64 exec, exec, s[22:23]
.LBB323_649:                            ;   in Loop: Header=BB323_619 Depth=1
	s_or_b64 exec, exec, s[4:5]
	v_lshrrev_b16_e32 v30, 8, v30
	v_cmp_ne_u16_e32 vcc, 0, v30
	v_mov_b32_e32 v28, 0
	v_mov_b32_e32 v29, 0
	s_and_saveexec_b64 s[4:5], vcc
	s_cbranch_execz .LBB323_655
; %bb.650:                              ;   in Loop: Header=BB323_619 Depth=1
	v_cmp_ne_u16_e32 vcc, s7, v30
	v_bfrev_b32_e32 v29, 1
	s_and_saveexec_b64 s[22:23], vcc
	s_cbranch_execz .LBB323_654
; %bb.651:                              ;   in Loop: Header=BB323_619 Depth=1
	v_and_b32_e32 v32, 0x7f, v30
	v_cmp_ne_u32_e32 vcc, s15, v32
	v_mov_b32_e32 v29, 0x7fc02000
	s_and_saveexec_b64 s[24:25], vcc
	s_cbranch_execz .LBB323_653
; %bb.652:                              ;   in Loop: Header=BB323_619 Depth=1
	v_and_b32_e32 v29, 7, v30
	v_ffbh_u32_e32 v34, v29
	v_min_u32_e32 v36, 32, v34
	v_subrev_u32_e32 v34, 28, v36
	v_lshlrev_b64 v[34:35], v34, v[30:31]
	v_lshrrev_b32_e32 v33, 3, v32
	v_sub_u32_e32 v35, 29, v36
	v_cmp_gt_u32_e32 vcc, 8, v32
	v_cndmask_b32_e32 v32, v33, v35, vcc
	v_and_b32_e32 v34, 7, v34
	v_lshlrev_b32_e32 v30, 8, v30
	v_lshl_add_u32 v32, v32, 10, v39
	v_cndmask_b32_e32 v29, v29, v34, vcc
	v_and_or_b32 v30, v30, s19, v32
	v_lshl_or_b32 v29, v29, 7, v30
	v_cvt_f32_f16_e32 v29, v29
.LBB323_653:                            ;   in Loop: Header=BB323_619 Depth=1
	s_or_b64 exec, exec, s[24:25]
.LBB323_654:                            ;   in Loop: Header=BB323_619 Depth=1
	s_or_b64 exec, exec, s[22:23]
.LBB323_655:                            ;   in Loop: Header=BB323_619 Depth=1
	s_or_b64 exec, exec, s[4:5]
	v_lshrrev_b32_e32 v30, 16, v55
	v_cmp_ne_u16_sdwa s[22:23], v30, v31 src0_sel:BYTE_0 src1_sel:DWORD
	s_and_saveexec_b64 s[4:5], s[22:23]
	s_cbranch_execz .LBB323_661
; %bb.656:                              ;   in Loop: Header=BB323_619 Depth=1
	v_cmp_ne_u16_sdwa s[24:25], v30, s7 src0_sel:BYTE_0 src1_sel:DWORD
	v_bfrev_b32_e32 v28, 1
	s_and_saveexec_b64 s[22:23], s[24:25]
	s_cbranch_execz .LBB323_660
; %bb.657:                              ;   in Loop: Header=BB323_619 Depth=1
	v_bfe_u32 v32, v55, 16, 7
	v_cmp_ne_u32_e32 vcc, s15, v32
	v_mov_b32_e32 v28, 0x7fc02000
	s_and_saveexec_b64 s[24:25], vcc
	s_cbranch_execz .LBB323_659
; %bb.658:                              ;   in Loop: Header=BB323_619 Depth=1
	v_and_b32_e32 v28, 7, v30
	v_ffbh_u32_e32 v34, v28
	v_min_u32_e32 v36, 32, v34
	v_subrev_u32_e32 v34, 28, v36
	v_lshlrev_b64 v[34:35], v34, v[30:31]
	v_lshrrev_b32_e32 v33, 3, v32
	v_sub_u32_e32 v35, 29, v36
	v_cmp_gt_u32_e32 vcc, 8, v32
	v_cndmask_b32_e32 v32, v33, v35, vcc
	v_and_b32_e32 v34, 7, v34
	v_lshlrev_b32_e32 v30, 8, v30
	v_lshl_add_u32 v32, v32, 10, v39
	v_cndmask_b32_e32 v28, v28, v34, vcc
	v_and_or_b32 v30, v30, s19, v32
	v_lshl_or_b32 v28, v28, 7, v30
	v_cvt_f32_f16_e32 v28, v28
.LBB323_659:                            ;   in Loop: Header=BB323_619 Depth=1
	s_or_b64 exec, exec, s[24:25]
.LBB323_660:                            ;   in Loop: Header=BB323_619 Depth=1
	s_or_b64 exec, exec, s[22:23]
.LBB323_661:                            ;   in Loop: Header=BB323_619 Depth=1
	s_or_b64 exec, exec, s[4:5]
	v_cmp_lt_u64_e32 vcc, s[10:11], v[54:55]
	v_mov_b32_e32 v33, 0
	s_and_saveexec_b64 s[4:5], vcc
	s_cbranch_execz .LBB323_667
; %bb.662:                              ;   in Loop: Header=BB323_619 Depth=1
	v_lshrrev_b32_e32 v30, 24, v55
	v_cmp_ne_u32_e32 vcc, s7, v30
	v_bfrev_b32_e32 v33, 1
	s_and_saveexec_b64 s[22:23], vcc
	s_cbranch_execz .LBB323_666
; %bb.663:                              ;   in Loop: Header=BB323_619 Depth=1
	v_and_b32_e32 v32, 0x7f, v30
	v_cmp_ne_u32_e32 vcc, s15, v32
	v_mov_b32_e32 v33, 0x7fc02000
	s_and_saveexec_b64 s[24:25], vcc
	s_cbranch_execz .LBB323_665
; %bb.664:                              ;   in Loop: Header=BB323_619 Depth=1
	v_and_b32_e32 v33, 7, v30
	v_ffbh_u32_e32 v34, v33
	v_min_u32_e32 v37, 32, v34
	v_subrev_u32_e32 v34, 28, v37
	v_lshlrev_b64 v[34:35], v34, v[30:31]
	v_lshrrev_b32_e32 v36, 3, v32
	v_sub_u32_e32 v35, 29, v37
	v_cmp_gt_u32_e32 vcc, 8, v32
	v_cndmask_b32_e32 v32, v36, v35, vcc
	v_and_b32_e32 v34, 7, v34
	v_lshlrev_b32_e32 v30, 8, v30
	v_lshl_add_u32 v32, v32, 10, v39
	v_cndmask_b32_e32 v33, v33, v34, vcc
	v_and_or_b32 v30, v30, s19, v32
	v_lshl_or_b32 v30, v33, 7, v30
	v_cvt_f32_f16_e32 v33, v30
.LBB323_665:                            ;   in Loop: Header=BB323_619 Depth=1
	s_or_b64 exec, exec, s[24:25]
.LBB323_666:                            ;   in Loop: Header=BB323_619 Depth=1
	s_or_b64 exec, exec, s[22:23]
.LBB323_667:                            ;   in Loop: Header=BB323_619 Depth=1
	s_or_b64 exec, exec, s[4:5]
	v_pk_mul_f32 v[34:35], v[50:51], v[40:41] op_sel_hi:[0,1]
	v_pk_mul_f32 v[36:37], v[50:51], v[52:53] op_sel_hi:[0,1]
	v_cvt_f16_f32_e32 v30, v35
	v_cvt_f16_f32_e32 v32, v34
	;; [unrolled: 1-line block ×4, first 2 shown]
	v_fma_mixlo_f16 v29, v50, v29, 0
	v_lshlrev_b32_e32 v29, 16, v29
	v_fma_mixlo_f16 v16, v50, v16, 0
	v_or_b32_sdwa v16, v29, v16 dst_sel:DWORD dst_unused:UNUSED_PAD src0_sel:DWORD src1_sel:WORD_0
	v_fma_mixlo_f16 v29, v50, v28, 0
	v_fma_mixlo_f16 v28, v50, v33, 0
	v_accvgpr_read_b32 v36, a10
	v_accvgpr_read_b32 v37, a17
	v_pack_b32_f16 v32, v32, v30
	v_pack_b32_f16 v34, v35, v34
	v_lshlrev_b32_e32 v28, 16, v28
	v_cmp_eq_u32_e32 vcc, v37, v36
	v_perm_b32 v30, v34, v32, s29
	v_perm_b32 v32, v34, v32, s30
	v_or_b32_sdwa v28, v28, v29 dst_sel:DWORD dst_unused:UNUSED_PAD src0_sel:DWORD src1_sel:WORD_0
	v_add_u32_e32 v44, 1, v7
	v_or_b32_e32 v58, 3, v7
	v_or_b32_e32 v57, 2, v7
	v_or_b32_e32 v56, 5, v7
	v_or_b32_e32 v47, 4, v7
	v_or_b32_e32 v46, 7, v7
	v_or_b32_e32 v45, 6, v7
	s_and_saveexec_b64 s[22:23], vcc
	s_cbranch_execz .LBB323_669
; %bb.668:                              ;   in Loop: Header=BB323_619 Depth=1
	v_lshrrev_b32_e32 v33, 16, v32
	v_cmp_lt_i32_e64 s[4:5], v44, v17
	v_accvgpr_read_b32 v34, a8
	v_cndmask_b32_e64 v33, 0, v33, s[4:5]
	v_cmp_lt_i32_e64 s[4:5], v7, v34
	v_cndmask_b32_e64 v32, 0, v32, s[4:5]
	v_perm_b32 v32, v33, v32, s31
	v_lshrrev_b32_e32 v33, 16, v30
	v_cmp_lt_i32_e64 s[4:5], v58, v17
	v_cndmask_b32_e64 v33, 0, v33, s[4:5]
	v_cmp_lt_i32_e64 s[4:5], v57, v34
	v_cndmask_b32_e64 v30, 0, v30, s[4:5]
	v_perm_b32 v30, v33, v30, s31
	v_lshrrev_b32_e32 v33, 16, v16
	v_cmp_lt_i32_e64 s[4:5], v56, v17
	v_cndmask_b32_e64 v33, 0, v33, s[4:5]
	v_cmp_lt_i32_e64 s[4:5], v47, v34
	v_cndmask_b32_e64 v16, 0, v16, s[4:5]
	v_lshrrev_b32_e32 v28, 16, v28
	v_cmp_lt_i32_e64 s[4:5], v46, v17
	v_cndmask_b32_e64 v28, 0, v28, s[4:5]
	v_cmp_lt_i32_e64 s[4:5], v45, v34
	v_cndmask_b32_e64 v29, 0, v29, s[4:5]
	v_perm_b32 v16, v33, v16, s31
	v_perm_b32 v28, v28, v29, s31
.LBB323_669:                            ;   in Loop: Header=BB323_619 Depth=1
	s_or_b64 exec, exec, s[22:23]
	v_and_b32_e32 v4, 0xffff, v4
	v_lshl_or_b32 v59, v5, 16, v4
	v_and_b32_e32 v4, 0xffff, v6
	v_lshl_or_b32 v60, v10, 16, v4
	;; [unrolled: 2-line block ×4, first 2 shown]
	;;#ASMSTART
	v_pk_mul_f16 v4, v59, v32;

	;;#ASMEND
	;;#ASMSTART
	v_pk_mul_f16 v5, v60, v30;

	;;#ASMEND
	;;#ASMSTART
	v_pk_mul_f16 v6, v61, v16;

	;;#ASMEND
	;;#ASMSTART
	v_pk_mul_f16 v10, v62, v28;

	;;#ASMEND
	;;#ASMSTART
	v_pk_add_f16 v4, v4, v5;

	;;#ASMEND
	;;#ASMSTART
	v_pk_add_f16 v4, v4, v6;

	;;#ASMEND
	;; [unrolled: 4-line block ×3, first 2 shown]
	v_lshrrev_b32_e32 v5, 16, v4
	v_and_b32_e32 v4, 0xffff, v4
	;;#ASMSTART
	v_cvt_f32_f16 v43, v4;
	;;#ASMEND
	;;#ASMSTART
	v_cvt_f32_f16 v42, v5;
	;;#ASMEND
	v_accvgpr_read_b32 v4, a4
	flat_load_dwordx2 v[40:41], v[48:49] offset:512
	v_accvgpr_read_b32 v5, a5
	flat_load_dword v50, v[4:5]
	v_mov_b32_e32 v54, 0
	v_mov_b32_e32 v52, 0
	s_waitcnt vmcnt(0) lgkmcnt(0)
	v_cmp_ne_u16_sdwa s[4:5], v40, v31 src0_sel:BYTE_0 src1_sel:DWORD
	s_and_saveexec_b64 s[22:23], s[4:5]
	s_cbranch_execz .LBB323_675
; %bb.670:                              ;   in Loop: Header=BB323_619 Depth=1
	v_cmp_ne_u16_sdwa s[4:5], v40, s7 src0_sel:BYTE_0 src1_sel:DWORD
	v_bfrev_b32_e32 v52, 1
	s_and_saveexec_b64 s[24:25], s[4:5]
	s_cbranch_execz .LBB323_674
; %bb.671:                              ;   in Loop: Header=BB323_619 Depth=1
	v_and_b32_e32 v4, 0x7f, v40
	v_cmp_ne_u32_e64 s[4:5], s15, v4
	v_mov_b32_e32 v52, 0x7fc02000
	s_and_saveexec_b64 s[26:27], s[4:5]
	s_cbranch_execz .LBB323_673
; %bb.672:                              ;   in Loop: Header=BB323_619 Depth=1
	v_and_b32_e32 v5, 7, v40
	v_ffbh_u32_e32 v5, v5
	v_min_u32_e32 v5, 32, v5
	v_subrev_u32_e32 v10, 28, v5
	v_cmp_gt_u32_e64 s[4:5], 8, v4
	v_lshrrev_b32_e32 v6, 3, v4
	v_cndmask_b32_e64 v4, 0, v10, s[4:5]
	v_sub_u32_e32 v11, 29, v5
	v_lshlrev_b64 v[4:5], v4, v[40:41]
	v_cndmask_b32_e64 v5, v6, v11, s[4:5]
	v_lshlrev_b32_e32 v6, 8, v40
	v_lshl_add_u32 v5, v5, 10, v39
	v_lshlrev_b32_e32 v4, 7, v4
	v_and_or_b32 v5, v6, s19, v5
	v_and_or_b32 v4, v4, s28, v5
	v_cvt_f32_f16_e32 v52, v4
.LBB323_673:                            ;   in Loop: Header=BB323_619 Depth=1
	s_or_b64 exec, exec, s[26:27]
.LBB323_674:                            ;   in Loop: Header=BB323_619 Depth=1
	s_or_b64 exec, exec, s[24:25]
.LBB323_675:                            ;   in Loop: Header=BB323_619 Depth=1
	s_or_b64 exec, exec, s[22:23]
	v_lshrrev_b16_e32 v30, 8, v40
	v_cmp_ne_u16_e64 s[4:5], 0, v30
	s_and_saveexec_b64 s[22:23], s[4:5]
	s_cbranch_execz .LBB323_681
; %bb.676:                              ;   in Loop: Header=BB323_619 Depth=1
	v_cmp_ne_u16_e64 s[4:5], s7, v30
	v_bfrev_b32_e32 v54, 1
	s_and_saveexec_b64 s[24:25], s[4:5]
	s_cbranch_execz .LBB323_680
; %bb.677:                              ;   in Loop: Header=BB323_619 Depth=1
	v_and_b32_e32 v4, 0x7f, v30
	v_cmp_ne_u32_e64 s[4:5], s15, v4
	v_mov_b32_e32 v54, 0x7fc02000
	s_and_saveexec_b64 s[26:27], s[4:5]
	s_cbranch_execz .LBB323_679
; %bb.678:                              ;   in Loop: Header=BB323_619 Depth=1
	v_and_b32_e32 v5, 7, v30
	v_ffbh_u32_e32 v10, v5
	v_min_u32_e32 v16, 32, v10
	v_subrev_u32_e32 v10, 28, v16
	v_lshlrev_b64 v[10:11], v10, v[30:31]
	v_lshrrev_b32_e32 v6, 3, v4
	v_sub_u32_e32 v11, 29, v16
	v_cmp_gt_u32_e64 s[4:5], 8, v4
	v_cndmask_b32_e64 v4, v6, v11, s[4:5]
	v_and_b32_e32 v10, 7, v10
	v_lshlrev_b32_e32 v6, 8, v30
	v_lshl_add_u32 v4, v4, 10, v39
	v_cndmask_b32_e64 v5, v5, v10, s[4:5]
	v_and_or_b32 v4, v6, s19, v4
	v_lshl_or_b32 v4, v5, 7, v4
	v_cvt_f32_f16_e32 v54, v4
.LBB323_679:                            ;   in Loop: Header=BB323_619 Depth=1
	s_or_b64 exec, exec, s[26:27]
.LBB323_680:                            ;   in Loop: Header=BB323_619 Depth=1
	s_or_b64 exec, exec, s[24:25]
.LBB323_681:                            ;   in Loop: Header=BB323_619 Depth=1
	s_or_b64 exec, exec, s[22:23]
	v_lshrrev_b32_e32 v30, 16, v40
	v_cmp_ne_u16_sdwa s[4:5], v30, v31 src0_sel:BYTE_0 src1_sel:DWORD
	v_mov_b32_e32 v55, 0
	v_mov_b32_e32 v53, 0
	s_and_saveexec_b64 s[22:23], s[4:5]
	s_cbranch_execz .LBB323_687
; %bb.682:                              ;   in Loop: Header=BB323_619 Depth=1
	v_cmp_ne_u16_sdwa s[4:5], v30, s7 src0_sel:BYTE_0 src1_sel:DWORD
	v_bfrev_b32_e32 v53, 1
	s_and_saveexec_b64 s[24:25], s[4:5]
	s_cbranch_execz .LBB323_686
; %bb.683:                              ;   in Loop: Header=BB323_619 Depth=1
	v_bfe_u32 v4, v40, 16, 7
	v_cmp_ne_u32_e64 s[4:5], s15, v4
	v_mov_b32_e32 v53, 0x7fc02000
	s_and_saveexec_b64 s[26:27], s[4:5]
	s_cbranch_execz .LBB323_685
; %bb.684:                              ;   in Loop: Header=BB323_619 Depth=1
	v_and_b32_e32 v5, 7, v30
	v_ffbh_u32_e32 v10, v5
	v_min_u32_e32 v16, 32, v10
	v_subrev_u32_e32 v10, 28, v16
	v_lshlrev_b64 v[10:11], v10, v[30:31]
	v_lshrrev_b32_e32 v6, 3, v4
	v_sub_u32_e32 v11, 29, v16
	v_cmp_gt_u32_e64 s[4:5], 8, v4
	v_cndmask_b32_e64 v4, v6, v11, s[4:5]
	v_and_b32_e32 v10, 7, v10
	v_lshlrev_b32_e32 v6, 8, v30
	v_lshl_add_u32 v4, v4, 10, v39
	v_cndmask_b32_e64 v5, v5, v10, s[4:5]
	v_and_or_b32 v4, v6, s19, v4
	v_lshl_or_b32 v4, v5, 7, v4
	v_cvt_f32_f16_e32 v53, v4
.LBB323_685:                            ;   in Loop: Header=BB323_619 Depth=1
	s_or_b64 exec, exec, s[26:27]
.LBB323_686:                            ;   in Loop: Header=BB323_619 Depth=1
	s_or_b64 exec, exec, s[24:25]
.LBB323_687:                            ;   in Loop: Header=BB323_619 Depth=1
	s_or_b64 exec, exec, s[22:23]
	v_cmp_lt_u32_e64 s[4:5], s11, v40
	s_and_saveexec_b64 s[22:23], s[4:5]
	s_cbranch_execz .LBB323_693
; %bb.688:                              ;   in Loop: Header=BB323_619 Depth=1
	v_lshrrev_b32_e32 v30, 24, v40
	v_cmp_ne_u32_e64 s[4:5], s7, v30
	v_bfrev_b32_e32 v55, 1
	s_and_saveexec_b64 s[24:25], s[4:5]
	s_cbranch_execz .LBB323_692
; %bb.689:                              ;   in Loop: Header=BB323_619 Depth=1
	v_and_b32_e32 v4, 0x7f, v30
	v_cmp_ne_u32_e64 s[4:5], s15, v4
	v_mov_b32_e32 v55, 0x7fc02000
	s_and_saveexec_b64 s[26:27], s[4:5]
	s_cbranch_execz .LBB323_691
; %bb.690:                              ;   in Loop: Header=BB323_619 Depth=1
	v_and_b32_e32 v5, 7, v30
	v_ffbh_u32_e32 v10, v5
	v_min_u32_e32 v16, 32, v10
	v_subrev_u32_e32 v10, 28, v16
	v_lshlrev_b64 v[10:11], v10, v[30:31]
	v_lshrrev_b32_e32 v6, 3, v4
	v_sub_u32_e32 v11, 29, v16
	v_cmp_gt_u32_e64 s[4:5], 8, v4
	v_cndmask_b32_e64 v4, v6, v11, s[4:5]
	v_and_b32_e32 v10, 7, v10
	v_lshlrev_b32_e32 v6, 8, v30
	v_lshl_add_u32 v4, v4, 10, v39
	v_cndmask_b32_e64 v5, v5, v10, s[4:5]
	v_and_or_b32 v4, v6, s19, v4
	v_lshl_or_b32 v4, v5, 7, v4
	v_cvt_f32_f16_e32 v55, v4
.LBB323_691:                            ;   in Loop: Header=BB323_619 Depth=1
	s_or_b64 exec, exec, s[26:27]
.LBB323_692:                            ;   in Loop: Header=BB323_619 Depth=1
	s_or_b64 exec, exec, s[24:25]
.LBB323_693:                            ;   in Loop: Header=BB323_619 Depth=1
	s_or_b64 exec, exec, s[22:23]
	v_mov_b32_e32 v30, v41
	v_cmp_ne_u16_sdwa s[4:5], v41, v31 src0_sel:BYTE_0 src1_sel:DWORD
	v_mov_b32_e32 v6, 0
	v_mov_b32_e32 v4, 0
	s_and_saveexec_b64 s[22:23], s[4:5]
	s_cbranch_execz .LBB323_699
; %bb.694:                              ;   in Loop: Header=BB323_619 Depth=1
	v_cmp_ne_u16_sdwa s[4:5], v41, s7 src0_sel:BYTE_0 src1_sel:DWORD
	v_bfrev_b32_e32 v4, 1
	s_and_saveexec_b64 s[24:25], s[4:5]
	s_cbranch_execz .LBB323_698
; %bb.695:                              ;   in Loop: Header=BB323_619 Depth=1
	v_and_b32_e32 v5, 0x7f, v41
	v_cmp_ne_u32_e64 s[4:5], s15, v5
	v_mov_b32_e32 v4, 0x7fc02000
	s_and_saveexec_b64 s[26:27], s[4:5]
	s_cbranch_execz .LBB323_697
; %bb.696:                              ;   in Loop: Header=BB323_619 Depth=1
	v_and_b32_e32 v4, 7, v41
	v_ffbh_u32_e32 v4, v4
	v_min_u32_e32 v4, 32, v4
	v_subrev_u32_e32 v11, 28, v4
	v_cmp_gt_u32_e64 s[4:5], 8, v5
	v_sub_u32_e32 v16, 29, v4
	v_cndmask_b32_e64 v4, 0, v11, s[4:5]
	v_lshrrev_b32_e32 v10, 3, v5
	v_lshlrev_b64 v[4:5], v4, v[30:31]
	v_cndmask_b32_e64 v5, v10, v16, s[4:5]
	v_lshlrev_b32_e32 v10, 8, v41
	v_lshl_add_u32 v5, v5, 10, v39
	v_lshlrev_b32_e32 v4, 7, v4
	v_and_or_b32 v5, v10, s19, v5
	v_and_or_b32 v4, v4, s28, v5
	v_cvt_f32_f16_e32 v4, v4
.LBB323_697:                            ;   in Loop: Header=BB323_619 Depth=1
	s_or_b64 exec, exec, s[26:27]
.LBB323_698:                            ;   in Loop: Header=BB323_619 Depth=1
	s_or_b64 exec, exec, s[24:25]
.LBB323_699:                            ;   in Loop: Header=BB323_619 Depth=1
	s_or_b64 exec, exec, s[22:23]
	v_lshrrev_b16_e32 v30, 8, v30
	v_cmp_ne_u16_e64 s[4:5], 0, v30
	s_and_saveexec_b64 s[22:23], s[4:5]
	s_cbranch_execz .LBB323_705
; %bb.700:                              ;   in Loop: Header=BB323_619 Depth=1
	v_cmp_ne_u16_e64 s[4:5], s7, v30
	v_bfrev_b32_e32 v6, 1
	s_and_saveexec_b64 s[24:25], s[4:5]
	s_cbranch_execz .LBB323_704
; %bb.701:                              ;   in Loop: Header=BB323_619 Depth=1
	v_and_b32_e32 v10, 0x7f, v30
	v_cmp_ne_u32_e64 s[4:5], s15, v10
	v_mov_b32_e32 v6, 0x7fc02000
	s_and_saveexec_b64 s[26:27], s[4:5]
	s_cbranch_execz .LBB323_703
; %bb.702:                              ;   in Loop: Header=BB323_619 Depth=1
	v_and_b32_e32 v5, 7, v30
	v_ffbh_u32_e32 v11, v5
	v_min_u32_e32 v11, 32, v11
	v_lshrrev_b32_e32 v6, 3, v10
	v_subrev_u32_e32 v16, 28, v11
	v_sub_u32_e32 v11, 29, v11
	v_cmp_gt_u32_e64 s[4:5], 8, v10
	v_lshlrev_b64 v[26:27], v16, v[30:31]
	v_cndmask_b32_e64 v6, v6, v11, s[4:5]
	v_and_b32_e32 v16, 7, v26
	v_lshlrev_b32_e32 v10, 8, v30
	v_lshl_add_u32 v6, v6, 10, v39
	v_cndmask_b32_e64 v5, v5, v16, s[4:5]
	v_and_or_b32 v6, v10, s19, v6
	v_lshl_or_b32 v5, v5, 7, v6
	v_cvt_f32_f16_e32 v6, v5
.LBB323_703:                            ;   in Loop: Header=BB323_619 Depth=1
	s_or_b64 exec, exec, s[26:27]
.LBB323_704:                            ;   in Loop: Header=BB323_619 Depth=1
	s_or_b64 exec, exec, s[24:25]
.LBB323_705:                            ;   in Loop: Header=BB323_619 Depth=1
	s_or_b64 exec, exec, s[22:23]
	v_lshrrev_b32_e32 v30, 16, v41
	v_cmp_ne_u16_sdwa s[4:5], v30, v31 src0_sel:BYTE_0 src1_sel:DWORD
	v_mov_b32_e32 v10, 0
	v_mov_b32_e32 v11, 0
	s_and_saveexec_b64 s[22:23], s[4:5]
	s_cbranch_execz .LBB323_711
; %bb.706:                              ;   in Loop: Header=BB323_619 Depth=1
	v_cmp_ne_u16_sdwa s[4:5], v30, s7 src0_sel:BYTE_0 src1_sel:DWORD
	v_bfrev_b32_e32 v11, 1
	s_and_saveexec_b64 s[24:25], s[4:5]
	s_cbranch_execz .LBB323_710
; %bb.707:                              ;   in Loop: Header=BB323_619 Depth=1
	v_bfe_u32 v16, v41, 16, 7
	v_cmp_ne_u32_e64 s[4:5], s15, v16
	v_mov_b32_e32 v11, 0x7fc02000
	s_and_saveexec_b64 s[26:27], s[4:5]
	s_cbranch_execz .LBB323_709
; %bb.708:                              ;   in Loop: Header=BB323_619 Depth=1
	v_and_b32_e32 v5, 7, v30
	v_ffbh_u32_e32 v22, v5
	v_min_u32_e32 v22, 32, v22
	v_lshrrev_b32_e32 v11, 3, v16
	v_subrev_u32_e32 v26, 28, v22
	v_sub_u32_e32 v22, 29, v22
	v_cmp_gt_u32_e64 s[4:5], 8, v16
	v_lshlrev_b64 v[26:27], v26, v[30:31]
	v_cndmask_b32_e64 v11, v11, v22, s[4:5]
	v_and_b32_e32 v26, 7, v26
	v_lshlrev_b32_e32 v16, 8, v30
	v_lshl_add_u32 v11, v11, 10, v39
	v_cndmask_b32_e64 v5, v5, v26, s[4:5]
	v_and_or_b32 v11, v16, s19, v11
	v_lshl_or_b32 v5, v5, 7, v11
	v_cvt_f32_f16_e32 v11, v5
.LBB323_709:                            ;   in Loop: Header=BB323_619 Depth=1
	s_or_b64 exec, exec, s[26:27]
.LBB323_710:                            ;   in Loop: Header=BB323_619 Depth=1
	s_or_b64 exec, exec, s[24:25]
.LBB323_711:                            ;   in Loop: Header=BB323_619 Depth=1
	s_or_b64 exec, exec, s[22:23]
	v_cmp_lt_u64_e64 s[4:5], s[10:11], v[40:41]
	s_and_saveexec_b64 s[22:23], s[4:5]
	s_cbranch_execz .LBB323_717
; %bb.712:                              ;   in Loop: Header=BB323_619 Depth=1
	v_lshrrev_b32_e32 v30, 24, v41
	v_cmp_ne_u32_e64 s[4:5], s7, v30
	v_bfrev_b32_e32 v10, 1
	s_and_saveexec_b64 s[24:25], s[4:5]
	s_cbranch_execz .LBB323_716
; %bb.713:                              ;   in Loop: Header=BB323_619 Depth=1
	v_and_b32_e32 v16, 0x7f, v30
	v_cmp_ne_u32_e64 s[4:5], s15, v16
	v_mov_b32_e32 v10, 0x7fc02000
	s_and_saveexec_b64 s[26:27], s[4:5]
	s_cbranch_execz .LBB323_715
; %bb.714:                              ;   in Loop: Header=BB323_619 Depth=1
	v_and_b32_e32 v5, 7, v30
	v_ffbh_u32_e32 v22, v5
	v_min_u32_e32 v22, 32, v22
	v_lshrrev_b32_e32 v10, 3, v16
	v_subrev_u32_e32 v26, 28, v22
	v_sub_u32_e32 v22, 29, v22
	v_cmp_gt_u32_e64 s[4:5], 8, v16
	v_lshlrev_b64 v[26:27], v26, v[30:31]
	v_cndmask_b32_e64 v10, v10, v22, s[4:5]
	v_and_b32_e32 v26, 7, v26
	v_lshlrev_b32_e32 v16, 8, v30
	v_lshl_add_u32 v10, v10, 10, v39
	v_cndmask_b32_e64 v5, v5, v26, s[4:5]
	v_and_or_b32 v10, v16, s19, v10
	v_lshl_or_b32 v5, v5, 7, v10
	v_cvt_f32_f16_e32 v10, v5
.LBB323_715:                            ;   in Loop: Header=BB323_619 Depth=1
	s_or_b64 exec, exec, s[26:27]
.LBB323_716:                            ;   in Loop: Header=BB323_619 Depth=1
	s_or_b64 exec, exec, s[24:25]
.LBB323_717:                            ;   in Loop: Header=BB323_619 Depth=1
	s_or_b64 exec, exec, s[22:23]
	v_pk_mul_f32 v[26:27], v[50:51], v[54:55] op_sel_hi:[0,1]
	v_pk_mul_f32 v[28:29], v[50:51], v[52:53] op_sel_hi:[0,1]
	v_cvt_f16_f32_e32 v5, v27
	v_cvt_f16_f32_e32 v16, v26
	;; [unrolled: 1-line block ×4, first 2 shown]
	v_fma_mixlo_f16 v4, v50, v4, 0
	v_pack_b32_f16 v5, v16, v5
	v_fma_mixlo_f16 v11, v50, v11, 0
	v_pack_b32_f16 v22, v26, v22
	v_perm_b32 v16, v22, v5, s29
	v_perm_b32 v22, v22, v5, s30
	v_fma_mixlo_f16 v5, v50, v6, 0
	v_lshlrev_b32_e32 v5, 16, v5
	v_or_b32_sdwa v4, v5, v4 dst_sel:DWORD dst_unused:UNUSED_PAD src0_sel:DWORD src1_sel:WORD_0
	v_fma_mixlo_f16 v5, v50, v10, 0
	v_lshlrev_b32_e32 v5, 16, v5
	v_or_b32_sdwa v6, v5, v11 dst_sel:DWORD dst_unused:UNUSED_PAD src0_sel:DWORD src1_sel:WORD_0
	s_and_saveexec_b64 s[22:23], vcc
	s_cbranch_execz .LBB323_719
; %bb.718:                              ;   in Loop: Header=BB323_619 Depth=1
	v_lshrrev_b32_e32 v5, 16, v22
	v_cmp_lt_i32_e64 s[4:5], v44, v17
	v_accvgpr_read_b32 v26, a8
	v_cndmask_b32_e64 v5, 0, v5, s[4:5]
	v_cmp_lt_i32_e64 s[4:5], v7, v26
	v_cndmask_b32_e64 v10, 0, v22, s[4:5]
	v_perm_b32 v22, v5, v10, s31
	v_lshrrev_b32_e32 v5, 16, v16
	v_cmp_lt_i32_e64 s[4:5], v58, v17
	v_cndmask_b32_e64 v5, 0, v5, s[4:5]
	v_cmp_lt_i32_e64 s[4:5], v57, v26
	v_cndmask_b32_e64 v10, 0, v16, s[4:5]
	v_perm_b32 v16, v5, v10, s31
	v_lshrrev_b32_e32 v5, 16, v4
	v_cmp_lt_i32_e64 s[4:5], v56, v17
	;; [unrolled: 6-line block ×3, first 2 shown]
	v_cndmask_b32_e64 v5, 0, v5, s[4:5]
	v_cmp_lt_i32_e64 s[4:5], v45, v26
	v_cndmask_b32_e64 v6, 0, v11, s[4:5]
	v_perm_b32 v6, v5, v6, s31
.LBB323_719:                            ;   in Loop: Header=BB323_619 Depth=1
	s_or_b64 exec, exec, s[22:23]
	;;#ASMSTART
	v_pk_mul_f16 v5, v59, v22;

	;;#ASMEND
	;;#ASMSTART
	v_pk_mul_f16 v10, v60, v16;

	;;#ASMEND
	;; [unrolled: 4-line block ×4, first 2 shown]
	;;#ASMSTART
	v_pk_add_f16 v5, v5, v10;

	;;#ASMEND
	;;#ASMSTART
	v_pk_add_f16 v4, v5, v4;

	;;#ASMEND
	;; [unrolled: 4-line block ×3, first 2 shown]
	v_lshrrev_b32_e32 v5, 16, v4
	v_and_b32_e32 v4, 0xffff, v4
	;;#ASMSTART
	v_cvt_f32_f16 v4, v4;
	;;#ASMEND
	v_accvgpr_write_b32 a19, v4
	;;#ASMSTART
	v_cvt_f32_f16 v4, v5;
	;;#ASMEND
	v_accvgpr_write_b32 a21, v4
	v_accvgpr_read_b32 v4, a4
	flat_load_dwordx2 v[40:41], v[48:49] offset:1024
	v_accvgpr_read_b32 v5, a5
	flat_load_dword v50, v[4:5]
	v_mov_b32_e32 v54, 0
	v_mov_b32_e32 v52, 0
	s_waitcnt vmcnt(0) lgkmcnt(0)
	v_cmp_ne_u16_sdwa s[4:5], v40, v31 src0_sel:BYTE_0 src1_sel:DWORD
	s_and_saveexec_b64 s[22:23], s[4:5]
	s_cbranch_execz .LBB323_725
; %bb.720:                              ;   in Loop: Header=BB323_619 Depth=1
	v_cmp_ne_u16_sdwa s[4:5], v40, s7 src0_sel:BYTE_0 src1_sel:DWORD
	v_bfrev_b32_e32 v52, 1
	s_and_saveexec_b64 s[24:25], s[4:5]
	s_cbranch_execz .LBB323_724
; %bb.721:                              ;   in Loop: Header=BB323_619 Depth=1
	v_and_b32_e32 v5, 0x7f, v40
	v_cmp_ne_u32_e64 s[4:5], s15, v5
	v_mov_b32_e32 v52, 0x7fc02000
	s_and_saveexec_b64 s[26:27], s[4:5]
	s_cbranch_execz .LBB323_723
; %bb.722:                              ;   in Loop: Header=BB323_619 Depth=1
	v_and_b32_e32 v4, 7, v40
	v_ffbh_u32_e32 v4, v4
	v_min_u32_e32 v4, 32, v4
	v_lshrrev_b32_e32 v6, 3, v5
	v_subrev_u32_e32 v10, 28, v4
	v_sub_u32_e32 v4, 29, v4
	v_cmp_gt_u32_e64 s[4:5], 8, v5
	v_cndmask_b32_e64 v5, 0, v10, s[4:5]
	v_cndmask_b32_e64 v4, v6, v4, s[4:5]
	v_lshlrev_b64 v[10:11], v5, v[40:41]
	v_lshlrev_b32_e32 v6, 8, v40
	v_lshl_add_u32 v4, v4, 10, v39
	v_lshlrev_b32_e32 v5, 7, v10
	v_and_or_b32 v4, v6, s19, v4
	v_and_or_b32 v4, v5, s28, v4
	v_cvt_f32_f16_e32 v52, v4
.LBB323_723:                            ;   in Loop: Header=BB323_619 Depth=1
	s_or_b64 exec, exec, s[26:27]
.LBB323_724:                            ;   in Loop: Header=BB323_619 Depth=1
	s_or_b64 exec, exec, s[24:25]
.LBB323_725:                            ;   in Loop: Header=BB323_619 Depth=1
	s_or_b64 exec, exec, s[22:23]
	v_lshrrev_b16_e32 v30, 8, v40
	v_cmp_ne_u16_e64 s[4:5], 0, v30
	s_and_saveexec_b64 s[22:23], s[4:5]
	s_cbranch_execz .LBB323_731
; %bb.726:                              ;   in Loop: Header=BB323_619 Depth=1
	v_cmp_ne_u16_e64 s[4:5], s7, v30
	v_bfrev_b32_e32 v54, 1
	s_and_saveexec_b64 s[24:25], s[4:5]
	s_cbranch_execz .LBB323_730
; %bb.727:                              ;   in Loop: Header=BB323_619 Depth=1
	v_and_b32_e32 v6, 0x7f, v30
	v_cmp_ne_u32_e64 s[4:5], s15, v6
	v_mov_b32_e32 v54, 0x7fc02000
	s_and_saveexec_b64 s[26:27], s[4:5]
	s_cbranch_execz .LBB323_729
; %bb.728:                              ;   in Loop: Header=BB323_619 Depth=1
	v_and_b32_e32 v4, 7, v30
	v_ffbh_u32_e32 v10, v4
	v_min_u32_e32 v16, 32, v10
	v_subrev_u32_e32 v10, 28, v16
	v_lshlrev_b64 v[10:11], v10, v[30:31]
	v_lshrrev_b32_e32 v5, 3, v6
	v_sub_u32_e32 v11, 29, v16
	v_cmp_gt_u32_e64 s[4:5], 8, v6
	v_cndmask_b32_e64 v5, v5, v11, s[4:5]
	v_and_b32_e32 v10, 7, v10
	v_lshlrev_b32_e32 v6, 8, v30
	v_lshl_add_u32 v5, v5, 10, v39
	v_cndmask_b32_e64 v4, v4, v10, s[4:5]
	v_and_or_b32 v5, v6, s19, v5
	v_lshl_or_b32 v4, v4, 7, v5
	v_cvt_f32_f16_e32 v54, v4
.LBB323_729:                            ;   in Loop: Header=BB323_619 Depth=1
	s_or_b64 exec, exec, s[26:27]
.LBB323_730:                            ;   in Loop: Header=BB323_619 Depth=1
	s_or_b64 exec, exec, s[24:25]
.LBB323_731:                            ;   in Loop: Header=BB323_619 Depth=1
	s_or_b64 exec, exec, s[22:23]
	v_lshrrev_b32_e32 v30, 16, v40
	v_cmp_ne_u16_sdwa s[4:5], v30, v31 src0_sel:BYTE_0 src1_sel:DWORD
	v_mov_b32_e32 v55, 0
	v_mov_b32_e32 v53, 0
	s_and_saveexec_b64 s[22:23], s[4:5]
	s_cbranch_execz .LBB323_737
; %bb.732:                              ;   in Loop: Header=BB323_619 Depth=1
	v_cmp_ne_u16_sdwa s[4:5], v30, s7 src0_sel:BYTE_0 src1_sel:DWORD
	v_bfrev_b32_e32 v53, 1
	s_and_saveexec_b64 s[24:25], s[4:5]
	s_cbranch_execz .LBB323_736
; %bb.733:                              ;   in Loop: Header=BB323_619 Depth=1
	v_bfe_u32 v6, v40, 16, 7
	v_cmp_ne_u32_e64 s[4:5], s15, v6
	v_mov_b32_e32 v53, 0x7fc02000
	s_and_saveexec_b64 s[26:27], s[4:5]
	s_cbranch_execz .LBB323_735
; %bb.734:                              ;   in Loop: Header=BB323_619 Depth=1
	v_and_b32_e32 v4, 7, v30
	v_ffbh_u32_e32 v10, v4
	v_min_u32_e32 v16, 32, v10
	v_subrev_u32_e32 v10, 28, v16
	v_lshlrev_b64 v[10:11], v10, v[30:31]
	v_lshrrev_b32_e32 v5, 3, v6
	v_sub_u32_e32 v11, 29, v16
	v_cmp_gt_u32_e64 s[4:5], 8, v6
	v_cndmask_b32_e64 v5, v5, v11, s[4:5]
	v_and_b32_e32 v10, 7, v10
	v_lshlrev_b32_e32 v6, 8, v30
	v_lshl_add_u32 v5, v5, 10, v39
	v_cndmask_b32_e64 v4, v4, v10, s[4:5]
	v_and_or_b32 v5, v6, s19, v5
	v_lshl_or_b32 v4, v4, 7, v5
	v_cvt_f32_f16_e32 v53, v4
.LBB323_735:                            ;   in Loop: Header=BB323_619 Depth=1
	s_or_b64 exec, exec, s[26:27]
.LBB323_736:                            ;   in Loop: Header=BB323_619 Depth=1
	s_or_b64 exec, exec, s[24:25]
.LBB323_737:                            ;   in Loop: Header=BB323_619 Depth=1
	s_or_b64 exec, exec, s[22:23]
	v_cmp_lt_u32_e64 s[4:5], s11, v40
	s_and_saveexec_b64 s[22:23], s[4:5]
	s_cbranch_execz .LBB323_743
; %bb.738:                              ;   in Loop: Header=BB323_619 Depth=1
	v_lshrrev_b32_e32 v30, 24, v40
	v_cmp_ne_u32_e64 s[4:5], s7, v30
	v_bfrev_b32_e32 v55, 1
	s_and_saveexec_b64 s[24:25], s[4:5]
	s_cbranch_execz .LBB323_742
; %bb.739:                              ;   in Loop: Header=BB323_619 Depth=1
	v_and_b32_e32 v6, 0x7f, v30
	v_cmp_ne_u32_e64 s[4:5], s15, v6
	v_mov_b32_e32 v55, 0x7fc02000
	s_and_saveexec_b64 s[26:27], s[4:5]
	s_cbranch_execz .LBB323_741
; %bb.740:                              ;   in Loop: Header=BB323_619 Depth=1
	v_and_b32_e32 v4, 7, v30
	v_ffbh_u32_e32 v10, v4
	v_min_u32_e32 v16, 32, v10
	v_subrev_u32_e32 v10, 28, v16
	v_lshlrev_b64 v[10:11], v10, v[30:31]
	v_lshrrev_b32_e32 v5, 3, v6
	v_sub_u32_e32 v11, 29, v16
	v_cmp_gt_u32_e64 s[4:5], 8, v6
	v_cndmask_b32_e64 v5, v5, v11, s[4:5]
	v_and_b32_e32 v10, 7, v10
	v_lshlrev_b32_e32 v6, 8, v30
	v_lshl_add_u32 v5, v5, 10, v39
	v_cndmask_b32_e64 v4, v4, v10, s[4:5]
	v_and_or_b32 v5, v6, s19, v5
	v_lshl_or_b32 v4, v4, 7, v5
	v_cvt_f32_f16_e32 v55, v4
.LBB323_741:                            ;   in Loop: Header=BB323_619 Depth=1
	s_or_b64 exec, exec, s[26:27]
.LBB323_742:                            ;   in Loop: Header=BB323_619 Depth=1
	s_or_b64 exec, exec, s[24:25]
.LBB323_743:                            ;   in Loop: Header=BB323_619 Depth=1
	s_or_b64 exec, exec, s[22:23]
	v_mov_b32_e32 v30, v41
	v_cmp_ne_u16_sdwa s[4:5], v41, v31 src0_sel:BYTE_0 src1_sel:DWORD
	v_mov_b32_e32 v10, 0
	v_mov_b32_e32 v6, 0
	s_and_saveexec_b64 s[22:23], s[4:5]
	s_cbranch_execz .LBB323_749
; %bb.744:                              ;   in Loop: Header=BB323_619 Depth=1
	v_cmp_ne_u16_sdwa s[4:5], v41, s7 src0_sel:BYTE_0 src1_sel:DWORD
	v_bfrev_b32_e32 v6, 1
	s_and_saveexec_b64 s[24:25], s[4:5]
	s_cbranch_execz .LBB323_748
; %bb.745:                              ;   in Loop: Header=BB323_619 Depth=1
	v_and_b32_e32 v5, 0x7f, v41
	v_cmp_ne_u32_e64 s[4:5], s15, v5
	v_mov_b32_e32 v6, 0x7fc02000
	s_and_saveexec_b64 s[26:27], s[4:5]
	s_cbranch_execz .LBB323_747
; %bb.746:                              ;   in Loop: Header=BB323_619 Depth=1
	v_and_b32_e32 v4, 7, v41
	v_ffbh_u32_e32 v4, v4
	v_min_u32_e32 v4, 32, v4
	v_lshrrev_b32_e32 v6, 3, v5
	v_subrev_u32_e32 v11, 28, v4
	v_sub_u32_e32 v4, 29, v4
	v_cmp_gt_u32_e64 s[4:5], 8, v5
	v_cndmask_b32_e64 v5, 0, v11, s[4:5]
	v_cndmask_b32_e64 v4, v6, v4, s[4:5]
	v_lshlrev_b64 v[26:27], v5, v[30:31]
	v_lshlrev_b32_e32 v6, 8, v41
	v_lshl_add_u32 v4, v4, 10, v39
	v_lshlrev_b32_e32 v5, 7, v26
	v_and_or_b32 v4, v6, s19, v4
	v_and_or_b32 v4, v5, s28, v4
	v_cvt_f32_f16_e32 v6, v4
.LBB323_747:                            ;   in Loop: Header=BB323_619 Depth=1
	s_or_b64 exec, exec, s[26:27]
.LBB323_748:                            ;   in Loop: Header=BB323_619 Depth=1
	s_or_b64 exec, exec, s[24:25]
.LBB323_749:                            ;   in Loop: Header=BB323_619 Depth=1
	s_or_b64 exec, exec, s[22:23]
	v_lshrrev_b16_e32 v30, 8, v30
	v_cmp_ne_u16_e64 s[4:5], 0, v30
	s_and_saveexec_b64 s[22:23], s[4:5]
	s_cbranch_execz .LBB323_755
; %bb.750:                              ;   in Loop: Header=BB323_619 Depth=1
	v_cmp_ne_u16_e64 s[4:5], s7, v30
	v_bfrev_b32_e32 v10, 1
	s_and_saveexec_b64 s[24:25], s[4:5]
	s_cbranch_execz .LBB323_754
; %bb.751:                              ;   in Loop: Header=BB323_619 Depth=1
	v_and_b32_e32 v11, 0x7f, v30
	v_cmp_ne_u32_e64 s[4:5], s15, v11
	v_mov_b32_e32 v10, 0x7fc02000
	s_and_saveexec_b64 s[26:27], s[4:5]
	s_cbranch_execz .LBB323_753
; %bb.752:                              ;   in Loop: Header=BB323_619 Depth=1
	v_and_b32_e32 v4, 7, v30
	v_ffbh_u32_e32 v10, v4
	v_min_u32_e32 v10, 32, v10
	v_lshrrev_b32_e32 v5, 3, v11
	v_subrev_u32_e32 v16, 28, v10
	v_sub_u32_e32 v10, 29, v10
	v_cmp_gt_u32_e64 s[4:5], 8, v11
	v_lshlrev_b64 v[26:27], v16, v[30:31]
	v_cndmask_b32_e64 v5, v5, v10, s[4:5]
	v_and_b32_e32 v16, 7, v26
	v_lshlrev_b32_e32 v10, 8, v30
	v_lshl_add_u32 v5, v5, 10, v39
	v_cndmask_b32_e64 v4, v4, v16, s[4:5]
	v_and_or_b32 v5, v10, s19, v5
	v_lshl_or_b32 v4, v4, 7, v5
	v_cvt_f32_f16_e32 v10, v4
.LBB323_753:                            ;   in Loop: Header=BB323_619 Depth=1
	s_or_b64 exec, exec, s[26:27]
.LBB323_754:                            ;   in Loop: Header=BB323_619 Depth=1
	s_or_b64 exec, exec, s[24:25]
.LBB323_755:                            ;   in Loop: Header=BB323_619 Depth=1
	s_or_b64 exec, exec, s[22:23]
	v_lshrrev_b32_e32 v30, 16, v41
	v_cmp_ne_u16_sdwa s[4:5], v30, v31 src0_sel:BYTE_0 src1_sel:DWORD
	v_mov_b32_e32 v11, 0
	v_mov_b32_e32 v16, 0
	s_and_saveexec_b64 s[22:23], s[4:5]
	s_cbranch_execz .LBB323_761
; %bb.756:                              ;   in Loop: Header=BB323_619 Depth=1
	v_cmp_ne_u16_sdwa s[4:5], v30, s7 src0_sel:BYTE_0 src1_sel:DWORD
	v_bfrev_b32_e32 v16, 1
	s_and_saveexec_b64 s[24:25], s[4:5]
	s_cbranch_execz .LBB323_760
; %bb.757:                              ;   in Loop: Header=BB323_619 Depth=1
	v_bfe_u32 v22, v41, 16, 7
	v_cmp_ne_u32_e64 s[4:5], s15, v22
	v_mov_b32_e32 v16, 0x7fc02000
	s_and_saveexec_b64 s[26:27], s[4:5]
	s_cbranch_execz .LBB323_759
; %bb.758:                              ;   in Loop: Header=BB323_619 Depth=1
	v_and_b32_e32 v4, 7, v30
	v_ffbh_u32_e32 v16, v4
	v_min_u32_e32 v16, 32, v16
	v_lshrrev_b32_e32 v5, 3, v22
	v_subrev_u32_e32 v26, 28, v16
	v_sub_u32_e32 v16, 29, v16
	v_cmp_gt_u32_e64 s[4:5], 8, v22
	v_lshlrev_b64 v[26:27], v26, v[30:31]
	v_cndmask_b32_e64 v5, v5, v16, s[4:5]
	v_and_b32_e32 v26, 7, v26
	v_lshlrev_b32_e32 v16, 8, v30
	v_lshl_add_u32 v5, v5, 10, v39
	v_cndmask_b32_e64 v4, v4, v26, s[4:5]
	v_and_or_b32 v5, v16, s19, v5
	v_lshl_or_b32 v4, v4, 7, v5
	v_cvt_f32_f16_e32 v16, v4
.LBB323_759:                            ;   in Loop: Header=BB323_619 Depth=1
	s_or_b64 exec, exec, s[26:27]
.LBB323_760:                            ;   in Loop: Header=BB323_619 Depth=1
	s_or_b64 exec, exec, s[24:25]
.LBB323_761:                            ;   in Loop: Header=BB323_619 Depth=1
	s_or_b64 exec, exec, s[22:23]
	v_cmp_lt_u64_e64 s[4:5], s[10:11], v[40:41]
	s_and_saveexec_b64 s[22:23], s[4:5]
	s_cbranch_execz .LBB323_767
; %bb.762:                              ;   in Loop: Header=BB323_619 Depth=1
	v_lshrrev_b32_e32 v30, 24, v41
	v_cmp_ne_u32_e64 s[4:5], s7, v30
	v_bfrev_b32_e32 v11, 1
	s_and_saveexec_b64 s[24:25], s[4:5]
	s_cbranch_execz .LBB323_766
; %bb.763:                              ;   in Loop: Header=BB323_619 Depth=1
	v_and_b32_e32 v22, 0x7f, v30
	v_cmp_ne_u32_e64 s[4:5], s15, v22
	v_mov_b32_e32 v11, 0x7fc02000
	s_and_saveexec_b64 s[26:27], s[4:5]
	s_cbranch_execz .LBB323_765
; %bb.764:                              ;   in Loop: Header=BB323_619 Depth=1
	v_and_b32_e32 v4, 7, v30
	v_ffbh_u32_e32 v11, v4
	v_min_u32_e32 v11, 32, v11
	v_lshrrev_b32_e32 v5, 3, v22
	v_subrev_u32_e32 v26, 28, v11
	v_sub_u32_e32 v11, 29, v11
	v_cmp_gt_u32_e64 s[4:5], 8, v22
	v_lshlrev_b64 v[26:27], v26, v[30:31]
	v_cndmask_b32_e64 v5, v5, v11, s[4:5]
	v_and_b32_e32 v26, 7, v26
	v_lshlrev_b32_e32 v11, 8, v30
	v_lshl_add_u32 v5, v5, 10, v39
	v_cndmask_b32_e64 v4, v4, v26, s[4:5]
	v_and_or_b32 v5, v11, s19, v5
	v_lshl_or_b32 v4, v4, 7, v5
	v_cvt_f32_f16_e32 v11, v4
.LBB323_765:                            ;   in Loop: Header=BB323_619 Depth=1
	s_or_b64 exec, exec, s[26:27]
.LBB323_766:                            ;   in Loop: Header=BB323_619 Depth=1
	s_or_b64 exec, exec, s[24:25]
.LBB323_767:                            ;   in Loop: Header=BB323_619 Depth=1
	s_or_b64 exec, exec, s[22:23]
	v_pk_mul_f32 v[26:27], v[50:51], v[54:55] op_sel_hi:[0,1]
	v_pk_mul_f32 v[32:33], v[50:51], v[52:53] op_sel_hi:[0,1]
	v_cvt_f16_f32_e32 v4, v27
	v_cvt_f16_f32_e32 v5, v26
	;; [unrolled: 1-line block ×4, first 2 shown]
	v_fma_mixlo_f16 v16, v50, v16, 0
	v_pack_b32_f16 v4, v5, v4
	v_pack_b32_f16 v5, v26, v22
	v_perm_b32 v22, v5, v4, s29
	v_perm_b32 v26, v5, v4, s30
	v_fma_mixlo_f16 v4, v50, v10, 0
	v_lshlrev_b32_e32 v4, 16, v4
	v_fma_mixlo_f16 v5, v50, v6, 0
	v_or_b32_sdwa v6, v4, v5 dst_sel:DWORD dst_unused:UNUSED_PAD src0_sel:DWORD src1_sel:WORD_0
	v_fma_mixlo_f16 v4, v50, v11, 0
	v_lshlrev_b32_e32 v4, 16, v4
	v_or_b32_sdwa v10, v4, v16 dst_sel:DWORD dst_unused:UNUSED_PAD src0_sel:DWORD src1_sel:WORD_0
	s_and_saveexec_b64 s[22:23], vcc
	s_cbranch_execz .LBB323_769
; %bb.768:                              ;   in Loop: Header=BB323_619 Depth=1
	v_lshrrev_b32_e32 v4, 16, v26
	v_cmp_lt_i32_e64 s[4:5], v44, v17
	v_accvgpr_read_b32 v28, a8
	v_cndmask_b32_e64 v4, 0, v4, s[4:5]
	v_cmp_lt_i32_e64 s[4:5], v7, v28
	v_cndmask_b32_e64 v5, 0, v26, s[4:5]
	v_perm_b32 v26, v4, v5, s31
	v_lshrrev_b32_e32 v4, 16, v22
	v_cmp_lt_i32_e64 s[4:5], v58, v17
	v_cndmask_b32_e64 v4, 0, v4, s[4:5]
	v_cmp_lt_i32_e64 s[4:5], v57, v28
	v_cndmask_b32_e64 v5, 0, v22, s[4:5]
	v_perm_b32 v22, v4, v5, s31
	v_lshrrev_b32_e32 v4, 16, v6
	v_cmp_lt_i32_e64 s[4:5], v56, v17
	;; [unrolled: 6-line block ×3, first 2 shown]
	v_cndmask_b32_e64 v4, 0, v4, s[4:5]
	v_cmp_lt_i32_e64 s[4:5], v45, v28
	v_cndmask_b32_e64 v5, 0, v16, s[4:5]
	v_perm_b32 v10, v4, v5, s31
.LBB323_769:                            ;   in Loop: Header=BB323_619 Depth=1
	s_or_b64 exec, exec, s[22:23]
	;;#ASMSTART
	v_pk_mul_f16 v4, v59, v26;

	;;#ASMEND
	;;#ASMSTART
	v_pk_mul_f16 v5, v60, v22;

	;;#ASMEND
	;; [unrolled: 4-line block ×4, first 2 shown]
	;;#ASMSTART
	v_pk_add_f16 v4, v4, v5;

	;;#ASMEND
	;;#ASMSTART
	v_pk_add_f16 v4, v4, v6;

	;;#ASMEND
	;; [unrolled: 4-line block ×3, first 2 shown]
	v_lshrrev_b32_e32 v5, 16, v4
	v_and_b32_e32 v4, 0xffff, v4
	;;#ASMSTART
	v_cvt_f32_f16 v4, v4;
	;;#ASMEND
	v_accvgpr_write_b32 a22, v4
	;;#ASMSTART
	v_cvt_f32_f16 v4, v5;
	;;#ASMEND
	v_accvgpr_write_b32 a23, v4
	v_accvgpr_read_b32 v4, a4
	flat_load_dwordx2 v[40:41], v[48:49] offset:1536
	v_accvgpr_read_b32 v5, a5
	flat_load_dword v50, v[4:5]
	v_mov_b32_e32 v54, 0
	v_mov_b32_e32 v52, 0
	s_waitcnt vmcnt(0) lgkmcnt(0)
	v_cmp_ne_u16_sdwa s[4:5], v40, v31 src0_sel:BYTE_0 src1_sel:DWORD
	s_and_saveexec_b64 s[22:23], s[4:5]
	s_cbranch_execz .LBB323_775
; %bb.770:                              ;   in Loop: Header=BB323_619 Depth=1
	v_cmp_ne_u16_sdwa s[4:5], v40, s7 src0_sel:BYTE_0 src1_sel:DWORD
	v_bfrev_b32_e32 v52, 1
	s_and_saveexec_b64 s[24:25], s[4:5]
	s_cbranch_execz .LBB323_774
; %bb.771:                              ;   in Loop: Header=BB323_619 Depth=1
	v_and_b32_e32 v5, 0x7f, v40
	v_cmp_ne_u32_e64 s[4:5], s15, v5
	v_mov_b32_e32 v52, 0x7fc02000
	s_and_saveexec_b64 s[26:27], s[4:5]
	s_cbranch_execz .LBB323_773
; %bb.772:                              ;   in Loop: Header=BB323_619 Depth=1
	v_and_b32_e32 v4, 7, v40
	v_ffbh_u32_e32 v4, v4
	v_min_u32_e32 v4, 32, v4
	v_lshrrev_b32_e32 v6, 3, v5
	v_subrev_u32_e32 v10, 28, v4
	v_sub_u32_e32 v4, 29, v4
	v_cmp_gt_u32_e64 s[4:5], 8, v5
	v_cndmask_b32_e64 v5, 0, v10, s[4:5]
	v_cndmask_b32_e64 v4, v6, v4, s[4:5]
	v_lshlrev_b64 v[10:11], v5, v[40:41]
	v_lshlrev_b32_e32 v6, 8, v40
	v_lshl_add_u32 v4, v4, 10, v39
	v_lshlrev_b32_e32 v5, 7, v10
	v_and_or_b32 v4, v6, s19, v4
	v_and_or_b32 v4, v5, s28, v4
	v_cvt_f32_f16_e32 v52, v4
.LBB323_773:                            ;   in Loop: Header=BB323_619 Depth=1
	s_or_b64 exec, exec, s[26:27]
.LBB323_774:                            ;   in Loop: Header=BB323_619 Depth=1
	s_or_b64 exec, exec, s[24:25]
.LBB323_775:                            ;   in Loop: Header=BB323_619 Depth=1
	s_or_b64 exec, exec, s[22:23]
	v_lshrrev_b16_e32 v30, 8, v40
	v_cmp_ne_u16_e64 s[4:5], 0, v30
	s_and_saveexec_b64 s[22:23], s[4:5]
	s_cbranch_execz .LBB323_781
; %bb.776:                              ;   in Loop: Header=BB323_619 Depth=1
	v_cmp_ne_u16_e64 s[4:5], s7, v30
	v_bfrev_b32_e32 v54, 1
	s_and_saveexec_b64 s[24:25], s[4:5]
	s_cbranch_execz .LBB323_780
; %bb.777:                              ;   in Loop: Header=BB323_619 Depth=1
	v_and_b32_e32 v6, 0x7f, v30
	v_cmp_ne_u32_e64 s[4:5], s15, v6
	v_mov_b32_e32 v54, 0x7fc02000
	s_and_saveexec_b64 s[26:27], s[4:5]
	s_cbranch_execz .LBB323_779
; %bb.778:                              ;   in Loop: Header=BB323_619 Depth=1
	v_and_b32_e32 v4, 7, v30
	v_ffbh_u32_e32 v10, v4
	v_min_u32_e32 v16, 32, v10
	v_subrev_u32_e32 v10, 28, v16
	v_lshlrev_b64 v[10:11], v10, v[30:31]
	v_lshrrev_b32_e32 v5, 3, v6
	v_sub_u32_e32 v11, 29, v16
	v_cmp_gt_u32_e64 s[4:5], 8, v6
	v_cndmask_b32_e64 v5, v5, v11, s[4:5]
	v_and_b32_e32 v10, 7, v10
	v_lshlrev_b32_e32 v6, 8, v30
	v_lshl_add_u32 v5, v5, 10, v39
	v_cndmask_b32_e64 v4, v4, v10, s[4:5]
	v_and_or_b32 v5, v6, s19, v5
	v_lshl_or_b32 v4, v4, 7, v5
	v_cvt_f32_f16_e32 v54, v4
.LBB323_779:                            ;   in Loop: Header=BB323_619 Depth=1
	s_or_b64 exec, exec, s[26:27]
.LBB323_780:                            ;   in Loop: Header=BB323_619 Depth=1
	s_or_b64 exec, exec, s[24:25]
.LBB323_781:                            ;   in Loop: Header=BB323_619 Depth=1
	s_or_b64 exec, exec, s[22:23]
	v_lshrrev_b32_e32 v30, 16, v40
	v_cmp_ne_u16_sdwa s[4:5], v30, v31 src0_sel:BYTE_0 src1_sel:DWORD
	v_mov_b32_e32 v55, 0
	v_mov_b32_e32 v53, 0
	s_and_saveexec_b64 s[22:23], s[4:5]
	s_cbranch_execz .LBB323_787
; %bb.782:                              ;   in Loop: Header=BB323_619 Depth=1
	v_cmp_ne_u16_sdwa s[4:5], v30, s7 src0_sel:BYTE_0 src1_sel:DWORD
	v_bfrev_b32_e32 v53, 1
	s_and_saveexec_b64 s[24:25], s[4:5]
	s_cbranch_execz .LBB323_786
; %bb.783:                              ;   in Loop: Header=BB323_619 Depth=1
	v_bfe_u32 v6, v40, 16, 7
	v_cmp_ne_u32_e64 s[4:5], s15, v6
	v_mov_b32_e32 v53, 0x7fc02000
	s_and_saveexec_b64 s[26:27], s[4:5]
	s_cbranch_execz .LBB323_785
; %bb.784:                              ;   in Loop: Header=BB323_619 Depth=1
	v_and_b32_e32 v4, 7, v30
	v_ffbh_u32_e32 v10, v4
	v_min_u32_e32 v16, 32, v10
	v_subrev_u32_e32 v10, 28, v16
	v_lshlrev_b64 v[10:11], v10, v[30:31]
	v_lshrrev_b32_e32 v5, 3, v6
	v_sub_u32_e32 v11, 29, v16
	v_cmp_gt_u32_e64 s[4:5], 8, v6
	v_cndmask_b32_e64 v5, v5, v11, s[4:5]
	v_and_b32_e32 v10, 7, v10
	v_lshlrev_b32_e32 v6, 8, v30
	v_lshl_add_u32 v5, v5, 10, v39
	v_cndmask_b32_e64 v4, v4, v10, s[4:5]
	v_and_or_b32 v5, v6, s19, v5
	v_lshl_or_b32 v4, v4, 7, v5
	v_cvt_f32_f16_e32 v53, v4
.LBB323_785:                            ;   in Loop: Header=BB323_619 Depth=1
	s_or_b64 exec, exec, s[26:27]
.LBB323_786:                            ;   in Loop: Header=BB323_619 Depth=1
	s_or_b64 exec, exec, s[24:25]
.LBB323_787:                            ;   in Loop: Header=BB323_619 Depth=1
	s_or_b64 exec, exec, s[22:23]
	v_cmp_lt_u32_e64 s[4:5], s11, v40
	s_and_saveexec_b64 s[22:23], s[4:5]
	s_cbranch_execz .LBB323_793
; %bb.788:                              ;   in Loop: Header=BB323_619 Depth=1
	v_lshrrev_b32_e32 v30, 24, v40
	v_cmp_ne_u32_e64 s[4:5], s7, v30
	v_bfrev_b32_e32 v55, 1
	s_and_saveexec_b64 s[24:25], s[4:5]
	s_cbranch_execz .LBB323_792
; %bb.789:                              ;   in Loop: Header=BB323_619 Depth=1
	v_and_b32_e32 v6, 0x7f, v30
	v_cmp_ne_u32_e64 s[4:5], s15, v6
	v_mov_b32_e32 v55, 0x7fc02000
	s_and_saveexec_b64 s[26:27], s[4:5]
	s_cbranch_execz .LBB323_791
; %bb.790:                              ;   in Loop: Header=BB323_619 Depth=1
	v_and_b32_e32 v4, 7, v30
	v_ffbh_u32_e32 v10, v4
	v_min_u32_e32 v16, 32, v10
	v_subrev_u32_e32 v10, 28, v16
	v_lshlrev_b64 v[10:11], v10, v[30:31]
	v_lshrrev_b32_e32 v5, 3, v6
	v_sub_u32_e32 v11, 29, v16
	v_cmp_gt_u32_e64 s[4:5], 8, v6
	v_cndmask_b32_e64 v5, v5, v11, s[4:5]
	v_and_b32_e32 v10, 7, v10
	v_lshlrev_b32_e32 v6, 8, v30
	v_lshl_add_u32 v5, v5, 10, v39
	v_cndmask_b32_e64 v4, v4, v10, s[4:5]
	v_and_or_b32 v5, v6, s19, v5
	v_lshl_or_b32 v4, v4, 7, v5
	v_cvt_f32_f16_e32 v55, v4
.LBB323_791:                            ;   in Loop: Header=BB323_619 Depth=1
	s_or_b64 exec, exec, s[26:27]
.LBB323_792:                            ;   in Loop: Header=BB323_619 Depth=1
	s_or_b64 exec, exec, s[24:25]
.LBB323_793:                            ;   in Loop: Header=BB323_619 Depth=1
	s_or_b64 exec, exec, s[22:23]
	v_mov_b32_e32 v30, v41
	v_cmp_ne_u16_sdwa s[4:5], v41, v31 src0_sel:BYTE_0 src1_sel:DWORD
	v_mov_b32_e32 v10, 0
	v_mov_b32_e32 v6, 0
	s_and_saveexec_b64 s[22:23], s[4:5]
	s_cbranch_execz .LBB323_799
; %bb.794:                              ;   in Loop: Header=BB323_619 Depth=1
	v_cmp_ne_u16_sdwa s[4:5], v41, s7 src0_sel:BYTE_0 src1_sel:DWORD
	v_bfrev_b32_e32 v6, 1
	s_and_saveexec_b64 s[24:25], s[4:5]
	s_cbranch_execz .LBB323_798
; %bb.795:                              ;   in Loop: Header=BB323_619 Depth=1
	v_and_b32_e32 v5, 0x7f, v41
	v_cmp_ne_u32_e64 s[4:5], s15, v5
	v_mov_b32_e32 v6, 0x7fc02000
	s_and_saveexec_b64 s[26:27], s[4:5]
	s_cbranch_execz .LBB323_797
; %bb.796:                              ;   in Loop: Header=BB323_619 Depth=1
	v_and_b32_e32 v4, 7, v41
	v_ffbh_u32_e32 v4, v4
	v_min_u32_e32 v4, 32, v4
	v_lshrrev_b32_e32 v6, 3, v5
	v_subrev_u32_e32 v11, 28, v4
	v_sub_u32_e32 v4, 29, v4
	v_cmp_gt_u32_e64 s[4:5], 8, v5
	v_cndmask_b32_e64 v5, 0, v11, s[4:5]
	v_cndmask_b32_e64 v4, v6, v4, s[4:5]
	v_lshlrev_b64 v[26:27], v5, v[30:31]
	v_lshlrev_b32_e32 v6, 8, v41
	v_lshl_add_u32 v4, v4, 10, v39
	v_lshlrev_b32_e32 v5, 7, v26
	v_and_or_b32 v4, v6, s19, v4
	v_and_or_b32 v4, v5, s28, v4
	v_cvt_f32_f16_e32 v6, v4
.LBB323_797:                            ;   in Loop: Header=BB323_619 Depth=1
	s_or_b64 exec, exec, s[26:27]
.LBB323_798:                            ;   in Loop: Header=BB323_619 Depth=1
	s_or_b64 exec, exec, s[24:25]
.LBB323_799:                            ;   in Loop: Header=BB323_619 Depth=1
	s_or_b64 exec, exec, s[22:23]
	v_lshrrev_b16_e32 v30, 8, v30
	v_cmp_ne_u16_e64 s[4:5], 0, v30
	s_and_saveexec_b64 s[22:23], s[4:5]
	s_cbranch_execz .LBB323_805
; %bb.800:                              ;   in Loop: Header=BB323_619 Depth=1
	v_cmp_ne_u16_e64 s[4:5], s7, v30
	v_bfrev_b32_e32 v10, 1
	s_and_saveexec_b64 s[24:25], s[4:5]
	s_cbranch_execz .LBB323_804
; %bb.801:                              ;   in Loop: Header=BB323_619 Depth=1
	v_and_b32_e32 v11, 0x7f, v30
	v_cmp_ne_u32_e64 s[4:5], s15, v11
	v_mov_b32_e32 v10, 0x7fc02000
	s_and_saveexec_b64 s[26:27], s[4:5]
	s_cbranch_execz .LBB323_803
; %bb.802:                              ;   in Loop: Header=BB323_619 Depth=1
	v_and_b32_e32 v4, 7, v30
	v_ffbh_u32_e32 v10, v4
	v_min_u32_e32 v10, 32, v10
	v_lshrrev_b32_e32 v5, 3, v11
	v_subrev_u32_e32 v16, 28, v10
	v_sub_u32_e32 v10, 29, v10
	v_cmp_gt_u32_e64 s[4:5], 8, v11
	v_lshlrev_b64 v[26:27], v16, v[30:31]
	v_cndmask_b32_e64 v5, v5, v10, s[4:5]
	v_and_b32_e32 v16, 7, v26
	v_lshlrev_b32_e32 v10, 8, v30
	v_lshl_add_u32 v5, v5, 10, v39
	v_cndmask_b32_e64 v4, v4, v16, s[4:5]
	v_and_or_b32 v5, v10, s19, v5
	v_lshl_or_b32 v4, v4, 7, v5
	v_cvt_f32_f16_e32 v10, v4
.LBB323_803:                            ;   in Loop: Header=BB323_619 Depth=1
	s_or_b64 exec, exec, s[26:27]
.LBB323_804:                            ;   in Loop: Header=BB323_619 Depth=1
	s_or_b64 exec, exec, s[24:25]
.LBB323_805:                            ;   in Loop: Header=BB323_619 Depth=1
	s_or_b64 exec, exec, s[22:23]
	v_lshrrev_b32_e32 v30, 16, v41
	v_cmp_ne_u16_sdwa s[4:5], v30, v31 src0_sel:BYTE_0 src1_sel:DWORD
	v_mov_b32_e32 v11, 0
	v_mov_b32_e32 v16, 0
	s_and_saveexec_b64 s[22:23], s[4:5]
	s_cbranch_execz .LBB323_811
; %bb.806:                              ;   in Loop: Header=BB323_619 Depth=1
	v_cmp_ne_u16_sdwa s[4:5], v30, s7 src0_sel:BYTE_0 src1_sel:DWORD
	v_bfrev_b32_e32 v16, 1
	s_and_saveexec_b64 s[24:25], s[4:5]
	s_cbranch_execz .LBB323_810
; %bb.807:                              ;   in Loop: Header=BB323_619 Depth=1
	v_bfe_u32 v22, v41, 16, 7
	v_cmp_ne_u32_e64 s[4:5], s15, v22
	v_mov_b32_e32 v16, 0x7fc02000
	s_and_saveexec_b64 s[26:27], s[4:5]
	s_cbranch_execz .LBB323_809
; %bb.808:                              ;   in Loop: Header=BB323_619 Depth=1
	v_and_b32_e32 v4, 7, v30
	v_ffbh_u32_e32 v16, v4
	v_min_u32_e32 v16, 32, v16
	v_lshrrev_b32_e32 v5, 3, v22
	v_subrev_u32_e32 v26, 28, v16
	v_sub_u32_e32 v16, 29, v16
	v_cmp_gt_u32_e64 s[4:5], 8, v22
	v_lshlrev_b64 v[26:27], v26, v[30:31]
	v_cndmask_b32_e64 v5, v5, v16, s[4:5]
	v_and_b32_e32 v26, 7, v26
	v_lshlrev_b32_e32 v16, 8, v30
	v_lshl_add_u32 v5, v5, 10, v39
	v_cndmask_b32_e64 v4, v4, v26, s[4:5]
	v_and_or_b32 v5, v16, s19, v5
	v_lshl_or_b32 v4, v4, 7, v5
	v_cvt_f32_f16_e32 v16, v4
.LBB323_809:                            ;   in Loop: Header=BB323_619 Depth=1
	s_or_b64 exec, exec, s[26:27]
.LBB323_810:                            ;   in Loop: Header=BB323_619 Depth=1
	s_or_b64 exec, exec, s[24:25]
.LBB323_811:                            ;   in Loop: Header=BB323_619 Depth=1
	s_or_b64 exec, exec, s[22:23]
	v_cmp_lt_u64_e64 s[4:5], s[10:11], v[40:41]
	s_and_saveexec_b64 s[22:23], s[4:5]
	s_cbranch_execz .LBB323_817
; %bb.812:                              ;   in Loop: Header=BB323_619 Depth=1
	v_lshrrev_b32_e32 v30, 24, v41
	v_cmp_ne_u32_e64 s[4:5], s7, v30
	v_bfrev_b32_e32 v11, 1
	s_and_saveexec_b64 s[24:25], s[4:5]
	s_cbranch_execz .LBB323_816
; %bb.813:                              ;   in Loop: Header=BB323_619 Depth=1
	v_and_b32_e32 v22, 0x7f, v30
	v_cmp_ne_u32_e64 s[4:5], s15, v22
	v_mov_b32_e32 v11, 0x7fc02000
	s_and_saveexec_b64 s[26:27], s[4:5]
	s_cbranch_execz .LBB323_815
; %bb.814:                              ;   in Loop: Header=BB323_619 Depth=1
	v_and_b32_e32 v4, 7, v30
	v_ffbh_u32_e32 v11, v4
	v_min_u32_e32 v11, 32, v11
	v_lshrrev_b32_e32 v5, 3, v22
	v_subrev_u32_e32 v26, 28, v11
	v_sub_u32_e32 v11, 29, v11
	v_cmp_gt_u32_e64 s[4:5], 8, v22
	v_lshlrev_b64 v[26:27], v26, v[30:31]
	v_cndmask_b32_e64 v5, v5, v11, s[4:5]
	v_and_b32_e32 v26, 7, v26
	v_lshlrev_b32_e32 v11, 8, v30
	v_lshl_add_u32 v5, v5, 10, v39
	v_cndmask_b32_e64 v4, v4, v26, s[4:5]
	v_and_or_b32 v5, v11, s19, v5
	v_lshl_or_b32 v4, v4, 7, v5
	v_cvt_f32_f16_e32 v11, v4
.LBB323_815:                            ;   in Loop: Header=BB323_619 Depth=1
	s_or_b64 exec, exec, s[26:27]
.LBB323_816:                            ;   in Loop: Header=BB323_619 Depth=1
	s_or_b64 exec, exec, s[24:25]
.LBB323_817:                            ;   in Loop: Header=BB323_619 Depth=1
	s_or_b64 exec, exec, s[22:23]
	v_pk_mul_f32 v[26:27], v[50:51], v[54:55] op_sel_hi:[0,1]
	v_pk_mul_f32 v[32:33], v[50:51], v[52:53] op_sel_hi:[0,1]
	v_cvt_f16_f32_e32 v4, v27
	v_cvt_f16_f32_e32 v5, v26
	;; [unrolled: 1-line block ×4, first 2 shown]
	v_fma_mixlo_f16 v16, v50, v16, 0
	v_pack_b32_f16 v4, v5, v4
	v_pack_b32_f16 v5, v26, v22
	v_perm_b32 v22, v5, v4, s29
	v_perm_b32 v26, v5, v4, s30
	v_fma_mixlo_f16 v4, v50, v10, 0
	v_lshlrev_b32_e32 v4, 16, v4
	v_fma_mixlo_f16 v5, v50, v6, 0
	v_or_b32_sdwa v6, v4, v5 dst_sel:DWORD dst_unused:UNUSED_PAD src0_sel:DWORD src1_sel:WORD_0
	v_fma_mixlo_f16 v4, v50, v11, 0
	v_lshlrev_b32_e32 v4, 16, v4
	v_or_b32_sdwa v10, v4, v16 dst_sel:DWORD dst_unused:UNUSED_PAD src0_sel:DWORD src1_sel:WORD_0
	s_and_saveexec_b64 s[22:23], vcc
	s_cbranch_execz .LBB323_819
; %bb.818:                              ;   in Loop: Header=BB323_619 Depth=1
	v_lshrrev_b32_e32 v4, 16, v26
	v_cmp_lt_i32_e64 s[4:5], v44, v17
	v_accvgpr_read_b32 v28, a8
	v_cndmask_b32_e64 v4, 0, v4, s[4:5]
	v_cmp_lt_i32_e64 s[4:5], v7, v28
	v_cndmask_b32_e64 v5, 0, v26, s[4:5]
	v_perm_b32 v26, v4, v5, s31
	v_lshrrev_b32_e32 v4, 16, v22
	v_cmp_lt_i32_e64 s[4:5], v58, v17
	v_cndmask_b32_e64 v4, 0, v4, s[4:5]
	v_cmp_lt_i32_e64 s[4:5], v57, v28
	v_cndmask_b32_e64 v5, 0, v22, s[4:5]
	v_perm_b32 v22, v4, v5, s31
	v_lshrrev_b32_e32 v4, 16, v6
	v_cmp_lt_i32_e64 s[4:5], v56, v17
	;; [unrolled: 6-line block ×3, first 2 shown]
	v_cndmask_b32_e64 v4, 0, v4, s[4:5]
	v_cmp_lt_i32_e64 s[4:5], v45, v28
	v_cndmask_b32_e64 v5, 0, v16, s[4:5]
	v_perm_b32 v10, v4, v5, s31
.LBB323_819:                            ;   in Loop: Header=BB323_619 Depth=1
	s_or_b64 exec, exec, s[22:23]
	;;#ASMSTART
	v_pk_mul_f16 v4, v59, v26;

	;;#ASMEND
	;;#ASMSTART
	v_pk_mul_f16 v5, v60, v22;

	;;#ASMEND
	;; [unrolled: 4-line block ×4, first 2 shown]
	;;#ASMSTART
	v_pk_add_f16 v4, v4, v5;

	;;#ASMEND
	;;#ASMSTART
	v_pk_add_f16 v4, v4, v6;

	;;#ASMEND
	;; [unrolled: 4-line block ×3, first 2 shown]
	v_lshrrev_b32_e32 v5, 16, v4
	v_and_b32_e32 v4, 0xffff, v4
	;;#ASMSTART
	v_cvt_f32_f16 v37, v4;
	;;#ASMEND
	;;#ASMSTART
	v_cvt_f32_f16 v33, v5;
	;;#ASMEND
	v_accvgpr_read_b32 v4, a4
	flat_load_dwordx2 v[40:41], v[48:49] offset:2048
	v_accvgpr_read_b32 v5, a5
	flat_load_dword v50, v[4:5]
	v_mov_b32_e32 v54, 0
	v_mov_b32_e32 v52, 0
	s_waitcnt vmcnt(0) lgkmcnt(0)
	v_cmp_ne_u16_sdwa s[4:5], v40, v31 src0_sel:BYTE_0 src1_sel:DWORD
	s_and_saveexec_b64 s[22:23], s[4:5]
	s_cbranch_execz .LBB323_825
; %bb.820:                              ;   in Loop: Header=BB323_619 Depth=1
	v_cmp_ne_u16_sdwa s[4:5], v40, s7 src0_sel:BYTE_0 src1_sel:DWORD
	v_bfrev_b32_e32 v52, 1
	s_and_saveexec_b64 s[24:25], s[4:5]
	s_cbranch_execz .LBB323_824
; %bb.821:                              ;   in Loop: Header=BB323_619 Depth=1
	v_and_b32_e32 v5, 0x7f, v40
	v_cmp_ne_u32_e64 s[4:5], s15, v5
	v_mov_b32_e32 v52, 0x7fc02000
	s_and_saveexec_b64 s[26:27], s[4:5]
	s_cbranch_execz .LBB323_823
; %bb.822:                              ;   in Loop: Header=BB323_619 Depth=1
	v_and_b32_e32 v4, 7, v40
	v_ffbh_u32_e32 v4, v4
	v_min_u32_e32 v4, 32, v4
	v_lshrrev_b32_e32 v6, 3, v5
	v_subrev_u32_e32 v10, 28, v4
	v_sub_u32_e32 v4, 29, v4
	v_cmp_gt_u32_e64 s[4:5], 8, v5
	v_cndmask_b32_e64 v5, 0, v10, s[4:5]
	v_cndmask_b32_e64 v4, v6, v4, s[4:5]
	v_lshlrev_b64 v[10:11], v5, v[40:41]
	v_lshlrev_b32_e32 v6, 8, v40
	v_lshl_add_u32 v4, v4, 10, v39
	v_lshlrev_b32_e32 v5, 7, v10
	v_and_or_b32 v4, v6, s19, v4
	v_and_or_b32 v4, v5, s28, v4
	v_cvt_f32_f16_e32 v52, v4
.LBB323_823:                            ;   in Loop: Header=BB323_619 Depth=1
	s_or_b64 exec, exec, s[26:27]
.LBB323_824:                            ;   in Loop: Header=BB323_619 Depth=1
	s_or_b64 exec, exec, s[24:25]
.LBB323_825:                            ;   in Loop: Header=BB323_619 Depth=1
	s_or_b64 exec, exec, s[22:23]
	v_lshrrev_b16_e32 v30, 8, v40
	v_cmp_ne_u16_e64 s[4:5], 0, v30
	s_and_saveexec_b64 s[22:23], s[4:5]
	s_cbranch_execz .LBB323_831
; %bb.826:                              ;   in Loop: Header=BB323_619 Depth=1
	v_cmp_ne_u16_e64 s[4:5], s7, v30
	v_bfrev_b32_e32 v54, 1
	s_and_saveexec_b64 s[24:25], s[4:5]
	s_cbranch_execz .LBB323_830
; %bb.827:                              ;   in Loop: Header=BB323_619 Depth=1
	v_and_b32_e32 v6, 0x7f, v30
	v_cmp_ne_u32_e64 s[4:5], s15, v6
	v_mov_b32_e32 v54, 0x7fc02000
	s_and_saveexec_b64 s[26:27], s[4:5]
	s_cbranch_execz .LBB323_829
; %bb.828:                              ;   in Loop: Header=BB323_619 Depth=1
	v_and_b32_e32 v4, 7, v30
	v_ffbh_u32_e32 v10, v4
	v_min_u32_e32 v16, 32, v10
	v_subrev_u32_e32 v10, 28, v16
	v_lshlrev_b64 v[10:11], v10, v[30:31]
	v_lshrrev_b32_e32 v5, 3, v6
	v_sub_u32_e32 v11, 29, v16
	v_cmp_gt_u32_e64 s[4:5], 8, v6
	v_cndmask_b32_e64 v5, v5, v11, s[4:5]
	v_and_b32_e32 v10, 7, v10
	v_lshlrev_b32_e32 v6, 8, v30
	v_lshl_add_u32 v5, v5, 10, v39
	v_cndmask_b32_e64 v4, v4, v10, s[4:5]
	v_and_or_b32 v5, v6, s19, v5
	v_lshl_or_b32 v4, v4, 7, v5
	v_cvt_f32_f16_e32 v54, v4
.LBB323_829:                            ;   in Loop: Header=BB323_619 Depth=1
	s_or_b64 exec, exec, s[26:27]
.LBB323_830:                            ;   in Loop: Header=BB323_619 Depth=1
	s_or_b64 exec, exec, s[24:25]
.LBB323_831:                            ;   in Loop: Header=BB323_619 Depth=1
	s_or_b64 exec, exec, s[22:23]
	v_lshrrev_b32_e32 v30, 16, v40
	v_cmp_ne_u16_sdwa s[4:5], v30, v31 src0_sel:BYTE_0 src1_sel:DWORD
	v_mov_b32_e32 v55, 0
	v_mov_b32_e32 v53, 0
	s_and_saveexec_b64 s[22:23], s[4:5]
	s_cbranch_execz .LBB323_837
; %bb.832:                              ;   in Loop: Header=BB323_619 Depth=1
	v_cmp_ne_u16_sdwa s[4:5], v30, s7 src0_sel:BYTE_0 src1_sel:DWORD
	v_bfrev_b32_e32 v53, 1
	s_and_saveexec_b64 s[24:25], s[4:5]
	s_cbranch_execz .LBB323_836
; %bb.833:                              ;   in Loop: Header=BB323_619 Depth=1
	v_bfe_u32 v6, v40, 16, 7
	v_cmp_ne_u32_e64 s[4:5], s15, v6
	v_mov_b32_e32 v53, 0x7fc02000
	s_and_saveexec_b64 s[26:27], s[4:5]
	s_cbranch_execz .LBB323_835
; %bb.834:                              ;   in Loop: Header=BB323_619 Depth=1
	v_and_b32_e32 v4, 7, v30
	v_ffbh_u32_e32 v10, v4
	v_min_u32_e32 v16, 32, v10
	v_subrev_u32_e32 v10, 28, v16
	v_lshlrev_b64 v[10:11], v10, v[30:31]
	v_lshrrev_b32_e32 v5, 3, v6
	v_sub_u32_e32 v11, 29, v16
	v_cmp_gt_u32_e64 s[4:5], 8, v6
	v_cndmask_b32_e64 v5, v5, v11, s[4:5]
	v_and_b32_e32 v10, 7, v10
	v_lshlrev_b32_e32 v6, 8, v30
	v_lshl_add_u32 v5, v5, 10, v39
	v_cndmask_b32_e64 v4, v4, v10, s[4:5]
	v_and_or_b32 v5, v6, s19, v5
	v_lshl_or_b32 v4, v4, 7, v5
	v_cvt_f32_f16_e32 v53, v4
.LBB323_835:                            ;   in Loop: Header=BB323_619 Depth=1
	s_or_b64 exec, exec, s[26:27]
.LBB323_836:                            ;   in Loop: Header=BB323_619 Depth=1
	s_or_b64 exec, exec, s[24:25]
.LBB323_837:                            ;   in Loop: Header=BB323_619 Depth=1
	s_or_b64 exec, exec, s[22:23]
	v_cmp_lt_u32_e64 s[4:5], s11, v40
	s_and_saveexec_b64 s[22:23], s[4:5]
	s_cbranch_execz .LBB323_843
; %bb.838:                              ;   in Loop: Header=BB323_619 Depth=1
	v_lshrrev_b32_e32 v30, 24, v40
	v_cmp_ne_u32_e64 s[4:5], s7, v30
	v_bfrev_b32_e32 v55, 1
	s_and_saveexec_b64 s[24:25], s[4:5]
	s_cbranch_execz .LBB323_842
; %bb.839:                              ;   in Loop: Header=BB323_619 Depth=1
	v_and_b32_e32 v6, 0x7f, v30
	v_cmp_ne_u32_e64 s[4:5], s15, v6
	v_mov_b32_e32 v55, 0x7fc02000
	s_and_saveexec_b64 s[26:27], s[4:5]
	s_cbranch_execz .LBB323_841
; %bb.840:                              ;   in Loop: Header=BB323_619 Depth=1
	v_and_b32_e32 v4, 7, v30
	v_ffbh_u32_e32 v10, v4
	v_min_u32_e32 v16, 32, v10
	v_subrev_u32_e32 v10, 28, v16
	v_lshlrev_b64 v[10:11], v10, v[30:31]
	v_lshrrev_b32_e32 v5, 3, v6
	v_sub_u32_e32 v11, 29, v16
	v_cmp_gt_u32_e64 s[4:5], 8, v6
	v_cndmask_b32_e64 v5, v5, v11, s[4:5]
	v_and_b32_e32 v10, 7, v10
	v_lshlrev_b32_e32 v6, 8, v30
	v_lshl_add_u32 v5, v5, 10, v39
	v_cndmask_b32_e64 v4, v4, v10, s[4:5]
	v_and_or_b32 v5, v6, s19, v5
	v_lshl_or_b32 v4, v4, 7, v5
	v_cvt_f32_f16_e32 v55, v4
.LBB323_841:                            ;   in Loop: Header=BB323_619 Depth=1
	s_or_b64 exec, exec, s[26:27]
.LBB323_842:                            ;   in Loop: Header=BB323_619 Depth=1
	s_or_b64 exec, exec, s[24:25]
.LBB323_843:                            ;   in Loop: Header=BB323_619 Depth=1
	s_or_b64 exec, exec, s[22:23]
	v_mov_b32_e32 v30, v41
	v_cmp_ne_u16_sdwa s[4:5], v41, v31 src0_sel:BYTE_0 src1_sel:DWORD
	v_mov_b32_e32 v10, 0
	v_mov_b32_e32 v6, 0
	s_and_saveexec_b64 s[22:23], s[4:5]
	s_cbranch_execz .LBB323_849
; %bb.844:                              ;   in Loop: Header=BB323_619 Depth=1
	v_cmp_ne_u16_sdwa s[4:5], v41, s7 src0_sel:BYTE_0 src1_sel:DWORD
	v_bfrev_b32_e32 v6, 1
	s_and_saveexec_b64 s[24:25], s[4:5]
	s_cbranch_execz .LBB323_848
; %bb.845:                              ;   in Loop: Header=BB323_619 Depth=1
	v_and_b32_e32 v5, 0x7f, v41
	v_cmp_ne_u32_e64 s[4:5], s15, v5
	v_mov_b32_e32 v6, 0x7fc02000
	s_and_saveexec_b64 s[26:27], s[4:5]
	s_cbranch_execz .LBB323_847
; %bb.846:                              ;   in Loop: Header=BB323_619 Depth=1
	v_and_b32_e32 v4, 7, v41
	v_ffbh_u32_e32 v4, v4
	v_min_u32_e32 v4, 32, v4
	v_lshrrev_b32_e32 v6, 3, v5
	v_subrev_u32_e32 v11, 28, v4
	v_sub_u32_e32 v4, 29, v4
	v_cmp_gt_u32_e64 s[4:5], 8, v5
	v_cndmask_b32_e64 v5, 0, v11, s[4:5]
	v_cndmask_b32_e64 v4, v6, v4, s[4:5]
	v_lshlrev_b64 v[26:27], v5, v[30:31]
	v_lshlrev_b32_e32 v6, 8, v41
	v_lshl_add_u32 v4, v4, 10, v39
	v_lshlrev_b32_e32 v5, 7, v26
	v_and_or_b32 v4, v6, s19, v4
	v_and_or_b32 v4, v5, s28, v4
	v_cvt_f32_f16_e32 v6, v4
.LBB323_847:                            ;   in Loop: Header=BB323_619 Depth=1
	s_or_b64 exec, exec, s[26:27]
.LBB323_848:                            ;   in Loop: Header=BB323_619 Depth=1
	s_or_b64 exec, exec, s[24:25]
.LBB323_849:                            ;   in Loop: Header=BB323_619 Depth=1
	s_or_b64 exec, exec, s[22:23]
	v_lshrrev_b16_e32 v30, 8, v30
	v_cmp_ne_u16_e64 s[4:5], 0, v30
	s_and_saveexec_b64 s[22:23], s[4:5]
	s_cbranch_execz .LBB323_855
; %bb.850:                              ;   in Loop: Header=BB323_619 Depth=1
	v_cmp_ne_u16_e64 s[4:5], s7, v30
	v_bfrev_b32_e32 v10, 1
	s_and_saveexec_b64 s[24:25], s[4:5]
	s_cbranch_execz .LBB323_854
; %bb.851:                              ;   in Loop: Header=BB323_619 Depth=1
	v_and_b32_e32 v11, 0x7f, v30
	v_cmp_ne_u32_e64 s[4:5], s15, v11
	v_mov_b32_e32 v10, 0x7fc02000
	s_and_saveexec_b64 s[26:27], s[4:5]
	s_cbranch_execz .LBB323_853
; %bb.852:                              ;   in Loop: Header=BB323_619 Depth=1
	v_and_b32_e32 v4, 7, v30
	v_ffbh_u32_e32 v10, v4
	v_min_u32_e32 v10, 32, v10
	v_lshrrev_b32_e32 v5, 3, v11
	v_subrev_u32_e32 v16, 28, v10
	v_sub_u32_e32 v10, 29, v10
	v_cmp_gt_u32_e64 s[4:5], 8, v11
	v_lshlrev_b64 v[26:27], v16, v[30:31]
	v_cndmask_b32_e64 v5, v5, v10, s[4:5]
	v_and_b32_e32 v16, 7, v26
	v_lshlrev_b32_e32 v10, 8, v30
	v_lshl_add_u32 v5, v5, 10, v39
	v_cndmask_b32_e64 v4, v4, v16, s[4:5]
	v_and_or_b32 v5, v10, s19, v5
	v_lshl_or_b32 v4, v4, 7, v5
	v_cvt_f32_f16_e32 v10, v4
.LBB323_853:                            ;   in Loop: Header=BB323_619 Depth=1
	s_or_b64 exec, exec, s[26:27]
.LBB323_854:                            ;   in Loop: Header=BB323_619 Depth=1
	s_or_b64 exec, exec, s[24:25]
.LBB323_855:                            ;   in Loop: Header=BB323_619 Depth=1
	s_or_b64 exec, exec, s[22:23]
	v_lshrrev_b32_e32 v30, 16, v41
	v_cmp_ne_u16_sdwa s[4:5], v30, v31 src0_sel:BYTE_0 src1_sel:DWORD
	v_mov_b32_e32 v11, 0
	v_mov_b32_e32 v16, 0
	s_and_saveexec_b64 s[22:23], s[4:5]
	s_cbranch_execz .LBB323_861
; %bb.856:                              ;   in Loop: Header=BB323_619 Depth=1
	v_cmp_ne_u16_sdwa s[4:5], v30, s7 src0_sel:BYTE_0 src1_sel:DWORD
	v_bfrev_b32_e32 v16, 1
	s_and_saveexec_b64 s[24:25], s[4:5]
	s_cbranch_execz .LBB323_860
; %bb.857:                              ;   in Loop: Header=BB323_619 Depth=1
	v_bfe_u32 v22, v41, 16, 7
	v_cmp_ne_u32_e64 s[4:5], s15, v22
	v_mov_b32_e32 v16, 0x7fc02000
	s_and_saveexec_b64 s[26:27], s[4:5]
	s_cbranch_execz .LBB323_859
; %bb.858:                              ;   in Loop: Header=BB323_619 Depth=1
	v_and_b32_e32 v4, 7, v30
	v_ffbh_u32_e32 v16, v4
	v_min_u32_e32 v16, 32, v16
	v_lshrrev_b32_e32 v5, 3, v22
	v_subrev_u32_e32 v26, 28, v16
	v_sub_u32_e32 v16, 29, v16
	v_cmp_gt_u32_e64 s[4:5], 8, v22
	v_lshlrev_b64 v[26:27], v26, v[30:31]
	v_cndmask_b32_e64 v5, v5, v16, s[4:5]
	v_and_b32_e32 v26, 7, v26
	v_lshlrev_b32_e32 v16, 8, v30
	v_lshl_add_u32 v5, v5, 10, v39
	v_cndmask_b32_e64 v4, v4, v26, s[4:5]
	v_and_or_b32 v5, v16, s19, v5
	v_lshl_or_b32 v4, v4, 7, v5
	v_cvt_f32_f16_e32 v16, v4
.LBB323_859:                            ;   in Loop: Header=BB323_619 Depth=1
	s_or_b64 exec, exec, s[26:27]
.LBB323_860:                            ;   in Loop: Header=BB323_619 Depth=1
	s_or_b64 exec, exec, s[24:25]
.LBB323_861:                            ;   in Loop: Header=BB323_619 Depth=1
	s_or_b64 exec, exec, s[22:23]
	v_cmp_lt_u64_e64 s[4:5], s[10:11], v[40:41]
	s_and_saveexec_b64 s[22:23], s[4:5]
	s_cbranch_execz .LBB323_867
; %bb.862:                              ;   in Loop: Header=BB323_619 Depth=1
	v_lshrrev_b32_e32 v30, 24, v41
	v_cmp_ne_u32_e64 s[4:5], s7, v30
	v_bfrev_b32_e32 v11, 1
	s_and_saveexec_b64 s[24:25], s[4:5]
	s_cbranch_execz .LBB323_866
; %bb.863:                              ;   in Loop: Header=BB323_619 Depth=1
	v_and_b32_e32 v22, 0x7f, v30
	v_cmp_ne_u32_e64 s[4:5], s15, v22
	v_mov_b32_e32 v11, 0x7fc02000
	s_and_saveexec_b64 s[26:27], s[4:5]
	s_cbranch_execz .LBB323_865
; %bb.864:                              ;   in Loop: Header=BB323_619 Depth=1
	v_and_b32_e32 v4, 7, v30
	v_ffbh_u32_e32 v11, v4
	v_min_u32_e32 v11, 32, v11
	v_lshrrev_b32_e32 v5, 3, v22
	v_subrev_u32_e32 v26, 28, v11
	v_sub_u32_e32 v11, 29, v11
	v_cmp_gt_u32_e64 s[4:5], 8, v22
	v_lshlrev_b64 v[26:27], v26, v[30:31]
	v_cndmask_b32_e64 v5, v5, v11, s[4:5]
	v_and_b32_e32 v26, 7, v26
	v_lshlrev_b32_e32 v11, 8, v30
	v_lshl_add_u32 v5, v5, 10, v39
	v_cndmask_b32_e64 v4, v4, v26, s[4:5]
	v_and_or_b32 v5, v11, s19, v5
	v_lshl_or_b32 v4, v4, 7, v5
	v_cvt_f32_f16_e32 v11, v4
.LBB323_865:                            ;   in Loop: Header=BB323_619 Depth=1
	s_or_b64 exec, exec, s[26:27]
.LBB323_866:                            ;   in Loop: Header=BB323_619 Depth=1
	s_or_b64 exec, exec, s[24:25]
.LBB323_867:                            ;   in Loop: Header=BB323_619 Depth=1
	s_or_b64 exec, exec, s[22:23]
	v_pk_mul_f32 v[26:27], v[50:51], v[54:55] op_sel_hi:[0,1]
	v_pk_mul_f32 v[34:35], v[50:51], v[52:53] op_sel_hi:[0,1]
	v_cvt_f16_f32_e32 v4, v27
	v_cvt_f16_f32_e32 v5, v26
	;; [unrolled: 1-line block ×4, first 2 shown]
	v_fma_mixlo_f16 v16, v50, v16, 0
	v_pack_b32_f16 v4, v5, v4
	v_pack_b32_f16 v5, v26, v22
	v_perm_b32 v22, v5, v4, s29
	v_perm_b32 v26, v5, v4, s30
	v_fma_mixlo_f16 v4, v50, v10, 0
	v_lshlrev_b32_e32 v4, 16, v4
	v_fma_mixlo_f16 v5, v50, v6, 0
	v_or_b32_sdwa v6, v4, v5 dst_sel:DWORD dst_unused:UNUSED_PAD src0_sel:DWORD src1_sel:WORD_0
	v_fma_mixlo_f16 v4, v50, v11, 0
	v_lshlrev_b32_e32 v4, 16, v4
	v_or_b32_sdwa v10, v4, v16 dst_sel:DWORD dst_unused:UNUSED_PAD src0_sel:DWORD src1_sel:WORD_0
	s_and_saveexec_b64 s[22:23], vcc
	s_cbranch_execz .LBB323_869
; %bb.868:                              ;   in Loop: Header=BB323_619 Depth=1
	v_lshrrev_b32_e32 v4, 16, v26
	v_cmp_lt_i32_e64 s[4:5], v44, v17
	v_accvgpr_read_b32 v28, a8
	v_cndmask_b32_e64 v4, 0, v4, s[4:5]
	v_cmp_lt_i32_e64 s[4:5], v7, v28
	v_cndmask_b32_e64 v5, 0, v26, s[4:5]
	v_perm_b32 v26, v4, v5, s31
	v_lshrrev_b32_e32 v4, 16, v22
	v_cmp_lt_i32_e64 s[4:5], v58, v17
	v_cndmask_b32_e64 v4, 0, v4, s[4:5]
	v_cmp_lt_i32_e64 s[4:5], v57, v28
	v_cndmask_b32_e64 v5, 0, v22, s[4:5]
	v_perm_b32 v22, v4, v5, s31
	v_lshrrev_b32_e32 v4, 16, v6
	v_cmp_lt_i32_e64 s[4:5], v56, v17
	;; [unrolled: 6-line block ×3, first 2 shown]
	v_cndmask_b32_e64 v4, 0, v4, s[4:5]
	v_cmp_lt_i32_e64 s[4:5], v45, v28
	v_cndmask_b32_e64 v5, 0, v16, s[4:5]
	v_perm_b32 v10, v4, v5, s31
.LBB323_869:                            ;   in Loop: Header=BB323_619 Depth=1
	s_or_b64 exec, exec, s[22:23]
	;;#ASMSTART
	v_pk_mul_f16 v4, v59, v26;

	;;#ASMEND
	;;#ASMSTART
	v_pk_mul_f16 v5, v60, v22;

	;;#ASMEND
	;;#ASMSTART
	v_pk_mul_f16 v6, v61, v6;

	;;#ASMEND
	;;#ASMSTART
	v_pk_mul_f16 v10, v62, v10;

	;;#ASMEND
	;;#ASMSTART
	v_pk_add_f16 v4, v4, v5;

	;;#ASMEND
	;;#ASMSTART
	v_pk_add_f16 v4, v4, v6;

	;;#ASMEND
	;; [unrolled: 4-line block ×3, first 2 shown]
	v_lshrrev_b32_e32 v5, 16, v4
	v_and_b32_e32 v4, 0xffff, v4
	;;#ASMSTART
	v_cvt_f32_f16 v32, v4;
	;;#ASMEND
	;;#ASMSTART
	v_cvt_f32_f16 v34, v5;
	;;#ASMEND
	v_accvgpr_read_b32 v4, a4
	flat_load_dwordx2 v[40:41], v[48:49] offset:2560
	v_accvgpr_read_b32 v5, a5
	flat_load_dword v50, v[4:5]
	v_mov_b32_e32 v54, 0
	v_mov_b32_e32 v52, 0
	s_waitcnt vmcnt(0) lgkmcnt(0)
	v_cmp_ne_u16_sdwa s[4:5], v40, v31 src0_sel:BYTE_0 src1_sel:DWORD
	s_and_saveexec_b64 s[22:23], s[4:5]
	s_cbranch_execz .LBB323_875
; %bb.870:                              ;   in Loop: Header=BB323_619 Depth=1
	v_cmp_ne_u16_sdwa s[4:5], v40, s7 src0_sel:BYTE_0 src1_sel:DWORD
	v_bfrev_b32_e32 v52, 1
	s_and_saveexec_b64 s[24:25], s[4:5]
	s_cbranch_execz .LBB323_874
; %bb.871:                              ;   in Loop: Header=BB323_619 Depth=1
	v_and_b32_e32 v5, 0x7f, v40
	v_cmp_ne_u32_e64 s[4:5], s15, v5
	v_mov_b32_e32 v52, 0x7fc02000
	s_and_saveexec_b64 s[26:27], s[4:5]
	s_cbranch_execz .LBB323_873
; %bb.872:                              ;   in Loop: Header=BB323_619 Depth=1
	v_and_b32_e32 v4, 7, v40
	v_ffbh_u32_e32 v4, v4
	v_min_u32_e32 v4, 32, v4
	v_lshrrev_b32_e32 v6, 3, v5
	v_subrev_u32_e32 v10, 28, v4
	v_sub_u32_e32 v4, 29, v4
	v_cmp_gt_u32_e64 s[4:5], 8, v5
	v_cndmask_b32_e64 v5, 0, v10, s[4:5]
	v_cndmask_b32_e64 v4, v6, v4, s[4:5]
	v_lshlrev_b64 v[10:11], v5, v[40:41]
	v_lshlrev_b32_e32 v6, 8, v40
	v_lshl_add_u32 v4, v4, 10, v39
	v_lshlrev_b32_e32 v5, 7, v10
	v_and_or_b32 v4, v6, s19, v4
	v_and_or_b32 v4, v5, s28, v4
	v_cvt_f32_f16_e32 v52, v4
.LBB323_873:                            ;   in Loop: Header=BB323_619 Depth=1
	s_or_b64 exec, exec, s[26:27]
.LBB323_874:                            ;   in Loop: Header=BB323_619 Depth=1
	s_or_b64 exec, exec, s[24:25]
.LBB323_875:                            ;   in Loop: Header=BB323_619 Depth=1
	s_or_b64 exec, exec, s[22:23]
	v_lshrrev_b16_e32 v30, 8, v40
	v_cmp_ne_u16_e64 s[4:5], 0, v30
	s_and_saveexec_b64 s[22:23], s[4:5]
	s_cbranch_execz .LBB323_881
; %bb.876:                              ;   in Loop: Header=BB323_619 Depth=1
	v_cmp_ne_u16_e64 s[4:5], s7, v30
	v_bfrev_b32_e32 v54, 1
	s_and_saveexec_b64 s[24:25], s[4:5]
	s_cbranch_execz .LBB323_880
; %bb.877:                              ;   in Loop: Header=BB323_619 Depth=1
	v_and_b32_e32 v6, 0x7f, v30
	v_cmp_ne_u32_e64 s[4:5], s15, v6
	v_mov_b32_e32 v54, 0x7fc02000
	s_and_saveexec_b64 s[26:27], s[4:5]
	s_cbranch_execz .LBB323_879
; %bb.878:                              ;   in Loop: Header=BB323_619 Depth=1
	v_and_b32_e32 v4, 7, v30
	v_ffbh_u32_e32 v10, v4
	v_min_u32_e32 v16, 32, v10
	v_subrev_u32_e32 v10, 28, v16
	v_lshlrev_b64 v[10:11], v10, v[30:31]
	v_lshrrev_b32_e32 v5, 3, v6
	v_sub_u32_e32 v11, 29, v16
	v_cmp_gt_u32_e64 s[4:5], 8, v6
	v_cndmask_b32_e64 v5, v5, v11, s[4:5]
	v_and_b32_e32 v10, 7, v10
	v_lshlrev_b32_e32 v6, 8, v30
	v_lshl_add_u32 v5, v5, 10, v39
	v_cndmask_b32_e64 v4, v4, v10, s[4:5]
	v_and_or_b32 v5, v6, s19, v5
	v_lshl_or_b32 v4, v4, 7, v5
	v_cvt_f32_f16_e32 v54, v4
.LBB323_879:                            ;   in Loop: Header=BB323_619 Depth=1
	s_or_b64 exec, exec, s[26:27]
.LBB323_880:                            ;   in Loop: Header=BB323_619 Depth=1
	s_or_b64 exec, exec, s[24:25]
.LBB323_881:                            ;   in Loop: Header=BB323_619 Depth=1
	s_or_b64 exec, exec, s[22:23]
	v_lshrrev_b32_e32 v30, 16, v40
	v_cmp_ne_u16_sdwa s[4:5], v30, v31 src0_sel:BYTE_0 src1_sel:DWORD
	v_mov_b32_e32 v55, 0
	v_mov_b32_e32 v53, 0
	s_and_saveexec_b64 s[22:23], s[4:5]
	s_cbranch_execz .LBB323_887
; %bb.882:                              ;   in Loop: Header=BB323_619 Depth=1
	v_cmp_ne_u16_sdwa s[4:5], v30, s7 src0_sel:BYTE_0 src1_sel:DWORD
	v_bfrev_b32_e32 v53, 1
	s_and_saveexec_b64 s[24:25], s[4:5]
	s_cbranch_execz .LBB323_886
; %bb.883:                              ;   in Loop: Header=BB323_619 Depth=1
	v_bfe_u32 v6, v40, 16, 7
	v_cmp_ne_u32_e64 s[4:5], s15, v6
	v_mov_b32_e32 v53, 0x7fc02000
	s_and_saveexec_b64 s[26:27], s[4:5]
	s_cbranch_execz .LBB323_885
; %bb.884:                              ;   in Loop: Header=BB323_619 Depth=1
	v_and_b32_e32 v4, 7, v30
	v_ffbh_u32_e32 v10, v4
	v_min_u32_e32 v16, 32, v10
	v_subrev_u32_e32 v10, 28, v16
	v_lshlrev_b64 v[10:11], v10, v[30:31]
	v_lshrrev_b32_e32 v5, 3, v6
	v_sub_u32_e32 v11, 29, v16
	v_cmp_gt_u32_e64 s[4:5], 8, v6
	v_cndmask_b32_e64 v5, v5, v11, s[4:5]
	v_and_b32_e32 v10, 7, v10
	v_lshlrev_b32_e32 v6, 8, v30
	v_lshl_add_u32 v5, v5, 10, v39
	v_cndmask_b32_e64 v4, v4, v10, s[4:5]
	v_and_or_b32 v5, v6, s19, v5
	v_lshl_or_b32 v4, v4, 7, v5
	v_cvt_f32_f16_e32 v53, v4
.LBB323_885:                            ;   in Loop: Header=BB323_619 Depth=1
	s_or_b64 exec, exec, s[26:27]
.LBB323_886:                            ;   in Loop: Header=BB323_619 Depth=1
	s_or_b64 exec, exec, s[24:25]
.LBB323_887:                            ;   in Loop: Header=BB323_619 Depth=1
	s_or_b64 exec, exec, s[22:23]
	v_cmp_lt_u32_e64 s[4:5], s11, v40
	s_and_saveexec_b64 s[22:23], s[4:5]
	s_cbranch_execz .LBB323_893
; %bb.888:                              ;   in Loop: Header=BB323_619 Depth=1
	v_lshrrev_b32_e32 v30, 24, v40
	v_cmp_ne_u32_e64 s[4:5], s7, v30
	v_bfrev_b32_e32 v55, 1
	s_and_saveexec_b64 s[24:25], s[4:5]
	s_cbranch_execz .LBB323_892
; %bb.889:                              ;   in Loop: Header=BB323_619 Depth=1
	v_and_b32_e32 v6, 0x7f, v30
	v_cmp_ne_u32_e64 s[4:5], s15, v6
	v_mov_b32_e32 v55, 0x7fc02000
	s_and_saveexec_b64 s[26:27], s[4:5]
	s_cbranch_execz .LBB323_891
; %bb.890:                              ;   in Loop: Header=BB323_619 Depth=1
	v_and_b32_e32 v4, 7, v30
	v_ffbh_u32_e32 v10, v4
	v_min_u32_e32 v16, 32, v10
	v_subrev_u32_e32 v10, 28, v16
	v_lshlrev_b64 v[10:11], v10, v[30:31]
	v_lshrrev_b32_e32 v5, 3, v6
	v_sub_u32_e32 v11, 29, v16
	v_cmp_gt_u32_e64 s[4:5], 8, v6
	v_cndmask_b32_e64 v5, v5, v11, s[4:5]
	v_and_b32_e32 v10, 7, v10
	v_lshlrev_b32_e32 v6, 8, v30
	v_lshl_add_u32 v5, v5, 10, v39
	v_cndmask_b32_e64 v4, v4, v10, s[4:5]
	v_and_or_b32 v5, v6, s19, v5
	v_lshl_or_b32 v4, v4, 7, v5
	v_cvt_f32_f16_e32 v55, v4
.LBB323_891:                            ;   in Loop: Header=BB323_619 Depth=1
	s_or_b64 exec, exec, s[26:27]
.LBB323_892:                            ;   in Loop: Header=BB323_619 Depth=1
	s_or_b64 exec, exec, s[24:25]
.LBB323_893:                            ;   in Loop: Header=BB323_619 Depth=1
	s_or_b64 exec, exec, s[22:23]
	v_mov_b32_e32 v30, v41
	v_cmp_ne_u16_sdwa s[4:5], v41, v31 src0_sel:BYTE_0 src1_sel:DWORD
	v_mov_b32_e32 v10, 0
	v_mov_b32_e32 v6, 0
	s_and_saveexec_b64 s[22:23], s[4:5]
	s_cbranch_execz .LBB323_899
; %bb.894:                              ;   in Loop: Header=BB323_619 Depth=1
	v_cmp_ne_u16_sdwa s[4:5], v41, s7 src0_sel:BYTE_0 src1_sel:DWORD
	v_bfrev_b32_e32 v6, 1
	s_and_saveexec_b64 s[24:25], s[4:5]
	s_cbranch_execz .LBB323_898
; %bb.895:                              ;   in Loop: Header=BB323_619 Depth=1
	v_and_b32_e32 v5, 0x7f, v41
	v_cmp_ne_u32_e64 s[4:5], s15, v5
	v_mov_b32_e32 v6, 0x7fc02000
	s_and_saveexec_b64 s[26:27], s[4:5]
	s_cbranch_execz .LBB323_897
; %bb.896:                              ;   in Loop: Header=BB323_619 Depth=1
	v_and_b32_e32 v4, 7, v41
	v_ffbh_u32_e32 v4, v4
	v_min_u32_e32 v4, 32, v4
	v_lshrrev_b32_e32 v6, 3, v5
	v_subrev_u32_e32 v11, 28, v4
	v_sub_u32_e32 v4, 29, v4
	v_cmp_gt_u32_e64 s[4:5], 8, v5
	v_cndmask_b32_e64 v5, 0, v11, s[4:5]
	v_cndmask_b32_e64 v4, v6, v4, s[4:5]
	v_lshlrev_b64 v[26:27], v5, v[30:31]
	v_lshlrev_b32_e32 v6, 8, v41
	v_lshl_add_u32 v4, v4, 10, v39
	v_lshlrev_b32_e32 v5, 7, v26
	v_and_or_b32 v4, v6, s19, v4
	v_and_or_b32 v4, v5, s28, v4
	v_cvt_f32_f16_e32 v6, v4
.LBB323_897:                            ;   in Loop: Header=BB323_619 Depth=1
	s_or_b64 exec, exec, s[26:27]
.LBB323_898:                            ;   in Loop: Header=BB323_619 Depth=1
	s_or_b64 exec, exec, s[24:25]
.LBB323_899:                            ;   in Loop: Header=BB323_619 Depth=1
	s_or_b64 exec, exec, s[22:23]
	v_lshrrev_b16_e32 v30, 8, v30
	v_cmp_ne_u16_e64 s[4:5], 0, v30
	s_and_saveexec_b64 s[22:23], s[4:5]
	s_cbranch_execz .LBB323_905
; %bb.900:                              ;   in Loop: Header=BB323_619 Depth=1
	v_cmp_ne_u16_e64 s[4:5], s7, v30
	v_bfrev_b32_e32 v10, 1
	s_and_saveexec_b64 s[24:25], s[4:5]
	s_cbranch_execz .LBB323_904
; %bb.901:                              ;   in Loop: Header=BB323_619 Depth=1
	v_and_b32_e32 v11, 0x7f, v30
	v_cmp_ne_u32_e64 s[4:5], s15, v11
	v_mov_b32_e32 v10, 0x7fc02000
	s_and_saveexec_b64 s[26:27], s[4:5]
	s_cbranch_execz .LBB323_903
; %bb.902:                              ;   in Loop: Header=BB323_619 Depth=1
	v_and_b32_e32 v4, 7, v30
	v_ffbh_u32_e32 v10, v4
	v_min_u32_e32 v10, 32, v10
	v_lshrrev_b32_e32 v5, 3, v11
	v_subrev_u32_e32 v16, 28, v10
	v_sub_u32_e32 v10, 29, v10
	v_cmp_gt_u32_e64 s[4:5], 8, v11
	v_lshlrev_b64 v[26:27], v16, v[30:31]
	v_cndmask_b32_e64 v5, v5, v10, s[4:5]
	v_and_b32_e32 v16, 7, v26
	v_lshlrev_b32_e32 v10, 8, v30
	v_lshl_add_u32 v5, v5, 10, v39
	v_cndmask_b32_e64 v4, v4, v16, s[4:5]
	v_and_or_b32 v5, v10, s19, v5
	v_lshl_or_b32 v4, v4, 7, v5
	v_cvt_f32_f16_e32 v10, v4
.LBB323_903:                            ;   in Loop: Header=BB323_619 Depth=1
	s_or_b64 exec, exec, s[26:27]
.LBB323_904:                            ;   in Loop: Header=BB323_619 Depth=1
	s_or_b64 exec, exec, s[24:25]
.LBB323_905:                            ;   in Loop: Header=BB323_619 Depth=1
	s_or_b64 exec, exec, s[22:23]
	v_lshrrev_b32_e32 v30, 16, v41
	v_cmp_ne_u16_sdwa s[4:5], v30, v31 src0_sel:BYTE_0 src1_sel:DWORD
	v_mov_b32_e32 v11, 0
	v_mov_b32_e32 v16, 0
	s_and_saveexec_b64 s[22:23], s[4:5]
	s_cbranch_execz .LBB323_911
; %bb.906:                              ;   in Loop: Header=BB323_619 Depth=1
	v_cmp_ne_u16_sdwa s[4:5], v30, s7 src0_sel:BYTE_0 src1_sel:DWORD
	v_bfrev_b32_e32 v16, 1
	s_and_saveexec_b64 s[24:25], s[4:5]
	s_cbranch_execz .LBB323_910
; %bb.907:                              ;   in Loop: Header=BB323_619 Depth=1
	v_bfe_u32 v22, v41, 16, 7
	v_cmp_ne_u32_e64 s[4:5], s15, v22
	v_mov_b32_e32 v16, 0x7fc02000
	s_and_saveexec_b64 s[26:27], s[4:5]
	s_cbranch_execz .LBB323_909
; %bb.908:                              ;   in Loop: Header=BB323_619 Depth=1
	v_and_b32_e32 v4, 7, v30
	v_ffbh_u32_e32 v16, v4
	v_min_u32_e32 v16, 32, v16
	v_lshrrev_b32_e32 v5, 3, v22
	v_subrev_u32_e32 v26, 28, v16
	v_sub_u32_e32 v16, 29, v16
	v_cmp_gt_u32_e64 s[4:5], 8, v22
	v_lshlrev_b64 v[26:27], v26, v[30:31]
	v_cndmask_b32_e64 v5, v5, v16, s[4:5]
	v_and_b32_e32 v26, 7, v26
	v_lshlrev_b32_e32 v16, 8, v30
	v_lshl_add_u32 v5, v5, 10, v39
	v_cndmask_b32_e64 v4, v4, v26, s[4:5]
	v_and_or_b32 v5, v16, s19, v5
	v_lshl_or_b32 v4, v4, 7, v5
	v_cvt_f32_f16_e32 v16, v4
.LBB323_909:                            ;   in Loop: Header=BB323_619 Depth=1
	s_or_b64 exec, exec, s[26:27]
.LBB323_910:                            ;   in Loop: Header=BB323_619 Depth=1
	s_or_b64 exec, exec, s[24:25]
.LBB323_911:                            ;   in Loop: Header=BB323_619 Depth=1
	s_or_b64 exec, exec, s[22:23]
	v_cmp_lt_u64_e64 s[4:5], s[10:11], v[40:41]
	s_and_saveexec_b64 s[22:23], s[4:5]
	s_cbranch_execz .LBB323_917
; %bb.912:                              ;   in Loop: Header=BB323_619 Depth=1
	v_lshrrev_b32_e32 v30, 24, v41
	v_cmp_ne_u32_e64 s[4:5], s7, v30
	v_bfrev_b32_e32 v11, 1
	s_and_saveexec_b64 s[24:25], s[4:5]
	s_cbranch_execz .LBB323_916
; %bb.913:                              ;   in Loop: Header=BB323_619 Depth=1
	v_and_b32_e32 v22, 0x7f, v30
	v_cmp_ne_u32_e64 s[4:5], s15, v22
	v_mov_b32_e32 v11, 0x7fc02000
	s_and_saveexec_b64 s[26:27], s[4:5]
	s_cbranch_execz .LBB323_915
; %bb.914:                              ;   in Loop: Header=BB323_619 Depth=1
	v_and_b32_e32 v4, 7, v30
	v_ffbh_u32_e32 v11, v4
	v_min_u32_e32 v11, 32, v11
	v_lshrrev_b32_e32 v5, 3, v22
	v_subrev_u32_e32 v26, 28, v11
	v_sub_u32_e32 v11, 29, v11
	v_cmp_gt_u32_e64 s[4:5], 8, v22
	v_lshlrev_b64 v[26:27], v26, v[30:31]
	v_cndmask_b32_e64 v5, v5, v11, s[4:5]
	v_and_b32_e32 v26, 7, v26
	v_lshlrev_b32_e32 v11, 8, v30
	v_lshl_add_u32 v5, v5, 10, v39
	v_cndmask_b32_e64 v4, v4, v26, s[4:5]
	v_and_or_b32 v5, v11, s19, v5
	v_lshl_or_b32 v4, v4, 7, v5
	v_cvt_f32_f16_e32 v11, v4
.LBB323_915:                            ;   in Loop: Header=BB323_619 Depth=1
	s_or_b64 exec, exec, s[26:27]
.LBB323_916:                            ;   in Loop: Header=BB323_619 Depth=1
	s_or_b64 exec, exec, s[24:25]
.LBB323_917:                            ;   in Loop: Header=BB323_619 Depth=1
	s_or_b64 exec, exec, s[22:23]
	v_pk_mul_f32 v[26:27], v[50:51], v[54:55] op_sel_hi:[0,1]
	v_pk_mul_f32 v[52:53], v[50:51], v[52:53] op_sel_hi:[0,1]
	v_cvt_f16_f32_e32 v4, v27
	v_cvt_f16_f32_e32 v5, v26
	;; [unrolled: 1-line block ×4, first 2 shown]
	v_fma_mixlo_f16 v16, v50, v16, 0
	v_pack_b32_f16 v4, v5, v4
	v_pack_b32_f16 v5, v26, v22
	v_perm_b32 v22, v5, v4, s29
	v_perm_b32 v26, v5, v4, s30
	v_fma_mixlo_f16 v4, v50, v10, 0
	v_lshlrev_b32_e32 v4, 16, v4
	v_fma_mixlo_f16 v5, v50, v6, 0
	v_or_b32_sdwa v6, v4, v5 dst_sel:DWORD dst_unused:UNUSED_PAD src0_sel:DWORD src1_sel:WORD_0
	v_fma_mixlo_f16 v4, v50, v11, 0
	v_lshlrev_b32_e32 v4, 16, v4
	v_or_b32_sdwa v10, v4, v16 dst_sel:DWORD dst_unused:UNUSED_PAD src0_sel:DWORD src1_sel:WORD_0
	s_and_saveexec_b64 s[22:23], vcc
	s_cbranch_execz .LBB323_919
; %bb.918:                              ;   in Loop: Header=BB323_619 Depth=1
	v_lshrrev_b32_e32 v4, 16, v26
	v_cmp_lt_i32_e64 s[4:5], v44, v17
	v_accvgpr_read_b32 v28, a8
	v_cndmask_b32_e64 v4, 0, v4, s[4:5]
	v_cmp_lt_i32_e64 s[4:5], v7, v28
	v_cndmask_b32_e64 v5, 0, v26, s[4:5]
	v_perm_b32 v26, v4, v5, s31
	v_lshrrev_b32_e32 v4, 16, v22
	v_cmp_lt_i32_e64 s[4:5], v58, v17
	v_cndmask_b32_e64 v4, 0, v4, s[4:5]
	v_cmp_lt_i32_e64 s[4:5], v57, v28
	v_cndmask_b32_e64 v5, 0, v22, s[4:5]
	v_perm_b32 v22, v4, v5, s31
	v_lshrrev_b32_e32 v4, 16, v6
	v_cmp_lt_i32_e64 s[4:5], v56, v17
	;; [unrolled: 6-line block ×3, first 2 shown]
	v_cndmask_b32_e64 v4, 0, v4, s[4:5]
	v_cmp_lt_i32_e64 s[4:5], v45, v28
	v_cndmask_b32_e64 v5, 0, v16, s[4:5]
	v_perm_b32 v10, v4, v5, s31
.LBB323_919:                            ;   in Loop: Header=BB323_619 Depth=1
	s_or_b64 exec, exec, s[22:23]
	;;#ASMSTART
	v_pk_mul_f16 v4, v59, v26;

	;;#ASMEND
	;;#ASMSTART
	v_pk_mul_f16 v5, v60, v22;

	;;#ASMEND
	;; [unrolled: 4-line block ×4, first 2 shown]
	;;#ASMSTART
	v_pk_add_f16 v4, v4, v5;

	;;#ASMEND
	;;#ASMSTART
	v_pk_add_f16 v4, v4, v6;

	;;#ASMEND
	;; [unrolled: 4-line block ×3, first 2 shown]
	v_lshrrev_b32_e32 v5, 16, v4
	v_and_b32_e32 v4, 0xffff, v4
	;;#ASMSTART
	v_cvt_f32_f16 v22, v4;
	;;#ASMEND
	;;#ASMSTART
	v_cvt_f32_f16 v36, v5;
	;;#ASMEND
	v_accvgpr_read_b32 v4, a4
	flat_load_dwordx2 v[40:41], v[48:49] offset:3072
	v_accvgpr_read_b32 v5, a5
	flat_load_dword v50, v[4:5]
	v_mov_b32_e32 v54, 0
	v_mov_b32_e32 v52, 0
	s_waitcnt vmcnt(0) lgkmcnt(0)
	v_cmp_ne_u16_sdwa s[4:5], v40, v31 src0_sel:BYTE_0 src1_sel:DWORD
	s_and_saveexec_b64 s[22:23], s[4:5]
	s_cbranch_execz .LBB323_925
; %bb.920:                              ;   in Loop: Header=BB323_619 Depth=1
	v_cmp_ne_u16_sdwa s[4:5], v40, s7 src0_sel:BYTE_0 src1_sel:DWORD
	v_bfrev_b32_e32 v52, 1
	s_and_saveexec_b64 s[24:25], s[4:5]
	s_cbranch_execz .LBB323_924
; %bb.921:                              ;   in Loop: Header=BB323_619 Depth=1
	v_and_b32_e32 v5, 0x7f, v40
	v_cmp_ne_u32_e64 s[4:5], s15, v5
	v_mov_b32_e32 v52, 0x7fc02000
	s_and_saveexec_b64 s[26:27], s[4:5]
	s_cbranch_execz .LBB323_923
; %bb.922:                              ;   in Loop: Header=BB323_619 Depth=1
	v_and_b32_e32 v4, 7, v40
	v_ffbh_u32_e32 v4, v4
	v_min_u32_e32 v4, 32, v4
	v_lshrrev_b32_e32 v6, 3, v5
	v_subrev_u32_e32 v10, 28, v4
	v_sub_u32_e32 v4, 29, v4
	v_cmp_gt_u32_e64 s[4:5], 8, v5
	v_cndmask_b32_e64 v5, 0, v10, s[4:5]
	v_cndmask_b32_e64 v4, v6, v4, s[4:5]
	v_lshlrev_b64 v[10:11], v5, v[40:41]
	v_lshlrev_b32_e32 v6, 8, v40
	v_lshl_add_u32 v4, v4, 10, v39
	v_lshlrev_b32_e32 v5, 7, v10
	v_and_or_b32 v4, v6, s19, v4
	v_and_or_b32 v4, v5, s28, v4
	v_cvt_f32_f16_e32 v52, v4
.LBB323_923:                            ;   in Loop: Header=BB323_619 Depth=1
	s_or_b64 exec, exec, s[26:27]
.LBB323_924:                            ;   in Loop: Header=BB323_619 Depth=1
	s_or_b64 exec, exec, s[24:25]
.LBB323_925:                            ;   in Loop: Header=BB323_619 Depth=1
	s_or_b64 exec, exec, s[22:23]
	v_lshrrev_b16_e32 v30, 8, v40
	v_cmp_ne_u16_e64 s[4:5], 0, v30
	s_and_saveexec_b64 s[22:23], s[4:5]
	s_cbranch_execz .LBB323_931
; %bb.926:                              ;   in Loop: Header=BB323_619 Depth=1
	v_cmp_ne_u16_e64 s[4:5], s7, v30
	v_bfrev_b32_e32 v54, 1
	s_and_saveexec_b64 s[24:25], s[4:5]
	s_cbranch_execz .LBB323_930
; %bb.927:                              ;   in Loop: Header=BB323_619 Depth=1
	v_and_b32_e32 v6, 0x7f, v30
	v_cmp_ne_u32_e64 s[4:5], s15, v6
	v_mov_b32_e32 v54, 0x7fc02000
	s_and_saveexec_b64 s[26:27], s[4:5]
	s_cbranch_execz .LBB323_929
; %bb.928:                              ;   in Loop: Header=BB323_619 Depth=1
	v_and_b32_e32 v4, 7, v30
	v_ffbh_u32_e32 v10, v4
	v_min_u32_e32 v16, 32, v10
	v_subrev_u32_e32 v10, 28, v16
	v_lshlrev_b64 v[10:11], v10, v[30:31]
	v_lshrrev_b32_e32 v5, 3, v6
	v_sub_u32_e32 v11, 29, v16
	v_cmp_gt_u32_e64 s[4:5], 8, v6
	v_cndmask_b32_e64 v5, v5, v11, s[4:5]
	v_and_b32_e32 v10, 7, v10
	v_lshlrev_b32_e32 v6, 8, v30
	v_lshl_add_u32 v5, v5, 10, v39
	v_cndmask_b32_e64 v4, v4, v10, s[4:5]
	v_and_or_b32 v5, v6, s19, v5
	v_lshl_or_b32 v4, v4, 7, v5
	v_cvt_f32_f16_e32 v54, v4
.LBB323_929:                            ;   in Loop: Header=BB323_619 Depth=1
	s_or_b64 exec, exec, s[26:27]
.LBB323_930:                            ;   in Loop: Header=BB323_619 Depth=1
	s_or_b64 exec, exec, s[24:25]
.LBB323_931:                            ;   in Loop: Header=BB323_619 Depth=1
	s_or_b64 exec, exec, s[22:23]
	v_lshrrev_b32_e32 v30, 16, v40
	v_cmp_ne_u16_sdwa s[4:5], v30, v31 src0_sel:BYTE_0 src1_sel:DWORD
	v_mov_b32_e32 v55, 0
	v_mov_b32_e32 v53, 0
	s_and_saveexec_b64 s[22:23], s[4:5]
	s_cbranch_execz .LBB323_937
; %bb.932:                              ;   in Loop: Header=BB323_619 Depth=1
	v_cmp_ne_u16_sdwa s[4:5], v30, s7 src0_sel:BYTE_0 src1_sel:DWORD
	v_bfrev_b32_e32 v53, 1
	s_and_saveexec_b64 s[24:25], s[4:5]
	s_cbranch_execz .LBB323_936
; %bb.933:                              ;   in Loop: Header=BB323_619 Depth=1
	v_bfe_u32 v6, v40, 16, 7
	v_cmp_ne_u32_e64 s[4:5], s15, v6
	v_mov_b32_e32 v53, 0x7fc02000
	s_and_saveexec_b64 s[26:27], s[4:5]
	s_cbranch_execz .LBB323_935
; %bb.934:                              ;   in Loop: Header=BB323_619 Depth=1
	v_and_b32_e32 v4, 7, v30
	v_ffbh_u32_e32 v10, v4
	v_min_u32_e32 v16, 32, v10
	v_subrev_u32_e32 v10, 28, v16
	v_lshlrev_b64 v[10:11], v10, v[30:31]
	v_lshrrev_b32_e32 v5, 3, v6
	v_sub_u32_e32 v11, 29, v16
	v_cmp_gt_u32_e64 s[4:5], 8, v6
	v_cndmask_b32_e64 v5, v5, v11, s[4:5]
	v_and_b32_e32 v10, 7, v10
	v_lshlrev_b32_e32 v6, 8, v30
	v_lshl_add_u32 v5, v5, 10, v39
	v_cndmask_b32_e64 v4, v4, v10, s[4:5]
	v_and_or_b32 v5, v6, s19, v5
	v_lshl_or_b32 v4, v4, 7, v5
	v_cvt_f32_f16_e32 v53, v4
.LBB323_935:                            ;   in Loop: Header=BB323_619 Depth=1
	s_or_b64 exec, exec, s[26:27]
.LBB323_936:                            ;   in Loop: Header=BB323_619 Depth=1
	s_or_b64 exec, exec, s[24:25]
.LBB323_937:                            ;   in Loop: Header=BB323_619 Depth=1
	s_or_b64 exec, exec, s[22:23]
	v_cmp_lt_u32_e64 s[4:5], s11, v40
	s_and_saveexec_b64 s[22:23], s[4:5]
	s_cbranch_execz .LBB323_943
; %bb.938:                              ;   in Loop: Header=BB323_619 Depth=1
	v_lshrrev_b32_e32 v30, 24, v40
	v_cmp_ne_u32_e64 s[4:5], s7, v30
	v_bfrev_b32_e32 v55, 1
	s_and_saveexec_b64 s[24:25], s[4:5]
	s_cbranch_execz .LBB323_942
; %bb.939:                              ;   in Loop: Header=BB323_619 Depth=1
	v_and_b32_e32 v6, 0x7f, v30
	v_cmp_ne_u32_e64 s[4:5], s15, v6
	v_mov_b32_e32 v55, 0x7fc02000
	s_and_saveexec_b64 s[26:27], s[4:5]
	s_cbranch_execz .LBB323_941
; %bb.940:                              ;   in Loop: Header=BB323_619 Depth=1
	v_and_b32_e32 v4, 7, v30
	v_ffbh_u32_e32 v10, v4
	v_min_u32_e32 v16, 32, v10
	v_subrev_u32_e32 v10, 28, v16
	v_lshlrev_b64 v[10:11], v10, v[30:31]
	v_lshrrev_b32_e32 v5, 3, v6
	v_sub_u32_e32 v11, 29, v16
	v_cmp_gt_u32_e64 s[4:5], 8, v6
	v_cndmask_b32_e64 v5, v5, v11, s[4:5]
	v_and_b32_e32 v10, 7, v10
	v_lshlrev_b32_e32 v6, 8, v30
	v_lshl_add_u32 v5, v5, 10, v39
	v_cndmask_b32_e64 v4, v4, v10, s[4:5]
	v_and_or_b32 v5, v6, s19, v5
	v_lshl_or_b32 v4, v4, 7, v5
	v_cvt_f32_f16_e32 v55, v4
.LBB323_941:                            ;   in Loop: Header=BB323_619 Depth=1
	s_or_b64 exec, exec, s[26:27]
.LBB323_942:                            ;   in Loop: Header=BB323_619 Depth=1
	s_or_b64 exec, exec, s[24:25]
.LBB323_943:                            ;   in Loop: Header=BB323_619 Depth=1
	s_or_b64 exec, exec, s[22:23]
	v_mov_b32_e32 v30, v41
	v_cmp_ne_u16_sdwa s[4:5], v41, v31 src0_sel:BYTE_0 src1_sel:DWORD
	v_mov_b32_e32 v10, 0
	v_mov_b32_e32 v6, 0
	s_and_saveexec_b64 s[22:23], s[4:5]
	s_cbranch_execz .LBB323_949
; %bb.944:                              ;   in Loop: Header=BB323_619 Depth=1
	v_cmp_ne_u16_sdwa s[4:5], v41, s7 src0_sel:BYTE_0 src1_sel:DWORD
	v_bfrev_b32_e32 v6, 1
	s_and_saveexec_b64 s[24:25], s[4:5]
	s_cbranch_execz .LBB323_948
; %bb.945:                              ;   in Loop: Header=BB323_619 Depth=1
	v_and_b32_e32 v5, 0x7f, v41
	v_cmp_ne_u32_e64 s[4:5], s15, v5
	v_mov_b32_e32 v6, 0x7fc02000
	s_and_saveexec_b64 s[26:27], s[4:5]
	s_cbranch_execz .LBB323_947
; %bb.946:                              ;   in Loop: Header=BB323_619 Depth=1
	v_and_b32_e32 v4, 7, v41
	v_ffbh_u32_e32 v4, v4
	v_min_u32_e32 v4, 32, v4
	v_lshrrev_b32_e32 v6, 3, v5
	v_subrev_u32_e32 v11, 28, v4
	v_sub_u32_e32 v4, 29, v4
	v_cmp_gt_u32_e64 s[4:5], 8, v5
	v_cndmask_b32_e64 v5, 0, v11, s[4:5]
	v_cndmask_b32_e64 v4, v6, v4, s[4:5]
	v_lshlrev_b64 v[26:27], v5, v[30:31]
	v_lshlrev_b32_e32 v6, 8, v41
	v_lshl_add_u32 v4, v4, 10, v39
	v_lshlrev_b32_e32 v5, 7, v26
	v_and_or_b32 v4, v6, s19, v4
	v_and_or_b32 v4, v5, s28, v4
	v_cvt_f32_f16_e32 v6, v4
.LBB323_947:                            ;   in Loop: Header=BB323_619 Depth=1
	s_or_b64 exec, exec, s[26:27]
.LBB323_948:                            ;   in Loop: Header=BB323_619 Depth=1
	s_or_b64 exec, exec, s[24:25]
.LBB323_949:                            ;   in Loop: Header=BB323_619 Depth=1
	s_or_b64 exec, exec, s[22:23]
	v_lshrrev_b16_e32 v30, 8, v30
	v_cmp_ne_u16_e64 s[4:5], 0, v30
	s_and_saveexec_b64 s[22:23], s[4:5]
	s_cbranch_execz .LBB323_955
; %bb.950:                              ;   in Loop: Header=BB323_619 Depth=1
	v_cmp_ne_u16_e64 s[4:5], s7, v30
	v_bfrev_b32_e32 v10, 1
	s_and_saveexec_b64 s[24:25], s[4:5]
	s_cbranch_execz .LBB323_954
; %bb.951:                              ;   in Loop: Header=BB323_619 Depth=1
	v_and_b32_e32 v11, 0x7f, v30
	v_cmp_ne_u32_e64 s[4:5], s15, v11
	v_mov_b32_e32 v10, 0x7fc02000
	s_and_saveexec_b64 s[26:27], s[4:5]
	s_cbranch_execz .LBB323_953
; %bb.952:                              ;   in Loop: Header=BB323_619 Depth=1
	v_and_b32_e32 v4, 7, v30
	v_ffbh_u32_e32 v10, v4
	v_min_u32_e32 v10, 32, v10
	v_lshrrev_b32_e32 v5, 3, v11
	v_subrev_u32_e32 v16, 28, v10
	v_sub_u32_e32 v10, 29, v10
	v_cmp_gt_u32_e64 s[4:5], 8, v11
	v_lshlrev_b64 v[26:27], v16, v[30:31]
	v_cndmask_b32_e64 v5, v5, v10, s[4:5]
	v_and_b32_e32 v16, 7, v26
	v_lshlrev_b32_e32 v10, 8, v30
	v_lshl_add_u32 v5, v5, 10, v39
	v_cndmask_b32_e64 v4, v4, v16, s[4:5]
	v_and_or_b32 v5, v10, s19, v5
	v_lshl_or_b32 v4, v4, 7, v5
	v_cvt_f32_f16_e32 v10, v4
.LBB323_953:                            ;   in Loop: Header=BB323_619 Depth=1
	s_or_b64 exec, exec, s[26:27]
.LBB323_954:                            ;   in Loop: Header=BB323_619 Depth=1
	s_or_b64 exec, exec, s[24:25]
.LBB323_955:                            ;   in Loop: Header=BB323_619 Depth=1
	s_or_b64 exec, exec, s[22:23]
	v_lshrrev_b32_e32 v30, 16, v41
	v_cmp_ne_u16_sdwa s[4:5], v30, v31 src0_sel:BYTE_0 src1_sel:DWORD
	v_mov_b32_e32 v11, 0
	v_mov_b32_e32 v16, 0
	s_and_saveexec_b64 s[22:23], s[4:5]
	s_cbranch_execz .LBB323_961
; %bb.956:                              ;   in Loop: Header=BB323_619 Depth=1
	v_cmp_ne_u16_sdwa s[4:5], v30, s7 src0_sel:BYTE_0 src1_sel:DWORD
	v_bfrev_b32_e32 v16, 1
	s_and_saveexec_b64 s[24:25], s[4:5]
	s_cbranch_execz .LBB323_960
; %bb.957:                              ;   in Loop: Header=BB323_619 Depth=1
	v_bfe_u32 v26, v41, 16, 7
	v_cmp_ne_u32_e64 s[4:5], s15, v26
	v_mov_b32_e32 v16, 0x7fc02000
	s_and_saveexec_b64 s[26:27], s[4:5]
	s_cbranch_execz .LBB323_959
; %bb.958:                              ;   in Loop: Header=BB323_619 Depth=1
	v_and_b32_e32 v16, 7, v30
	v_ffbh_u32_e32 v4, v16
	v_min_u32_e32 v28, 32, v4
	v_subrev_u32_e32 v4, 28, v28
	v_lshlrev_b64 v[4:5], v4, v[30:31]
	v_lshrrev_b32_e32 v27, 3, v26
	v_sub_u32_e32 v5, 29, v28
	v_cmp_gt_u32_e64 s[4:5], 8, v26
	v_and_b32_e32 v4, 7, v4
	v_cndmask_b32_e64 v5, v27, v5, s[4:5]
	v_cndmask_b32_e64 v4, v16, v4, s[4:5]
	v_lshlrev_b32_e32 v16, 8, v30
	v_lshl_add_u32 v5, v5, 10, v39
	v_and_or_b32 v5, v16, s19, v5
	v_lshl_or_b32 v4, v4, 7, v5
	v_cvt_f32_f16_e32 v16, v4
.LBB323_959:                            ;   in Loop: Header=BB323_619 Depth=1
	s_or_b64 exec, exec, s[26:27]
.LBB323_960:                            ;   in Loop: Header=BB323_619 Depth=1
	s_or_b64 exec, exec, s[24:25]
.LBB323_961:                            ;   in Loop: Header=BB323_619 Depth=1
	s_or_b64 exec, exec, s[22:23]
	v_cmp_lt_u64_e64 s[4:5], s[10:11], v[40:41]
	s_and_saveexec_b64 s[22:23], s[4:5]
	s_cbranch_execz .LBB323_967
; %bb.962:                              ;   in Loop: Header=BB323_619 Depth=1
	v_lshrrev_b32_e32 v30, 24, v41
	v_cmp_ne_u32_e64 s[4:5], s7, v30
	v_bfrev_b32_e32 v11, 1
	s_and_saveexec_b64 s[24:25], s[4:5]
	s_cbranch_execz .LBB323_966
; %bb.963:                              ;   in Loop: Header=BB323_619 Depth=1
	v_and_b32_e32 v26, 0x7f, v30
	v_cmp_ne_u32_e64 s[4:5], s15, v26
	v_mov_b32_e32 v11, 0x7fc02000
	s_and_saveexec_b64 s[26:27], s[4:5]
	s_cbranch_execz .LBB323_965
; %bb.964:                              ;   in Loop: Header=BB323_619 Depth=1
	v_and_b32_e32 v11, 7, v30
	v_ffbh_u32_e32 v4, v11
	v_min_u32_e32 v28, 32, v4
	v_subrev_u32_e32 v4, 28, v28
	v_lshlrev_b64 v[4:5], v4, v[30:31]
	v_lshrrev_b32_e32 v27, 3, v26
	v_sub_u32_e32 v5, 29, v28
	v_cmp_gt_u32_e64 s[4:5], 8, v26
	v_and_b32_e32 v4, 7, v4
	v_cndmask_b32_e64 v5, v27, v5, s[4:5]
	v_cndmask_b32_e64 v4, v11, v4, s[4:5]
	v_lshlrev_b32_e32 v11, 8, v30
	v_lshl_add_u32 v5, v5, 10, v39
	v_and_or_b32 v5, v11, s19, v5
	v_lshl_or_b32 v4, v4, 7, v5
	v_cvt_f32_f16_e32 v11, v4
.LBB323_965:                            ;   in Loop: Header=BB323_619 Depth=1
	s_or_b64 exec, exec, s[26:27]
.LBB323_966:                            ;   in Loop: Header=BB323_619 Depth=1
	s_or_b64 exec, exec, s[24:25]
.LBB323_967:                            ;   in Loop: Header=BB323_619 Depth=1
	s_or_b64 exec, exec, s[22:23]
	v_pk_mul_f32 v[4:5], v[50:51], v[54:55] op_sel_hi:[0,1]
	v_pk_mul_f32 v[26:27], v[50:51], v[52:53] op_sel_hi:[0,1]
	v_cvt_f16_f32_e32 v5, v5
	v_cvt_f16_f32_e32 v4, v4
	v_cvt_f16_f32_e32 v27, v27
	v_cvt_f16_f32_e32 v26, v26
	v_fma_mixlo_f16 v16, v50, v16, 0
	v_pack_b32_f16 v4, v4, v5
	v_pack_b32_f16 v5, v26, v27
	v_perm_b32 v26, v5, v4, s29
	v_perm_b32 v27, v5, v4, s30
	v_fma_mixlo_f16 v4, v50, v10, 0
	v_lshlrev_b32_e32 v4, 16, v4
	v_fma_mixlo_f16 v5, v50, v6, 0
	v_or_b32_sdwa v6, v4, v5 dst_sel:DWORD dst_unused:UNUSED_PAD src0_sel:DWORD src1_sel:WORD_0
	v_fma_mixlo_f16 v4, v50, v11, 0
	v_lshlrev_b32_e32 v4, 16, v4
	v_or_b32_sdwa v10, v4, v16 dst_sel:DWORD dst_unused:UNUSED_PAD src0_sel:DWORD src1_sel:WORD_0
	s_and_saveexec_b64 s[22:23], vcc
	s_cbranch_execz .LBB323_969
; %bb.968:                              ;   in Loop: Header=BB323_619 Depth=1
	v_lshrrev_b32_e32 v4, 16, v27
	v_cmp_lt_i32_e64 s[4:5], v44, v17
	v_accvgpr_read_b32 v28, a8
	v_cndmask_b32_e64 v4, 0, v4, s[4:5]
	v_cmp_lt_i32_e64 s[4:5], v7, v28
	v_cndmask_b32_e64 v5, 0, v27, s[4:5]
	v_perm_b32 v27, v4, v5, s31
	v_lshrrev_b32_e32 v4, 16, v26
	v_cmp_lt_i32_e64 s[4:5], v58, v17
	v_cndmask_b32_e64 v4, 0, v4, s[4:5]
	v_cmp_lt_i32_e64 s[4:5], v57, v28
	v_cndmask_b32_e64 v5, 0, v26, s[4:5]
	v_perm_b32 v26, v4, v5, s31
	v_lshrrev_b32_e32 v4, 16, v6
	v_cmp_lt_i32_e64 s[4:5], v56, v17
	;; [unrolled: 6-line block ×3, first 2 shown]
	v_cndmask_b32_e64 v4, 0, v4, s[4:5]
	v_cmp_lt_i32_e64 s[4:5], v45, v28
	v_cndmask_b32_e64 v5, 0, v16, s[4:5]
	v_perm_b32 v10, v4, v5, s31
.LBB323_969:                            ;   in Loop: Header=BB323_619 Depth=1
	s_or_b64 exec, exec, s[22:23]
	;;#ASMSTART
	v_pk_mul_f16 v4, v59, v27;

	;;#ASMEND
	;;#ASMSTART
	v_pk_mul_f16 v5, v60, v26;

	;;#ASMEND
	;; [unrolled: 4-line block ×4, first 2 shown]
	;;#ASMSTART
	v_pk_add_f16 v4, v4, v5;

	;;#ASMEND
	;;#ASMSTART
	v_pk_add_f16 v4, v4, v6;

	;;#ASMEND
	;; [unrolled: 4-line block ×3, first 2 shown]
	v_lshrrev_b32_e32 v5, 16, v4
	v_and_b32_e32 v4, 0xffff, v4
	;;#ASMSTART
	v_cvt_f32_f16 v40, v4;
	;;#ASMEND
	;;#ASMSTART
	v_cvt_f32_f16 v41, v5;
	;;#ASMEND
	v_accvgpr_read_b32 v4, a4
	flat_load_dwordx2 v[54:55], v[48:49] offset:3584
	v_accvgpr_read_b32 v5, a5
	flat_load_dword v48, v[4:5]
	v_mov_b32_e32 v52, 0
	v_mov_b32_e32 v50, 0
	s_waitcnt vmcnt(0) lgkmcnt(0)
	v_cmp_ne_u16_sdwa s[4:5], v54, v31 src0_sel:BYTE_0 src1_sel:DWORD
	s_and_saveexec_b64 s[22:23], s[4:5]
	s_cbranch_execz .LBB323_975
; %bb.970:                              ;   in Loop: Header=BB323_619 Depth=1
	v_cmp_ne_u16_sdwa s[4:5], v54, s7 src0_sel:BYTE_0 src1_sel:DWORD
	v_bfrev_b32_e32 v50, 1
	s_and_saveexec_b64 s[24:25], s[4:5]
	s_cbranch_execz .LBB323_974
; %bb.971:                              ;   in Loop: Header=BB323_619 Depth=1
	v_and_b32_e32 v5, 0x7f, v54
	v_cmp_ne_u32_e64 s[4:5], s15, v5
	v_mov_b32_e32 v50, 0x7fc02000
	s_and_saveexec_b64 s[26:27], s[4:5]
	s_cbranch_execz .LBB323_973
; %bb.972:                              ;   in Loop: Header=BB323_619 Depth=1
	v_and_b32_e32 v4, 7, v54
	v_ffbh_u32_e32 v4, v4
	v_min_u32_e32 v4, 32, v4
	v_subrev_u32_e32 v10, 28, v4
	v_cmp_gt_u32_e64 s[4:5], 8, v5
	v_sub_u32_e32 v11, 29, v4
	v_cndmask_b32_e64 v4, 0, v10, s[4:5]
	v_lshrrev_b32_e32 v6, 3, v5
	v_lshlrev_b64 v[4:5], v4, v[54:55]
	v_cndmask_b32_e64 v5, v6, v11, s[4:5]
	v_lshlrev_b32_e32 v6, 8, v54
	v_lshl_add_u32 v5, v5, 10, v39
	v_lshlrev_b32_e32 v4, 7, v4
	v_and_or_b32 v5, v6, s19, v5
	v_and_or_b32 v4, v4, s28, v5
	v_cvt_f32_f16_e32 v50, v4
.LBB323_973:                            ;   in Loop: Header=BB323_619 Depth=1
	s_or_b64 exec, exec, s[26:27]
.LBB323_974:                            ;   in Loop: Header=BB323_619 Depth=1
	s_or_b64 exec, exec, s[24:25]
.LBB323_975:                            ;   in Loop: Header=BB323_619 Depth=1
	s_or_b64 exec, exec, s[22:23]
	v_lshrrev_b16_e32 v30, 8, v54
	v_cmp_ne_u16_e64 s[4:5], 0, v30
	s_and_saveexec_b64 s[22:23], s[4:5]
	s_cbranch_execz .LBB323_981
; %bb.976:                              ;   in Loop: Header=BB323_619 Depth=1
	v_cmp_ne_u16_e64 s[4:5], s7, v30
	v_bfrev_b32_e32 v52, 1
	s_and_saveexec_b64 s[24:25], s[4:5]
	s_cbranch_execz .LBB323_980
; %bb.977:                              ;   in Loop: Header=BB323_619 Depth=1
	v_and_b32_e32 v6, 0x7f, v30
	v_cmp_ne_u32_e64 s[4:5], s15, v6
	v_mov_b32_e32 v52, 0x7fc02000
	s_and_saveexec_b64 s[26:27], s[4:5]
	s_cbranch_execz .LBB323_979
; %bb.978:                              ;   in Loop: Header=BB323_619 Depth=1
	v_and_b32_e32 v10, 7, v30
	v_ffbh_u32_e32 v4, v10
	v_min_u32_e32 v16, 32, v4
	v_subrev_u32_e32 v4, 28, v16
	v_lshlrev_b64 v[4:5], v4, v[30:31]
	v_lshrrev_b32_e32 v11, 3, v6
	v_sub_u32_e32 v5, 29, v16
	v_cmp_gt_u32_e64 s[4:5], 8, v6
	v_cndmask_b32_e64 v5, v11, v5, s[4:5]
	v_and_b32_e32 v4, 7, v4
	v_lshlrev_b32_e32 v6, 8, v30
	v_lshl_add_u32 v5, v5, 10, v39
	v_cndmask_b32_e64 v4, v10, v4, s[4:5]
	v_and_or_b32 v5, v6, s19, v5
	v_lshl_or_b32 v4, v4, 7, v5
	v_cvt_f32_f16_e32 v52, v4
.LBB323_979:                            ;   in Loop: Header=BB323_619 Depth=1
	s_or_b64 exec, exec, s[26:27]
.LBB323_980:                            ;   in Loop: Header=BB323_619 Depth=1
	s_or_b64 exec, exec, s[24:25]
.LBB323_981:                            ;   in Loop: Header=BB323_619 Depth=1
	s_or_b64 exec, exec, s[22:23]
	v_lshrrev_b32_e32 v30, 16, v54
	v_cmp_ne_u16_sdwa s[4:5], v30, v31 src0_sel:BYTE_0 src1_sel:DWORD
	v_mov_b32_e32 v53, 0
	v_mov_b32_e32 v51, 0
	s_and_saveexec_b64 s[22:23], s[4:5]
	s_cbranch_execz .LBB323_987
; %bb.982:                              ;   in Loop: Header=BB323_619 Depth=1
	v_cmp_ne_u16_sdwa s[4:5], v30, s7 src0_sel:BYTE_0 src1_sel:DWORD
	v_bfrev_b32_e32 v51, 1
	s_and_saveexec_b64 s[24:25], s[4:5]
	s_cbranch_execz .LBB323_986
; %bb.983:                              ;   in Loop: Header=BB323_619 Depth=1
	v_bfe_u32 v6, v54, 16, 7
	v_cmp_ne_u32_e64 s[4:5], s15, v6
	v_mov_b32_e32 v51, 0x7fc02000
	s_and_saveexec_b64 s[26:27], s[4:5]
	s_cbranch_execz .LBB323_985
; %bb.984:                              ;   in Loop: Header=BB323_619 Depth=1
	v_and_b32_e32 v10, 7, v30
	v_ffbh_u32_e32 v4, v10
	v_min_u32_e32 v16, 32, v4
	v_subrev_u32_e32 v4, 28, v16
	v_lshlrev_b64 v[4:5], v4, v[30:31]
	v_lshrrev_b32_e32 v11, 3, v6
	v_sub_u32_e32 v5, 29, v16
	v_cmp_gt_u32_e64 s[4:5], 8, v6
	v_cndmask_b32_e64 v5, v11, v5, s[4:5]
	v_and_b32_e32 v4, 7, v4
	v_lshlrev_b32_e32 v6, 8, v30
	v_lshl_add_u32 v5, v5, 10, v39
	v_cndmask_b32_e64 v4, v10, v4, s[4:5]
	v_and_or_b32 v5, v6, s19, v5
	v_lshl_or_b32 v4, v4, 7, v5
	v_cvt_f32_f16_e32 v51, v4
.LBB323_985:                            ;   in Loop: Header=BB323_619 Depth=1
	s_or_b64 exec, exec, s[26:27]
.LBB323_986:                            ;   in Loop: Header=BB323_619 Depth=1
	s_or_b64 exec, exec, s[24:25]
.LBB323_987:                            ;   in Loop: Header=BB323_619 Depth=1
	s_or_b64 exec, exec, s[22:23]
	v_cmp_lt_u32_e64 s[4:5], s11, v54
	s_and_saveexec_b64 s[22:23], s[4:5]
	s_cbranch_execz .LBB323_993
; %bb.988:                              ;   in Loop: Header=BB323_619 Depth=1
	v_lshrrev_b32_e32 v30, 24, v54
	v_cmp_ne_u32_e64 s[4:5], s7, v30
	v_bfrev_b32_e32 v53, 1
	s_and_saveexec_b64 s[24:25], s[4:5]
	s_cbranch_execz .LBB323_992
; %bb.989:                              ;   in Loop: Header=BB323_619 Depth=1
	v_and_b32_e32 v6, 0x7f, v30
	v_cmp_ne_u32_e64 s[4:5], s15, v6
	v_mov_b32_e32 v53, 0x7fc02000
	s_and_saveexec_b64 s[26:27], s[4:5]
	s_cbranch_execz .LBB323_991
; %bb.990:                              ;   in Loop: Header=BB323_619 Depth=1
	v_and_b32_e32 v10, 7, v30
	v_ffbh_u32_e32 v4, v10
	v_min_u32_e32 v16, 32, v4
	v_subrev_u32_e32 v4, 28, v16
	v_lshlrev_b64 v[4:5], v4, v[30:31]
	v_lshrrev_b32_e32 v11, 3, v6
	v_sub_u32_e32 v5, 29, v16
	v_cmp_gt_u32_e64 s[4:5], 8, v6
	v_cndmask_b32_e64 v5, v11, v5, s[4:5]
	v_and_b32_e32 v4, 7, v4
	v_lshlrev_b32_e32 v6, 8, v30
	v_lshl_add_u32 v5, v5, 10, v39
	v_cndmask_b32_e64 v4, v10, v4, s[4:5]
	v_and_or_b32 v5, v6, s19, v5
	v_lshl_or_b32 v4, v4, 7, v5
	v_cvt_f32_f16_e32 v53, v4
.LBB323_991:                            ;   in Loop: Header=BB323_619 Depth=1
	s_or_b64 exec, exec, s[26:27]
.LBB323_992:                            ;   in Loop: Header=BB323_619 Depth=1
	s_or_b64 exec, exec, s[24:25]
.LBB323_993:                            ;   in Loop: Header=BB323_619 Depth=1
	s_or_b64 exec, exec, s[22:23]
	v_mov_b32_e32 v30, v55
	v_cmp_ne_u16_sdwa s[4:5], v55, v31 src0_sel:BYTE_0 src1_sel:DWORD
	v_mov_b32_e32 v10, 0
	v_mov_b32_e32 v6, 0
	s_and_saveexec_b64 s[22:23], s[4:5]
	s_cbranch_execz .LBB323_999
; %bb.994:                              ;   in Loop: Header=BB323_619 Depth=1
	v_cmp_ne_u16_sdwa s[4:5], v55, s7 src0_sel:BYTE_0 src1_sel:DWORD
	v_bfrev_b32_e32 v6, 1
	s_and_saveexec_b64 s[24:25], s[4:5]
	s_cbranch_execz .LBB323_998
; %bb.995:                              ;   in Loop: Header=BB323_619 Depth=1
	v_and_b32_e32 v5, 0x7f, v55
	v_cmp_ne_u32_e64 s[4:5], s15, v5
	v_mov_b32_e32 v6, 0x7fc02000
	s_and_saveexec_b64 s[26:27], s[4:5]
	s_cbranch_execz .LBB323_997
; %bb.996:                              ;   in Loop: Header=BB323_619 Depth=1
	v_and_b32_e32 v4, 7, v55
	v_ffbh_u32_e32 v4, v4
	v_min_u32_e32 v4, 32, v4
	v_subrev_u32_e32 v11, 28, v4
	v_cmp_gt_u32_e64 s[4:5], 8, v5
	v_sub_u32_e32 v16, 29, v4
	v_cndmask_b32_e64 v4, 0, v11, s[4:5]
	v_lshrrev_b32_e32 v6, 3, v5
	v_lshlrev_b64 v[4:5], v4, v[30:31]
	v_cndmask_b32_e64 v5, v6, v16, s[4:5]
	v_lshlrev_b32_e32 v6, 8, v55
	v_lshl_add_u32 v5, v5, 10, v39
	v_lshlrev_b32_e32 v4, 7, v4
	v_and_or_b32 v5, v6, s19, v5
	v_and_or_b32 v4, v4, s28, v5
	v_cvt_f32_f16_e32 v6, v4
.LBB323_997:                            ;   in Loop: Header=BB323_619 Depth=1
	s_or_b64 exec, exec, s[26:27]
.LBB323_998:                            ;   in Loop: Header=BB323_619 Depth=1
	s_or_b64 exec, exec, s[24:25]
.LBB323_999:                            ;   in Loop: Header=BB323_619 Depth=1
	s_or_b64 exec, exec, s[22:23]
	v_lshrrev_b16_e32 v30, 8, v30
	v_cmp_ne_u16_e64 s[4:5], 0, v30
	s_and_saveexec_b64 s[22:23], s[4:5]
	s_cbranch_execz .LBB323_1005
; %bb.1000:                             ;   in Loop: Header=BB323_619 Depth=1
	v_cmp_ne_u16_e64 s[4:5], s7, v30
	v_bfrev_b32_e32 v10, 1
	s_and_saveexec_b64 s[24:25], s[4:5]
	s_cbranch_execz .LBB323_1004
; %bb.1001:                             ;   in Loop: Header=BB323_619 Depth=1
	v_and_b32_e32 v11, 0x7f, v30
	v_cmp_ne_u32_e64 s[4:5], s15, v11
	v_mov_b32_e32 v10, 0x7fc02000
	s_and_saveexec_b64 s[26:27], s[4:5]
	s_cbranch_execz .LBB323_1003
; %bb.1002:                             ;   in Loop: Header=BB323_619 Depth=1
	v_and_b32_e32 v10, 7, v30
	v_ffbh_u32_e32 v4, v10
	v_min_u32_e32 v26, 32, v4
	v_subrev_u32_e32 v4, 28, v26
	v_lshlrev_b64 v[4:5], v4, v[30:31]
	v_lshrrev_b32_e32 v16, 3, v11
	v_sub_u32_e32 v5, 29, v26
	v_cmp_gt_u32_e64 s[4:5], 8, v11
	v_and_b32_e32 v4, 7, v4
	v_cndmask_b32_e64 v5, v16, v5, s[4:5]
	v_cndmask_b32_e64 v4, v10, v4, s[4:5]
	v_lshlrev_b32_e32 v10, 8, v30
	v_lshl_add_u32 v5, v5, 10, v39
	v_and_or_b32 v5, v10, s19, v5
	v_lshl_or_b32 v4, v4, 7, v5
	v_cvt_f32_f16_e32 v10, v4
.LBB323_1003:                           ;   in Loop: Header=BB323_619 Depth=1
	s_or_b64 exec, exec, s[26:27]
.LBB323_1004:                           ;   in Loop: Header=BB323_619 Depth=1
	s_or_b64 exec, exec, s[24:25]
.LBB323_1005:                           ;   in Loop: Header=BB323_619 Depth=1
	s_or_b64 exec, exec, s[22:23]
	v_lshrrev_b32_e32 v30, 16, v55
	v_cmp_ne_u16_sdwa s[4:5], v30, v31 src0_sel:BYTE_0 src1_sel:DWORD
	v_mov_b32_e32 v11, 0
	v_mov_b32_e32 v16, 0
	s_and_saveexec_b64 s[22:23], s[4:5]
	s_cbranch_execz .LBB323_1011
; %bb.1006:                             ;   in Loop: Header=BB323_619 Depth=1
	v_cmp_ne_u16_sdwa s[4:5], v30, s7 src0_sel:BYTE_0 src1_sel:DWORD
	v_bfrev_b32_e32 v16, 1
	s_and_saveexec_b64 s[24:25], s[4:5]
	s_cbranch_execz .LBB323_1010
; %bb.1007:                             ;   in Loop: Header=BB323_619 Depth=1
	v_bfe_u32 v26, v55, 16, 7
	v_cmp_ne_u32_e64 s[4:5], s15, v26
	v_mov_b32_e32 v16, 0x7fc02000
	s_and_saveexec_b64 s[26:27], s[4:5]
	s_cbranch_execz .LBB323_1009
; %bb.1008:                             ;   in Loop: Header=BB323_619 Depth=1
	v_and_b32_e32 v16, 7, v30
	v_ffbh_u32_e32 v4, v16
	v_min_u32_e32 v28, 32, v4
	v_subrev_u32_e32 v4, 28, v28
	v_lshlrev_b64 v[4:5], v4, v[30:31]
	v_lshrrev_b32_e32 v27, 3, v26
	v_sub_u32_e32 v5, 29, v28
	v_cmp_gt_u32_e64 s[4:5], 8, v26
	v_and_b32_e32 v4, 7, v4
	v_cndmask_b32_e64 v5, v27, v5, s[4:5]
	v_cndmask_b32_e64 v4, v16, v4, s[4:5]
	v_lshlrev_b32_e32 v16, 8, v30
	v_lshl_add_u32 v5, v5, 10, v39
	v_and_or_b32 v5, v16, s19, v5
	v_lshl_or_b32 v4, v4, 7, v5
	v_cvt_f32_f16_e32 v16, v4
.LBB323_1009:                           ;   in Loop: Header=BB323_619 Depth=1
	s_or_b64 exec, exec, s[26:27]
.LBB323_1010:                           ;   in Loop: Header=BB323_619 Depth=1
	s_or_b64 exec, exec, s[24:25]
.LBB323_1011:                           ;   in Loop: Header=BB323_619 Depth=1
	s_or_b64 exec, exec, s[22:23]
	v_cmp_lt_u64_e64 s[4:5], s[10:11], v[54:55]
	s_and_saveexec_b64 s[22:23], s[4:5]
	s_cbranch_execz .LBB323_1017
; %bb.1012:                             ;   in Loop: Header=BB323_619 Depth=1
	v_lshrrev_b32_e32 v30, 24, v55
	v_cmp_ne_u32_e64 s[4:5], s7, v30
	v_bfrev_b32_e32 v11, 1
	s_and_saveexec_b64 s[24:25], s[4:5]
	s_cbranch_execz .LBB323_1016
; %bb.1013:                             ;   in Loop: Header=BB323_619 Depth=1
	v_and_b32_e32 v26, 0x7f, v30
	v_cmp_ne_u32_e64 s[4:5], s15, v26
	v_mov_b32_e32 v11, 0x7fc02000
	s_and_saveexec_b64 s[26:27], s[4:5]
	s_cbranch_execz .LBB323_1015
; %bb.1014:                             ;   in Loop: Header=BB323_619 Depth=1
	v_and_b32_e32 v11, 7, v30
	v_ffbh_u32_e32 v4, v11
	v_min_u32_e32 v28, 32, v4
	v_subrev_u32_e32 v4, 28, v28
	v_lshlrev_b64 v[4:5], v4, v[30:31]
	v_lshrrev_b32_e32 v27, 3, v26
	v_sub_u32_e32 v5, 29, v28
	v_cmp_gt_u32_e64 s[4:5], 8, v26
	v_and_b32_e32 v4, 7, v4
	v_cndmask_b32_e64 v5, v27, v5, s[4:5]
	v_cndmask_b32_e64 v4, v11, v4, s[4:5]
	v_lshlrev_b32_e32 v11, 8, v30
	v_lshl_add_u32 v5, v5, 10, v39
	v_and_or_b32 v5, v11, s19, v5
	v_lshl_or_b32 v4, v4, 7, v5
	v_cvt_f32_f16_e32 v11, v4
.LBB323_1015:                           ;   in Loop: Header=BB323_619 Depth=1
	s_or_b64 exec, exec, s[26:27]
.LBB323_1016:                           ;   in Loop: Header=BB323_619 Depth=1
	s_or_b64 exec, exec, s[24:25]
.LBB323_1017:                           ;   in Loop: Header=BB323_619 Depth=1
	s_or_b64 exec, exec, s[22:23]
	v_pk_mul_f32 v[4:5], v[48:49], v[52:53] op_sel_hi:[0,1]
	v_pk_mul_f32 v[26:27], v[48:49], v[50:51] op_sel_hi:[0,1]
	v_cvt_f16_f32_e32 v5, v5
	v_cvt_f16_f32_e32 v4, v4
	;; [unrolled: 1-line block ×4, first 2 shown]
	v_fma_mixlo_f16 v16, v48, v16, 0
	v_pack_b32_f16 v4, v4, v5
	v_pack_b32_f16 v5, v26, v27
	v_perm_b32 v26, v5, v4, s29
	v_perm_b32 v27, v5, v4, s30
	v_fma_mixlo_f16 v4, v48, v10, 0
	v_lshlrev_b32_e32 v4, 16, v4
	v_fma_mixlo_f16 v5, v48, v6, 0
	v_or_b32_sdwa v6, v4, v5 dst_sel:DWORD dst_unused:UNUSED_PAD src0_sel:DWORD src1_sel:WORD_0
	v_fma_mixlo_f16 v4, v48, v11, 0
	v_lshlrev_b32_e32 v4, 16, v4
	v_or_b32_sdwa v10, v4, v16 dst_sel:DWORD dst_unused:UNUSED_PAD src0_sel:DWORD src1_sel:WORD_0
	s_and_saveexec_b64 s[22:23], vcc
	s_cbranch_execz .LBB323_1019
; %bb.1018:                             ;   in Loop: Header=BB323_619 Depth=1
	v_lshrrev_b32_e32 v4, 16, v27
	v_cmp_lt_i32_e64 s[4:5], v44, v17
	v_accvgpr_read_b32 v28, a8
	v_cndmask_b32_e64 v4, 0, v4, s[4:5]
	v_cmp_lt_i32_e64 s[4:5], v7, v28
	v_cndmask_b32_e64 v5, 0, v27, s[4:5]
	v_perm_b32 v27, v4, v5, s31
	v_lshrrev_b32_e32 v4, 16, v26
	v_cmp_lt_i32_e64 s[4:5], v58, v17
	v_cndmask_b32_e64 v4, 0, v4, s[4:5]
	v_cmp_lt_i32_e64 s[4:5], v57, v28
	v_cndmask_b32_e64 v5, 0, v26, s[4:5]
	v_perm_b32 v26, v4, v5, s31
	v_lshrrev_b32_e32 v4, 16, v6
	v_cmp_lt_i32_e64 s[4:5], v56, v17
	;; [unrolled: 6-line block ×3, first 2 shown]
	v_cndmask_b32_e64 v4, 0, v4, s[4:5]
	v_cmp_lt_i32_e64 s[4:5], v45, v28
	v_cndmask_b32_e64 v5, 0, v16, s[4:5]
	v_perm_b32 v10, v4, v5, s31
.LBB323_1019:                           ;   in Loop: Header=BB323_619 Depth=1
	s_or_b64 exec, exec, s[22:23]
	;;#ASMSTART
	v_pk_mul_f16 v4, v59, v27;

	;;#ASMEND
	;;#ASMSTART
	v_pk_mul_f16 v5, v60, v26;

	;;#ASMEND
	;; [unrolled: 4-line block ×4, first 2 shown]
	;;#ASMSTART
	v_pk_add_f16 v4, v4, v5;

	;;#ASMEND
	;;#ASMSTART
	v_pk_add_f16 v4, v4, v6;

	;;#ASMEND
	;;#ASMSTART
	v_pk_add_f16 v4, v4, v10;

	;;#ASMEND
	v_lshrrev_b32_e32 v5, 16, v4
	v_and_b32_e32 v4, 0xffff, v4
	;;#ASMSTART
	v_cvt_f32_f16 v6, v4;
	;;#ASMEND
	v_accvgpr_read_b32 v4, a20
	v_add_co_u32_e64 v4, s[4:5], v18, v4
	;;#ASMSTART
	v_cvt_f32_f16 v38, v5;
	;;#ASMEND
	v_addc_co_u32_e64 v5, s[4:5], 0, v19, s[4:5]
	flat_load_dwordx2 v[54:55], v[4:5]
	v_accvgpr_read_b32 v4, a4
	v_accvgpr_read_b32 v5, a5
	flat_load_dword v48, v[4:5]
	v_mov_b32_e32 v52, 0
	v_mov_b32_e32 v50, 0
	s_waitcnt vmcnt(0) lgkmcnt(0)
	v_cmp_ne_u16_sdwa s[4:5], v54, v31 src0_sel:BYTE_0 src1_sel:DWORD
	s_and_saveexec_b64 s[22:23], s[4:5]
	s_cbranch_execz .LBB323_1025
; %bb.1020:                             ;   in Loop: Header=BB323_619 Depth=1
	v_cmp_ne_u16_sdwa s[4:5], v54, s7 src0_sel:BYTE_0 src1_sel:DWORD
	v_bfrev_b32_e32 v50, 1
	s_and_saveexec_b64 s[24:25], s[4:5]
	s_cbranch_execz .LBB323_1024
; %bb.1021:                             ;   in Loop: Header=BB323_619 Depth=1
	v_and_b32_e32 v5, 0x7f, v54
	v_cmp_ne_u32_e64 s[4:5], s15, v5
	v_mov_b32_e32 v50, 0x7fc02000
	s_and_saveexec_b64 s[26:27], s[4:5]
	s_cbranch_execz .LBB323_1023
; %bb.1022:                             ;   in Loop: Header=BB323_619 Depth=1
	v_and_b32_e32 v4, 7, v54
	v_ffbh_u32_e32 v4, v4
	v_min_u32_e32 v4, 32, v4
	v_subrev_u32_e32 v11, 28, v4
	v_cmp_gt_u32_e64 s[4:5], 8, v5
	v_sub_u32_e32 v16, 29, v4
	v_cndmask_b32_e64 v4, 0, v11, s[4:5]
	v_lshrrev_b32_e32 v10, 3, v5
	v_lshlrev_b64 v[4:5], v4, v[54:55]
	v_cndmask_b32_e64 v5, v10, v16, s[4:5]
	v_lshlrev_b32_e32 v10, 8, v54
	v_lshl_add_u32 v5, v5, 10, v39
	v_lshlrev_b32_e32 v4, 7, v4
	v_and_or_b32 v5, v10, s19, v5
	v_and_or_b32 v4, v4, s28, v5
	v_cvt_f32_f16_e32 v50, v4
.LBB323_1023:                           ;   in Loop: Header=BB323_619 Depth=1
	s_or_b64 exec, exec, s[26:27]
.LBB323_1024:                           ;   in Loop: Header=BB323_619 Depth=1
	s_or_b64 exec, exec, s[24:25]
.LBB323_1025:                           ;   in Loop: Header=BB323_619 Depth=1
	s_or_b64 exec, exec, s[22:23]
	v_lshrrev_b16_e32 v30, 8, v54
	v_cmp_ne_u16_e64 s[4:5], 0, v30
	s_and_saveexec_b64 s[22:23], s[4:5]
	s_cbranch_execz .LBB323_1031
; %bb.1026:                             ;   in Loop: Header=BB323_619 Depth=1
	v_cmp_ne_u16_e64 s[4:5], s7, v30
	v_bfrev_b32_e32 v52, 1
	s_and_saveexec_b64 s[24:25], s[4:5]
	s_cbranch_execz .LBB323_1030
; %bb.1027:                             ;   in Loop: Header=BB323_619 Depth=1
	v_and_b32_e32 v10, 0x7f, v30
	v_cmp_ne_u32_e64 s[4:5], s15, v10
	v_mov_b32_e32 v52, 0x7fc02000
	s_and_saveexec_b64 s[26:27], s[4:5]
	s_cbranch_execz .LBB323_1029
; %bb.1028:                             ;   in Loop: Header=BB323_619 Depth=1
	v_and_b32_e32 v11, 7, v30
	v_ffbh_u32_e32 v4, v11
	v_min_u32_e32 v26, 32, v4
	v_subrev_u32_e32 v4, 28, v26
	v_lshlrev_b64 v[4:5], v4, v[30:31]
	v_lshrrev_b32_e32 v16, 3, v10
	v_sub_u32_e32 v5, 29, v26
	v_cmp_gt_u32_e64 s[4:5], 8, v10
	v_cndmask_b32_e64 v5, v16, v5, s[4:5]
	v_and_b32_e32 v4, 7, v4
	v_lshlrev_b32_e32 v10, 8, v30
	v_lshl_add_u32 v5, v5, 10, v39
	v_cndmask_b32_e64 v4, v11, v4, s[4:5]
	v_and_or_b32 v5, v10, s19, v5
	v_lshl_or_b32 v4, v4, 7, v5
	v_cvt_f32_f16_e32 v52, v4
.LBB323_1029:                           ;   in Loop: Header=BB323_619 Depth=1
	s_or_b64 exec, exec, s[26:27]
.LBB323_1030:                           ;   in Loop: Header=BB323_619 Depth=1
	s_or_b64 exec, exec, s[24:25]
.LBB323_1031:                           ;   in Loop: Header=BB323_619 Depth=1
	s_or_b64 exec, exec, s[22:23]
	v_lshrrev_b32_e32 v30, 16, v54
	v_cmp_ne_u16_sdwa s[4:5], v30, v31 src0_sel:BYTE_0 src1_sel:DWORD
	v_mov_b32_e32 v53, 0
	v_mov_b32_e32 v51, 0
	s_and_saveexec_b64 s[22:23], s[4:5]
	s_cbranch_execz .LBB323_1037
; %bb.1032:                             ;   in Loop: Header=BB323_619 Depth=1
	v_cmp_ne_u16_sdwa s[4:5], v30, s7 src0_sel:BYTE_0 src1_sel:DWORD
	v_bfrev_b32_e32 v51, 1
	s_and_saveexec_b64 s[24:25], s[4:5]
	s_cbranch_execz .LBB323_1036
; %bb.1033:                             ;   in Loop: Header=BB323_619 Depth=1
	v_bfe_u32 v10, v54, 16, 7
	v_cmp_ne_u32_e64 s[4:5], s15, v10
	v_mov_b32_e32 v51, 0x7fc02000
	s_and_saveexec_b64 s[26:27], s[4:5]
	s_cbranch_execz .LBB323_1035
; %bb.1034:                             ;   in Loop: Header=BB323_619 Depth=1
	v_and_b32_e32 v11, 7, v30
	v_ffbh_u32_e32 v4, v11
	v_min_u32_e32 v26, 32, v4
	v_subrev_u32_e32 v4, 28, v26
	v_lshlrev_b64 v[4:5], v4, v[30:31]
	v_lshrrev_b32_e32 v16, 3, v10
	v_sub_u32_e32 v5, 29, v26
	v_cmp_gt_u32_e64 s[4:5], 8, v10
	v_cndmask_b32_e64 v5, v16, v5, s[4:5]
	v_and_b32_e32 v4, 7, v4
	v_lshlrev_b32_e32 v10, 8, v30
	v_lshl_add_u32 v5, v5, 10, v39
	v_cndmask_b32_e64 v4, v11, v4, s[4:5]
	v_and_or_b32 v5, v10, s19, v5
	v_lshl_or_b32 v4, v4, 7, v5
	v_cvt_f32_f16_e32 v51, v4
.LBB323_1035:                           ;   in Loop: Header=BB323_619 Depth=1
	s_or_b64 exec, exec, s[26:27]
.LBB323_1036:                           ;   in Loop: Header=BB323_619 Depth=1
	s_or_b64 exec, exec, s[24:25]
.LBB323_1037:                           ;   in Loop: Header=BB323_619 Depth=1
	s_or_b64 exec, exec, s[22:23]
	v_cmp_lt_u32_e64 s[4:5], s11, v54
	s_and_saveexec_b64 s[22:23], s[4:5]
	s_cbranch_execz .LBB323_1043
; %bb.1038:                             ;   in Loop: Header=BB323_619 Depth=1
	v_lshrrev_b32_e32 v30, 24, v54
	v_cmp_ne_u32_e64 s[4:5], s7, v30
	v_bfrev_b32_e32 v53, 1
	s_and_saveexec_b64 s[24:25], s[4:5]
	s_cbranch_execz .LBB323_1042
; %bb.1039:                             ;   in Loop: Header=BB323_619 Depth=1
	v_and_b32_e32 v10, 0x7f, v30
	v_cmp_ne_u32_e64 s[4:5], s15, v10
	v_mov_b32_e32 v53, 0x7fc02000
	s_and_saveexec_b64 s[26:27], s[4:5]
	s_cbranch_execz .LBB323_1041
; %bb.1040:                             ;   in Loop: Header=BB323_619 Depth=1
	v_and_b32_e32 v11, 7, v30
	v_ffbh_u32_e32 v4, v11
	v_min_u32_e32 v26, 32, v4
	v_subrev_u32_e32 v4, 28, v26
	v_lshlrev_b64 v[4:5], v4, v[30:31]
	v_lshrrev_b32_e32 v16, 3, v10
	v_sub_u32_e32 v5, 29, v26
	v_cmp_gt_u32_e64 s[4:5], 8, v10
	v_cndmask_b32_e64 v5, v16, v5, s[4:5]
	v_and_b32_e32 v4, 7, v4
	v_lshlrev_b32_e32 v10, 8, v30
	v_lshl_add_u32 v5, v5, 10, v39
	v_cndmask_b32_e64 v4, v11, v4, s[4:5]
	v_and_or_b32 v5, v10, s19, v5
	v_lshl_or_b32 v4, v4, 7, v5
	v_cvt_f32_f16_e32 v53, v4
.LBB323_1041:                           ;   in Loop: Header=BB323_619 Depth=1
	s_or_b64 exec, exec, s[26:27]
.LBB323_1042:                           ;   in Loop: Header=BB323_619 Depth=1
	s_or_b64 exec, exec, s[24:25]
.LBB323_1043:                           ;   in Loop: Header=BB323_619 Depth=1
	s_or_b64 exec, exec, s[22:23]
	v_mov_b32_e32 v30, v55
	v_cmp_ne_u16_sdwa s[4:5], v55, v31 src0_sel:BYTE_0 src1_sel:DWORD
	v_mov_b32_e32 v11, 0
	v_mov_b32_e32 v10, 0
	s_and_saveexec_b64 s[22:23], s[4:5]
	s_cbranch_execz .LBB323_1049
; %bb.1044:                             ;   in Loop: Header=BB323_619 Depth=1
	v_cmp_ne_u16_sdwa s[4:5], v55, s7 src0_sel:BYTE_0 src1_sel:DWORD
	v_bfrev_b32_e32 v10, 1
	s_and_saveexec_b64 s[24:25], s[4:5]
	s_cbranch_execz .LBB323_1048
; %bb.1045:                             ;   in Loop: Header=BB323_619 Depth=1
	v_and_b32_e32 v5, 0x7f, v55
	v_cmp_ne_u32_e64 s[4:5], s15, v5
	v_mov_b32_e32 v10, 0x7fc02000
	s_and_saveexec_b64 s[26:27], s[4:5]
	s_cbranch_execz .LBB323_1047
; %bb.1046:                             ;   in Loop: Header=BB323_619 Depth=1
	v_and_b32_e32 v4, 7, v55
	v_ffbh_u32_e32 v4, v4
	v_min_u32_e32 v4, 32, v4
	v_subrev_u32_e32 v16, 28, v4
	v_cmp_gt_u32_e64 s[4:5], 8, v5
	v_sub_u32_e32 v26, 29, v4
	v_cndmask_b32_e64 v4, 0, v16, s[4:5]
	v_lshrrev_b32_e32 v10, 3, v5
	v_lshlrev_b64 v[4:5], v4, v[30:31]
	v_cndmask_b32_e64 v5, v10, v26, s[4:5]
	v_lshlrev_b32_e32 v10, 8, v55
	v_lshl_add_u32 v5, v5, 10, v39
	v_lshlrev_b32_e32 v4, 7, v4
	v_and_or_b32 v5, v10, s19, v5
	v_and_or_b32 v4, v4, s28, v5
	v_cvt_f32_f16_e32 v10, v4
.LBB323_1047:                           ;   in Loop: Header=BB323_619 Depth=1
	s_or_b64 exec, exec, s[26:27]
.LBB323_1048:                           ;   in Loop: Header=BB323_619 Depth=1
	s_or_b64 exec, exec, s[24:25]
.LBB323_1049:                           ;   in Loop: Header=BB323_619 Depth=1
	s_or_b64 exec, exec, s[22:23]
	v_lshrrev_b16_e32 v30, 8, v30
	v_cmp_ne_u16_e64 s[4:5], 0, v30
	s_and_saveexec_b64 s[22:23], s[4:5]
	s_cbranch_execz .LBB323_1055
; %bb.1050:                             ;   in Loop: Header=BB323_619 Depth=1
	v_cmp_ne_u16_e64 s[4:5], s7, v30
	v_bfrev_b32_e32 v11, 1
	s_and_saveexec_b64 s[24:25], s[4:5]
	s_cbranch_execz .LBB323_1054
; %bb.1051:                             ;   in Loop: Header=BB323_619 Depth=1
	v_and_b32_e32 v16, 0x7f, v30
	v_cmp_ne_u32_e64 s[4:5], s15, v16
	v_mov_b32_e32 v11, 0x7fc02000
	s_and_saveexec_b64 s[26:27], s[4:5]
	s_cbranch_execz .LBB323_1053
; %bb.1052:                             ;   in Loop: Header=BB323_619 Depth=1
	v_and_b32_e32 v11, 7, v30
	v_ffbh_u32_e32 v4, v11
	v_min_u32_e32 v27, 32, v4
	v_subrev_u32_e32 v4, 28, v27
	v_lshlrev_b64 v[4:5], v4, v[30:31]
	v_lshrrev_b32_e32 v26, 3, v16
	v_sub_u32_e32 v5, 29, v27
	v_cmp_gt_u32_e64 s[4:5], 8, v16
	v_and_b32_e32 v4, 7, v4
	v_cndmask_b32_e64 v5, v26, v5, s[4:5]
	v_cndmask_b32_e64 v4, v11, v4, s[4:5]
	v_lshlrev_b32_e32 v11, 8, v30
	v_lshl_add_u32 v5, v5, 10, v39
	v_and_or_b32 v5, v11, s19, v5
	v_lshl_or_b32 v4, v4, 7, v5
	v_cvt_f32_f16_e32 v11, v4
.LBB323_1053:                           ;   in Loop: Header=BB323_619 Depth=1
	s_or_b64 exec, exec, s[26:27]
.LBB323_1054:                           ;   in Loop: Header=BB323_619 Depth=1
	s_or_b64 exec, exec, s[24:25]
.LBB323_1055:                           ;   in Loop: Header=BB323_619 Depth=1
	s_or_b64 exec, exec, s[22:23]
	v_lshrrev_b32_e32 v30, 16, v55
	v_cmp_ne_u16_sdwa s[4:5], v30, v31 src0_sel:BYTE_0 src1_sel:DWORD
	v_mov_b32_e32 v16, 0
	v_mov_b32_e32 v26, 0
	s_and_saveexec_b64 s[22:23], s[4:5]
	s_cbranch_execz .LBB323_1061
; %bb.1056:                             ;   in Loop: Header=BB323_619 Depth=1
	v_cmp_ne_u16_sdwa s[4:5], v30, s7 src0_sel:BYTE_0 src1_sel:DWORD
	v_bfrev_b32_e32 v26, 1
	s_and_saveexec_b64 s[24:25], s[4:5]
	s_cbranch_execz .LBB323_1060
; %bb.1057:                             ;   in Loop: Header=BB323_619 Depth=1
	v_bfe_u32 v27, v55, 16, 7
	v_cmp_ne_u32_e64 s[4:5], s15, v27
	v_mov_b32_e32 v26, 0x7fc02000
	s_and_saveexec_b64 s[26:27], s[4:5]
	s_cbranch_execz .LBB323_1059
; %bb.1058:                             ;   in Loop: Header=BB323_619 Depth=1
	v_and_b32_e32 v26, 7, v30
	v_ffbh_u32_e32 v4, v26
	v_min_u32_e32 v35, 32, v4
	v_subrev_u32_e32 v4, 28, v35
	v_lshlrev_b64 v[4:5], v4, v[30:31]
	v_lshrrev_b32_e32 v28, 3, v27
	v_sub_u32_e32 v5, 29, v35
	v_cmp_gt_u32_e64 s[4:5], 8, v27
	v_and_b32_e32 v4, 7, v4
	v_cndmask_b32_e64 v5, v28, v5, s[4:5]
	v_cndmask_b32_e64 v4, v26, v4, s[4:5]
	v_lshlrev_b32_e32 v26, 8, v30
	v_lshl_add_u32 v5, v5, 10, v39
	v_and_or_b32 v5, v26, s19, v5
	v_lshl_or_b32 v4, v4, 7, v5
	v_cvt_f32_f16_e32 v26, v4
.LBB323_1059:                           ;   in Loop: Header=BB323_619 Depth=1
	s_or_b64 exec, exec, s[26:27]
.LBB323_1060:                           ;   in Loop: Header=BB323_619 Depth=1
	s_or_b64 exec, exec, s[24:25]
.LBB323_1061:                           ;   in Loop: Header=BB323_619 Depth=1
	s_or_b64 exec, exec, s[22:23]
	v_cmp_lt_u64_e64 s[4:5], s[10:11], v[54:55]
	s_and_saveexec_b64 s[22:23], s[4:5]
	s_cbranch_execz .LBB323_1067
; %bb.1062:                             ;   in Loop: Header=BB323_619 Depth=1
	v_lshrrev_b32_e32 v30, 24, v55
	v_cmp_ne_u32_e64 s[4:5], s7, v30
	v_bfrev_b32_e32 v16, 1
	s_and_saveexec_b64 s[24:25], s[4:5]
	s_cbranch_execz .LBB323_1066
; %bb.1063:                             ;   in Loop: Header=BB323_619 Depth=1
	v_and_b32_e32 v27, 0x7f, v30
	v_cmp_ne_u32_e64 s[4:5], s15, v27
	v_mov_b32_e32 v16, 0x7fc02000
	s_and_saveexec_b64 s[26:27], s[4:5]
	s_cbranch_execz .LBB323_1065
; %bb.1064:                             ;   in Loop: Header=BB323_619 Depth=1
	v_and_b32_e32 v16, 7, v30
	v_ffbh_u32_e32 v4, v16
	v_min_u32_e32 v35, 32, v4
	v_subrev_u32_e32 v4, 28, v35
	v_lshlrev_b64 v[4:5], v4, v[30:31]
	v_lshrrev_b32_e32 v28, 3, v27
	v_sub_u32_e32 v5, 29, v35
	v_cmp_gt_u32_e64 s[4:5], 8, v27
	v_and_b32_e32 v4, 7, v4
	v_cndmask_b32_e64 v5, v28, v5, s[4:5]
	v_cndmask_b32_e64 v4, v16, v4, s[4:5]
	v_lshlrev_b32_e32 v16, 8, v30
	v_lshl_add_u32 v5, v5, 10, v39
	v_and_or_b32 v5, v16, s19, v5
	v_lshl_or_b32 v4, v4, 7, v5
	v_cvt_f32_f16_e32 v16, v4
.LBB323_1065:                           ;   in Loop: Header=BB323_619 Depth=1
	s_or_b64 exec, exec, s[26:27]
.LBB323_1066:                           ;   in Loop: Header=BB323_619 Depth=1
	s_or_b64 exec, exec, s[24:25]
.LBB323_1067:                           ;   in Loop: Header=BB323_619 Depth=1
	s_or_b64 exec, exec, s[22:23]
	v_pk_mul_f32 v[4:5], v[48:49], v[52:53] op_sel_hi:[0,1]
	v_pk_mul_f32 v[50:51], v[48:49], v[50:51] op_sel_hi:[0,1]
	v_cvt_f16_f32_e32 v5, v5
	v_cvt_f16_f32_e32 v4, v4
	;; [unrolled: 1-line block ×4, first 2 shown]
	v_fma_mixlo_f16 v26, v48, v26, 0
	v_pack_b32_f16 v4, v4, v5
	v_pack_b32_f16 v5, v28, v27
	v_perm_b32 v27, v5, v4, s29
	v_perm_b32 v28, v5, v4, s30
	v_fma_mixlo_f16 v4, v48, v11, 0
	v_lshlrev_b32_e32 v4, 16, v4
	v_fma_mixlo_f16 v5, v48, v10, 0
	v_or_b32_sdwa v10, v4, v5 dst_sel:DWORD dst_unused:UNUSED_PAD src0_sel:DWORD src1_sel:WORD_0
	v_fma_mixlo_f16 v4, v48, v16, 0
	v_lshlrev_b32_e32 v4, 16, v4
	v_or_b32_sdwa v11, v4, v26 dst_sel:DWORD dst_unused:UNUSED_PAD src0_sel:DWORD src1_sel:WORD_0
	s_and_saveexec_b64 s[22:23], vcc
	s_cbranch_execz .LBB323_1069
; %bb.1068:                             ;   in Loop: Header=BB323_619 Depth=1
	v_lshrrev_b32_e32 v4, 16, v28
	v_cmp_lt_i32_e64 s[4:5], v44, v17
	v_accvgpr_read_b32 v16, a8
	v_cndmask_b32_e64 v4, 0, v4, s[4:5]
	v_cmp_lt_i32_e64 s[4:5], v7, v16
	v_cndmask_b32_e64 v5, 0, v28, s[4:5]
	v_perm_b32 v28, v4, v5, s31
	v_lshrrev_b32_e32 v4, 16, v27
	v_cmp_lt_i32_e64 s[4:5], v58, v17
	v_cndmask_b32_e64 v4, 0, v4, s[4:5]
	v_cmp_lt_i32_e64 s[4:5], v57, v16
	v_cndmask_b32_e64 v5, 0, v27, s[4:5]
	v_perm_b32 v27, v4, v5, s31
	v_lshrrev_b32_e32 v4, 16, v10
	v_cmp_lt_i32_e64 s[4:5], v56, v17
	;; [unrolled: 6-line block ×3, first 2 shown]
	v_cndmask_b32_e64 v4, 0, v4, s[4:5]
	v_cmp_lt_i32_e64 s[4:5], v45, v16
	v_cndmask_b32_e64 v5, 0, v26, s[4:5]
	v_perm_b32 v11, v4, v5, s31
.LBB323_1069:                           ;   in Loop: Header=BB323_619 Depth=1
	s_or_b64 exec, exec, s[22:23]
	;;#ASMSTART
	v_pk_mul_f16 v4, v59, v28;

	;;#ASMEND
	;;#ASMSTART
	v_pk_mul_f16 v5, v60, v27;

	;;#ASMEND
	;; [unrolled: 4-line block ×4, first 2 shown]
	;;#ASMSTART
	v_pk_add_f16 v4, v4, v5;

	;;#ASMEND
	;;#ASMSTART
	v_pk_add_f16 v4, v4, v10;

	;;#ASMEND
	;; [unrolled: 4-line block ×3, first 2 shown]
	v_lshrrev_b32_e32 v5, 16, v4
	v_and_b32_e32 v4, 0xffff, v4
	;;#ASMSTART
	v_cvt_f32_f16 v28, v4;
	;;#ASMEND
	v_accvgpr_read_b32 v4, a24
	v_add_co_u32_e64 v4, s[4:5], v18, v4
	;;#ASMSTART
	v_cvt_f32_f16 v10, v5;
	;;#ASMEND
	v_addc_co_u32_e64 v5, s[4:5], 0, v19, s[4:5]
	flat_load_dwordx2 v[54:55], v[4:5]
	v_accvgpr_read_b32 v4, a4
	v_accvgpr_read_b32 v5, a5
	flat_load_dword v48, v[4:5]
	v_mov_b32_e32 v52, 0
	v_mov_b32_e32 v50, 0
	s_waitcnt vmcnt(0) lgkmcnt(0)
	v_cmp_ne_u16_sdwa s[4:5], v54, v31 src0_sel:BYTE_0 src1_sel:DWORD
	s_and_saveexec_b64 s[22:23], s[4:5]
	s_cbranch_execz .LBB323_1075
; %bb.1070:                             ;   in Loop: Header=BB323_619 Depth=1
	v_cmp_ne_u16_sdwa s[4:5], v54, s7 src0_sel:BYTE_0 src1_sel:DWORD
	v_bfrev_b32_e32 v50, 1
	s_and_saveexec_b64 s[24:25], s[4:5]
	s_cbranch_execz .LBB323_1074
; %bb.1071:                             ;   in Loop: Header=BB323_619 Depth=1
	v_and_b32_e32 v5, 0x7f, v54
	v_cmp_ne_u32_e64 s[4:5], s15, v5
	v_mov_b32_e32 v50, 0x7fc02000
	s_and_saveexec_b64 s[26:27], s[4:5]
	s_cbranch_execz .LBB323_1073
; %bb.1072:                             ;   in Loop: Header=BB323_619 Depth=1
	v_and_b32_e32 v4, 7, v54
	v_ffbh_u32_e32 v4, v4
	v_min_u32_e32 v4, 32, v4
	v_subrev_u32_e32 v16, 28, v4
	v_cmp_gt_u32_e64 s[4:5], 8, v5
	v_sub_u32_e32 v26, 29, v4
	v_cndmask_b32_e64 v4, 0, v16, s[4:5]
	v_lshrrev_b32_e32 v11, 3, v5
	v_lshlrev_b64 v[4:5], v4, v[54:55]
	v_cndmask_b32_e64 v5, v11, v26, s[4:5]
	v_lshlrev_b32_e32 v11, 8, v54
	v_lshl_add_u32 v5, v5, 10, v39
	v_lshlrev_b32_e32 v4, 7, v4
	v_and_or_b32 v5, v11, s19, v5
	v_and_or_b32 v4, v4, s28, v5
	v_cvt_f32_f16_e32 v50, v4
.LBB323_1073:                           ;   in Loop: Header=BB323_619 Depth=1
	s_or_b64 exec, exec, s[26:27]
.LBB323_1074:                           ;   in Loop: Header=BB323_619 Depth=1
	s_or_b64 exec, exec, s[24:25]
.LBB323_1075:                           ;   in Loop: Header=BB323_619 Depth=1
	s_or_b64 exec, exec, s[22:23]
	v_lshrrev_b16_e32 v30, 8, v54
	v_cmp_ne_u16_e64 s[4:5], 0, v30
	s_and_saveexec_b64 s[22:23], s[4:5]
	s_cbranch_execz .LBB323_1081
; %bb.1076:                             ;   in Loop: Header=BB323_619 Depth=1
	v_cmp_ne_u16_e64 s[4:5], s7, v30
	v_bfrev_b32_e32 v52, 1
	s_and_saveexec_b64 s[24:25], s[4:5]
	s_cbranch_execz .LBB323_1080
; %bb.1077:                             ;   in Loop: Header=BB323_619 Depth=1
	v_and_b32_e32 v11, 0x7f, v30
	v_cmp_ne_u32_e64 s[4:5], s15, v11
	v_mov_b32_e32 v52, 0x7fc02000
	s_and_saveexec_b64 s[26:27], s[4:5]
	s_cbranch_execz .LBB323_1079
; %bb.1078:                             ;   in Loop: Header=BB323_619 Depth=1
	v_and_b32_e32 v16, 7, v30
	v_ffbh_u32_e32 v4, v16
	v_min_u32_e32 v27, 32, v4
	v_subrev_u32_e32 v4, 28, v27
	v_lshlrev_b64 v[4:5], v4, v[30:31]
	v_lshrrev_b32_e32 v26, 3, v11
	v_sub_u32_e32 v5, 29, v27
	v_cmp_gt_u32_e64 s[4:5], 8, v11
	v_cndmask_b32_e64 v5, v26, v5, s[4:5]
	v_and_b32_e32 v4, 7, v4
	v_lshlrev_b32_e32 v11, 8, v30
	v_lshl_add_u32 v5, v5, 10, v39
	v_cndmask_b32_e64 v4, v16, v4, s[4:5]
	v_and_or_b32 v5, v11, s19, v5
	v_lshl_or_b32 v4, v4, 7, v5
	v_cvt_f32_f16_e32 v52, v4
.LBB323_1079:                           ;   in Loop: Header=BB323_619 Depth=1
	s_or_b64 exec, exec, s[26:27]
.LBB323_1080:                           ;   in Loop: Header=BB323_619 Depth=1
	s_or_b64 exec, exec, s[24:25]
.LBB323_1081:                           ;   in Loop: Header=BB323_619 Depth=1
	s_or_b64 exec, exec, s[22:23]
	v_lshrrev_b32_e32 v30, 16, v54
	v_cmp_ne_u16_sdwa s[4:5], v30, v31 src0_sel:BYTE_0 src1_sel:DWORD
	v_mov_b32_e32 v53, 0
	v_mov_b32_e32 v51, 0
	s_and_saveexec_b64 s[22:23], s[4:5]
	s_cbranch_execz .LBB323_1087
; %bb.1082:                             ;   in Loop: Header=BB323_619 Depth=1
	v_cmp_ne_u16_sdwa s[4:5], v30, s7 src0_sel:BYTE_0 src1_sel:DWORD
	v_bfrev_b32_e32 v51, 1
	s_and_saveexec_b64 s[24:25], s[4:5]
	s_cbranch_execz .LBB323_1086
; %bb.1083:                             ;   in Loop: Header=BB323_619 Depth=1
	v_bfe_u32 v11, v54, 16, 7
	v_cmp_ne_u32_e64 s[4:5], s15, v11
	v_mov_b32_e32 v51, 0x7fc02000
	s_and_saveexec_b64 s[26:27], s[4:5]
	s_cbranch_execz .LBB323_1085
; %bb.1084:                             ;   in Loop: Header=BB323_619 Depth=1
	v_and_b32_e32 v16, 7, v30
	v_ffbh_u32_e32 v4, v16
	v_min_u32_e32 v27, 32, v4
	v_subrev_u32_e32 v4, 28, v27
	v_lshlrev_b64 v[4:5], v4, v[30:31]
	v_lshrrev_b32_e32 v26, 3, v11
	v_sub_u32_e32 v5, 29, v27
	v_cmp_gt_u32_e64 s[4:5], 8, v11
	v_cndmask_b32_e64 v5, v26, v5, s[4:5]
	v_and_b32_e32 v4, 7, v4
	v_lshlrev_b32_e32 v11, 8, v30
	v_lshl_add_u32 v5, v5, 10, v39
	v_cndmask_b32_e64 v4, v16, v4, s[4:5]
	v_and_or_b32 v5, v11, s19, v5
	v_lshl_or_b32 v4, v4, 7, v5
	v_cvt_f32_f16_e32 v51, v4
.LBB323_1085:                           ;   in Loop: Header=BB323_619 Depth=1
	s_or_b64 exec, exec, s[26:27]
.LBB323_1086:                           ;   in Loop: Header=BB323_619 Depth=1
	s_or_b64 exec, exec, s[24:25]
.LBB323_1087:                           ;   in Loop: Header=BB323_619 Depth=1
	s_or_b64 exec, exec, s[22:23]
	v_cmp_lt_u32_e64 s[4:5], s11, v54
	s_and_saveexec_b64 s[22:23], s[4:5]
	s_cbranch_execz .LBB323_1093
; %bb.1088:                             ;   in Loop: Header=BB323_619 Depth=1
	v_lshrrev_b32_e32 v30, 24, v54
	v_cmp_ne_u32_e64 s[4:5], s7, v30
	v_bfrev_b32_e32 v53, 1
	s_and_saveexec_b64 s[24:25], s[4:5]
	s_cbranch_execz .LBB323_1092
; %bb.1089:                             ;   in Loop: Header=BB323_619 Depth=1
	v_and_b32_e32 v11, 0x7f, v30
	v_cmp_ne_u32_e64 s[4:5], s15, v11
	v_mov_b32_e32 v53, 0x7fc02000
	s_and_saveexec_b64 s[26:27], s[4:5]
	s_cbranch_execz .LBB323_1091
; %bb.1090:                             ;   in Loop: Header=BB323_619 Depth=1
	v_and_b32_e32 v16, 7, v30
	v_ffbh_u32_e32 v4, v16
	v_min_u32_e32 v27, 32, v4
	v_subrev_u32_e32 v4, 28, v27
	v_lshlrev_b64 v[4:5], v4, v[30:31]
	v_lshrrev_b32_e32 v26, 3, v11
	v_sub_u32_e32 v5, 29, v27
	v_cmp_gt_u32_e64 s[4:5], 8, v11
	v_cndmask_b32_e64 v5, v26, v5, s[4:5]
	v_and_b32_e32 v4, 7, v4
	v_lshlrev_b32_e32 v11, 8, v30
	v_lshl_add_u32 v5, v5, 10, v39
	v_cndmask_b32_e64 v4, v16, v4, s[4:5]
	v_and_or_b32 v5, v11, s19, v5
	v_lshl_or_b32 v4, v4, 7, v5
	v_cvt_f32_f16_e32 v53, v4
.LBB323_1091:                           ;   in Loop: Header=BB323_619 Depth=1
	s_or_b64 exec, exec, s[26:27]
.LBB323_1092:                           ;   in Loop: Header=BB323_619 Depth=1
	s_or_b64 exec, exec, s[24:25]
.LBB323_1093:                           ;   in Loop: Header=BB323_619 Depth=1
	s_or_b64 exec, exec, s[22:23]
	v_mov_b32_e32 v30, v55
	v_cmp_ne_u16_sdwa s[4:5], v55, v31 src0_sel:BYTE_0 src1_sel:DWORD
	v_mov_b32_e32 v16, 0
	v_mov_b32_e32 v11, 0
	s_and_saveexec_b64 s[22:23], s[4:5]
	s_cbranch_execz .LBB323_1099
; %bb.1094:                             ;   in Loop: Header=BB323_619 Depth=1
	v_cmp_ne_u16_sdwa s[4:5], v55, s7 src0_sel:BYTE_0 src1_sel:DWORD
	v_bfrev_b32_e32 v11, 1
	s_and_saveexec_b64 s[24:25], s[4:5]
	s_cbranch_execz .LBB323_1098
; %bb.1095:                             ;   in Loop: Header=BB323_619 Depth=1
	v_and_b32_e32 v5, 0x7f, v55
	v_cmp_ne_u32_e64 s[4:5], s15, v5
	v_mov_b32_e32 v11, 0x7fc02000
	s_and_saveexec_b64 s[26:27], s[4:5]
	s_cbranch_execz .LBB323_1097
; %bb.1096:                             ;   in Loop: Header=BB323_619 Depth=1
	v_and_b32_e32 v4, 7, v55
	v_ffbh_u32_e32 v4, v4
	v_min_u32_e32 v4, 32, v4
	v_subrev_u32_e32 v26, 28, v4
	v_cmp_gt_u32_e64 s[4:5], 8, v5
	v_sub_u32_e32 v27, 29, v4
	v_cndmask_b32_e64 v4, 0, v26, s[4:5]
	v_lshrrev_b32_e32 v11, 3, v5
	v_lshlrev_b64 v[4:5], v4, v[30:31]
	v_cndmask_b32_e64 v5, v11, v27, s[4:5]
	v_lshlrev_b32_e32 v11, 8, v55
	v_lshl_add_u32 v5, v5, 10, v39
	v_lshlrev_b32_e32 v4, 7, v4
	v_and_or_b32 v5, v11, s19, v5
	v_and_or_b32 v4, v4, s28, v5
	v_cvt_f32_f16_e32 v11, v4
.LBB323_1097:                           ;   in Loop: Header=BB323_619 Depth=1
	s_or_b64 exec, exec, s[26:27]
.LBB323_1098:                           ;   in Loop: Header=BB323_619 Depth=1
	s_or_b64 exec, exec, s[24:25]
.LBB323_1099:                           ;   in Loop: Header=BB323_619 Depth=1
	s_or_b64 exec, exec, s[22:23]
	v_lshrrev_b16_e32 v30, 8, v30
	v_cmp_ne_u16_e64 s[4:5], 0, v30
	s_and_saveexec_b64 s[22:23], s[4:5]
	s_cbranch_execz .LBB323_1105
; %bb.1100:                             ;   in Loop: Header=BB323_619 Depth=1
	v_cmp_ne_u16_e64 s[4:5], s7, v30
	v_bfrev_b32_e32 v16, 1
	s_and_saveexec_b64 s[24:25], s[4:5]
	s_cbranch_execz .LBB323_1104
; %bb.1101:                             ;   in Loop: Header=BB323_619 Depth=1
	v_and_b32_e32 v26, 0x7f, v30
	v_cmp_ne_u32_e64 s[4:5], s15, v26
	v_mov_b32_e32 v16, 0x7fc02000
	s_and_saveexec_b64 s[26:27], s[4:5]
	s_cbranch_execz .LBB323_1103
; %bb.1102:                             ;   in Loop: Header=BB323_619 Depth=1
	v_and_b32_e32 v16, 7, v30
	v_ffbh_u32_e32 v4, v16
	v_min_u32_e32 v35, 32, v4
	v_subrev_u32_e32 v4, 28, v35
	v_lshlrev_b64 v[4:5], v4, v[30:31]
	v_lshrrev_b32_e32 v27, 3, v26
	v_sub_u32_e32 v5, 29, v35
	v_cmp_gt_u32_e64 s[4:5], 8, v26
	v_and_b32_e32 v4, 7, v4
	v_cndmask_b32_e64 v5, v27, v5, s[4:5]
	v_cndmask_b32_e64 v4, v16, v4, s[4:5]
	v_lshlrev_b32_e32 v16, 8, v30
	v_lshl_add_u32 v5, v5, 10, v39
	v_and_or_b32 v5, v16, s19, v5
	v_lshl_or_b32 v4, v4, 7, v5
	v_cvt_f32_f16_e32 v16, v4
.LBB323_1103:                           ;   in Loop: Header=BB323_619 Depth=1
	s_or_b64 exec, exec, s[26:27]
.LBB323_1104:                           ;   in Loop: Header=BB323_619 Depth=1
	s_or_b64 exec, exec, s[24:25]
.LBB323_1105:                           ;   in Loop: Header=BB323_619 Depth=1
	s_or_b64 exec, exec, s[22:23]
	v_lshrrev_b32_e32 v30, 16, v55
	v_cmp_ne_u16_sdwa s[4:5], v30, v31 src0_sel:BYTE_0 src1_sel:DWORD
	v_mov_b32_e32 v26, 0
	v_mov_b32_e32 v27, 0
	s_and_saveexec_b64 s[22:23], s[4:5]
	s_cbranch_execz .LBB323_1111
; %bb.1106:                             ;   in Loop: Header=BB323_619 Depth=1
	v_cmp_ne_u16_sdwa s[4:5], v30, s7 src0_sel:BYTE_0 src1_sel:DWORD
	v_bfrev_b32_e32 v27, 1
	s_and_saveexec_b64 s[24:25], s[4:5]
	s_cbranch_execz .LBB323_1110
; %bb.1107:                             ;   in Loop: Header=BB323_619 Depth=1
	v_bfe_u32 v35, v55, 16, 7
	v_cmp_ne_u32_e64 s[4:5], s15, v35
	v_mov_b32_e32 v27, 0x7fc02000
	s_and_saveexec_b64 s[26:27], s[4:5]
	s_cbranch_execz .LBB323_1109
; %bb.1108:                             ;   in Loop: Header=BB323_619 Depth=1
	v_and_b32_e32 v27, 7, v30
	v_ffbh_u32_e32 v4, v27
	v_mov_b32_e32 v29, v42
	v_min_u32_e32 v42, 32, v4
	v_subrev_u32_e32 v4, 28, v42
	v_lshlrev_b64 v[4:5], v4, v[30:31]
	v_lshrrev_b32_e32 v49, 3, v35
	v_sub_u32_e32 v5, 29, v42
	v_cmp_gt_u32_e64 s[4:5], 8, v35
	v_and_b32_e32 v4, 7, v4
	v_cndmask_b32_e64 v5, v49, v5, s[4:5]
	v_cndmask_b32_e64 v4, v27, v4, s[4:5]
	v_lshlrev_b32_e32 v27, 8, v30
	v_lshl_add_u32 v5, v5, 10, v39
	v_and_or_b32 v5, v27, s19, v5
	v_lshl_or_b32 v4, v4, 7, v5
	v_cvt_f32_f16_e32 v27, v4
	v_mov_b32_e32 v42, v29
.LBB323_1109:                           ;   in Loop: Header=BB323_619 Depth=1
	s_or_b64 exec, exec, s[26:27]
.LBB323_1110:                           ;   in Loop: Header=BB323_619 Depth=1
	s_or_b64 exec, exec, s[24:25]
.LBB323_1111:                           ;   in Loop: Header=BB323_619 Depth=1
	s_or_b64 exec, exec, s[22:23]
	v_cmp_lt_u64_e64 s[4:5], s[10:11], v[54:55]
	s_and_saveexec_b64 s[22:23], s[4:5]
	s_cbranch_execz .LBB323_1117
; %bb.1112:                             ;   in Loop: Header=BB323_619 Depth=1
	v_lshrrev_b32_e32 v30, 24, v55
	v_cmp_ne_u32_e64 s[4:5], s7, v30
	v_bfrev_b32_e32 v26, 1
	s_and_saveexec_b64 s[24:25], s[4:5]
	s_cbranch_execz .LBB323_1116
; %bb.1113:                             ;   in Loop: Header=BB323_619 Depth=1
	v_and_b32_e32 v35, 0x7f, v30
	v_cmp_ne_u32_e64 s[4:5], s15, v35
	v_mov_b32_e32 v26, 0x7fc02000
	s_and_saveexec_b64 s[26:27], s[4:5]
	s_cbranch_execz .LBB323_1115
; %bb.1114:                             ;   in Loop: Header=BB323_619 Depth=1
	v_and_b32_e32 v26, 7, v30
	v_ffbh_u32_e32 v4, v26
	v_min_u32_e32 v54, 32, v4
	v_subrev_u32_e32 v4, 28, v54
	v_lshlrev_b64 v[4:5], v4, v[30:31]
	v_lshrrev_b32_e32 v49, 3, v35
	v_sub_u32_e32 v5, 29, v54
	v_cmp_gt_u32_e64 s[4:5], 8, v35
	v_and_b32_e32 v4, 7, v4
	v_cndmask_b32_e64 v5, v49, v5, s[4:5]
	v_cndmask_b32_e64 v4, v26, v4, s[4:5]
	v_lshlrev_b32_e32 v26, 8, v30
	v_lshl_add_u32 v5, v5, 10, v39
	v_and_or_b32 v5, v26, s19, v5
	v_lshl_or_b32 v4, v4, 7, v5
	v_cvt_f32_f16_e32 v26, v4
.LBB323_1115:                           ;   in Loop: Header=BB323_619 Depth=1
	s_or_b64 exec, exec, s[26:27]
.LBB323_1116:                           ;   in Loop: Header=BB323_619 Depth=1
	s_or_b64 exec, exec, s[24:25]
.LBB323_1117:                           ;   in Loop: Header=BB323_619 Depth=1
	s_or_b64 exec, exec, s[22:23]
	v_pk_mul_f32 v[4:5], v[48:49], v[52:53] op_sel_hi:[0,1]
	v_pk_mul_f32 v[50:51], v[48:49], v[50:51] op_sel_hi:[0,1]
	v_cvt_f16_f32_e32 v5, v5
	v_cvt_f16_f32_e32 v4, v4
	;; [unrolled: 1-line block ×4, first 2 shown]
	v_fma_mixlo_f16 v27, v48, v27, 0
	v_pack_b32_f16 v4, v4, v5
	v_pack_b32_f16 v5, v35, v30
	v_perm_b32 v30, v5, v4, s29
	v_perm_b32 v35, v5, v4, s30
	v_fma_mixlo_f16 v4, v48, v16, 0
	v_lshlrev_b32_e32 v4, 16, v4
	v_fma_mixlo_f16 v5, v48, v11, 0
	v_or_b32_sdwa v11, v4, v5 dst_sel:DWORD dst_unused:UNUSED_PAD src0_sel:DWORD src1_sel:WORD_0
	v_fma_mixlo_f16 v4, v48, v26, 0
	v_lshlrev_b32_e32 v4, 16, v4
	v_or_b32_sdwa v16, v4, v27 dst_sel:DWORD dst_unused:UNUSED_PAD src0_sel:DWORD src1_sel:WORD_0
	s_and_saveexec_b64 s[22:23], vcc
	s_cbranch_execz .LBB323_1119
; %bb.1118:                             ;   in Loop: Header=BB323_619 Depth=1
	v_lshrrev_b32_e32 v4, 16, v35
	v_cmp_lt_i32_e64 s[4:5], v44, v17
	v_accvgpr_read_b32 v26, a8
	v_cndmask_b32_e64 v4, 0, v4, s[4:5]
	v_cmp_lt_i32_e64 s[4:5], v7, v26
	v_cndmask_b32_e64 v5, 0, v35, s[4:5]
	v_perm_b32 v35, v4, v5, s31
	v_lshrrev_b32_e32 v4, 16, v30
	v_cmp_lt_i32_e64 s[4:5], v58, v17
	v_cndmask_b32_e64 v4, 0, v4, s[4:5]
	v_cmp_lt_i32_e64 s[4:5], v57, v26
	v_cndmask_b32_e64 v5, 0, v30, s[4:5]
	v_perm_b32 v30, v4, v5, s31
	v_lshrrev_b32_e32 v4, 16, v11
	v_cmp_lt_i32_e64 s[4:5], v56, v17
	;; [unrolled: 6-line block ×3, first 2 shown]
	v_cndmask_b32_e64 v4, 0, v4, s[4:5]
	v_cmp_lt_i32_e64 s[4:5], v45, v26
	v_cndmask_b32_e64 v5, 0, v27, s[4:5]
	v_perm_b32 v16, v4, v5, s31
.LBB323_1119:                           ;   in Loop: Header=BB323_619 Depth=1
	s_or_b64 exec, exec, s[22:23]
	;;#ASMSTART
	v_pk_mul_f16 v4, v59, v35;

	;;#ASMEND
	;;#ASMSTART
	v_pk_mul_f16 v5, v60, v30;

	;;#ASMEND
	;; [unrolled: 4-line block ×4, first 2 shown]
	;;#ASMSTART
	v_pk_add_f16 v4, v4, v5;

	;;#ASMEND
	;;#ASMSTART
	v_pk_add_f16 v4, v4, v11;

	;;#ASMEND
	;; [unrolled: 4-line block ×3, first 2 shown]
	v_lshrrev_b32_e32 v5, 16, v4
	v_and_b32_e32 v4, 0xffff, v4
	;;#ASMSTART
	v_cvt_f32_f16 v11, v4;
	;;#ASMEND
	v_accvgpr_read_b32 v4, a26
	v_add_co_u32_e64 v4, s[4:5], v18, v4
	;;#ASMSTART
	v_cvt_f32_f16 v26, v5;
	;;#ASMEND
	v_addc_co_u32_e64 v5, s[4:5], 0, v19, s[4:5]
	flat_load_dwordx2 v[54:55], v[4:5]
	v_accvgpr_read_b32 v4, a4
	v_accvgpr_read_b32 v5, a5
	flat_load_dword v48, v[4:5]
	v_mov_b32_e32 v52, 0
	v_mov_b32_e32 v50, 0
	s_waitcnt vmcnt(0) lgkmcnt(0)
	v_cmp_ne_u16_sdwa s[4:5], v54, v31 src0_sel:BYTE_0 src1_sel:DWORD
	s_and_saveexec_b64 s[22:23], s[4:5]
	s_cbranch_execz .LBB323_1125
; %bb.1120:                             ;   in Loop: Header=BB323_619 Depth=1
	v_cmp_ne_u16_sdwa s[4:5], v54, s7 src0_sel:BYTE_0 src1_sel:DWORD
	v_bfrev_b32_e32 v50, 1
	s_and_saveexec_b64 s[24:25], s[4:5]
	s_cbranch_execz .LBB323_1124
; %bb.1121:                             ;   in Loop: Header=BB323_619 Depth=1
	v_and_b32_e32 v5, 0x7f, v54
	v_cmp_ne_u32_e64 s[4:5], s15, v5
	v_mov_b32_e32 v50, 0x7fc02000
	s_and_saveexec_b64 s[26:27], s[4:5]
	s_cbranch_execz .LBB323_1123
; %bb.1122:                             ;   in Loop: Header=BB323_619 Depth=1
	v_and_b32_e32 v4, 7, v54
	v_ffbh_u32_e32 v4, v4
	v_min_u32_e32 v4, 32, v4
	v_subrev_u32_e32 v27, 28, v4
	v_cmp_gt_u32_e64 s[4:5], 8, v5
	v_sub_u32_e32 v30, 29, v4
	v_cndmask_b32_e64 v4, 0, v27, s[4:5]
	v_lshrrev_b32_e32 v16, 3, v5
	v_lshlrev_b64 v[4:5], v4, v[54:55]
	v_cndmask_b32_e64 v5, v16, v30, s[4:5]
	v_lshlrev_b32_e32 v16, 8, v54
	v_lshl_add_u32 v5, v5, 10, v39
	v_lshlrev_b32_e32 v4, 7, v4
	v_and_or_b32 v5, v16, s19, v5
	v_and_or_b32 v4, v4, s28, v5
	v_cvt_f32_f16_e32 v50, v4
.LBB323_1123:                           ;   in Loop: Header=BB323_619 Depth=1
	s_or_b64 exec, exec, s[26:27]
.LBB323_1124:                           ;   in Loop: Header=BB323_619 Depth=1
	s_or_b64 exec, exec, s[24:25]
.LBB323_1125:                           ;   in Loop: Header=BB323_619 Depth=1
	s_or_b64 exec, exec, s[22:23]
	v_lshrrev_b16_e32 v30, 8, v54
	v_cmp_ne_u16_e64 s[4:5], 0, v30
	s_and_saveexec_b64 s[22:23], s[4:5]
	s_cbranch_execz .LBB323_1131
; %bb.1126:                             ;   in Loop: Header=BB323_619 Depth=1
	v_cmp_ne_u16_e64 s[4:5], s7, v30
	v_bfrev_b32_e32 v52, 1
	s_and_saveexec_b64 s[24:25], s[4:5]
	s_cbranch_execz .LBB323_1130
; %bb.1127:                             ;   in Loop: Header=BB323_619 Depth=1
	v_and_b32_e32 v16, 0x7f, v30
	v_cmp_ne_u32_e64 s[4:5], s15, v16
	v_mov_b32_e32 v52, 0x7fc02000
	s_and_saveexec_b64 s[26:27], s[4:5]
	s_cbranch_execz .LBB323_1129
; %bb.1128:                             ;   in Loop: Header=BB323_619 Depth=1
	v_and_b32_e32 v27, 7, v30
	v_ffbh_u32_e32 v4, v27
	v_min_u32_e32 v49, 32, v4
	v_subrev_u32_e32 v4, 28, v49
	v_lshlrev_b64 v[4:5], v4, v[30:31]
	v_lshrrev_b32_e32 v35, 3, v16
	v_sub_u32_e32 v5, 29, v49
	v_cmp_gt_u32_e64 s[4:5], 8, v16
	v_cndmask_b32_e64 v5, v35, v5, s[4:5]
	v_and_b32_e32 v4, 7, v4
	v_lshlrev_b32_e32 v16, 8, v30
	v_lshl_add_u32 v5, v5, 10, v39
	v_cndmask_b32_e64 v4, v27, v4, s[4:5]
	v_and_or_b32 v5, v16, s19, v5
	v_lshl_or_b32 v4, v4, 7, v5
	v_cvt_f32_f16_e32 v52, v4
.LBB323_1129:                           ;   in Loop: Header=BB323_619 Depth=1
	s_or_b64 exec, exec, s[26:27]
.LBB323_1130:                           ;   in Loop: Header=BB323_619 Depth=1
	s_or_b64 exec, exec, s[24:25]
.LBB323_1131:                           ;   in Loop: Header=BB323_619 Depth=1
	s_or_b64 exec, exec, s[22:23]
	v_lshrrev_b32_e32 v30, 16, v54
	v_cmp_ne_u16_sdwa s[4:5], v30, v31 src0_sel:BYTE_0 src1_sel:DWORD
	v_mov_b32_e32 v53, 0
	v_mov_b32_e32 v51, 0
	s_and_saveexec_b64 s[22:23], s[4:5]
	s_cbranch_execz .LBB323_1137
; %bb.1132:                             ;   in Loop: Header=BB323_619 Depth=1
	v_cmp_ne_u16_sdwa s[4:5], v30, s7 src0_sel:BYTE_0 src1_sel:DWORD
	v_bfrev_b32_e32 v51, 1
	s_and_saveexec_b64 s[24:25], s[4:5]
	s_cbranch_execz .LBB323_1136
; %bb.1133:                             ;   in Loop: Header=BB323_619 Depth=1
	v_bfe_u32 v16, v54, 16, 7
	v_cmp_ne_u32_e64 s[4:5], s15, v16
	v_mov_b32_e32 v51, 0x7fc02000
	s_and_saveexec_b64 s[26:27], s[4:5]
	s_cbranch_execz .LBB323_1135
; %bb.1134:                             ;   in Loop: Header=BB323_619 Depth=1
	v_and_b32_e32 v27, 7, v30
	v_ffbh_u32_e32 v4, v27
	v_min_u32_e32 v49, 32, v4
	v_subrev_u32_e32 v4, 28, v49
	v_lshlrev_b64 v[4:5], v4, v[30:31]
	v_lshrrev_b32_e32 v35, 3, v16
	v_sub_u32_e32 v5, 29, v49
	v_cmp_gt_u32_e64 s[4:5], 8, v16
	v_cndmask_b32_e64 v5, v35, v5, s[4:5]
	v_and_b32_e32 v4, 7, v4
	v_lshlrev_b32_e32 v16, 8, v30
	v_lshl_add_u32 v5, v5, 10, v39
	v_cndmask_b32_e64 v4, v27, v4, s[4:5]
	v_and_or_b32 v5, v16, s19, v5
	v_lshl_or_b32 v4, v4, 7, v5
	v_cvt_f32_f16_e32 v51, v4
.LBB323_1135:                           ;   in Loop: Header=BB323_619 Depth=1
	s_or_b64 exec, exec, s[26:27]
.LBB323_1136:                           ;   in Loop: Header=BB323_619 Depth=1
	s_or_b64 exec, exec, s[24:25]
.LBB323_1137:                           ;   in Loop: Header=BB323_619 Depth=1
	s_or_b64 exec, exec, s[22:23]
	v_cmp_lt_u32_e64 s[4:5], s11, v54
	s_and_saveexec_b64 s[22:23], s[4:5]
	s_cbranch_execz .LBB323_1143
; %bb.1138:                             ;   in Loop: Header=BB323_619 Depth=1
	v_lshrrev_b32_e32 v30, 24, v54
	v_cmp_ne_u32_e64 s[4:5], s7, v30
	v_bfrev_b32_e32 v53, 1
	s_and_saveexec_b64 s[24:25], s[4:5]
	s_cbranch_execz .LBB323_1142
; %bb.1139:                             ;   in Loop: Header=BB323_619 Depth=1
	v_and_b32_e32 v16, 0x7f, v30
	v_cmp_ne_u32_e64 s[4:5], s15, v16
	v_mov_b32_e32 v53, 0x7fc02000
	s_and_saveexec_b64 s[26:27], s[4:5]
	s_cbranch_execz .LBB323_1141
; %bb.1140:                             ;   in Loop: Header=BB323_619 Depth=1
	v_and_b32_e32 v27, 7, v30
	v_ffbh_u32_e32 v4, v27
	v_min_u32_e32 v49, 32, v4
	v_subrev_u32_e32 v4, 28, v49
	v_lshlrev_b64 v[4:5], v4, v[30:31]
	v_lshrrev_b32_e32 v35, 3, v16
	v_sub_u32_e32 v5, 29, v49
	v_cmp_gt_u32_e64 s[4:5], 8, v16
	v_cndmask_b32_e64 v5, v35, v5, s[4:5]
	v_and_b32_e32 v4, 7, v4
	v_lshlrev_b32_e32 v16, 8, v30
	v_lshl_add_u32 v5, v5, 10, v39
	v_cndmask_b32_e64 v4, v27, v4, s[4:5]
	v_and_or_b32 v5, v16, s19, v5
	v_lshl_or_b32 v4, v4, 7, v5
	v_cvt_f32_f16_e32 v53, v4
.LBB323_1141:                           ;   in Loop: Header=BB323_619 Depth=1
	s_or_b64 exec, exec, s[26:27]
.LBB323_1142:                           ;   in Loop: Header=BB323_619 Depth=1
	s_or_b64 exec, exec, s[24:25]
.LBB323_1143:                           ;   in Loop: Header=BB323_619 Depth=1
	s_or_b64 exec, exec, s[22:23]
	v_mov_b32_e32 v30, v55
	v_cmp_ne_u16_sdwa s[4:5], v55, v31 src0_sel:BYTE_0 src1_sel:DWORD
	v_mov_b32_e32 v27, 0
	v_mov_b32_e32 v16, 0
	s_and_saveexec_b64 s[22:23], s[4:5]
	s_cbranch_execz .LBB323_1149
; %bb.1144:                             ;   in Loop: Header=BB323_619 Depth=1
	v_cmp_ne_u16_sdwa s[4:5], v55, s7 src0_sel:BYTE_0 src1_sel:DWORD
	v_bfrev_b32_e32 v16, 1
	s_and_saveexec_b64 s[24:25], s[4:5]
	s_cbranch_execz .LBB323_1148
; %bb.1145:                             ;   in Loop: Header=BB323_619 Depth=1
	v_and_b32_e32 v5, 0x7f, v55
	v_cmp_ne_u32_e64 s[4:5], s15, v5
	v_mov_b32_e32 v16, 0x7fc02000
	s_and_saveexec_b64 s[26:27], s[4:5]
	s_cbranch_execz .LBB323_1147
; %bb.1146:                             ;   in Loop: Header=BB323_619 Depth=1
	v_and_b32_e32 v4, 7, v55
	v_ffbh_u32_e32 v4, v4
	v_min_u32_e32 v4, 32, v4
	v_subrev_u32_e32 v35, 28, v4
	v_cmp_gt_u32_e64 s[4:5], 8, v5
	v_sub_u32_e32 v49, 29, v4
	v_cndmask_b32_e64 v4, 0, v35, s[4:5]
	v_lshrrev_b32_e32 v16, 3, v5
	v_lshlrev_b64 v[4:5], v4, v[30:31]
	v_cndmask_b32_e64 v5, v16, v49, s[4:5]
	v_lshlrev_b32_e32 v16, 8, v55
	v_lshl_add_u32 v5, v5, 10, v39
	v_lshlrev_b32_e32 v4, 7, v4
	v_and_or_b32 v5, v16, s19, v5
	v_and_or_b32 v4, v4, s28, v5
	v_cvt_f32_f16_e32 v16, v4
.LBB323_1147:                           ;   in Loop: Header=BB323_619 Depth=1
	s_or_b64 exec, exec, s[26:27]
.LBB323_1148:                           ;   in Loop: Header=BB323_619 Depth=1
	s_or_b64 exec, exec, s[24:25]
.LBB323_1149:                           ;   in Loop: Header=BB323_619 Depth=1
	s_or_b64 exec, exec, s[22:23]
	v_lshrrev_b16_e32 v30, 8, v30
	v_cmp_ne_u16_e64 s[4:5], 0, v30
	s_and_saveexec_b64 s[22:23], s[4:5]
	s_cbranch_execz .LBB323_1155
; %bb.1150:                             ;   in Loop: Header=BB323_619 Depth=1
	v_cmp_ne_u16_e64 s[4:5], s7, v30
	v_bfrev_b32_e32 v27, 1
	s_and_saveexec_b64 s[24:25], s[4:5]
	s_cbranch_execz .LBB323_1154
; %bb.1151:                             ;   in Loop: Header=BB323_619 Depth=1
	v_and_b32_e32 v35, 0x7f, v30
	v_cmp_ne_u32_e64 s[4:5], s15, v35
	v_mov_b32_e32 v27, 0x7fc02000
	s_and_saveexec_b64 s[26:27], s[4:5]
	s_cbranch_execz .LBB323_1153
; %bb.1152:                             ;   in Loop: Header=BB323_619 Depth=1
	v_and_b32_e32 v27, 7, v30
	v_ffbh_u32_e32 v4, v27
	v_mov_b32_e32 v29, v42
	v_min_u32_e32 v42, 32, v4
	v_subrev_u32_e32 v4, 28, v42
	v_lshlrev_b64 v[4:5], v4, v[30:31]
	v_lshrrev_b32_e32 v49, 3, v35
	v_sub_u32_e32 v5, 29, v42
	v_cmp_gt_u32_e64 s[4:5], 8, v35
	v_and_b32_e32 v4, 7, v4
	v_cndmask_b32_e64 v5, v49, v5, s[4:5]
	v_cndmask_b32_e64 v4, v27, v4, s[4:5]
	v_lshlrev_b32_e32 v27, 8, v30
	v_lshl_add_u32 v5, v5, 10, v39
	v_and_or_b32 v5, v27, s19, v5
	v_lshl_or_b32 v4, v4, 7, v5
	v_cvt_f32_f16_e32 v27, v4
	v_mov_b32_e32 v42, v29
.LBB323_1153:                           ;   in Loop: Header=BB323_619 Depth=1
	s_or_b64 exec, exec, s[26:27]
.LBB323_1154:                           ;   in Loop: Header=BB323_619 Depth=1
	s_or_b64 exec, exec, s[24:25]
.LBB323_1155:                           ;   in Loop: Header=BB323_619 Depth=1
	s_or_b64 exec, exec, s[22:23]
	v_lshrrev_b32_e32 v30, 16, v55
	v_cmp_ne_u16_sdwa s[4:5], v30, v31 src0_sel:BYTE_0 src1_sel:DWORD
	v_mov_b32_e32 v49, 0
	v_mov_b32_e32 v35, 0
	s_and_saveexec_b64 s[22:23], s[4:5]
	s_cbranch_execz .LBB323_1161
; %bb.1156:                             ;   in Loop: Header=BB323_619 Depth=1
	v_cmp_ne_u16_sdwa s[4:5], v30, s7 src0_sel:BYTE_0 src1_sel:DWORD
	v_bfrev_b32_e32 v35, 1
	s_and_saveexec_b64 s[24:25], s[4:5]
	s_cbranch_execz .LBB323_1160
; %bb.1157:                             ;   in Loop: Header=BB323_619 Depth=1
	v_bfe_u32 v5, v55, 16, 7
	v_cmp_ne_u32_e64 s[4:5], s15, v5
	v_mov_b32_e32 v35, 0x7fc02000
	s_and_saveexec_b64 s[26:27], s[4:5]
	s_cbranch_execz .LBB323_1159
; %bb.1158:                             ;   in Loop: Header=BB323_619 Depth=1
	v_and_b32_e32 v4, 7, v30
	v_accvgpr_write_b32 a11, v42
	v_ffbh_u32_e32 v42, v4
	v_min_u32_e32 v29, 32, v42
	v_lshrrev_b32_e32 v35, 3, v5
	v_subrev_u32_e32 v42, 28, v29
	v_sub_u32_e32 v29, 29, v29
	v_cmp_gt_u32_e64 s[4:5], 8, v5
	v_accvgpr_write_b32 a9, v43
	v_lshlrev_b64 v[42:43], v42, v[30:31]
	v_cndmask_b32_e64 v5, v35, v29, s[4:5]
	v_and_b32_e32 v42, 7, v42
	v_lshlrev_b32_e32 v29, 8, v30
	v_lshl_add_u32 v5, v5, 10, v39
	v_cndmask_b32_e64 v4, v4, v42, s[4:5]
	v_and_or_b32 v5, v29, s19, v5
	v_lshl_or_b32 v4, v4, 7, v5
	v_cvt_f32_f16_e32 v35, v4
	v_accvgpr_read_b32 v43, a9
	v_accvgpr_read_b32 v42, a11
.LBB323_1159:                           ;   in Loop: Header=BB323_619 Depth=1
	s_or_b64 exec, exec, s[26:27]
.LBB323_1160:                           ;   in Loop: Header=BB323_619 Depth=1
	s_or_b64 exec, exec, s[24:25]
.LBB323_1161:                           ;   in Loop: Header=BB323_619 Depth=1
	s_or_b64 exec, exec, s[22:23]
	v_cmp_lt_u64_e64 s[4:5], s[10:11], v[54:55]
	s_and_saveexec_b64 s[22:23], s[4:5]
	s_cbranch_execz .LBB323_1167
; %bb.1162:                             ;   in Loop: Header=BB323_619 Depth=1
	v_lshrrev_b32_e32 v30, 24, v55
	v_cmp_ne_u32_e64 s[4:5], s7, v30
	v_bfrev_b32_e32 v49, 1
	s_and_saveexec_b64 s[24:25], s[4:5]
	s_cbranch_execz .LBB323_1166
; %bb.1163:                             ;   in Loop: Header=BB323_619 Depth=1
	v_and_b32_e32 v5, 0x7f, v30
	v_cmp_ne_u32_e64 s[4:5], s15, v5
	v_mov_b32_e32 v49, 0x7fc02000
	s_and_saveexec_b64 s[26:27], s[4:5]
	s_cbranch_execz .LBB323_1165
; %bb.1164:                             ;   in Loop: Header=BB323_619 Depth=1
	v_and_b32_e32 v4, 7, v30
	v_ffbh_u32_e32 v49, v4
	v_min_u32_e32 v49, 32, v49
	v_lshrrev_b32_e32 v29, 3, v5
	v_subrev_u32_e32 v54, 28, v49
	v_sub_u32_e32 v49, 29, v49
	v_cmp_gt_u32_e64 s[4:5], 8, v5
	v_lshlrev_b64 v[54:55], v54, v[30:31]
	v_cndmask_b32_e64 v5, v29, v49, s[4:5]
	v_and_b32_e32 v54, 7, v54
	v_lshlrev_b32_e32 v29, 8, v30
	v_lshl_add_u32 v5, v5, 10, v39
	v_cndmask_b32_e64 v4, v4, v54, s[4:5]
	v_and_or_b32 v5, v29, s19, v5
	v_lshl_or_b32 v4, v4, 7, v5
	v_cvt_f32_f16_e32 v49, v4
.LBB323_1165:                           ;   in Loop: Header=BB323_619 Depth=1
	s_or_b64 exec, exec, s[26:27]
.LBB323_1166:                           ;   in Loop: Header=BB323_619 Depth=1
	s_or_b64 exec, exec, s[24:25]
.LBB323_1167:                           ;   in Loop: Header=BB323_619 Depth=1
	s_or_b64 exec, exec, s[22:23]
	v_pk_mul_f32 v[4:5], v[48:49], v[52:53] op_sel_hi:[0,1]
	v_pk_mul_f32 v[50:51], v[48:49], v[50:51] op_sel_hi:[0,1]
	v_cvt_f16_f32_e32 v5, v5
	v_cvt_f16_f32_e32 v4, v4
	v_cvt_f16_f32_e32 v29, v51
	v_cvt_f16_f32_e32 v30, v50
	v_fma_mixlo_f16 v35, v48, v35, 0
	v_pack_b32_f16 v4, v4, v5
	v_pack_b32_f16 v5, v30, v29
	v_perm_b32 v30, v5, v4, s29
	v_perm_b32 v50, v5, v4, s30
	v_fma_mixlo_f16 v4, v48, v27, 0
	v_lshlrev_b32_e32 v4, 16, v4
	v_fma_mixlo_f16 v5, v48, v16, 0
	v_or_b32_sdwa v16, v4, v5 dst_sel:DWORD dst_unused:UNUSED_PAD src0_sel:DWORD src1_sel:WORD_0
	v_fma_mixlo_f16 v4, v48, v49, 0
	v_lshlrev_b32_e32 v4, 16, v4
	v_or_b32_sdwa v27, v4, v35 dst_sel:DWORD dst_unused:UNUSED_PAD src0_sel:DWORD src1_sel:WORD_0
	s_and_saveexec_b64 s[22:23], vcc
	s_cbranch_execz .LBB323_1169
; %bb.1168:                             ;   in Loop: Header=BB323_619 Depth=1
	v_lshrrev_b32_e32 v4, 16, v50
	v_cmp_lt_i32_e64 s[4:5], v44, v17
	v_accvgpr_read_b32 v48, a8
	v_cndmask_b32_e64 v4, 0, v4, s[4:5]
	v_cmp_lt_i32_e64 s[4:5], v7, v48
	v_cndmask_b32_e64 v5, 0, v50, s[4:5]
	v_perm_b32 v50, v4, v5, s31
	v_lshrrev_b32_e32 v4, 16, v30
	v_cmp_lt_i32_e64 s[4:5], v58, v17
	v_cndmask_b32_e64 v4, 0, v4, s[4:5]
	v_cmp_lt_i32_e64 s[4:5], v57, v48
	v_cndmask_b32_e64 v5, 0, v30, s[4:5]
	v_perm_b32 v30, v4, v5, s31
	v_lshrrev_b32_e32 v4, 16, v16
	v_cmp_lt_i32_e64 s[4:5], v56, v17
	;; [unrolled: 6-line block ×3, first 2 shown]
	v_cndmask_b32_e64 v4, 0, v4, s[4:5]
	v_cmp_lt_i32_e64 s[4:5], v45, v48
	v_cndmask_b32_e64 v5, 0, v35, s[4:5]
	v_perm_b32 v27, v4, v5, s31
.LBB323_1169:                           ;   in Loop: Header=BB323_619 Depth=1
	s_or_b64 exec, exec, s[22:23]
	;;#ASMSTART
	v_pk_mul_f16 v4, v59, v50;

	;;#ASMEND
	;;#ASMSTART
	v_pk_mul_f16 v5, v60, v30;

	;;#ASMEND
	;; [unrolled: 4-line block ×4, first 2 shown]
	;;#ASMSTART
	v_pk_add_f16 v4, v4, v5;

	;;#ASMEND
	;;#ASMSTART
	v_pk_add_f16 v4, v4, v16;

	;;#ASMEND
	;; [unrolled: 4-line block ×3, first 2 shown]
	v_lshrrev_b32_e32 v5, 16, v4
	v_and_b32_e32 v4, 0xffff, v4
	;;#ASMSTART
	v_cvt_f32_f16 v27, v4;
	;;#ASMEND
	v_accvgpr_read_b32 v4, a28
	v_add_co_u32_e64 v4, s[4:5], v18, v4
	;;#ASMSTART
	v_cvt_f32_f16 v54, v5;
	;;#ASMEND
	v_addc_co_u32_e64 v5, s[4:5], 0, v19, s[4:5]
	flat_load_dwordx2 v[52:53], v[4:5]
	v_accvgpr_read_b32 v4, a4
	v_accvgpr_read_b32 v5, a5
	flat_load_dword v18, v[4:5]
	v_mov_b32_e32 v50, 0
	v_mov_b32_e32 v48, 0
	s_waitcnt vmcnt(0) lgkmcnt(0)
	v_cmp_ne_u16_sdwa s[4:5], v52, v31 src0_sel:BYTE_0 src1_sel:DWORD
	s_and_saveexec_b64 s[22:23], s[4:5]
	s_cbranch_execz .LBB323_1175
; %bb.1170:                             ;   in Loop: Header=BB323_619 Depth=1
	v_cmp_ne_u16_sdwa s[4:5], v52, s7 src0_sel:BYTE_0 src1_sel:DWORD
	v_bfrev_b32_e32 v48, 1
	s_and_saveexec_b64 s[24:25], s[4:5]
	s_cbranch_execz .LBB323_1174
; %bb.1171:                             ;   in Loop: Header=BB323_619 Depth=1
	v_and_b32_e32 v5, 0x7f, v52
	v_cmp_ne_u32_e64 s[4:5], s15, v5
	v_mov_b32_e32 v48, 0x7fc02000
	s_and_saveexec_b64 s[26:27], s[4:5]
	s_cbranch_execz .LBB323_1173
; %bb.1172:                             ;   in Loop: Header=BB323_619 Depth=1
	v_and_b32_e32 v4, 7, v52
	v_ffbh_u32_e32 v4, v4
	v_min_u32_e32 v4, 32, v4
	v_subrev_u32_e32 v19, 28, v4
	v_cmp_gt_u32_e64 s[4:5], 8, v5
	v_sub_u32_e32 v29, 29, v4
	v_cndmask_b32_e64 v4, 0, v19, s[4:5]
	v_lshrrev_b32_e32 v16, 3, v5
	v_lshlrev_b64 v[4:5], v4, v[52:53]
	v_cndmask_b32_e64 v5, v16, v29, s[4:5]
	v_lshlrev_b32_e32 v16, 8, v52
	v_lshl_add_u32 v5, v5, 10, v39
	v_lshlrev_b32_e32 v4, 7, v4
	v_and_or_b32 v5, v16, s19, v5
	v_and_or_b32 v4, v4, s28, v5
	v_cvt_f32_f16_e32 v48, v4
.LBB323_1173:                           ;   in Loop: Header=BB323_619 Depth=1
	s_or_b64 exec, exec, s[26:27]
.LBB323_1174:                           ;   in Loop: Header=BB323_619 Depth=1
	s_or_b64 exec, exec, s[24:25]
.LBB323_1175:                           ;   in Loop: Header=BB323_619 Depth=1
	s_or_b64 exec, exec, s[22:23]
	v_lshrrev_b16_e32 v30, 8, v52
	v_cmp_ne_u16_e64 s[4:5], 0, v30
	s_and_saveexec_b64 s[22:23], s[4:5]
	s_cbranch_execz .LBB323_1181
; %bb.1176:                             ;   in Loop: Header=BB323_619 Depth=1
	v_cmp_ne_u16_e64 s[4:5], s7, v30
	v_bfrev_b32_e32 v50, 1
	s_and_saveexec_b64 s[24:25], s[4:5]
	s_cbranch_execz .LBB323_1180
; %bb.1177:                             ;   in Loop: Header=BB323_619 Depth=1
	v_and_b32_e32 v5, 0x7f, v30
	v_cmp_ne_u32_e64 s[4:5], s15, v5
	v_mov_b32_e32 v50, 0x7fc02000
	s_and_saveexec_b64 s[26:27], s[4:5]
	s_cbranch_execz .LBB323_1179
; %bb.1178:                             ;   in Loop: Header=BB323_619 Depth=1
	v_and_b32_e32 v4, 7, v30
	v_ffbh_u32_e32 v19, v4
	v_min_u32_e32 v19, 32, v19
	v_lshrrev_b32_e32 v16, 3, v5
	v_subrev_u32_e32 v29, 28, v19
	v_sub_u32_e32 v19, 29, v19
	v_cmp_gt_u32_e64 s[4:5], 8, v5
	v_lshlrev_b64 v[50:51], v29, v[30:31]
	v_cndmask_b32_e64 v5, v16, v19, s[4:5]
	v_and_b32_e32 v29, 7, v50
	v_lshlrev_b32_e32 v16, 8, v30
	v_lshl_add_u32 v5, v5, 10, v39
	v_cndmask_b32_e64 v4, v4, v29, s[4:5]
	v_and_or_b32 v5, v16, s19, v5
	v_lshl_or_b32 v4, v4, 7, v5
	v_cvt_f32_f16_e32 v50, v4
.LBB323_1179:                           ;   in Loop: Header=BB323_619 Depth=1
	s_or_b64 exec, exec, s[26:27]
.LBB323_1180:                           ;   in Loop: Header=BB323_619 Depth=1
	s_or_b64 exec, exec, s[24:25]
.LBB323_1181:                           ;   in Loop: Header=BB323_619 Depth=1
	s_or_b64 exec, exec, s[22:23]
	v_lshrrev_b32_e32 v30, 16, v52
	v_cmp_ne_u16_sdwa s[4:5], v30, v31 src0_sel:BYTE_0 src1_sel:DWORD
	v_mov_b32_e32 v51, 0
	v_mov_b32_e32 v49, 0
	s_and_saveexec_b64 s[22:23], s[4:5]
	s_cbranch_execz .LBB323_1187
; %bb.1182:                             ;   in Loop: Header=BB323_619 Depth=1
	v_cmp_ne_u16_sdwa s[4:5], v30, s7 src0_sel:BYTE_0 src1_sel:DWORD
	v_bfrev_b32_e32 v49, 1
	s_and_saveexec_b64 s[24:25], s[4:5]
	s_cbranch_execz .LBB323_1186
; %bb.1183:                             ;   in Loop: Header=BB323_619 Depth=1
	v_bfe_u32 v5, v52, 16, 7
	v_cmp_ne_u32_e64 s[4:5], s15, v5
	v_mov_b32_e32 v49, 0x7fc02000
	s_and_saveexec_b64 s[26:27], s[4:5]
	s_cbranch_execz .LBB323_1185
; %bb.1184:                             ;   in Loop: Header=BB323_619 Depth=1
	v_and_b32_e32 v4, 7, v30
	v_ffbh_u32_e32 v19, v4
	v_min_u32_e32 v19, 32, v19
	v_lshrrev_b32_e32 v16, 3, v5
	v_subrev_u32_e32 v29, 28, v19
	v_sub_u32_e32 v19, 29, v19
	v_cmp_gt_u32_e64 s[4:5], 8, v5
	v_mov_b32_e32 v35, v43
	v_mov_b32_e32 v49, v42
	v_lshlrev_b64 v[42:43], v29, v[30:31]
	v_cndmask_b32_e64 v5, v16, v19, s[4:5]
	v_and_b32_e32 v29, 7, v42
	v_lshlrev_b32_e32 v16, 8, v30
	v_lshl_add_u32 v5, v5, 10, v39
	v_cndmask_b32_e64 v4, v4, v29, s[4:5]
	v_and_or_b32 v5, v16, s19, v5
	v_lshl_or_b32 v4, v4, 7, v5
	v_mov_b32_e32 v42, v49
	v_cvt_f32_f16_e32 v49, v4
	v_mov_b32_e32 v43, v35
.LBB323_1185:                           ;   in Loop: Header=BB323_619 Depth=1
	s_or_b64 exec, exec, s[26:27]
.LBB323_1186:                           ;   in Loop: Header=BB323_619 Depth=1
	s_or_b64 exec, exec, s[24:25]
.LBB323_1187:                           ;   in Loop: Header=BB323_619 Depth=1
	s_or_b64 exec, exec, s[22:23]
	v_cmp_lt_u32_e64 s[4:5], s11, v52
	s_and_saveexec_b64 s[22:23], s[4:5]
	s_cbranch_execz .LBB323_1193
; %bb.1188:                             ;   in Loop: Header=BB323_619 Depth=1
	v_lshrrev_b32_e32 v30, 24, v52
	v_cmp_ne_u32_e64 s[4:5], s7, v30
	v_bfrev_b32_e32 v51, 1
	s_and_saveexec_b64 s[24:25], s[4:5]
	s_cbranch_execz .LBB323_1192
; %bb.1189:                             ;   in Loop: Header=BB323_619 Depth=1
	v_and_b32_e32 v5, 0x7f, v30
	v_cmp_ne_u32_e64 s[4:5], s15, v5
	v_mov_b32_e32 v51, 0x7fc02000
	s_and_saveexec_b64 s[26:27], s[4:5]
	s_cbranch_execz .LBB323_1191
; %bb.1190:                             ;   in Loop: Header=BB323_619 Depth=1
	v_and_b32_e32 v4, 7, v30
	v_ffbh_u32_e32 v19, v4
	v_min_u32_e32 v19, 32, v19
	v_lshrrev_b32_e32 v16, 3, v5
	v_subrev_u32_e32 v29, 28, v19
	v_sub_u32_e32 v19, 29, v19
	v_cmp_gt_u32_e64 s[4:5], 8, v5
	v_mov_b32_e32 v35, v43
	v_mov_b32_e32 v51, v42
	v_lshlrev_b64 v[42:43], v29, v[30:31]
	v_cndmask_b32_e64 v5, v16, v19, s[4:5]
	v_and_b32_e32 v29, 7, v42
	v_lshlrev_b32_e32 v16, 8, v30
	v_lshl_add_u32 v5, v5, 10, v39
	v_cndmask_b32_e64 v4, v4, v29, s[4:5]
	v_and_or_b32 v5, v16, s19, v5
	v_lshl_or_b32 v4, v4, 7, v5
	v_mov_b32_e32 v42, v51
	v_cvt_f32_f16_e32 v51, v4
	v_mov_b32_e32 v43, v35
.LBB323_1191:                           ;   in Loop: Header=BB323_619 Depth=1
	s_or_b64 exec, exec, s[26:27]
.LBB323_1192:                           ;   in Loop: Header=BB323_619 Depth=1
	s_or_b64 exec, exec, s[24:25]
.LBB323_1193:                           ;   in Loop: Header=BB323_619 Depth=1
	s_or_b64 exec, exec, s[22:23]
	v_mov_b32_e32 v30, v53
	v_cmp_ne_u16_sdwa s[4:5], v53, v31 src0_sel:BYTE_0 src1_sel:DWORD
	v_mov_b32_e32 v19, 0
	v_mov_b32_e32 v16, 0
	s_and_saveexec_b64 s[22:23], s[4:5]
	s_cbranch_execz .LBB323_1199
; %bb.1194:                             ;   in Loop: Header=BB323_619 Depth=1
	v_cmp_ne_u16_sdwa s[4:5], v53, s7 src0_sel:BYTE_0 src1_sel:DWORD
	v_bfrev_b32_e32 v16, 1
	s_and_saveexec_b64 s[24:25], s[4:5]
	s_cbranch_execz .LBB323_1198
; %bb.1195:                             ;   in Loop: Header=BB323_619 Depth=1
	v_and_b32_e32 v5, 0x7f, v53
	v_cmp_ne_u32_e64 s[4:5], s15, v5
	v_mov_b32_e32 v16, 0x7fc02000
	s_and_saveexec_b64 s[26:27], s[4:5]
	s_cbranch_execz .LBB323_1197
; %bb.1196:                             ;   in Loop: Header=BB323_619 Depth=1
	v_and_b32_e32 v4, 7, v53
	v_ffbh_u32_e32 v4, v4
	v_min_u32_e32 v4, 32, v4
	v_subrev_u32_e32 v29, 28, v4
	v_cmp_gt_u32_e64 s[4:5], 8, v5
	v_sub_u32_e32 v35, 29, v4
	v_cndmask_b32_e64 v4, 0, v29, s[4:5]
	v_lshrrev_b32_e32 v16, 3, v5
	v_lshlrev_b64 v[4:5], v4, v[30:31]
	v_cndmask_b32_e64 v5, v16, v35, s[4:5]
	v_lshlrev_b32_e32 v16, 8, v53
	v_lshl_add_u32 v5, v5, 10, v39
	v_lshlrev_b32_e32 v4, 7, v4
	v_and_or_b32 v5, v16, s19, v5
	v_and_or_b32 v4, v4, s28, v5
	v_cvt_f32_f16_e32 v16, v4
.LBB323_1197:                           ;   in Loop: Header=BB323_619 Depth=1
	s_or_b64 exec, exec, s[26:27]
.LBB323_1198:                           ;   in Loop: Header=BB323_619 Depth=1
	s_or_b64 exec, exec, s[24:25]
.LBB323_1199:                           ;   in Loop: Header=BB323_619 Depth=1
	s_or_b64 exec, exec, s[22:23]
	v_lshrrev_b16_e32 v30, 8, v30
	v_cmp_ne_u16_e64 s[4:5], 0, v30
	s_and_saveexec_b64 s[22:23], s[4:5]
	s_cbranch_execz .LBB323_1205
; %bb.1200:                             ;   in Loop: Header=BB323_619 Depth=1
	v_cmp_ne_u16_e64 s[4:5], s7, v30
	v_bfrev_b32_e32 v19, 1
	s_and_saveexec_b64 s[24:25], s[4:5]
	s_cbranch_execz .LBB323_1204
; %bb.1201:                             ;   in Loop: Header=BB323_619 Depth=1
	v_and_b32_e32 v5, 0x7f, v30
	v_cmp_ne_u32_e64 s[4:5], s15, v5
	v_mov_b32_e32 v19, 0x7fc02000
	s_and_saveexec_b64 s[26:27], s[4:5]
	s_cbranch_execz .LBB323_1203
; %bb.1202:                             ;   in Loop: Header=BB323_619 Depth=1
	v_and_b32_e32 v4, 7, v30
	v_ffbh_u32_e32 v29, v4
	v_min_u32_e32 v29, 32, v29
	v_lshrrev_b32_e32 v19, 3, v5
	v_subrev_u32_e32 v35, 28, v29
	v_sub_u32_e32 v29, 29, v29
	v_cmp_gt_u32_e64 s[4:5], 8, v5
	v_mov_b32_e32 v55, v43
	v_accvgpr_write_b32 a9, v42
	v_lshlrev_b64 v[42:43], v35, v[30:31]
	v_cndmask_b32_e64 v5, v19, v29, s[4:5]
	v_and_b32_e32 v35, 7, v42
	v_lshlrev_b32_e32 v19, 8, v30
	v_lshl_add_u32 v5, v5, 10, v39
	v_cndmask_b32_e64 v4, v4, v35, s[4:5]
	v_and_or_b32 v5, v19, s19, v5
	v_lshl_or_b32 v4, v4, 7, v5
	v_cvt_f32_f16_e32 v19, v4
	v_mov_b32_e32 v43, v55
	v_accvgpr_read_b32 v42, a9
.LBB323_1203:                           ;   in Loop: Header=BB323_619 Depth=1
	s_or_b64 exec, exec, s[26:27]
.LBB323_1204:                           ;   in Loop: Header=BB323_619 Depth=1
	s_or_b64 exec, exec, s[24:25]
.LBB323_1205:                           ;   in Loop: Header=BB323_619 Depth=1
	s_or_b64 exec, exec, s[22:23]
	v_lshrrev_b32_e32 v30, 16, v53
	v_cmp_ne_u16_sdwa s[4:5], v30, v31 src0_sel:BYTE_0 src1_sel:DWORD
	v_mov_b32_e32 v55, 0
	v_mov_b32_e32 v35, 0
	s_and_saveexec_b64 s[22:23], s[4:5]
	s_cbranch_execz .LBB323_1211
; %bb.1206:                             ;   in Loop: Header=BB323_619 Depth=1
	v_cmp_ne_u16_sdwa s[4:5], v30, s7 src0_sel:BYTE_0 src1_sel:DWORD
	v_bfrev_b32_e32 v35, 1
	s_and_saveexec_b64 s[24:25], s[4:5]
	s_cbranch_execz .LBB323_1210
; %bb.1207:                             ;   in Loop: Header=BB323_619 Depth=1
	v_bfe_u32 v5, v53, 16, 7
	v_cmp_ne_u32_e64 s[4:5], s15, v5
	v_mov_b32_e32 v35, 0x7fc02000
	s_and_saveexec_b64 s[26:27], s[4:5]
	s_cbranch_execz .LBB323_1209
; %bb.1208:                             ;   in Loop: Header=BB323_619 Depth=1
	v_and_b32_e32 v4, 7, v30
	v_ffbh_u32_e32 v35, v4
	v_min_u32_e32 v35, 32, v35
	v_lshrrev_b32_e32 v29, 3, v5
	v_accvgpr_write_b32 a11, v42
	v_subrev_u32_e32 v42, 28, v35
	v_sub_u32_e32 v35, 29, v35
	v_cmp_gt_u32_e64 s[4:5], 8, v5
	v_accvgpr_write_b32 a9, v43
	v_lshlrev_b64 v[42:43], v42, v[30:31]
	v_cndmask_b32_e64 v5, v29, v35, s[4:5]
	v_and_b32_e32 v42, 7, v42
	v_lshlrev_b32_e32 v29, 8, v30
	v_lshl_add_u32 v5, v5, 10, v39
	v_cndmask_b32_e64 v4, v4, v42, s[4:5]
	v_and_or_b32 v5, v29, s19, v5
	v_lshl_or_b32 v4, v4, 7, v5
	v_cvt_f32_f16_e32 v35, v4
	v_accvgpr_read_b32 v43, a9
	v_accvgpr_read_b32 v42, a11
.LBB323_1209:                           ;   in Loop: Header=BB323_619 Depth=1
	s_or_b64 exec, exec, s[26:27]
.LBB323_1210:                           ;   in Loop: Header=BB323_619 Depth=1
	s_or_b64 exec, exec, s[24:25]
.LBB323_1211:                           ;   in Loop: Header=BB323_619 Depth=1
	s_or_b64 exec, exec, s[22:23]
	v_cmp_lt_u64_e64 s[4:5], s[10:11], v[52:53]
	s_and_saveexec_b64 s[22:23], s[4:5]
	s_cbranch_execz .LBB323_1217
; %bb.1212:                             ;   in Loop: Header=BB323_619 Depth=1
	v_lshrrev_b32_e32 v30, 24, v53
	v_cmp_ne_u32_e64 s[4:5], s7, v30
	v_bfrev_b32_e32 v55, 1
	s_and_saveexec_b64 s[24:25], s[4:5]
	s_cbranch_execz .LBB323_1216
; %bb.1213:                             ;   in Loop: Header=BB323_619 Depth=1
	v_and_b32_e32 v5, 0x7f, v30
	v_cmp_ne_u32_e64 s[4:5], s15, v5
	v_mov_b32_e32 v55, 0x7fc02000
	s_and_saveexec_b64 s[26:27], s[4:5]
	s_cbranch_execz .LBB323_1215
; %bb.1214:                             ;   in Loop: Header=BB323_619 Depth=1
	v_and_b32_e32 v4, 7, v30
	v_ffbh_u32_e32 v52, v4
	v_min_u32_e32 v55, 32, v52
	v_subrev_u32_e32 v52, 28, v55
	v_lshlrev_b64 v[52:53], v52, v[30:31]
	v_lshrrev_b32_e32 v29, 3, v5
	v_sub_u32_e32 v53, 29, v55
	v_cmp_gt_u32_e64 s[4:5], 8, v5
	v_cndmask_b32_e64 v5, v29, v53, s[4:5]
	v_and_b32_e32 v52, 7, v52
	v_lshlrev_b32_e32 v29, 8, v30
	v_lshl_add_u32 v5, v5, 10, v39
	v_cndmask_b32_e64 v4, v4, v52, s[4:5]
	v_and_or_b32 v5, v29, s19, v5
	v_lshl_or_b32 v4, v4, 7, v5
	v_cvt_f32_f16_e32 v55, v4
.LBB323_1215:                           ;   in Loop: Header=BB323_619 Depth=1
	s_or_b64 exec, exec, s[26:27]
.LBB323_1216:                           ;   in Loop: Header=BB323_619 Depth=1
	s_or_b64 exec, exec, s[24:25]
.LBB323_1217:                           ;   in Loop: Header=BB323_619 Depth=1
	s_or_b64 exec, exec, s[22:23]
	v_pk_mul_f32 v[4:5], v[18:19], v[50:51] op_sel_hi:[0,1]
	v_pk_mul_f32 v[48:49], v[18:19], v[48:49] op_sel_hi:[0,1]
	v_cvt_f16_f32_e32 v5, v5
	v_cvt_f16_f32_e32 v4, v4
	;; [unrolled: 1-line block ×4, first 2 shown]
	v_pack_b32_f16 v4, v4, v5
	v_pack_b32_f16 v5, v30, v29
	v_perm_b32 v30, v5, v4, s29
	v_perm_b32 v48, v5, v4, s30
	v_fma_mixlo_f16 v4, v18, v19, 0
	v_lshlrev_b32_e32 v4, 16, v4
	v_fma_mixlo_f16 v5, v18, v16, 0
	v_or_b32_sdwa v16, v4, v5 dst_sel:DWORD dst_unused:UNUSED_PAD src0_sel:DWORD src1_sel:WORD_0
	v_fma_mixlo_f16 v4, v18, v55, 0
	v_fma_mixlo_f16 v19, v18, v35, 0
	v_lshlrev_b32_e32 v4, 16, v4
	v_or_b32_sdwa v18, v4, v19 dst_sel:DWORD dst_unused:UNUSED_PAD src0_sel:DWORD src1_sel:WORD_0
	s_and_saveexec_b64 s[4:5], vcc
	s_cbranch_execz .LBB323_618
; %bb.1218:                             ;   in Loop: Header=BB323_619 Depth=1
	v_lshrrev_b32_e32 v4, 16, v48
	v_cmp_lt_i32_e32 vcc, v44, v17
	v_accvgpr_read_b32 v50, a8
	v_cndmask_b32_e32 v4, 0, v4, vcc
	v_cmp_lt_i32_e32 vcc, v7, v50
	v_cndmask_b32_e32 v5, 0, v48, vcc
	v_perm_b32 v48, v4, v5, s31
	v_lshrrev_b32_e32 v4, 16, v30
	v_cmp_lt_i32_e32 vcc, v58, v17
	v_cndmask_b32_e32 v4, 0, v4, vcc
	v_cmp_lt_i32_e32 vcc, v57, v50
	v_cndmask_b32_e32 v5, 0, v30, vcc
	v_perm_b32 v30, v4, v5, s31
	v_lshrrev_b32_e32 v4, 16, v16
	v_cmp_lt_i32_e32 vcc, v56, v17
	;; [unrolled: 6-line block ×3, first 2 shown]
	v_cndmask_b32_e32 v4, 0, v4, vcc
	v_cmp_lt_i32_e32 vcc, v45, v50
	v_cndmask_b32_e32 v5, 0, v19, vcc
	v_perm_b32 v18, v4, v5, s31
	s_branch .LBB323_618
.LBB323_1219:
	s_or_b64 exec, exec, s[12:13]
	v_accvgpr_read_b32 v26, a14
	v_accvgpr_read_b32 v27, a15
	;; [unrolled: 1-line block ×4, first 2 shown]
.LBB323_1220:
	s_or_b64 exec, exec, s[8:9]
	ds_bpermute_b32 v4, v27, v24
	ds_bpermute_b32 v5, v27, v25
	;; [unrolled: 1-line block ×6, first 2 shown]
	s_waitcnt lgkmcnt(0)
	v_pk_add_f32 v[4:5], v[24:25], v[4:5]
	ds_bpermute_b32 v10, v28, v4
	ds_bpermute_b32 v11, v28, v5
	v_pk_add_f32 v[16:17], v[20:21], v[6:7]
	ds_bpermute_b32 v18, v28, v16
	ds_bpermute_b32 v19, v28, v17
	s_waitcnt lgkmcnt(0)
	v_pk_add_f32 v[6:7], v[4:5], v[10:11]
	v_pk_add_f32 v[4:5], v[12:13], v[14:15]
	ds_bpermute_b32 v12, v27, v2
	ds_bpermute_b32 v13, v27, v3
	s_barrier
	s_waitcnt lgkmcnt(0)
	ds_bpermute_b32 v10, v27, v8
	ds_bpermute_b32 v11, v27, v9
	v_pk_add_f32 v[2:3], v[2:3], v[12:13]
	v_pk_add_f32 v[12:13], v[16:17], v[18:19]
	buffer_load_dword v16, off, s[0:3], s32 offset:356 ; 4-byte Folded Reload
	ds_bpermute_b32 v24, v27, v0
	ds_bpermute_b32 v25, v27, v1
	;; [unrolled: 1-line block ×4, first 2 shown]
	s_waitcnt lgkmcnt(0)
	v_pk_add_f32 v[8:9], v[8:9], v[10:11]
	ds_bpermute_b32 v20, v28, v8
	ds_bpermute_b32 v21, v28, v9
	;; [unrolled: 1-line block ×4, first 2 shown]
	v_pk_add_f32 v[0:1], v[0:1], v[24:25]
	v_pk_add_f32 v[10:11], v[4:5], v[14:15]
	ds_bpermute_b32 v14, v28, v0
	ds_bpermute_b32 v15, v28, v1
	s_waitcnt lgkmcnt(0)
	v_pk_add_f32 v[8:9], v[8:9], v[20:21]
	v_pk_add_f32 v[2:3], v[2:3], v[22:23]
	s_waitcnt vmcnt(0)
	v_and_b32_e32 v4, 0x3c3, v16
	v_cmp_ne_u32_e32 vcc, 64, v4
	s_and_saveexec_b64 s[4:5], vcc
	s_xor_b64 s[4:5], exec, s[4:5]
; %bb.1221:
                                        ; implicit-def: $vgpr26
; %bb.1222:
	s_or_saveexec_b64 s[4:5], s[4:5]
	v_pk_add_f32 v[0:1], v[0:1], v[14:15]
	s_xor_b64 exec, exec, s[4:5]
	s_cbranch_execz .LBB323_1224
; %bb.1223:
	s_ashr_i32 s19, s18, 31
	s_lshl_b64 s[8:9], s[18:19], 2
	s_getpc_b64 s[10:11]
	s_add_u32 s10, s10, llvm.amdgcn.dynlds.offset.table@rel32@lo+4
	s_addc_u32 s11, s11, llvm.amdgcn.dynlds.offset.table@rel32@hi+12
	s_add_u32 s8, s8, s10
	s_addc_u32 s9, s9, s11
	s_load_dword s7, s[8:9], 0x0
	s_waitcnt lgkmcnt(0)
	v_add_u32_e32 v5, s7, v26
	ds_write2_b32 v5, v6, v7 offset1:16
	ds_write2_b32 v5, v12, v13 offset0:32 offset1:48
	ds_write2_b32 v5, v10, v11 offset0:64 offset1:80
	;; [unrolled: 1-line block ×5, first 2 shown]
.LBB323_1224:
	s_or_b64 exec, exec, s[4:5]
	v_cmp_gt_u32_e32 vcc, 64, v16
	s_waitcnt lgkmcnt(0)
	s_barrier
	s_and_saveexec_b64 s[4:5], vcc
	s_cbranch_execz .LBB323_1239
; %bb.1225:
	v_cmp_eq_u32_e32 vcc, 0, v29
	v_lshrrev_b32_e32 v5, 2, v16
	s_and_saveexec_b64 s[8:9], vcc
	s_cbranch_execnz .LBB323_1242
; %bb.1226:
	s_or_b64 exec, exec, s[8:9]
	s_and_saveexec_b64 s[8:9], vcc
	s_cbranch_execnz .LBB323_1243
.LBB323_1227:
	s_or_b64 exec, exec, s[8:9]
	s_and_saveexec_b64 s[8:9], vcc
	s_cbranch_execnz .LBB323_1244
.LBB323_1228:
	s_or_b64 exec, exec, s[8:9]
	s_and_saveexec_b64 s[8:9], vcc
	s_cbranch_execnz .LBB323_1245
.LBB323_1229:
	s_or_b64 exec, exec, s[8:9]
	s_and_saveexec_b64 s[8:9], vcc
	s_cbranch_execnz .LBB323_1246
.LBB323_1230:
	s_or_b64 exec, exec, s[8:9]
	s_and_saveexec_b64 s[8:9], vcc
	s_cbranch_execnz .LBB323_1247
.LBB323_1231:
	s_or_b64 exec, exec, s[8:9]
	s_and_saveexec_b64 s[8:9], vcc
	s_cbranch_execnz .LBB323_1248
.LBB323_1232:
	s_or_b64 exec, exec, s[8:9]
	s_and_saveexec_b64 s[8:9], vcc
	s_cbranch_execnz .LBB323_1249
.LBB323_1233:
	s_or_b64 exec, exec, s[8:9]
	s_and_saveexec_b64 s[8:9], vcc
	s_cbranch_execnz .LBB323_1250
.LBB323_1234:
	s_or_b64 exec, exec, s[8:9]
	s_and_saveexec_b64 s[8:9], vcc
	s_cbranch_execnz .LBB323_1251
.LBB323_1235:
	s_or_b64 exec, exec, s[8:9]
	s_and_saveexec_b64 s[8:9], vcc
	s_cbranch_execnz .LBB323_1252
.LBB323_1236:
	s_or_b64 exec, exec, s[8:9]
	s_and_saveexec_b64 s[8:9], vcc
	s_cbranch_execz .LBB323_1238
.LBB323_1237:
	s_ashr_i32 s19, s18, 31
	s_lshl_b64 s[10:11], s[18:19], 2
	s_getpc_b64 s[12:13]
	s_add_u32 s12, s12, llvm.amdgcn.dynlds.offset.table@rel32@lo+4
	s_addc_u32 s13, s13, llvm.amdgcn.dynlds.offset.table@rel32@hi+12
	s_add_u32 s10, s10, s12
	s_addc_u32 s11, s11, s13
	s_load_dword s7, s[10:11], 0x0
	s_waitcnt lgkmcnt(0)
	v_lshl_add_u32 v5, v5, 2, s7
	ds_read_b32 v5, v5 offset:704
	s_waitcnt lgkmcnt(0)
	v_add_f32_e32 v1, v5, v1
.LBB323_1238:
	s_or_b64 exec, exec, s[8:9]
.LBB323_1239:
	s_or_b64 exec, exec, s[4:5]
	v_cmp_eq_u32_e32 vcc, 0, v4
	s_barrier
	s_and_b64 exec, exec, vcc
	s_cbranch_execz .LBB323_1241
; %bb.1240:
	buffer_load_dword v5, off, s[0:3], s32 offset:364 ; 4-byte Folded Reload
	buffer_load_dword v14, off, s[0:3], s32 offset:360 ; 4-byte Folded Reload
	s_mul_i32 s4, s6, 0xc0
	s_mul_i32 s6, s20, s21
	;; [unrolled: 1-line block ×3, first 2 shown]
	s_ashr_i32 s5, s4, 31
	s_ashr_i32 s7, s6, 31
	;; [unrolled: 1-line block ×3, first 2 shown]
	s_lshl_b64 s[4:5], s[4:5], 1
	s_lshl_b64 s[6:7], s[6:7], 1
	;; [unrolled: 1-line block ×3, first 2 shown]
	s_add_u32 s6, s8, s6
	s_addc_u32 s7, s9, s7
	s_add_u32 s4, s6, s4
	s_addc_u32 s5, s7, s5
	v_mov_b32_e32 v4, s5
	;;#ASMSTART
	v_cvt_f16_f32 v6, v6;

	;;#ASMEND
	s_waitcnt vmcnt(1)
	v_add_co_u32_e32 v5, vcc, s4, v5
	s_waitcnt vmcnt(0)
	v_addc_co_u32_e32 v14, vcc, v4, v14, vcc
	v_lshrrev_b32_e32 v4, 1, v16
	v_add_co_u32_e32 v4, vcc, v5, v4
	v_addc_co_u32_e32 v5, vcc, 0, v14, vcc
	flat_store_short v[4:5], v6
	;;#ASMSTART
	v_cvt_f16_f32 v6, v7;

	;;#ASMEND
	flat_store_short v[4:5], v6 offset:32
	;;#ASMSTART
	v_cvt_f16_f32 v6, v12;

	;;#ASMEND
	flat_store_short v[4:5], v6 offset:64
	;; [unrolled: 5-line block ×11, first 2 shown]
.LBB323_1241:
	s_or_b64 exec, exec, s[16:17]
	buffer_load_dword a63, off, s[0:3], s32 ; 4-byte Folded Reload
	buffer_load_dword a62, off, s[0:3], s32 offset:4 ; 4-byte Folded Reload
	buffer_load_dword a61, off, s[0:3], s32 offset:8 ; 4-byte Folded Reload
	;; [unrolled: 1-line block ×46, first 2 shown]
	v_readlane_b32 s30, v63, 6
	v_readlane_b32 s31, v63, 7
	;; [unrolled: 1-line block ×8, first 2 shown]
	s_or_saveexec_b64 s[4:5], -1
	buffer_load_dword v63, off, s[0:3], s32 offset:420 ; 4-byte Folded Reload
	s_mov_b64 exec, s[4:5]
	s_waitcnt vmcnt(0) lgkmcnt(0)
	s_setpc_b64 s[30:31]
.LBB323_1242:
	s_ashr_i32 s19, s18, 31
	s_lshl_b64 s[10:11], s[18:19], 2
	s_getpc_b64 s[12:13]
	s_add_u32 s12, s12, llvm.amdgcn.dynlds.offset.table@rel32@lo+4
	s_addc_u32 s13, s13, llvm.amdgcn.dynlds.offset.table@rel32@hi+12
	s_add_u32 s10, s10, s12
	s_addc_u32 s11, s11, s13
	s_load_dword s7, s[10:11], 0x0
	s_waitcnt lgkmcnt(0)
	v_lshl_add_u32 v14, v5, 2, s7
	ds_read_b32 v14, v14
	s_waitcnt lgkmcnt(0)
	v_add_f32_e32 v6, v14, v6
	s_or_b64 exec, exec, s[8:9]
	s_and_saveexec_b64 s[8:9], vcc
	s_cbranch_execz .LBB323_1227
.LBB323_1243:
	s_ashr_i32 s19, s18, 31
	s_lshl_b64 s[10:11], s[18:19], 2
	s_getpc_b64 s[12:13]
	s_add_u32 s12, s12, llvm.amdgcn.dynlds.offset.table@rel32@lo+4
	s_addc_u32 s13, s13, llvm.amdgcn.dynlds.offset.table@rel32@hi+12
	s_add_u32 s10, s10, s12
	s_addc_u32 s11, s11, s13
	s_load_dword s7, s[10:11], 0x0
	s_waitcnt lgkmcnt(0)
	v_lshl_add_u32 v14, v5, 2, s7
	ds_read_b32 v14, v14 offset:64
	s_waitcnt lgkmcnt(0)
	v_add_f32_e32 v7, v14, v7
	s_or_b64 exec, exec, s[8:9]
	s_and_saveexec_b64 s[8:9], vcc
	s_cbranch_execz .LBB323_1228
.LBB323_1244:
	s_ashr_i32 s19, s18, 31
	s_lshl_b64 s[10:11], s[18:19], 2
	s_getpc_b64 s[12:13]
	s_add_u32 s12, s12, llvm.amdgcn.dynlds.offset.table@rel32@lo+4
	s_addc_u32 s13, s13, llvm.amdgcn.dynlds.offset.table@rel32@hi+12
	s_add_u32 s10, s10, s12
	s_addc_u32 s11, s11, s13
	s_load_dword s7, s[10:11], 0x0
	s_waitcnt lgkmcnt(0)
	v_lshl_add_u32 v14, v5, 2, s7
	ds_read_b32 v14, v14 offset:128
	s_waitcnt lgkmcnt(0)
	v_add_f32_e32 v12, v14, v12
	s_or_b64 exec, exec, s[8:9]
	s_and_saveexec_b64 s[8:9], vcc
	s_cbranch_execz .LBB323_1229
.LBB323_1245:
	s_ashr_i32 s19, s18, 31
	s_lshl_b64 s[10:11], s[18:19], 2
	s_getpc_b64 s[12:13]
	s_add_u32 s12, s12, llvm.amdgcn.dynlds.offset.table@rel32@lo+4
	s_addc_u32 s13, s13, llvm.amdgcn.dynlds.offset.table@rel32@hi+12
	s_add_u32 s10, s10, s12
	s_addc_u32 s11, s11, s13
	s_load_dword s7, s[10:11], 0x0
	s_waitcnt lgkmcnt(0)
	v_lshl_add_u32 v14, v5, 2, s7
	ds_read_b32 v14, v14 offset:192
	s_waitcnt lgkmcnt(0)
	v_add_f32_e32 v13, v14, v13
	s_or_b64 exec, exec, s[8:9]
	s_and_saveexec_b64 s[8:9], vcc
	s_cbranch_execz .LBB323_1230
.LBB323_1246:
	s_ashr_i32 s19, s18, 31
	s_lshl_b64 s[10:11], s[18:19], 2
	s_getpc_b64 s[12:13]
	s_add_u32 s12, s12, llvm.amdgcn.dynlds.offset.table@rel32@lo+4
	s_addc_u32 s13, s13, llvm.amdgcn.dynlds.offset.table@rel32@hi+12
	s_add_u32 s10, s10, s12
	s_addc_u32 s11, s11, s13
	s_load_dword s7, s[10:11], 0x0
	s_waitcnt lgkmcnt(0)
	v_lshl_add_u32 v14, v5, 2, s7
	ds_read_b32 v14, v14 offset:256
	s_waitcnt lgkmcnt(0)
	v_add_f32_e32 v10, v14, v10
	s_or_b64 exec, exec, s[8:9]
	s_and_saveexec_b64 s[8:9], vcc
	s_cbranch_execz .LBB323_1231
.LBB323_1247:
	s_ashr_i32 s19, s18, 31
	s_lshl_b64 s[10:11], s[18:19], 2
	s_getpc_b64 s[12:13]
	s_add_u32 s12, s12, llvm.amdgcn.dynlds.offset.table@rel32@lo+4
	s_addc_u32 s13, s13, llvm.amdgcn.dynlds.offset.table@rel32@hi+12
	s_add_u32 s10, s10, s12
	s_addc_u32 s11, s11, s13
	s_load_dword s7, s[10:11], 0x0
	s_waitcnt lgkmcnt(0)
	v_lshl_add_u32 v14, v5, 2, s7
	ds_read_b32 v14, v14 offset:320
	s_waitcnt lgkmcnt(0)
	v_add_f32_e32 v11, v14, v11
	s_or_b64 exec, exec, s[8:9]
	s_and_saveexec_b64 s[8:9], vcc
	s_cbranch_execz .LBB323_1232
.LBB323_1248:
	s_ashr_i32 s19, s18, 31
	s_lshl_b64 s[10:11], s[18:19], 2
	s_getpc_b64 s[12:13]
	s_add_u32 s12, s12, llvm.amdgcn.dynlds.offset.table@rel32@lo+4
	s_addc_u32 s13, s13, llvm.amdgcn.dynlds.offset.table@rel32@hi+12
	s_add_u32 s10, s10, s12
	s_addc_u32 s11, s11, s13
	s_load_dword s7, s[10:11], 0x0
	s_waitcnt lgkmcnt(0)
	v_lshl_add_u32 v14, v5, 2, s7
	ds_read_b32 v14, v14 offset:384
	s_waitcnt lgkmcnt(0)
	v_add_f32_e32 v8, v14, v8
	s_or_b64 exec, exec, s[8:9]
	s_and_saveexec_b64 s[8:9], vcc
	s_cbranch_execz .LBB323_1233
.LBB323_1249:
	s_ashr_i32 s19, s18, 31
	s_lshl_b64 s[10:11], s[18:19], 2
	s_getpc_b64 s[12:13]
	s_add_u32 s12, s12, llvm.amdgcn.dynlds.offset.table@rel32@lo+4
	s_addc_u32 s13, s13, llvm.amdgcn.dynlds.offset.table@rel32@hi+12
	s_add_u32 s10, s10, s12
	s_addc_u32 s11, s11, s13
	s_load_dword s7, s[10:11], 0x0
	s_waitcnt lgkmcnt(0)
	v_lshl_add_u32 v14, v5, 2, s7
	ds_read_b32 v14, v14 offset:448
	s_waitcnt lgkmcnt(0)
	v_add_f32_e32 v9, v14, v9
	s_or_b64 exec, exec, s[8:9]
	s_and_saveexec_b64 s[8:9], vcc
	s_cbranch_execz .LBB323_1234
.LBB323_1250:
	s_ashr_i32 s19, s18, 31
	s_lshl_b64 s[10:11], s[18:19], 2
	s_getpc_b64 s[12:13]
	s_add_u32 s12, s12, llvm.amdgcn.dynlds.offset.table@rel32@lo+4
	s_addc_u32 s13, s13, llvm.amdgcn.dynlds.offset.table@rel32@hi+12
	s_add_u32 s10, s10, s12
	s_addc_u32 s11, s11, s13
	s_load_dword s7, s[10:11], 0x0
	s_waitcnt lgkmcnt(0)
	v_lshl_add_u32 v14, v5, 2, s7
	ds_read_b32 v14, v14 offset:512
	s_waitcnt lgkmcnt(0)
	v_add_f32_e32 v2, v14, v2
	s_or_b64 exec, exec, s[8:9]
	s_and_saveexec_b64 s[8:9], vcc
	s_cbranch_execz .LBB323_1235
.LBB323_1251:
	s_ashr_i32 s19, s18, 31
	s_lshl_b64 s[10:11], s[18:19], 2
	s_getpc_b64 s[12:13]
	s_add_u32 s12, s12, llvm.amdgcn.dynlds.offset.table@rel32@lo+4
	s_addc_u32 s13, s13, llvm.amdgcn.dynlds.offset.table@rel32@hi+12
	s_add_u32 s10, s10, s12
	s_addc_u32 s11, s11, s13
	s_load_dword s7, s[10:11], 0x0
	s_waitcnt lgkmcnt(0)
	v_lshl_add_u32 v14, v5, 2, s7
	ds_read_b32 v14, v14 offset:576
	s_waitcnt lgkmcnt(0)
	v_add_f32_e32 v3, v14, v3
	s_or_b64 exec, exec, s[8:9]
	s_and_saveexec_b64 s[8:9], vcc
	s_cbranch_execz .LBB323_1236
.LBB323_1252:
	s_ashr_i32 s19, s18, 31
	s_lshl_b64 s[10:11], s[18:19], 2
	s_getpc_b64 s[12:13]
	s_add_u32 s12, s12, llvm.amdgcn.dynlds.offset.table@rel32@lo+4
	s_addc_u32 s13, s13, llvm.amdgcn.dynlds.offset.table@rel32@hi+12
	s_add_u32 s10, s10, s12
	s_addc_u32 s11, s11, s13
	s_load_dword s7, s[10:11], 0x0
	s_waitcnt lgkmcnt(0)
	v_lshl_add_u32 v14, v5, 2, s7
	ds_read_b32 v14, v14 offset:640
	s_waitcnt lgkmcnt(0)
	v_add_f32_e32 v0, v14, v0
	s_or_b64 exec, exec, s[8:9]
	s_and_saveexec_b64 s[8:9], vcc
	s_cbranch_execnz .LBB323_1237
	s_branch .LBB323_1238
.Lfunc_end323:
	.size	_ZN4vllm22paged_attention_kernelIthLi192ELi32ELi128ELNS_18Fp8KVCacheDataTypeE1ELb0ELi512EEEvPfS2_PT_PKS3_PKT0_S9_ifPKiSB_iPKfiiiSD_SD_iiiii, .Lfunc_end323-_ZN4vllm22paged_attention_kernelIthLi192ELi32ELi128ELNS_18Fp8KVCacheDataTypeE1ELb0ELi512EEEvPfS2_PT_PKS3_PKT0_S9_ifPKiSB_iPKfiiiSD_SD_iiiii
                                        ; -- End function
	.section	.AMDGPU.csdata,"",@progbits
; Function info:
; codeLenInByte = 53292
; NumSgprs: 44
; NumVgprs: 64
; NumAgprs: 64
; TotalNumVgprs: 128
; ScratchSize: 428
; MemoryBound: 0
	.section	.text._ZN4vllm25paged_attention_v2_kernelIthLi192ELi32ELi128ELNS_18Fp8KVCacheDataTypeE1ELb0ELi512EEEvPfS2_PT_PKS3_PKT0_S9_ifPKiSB_iPKfiiiSD_SD_iiiii,"axG",@progbits,_ZN4vllm25paged_attention_v2_kernelIthLi192ELi32ELi128ELNS_18Fp8KVCacheDataTypeE1ELb0ELi512EEEvPfS2_PT_PKS3_PKT0_S9_ifPKiSB_iPKfiiiSD_SD_iiiii,comdat
	.protected	_ZN4vllm25paged_attention_v2_kernelIthLi192ELi32ELi128ELNS_18Fp8KVCacheDataTypeE1ELb0ELi512EEEvPfS2_PT_PKS3_PKT0_S9_ifPKiSB_iPKfiiiSD_SD_iiiii ; -- Begin function _ZN4vllm25paged_attention_v2_kernelIthLi192ELi32ELi128ELNS_18Fp8KVCacheDataTypeE1ELb0ELi512EEEvPfS2_PT_PKS3_PKT0_S9_ifPKiSB_iPKfiiiSD_SD_iiiii
	.globl	_ZN4vllm25paged_attention_v2_kernelIthLi192ELi32ELi128ELNS_18Fp8KVCacheDataTypeE1ELb0ELi512EEEvPfS2_PT_PKS3_PKT0_S9_ifPKiSB_iPKfiiiSD_SD_iiiii
	.p2align	8
	.type	_ZN4vllm25paged_attention_v2_kernelIthLi192ELi32ELi128ELNS_18Fp8KVCacheDataTypeE1ELb0ELi512EEEvPfS2_PT_PKS3_PKT0_S9_ifPKiSB_iPKfiiiSD_SD_iiiii,@function
_ZN4vllm25paged_attention_v2_kernelIthLi192ELi32ELi128ELNS_18Fp8KVCacheDataTypeE1ELb0ELi512EEEvPfS2_PT_PKS3_PKT0_S9_ifPKiSB_iPKfiiiSD_SD_iiiii: ; @_ZN4vllm25paged_attention_v2_kernelIthLi192ELi32ELi128ELNS_18Fp8KVCacheDataTypeE1ELb0ELi512EEEvPfS2_PT_PKS3_PKT0_S9_ifPKiSB_iPKfiiiSD_SD_iiiii
; %bb.0:
	s_add_u32 flat_scratch_lo, s6, s11
	s_addc_u32 flat_scratch_hi, s7, 0
	s_add_u32 s0, s0, s11
	s_load_dwordx8 s[24:31], s[4:5], 0x0
	s_load_dwordx8 s[16:23], s[4:5], 0x20
	s_load_dwordx2 s[6:7], s[4:5], 0x40
	s_load_dwordx2 s[34:35], s[4:5], 0x50
	s_load_dword s11, s[4:5], 0x48
	s_load_dwordx8 s[36:43], s[4:5], 0x58
	s_addc_u32 s1, s1, 0
	s_mov_b32 s12, s8
	s_add_u32 s8, s4, 0x90
	s_mov_b32 s13, s9
	s_addc_u32 s9, s5, 0
	s_mov_b32 s14, s10
	s_mov_b32 s15, 48
	v_mov_b32_e32 v31, v0
	s_waitcnt lgkmcnt(0)
	v_mov_b32_e32 v0, s24
	v_mov_b32_e32 v1, s25
	;; [unrolled: 1-line block ×28, first 2 shown]
	s_mov_b32 s32, 0
	s_getpc_b64 s[4:5]
	s_add_u32 s4, s4, _ZN4vllm22paged_attention_kernelIthLi192ELi32ELi128ELNS_18Fp8KVCacheDataTypeE1ELb0ELi512EEEvPfS2_PT_PKS3_PKT0_S9_ifPKiSB_iPKfiiiSD_SD_iiiii@rel32@lo+4
	s_addc_u32 s5, s5, _ZN4vllm22paged_attention_kernelIthLi192ELi32ELi128ELNS_18Fp8KVCacheDataTypeE1ELb0ELi512EEEvPfS2_PT_PKS3_PKT0_S9_ifPKiSB_iPKfiiiSD_SD_iiiii@rel32@hi+12
	s_swappc_b64 s[30:31], s[4:5]
	s_endpgm
	.section	.rodata,"a",@progbits
	.p2align	6, 0x0
	.amdhsa_kernel _ZN4vllm25paged_attention_v2_kernelIthLi192ELi32ELi128ELNS_18Fp8KVCacheDataTypeE1ELb0ELi512EEEvPfS2_PT_PKS3_PKT0_S9_ifPKiSB_iPKfiiiSD_SD_iiiii
		.amdhsa_group_segment_fixed_size 400
		.amdhsa_private_segment_fixed_size 428
		.amdhsa_kernarg_size 400
		.amdhsa_user_sgpr_count 8
		.amdhsa_user_sgpr_private_segment_buffer 1
		.amdhsa_user_sgpr_dispatch_ptr 0
		.amdhsa_user_sgpr_queue_ptr 0
		.amdhsa_user_sgpr_kernarg_segment_ptr 1
		.amdhsa_user_sgpr_dispatch_id 0
		.amdhsa_user_sgpr_flat_scratch_init 1
		.amdhsa_user_sgpr_kernarg_preload_length 0
		.amdhsa_user_sgpr_kernarg_preload_offset 0
		.amdhsa_user_sgpr_private_segment_size 0
		.amdhsa_uses_dynamic_stack 0
		.amdhsa_system_sgpr_private_segment_wavefront_offset 1
		.amdhsa_system_sgpr_workgroup_id_x 1
		.amdhsa_system_sgpr_workgroup_id_y 1
		.amdhsa_system_sgpr_workgroup_id_z 1
		.amdhsa_system_sgpr_workgroup_info 0
		.amdhsa_system_vgpr_workitem_id 0
		.amdhsa_next_free_vgpr 128
		.amdhsa_next_free_sgpr 44
		.amdhsa_accum_offset 64
		.amdhsa_reserve_vcc 1
		.amdhsa_reserve_flat_scratch 1
		.amdhsa_float_round_mode_32 0
		.amdhsa_float_round_mode_16_64 0
		.amdhsa_float_denorm_mode_32 3
		.amdhsa_float_denorm_mode_16_64 3
		.amdhsa_dx10_clamp 1
		.amdhsa_ieee_mode 1
		.amdhsa_fp16_overflow 0
		.amdhsa_tg_split 0
		.amdhsa_exception_fp_ieee_invalid_op 0
		.amdhsa_exception_fp_denorm_src 0
		.amdhsa_exception_fp_ieee_div_zero 0
		.amdhsa_exception_fp_ieee_overflow 0
		.amdhsa_exception_fp_ieee_underflow 0
		.amdhsa_exception_fp_ieee_inexact 0
		.amdhsa_exception_int_div_zero 0
	.end_amdhsa_kernel
	.section	.text._ZN4vllm25paged_attention_v2_kernelIthLi192ELi32ELi128ELNS_18Fp8KVCacheDataTypeE1ELb0ELi512EEEvPfS2_PT_PKS3_PKT0_S9_ifPKiSB_iPKfiiiSD_SD_iiiii,"axG",@progbits,_ZN4vllm25paged_attention_v2_kernelIthLi192ELi32ELi128ELNS_18Fp8KVCacheDataTypeE1ELb0ELi512EEEvPfS2_PT_PKS3_PKT0_S9_ifPKiSB_iPKfiiiSD_SD_iiiii,comdat
.Lfunc_end324:
	.size	_ZN4vllm25paged_attention_v2_kernelIthLi192ELi32ELi128ELNS_18Fp8KVCacheDataTypeE1ELb0ELi512EEEvPfS2_PT_PKS3_PKT0_S9_ifPKiSB_iPKfiiiSD_SD_iiiii, .Lfunc_end324-_ZN4vllm25paged_attention_v2_kernelIthLi192ELi32ELi128ELNS_18Fp8KVCacheDataTypeE1ELb0ELi512EEEvPfS2_PT_PKS3_PKT0_S9_ifPKiSB_iPKfiiiSD_SD_iiiii
                                        ; -- End function
	.section	.AMDGPU.csdata,"",@progbits
; Kernel info:
; codeLenInByte = 244
; NumSgprs: 50
; NumVgprs: 64
; NumAgprs: 64
; TotalNumVgprs: 128
; ScratchSize: 428
; MemoryBound: 0
; FloatMode: 240
; IeeeMode: 1
; LDSByteSize: 400 bytes/workgroup (compile time only)
; SGPRBlocks: 6
; VGPRBlocks: 15
; NumSGPRsForWavesPerEU: 50
; NumVGPRsForWavesPerEU: 128
; AccumOffset: 64
; Occupancy: 4
; WaveLimiterHint : 1
; COMPUTE_PGM_RSRC2:SCRATCH_EN: 1
; COMPUTE_PGM_RSRC2:USER_SGPR: 8
; COMPUTE_PGM_RSRC2:TRAP_HANDLER: 0
; COMPUTE_PGM_RSRC2:TGID_X_EN: 1
; COMPUTE_PGM_RSRC2:TGID_Y_EN: 1
; COMPUTE_PGM_RSRC2:TGID_Z_EN: 1
; COMPUTE_PGM_RSRC2:TIDIG_COMP_CNT: 0
; COMPUTE_PGM_RSRC3_GFX90A:ACCUM_OFFSET: 15
; COMPUTE_PGM_RSRC3_GFX90A:TG_SPLIT: 0
	.text
	.p2align	2                               ; -- Begin function _ZN4vllm22paged_attention_kernelIthLi256ELi32ELi128ELNS_18Fp8KVCacheDataTypeE1ELb0ELi512EEEvPfS2_PT_PKS3_PKT0_S9_ifPKiSB_iPKfiiiSD_SD_iiiii
	.type	_ZN4vllm22paged_attention_kernelIthLi256ELi32ELi128ELNS_18Fp8KVCacheDataTypeE1ELb0ELi512EEEvPfS2_PT_PKS3_PKT0_S9_ifPKiSB_iPKfiiiSD_SD_iiiii,@function
_ZN4vllm22paged_attention_kernelIthLi256ELi32ELi128ELNS_18Fp8KVCacheDataTypeE1ELb0ELi512EEEvPfS2_PT_PKS3_PKT0_S9_ifPKiSB_iPKfiiiSD_SD_iiiii: ; @_ZN4vllm22paged_attention_kernelIthLi256ELi32ELi128ELNS_18Fp8KVCacheDataTypeE1ELb0ELi512EEEvPfS2_PT_PKS3_PKT0_S9_ifPKiSB_iPKfiiiSD_SD_iiiii
; %bb.0:
	s_waitcnt vmcnt(0) expcnt(0) lgkmcnt(0)
	s_or_saveexec_b64 s[4:5], -1
	buffer_store_dword v63, off, s[0:3], s32 offset:692 ; 4-byte Folded Spill
	s_mov_b64 exec, s[4:5]
	buffer_store_dword v40, off, s[0:3], s32 offset:184 ; 4-byte Folded Spill
	buffer_store_dword v41, off, s[0:3], s32 offset:180 ; 4-byte Folded Spill
	;; [unrolled: 1-line block ×46, first 2 shown]
	buffer_store_dword a63, off, s[0:3], s32 ; 4-byte Folded Spill
	v_writelane_b32 v63, s34, 0
	v_writelane_b32 v63, s35, 1
	;; [unrolled: 1-line block ×10, first 2 shown]
	s_mov_b32 s24, s13
	s_ashr_i32 s25, s13, 31
	buffer_store_dword v26, off, s[0:3], s32 offset:188 ; 4-byte Folded Spill
	s_nop 0
	buffer_store_dword v27, off, s[0:3], s32 offset:192 ; 4-byte Folded Spill
	buffer_store_dword v24, off, s[0:3], s32 offset:576 ; 4-byte Folded Spill
	s_nop 0
	buffer_store_dword v25, off, s[0:3], s32 offset:580 ; 4-byte Folded Spill
	;; [unrolled: 3-line block ×3, first 2 shown]
	s_lshl_b64 s[4:5], s[24:25], 2
	v_mov_b32_e32 v24, v1
	v_mov_b32_e32 v25, v0
	;; [unrolled: 1-line block ×3, first 2 shown]
	v_add_co_u32_e32 v0, vcc, s4, v16
	buffer_store_dword v15, off, s[0:3], s32 offset:616 ; 4-byte Folded Spill
	buffer_store_dword v14, off, s[0:3], s32 offset:620 ; 4-byte Folded Spill
	buffer_store_dword v13, off, s[0:3], s32 offset:608 ; 4-byte Folded Spill
	buffer_store_dword v5, off, s[0:3], s32 offset:628 ; 4-byte Folded Spill
	buffer_store_dword v4, off, s[0:3], s32 offset:632 ; 4-byte Folded Spill
	v_addc_co_u32_e32 v1, vcc, v17, v1, vcc
	flat_load_dword v0, v[0:1]
	s_lshl_b32 s25, s14, 9
	v_mov_b32_e32 v29, v20
	v_mov_b32_e32 v28, v19
	v_mov_b32_e32 v26, v3
	v_mov_b32_e32 v27, v2
	s_waitcnt vmcnt(0) lgkmcnt(0)
	v_mov_b32_e32 v2, v0
	v_cmp_lt_i32_e32 vcc, s25, v0
	buffer_store_dword v2, off, s[0:3], s32 offset:196 ; 4-byte Folded Spill
	s_nop 0
	buffer_store_dword v3, off, s[0:3], s32 offset:200 ; 4-byte Folded Spill
	s_and_saveexec_b64 s[18:19], vcc
	s_cbranch_execz .LBB325_1637
; %bb.1:
	v_sub_u32_e32 v0, 0, v12
	v_max_i32_e32 v0, v12, v0
	v_cvt_f32_u32_e32 v1, v0
	s_load_dword s4, s[8:9], 0x10
	s_load_dword s6, s[8:9], 0x0
	v_sub_u32_e32 v3, 0, v0
	s_mov_b32 s20, s15
	v_rcp_iflag_f32_e32 v1, v1
	s_waitcnt lgkmcnt(0)
	s_lshr_b32 s4, s4, 16
	s_cmp_lg_u32 s4, 0
	s_cselect_b64 s[4:5], -1, 0
	v_mul_f32_e32 v1, 0x4f7ffffe, v1
	v_cvt_u32_f32_e32 v1, v1
	s_cmp_lg_u64 s[4:5], 0
	s_addc_u32 s15, s6, 0
	s_abs_i32 s4, s15
	v_mul_lo_u32 v3, v3, v1
	v_mul_hi_u32 v3, v1, v3
	v_add_u32_e32 v1, v1, v3
	v_mul_hi_u32 v1, s4, v1
	v_mul_lo_u32 v3, v1, v0
	v_sub_u32_e32 v3, s4, v3
	v_add_u32_e32 v4, 1, v1
	v_cmp_ge_u32_e32 vcc, v3, v0
	v_cndmask_b32_e32 v1, v1, v4, vcc
	v_sub_u32_e32 v4, v3, v0
	v_cndmask_b32_e32 v3, v3, v4, vcc
	v_xor_b32_e32 v2, s15, v12
	v_add_u32_e32 v4, 1, v1
	v_cmp_ge_u32_e32 vcc, v3, v0
	v_ashrrev_i32_e32 v2, 31, v2
	v_cndmask_b32_e32 v0, v1, v4, vcc
	v_xor_b32_e32 v0, v0, v2
	v_sub_u32_e32 v1, v0, v2
	v_sub_u32_e32 v0, 0, v1
	v_max_i32_e32 v0, v1, v0
	v_cvt_f32_u32_e32 v2, v0
	v_sub_u32_e32 v3, 0, v0
	s_abs_i32 s10, s12
	v_cmp_ne_u64_e32 vcc, 0, v[28:29]
	v_rcp_iflag_f32_e32 v2, v2
	v_mul_f32_e32 v2, 0x4f7ffffe, v2
	v_cvt_u32_f32_e32 v2, v2
	v_mul_lo_u32 v3, v3, v2
	v_mul_hi_u32 v3, v2, v3
	v_add_u32_e32 v2, v2, v3
	v_mad_u64_u32 v[32:33], s[4:5], s10, v2, 0
	v_mov_b32_e32 v2, 0
	buffer_store_dword v2, off, s[0:3], s32 offset:604 ; 4-byte Folded Spill
	s_and_saveexec_b64 s[4:5], vcc
	s_cbranch_execz .LBB325_3
; %bb.2:
	s_ashr_i32 s13, s12, 31
	s_lshl_b64 s[6:7], s[12:13], 2
	v_mov_b32_e32 v3, s7
	v_add_co_u32_e32 v2, vcc, s6, v28
	v_addc_co_u32_e32 v3, vcc, v29, v3, vcc
	flat_load_dword v2, v[2:3]
	s_waitcnt vmcnt(0) lgkmcnt(0)
	buffer_store_dword v2, off, s[0:3], s32 offset:604 ; 4-byte Folded Spill
.LBB325_3:
	s_or_b64 exec, exec, s[4:5]
	v_and_b32_e32 v20, 0x3ff, v31
	s_ashr_i32 s11, s12, 31
	v_ashrrev_i32_e32 v2, 31, v1
	v_and_b32_e32 v1, 1, v20
	s_lshl_b32 s22, s12, 8
	v_cmp_gt_u32_e64 s[4:5], 64, v20
	v_lshlrev_b32_e32 v32, 3, v20
	s_and_saveexec_b64 s[6:7], s[4:5]
	s_cbranch_execz .LBB325_5
; %bb.4:
	v_mul_lo_u32 v4, s24, v21
	v_ashrrev_i32_e32 v5, 31, v4
	v_lshlrev_b64 v[4:5], 1, v[4:5]
	v_add_co_u32_e32 v3, vcc, v6, v4
	s_ashr_i32 s23, s22, 31
	v_addc_co_u32_e32 v4, vcc, v7, v5, vcc
	s_lshl_b64 s[16:17], s[22:23], 1
	v_mov_b32_e32 v5, s17
	v_add_co_u32_e32 v3, vcc, s16, v3
	v_addc_co_u32_e32 v5, vcc, v4, v5, vcc
	v_add_co_u32_e32 v4, vcc, v3, v32
	v_addc_co_u32_e32 v5, vcc, 0, v5, vcc
	flat_load_dwordx2 v[4:5], v[4:5]
	v_lshlrev_b32_e32 v3, 2, v20
	v_and_b32_e32 v3, 0xff8, v3
	v_lshl_add_u32 v3, v1, 8, v3
	s_waitcnt vmcnt(0) lgkmcnt(0)
	ds_write_b64 v3, v[4:5]
.LBB325_5:
	s_or_b64 exec, exec, s[6:7]
	buffer_load_dword v4, off, s[0:3], s32 offset:196 ; 4-byte Folded Reload
	buffer_load_dword v5, off, s[0:3], s32 offset:200 ; 4-byte Folded Reload
	s_lshl_b32 s23, s14, 4
	v_xor_b32_e32 v2, s11, v2
	s_add_i32 s6, s23, 16
	v_lshrrev_b32_e32 v34, 6, v20
	v_mul_lo_u32 v18, s24, v18
	v_ashrrev_i32_e32 v19, 31, v18
	s_waitcnt lgkmcnt(0)
	s_barrier
	s_waitcnt lgkmcnt(0)
                                        ; implicit-def: $sgpr21
	s_waitcnt vmcnt(1)
	v_add_u32_e32 v3, 31, v4
	v_ashrrev_i32_e32 v4, 31, v3
	v_lshrrev_b32_e32 v4, 27, v4
	v_add_u32_e32 v3, v3, v4
	v_ashrrev_i32_e32 v35, 5, v3
	v_mul_lo_u32 v3, v33, v0
	v_sub_u32_e32 v3, s10, v3
	v_add_u32_e32 v4, 1, v33
	v_cmp_ge_u32_e32 vcc, v3, v0
	s_waitcnt vmcnt(0)
	v_sub_u32_e32 v5, v3, v0
	v_cndmask_b32_e32 v4, v33, v4, vcc
	v_cndmask_b32_e32 v3, v3, v5, vcc
	v_add_u32_e32 v5, 1, v4
	v_cmp_ge_u32_e32 vcc, v3, v0
	v_cndmask_b32_e32 v0, v4, v5, vcc
	v_xor_b32_e32 v0, v0, v2
	v_min_i32_e32 v6, s6, v35
	v_sub_u32_e32 v3, v0, v2
	v_or_b32_e32 v0, s23, v34
	v_cmp_lt_i32_e64 s[6:7], v0, v6
	v_mov_b32_e32 v4, v0
	v_cmp_ge_i32_e32 vcc, v0, v6
	v_mbcnt_lo_u32_b32 v2, -1, 0
                                        ; implicit-def: $vgpr0
	buffer_store_dword v6, off, s[0:3], s32 offset:508 ; 4-byte Folded Spill
                                        ; kill: killed $vgpr0
                                        ; implicit-def: $vgpr0
	s_and_saveexec_b64 s[10:11], vcc
	s_xor_b64 s[10:11], exec, s[10:11]
	s_cbranch_execz .LBB325_7
; %bb.6:
	v_mbcnt_hi_u32_b32 v0, -1, v2
	buffer_store_dword v0, off, s[0:3], s32 offset:568 ; 4-byte Folded Spill
	v_and_b32_e32 v0, 64, v0
                                        ; implicit-def: $vgpr1
                                        ; implicit-def: $vgpr2
	v_add_u32_e32 v0, 64, v0
	s_mov_b32 s21, 0xff7fffff
                                        ; kill: killed $vgpr1
                                        ; implicit-def: $vgpr1
	buffer_store_dword v2, off, s[0:3], s32 offset:576 ; 4-byte Folded Spill
	s_nop 0
	buffer_store_dword v3, off, s[0:3], s32 offset:580 ; 4-byte Folded Spill
                                        ; kill: killed $vgpr1
                                        ; implicit-def: $vgpr8
                                        ; implicit-def: $vgpr9
                                        ; implicit-def: $vgpr1
                                        ; implicit-def: $vgpr2
.LBB325_7:
	s_or_saveexec_b64 s[16:17], s[10:11]
	s_load_dword s38, s[8:9], 0x14
	s_load_dword s13, s[8:9], 0x8
	v_mov_b32_e32 v5, s21
	buffer_store_dword v5, off, s[0:3], s32 offset:572 ; 4-byte Folded Spill
	v_mul_lo_u32 v3, v3, v23
	v_ashrrev_i32_e32 v5, 31, v4
	buffer_store_dword v4, off, s[0:3], s32 offset:204 ; 4-byte Folded Spill
	s_nop 0
	buffer_store_dword v5, off, s[0:3], s32 offset:208 ; 4-byte Folded Spill
	buffer_store_dword v3, off, s[0:3], s32 offset:652 ; 4-byte Folded Spill
	v_ashrrev_i32_e32 v3, 31, v3
	buffer_store_dword v3, off, s[0:3], s32 offset:648 ; 4-byte Folded Spill
	v_lshlrev_b64 v[4:5], 2, v[18:19]
	v_lshlrev_b32_e32 v3, 5, v34
	buffer_store_dword v4, off, s[0:3], s32 offset:640 ; 4-byte Folded Spill
	s_nop 0
	buffer_store_dword v5, off, s[0:3], s32 offset:644 ; 4-byte Folded Spill
	buffer_store_dword v3, off, s[0:3], s32 offset:636 ; 4-byte Folded Spill
	;; [unrolled: 1-line block ×3, first 2 shown]
	s_xor_b64 exec, exec, s[16:17]
	s_cbranch_execz .LBB325_781
; %bb.8:
	buffer_store_dword v35, off, s[0:3], s32 offset:656 ; 4-byte Folded Spill
	buffer_store_dword v32, off, s[0:3], s32 offset:660 ; 4-byte Folded Spill
	;; [unrolled: 1-line block ×8, first 2 shown]
	buffer_load_dword v0, off, s[0:3], s32 offset:652 ; 4-byte Folded Reload
	buffer_load_dword v4, off, s[0:3], s32 offset:648 ; 4-byte Folded Reload
	v_bfe_u32 v3, v20, 1, 5
	v_lshlrev_b32_e32 v5, 4, v3
	s_ashr_i32 s21, s20, 31
	s_lshl_b64 s[26:27], s[20:21], 2
	s_getpc_b64 s[28:29]
	s_add_u32 s28, s28, llvm.amdgcn.dynlds.offset.table@rel32@lo+4
	s_addc_u32 s29, s29, llvm.amdgcn.dynlds.offset.table@rel32@hi+12
	s_add_u32 s26, s26, s28
	v_mov_b32_e32 v35, 0
	s_addc_u32 s27, s27, s29
	s_mov_b64 s[28:29], 0
	s_movk_i32 s21, 0x80
	s_movk_i32 s39, 0x7f
	s_mov_b32 s40, 0x8000
	s_mov_b32 s41, 0xffffff
	s_waitcnt vmcnt(1)
	v_add_co_u32_e32 v0, vcc, v8, v0
	s_waitcnt vmcnt(0)
	v_addc_co_u32_e32 v4, vcc, v9, v4, vcc
	v_add_co_u32_e32 v6, vcc, v0, v5
	v_addc_co_u32_e32 v7, vcc, 0, v4, vcc
	v_lshlrev_b32_e32 v0, 2, v1
	buffer_store_dword v6, off, s[0:3], s32 offset:588 ; 4-byte Folded Spill
	s_nop 0
	buffer_store_dword v7, off, s[0:3], s32 offset:592 ; 4-byte Folded Spill
	buffer_store_dword v0, off, s[0:3], s32 offset:596 ; 4-byte Folded Spill
	s_nop 0
	buffer_store_dword v1, off, s[0:3], s32 offset:600 ; 4-byte Folded Spill
	v_lshlrev_b32_e32 v0, 8, v1
	buffer_store_dword v0, off, s[0:3], s32 offset:584 ; 4-byte Folded Spill
	buffer_load_dword v0, off, s[0:3], s32 offset:604 ; 4-byte Folded Reload
	s_nop 0
	buffer_load_dword v4, off, s[0:3], s32 offset:204 ; 4-byte Folded Reload
	buffer_load_dword v5, off, s[0:3], s32 offset:208 ; 4-byte Folded Reload
	buffer_load_dword v6, off, s[0:3], s32 offset:640 ; 4-byte Folded Reload
	buffer_load_dword v7, off, s[0:3], s32 offset:644 ; 4-byte Folded Reload
	v_cmp_eq_u32_e64 s[8:9], 0, v1
	s_waitcnt vmcnt(4)
	v_cmp_neq_f32_e64 s[10:11], 0, v0
	s_waitcnt vmcnt(2)
	v_lshlrev_b64 v[0:1], 2, v[4:5]
	buffer_load_dword v5, off, s[0:3], s32 offset:620 ; 4-byte Folded Reload
	s_waitcnt vmcnt(2)
	v_add_co_u32_e32 v0, vcc, v6, v0
	s_waitcnt vmcnt(1)
	v_addc_co_u32_e32 v1, vcc, v7, v1, vcc
	v_mov_b32_e32 v8, v4
	s_waitcnt vmcnt(0)
	v_add_co_u32_e32 v6, vcc, v5, v0
	buffer_load_dword v0, off, s[0:3], s32 offset:616 ; 4-byte Folded Reload
	s_waitcnt vmcnt(0)
	v_addc_co_u32_e32 v7, vcc, v0, v1, vcc
	buffer_load_dword v0, off, s[0:3], s32 offset:196 ; 4-byte Folded Reload
	buffer_load_dword v1, off, s[0:3], s32 offset:200 ; 4-byte Folded Reload
	s_waitcnt vmcnt(1)
	v_sub_u32_e32 v0, 1, v0
	buffer_store_dword v0, off, s[0:3], s32 offset:612 ; 4-byte Folded Spill
	buffer_load_dword v0, off, s[0:3], s32 offset:636 ; 4-byte Folded Reload
	s_waitcnt vmcnt(0)
	v_add3_u32 v0, s25, v0, v3
	buffer_store_dword v0, off, s[0:3], s32 offset:500 ; 4-byte Folded Spill
	v_lshlrev_b32_e32 v0, 2, v3
	v_lshl_or_b32 v0, v34, 7, v0
	buffer_store_dword v0, off, s[0:3], s32 offset:504 ; 4-byte Folded Spill
	v_mov_b32_e32 v0, 0xff7fffff
	buffer_store_dword v0, off, s[0:3], s32 offset:572 ; 4-byte Folded Spill
	v_mbcnt_hi_u32_b32 v0, -1, v2
	buffer_store_dword v34, off, s[0:3], s32 offset:664 ; 4-byte Folded Spill
	buffer_store_dword v0, off, s[0:3], s32 offset:568 ; 4-byte Folded Spill
	s_branch .LBB325_10
.LBB325_9:                              ;   in Loop: Header=BB325_10 Depth=1
	s_or_b64 exec, exec, s[30:31]
	buffer_load_dword v6, off, s[0:3], s32 offset:520 ; 4-byte Folded Reload
	buffer_load_dword v7, off, s[0:3], s32 offset:524 ; 4-byte Folded Reload
	;; [unrolled: 1-line block ×3, first 2 shown]
	s_waitcnt vmcnt(3)
	v_add_u32_e32 v8, 2, v8
	s_waitcnt vmcnt(2)
	v_add_co_u32_e32 v6, vcc, 8, v6
	s_waitcnt vmcnt(0)
	v_add_u32_e32 v1, 64, v1
	buffer_store_dword v1, off, s[0:3], s32 offset:500 ; 4-byte Folded Spill
	buffer_load_dword v1, off, s[0:3], s32 offset:508 ; 4-byte Folded Reload
	v_addc_co_u32_e32 v7, vcc, 0, v7, vcc
	s_waitcnt vmcnt(0)
	v_cmp_ge_i32_e32 vcc, v8, v1
	buffer_load_dword v1, off, s[0:3], s32 offset:504 ; 4-byte Folded Reload
	s_or_b64 s[28:29], vcc, s[28:29]
	s_waitcnt vmcnt(0)
	v_add_u32_e32 v1, 0x100, v1
	buffer_store_dword v1, off, s[0:3], s32 offset:504 ; 4-byte Folded Spill
	s_andn2_b64 exec, exec, s[28:29]
	s_cbranch_execz .LBB325_780
.LBB325_10:                             ; =>This Inner Loop Header: Depth=1
	buffer_store_dword v8, off, s[0:3], s32 offset:528 ; 4-byte Folded Spill
	buffer_store_dword v6, off, s[0:3], s32 offset:520 ; 4-byte Folded Spill
	s_nop 0
	buffer_store_dword v7, off, s[0:3], s32 offset:524 ; 4-byte Folded Spill
	v_mov_b32_e32 v60, 0
	flat_load_dword v0, v[6:7]
	buffer_load_dword v4, off, s[0:3], s32 offset:588 ; 4-byte Folded Reload
	buffer_load_dword v5, off, s[0:3], s32 offset:592 ; 4-byte Folded Reload
	s_waitcnt lgkmcnt(0)
	buffer_load_dword v2, off, s[0:3], s32 offset:512 ; 4-byte Folded Reload
	buffer_load_dword v3, off, s[0:3], s32 offset:516 ; 4-byte Folded Reload
	s_waitcnt vmcnt(0) lgkmcnt(0)
	v_mad_i64_i32 v[0:1], vcc, v0, v2, v[4:5]
	buffer_load_dword v2, off, s[0:3], s32 offset:596 ; 4-byte Folded Reload
	buffer_load_dword v3, off, s[0:3], s32 offset:600 ; 4-byte Folded Reload
	s_waitcnt vmcnt(1)
	v_add_co_u32_e32 v28, vcc, v0, v2
	v_addc_co_u32_e32 v29, vcc, 0, v1, vcc
	flat_load_dword v30, v[28:29]
	buffer_load_dword v0, off, s[0:3], s32 offset:576 ; 4-byte Folded Reload
	buffer_load_dword v1, off, s[0:3], s32 offset:580 ; 4-byte Folded Reload
	s_waitcnt vmcnt(0) lgkmcnt(0)
	v_cmp_ne_u16_sdwa vcc, v30, v35 src0_sel:BYTE_0 src1_sel:DWORD
	flat_load_dword v4, v[0:1]
	s_and_saveexec_b64 s[30:31], vcc
	s_cbranch_execz .LBB325_16
; %bb.11:                               ;   in Loop: Header=BB325_10 Depth=1
	v_cmp_ne_u16_sdwa vcc, v30, s21 src0_sel:BYTE_0 src1_sel:DWORD
	v_bfrev_b32_e32 v60, 1
	s_and_saveexec_b64 s[34:35], vcc
	s_cbranch_execz .LBB325_15
; %bb.12:                               ;   in Loop: Header=BB325_10 Depth=1
	v_and_b32_e32 v0, 0x7f, v30
	v_cmp_ne_u32_e32 vcc, s39, v0
	v_mov_b32_e32 v60, 0x7fc02000
	s_and_saveexec_b64 s[36:37], vcc
	s_cbranch_execz .LBB325_14
; %bb.13:                               ;   in Loop: Header=BB325_10 Depth=1
	v_and_b32_e32 v1, 7, v30
	v_ffbh_u32_e32 v2, v1
	v_min_u32_e32 v6, 32, v2
	v_subrev_u32_e32 v2, 28, v6
	v_lshlrev_b64 v[2:3], v2, v[30:31]
	v_lshrrev_b32_e32 v5, 3, v0
	v_sub_u32_e32 v3, 29, v6
	v_cmp_gt_u32_e32 vcc, 8, v0
	v_and_b32_e32 v2, 7, v2
	v_cndmask_b32_e32 v0, v5, v3, vcc
	v_mov_b32_e32 v3, 0x2000
	v_cndmask_b32_e32 v1, v1, v2, vcc
	v_lshlrev_b32_e32 v2, 8, v30
	v_lshl_add_u32 v0, v0, 10, v3
	v_and_or_b32 v0, v2, s40, v0
	v_lshl_or_b32 v0, v1, 7, v0
	v_cvt_f32_f16_e32 v60, v0
.LBB325_14:                             ;   in Loop: Header=BB325_10 Depth=1
	s_or_b64 exec, exec, s[36:37]
.LBB325_15:                             ;   in Loop: Header=BB325_10 Depth=1
	s_or_b64 exec, exec, s[34:35]
.LBB325_16:                             ;   in Loop: Header=BB325_10 Depth=1
	s_or_b64 exec, exec, s[30:31]
	v_lshrrev_b16_e32 v32, 8, v30
	v_cmp_ne_u16_e32 vcc, 0, v32
	v_mov_b32_e32 v61, 0
	s_and_saveexec_b64 s[30:31], vcc
	s_cbranch_execz .LBB325_22
; %bb.17:                               ;   in Loop: Header=BB325_10 Depth=1
	v_cmp_ne_u16_e32 vcc, s21, v32
	v_bfrev_b32_e32 v61, 1
	s_and_saveexec_b64 s[34:35], vcc
	s_cbranch_execz .LBB325_21
; %bb.18:                               ;   in Loop: Header=BB325_10 Depth=1
	v_and_b32_e32 v0, 0x7f, v32
	v_cmp_ne_u32_e32 vcc, s39, v0
	v_mov_b32_e32 v61, 0x7fc02000
	s_and_saveexec_b64 s[36:37], vcc
	s_cbranch_execz .LBB325_20
; %bb.19:                               ;   in Loop: Header=BB325_10 Depth=1
	v_and_b32_e32 v1, 7, v32
	v_ffbh_u32_e32 v2, v1
	v_min_u32_e32 v6, 32, v2
	v_subrev_u32_e32 v2, 28, v6
	v_lshlrev_b64 v[2:3], v2, v[32:33]
	v_lshrrev_b32_e32 v5, 3, v0
	v_sub_u32_e32 v3, 29, v6
	v_cmp_gt_u32_e32 vcc, 8, v0
	v_and_b32_e32 v2, 7, v2
	v_cndmask_b32_e32 v0, v5, v3, vcc
	v_mov_b32_e32 v3, 0x2000
	v_cndmask_b32_e32 v1, v1, v2, vcc
	v_lshlrev_b32_e32 v2, 8, v32
	v_lshl_add_u32 v0, v0, 10, v3
	v_and_or_b32 v0, v2, s40, v0
	v_lshl_or_b32 v0, v1, 7, v0
	v_cvt_f32_f16_e32 v61, v0
.LBB325_20:                             ;   in Loop: Header=BB325_10 Depth=1
	s_or_b64 exec, exec, s[36:37]
.LBB325_21:                             ;   in Loop: Header=BB325_10 Depth=1
	s_or_b64 exec, exec, s[34:35]
.LBB325_22:                             ;   in Loop: Header=BB325_10 Depth=1
	s_or_b64 exec, exec, s[30:31]
	v_lshrrev_b32_e32 v32, 16, v30
	v_mov_b32_e32 v0, 0
	v_cmp_ne_u16_sdwa vcc, v32, v35 src0_sel:BYTE_0 src1_sel:DWORD
	buffer_store_dword v0, off, s[0:3], s32 offset:212 ; 4-byte Folded Spill
	v_mov_b32_e32 v0, 0
	buffer_store_dword v0, off, s[0:3], s32 offset:216 ; 4-byte Folded Spill
	s_and_saveexec_b64 s[30:31], vcc
	s_cbranch_execz .LBB325_28
; %bb.23:                               ;   in Loop: Header=BB325_10 Depth=1
	v_cmp_ne_u16_sdwa vcc, v32, s21 src0_sel:BYTE_0 src1_sel:DWORD
	v_bfrev_b32_e32 v0, 1
	buffer_store_dword v0, off, s[0:3], s32 offset:216 ; 4-byte Folded Spill
	s_and_saveexec_b64 s[34:35], vcc
	s_cbranch_execz .LBB325_27
; %bb.24:                               ;   in Loop: Header=BB325_10 Depth=1
	v_bfe_u32 v0, v30, 16, 7
	v_cmp_ne_u32_e32 vcc, s39, v0
	v_mov_b32_e32 v1, 0x7fc02000
	buffer_store_dword v1, off, s[0:3], s32 offset:216 ; 4-byte Folded Spill
	s_and_saveexec_b64 s[36:37], vcc
	s_cbranch_execz .LBB325_26
; %bb.25:                               ;   in Loop: Header=BB325_10 Depth=1
	v_and_b32_e32 v1, 7, v32
	v_ffbh_u32_e32 v2, v1
	v_min_u32_e32 v6, 32, v2
	v_subrev_u32_e32 v2, 28, v6
	v_lshlrev_b64 v[2:3], v2, v[32:33]
	v_lshrrev_b32_e32 v5, 3, v0
	v_sub_u32_e32 v3, 29, v6
	v_cmp_gt_u32_e32 vcc, 8, v0
	v_and_b32_e32 v2, 7, v2
	v_cndmask_b32_e32 v0, v5, v3, vcc
	v_mov_b32_e32 v3, 0x2000
	v_cndmask_b32_e32 v1, v1, v2, vcc
	v_lshlrev_b32_e32 v2, 8, v32
	v_lshl_add_u32 v0, v0, 10, v3
	v_and_or_b32 v0, v2, s40, v0
	v_lshl_or_b32 v0, v1, 7, v0
	v_cvt_f32_f16_e32 v0, v0
	buffer_store_dword v0, off, s[0:3], s32 offset:216 ; 4-byte Folded Spill
.LBB325_26:                             ;   in Loop: Header=BB325_10 Depth=1
	s_or_b64 exec, exec, s[36:37]
.LBB325_27:                             ;   in Loop: Header=BB325_10 Depth=1
	s_or_b64 exec, exec, s[34:35]
.LBB325_28:                             ;   in Loop: Header=BB325_10 Depth=1
	s_or_b64 exec, exec, s[30:31]
	v_cmp_lt_u32_e32 vcc, s41, v30
	s_and_saveexec_b64 s[30:31], vcc
	s_cbranch_execz .LBB325_34
; %bb.29:                               ;   in Loop: Header=BB325_10 Depth=1
	v_lshrrev_b32_e32 v30, 24, v30
	v_cmp_ne_u32_e32 vcc, s21, v30
	v_bfrev_b32_e32 v0, 1
	buffer_store_dword v0, off, s[0:3], s32 offset:212 ; 4-byte Folded Spill
	s_and_saveexec_b64 s[34:35], vcc
	s_cbranch_execz .LBB325_33
; %bb.30:                               ;   in Loop: Header=BB325_10 Depth=1
	v_and_b32_e32 v0, 0x7f, v30
	v_cmp_ne_u32_e32 vcc, s39, v0
	v_mov_b32_e32 v1, 0x7fc02000
	buffer_store_dword v1, off, s[0:3], s32 offset:212 ; 4-byte Folded Spill
	s_and_saveexec_b64 s[36:37], vcc
	s_cbranch_execz .LBB325_32
; %bb.31:                               ;   in Loop: Header=BB325_10 Depth=1
	v_and_b32_e32 v1, 7, v30
	v_ffbh_u32_e32 v2, v1
	v_min_u32_e32 v6, 32, v2
	v_subrev_u32_e32 v2, 28, v6
	v_lshlrev_b64 v[2:3], v2, v[30:31]
	v_lshrrev_b32_e32 v5, 3, v0
	v_sub_u32_e32 v3, 29, v6
	v_cmp_gt_u32_e32 vcc, 8, v0
	v_and_b32_e32 v2, 7, v2
	v_cndmask_b32_e32 v0, v5, v3, vcc
	v_mov_b32_e32 v3, 0x2000
	v_cndmask_b32_e32 v1, v1, v2, vcc
	v_lshlrev_b32_e32 v2, 8, v30
	v_lshl_add_u32 v0, v0, 10, v3
	v_and_or_b32 v0, v2, s40, v0
	v_lshl_or_b32 v0, v1, 7, v0
	v_cvt_f32_f16_e32 v0, v0
	buffer_store_dword v0, off, s[0:3], s32 offset:212 ; 4-byte Folded Spill
.LBB325_32:                             ;   in Loop: Header=BB325_10 Depth=1
	s_or_b64 exec, exec, s[36:37]
.LBB325_33:                             ;   in Loop: Header=BB325_10 Depth=1
	s_or_b64 exec, exec, s[34:35]
.LBB325_34:                             ;   in Loop: Header=BB325_10 Depth=1
	s_or_b64 exec, exec, s[30:31]
	flat_load_dword v30, v[28:29] offset:8
	v_mov_b32_e32 v0, 0
	buffer_store_dword v0, off, s[0:3], s32 offset:220 ; 4-byte Folded Spill
	v_mov_b32_e32 v0, 0
	buffer_store_dword v0, off, s[0:3], s32 offset:224 ; 4-byte Folded Spill
	s_waitcnt vmcnt(0) lgkmcnt(0)
	v_cmp_ne_u16_sdwa vcc, v30, v35 src0_sel:BYTE_0 src1_sel:DWORD
	s_and_saveexec_b64 s[30:31], vcc
	s_cbranch_execz .LBB325_40
; %bb.35:                               ;   in Loop: Header=BB325_10 Depth=1
	v_cmp_ne_u16_sdwa vcc, v30, s21 src0_sel:BYTE_0 src1_sel:DWORD
	v_bfrev_b32_e32 v0, 1
	buffer_store_dword v0, off, s[0:3], s32 offset:224 ; 4-byte Folded Spill
	s_and_saveexec_b64 s[34:35], vcc
	s_cbranch_execz .LBB325_39
; %bb.36:                               ;   in Loop: Header=BB325_10 Depth=1
	v_and_b32_e32 v0, 0x7f, v30
	v_cmp_ne_u32_e32 vcc, s39, v0
	v_mov_b32_e32 v1, 0x7fc02000
	buffer_store_dword v1, off, s[0:3], s32 offset:224 ; 4-byte Folded Spill
	s_and_saveexec_b64 s[36:37], vcc
	s_cbranch_execz .LBB325_38
; %bb.37:                               ;   in Loop: Header=BB325_10 Depth=1
	v_and_b32_e32 v1, 7, v30
	v_ffbh_u32_e32 v2, v1
	v_min_u32_e32 v6, 32, v2
	v_subrev_u32_e32 v2, 28, v6
	v_lshlrev_b64 v[2:3], v2, v[30:31]
	v_lshrrev_b32_e32 v5, 3, v0
	v_sub_u32_e32 v3, 29, v6
	v_cmp_gt_u32_e32 vcc, 8, v0
	v_and_b32_e32 v2, 7, v2
	v_cndmask_b32_e32 v0, v5, v3, vcc
	v_mov_b32_e32 v3, 0x2000
	v_cndmask_b32_e32 v1, v1, v2, vcc
	v_lshlrev_b32_e32 v2, 8, v30
	v_lshl_add_u32 v0, v0, 10, v3
	v_and_or_b32 v0, v2, s40, v0
	v_lshl_or_b32 v0, v1, 7, v0
	v_cvt_f32_f16_e32 v0, v0
	buffer_store_dword v0, off, s[0:3], s32 offset:224 ; 4-byte Folded Spill
.LBB325_38:                             ;   in Loop: Header=BB325_10 Depth=1
	s_or_b64 exec, exec, s[36:37]
.LBB325_39:                             ;   in Loop: Header=BB325_10 Depth=1
	s_or_b64 exec, exec, s[34:35]
.LBB325_40:                             ;   in Loop: Header=BB325_10 Depth=1
	s_or_b64 exec, exec, s[30:31]
	v_lshrrev_b16_e32 v32, 8, v30
	v_cmp_ne_u16_e32 vcc, 0, v32
	s_and_saveexec_b64 s[30:31], vcc
	s_cbranch_execz .LBB325_46
; %bb.41:                               ;   in Loop: Header=BB325_10 Depth=1
	v_cmp_ne_u16_e32 vcc, s21, v32
	v_bfrev_b32_e32 v0, 1
	buffer_store_dword v0, off, s[0:3], s32 offset:220 ; 4-byte Folded Spill
	s_and_saveexec_b64 s[34:35], vcc
	s_cbranch_execz .LBB325_45
; %bb.42:                               ;   in Loop: Header=BB325_10 Depth=1
	v_and_b32_e32 v0, 0x7f, v32
	v_cmp_ne_u32_e32 vcc, s39, v0
	v_mov_b32_e32 v1, 0x7fc02000
	buffer_store_dword v1, off, s[0:3], s32 offset:220 ; 4-byte Folded Spill
	s_and_saveexec_b64 s[36:37], vcc
	s_cbranch_execz .LBB325_44
; %bb.43:                               ;   in Loop: Header=BB325_10 Depth=1
	v_and_b32_e32 v1, 7, v32
	v_ffbh_u32_e32 v2, v1
	v_min_u32_e32 v6, 32, v2
	v_subrev_u32_e32 v2, 28, v6
	v_lshlrev_b64 v[2:3], v2, v[32:33]
	v_lshrrev_b32_e32 v5, 3, v0
	v_sub_u32_e32 v3, 29, v6
	v_cmp_gt_u32_e32 vcc, 8, v0
	v_and_b32_e32 v2, 7, v2
	v_cndmask_b32_e32 v0, v5, v3, vcc
	v_mov_b32_e32 v3, 0x2000
	v_cndmask_b32_e32 v1, v1, v2, vcc
	v_lshlrev_b32_e32 v2, 8, v32
	v_lshl_add_u32 v0, v0, 10, v3
	v_and_or_b32 v0, v2, s40, v0
	v_lshl_or_b32 v0, v1, 7, v0
	v_cvt_f32_f16_e32 v0, v0
	buffer_store_dword v0, off, s[0:3], s32 offset:220 ; 4-byte Folded Spill
.LBB325_44:                             ;   in Loop: Header=BB325_10 Depth=1
	s_or_b64 exec, exec, s[36:37]
.LBB325_45:                             ;   in Loop: Header=BB325_10 Depth=1
	s_or_b64 exec, exec, s[34:35]
.LBB325_46:                             ;   in Loop: Header=BB325_10 Depth=1
	s_or_b64 exec, exec, s[30:31]
	v_lshrrev_b32_e32 v32, 16, v30
	v_mov_b32_e32 v0, 0
	v_cmp_ne_u16_sdwa vcc, v32, v35 src0_sel:BYTE_0 src1_sel:DWORD
	buffer_store_dword v0, off, s[0:3], s32 offset:228 ; 4-byte Folded Spill
	v_mov_b32_e32 v0, 0
	buffer_store_dword v0, off, s[0:3], s32 offset:232 ; 4-byte Folded Spill
	s_and_saveexec_b64 s[30:31], vcc
	s_cbranch_execz .LBB325_52
; %bb.47:                               ;   in Loop: Header=BB325_10 Depth=1
	v_cmp_ne_u16_sdwa vcc, v32, s21 src0_sel:BYTE_0 src1_sel:DWORD
	v_bfrev_b32_e32 v0, 1
	buffer_store_dword v0, off, s[0:3], s32 offset:232 ; 4-byte Folded Spill
	s_and_saveexec_b64 s[34:35], vcc
	s_cbranch_execz .LBB325_51
; %bb.48:                               ;   in Loop: Header=BB325_10 Depth=1
	v_bfe_u32 v0, v30, 16, 7
	v_cmp_ne_u32_e32 vcc, s39, v0
	v_mov_b32_e32 v1, 0x7fc02000
	buffer_store_dword v1, off, s[0:3], s32 offset:232 ; 4-byte Folded Spill
	s_and_saveexec_b64 s[36:37], vcc
	s_cbranch_execz .LBB325_50
; %bb.49:                               ;   in Loop: Header=BB325_10 Depth=1
	v_and_b32_e32 v1, 7, v32
	v_ffbh_u32_e32 v2, v1
	v_min_u32_e32 v6, 32, v2
	v_subrev_u32_e32 v2, 28, v6
	v_lshlrev_b64 v[2:3], v2, v[32:33]
	v_lshrrev_b32_e32 v5, 3, v0
	v_sub_u32_e32 v3, 29, v6
	v_cmp_gt_u32_e32 vcc, 8, v0
	v_and_b32_e32 v2, 7, v2
	v_cndmask_b32_e32 v0, v5, v3, vcc
	v_mov_b32_e32 v3, 0x2000
	v_cndmask_b32_e32 v1, v1, v2, vcc
	v_lshlrev_b32_e32 v2, 8, v32
	v_lshl_add_u32 v0, v0, 10, v3
	v_and_or_b32 v0, v2, s40, v0
	v_lshl_or_b32 v0, v1, 7, v0
	v_cvt_f32_f16_e32 v0, v0
	buffer_store_dword v0, off, s[0:3], s32 offset:232 ; 4-byte Folded Spill
.LBB325_50:                             ;   in Loop: Header=BB325_10 Depth=1
	s_or_b64 exec, exec, s[36:37]
.LBB325_51:                             ;   in Loop: Header=BB325_10 Depth=1
	s_or_b64 exec, exec, s[34:35]
.LBB325_52:                             ;   in Loop: Header=BB325_10 Depth=1
	s_or_b64 exec, exec, s[30:31]
	v_cmp_lt_u32_e32 vcc, s41, v30
	s_and_saveexec_b64 s[30:31], vcc
	s_cbranch_execz .LBB325_58
; %bb.53:                               ;   in Loop: Header=BB325_10 Depth=1
	v_lshrrev_b32_e32 v30, 24, v30
	v_cmp_ne_u32_e32 vcc, s21, v30
	v_bfrev_b32_e32 v0, 1
	buffer_store_dword v0, off, s[0:3], s32 offset:228 ; 4-byte Folded Spill
	s_and_saveexec_b64 s[34:35], vcc
	s_cbranch_execz .LBB325_57
; %bb.54:                               ;   in Loop: Header=BB325_10 Depth=1
	v_and_b32_e32 v0, 0x7f, v30
	v_cmp_ne_u32_e32 vcc, s39, v0
	v_mov_b32_e32 v1, 0x7fc02000
	buffer_store_dword v1, off, s[0:3], s32 offset:228 ; 4-byte Folded Spill
	s_and_saveexec_b64 s[36:37], vcc
	s_cbranch_execz .LBB325_56
; %bb.55:                               ;   in Loop: Header=BB325_10 Depth=1
	v_and_b32_e32 v1, 7, v30
	v_ffbh_u32_e32 v2, v1
	v_min_u32_e32 v6, 32, v2
	v_subrev_u32_e32 v2, 28, v6
	v_lshlrev_b64 v[2:3], v2, v[30:31]
	v_lshrrev_b32_e32 v5, 3, v0
	v_sub_u32_e32 v3, 29, v6
	v_cmp_gt_u32_e32 vcc, 8, v0
	v_and_b32_e32 v2, 7, v2
	v_cndmask_b32_e32 v0, v5, v3, vcc
	v_mov_b32_e32 v3, 0x2000
	v_cndmask_b32_e32 v1, v1, v2, vcc
	v_lshlrev_b32_e32 v2, 8, v30
	v_lshl_add_u32 v0, v0, 10, v3
	v_and_or_b32 v0, v2, s40, v0
	v_lshl_or_b32 v0, v1, 7, v0
	v_cvt_f32_f16_e32 v0, v0
	buffer_store_dword v0, off, s[0:3], s32 offset:228 ; 4-byte Folded Spill
.LBB325_56:                             ;   in Loop: Header=BB325_10 Depth=1
	s_or_b64 exec, exec, s[36:37]
.LBB325_57:                             ;   in Loop: Header=BB325_10 Depth=1
	s_or_b64 exec, exec, s[34:35]
.LBB325_58:                             ;   in Loop: Header=BB325_10 Depth=1
	s_or_b64 exec, exec, s[30:31]
	flat_load_dword v30, v[28:29] offset:512
	v_mov_b32_e32 v0, 0
	buffer_store_dword v0, off, s[0:3], s32 offset:240 ; 4-byte Folded Spill
	v_mov_b32_e32 v0, 0
	buffer_store_dword v0, off, s[0:3], s32 offset:236 ; 4-byte Folded Spill
	s_waitcnt vmcnt(0) lgkmcnt(0)
	v_cmp_ne_u16_sdwa vcc, v30, v35 src0_sel:BYTE_0 src1_sel:DWORD
	s_and_saveexec_b64 s[30:31], vcc
	s_cbranch_execz .LBB325_64
; %bb.59:                               ;   in Loop: Header=BB325_10 Depth=1
	v_cmp_ne_u16_sdwa vcc, v30, s21 src0_sel:BYTE_0 src1_sel:DWORD
	v_bfrev_b32_e32 v0, 1
	buffer_store_dword v0, off, s[0:3], s32 offset:236 ; 4-byte Folded Spill
	s_and_saveexec_b64 s[34:35], vcc
	s_cbranch_execz .LBB325_63
; %bb.60:                               ;   in Loop: Header=BB325_10 Depth=1
	v_and_b32_e32 v0, 0x7f, v30
	v_cmp_ne_u32_e32 vcc, s39, v0
	v_mov_b32_e32 v1, 0x7fc02000
	buffer_store_dword v1, off, s[0:3], s32 offset:236 ; 4-byte Folded Spill
	s_and_saveexec_b64 s[36:37], vcc
	s_cbranch_execz .LBB325_62
; %bb.61:                               ;   in Loop: Header=BB325_10 Depth=1
	v_and_b32_e32 v1, 7, v30
	v_ffbh_u32_e32 v2, v1
	v_min_u32_e32 v6, 32, v2
	v_subrev_u32_e32 v2, 28, v6
	v_lshlrev_b64 v[2:3], v2, v[30:31]
	v_lshrrev_b32_e32 v5, 3, v0
	v_sub_u32_e32 v3, 29, v6
	v_cmp_gt_u32_e32 vcc, 8, v0
	v_and_b32_e32 v2, 7, v2
	v_cndmask_b32_e32 v0, v5, v3, vcc
	v_mov_b32_e32 v3, 0x2000
	v_cndmask_b32_e32 v1, v1, v2, vcc
	v_lshlrev_b32_e32 v2, 8, v30
	v_lshl_add_u32 v0, v0, 10, v3
	v_and_or_b32 v0, v2, s40, v0
	v_lshl_or_b32 v0, v1, 7, v0
	v_cvt_f32_f16_e32 v0, v0
	buffer_store_dword v0, off, s[0:3], s32 offset:236 ; 4-byte Folded Spill
.LBB325_62:                             ;   in Loop: Header=BB325_10 Depth=1
	s_or_b64 exec, exec, s[36:37]
.LBB325_63:                             ;   in Loop: Header=BB325_10 Depth=1
	s_or_b64 exec, exec, s[34:35]
.LBB325_64:                             ;   in Loop: Header=BB325_10 Depth=1
	s_or_b64 exec, exec, s[30:31]
	v_lshrrev_b16_e32 v32, 8, v30
	v_cmp_ne_u16_e32 vcc, 0, v32
	s_and_saveexec_b64 s[30:31], vcc
	s_cbranch_execz .LBB325_70
; %bb.65:                               ;   in Loop: Header=BB325_10 Depth=1
	v_cmp_ne_u16_e32 vcc, s21, v32
	v_bfrev_b32_e32 v0, 1
	buffer_store_dword v0, off, s[0:3], s32 offset:240 ; 4-byte Folded Spill
	s_and_saveexec_b64 s[34:35], vcc
	s_cbranch_execz .LBB325_69
; %bb.66:                               ;   in Loop: Header=BB325_10 Depth=1
	v_and_b32_e32 v0, 0x7f, v32
	v_cmp_ne_u32_e32 vcc, s39, v0
	v_mov_b32_e32 v1, 0x7fc02000
	buffer_store_dword v1, off, s[0:3], s32 offset:240 ; 4-byte Folded Spill
	s_and_saveexec_b64 s[36:37], vcc
	s_cbranch_execz .LBB325_68
; %bb.67:                               ;   in Loop: Header=BB325_10 Depth=1
	v_and_b32_e32 v2, 7, v32
	v_lshrrev_b32_e32 v3, 3, v0
	v_cmp_gt_u32_e32 vcc, 8, v0
	v_ffbh_u32_e32 v0, v2
	v_min_u32_e32 v5, 32, v0
	v_subrev_u32_e32 v0, 28, v5
	v_lshlrev_b64 v[0:1], v0, v[32:33]
	v_sub_u32_e32 v1, 29, v5
	v_and_b32_e32 v0, 7, v0
	v_cndmask_b32_e32 v1, v3, v1, vcc
	v_mov_b32_e32 v3, 0x2000
	v_cndmask_b32_e32 v0, v2, v0, vcc
	v_lshlrev_b32_e32 v2, 8, v32
	v_lshl_add_u32 v1, v1, 10, v3
	v_and_or_b32 v1, v2, s40, v1
	v_lshl_or_b32 v0, v0, 7, v1
	v_cvt_f32_f16_e32 v0, v0
	buffer_store_dword v0, off, s[0:3], s32 offset:240 ; 4-byte Folded Spill
.LBB325_68:                             ;   in Loop: Header=BB325_10 Depth=1
	s_or_b64 exec, exec, s[36:37]
.LBB325_69:                             ;   in Loop: Header=BB325_10 Depth=1
	s_or_b64 exec, exec, s[34:35]
.LBB325_70:                             ;   in Loop: Header=BB325_10 Depth=1
	s_or_b64 exec, exec, s[30:31]
	v_lshrrev_b32_e32 v32, 16, v30
	v_mov_b32_e32 v0, 0
	v_cmp_ne_u16_sdwa vcc, v32, v35 src0_sel:BYTE_0 src1_sel:DWORD
	buffer_store_dword v0, off, s[0:3], s32 offset:244 ; 4-byte Folded Spill
	v_mov_b32_e32 v0, 0
	buffer_store_dword v0, off, s[0:3], s32 offset:248 ; 4-byte Folded Spill
	s_and_saveexec_b64 s[30:31], vcc
	s_cbranch_execz .LBB325_76
; %bb.71:                               ;   in Loop: Header=BB325_10 Depth=1
	v_cmp_ne_u16_sdwa vcc, v32, s21 src0_sel:BYTE_0 src1_sel:DWORD
	v_bfrev_b32_e32 v0, 1
	buffer_store_dword v0, off, s[0:3], s32 offset:248 ; 4-byte Folded Spill
	s_and_saveexec_b64 s[34:35], vcc
	s_cbranch_execz .LBB325_75
; %bb.72:                               ;   in Loop: Header=BB325_10 Depth=1
	v_bfe_u32 v0, v30, 16, 7
	v_cmp_ne_u32_e32 vcc, s39, v0
	v_mov_b32_e32 v1, 0x7fc02000
	buffer_store_dword v1, off, s[0:3], s32 offset:248 ; 4-byte Folded Spill
	s_and_saveexec_b64 s[36:37], vcc
	s_cbranch_execz .LBB325_74
; %bb.73:                               ;   in Loop: Header=BB325_10 Depth=1
	v_and_b32_e32 v1, 7, v32
	v_ffbh_u32_e32 v2, v1
	v_min_u32_e32 v6, 32, v2
	v_subrev_u32_e32 v2, 28, v6
	v_lshlrev_b64 v[2:3], v2, v[32:33]
	v_lshrrev_b32_e32 v5, 3, v0
	v_sub_u32_e32 v3, 29, v6
	v_cmp_gt_u32_e32 vcc, 8, v0
	v_and_b32_e32 v2, 7, v2
	v_cndmask_b32_e32 v0, v5, v3, vcc
	v_mov_b32_e32 v3, 0x2000
	v_cndmask_b32_e32 v1, v1, v2, vcc
	v_lshlrev_b32_e32 v2, 8, v32
	v_lshl_add_u32 v0, v0, 10, v3
	v_and_or_b32 v0, v2, s40, v0
	v_lshl_or_b32 v0, v1, 7, v0
	v_cvt_f32_f16_e32 v0, v0
	buffer_store_dword v0, off, s[0:3], s32 offset:248 ; 4-byte Folded Spill
.LBB325_74:                             ;   in Loop: Header=BB325_10 Depth=1
	s_or_b64 exec, exec, s[36:37]
.LBB325_75:                             ;   in Loop: Header=BB325_10 Depth=1
	s_or_b64 exec, exec, s[34:35]
.LBB325_76:                             ;   in Loop: Header=BB325_10 Depth=1
	s_or_b64 exec, exec, s[30:31]
	v_cmp_lt_u32_e32 vcc, s41, v30
	s_and_saveexec_b64 s[30:31], vcc
	s_cbranch_execz .LBB325_82
; %bb.77:                               ;   in Loop: Header=BB325_10 Depth=1
	v_lshrrev_b32_e32 v30, 24, v30
	v_cmp_ne_u32_e32 vcc, s21, v30
	v_bfrev_b32_e32 v0, 1
	buffer_store_dword v0, off, s[0:3], s32 offset:244 ; 4-byte Folded Spill
	s_and_saveexec_b64 s[34:35], vcc
	s_cbranch_execz .LBB325_81
; %bb.78:                               ;   in Loop: Header=BB325_10 Depth=1
	v_and_b32_e32 v0, 0x7f, v30
	v_cmp_ne_u32_e32 vcc, s39, v0
	v_mov_b32_e32 v1, 0x7fc02000
	buffer_store_dword v1, off, s[0:3], s32 offset:244 ; 4-byte Folded Spill
	s_and_saveexec_b64 s[36:37], vcc
	s_cbranch_execz .LBB325_80
; %bb.79:                               ;   in Loop: Header=BB325_10 Depth=1
	v_and_b32_e32 v1, 7, v30
	v_ffbh_u32_e32 v2, v1
	v_min_u32_e32 v6, 32, v2
	v_subrev_u32_e32 v2, 28, v6
	v_lshlrev_b64 v[2:3], v2, v[30:31]
	v_lshrrev_b32_e32 v5, 3, v0
	v_sub_u32_e32 v3, 29, v6
	v_cmp_gt_u32_e32 vcc, 8, v0
	v_and_b32_e32 v2, 7, v2
	v_cndmask_b32_e32 v0, v5, v3, vcc
	v_mov_b32_e32 v3, 0x2000
	v_cndmask_b32_e32 v1, v1, v2, vcc
	v_lshlrev_b32_e32 v2, 8, v30
	v_lshl_add_u32 v0, v0, 10, v3
	v_and_or_b32 v0, v2, s40, v0
	v_lshl_or_b32 v0, v1, 7, v0
	v_cvt_f32_f16_e32 v0, v0
	buffer_store_dword v0, off, s[0:3], s32 offset:244 ; 4-byte Folded Spill
.LBB325_80:                             ;   in Loop: Header=BB325_10 Depth=1
	s_or_b64 exec, exec, s[36:37]
.LBB325_81:                             ;   in Loop: Header=BB325_10 Depth=1
	s_or_b64 exec, exec, s[34:35]
.LBB325_82:                             ;   in Loop: Header=BB325_10 Depth=1
	s_or_b64 exec, exec, s[30:31]
	flat_load_dword v30, v[28:29] offset:520
	v_mov_b32_e32 v0, 0
	buffer_store_dword v0, off, s[0:3], s32 offset:252 ; 4-byte Folded Spill
	v_mov_b32_e32 v0, 0
	buffer_store_dword v0, off, s[0:3], s32 offset:256 ; 4-byte Folded Spill
	s_waitcnt vmcnt(0) lgkmcnt(0)
	v_cmp_ne_u16_sdwa vcc, v30, v35 src0_sel:BYTE_0 src1_sel:DWORD
	s_and_saveexec_b64 s[30:31], vcc
	s_cbranch_execz .LBB325_88
; %bb.83:                               ;   in Loop: Header=BB325_10 Depth=1
	v_cmp_ne_u16_sdwa vcc, v30, s21 src0_sel:BYTE_0 src1_sel:DWORD
	v_bfrev_b32_e32 v0, 1
	buffer_store_dword v0, off, s[0:3], s32 offset:256 ; 4-byte Folded Spill
	s_and_saveexec_b64 s[34:35], vcc
	s_cbranch_execz .LBB325_87
; %bb.84:                               ;   in Loop: Header=BB325_10 Depth=1
	v_and_b32_e32 v0, 0x7f, v30
	v_cmp_ne_u32_e32 vcc, s39, v0
	v_mov_b32_e32 v1, 0x7fc02000
	buffer_store_dword v1, off, s[0:3], s32 offset:256 ; 4-byte Folded Spill
	s_and_saveexec_b64 s[36:37], vcc
	s_cbranch_execz .LBB325_86
; %bb.85:                               ;   in Loop: Header=BB325_10 Depth=1
	v_and_b32_e32 v1, 7, v30
	v_ffbh_u32_e32 v2, v1
	v_min_u32_e32 v6, 32, v2
	v_subrev_u32_e32 v2, 28, v6
	v_lshlrev_b64 v[2:3], v2, v[30:31]
	v_lshrrev_b32_e32 v5, 3, v0
	v_sub_u32_e32 v3, 29, v6
	v_cmp_gt_u32_e32 vcc, 8, v0
	v_and_b32_e32 v2, 7, v2
	v_cndmask_b32_e32 v0, v5, v3, vcc
	v_mov_b32_e32 v3, 0x2000
	v_cndmask_b32_e32 v1, v1, v2, vcc
	v_lshlrev_b32_e32 v2, 8, v30
	v_lshl_add_u32 v0, v0, 10, v3
	v_and_or_b32 v0, v2, s40, v0
	v_lshl_or_b32 v0, v1, 7, v0
	v_cvt_f32_f16_e32 v0, v0
	buffer_store_dword v0, off, s[0:3], s32 offset:256 ; 4-byte Folded Spill
.LBB325_86:                             ;   in Loop: Header=BB325_10 Depth=1
	s_or_b64 exec, exec, s[36:37]
.LBB325_87:                             ;   in Loop: Header=BB325_10 Depth=1
	s_or_b64 exec, exec, s[34:35]
.LBB325_88:                             ;   in Loop: Header=BB325_10 Depth=1
	s_or_b64 exec, exec, s[30:31]
	v_lshrrev_b16_e32 v32, 8, v30
	v_cmp_ne_u16_e32 vcc, 0, v32
	s_and_saveexec_b64 s[30:31], vcc
	s_cbranch_execz .LBB325_94
; %bb.89:                               ;   in Loop: Header=BB325_10 Depth=1
	v_cmp_ne_u16_e32 vcc, s21, v32
	v_bfrev_b32_e32 v0, 1
	buffer_store_dword v0, off, s[0:3], s32 offset:252 ; 4-byte Folded Spill
	s_and_saveexec_b64 s[34:35], vcc
	s_cbranch_execz .LBB325_93
; %bb.90:                               ;   in Loop: Header=BB325_10 Depth=1
	v_and_b32_e32 v0, 0x7f, v32
	v_cmp_ne_u32_e32 vcc, s39, v0
	v_mov_b32_e32 v1, 0x7fc02000
	buffer_store_dword v1, off, s[0:3], s32 offset:252 ; 4-byte Folded Spill
	s_and_saveexec_b64 s[36:37], vcc
	s_cbranch_execz .LBB325_92
; %bb.91:                               ;   in Loop: Header=BB325_10 Depth=1
	v_and_b32_e32 v1, 7, v32
	v_ffbh_u32_e32 v2, v1
	v_min_u32_e32 v6, 32, v2
	v_subrev_u32_e32 v2, 28, v6
	v_lshlrev_b64 v[2:3], v2, v[32:33]
	v_lshrrev_b32_e32 v5, 3, v0
	v_sub_u32_e32 v3, 29, v6
	v_cmp_gt_u32_e32 vcc, 8, v0
	v_and_b32_e32 v2, 7, v2
	v_cndmask_b32_e32 v0, v5, v3, vcc
	v_mov_b32_e32 v3, 0x2000
	v_cndmask_b32_e32 v1, v1, v2, vcc
	v_lshlrev_b32_e32 v2, 8, v32
	v_lshl_add_u32 v0, v0, 10, v3
	v_and_or_b32 v0, v2, s40, v0
	v_lshl_or_b32 v0, v1, 7, v0
	v_cvt_f32_f16_e32 v0, v0
	buffer_store_dword v0, off, s[0:3], s32 offset:252 ; 4-byte Folded Spill
.LBB325_92:                             ;   in Loop: Header=BB325_10 Depth=1
	s_or_b64 exec, exec, s[36:37]
.LBB325_93:                             ;   in Loop: Header=BB325_10 Depth=1
	s_or_b64 exec, exec, s[34:35]
.LBB325_94:                             ;   in Loop: Header=BB325_10 Depth=1
	s_or_b64 exec, exec, s[30:31]
	v_lshrrev_b32_e32 v32, 16, v30
	v_mov_b32_e32 v0, 0
	v_cmp_ne_u16_sdwa vcc, v32, v35 src0_sel:BYTE_0 src1_sel:DWORD
	buffer_store_dword v0, off, s[0:3], s32 offset:260 ; 4-byte Folded Spill
	v_mov_b32_e32 v0, 0
	buffer_store_dword v0, off, s[0:3], s32 offset:264 ; 4-byte Folded Spill
	s_and_saveexec_b64 s[30:31], vcc
	s_cbranch_execz .LBB325_100
; %bb.95:                               ;   in Loop: Header=BB325_10 Depth=1
	v_cmp_ne_u16_sdwa vcc, v32, s21 src0_sel:BYTE_0 src1_sel:DWORD
	v_bfrev_b32_e32 v0, 1
	buffer_store_dword v0, off, s[0:3], s32 offset:264 ; 4-byte Folded Spill
	s_and_saveexec_b64 s[34:35], vcc
	s_cbranch_execz .LBB325_99
; %bb.96:                               ;   in Loop: Header=BB325_10 Depth=1
	v_bfe_u32 v0, v30, 16, 7
	v_cmp_ne_u32_e32 vcc, s39, v0
	v_mov_b32_e32 v1, 0x7fc02000
	buffer_store_dword v1, off, s[0:3], s32 offset:264 ; 4-byte Folded Spill
	s_and_saveexec_b64 s[36:37], vcc
	s_cbranch_execz .LBB325_98
; %bb.97:                               ;   in Loop: Header=BB325_10 Depth=1
	v_and_b32_e32 v1, 7, v32
	v_ffbh_u32_e32 v2, v1
	v_min_u32_e32 v6, 32, v2
	v_subrev_u32_e32 v2, 28, v6
	v_lshlrev_b64 v[2:3], v2, v[32:33]
	v_lshrrev_b32_e32 v5, 3, v0
	v_sub_u32_e32 v3, 29, v6
	v_cmp_gt_u32_e32 vcc, 8, v0
	v_and_b32_e32 v2, 7, v2
	v_cndmask_b32_e32 v0, v5, v3, vcc
	v_mov_b32_e32 v3, 0x2000
	v_cndmask_b32_e32 v1, v1, v2, vcc
	v_lshlrev_b32_e32 v2, 8, v32
	v_lshl_add_u32 v0, v0, 10, v3
	v_and_or_b32 v0, v2, s40, v0
	v_lshl_or_b32 v0, v1, 7, v0
	v_cvt_f32_f16_e32 v0, v0
	buffer_store_dword v0, off, s[0:3], s32 offset:264 ; 4-byte Folded Spill
.LBB325_98:                             ;   in Loop: Header=BB325_10 Depth=1
	s_or_b64 exec, exec, s[36:37]
.LBB325_99:                             ;   in Loop: Header=BB325_10 Depth=1
	s_or_b64 exec, exec, s[34:35]
.LBB325_100:                            ;   in Loop: Header=BB325_10 Depth=1
	s_or_b64 exec, exec, s[30:31]
	v_cmp_lt_u32_e32 vcc, s41, v30
	s_and_saveexec_b64 s[30:31], vcc
	s_cbranch_execz .LBB325_106
; %bb.101:                              ;   in Loop: Header=BB325_10 Depth=1
	v_lshrrev_b32_e32 v30, 24, v30
	v_cmp_ne_u32_e32 vcc, s21, v30
	v_bfrev_b32_e32 v0, 1
	buffer_store_dword v0, off, s[0:3], s32 offset:260 ; 4-byte Folded Spill
	s_and_saveexec_b64 s[34:35], vcc
	s_cbranch_execz .LBB325_105
; %bb.102:                              ;   in Loop: Header=BB325_10 Depth=1
	v_and_b32_e32 v0, 0x7f, v30
	v_cmp_ne_u32_e32 vcc, s39, v0
	v_mov_b32_e32 v1, 0x7fc02000
	buffer_store_dword v1, off, s[0:3], s32 offset:260 ; 4-byte Folded Spill
	s_and_saveexec_b64 s[36:37], vcc
	s_cbranch_execz .LBB325_104
; %bb.103:                              ;   in Loop: Header=BB325_10 Depth=1
	v_and_b32_e32 v1, 7, v30
	v_ffbh_u32_e32 v2, v1
	v_min_u32_e32 v6, 32, v2
	v_subrev_u32_e32 v2, 28, v6
	v_lshlrev_b64 v[2:3], v2, v[30:31]
	v_lshrrev_b32_e32 v5, 3, v0
	v_sub_u32_e32 v3, 29, v6
	v_cmp_gt_u32_e32 vcc, 8, v0
	v_and_b32_e32 v2, 7, v2
	v_cndmask_b32_e32 v0, v5, v3, vcc
	v_mov_b32_e32 v3, 0x2000
	v_cndmask_b32_e32 v1, v1, v2, vcc
	v_lshlrev_b32_e32 v2, 8, v30
	v_lshl_add_u32 v0, v0, 10, v3
	v_and_or_b32 v0, v2, s40, v0
	v_lshl_or_b32 v0, v1, 7, v0
	v_cvt_f32_f16_e32 v0, v0
	buffer_store_dword v0, off, s[0:3], s32 offset:260 ; 4-byte Folded Spill
.LBB325_104:                            ;   in Loop: Header=BB325_10 Depth=1
	s_or_b64 exec, exec, s[36:37]
.LBB325_105:                            ;   in Loop: Header=BB325_10 Depth=1
	s_or_b64 exec, exec, s[34:35]
.LBB325_106:                            ;   in Loop: Header=BB325_10 Depth=1
	s_or_b64 exec, exec, s[30:31]
	flat_load_dword v30, v[28:29] offset:1024
	v_mov_b32_e32 v0, 0
	buffer_store_dword v0, off, s[0:3], s32 offset:272 ; 4-byte Folded Spill
	v_mov_b32_e32 v0, 0
	buffer_store_dword v0, off, s[0:3], s32 offset:268 ; 4-byte Folded Spill
	s_waitcnt vmcnt(0) lgkmcnt(0)
	v_cmp_ne_u16_sdwa vcc, v30, v35 src0_sel:BYTE_0 src1_sel:DWORD
	s_and_saveexec_b64 s[30:31], vcc
	s_cbranch_execz .LBB325_112
; %bb.107:                              ;   in Loop: Header=BB325_10 Depth=1
	v_cmp_ne_u16_sdwa vcc, v30, s21 src0_sel:BYTE_0 src1_sel:DWORD
	v_bfrev_b32_e32 v0, 1
	buffer_store_dword v0, off, s[0:3], s32 offset:268 ; 4-byte Folded Spill
	s_and_saveexec_b64 s[34:35], vcc
	s_cbranch_execz .LBB325_111
; %bb.108:                              ;   in Loop: Header=BB325_10 Depth=1
	v_and_b32_e32 v0, 0x7f, v30
	v_cmp_ne_u32_e32 vcc, s39, v0
	v_mov_b32_e32 v1, 0x7fc02000
	buffer_store_dword v1, off, s[0:3], s32 offset:268 ; 4-byte Folded Spill
	s_and_saveexec_b64 s[36:37], vcc
	s_cbranch_execz .LBB325_110
; %bb.109:                              ;   in Loop: Header=BB325_10 Depth=1
	v_and_b32_e32 v1, 7, v30
	v_ffbh_u32_e32 v2, v1
	v_min_u32_e32 v6, 32, v2
	v_subrev_u32_e32 v2, 28, v6
	v_lshlrev_b64 v[2:3], v2, v[30:31]
	v_lshrrev_b32_e32 v5, 3, v0
	v_sub_u32_e32 v3, 29, v6
	v_cmp_gt_u32_e32 vcc, 8, v0
	v_and_b32_e32 v2, 7, v2
	v_cndmask_b32_e32 v0, v5, v3, vcc
	v_mov_b32_e32 v3, 0x2000
	v_cndmask_b32_e32 v1, v1, v2, vcc
	v_lshlrev_b32_e32 v2, 8, v30
	v_lshl_add_u32 v0, v0, 10, v3
	v_and_or_b32 v0, v2, s40, v0
	v_lshl_or_b32 v0, v1, 7, v0
	v_cvt_f32_f16_e32 v0, v0
	buffer_store_dword v0, off, s[0:3], s32 offset:268 ; 4-byte Folded Spill
.LBB325_110:                            ;   in Loop: Header=BB325_10 Depth=1
	s_or_b64 exec, exec, s[36:37]
.LBB325_111:                            ;   in Loop: Header=BB325_10 Depth=1
	s_or_b64 exec, exec, s[34:35]
.LBB325_112:                            ;   in Loop: Header=BB325_10 Depth=1
	s_or_b64 exec, exec, s[30:31]
	v_lshrrev_b16_e32 v32, 8, v30
	v_cmp_ne_u16_e32 vcc, 0, v32
	s_and_saveexec_b64 s[30:31], vcc
	s_cbranch_execz .LBB325_118
; %bb.113:                              ;   in Loop: Header=BB325_10 Depth=1
	v_cmp_ne_u16_e32 vcc, s21, v32
	v_bfrev_b32_e32 v0, 1
	buffer_store_dword v0, off, s[0:3], s32 offset:272 ; 4-byte Folded Spill
	s_and_saveexec_b64 s[34:35], vcc
	s_cbranch_execz .LBB325_117
; %bb.114:                              ;   in Loop: Header=BB325_10 Depth=1
	v_and_b32_e32 v0, 0x7f, v32
	v_cmp_ne_u32_e32 vcc, s39, v0
	v_mov_b32_e32 v1, 0x7fc02000
	buffer_store_dword v1, off, s[0:3], s32 offset:272 ; 4-byte Folded Spill
	s_and_saveexec_b64 s[36:37], vcc
	s_cbranch_execz .LBB325_116
; %bb.115:                              ;   in Loop: Header=BB325_10 Depth=1
	v_and_b32_e32 v2, 7, v32
	v_lshrrev_b32_e32 v3, 3, v0
	v_cmp_gt_u32_e32 vcc, 8, v0
	v_ffbh_u32_e32 v0, v2
	v_min_u32_e32 v5, 32, v0
	v_subrev_u32_e32 v0, 28, v5
	v_lshlrev_b64 v[0:1], v0, v[32:33]
	v_sub_u32_e32 v1, 29, v5
	v_and_b32_e32 v0, 7, v0
	v_cndmask_b32_e32 v1, v3, v1, vcc
	v_mov_b32_e32 v3, 0x2000
	v_cndmask_b32_e32 v0, v2, v0, vcc
	v_lshlrev_b32_e32 v2, 8, v32
	v_lshl_add_u32 v1, v1, 10, v3
	v_and_or_b32 v1, v2, s40, v1
	v_lshl_or_b32 v0, v0, 7, v1
	v_cvt_f32_f16_e32 v0, v0
	buffer_store_dword v0, off, s[0:3], s32 offset:272 ; 4-byte Folded Spill
.LBB325_116:                            ;   in Loop: Header=BB325_10 Depth=1
	s_or_b64 exec, exec, s[36:37]
.LBB325_117:                            ;   in Loop: Header=BB325_10 Depth=1
	s_or_b64 exec, exec, s[34:35]
.LBB325_118:                            ;   in Loop: Header=BB325_10 Depth=1
	s_or_b64 exec, exec, s[30:31]
	v_lshrrev_b32_e32 v32, 16, v30
	v_mov_b32_e32 v0, 0
	v_cmp_ne_u16_sdwa vcc, v32, v35 src0_sel:BYTE_0 src1_sel:DWORD
	buffer_store_dword v0, off, s[0:3], s32 offset:276 ; 4-byte Folded Spill
	v_mov_b32_e32 v0, 0
	buffer_store_dword v0, off, s[0:3], s32 offset:280 ; 4-byte Folded Spill
	s_and_saveexec_b64 s[30:31], vcc
	s_cbranch_execz .LBB325_124
; %bb.119:                              ;   in Loop: Header=BB325_10 Depth=1
	v_cmp_ne_u16_sdwa vcc, v32, s21 src0_sel:BYTE_0 src1_sel:DWORD
	v_bfrev_b32_e32 v0, 1
	buffer_store_dword v0, off, s[0:3], s32 offset:280 ; 4-byte Folded Spill
	s_and_saveexec_b64 s[34:35], vcc
	s_cbranch_execz .LBB325_123
; %bb.120:                              ;   in Loop: Header=BB325_10 Depth=1
	v_bfe_u32 v0, v30, 16, 7
	v_cmp_ne_u32_e32 vcc, s39, v0
	v_mov_b32_e32 v1, 0x7fc02000
	buffer_store_dword v1, off, s[0:3], s32 offset:280 ; 4-byte Folded Spill
	s_and_saveexec_b64 s[36:37], vcc
	s_cbranch_execz .LBB325_122
; %bb.121:                              ;   in Loop: Header=BB325_10 Depth=1
	v_and_b32_e32 v1, 7, v32
	v_ffbh_u32_e32 v2, v1
	v_min_u32_e32 v6, 32, v2
	v_subrev_u32_e32 v2, 28, v6
	v_lshlrev_b64 v[2:3], v2, v[32:33]
	v_lshrrev_b32_e32 v5, 3, v0
	v_sub_u32_e32 v3, 29, v6
	v_cmp_gt_u32_e32 vcc, 8, v0
	v_and_b32_e32 v2, 7, v2
	v_cndmask_b32_e32 v0, v5, v3, vcc
	v_mov_b32_e32 v3, 0x2000
	v_cndmask_b32_e32 v1, v1, v2, vcc
	v_lshlrev_b32_e32 v2, 8, v32
	v_lshl_add_u32 v0, v0, 10, v3
	v_and_or_b32 v0, v2, s40, v0
	v_lshl_or_b32 v0, v1, 7, v0
	v_cvt_f32_f16_e32 v0, v0
	buffer_store_dword v0, off, s[0:3], s32 offset:280 ; 4-byte Folded Spill
.LBB325_122:                            ;   in Loop: Header=BB325_10 Depth=1
	s_or_b64 exec, exec, s[36:37]
.LBB325_123:                            ;   in Loop: Header=BB325_10 Depth=1
	s_or_b64 exec, exec, s[34:35]
.LBB325_124:                            ;   in Loop: Header=BB325_10 Depth=1
	s_or_b64 exec, exec, s[30:31]
	v_cmp_lt_u32_e32 vcc, s41, v30
	s_and_saveexec_b64 s[30:31], vcc
	s_cbranch_execz .LBB325_130
; %bb.125:                              ;   in Loop: Header=BB325_10 Depth=1
	v_lshrrev_b32_e32 v30, 24, v30
	v_cmp_ne_u32_e32 vcc, s21, v30
	v_bfrev_b32_e32 v0, 1
	buffer_store_dword v0, off, s[0:3], s32 offset:276 ; 4-byte Folded Spill
	s_and_saveexec_b64 s[34:35], vcc
	s_cbranch_execz .LBB325_129
; %bb.126:                              ;   in Loop: Header=BB325_10 Depth=1
	v_and_b32_e32 v0, 0x7f, v30
	v_cmp_ne_u32_e32 vcc, s39, v0
	v_mov_b32_e32 v1, 0x7fc02000
	buffer_store_dword v1, off, s[0:3], s32 offset:276 ; 4-byte Folded Spill
	s_and_saveexec_b64 s[36:37], vcc
	s_cbranch_execz .LBB325_128
; %bb.127:                              ;   in Loop: Header=BB325_10 Depth=1
	v_and_b32_e32 v1, 7, v30
	v_ffbh_u32_e32 v2, v1
	v_min_u32_e32 v6, 32, v2
	v_subrev_u32_e32 v2, 28, v6
	v_lshlrev_b64 v[2:3], v2, v[30:31]
	v_lshrrev_b32_e32 v5, 3, v0
	v_sub_u32_e32 v3, 29, v6
	v_cmp_gt_u32_e32 vcc, 8, v0
	v_and_b32_e32 v2, 7, v2
	v_cndmask_b32_e32 v0, v5, v3, vcc
	v_mov_b32_e32 v3, 0x2000
	v_cndmask_b32_e32 v1, v1, v2, vcc
	v_lshlrev_b32_e32 v2, 8, v30
	v_lshl_add_u32 v0, v0, 10, v3
	v_and_or_b32 v0, v2, s40, v0
	v_lshl_or_b32 v0, v1, 7, v0
	v_cvt_f32_f16_e32 v0, v0
	buffer_store_dword v0, off, s[0:3], s32 offset:276 ; 4-byte Folded Spill
.LBB325_128:                            ;   in Loop: Header=BB325_10 Depth=1
	s_or_b64 exec, exec, s[36:37]
.LBB325_129:                            ;   in Loop: Header=BB325_10 Depth=1
	s_or_b64 exec, exec, s[34:35]
.LBB325_130:                            ;   in Loop: Header=BB325_10 Depth=1
	s_or_b64 exec, exec, s[30:31]
	flat_load_dword v30, v[28:29] offset:1032
	v_mov_b32_e32 v0, 0
	buffer_store_dword v0, off, s[0:3], s32 offset:284 ; 4-byte Folded Spill
	v_mov_b32_e32 v0, 0
	buffer_store_dword v0, off, s[0:3], s32 offset:288 ; 4-byte Folded Spill
	s_waitcnt vmcnt(0) lgkmcnt(0)
	v_cmp_ne_u16_sdwa vcc, v30, v35 src0_sel:BYTE_0 src1_sel:DWORD
	s_and_saveexec_b64 s[30:31], vcc
	s_cbranch_execz .LBB325_136
; %bb.131:                              ;   in Loop: Header=BB325_10 Depth=1
	v_cmp_ne_u16_sdwa vcc, v30, s21 src0_sel:BYTE_0 src1_sel:DWORD
	v_bfrev_b32_e32 v0, 1
	buffer_store_dword v0, off, s[0:3], s32 offset:288 ; 4-byte Folded Spill
	s_and_saveexec_b64 s[34:35], vcc
	s_cbranch_execz .LBB325_135
; %bb.132:                              ;   in Loop: Header=BB325_10 Depth=1
	v_and_b32_e32 v0, 0x7f, v30
	v_cmp_ne_u32_e32 vcc, s39, v0
	v_mov_b32_e32 v1, 0x7fc02000
	buffer_store_dword v1, off, s[0:3], s32 offset:288 ; 4-byte Folded Spill
	s_and_saveexec_b64 s[36:37], vcc
	s_cbranch_execz .LBB325_134
; %bb.133:                              ;   in Loop: Header=BB325_10 Depth=1
	v_and_b32_e32 v1, 7, v30
	v_ffbh_u32_e32 v2, v1
	v_min_u32_e32 v6, 32, v2
	v_subrev_u32_e32 v2, 28, v6
	v_lshlrev_b64 v[2:3], v2, v[30:31]
	v_lshrrev_b32_e32 v5, 3, v0
	v_sub_u32_e32 v3, 29, v6
	v_cmp_gt_u32_e32 vcc, 8, v0
	v_and_b32_e32 v2, 7, v2
	v_cndmask_b32_e32 v0, v5, v3, vcc
	v_mov_b32_e32 v3, 0x2000
	v_cndmask_b32_e32 v1, v1, v2, vcc
	v_lshlrev_b32_e32 v2, 8, v30
	v_lshl_add_u32 v0, v0, 10, v3
	v_and_or_b32 v0, v2, s40, v0
	v_lshl_or_b32 v0, v1, 7, v0
	v_cvt_f32_f16_e32 v0, v0
	buffer_store_dword v0, off, s[0:3], s32 offset:288 ; 4-byte Folded Spill
.LBB325_134:                            ;   in Loop: Header=BB325_10 Depth=1
	s_or_b64 exec, exec, s[36:37]
.LBB325_135:                            ;   in Loop: Header=BB325_10 Depth=1
	s_or_b64 exec, exec, s[34:35]
.LBB325_136:                            ;   in Loop: Header=BB325_10 Depth=1
	s_or_b64 exec, exec, s[30:31]
	v_lshrrev_b16_e32 v32, 8, v30
	v_cmp_ne_u16_e32 vcc, 0, v32
	s_and_saveexec_b64 s[30:31], vcc
	s_cbranch_execz .LBB325_142
; %bb.137:                              ;   in Loop: Header=BB325_10 Depth=1
	v_cmp_ne_u16_e32 vcc, s21, v32
	v_bfrev_b32_e32 v0, 1
	buffer_store_dword v0, off, s[0:3], s32 offset:284 ; 4-byte Folded Spill
	s_and_saveexec_b64 s[34:35], vcc
	s_cbranch_execz .LBB325_141
; %bb.138:                              ;   in Loop: Header=BB325_10 Depth=1
	v_and_b32_e32 v0, 0x7f, v32
	v_cmp_ne_u32_e32 vcc, s39, v0
	v_mov_b32_e32 v1, 0x7fc02000
	buffer_store_dword v1, off, s[0:3], s32 offset:284 ; 4-byte Folded Spill
	s_and_saveexec_b64 s[36:37], vcc
	s_cbranch_execz .LBB325_140
; %bb.139:                              ;   in Loop: Header=BB325_10 Depth=1
	v_and_b32_e32 v1, 7, v32
	v_ffbh_u32_e32 v2, v1
	v_min_u32_e32 v6, 32, v2
	v_subrev_u32_e32 v2, 28, v6
	v_lshlrev_b64 v[2:3], v2, v[32:33]
	v_lshrrev_b32_e32 v5, 3, v0
	v_sub_u32_e32 v3, 29, v6
	v_cmp_gt_u32_e32 vcc, 8, v0
	v_and_b32_e32 v2, 7, v2
	v_cndmask_b32_e32 v0, v5, v3, vcc
	v_mov_b32_e32 v3, 0x2000
	v_cndmask_b32_e32 v1, v1, v2, vcc
	v_lshlrev_b32_e32 v2, 8, v32
	v_lshl_add_u32 v0, v0, 10, v3
	v_and_or_b32 v0, v2, s40, v0
	v_lshl_or_b32 v0, v1, 7, v0
	v_cvt_f32_f16_e32 v0, v0
	buffer_store_dword v0, off, s[0:3], s32 offset:284 ; 4-byte Folded Spill
.LBB325_140:                            ;   in Loop: Header=BB325_10 Depth=1
	s_or_b64 exec, exec, s[36:37]
.LBB325_141:                            ;   in Loop: Header=BB325_10 Depth=1
	s_or_b64 exec, exec, s[34:35]
.LBB325_142:                            ;   in Loop: Header=BB325_10 Depth=1
	s_or_b64 exec, exec, s[30:31]
	v_lshrrev_b32_e32 v32, 16, v30
	v_mov_b32_e32 v0, 0
	v_cmp_ne_u16_sdwa vcc, v32, v35 src0_sel:BYTE_0 src1_sel:DWORD
	buffer_store_dword v0, off, s[0:3], s32 offset:292 ; 4-byte Folded Spill
	v_mov_b32_e32 v0, 0
	buffer_store_dword v0, off, s[0:3], s32 offset:296 ; 4-byte Folded Spill
	s_and_saveexec_b64 s[30:31], vcc
	s_cbranch_execz .LBB325_148
; %bb.143:                              ;   in Loop: Header=BB325_10 Depth=1
	v_cmp_ne_u16_sdwa vcc, v32, s21 src0_sel:BYTE_0 src1_sel:DWORD
	v_bfrev_b32_e32 v0, 1
	buffer_store_dword v0, off, s[0:3], s32 offset:296 ; 4-byte Folded Spill
	s_and_saveexec_b64 s[34:35], vcc
	s_cbranch_execz .LBB325_147
; %bb.144:                              ;   in Loop: Header=BB325_10 Depth=1
	v_bfe_u32 v0, v30, 16, 7
	v_cmp_ne_u32_e32 vcc, s39, v0
	v_mov_b32_e32 v1, 0x7fc02000
	buffer_store_dword v1, off, s[0:3], s32 offset:296 ; 4-byte Folded Spill
	s_and_saveexec_b64 s[36:37], vcc
	s_cbranch_execz .LBB325_146
; %bb.145:                              ;   in Loop: Header=BB325_10 Depth=1
	v_and_b32_e32 v1, 7, v32
	v_ffbh_u32_e32 v2, v1
	v_min_u32_e32 v6, 32, v2
	v_subrev_u32_e32 v2, 28, v6
	v_lshlrev_b64 v[2:3], v2, v[32:33]
	v_lshrrev_b32_e32 v5, 3, v0
	v_sub_u32_e32 v3, 29, v6
	v_cmp_gt_u32_e32 vcc, 8, v0
	v_and_b32_e32 v2, 7, v2
	v_cndmask_b32_e32 v0, v5, v3, vcc
	v_mov_b32_e32 v3, 0x2000
	v_cndmask_b32_e32 v1, v1, v2, vcc
	v_lshlrev_b32_e32 v2, 8, v32
	v_lshl_add_u32 v0, v0, 10, v3
	v_and_or_b32 v0, v2, s40, v0
	v_lshl_or_b32 v0, v1, 7, v0
	v_cvt_f32_f16_e32 v0, v0
	buffer_store_dword v0, off, s[0:3], s32 offset:296 ; 4-byte Folded Spill
.LBB325_146:                            ;   in Loop: Header=BB325_10 Depth=1
	s_or_b64 exec, exec, s[36:37]
.LBB325_147:                            ;   in Loop: Header=BB325_10 Depth=1
	s_or_b64 exec, exec, s[34:35]
.LBB325_148:                            ;   in Loop: Header=BB325_10 Depth=1
	s_or_b64 exec, exec, s[30:31]
	v_cmp_lt_u32_e32 vcc, s41, v30
	s_and_saveexec_b64 s[30:31], vcc
	s_cbranch_execz .LBB325_154
; %bb.149:                              ;   in Loop: Header=BB325_10 Depth=1
	v_lshrrev_b32_e32 v30, 24, v30
	v_cmp_ne_u32_e32 vcc, s21, v30
	v_bfrev_b32_e32 v0, 1
	buffer_store_dword v0, off, s[0:3], s32 offset:292 ; 4-byte Folded Spill
	s_and_saveexec_b64 s[34:35], vcc
	s_cbranch_execz .LBB325_153
; %bb.150:                              ;   in Loop: Header=BB325_10 Depth=1
	v_and_b32_e32 v0, 0x7f, v30
	v_cmp_ne_u32_e32 vcc, s39, v0
	v_mov_b32_e32 v1, 0x7fc02000
	buffer_store_dword v1, off, s[0:3], s32 offset:292 ; 4-byte Folded Spill
	s_and_saveexec_b64 s[36:37], vcc
	s_cbranch_execz .LBB325_152
; %bb.151:                              ;   in Loop: Header=BB325_10 Depth=1
	v_and_b32_e32 v1, 7, v30
	v_ffbh_u32_e32 v2, v1
	v_min_u32_e32 v6, 32, v2
	v_subrev_u32_e32 v2, 28, v6
	v_lshlrev_b64 v[2:3], v2, v[30:31]
	v_lshrrev_b32_e32 v5, 3, v0
	v_sub_u32_e32 v3, 29, v6
	v_cmp_gt_u32_e32 vcc, 8, v0
	v_and_b32_e32 v2, 7, v2
	v_cndmask_b32_e32 v0, v5, v3, vcc
	v_mov_b32_e32 v3, 0x2000
	v_cndmask_b32_e32 v1, v1, v2, vcc
	v_lshlrev_b32_e32 v2, 8, v30
	v_lshl_add_u32 v0, v0, 10, v3
	v_and_or_b32 v0, v2, s40, v0
	v_lshl_or_b32 v0, v1, 7, v0
	v_cvt_f32_f16_e32 v0, v0
	buffer_store_dword v0, off, s[0:3], s32 offset:292 ; 4-byte Folded Spill
.LBB325_152:                            ;   in Loop: Header=BB325_10 Depth=1
	s_or_b64 exec, exec, s[36:37]
.LBB325_153:                            ;   in Loop: Header=BB325_10 Depth=1
	s_or_b64 exec, exec, s[34:35]
.LBB325_154:                            ;   in Loop: Header=BB325_10 Depth=1
	s_or_b64 exec, exec, s[30:31]
	flat_load_dword v30, v[28:29] offset:1536
	v_mov_b32_e32 v0, 0
	buffer_store_dword v0, off, s[0:3], s32 offset:304 ; 4-byte Folded Spill
	v_mov_b32_e32 v0, 0
	buffer_store_dword v0, off, s[0:3], s32 offset:300 ; 4-byte Folded Spill
	s_waitcnt vmcnt(0) lgkmcnt(0)
	v_cmp_ne_u16_sdwa vcc, v30, v35 src0_sel:BYTE_0 src1_sel:DWORD
	s_and_saveexec_b64 s[30:31], vcc
	s_cbranch_execz .LBB325_160
; %bb.155:                              ;   in Loop: Header=BB325_10 Depth=1
	v_cmp_ne_u16_sdwa vcc, v30, s21 src0_sel:BYTE_0 src1_sel:DWORD
	v_bfrev_b32_e32 v0, 1
	buffer_store_dword v0, off, s[0:3], s32 offset:300 ; 4-byte Folded Spill
	s_and_saveexec_b64 s[34:35], vcc
	s_cbranch_execz .LBB325_159
; %bb.156:                              ;   in Loop: Header=BB325_10 Depth=1
	v_and_b32_e32 v0, 0x7f, v30
	v_cmp_ne_u32_e32 vcc, s39, v0
	v_mov_b32_e32 v1, 0x7fc02000
	buffer_store_dword v1, off, s[0:3], s32 offset:300 ; 4-byte Folded Spill
	s_and_saveexec_b64 s[36:37], vcc
	s_cbranch_execz .LBB325_158
; %bb.157:                              ;   in Loop: Header=BB325_10 Depth=1
	v_and_b32_e32 v1, 7, v30
	v_ffbh_u32_e32 v2, v1
	v_min_u32_e32 v6, 32, v2
	v_subrev_u32_e32 v2, 28, v6
	v_lshlrev_b64 v[2:3], v2, v[30:31]
	v_lshrrev_b32_e32 v5, 3, v0
	v_sub_u32_e32 v3, 29, v6
	v_cmp_gt_u32_e32 vcc, 8, v0
	v_and_b32_e32 v2, 7, v2
	v_cndmask_b32_e32 v0, v5, v3, vcc
	v_mov_b32_e32 v3, 0x2000
	v_cndmask_b32_e32 v1, v1, v2, vcc
	v_lshlrev_b32_e32 v2, 8, v30
	v_lshl_add_u32 v0, v0, 10, v3
	v_and_or_b32 v0, v2, s40, v0
	v_lshl_or_b32 v0, v1, 7, v0
	v_cvt_f32_f16_e32 v0, v0
	buffer_store_dword v0, off, s[0:3], s32 offset:300 ; 4-byte Folded Spill
.LBB325_158:                            ;   in Loop: Header=BB325_10 Depth=1
	s_or_b64 exec, exec, s[36:37]
.LBB325_159:                            ;   in Loop: Header=BB325_10 Depth=1
	s_or_b64 exec, exec, s[34:35]
.LBB325_160:                            ;   in Loop: Header=BB325_10 Depth=1
	s_or_b64 exec, exec, s[30:31]
	v_lshrrev_b16_e32 v32, 8, v30
	v_cmp_ne_u16_e32 vcc, 0, v32
	s_and_saveexec_b64 s[30:31], vcc
	s_cbranch_execz .LBB325_166
; %bb.161:                              ;   in Loop: Header=BB325_10 Depth=1
	v_cmp_ne_u16_e32 vcc, s21, v32
	v_bfrev_b32_e32 v0, 1
	buffer_store_dword v0, off, s[0:3], s32 offset:304 ; 4-byte Folded Spill
	s_and_saveexec_b64 s[34:35], vcc
	s_cbranch_execz .LBB325_165
; %bb.162:                              ;   in Loop: Header=BB325_10 Depth=1
	v_and_b32_e32 v0, 0x7f, v32
	v_cmp_ne_u32_e32 vcc, s39, v0
	v_mov_b32_e32 v1, 0x7fc02000
	buffer_store_dword v1, off, s[0:3], s32 offset:304 ; 4-byte Folded Spill
	s_and_saveexec_b64 s[36:37], vcc
	s_cbranch_execz .LBB325_164
; %bb.163:                              ;   in Loop: Header=BB325_10 Depth=1
	v_and_b32_e32 v2, 7, v32
	v_lshrrev_b32_e32 v3, 3, v0
	v_cmp_gt_u32_e32 vcc, 8, v0
	v_ffbh_u32_e32 v0, v2
	v_min_u32_e32 v5, 32, v0
	v_subrev_u32_e32 v0, 28, v5
	v_lshlrev_b64 v[0:1], v0, v[32:33]
	v_sub_u32_e32 v1, 29, v5
	v_and_b32_e32 v0, 7, v0
	v_cndmask_b32_e32 v1, v3, v1, vcc
	v_mov_b32_e32 v3, 0x2000
	v_cndmask_b32_e32 v0, v2, v0, vcc
	v_lshlrev_b32_e32 v2, 8, v32
	v_lshl_add_u32 v1, v1, 10, v3
	v_and_or_b32 v1, v2, s40, v1
	v_lshl_or_b32 v0, v0, 7, v1
	v_cvt_f32_f16_e32 v0, v0
	buffer_store_dword v0, off, s[0:3], s32 offset:304 ; 4-byte Folded Spill
.LBB325_164:                            ;   in Loop: Header=BB325_10 Depth=1
	s_or_b64 exec, exec, s[36:37]
.LBB325_165:                            ;   in Loop: Header=BB325_10 Depth=1
	s_or_b64 exec, exec, s[34:35]
.LBB325_166:                            ;   in Loop: Header=BB325_10 Depth=1
	s_or_b64 exec, exec, s[30:31]
	v_lshrrev_b32_e32 v32, 16, v30
	v_mov_b32_e32 v0, 0
	v_cmp_ne_u16_sdwa vcc, v32, v35 src0_sel:BYTE_0 src1_sel:DWORD
	buffer_store_dword v0, off, s[0:3], s32 offset:308 ; 4-byte Folded Spill
	v_mov_b32_e32 v0, 0
	buffer_store_dword v0, off, s[0:3], s32 offset:312 ; 4-byte Folded Spill
	s_and_saveexec_b64 s[30:31], vcc
	s_cbranch_execz .LBB325_172
; %bb.167:                              ;   in Loop: Header=BB325_10 Depth=1
	v_cmp_ne_u16_sdwa vcc, v32, s21 src0_sel:BYTE_0 src1_sel:DWORD
	v_bfrev_b32_e32 v0, 1
	buffer_store_dword v0, off, s[0:3], s32 offset:312 ; 4-byte Folded Spill
	s_and_saveexec_b64 s[34:35], vcc
	s_cbranch_execz .LBB325_171
; %bb.168:                              ;   in Loop: Header=BB325_10 Depth=1
	v_bfe_u32 v0, v30, 16, 7
	v_cmp_ne_u32_e32 vcc, s39, v0
	v_mov_b32_e32 v1, 0x7fc02000
	buffer_store_dword v1, off, s[0:3], s32 offset:312 ; 4-byte Folded Spill
	s_and_saveexec_b64 s[36:37], vcc
	s_cbranch_execz .LBB325_170
; %bb.169:                              ;   in Loop: Header=BB325_10 Depth=1
	v_and_b32_e32 v1, 7, v32
	v_ffbh_u32_e32 v2, v1
	v_min_u32_e32 v6, 32, v2
	v_subrev_u32_e32 v2, 28, v6
	v_lshlrev_b64 v[2:3], v2, v[32:33]
	v_lshrrev_b32_e32 v5, 3, v0
	v_sub_u32_e32 v3, 29, v6
	v_cmp_gt_u32_e32 vcc, 8, v0
	v_and_b32_e32 v2, 7, v2
	v_cndmask_b32_e32 v0, v5, v3, vcc
	v_mov_b32_e32 v3, 0x2000
	v_cndmask_b32_e32 v1, v1, v2, vcc
	v_lshlrev_b32_e32 v2, 8, v32
	v_lshl_add_u32 v0, v0, 10, v3
	v_and_or_b32 v0, v2, s40, v0
	v_lshl_or_b32 v0, v1, 7, v0
	v_cvt_f32_f16_e32 v0, v0
	buffer_store_dword v0, off, s[0:3], s32 offset:312 ; 4-byte Folded Spill
.LBB325_170:                            ;   in Loop: Header=BB325_10 Depth=1
	s_or_b64 exec, exec, s[36:37]
.LBB325_171:                            ;   in Loop: Header=BB325_10 Depth=1
	s_or_b64 exec, exec, s[34:35]
.LBB325_172:                            ;   in Loop: Header=BB325_10 Depth=1
	s_or_b64 exec, exec, s[30:31]
	v_cmp_lt_u32_e32 vcc, s41, v30
	s_and_saveexec_b64 s[30:31], vcc
	s_cbranch_execz .LBB325_178
; %bb.173:                              ;   in Loop: Header=BB325_10 Depth=1
	v_lshrrev_b32_e32 v30, 24, v30
	v_cmp_ne_u32_e32 vcc, s21, v30
	v_bfrev_b32_e32 v0, 1
	buffer_store_dword v0, off, s[0:3], s32 offset:308 ; 4-byte Folded Spill
	s_and_saveexec_b64 s[34:35], vcc
	s_cbranch_execz .LBB325_177
; %bb.174:                              ;   in Loop: Header=BB325_10 Depth=1
	v_and_b32_e32 v0, 0x7f, v30
	v_cmp_ne_u32_e32 vcc, s39, v0
	v_mov_b32_e32 v1, 0x7fc02000
	buffer_store_dword v1, off, s[0:3], s32 offset:308 ; 4-byte Folded Spill
	s_and_saveexec_b64 s[36:37], vcc
	s_cbranch_execz .LBB325_176
; %bb.175:                              ;   in Loop: Header=BB325_10 Depth=1
	v_and_b32_e32 v1, 7, v30
	v_ffbh_u32_e32 v2, v1
	v_min_u32_e32 v6, 32, v2
	v_subrev_u32_e32 v2, 28, v6
	v_lshlrev_b64 v[2:3], v2, v[30:31]
	v_lshrrev_b32_e32 v5, 3, v0
	v_sub_u32_e32 v3, 29, v6
	v_cmp_gt_u32_e32 vcc, 8, v0
	v_and_b32_e32 v2, 7, v2
	v_cndmask_b32_e32 v0, v5, v3, vcc
	v_mov_b32_e32 v3, 0x2000
	v_cndmask_b32_e32 v1, v1, v2, vcc
	v_lshlrev_b32_e32 v2, 8, v30
	v_lshl_add_u32 v0, v0, 10, v3
	v_and_or_b32 v0, v2, s40, v0
	v_lshl_or_b32 v0, v1, 7, v0
	v_cvt_f32_f16_e32 v0, v0
	buffer_store_dword v0, off, s[0:3], s32 offset:308 ; 4-byte Folded Spill
.LBB325_176:                            ;   in Loop: Header=BB325_10 Depth=1
	s_or_b64 exec, exec, s[36:37]
.LBB325_177:                            ;   in Loop: Header=BB325_10 Depth=1
	s_or_b64 exec, exec, s[34:35]
.LBB325_178:                            ;   in Loop: Header=BB325_10 Depth=1
	s_or_b64 exec, exec, s[30:31]
	flat_load_dword v30, v[28:29] offset:1544
	v_mov_b32_e32 v0, 0
	buffer_store_dword v0, off, s[0:3], s32 offset:316 ; 4-byte Folded Spill
	v_mov_b32_e32 v0, 0
	buffer_store_dword v0, off, s[0:3], s32 offset:320 ; 4-byte Folded Spill
	s_waitcnt vmcnt(0) lgkmcnt(0)
	v_cmp_ne_u16_sdwa vcc, v30, v35 src0_sel:BYTE_0 src1_sel:DWORD
	s_and_saveexec_b64 s[30:31], vcc
	s_cbranch_execz .LBB325_184
; %bb.179:                              ;   in Loop: Header=BB325_10 Depth=1
	v_cmp_ne_u16_sdwa vcc, v30, s21 src0_sel:BYTE_0 src1_sel:DWORD
	v_bfrev_b32_e32 v0, 1
	buffer_store_dword v0, off, s[0:3], s32 offset:320 ; 4-byte Folded Spill
	s_and_saveexec_b64 s[34:35], vcc
	s_cbranch_execz .LBB325_183
; %bb.180:                              ;   in Loop: Header=BB325_10 Depth=1
	v_and_b32_e32 v0, 0x7f, v30
	v_cmp_ne_u32_e32 vcc, s39, v0
	v_mov_b32_e32 v1, 0x7fc02000
	buffer_store_dword v1, off, s[0:3], s32 offset:320 ; 4-byte Folded Spill
	s_and_saveexec_b64 s[36:37], vcc
	s_cbranch_execz .LBB325_182
; %bb.181:                              ;   in Loop: Header=BB325_10 Depth=1
	v_and_b32_e32 v1, 7, v30
	v_ffbh_u32_e32 v2, v1
	v_min_u32_e32 v6, 32, v2
	v_subrev_u32_e32 v2, 28, v6
	v_lshlrev_b64 v[2:3], v2, v[30:31]
	v_lshrrev_b32_e32 v5, 3, v0
	v_sub_u32_e32 v3, 29, v6
	v_cmp_gt_u32_e32 vcc, 8, v0
	v_and_b32_e32 v2, 7, v2
	v_cndmask_b32_e32 v0, v5, v3, vcc
	v_mov_b32_e32 v3, 0x2000
	v_cndmask_b32_e32 v1, v1, v2, vcc
	v_lshlrev_b32_e32 v2, 8, v30
	v_lshl_add_u32 v0, v0, 10, v3
	v_and_or_b32 v0, v2, s40, v0
	v_lshl_or_b32 v0, v1, 7, v0
	v_cvt_f32_f16_e32 v0, v0
	buffer_store_dword v0, off, s[0:3], s32 offset:320 ; 4-byte Folded Spill
.LBB325_182:                            ;   in Loop: Header=BB325_10 Depth=1
	s_or_b64 exec, exec, s[36:37]
.LBB325_183:                            ;   in Loop: Header=BB325_10 Depth=1
	s_or_b64 exec, exec, s[34:35]
.LBB325_184:                            ;   in Loop: Header=BB325_10 Depth=1
	s_or_b64 exec, exec, s[30:31]
	v_lshrrev_b16_e32 v32, 8, v30
	v_cmp_ne_u16_e32 vcc, 0, v32
	s_and_saveexec_b64 s[30:31], vcc
	s_cbranch_execz .LBB325_190
; %bb.185:                              ;   in Loop: Header=BB325_10 Depth=1
	v_cmp_ne_u16_e32 vcc, s21, v32
	v_bfrev_b32_e32 v0, 1
	buffer_store_dword v0, off, s[0:3], s32 offset:316 ; 4-byte Folded Spill
	s_and_saveexec_b64 s[34:35], vcc
	s_cbranch_execz .LBB325_189
; %bb.186:                              ;   in Loop: Header=BB325_10 Depth=1
	v_and_b32_e32 v0, 0x7f, v32
	v_cmp_ne_u32_e32 vcc, s39, v0
	v_mov_b32_e32 v1, 0x7fc02000
	buffer_store_dword v1, off, s[0:3], s32 offset:316 ; 4-byte Folded Spill
	s_and_saveexec_b64 s[36:37], vcc
	s_cbranch_execz .LBB325_188
; %bb.187:                              ;   in Loop: Header=BB325_10 Depth=1
	v_and_b32_e32 v1, 7, v32
	v_ffbh_u32_e32 v2, v1
	v_min_u32_e32 v6, 32, v2
	v_subrev_u32_e32 v2, 28, v6
	v_lshlrev_b64 v[2:3], v2, v[32:33]
	v_lshrrev_b32_e32 v5, 3, v0
	v_sub_u32_e32 v3, 29, v6
	v_cmp_gt_u32_e32 vcc, 8, v0
	v_and_b32_e32 v2, 7, v2
	v_cndmask_b32_e32 v0, v5, v3, vcc
	v_mov_b32_e32 v3, 0x2000
	v_cndmask_b32_e32 v1, v1, v2, vcc
	v_lshlrev_b32_e32 v2, 8, v32
	v_lshl_add_u32 v0, v0, 10, v3
	v_and_or_b32 v0, v2, s40, v0
	v_lshl_or_b32 v0, v1, 7, v0
	v_cvt_f32_f16_e32 v0, v0
	buffer_store_dword v0, off, s[0:3], s32 offset:316 ; 4-byte Folded Spill
.LBB325_188:                            ;   in Loop: Header=BB325_10 Depth=1
	s_or_b64 exec, exec, s[36:37]
.LBB325_189:                            ;   in Loop: Header=BB325_10 Depth=1
	s_or_b64 exec, exec, s[34:35]
.LBB325_190:                            ;   in Loop: Header=BB325_10 Depth=1
	s_or_b64 exec, exec, s[30:31]
	v_lshrrev_b32_e32 v32, 16, v30
	v_mov_b32_e32 v0, 0
	v_cmp_ne_u16_sdwa vcc, v32, v35 src0_sel:BYTE_0 src1_sel:DWORD
	buffer_store_dword v0, off, s[0:3], s32 offset:324 ; 4-byte Folded Spill
	v_mov_b32_e32 v0, 0
	buffer_store_dword v0, off, s[0:3], s32 offset:328 ; 4-byte Folded Spill
	s_and_saveexec_b64 s[30:31], vcc
	s_cbranch_execz .LBB325_196
; %bb.191:                              ;   in Loop: Header=BB325_10 Depth=1
	v_cmp_ne_u16_sdwa vcc, v32, s21 src0_sel:BYTE_0 src1_sel:DWORD
	v_bfrev_b32_e32 v0, 1
	buffer_store_dword v0, off, s[0:3], s32 offset:328 ; 4-byte Folded Spill
	s_and_saveexec_b64 s[34:35], vcc
	s_cbranch_execz .LBB325_195
; %bb.192:                              ;   in Loop: Header=BB325_10 Depth=1
	v_bfe_u32 v0, v30, 16, 7
	v_cmp_ne_u32_e32 vcc, s39, v0
	v_mov_b32_e32 v1, 0x7fc02000
	buffer_store_dword v1, off, s[0:3], s32 offset:328 ; 4-byte Folded Spill
	s_and_saveexec_b64 s[36:37], vcc
	s_cbranch_execz .LBB325_194
; %bb.193:                              ;   in Loop: Header=BB325_10 Depth=1
	v_and_b32_e32 v1, 7, v32
	v_ffbh_u32_e32 v2, v1
	v_min_u32_e32 v6, 32, v2
	v_subrev_u32_e32 v2, 28, v6
	v_lshlrev_b64 v[2:3], v2, v[32:33]
	v_lshrrev_b32_e32 v5, 3, v0
	v_sub_u32_e32 v3, 29, v6
	v_cmp_gt_u32_e32 vcc, 8, v0
	v_and_b32_e32 v2, 7, v2
	v_cndmask_b32_e32 v0, v5, v3, vcc
	v_mov_b32_e32 v3, 0x2000
	v_cndmask_b32_e32 v1, v1, v2, vcc
	v_lshlrev_b32_e32 v2, 8, v32
	v_lshl_add_u32 v0, v0, 10, v3
	v_and_or_b32 v0, v2, s40, v0
	v_lshl_or_b32 v0, v1, 7, v0
	v_cvt_f32_f16_e32 v0, v0
	buffer_store_dword v0, off, s[0:3], s32 offset:328 ; 4-byte Folded Spill
.LBB325_194:                            ;   in Loop: Header=BB325_10 Depth=1
	s_or_b64 exec, exec, s[36:37]
.LBB325_195:                            ;   in Loop: Header=BB325_10 Depth=1
	s_or_b64 exec, exec, s[34:35]
.LBB325_196:                            ;   in Loop: Header=BB325_10 Depth=1
	s_or_b64 exec, exec, s[30:31]
	v_cmp_lt_u32_e32 vcc, s41, v30
	s_and_saveexec_b64 s[30:31], vcc
	s_cbranch_execz .LBB325_202
; %bb.197:                              ;   in Loop: Header=BB325_10 Depth=1
	v_lshrrev_b32_e32 v30, 24, v30
	v_cmp_ne_u32_e32 vcc, s21, v30
	v_bfrev_b32_e32 v0, 1
	buffer_store_dword v0, off, s[0:3], s32 offset:324 ; 4-byte Folded Spill
	s_and_saveexec_b64 s[34:35], vcc
	s_cbranch_execz .LBB325_201
; %bb.198:                              ;   in Loop: Header=BB325_10 Depth=1
	v_and_b32_e32 v0, 0x7f, v30
	v_cmp_ne_u32_e32 vcc, s39, v0
	v_mov_b32_e32 v1, 0x7fc02000
	buffer_store_dword v1, off, s[0:3], s32 offset:324 ; 4-byte Folded Spill
	s_and_saveexec_b64 s[36:37], vcc
	s_cbranch_execz .LBB325_200
; %bb.199:                              ;   in Loop: Header=BB325_10 Depth=1
	v_and_b32_e32 v1, 7, v30
	v_ffbh_u32_e32 v2, v1
	v_min_u32_e32 v6, 32, v2
	v_subrev_u32_e32 v2, 28, v6
	v_lshlrev_b64 v[2:3], v2, v[30:31]
	v_lshrrev_b32_e32 v5, 3, v0
	v_sub_u32_e32 v3, 29, v6
	v_cmp_gt_u32_e32 vcc, 8, v0
	v_and_b32_e32 v2, 7, v2
	v_cndmask_b32_e32 v0, v5, v3, vcc
	v_mov_b32_e32 v3, 0x2000
	v_cndmask_b32_e32 v1, v1, v2, vcc
	v_lshlrev_b32_e32 v2, 8, v30
	v_lshl_add_u32 v0, v0, 10, v3
	v_and_or_b32 v0, v2, s40, v0
	v_lshl_or_b32 v0, v1, 7, v0
	v_cvt_f32_f16_e32 v0, v0
	buffer_store_dword v0, off, s[0:3], s32 offset:324 ; 4-byte Folded Spill
.LBB325_200:                            ;   in Loop: Header=BB325_10 Depth=1
	s_or_b64 exec, exec, s[36:37]
.LBB325_201:                            ;   in Loop: Header=BB325_10 Depth=1
	s_or_b64 exec, exec, s[34:35]
.LBB325_202:                            ;   in Loop: Header=BB325_10 Depth=1
	s_or_b64 exec, exec, s[30:31]
	flat_load_dword v30, v[28:29] offset:2048
	v_mov_b32_e32 v0, 0
	buffer_store_dword v0, off, s[0:3], s32 offset:332 ; 4-byte Folded Spill
	v_mov_b32_e32 v0, 0
	buffer_store_dword v0, off, s[0:3], s32 offset:336 ; 4-byte Folded Spill
	s_waitcnt vmcnt(0) lgkmcnt(0)
	v_cmp_ne_u16_sdwa vcc, v30, v35 src0_sel:BYTE_0 src1_sel:DWORD
	s_and_saveexec_b64 s[30:31], vcc
	s_cbranch_execz .LBB325_208
; %bb.203:                              ;   in Loop: Header=BB325_10 Depth=1
	v_cmp_ne_u16_sdwa vcc, v30, s21 src0_sel:BYTE_0 src1_sel:DWORD
	v_bfrev_b32_e32 v0, 1
	buffer_store_dword v0, off, s[0:3], s32 offset:336 ; 4-byte Folded Spill
	s_and_saveexec_b64 s[34:35], vcc
	s_cbranch_execz .LBB325_207
; %bb.204:                              ;   in Loop: Header=BB325_10 Depth=1
	v_and_b32_e32 v0, 0x7f, v30
	v_cmp_ne_u32_e32 vcc, s39, v0
	v_mov_b32_e32 v1, 0x7fc02000
	buffer_store_dword v1, off, s[0:3], s32 offset:336 ; 4-byte Folded Spill
	s_and_saveexec_b64 s[36:37], vcc
	s_cbranch_execz .LBB325_206
; %bb.205:                              ;   in Loop: Header=BB325_10 Depth=1
	v_and_b32_e32 v1, 7, v30
	v_ffbh_u32_e32 v2, v1
	v_min_u32_e32 v6, 32, v2
	v_subrev_u32_e32 v2, 28, v6
	v_lshlrev_b64 v[2:3], v2, v[30:31]
	v_lshrrev_b32_e32 v5, 3, v0
	v_sub_u32_e32 v3, 29, v6
	v_cmp_gt_u32_e32 vcc, 8, v0
	v_and_b32_e32 v2, 7, v2
	v_cndmask_b32_e32 v0, v5, v3, vcc
	v_mov_b32_e32 v3, 0x2000
	v_cndmask_b32_e32 v1, v1, v2, vcc
	v_lshlrev_b32_e32 v2, 8, v30
	v_lshl_add_u32 v0, v0, 10, v3
	v_and_or_b32 v0, v2, s40, v0
	v_lshl_or_b32 v0, v1, 7, v0
	v_cvt_f32_f16_e32 v0, v0
	buffer_store_dword v0, off, s[0:3], s32 offset:336 ; 4-byte Folded Spill
.LBB325_206:                            ;   in Loop: Header=BB325_10 Depth=1
	s_or_b64 exec, exec, s[36:37]
.LBB325_207:                            ;   in Loop: Header=BB325_10 Depth=1
	s_or_b64 exec, exec, s[34:35]
.LBB325_208:                            ;   in Loop: Header=BB325_10 Depth=1
	s_or_b64 exec, exec, s[30:31]
	v_lshrrev_b16_e32 v32, 8, v30
	v_cmp_ne_u16_e32 vcc, 0, v32
	s_and_saveexec_b64 s[30:31], vcc
	s_cbranch_execz .LBB325_214
; %bb.209:                              ;   in Loop: Header=BB325_10 Depth=1
	v_cmp_ne_u16_e32 vcc, s21, v32
	v_bfrev_b32_e32 v0, 1
	buffer_store_dword v0, off, s[0:3], s32 offset:332 ; 4-byte Folded Spill
	s_and_saveexec_b64 s[34:35], vcc
	s_cbranch_execz .LBB325_213
; %bb.210:                              ;   in Loop: Header=BB325_10 Depth=1
	v_and_b32_e32 v0, 0x7f, v32
	v_cmp_ne_u32_e32 vcc, s39, v0
	v_mov_b32_e32 v1, 0x7fc02000
	buffer_store_dword v1, off, s[0:3], s32 offset:332 ; 4-byte Folded Spill
	s_and_saveexec_b64 s[36:37], vcc
	s_cbranch_execz .LBB325_212
; %bb.211:                              ;   in Loop: Header=BB325_10 Depth=1
	v_and_b32_e32 v1, 7, v32
	v_ffbh_u32_e32 v2, v1
	v_min_u32_e32 v6, 32, v2
	v_subrev_u32_e32 v2, 28, v6
	v_lshlrev_b64 v[2:3], v2, v[32:33]
	v_lshrrev_b32_e32 v5, 3, v0
	v_sub_u32_e32 v3, 29, v6
	v_cmp_gt_u32_e32 vcc, 8, v0
	v_and_b32_e32 v2, 7, v2
	v_cndmask_b32_e32 v0, v5, v3, vcc
	v_mov_b32_e32 v3, 0x2000
	v_cndmask_b32_e32 v1, v1, v2, vcc
	v_lshlrev_b32_e32 v2, 8, v32
	v_lshl_add_u32 v0, v0, 10, v3
	v_and_or_b32 v0, v2, s40, v0
	v_lshl_or_b32 v0, v1, 7, v0
	v_cvt_f32_f16_e32 v0, v0
	buffer_store_dword v0, off, s[0:3], s32 offset:332 ; 4-byte Folded Spill
.LBB325_212:                            ;   in Loop: Header=BB325_10 Depth=1
	s_or_b64 exec, exec, s[36:37]
.LBB325_213:                            ;   in Loop: Header=BB325_10 Depth=1
	s_or_b64 exec, exec, s[34:35]
.LBB325_214:                            ;   in Loop: Header=BB325_10 Depth=1
	s_or_b64 exec, exec, s[30:31]
	v_lshrrev_b32_e32 v32, 16, v30
	v_mov_b32_e32 v0, 0
	v_cmp_ne_u16_sdwa vcc, v32, v35 src0_sel:BYTE_0 src1_sel:DWORD
	buffer_store_dword v0, off, s[0:3], s32 offset:340 ; 4-byte Folded Spill
	v_mov_b32_e32 v0, 0
	buffer_store_dword v0, off, s[0:3], s32 offset:344 ; 4-byte Folded Spill
	s_and_saveexec_b64 s[30:31], vcc
	s_cbranch_execz .LBB325_220
; %bb.215:                              ;   in Loop: Header=BB325_10 Depth=1
	v_cmp_ne_u16_sdwa vcc, v32, s21 src0_sel:BYTE_0 src1_sel:DWORD
	v_bfrev_b32_e32 v0, 1
	buffer_store_dword v0, off, s[0:3], s32 offset:344 ; 4-byte Folded Spill
	s_and_saveexec_b64 s[34:35], vcc
	s_cbranch_execz .LBB325_219
; %bb.216:                              ;   in Loop: Header=BB325_10 Depth=1
	v_bfe_u32 v0, v30, 16, 7
	v_cmp_ne_u32_e32 vcc, s39, v0
	v_mov_b32_e32 v1, 0x7fc02000
	buffer_store_dword v1, off, s[0:3], s32 offset:344 ; 4-byte Folded Spill
	s_and_saveexec_b64 s[36:37], vcc
	s_cbranch_execz .LBB325_218
; %bb.217:                              ;   in Loop: Header=BB325_10 Depth=1
	v_and_b32_e32 v1, 7, v32
	v_ffbh_u32_e32 v2, v1
	v_min_u32_e32 v6, 32, v2
	v_subrev_u32_e32 v2, 28, v6
	v_lshlrev_b64 v[2:3], v2, v[32:33]
	v_lshrrev_b32_e32 v5, 3, v0
	v_sub_u32_e32 v3, 29, v6
	v_cmp_gt_u32_e32 vcc, 8, v0
	v_and_b32_e32 v2, 7, v2
	v_cndmask_b32_e32 v0, v5, v3, vcc
	v_mov_b32_e32 v3, 0x2000
	v_cndmask_b32_e32 v1, v1, v2, vcc
	v_lshlrev_b32_e32 v2, 8, v32
	v_lshl_add_u32 v0, v0, 10, v3
	v_and_or_b32 v0, v2, s40, v0
	v_lshl_or_b32 v0, v1, 7, v0
	v_cvt_f32_f16_e32 v0, v0
	buffer_store_dword v0, off, s[0:3], s32 offset:344 ; 4-byte Folded Spill
.LBB325_218:                            ;   in Loop: Header=BB325_10 Depth=1
	s_or_b64 exec, exec, s[36:37]
.LBB325_219:                            ;   in Loop: Header=BB325_10 Depth=1
	s_or_b64 exec, exec, s[34:35]
.LBB325_220:                            ;   in Loop: Header=BB325_10 Depth=1
	s_or_b64 exec, exec, s[30:31]
	v_cmp_lt_u32_e32 vcc, s41, v30
	s_and_saveexec_b64 s[30:31], vcc
	s_cbranch_execz .LBB325_226
; %bb.221:                              ;   in Loop: Header=BB325_10 Depth=1
	v_lshrrev_b32_e32 v30, 24, v30
	v_cmp_ne_u32_e32 vcc, s21, v30
	v_bfrev_b32_e32 v0, 1
	buffer_store_dword v0, off, s[0:3], s32 offset:340 ; 4-byte Folded Spill
	s_and_saveexec_b64 s[34:35], vcc
	s_cbranch_execz .LBB325_225
; %bb.222:                              ;   in Loop: Header=BB325_10 Depth=1
	v_and_b32_e32 v0, 0x7f, v30
	v_cmp_ne_u32_e32 vcc, s39, v0
	v_mov_b32_e32 v1, 0x7fc02000
	buffer_store_dword v1, off, s[0:3], s32 offset:340 ; 4-byte Folded Spill
	s_and_saveexec_b64 s[36:37], vcc
	s_cbranch_execz .LBB325_224
; %bb.223:                              ;   in Loop: Header=BB325_10 Depth=1
	v_and_b32_e32 v1, 7, v30
	v_ffbh_u32_e32 v2, v1
	v_min_u32_e32 v6, 32, v2
	v_subrev_u32_e32 v2, 28, v6
	v_lshlrev_b64 v[2:3], v2, v[30:31]
	v_lshrrev_b32_e32 v5, 3, v0
	v_sub_u32_e32 v3, 29, v6
	v_cmp_gt_u32_e32 vcc, 8, v0
	v_and_b32_e32 v2, 7, v2
	v_cndmask_b32_e32 v0, v5, v3, vcc
	v_mov_b32_e32 v3, 0x2000
	v_cndmask_b32_e32 v1, v1, v2, vcc
	v_lshlrev_b32_e32 v2, 8, v30
	v_lshl_add_u32 v0, v0, 10, v3
	v_and_or_b32 v0, v2, s40, v0
	v_lshl_or_b32 v0, v1, 7, v0
	v_cvt_f32_f16_e32 v0, v0
	buffer_store_dword v0, off, s[0:3], s32 offset:340 ; 4-byte Folded Spill
.LBB325_224:                            ;   in Loop: Header=BB325_10 Depth=1
	s_or_b64 exec, exec, s[36:37]
.LBB325_225:                            ;   in Loop: Header=BB325_10 Depth=1
	s_or_b64 exec, exec, s[34:35]
.LBB325_226:                            ;   in Loop: Header=BB325_10 Depth=1
	s_or_b64 exec, exec, s[30:31]
	flat_load_dword v30, v[28:29] offset:2056
	v_mov_b32_e32 v0, 0
	buffer_store_dword v0, off, s[0:3], s32 offset:348 ; 4-byte Folded Spill
	v_mov_b32_e32 v0, 0
	buffer_store_dword v0, off, s[0:3], s32 offset:352 ; 4-byte Folded Spill
	s_waitcnt vmcnt(0) lgkmcnt(0)
	v_cmp_ne_u16_sdwa vcc, v30, v35 src0_sel:BYTE_0 src1_sel:DWORD
	s_and_saveexec_b64 s[30:31], vcc
	s_cbranch_execz .LBB325_232
; %bb.227:                              ;   in Loop: Header=BB325_10 Depth=1
	v_cmp_ne_u16_sdwa vcc, v30, s21 src0_sel:BYTE_0 src1_sel:DWORD
	v_bfrev_b32_e32 v0, 1
	buffer_store_dword v0, off, s[0:3], s32 offset:352 ; 4-byte Folded Spill
	s_and_saveexec_b64 s[34:35], vcc
	s_cbranch_execz .LBB325_231
; %bb.228:                              ;   in Loop: Header=BB325_10 Depth=1
	v_and_b32_e32 v0, 0x7f, v30
	v_cmp_ne_u32_e32 vcc, s39, v0
	v_mov_b32_e32 v1, 0x7fc02000
	buffer_store_dword v1, off, s[0:3], s32 offset:352 ; 4-byte Folded Spill
	s_and_saveexec_b64 s[36:37], vcc
	s_cbranch_execz .LBB325_230
; %bb.229:                              ;   in Loop: Header=BB325_10 Depth=1
	v_and_b32_e32 v1, 7, v30
	v_ffbh_u32_e32 v2, v1
	v_min_u32_e32 v6, 32, v2
	v_subrev_u32_e32 v2, 28, v6
	v_lshlrev_b64 v[2:3], v2, v[30:31]
	v_lshrrev_b32_e32 v5, 3, v0
	v_sub_u32_e32 v3, 29, v6
	v_cmp_gt_u32_e32 vcc, 8, v0
	v_and_b32_e32 v2, 7, v2
	v_cndmask_b32_e32 v0, v5, v3, vcc
	v_mov_b32_e32 v3, 0x2000
	v_cndmask_b32_e32 v1, v1, v2, vcc
	v_lshlrev_b32_e32 v2, 8, v30
	v_lshl_add_u32 v0, v0, 10, v3
	v_and_or_b32 v0, v2, s40, v0
	v_lshl_or_b32 v0, v1, 7, v0
	v_cvt_f32_f16_e32 v0, v0
	buffer_store_dword v0, off, s[0:3], s32 offset:352 ; 4-byte Folded Spill
.LBB325_230:                            ;   in Loop: Header=BB325_10 Depth=1
	s_or_b64 exec, exec, s[36:37]
.LBB325_231:                            ;   in Loop: Header=BB325_10 Depth=1
	s_or_b64 exec, exec, s[34:35]
.LBB325_232:                            ;   in Loop: Header=BB325_10 Depth=1
	s_or_b64 exec, exec, s[30:31]
	v_lshrrev_b16_e32 v32, 8, v30
	v_cmp_ne_u16_e32 vcc, 0, v32
	s_and_saveexec_b64 s[30:31], vcc
	s_cbranch_execz .LBB325_238
; %bb.233:                              ;   in Loop: Header=BB325_10 Depth=1
	v_cmp_ne_u16_e32 vcc, s21, v32
	v_bfrev_b32_e32 v0, 1
	buffer_store_dword v0, off, s[0:3], s32 offset:348 ; 4-byte Folded Spill
	s_and_saveexec_b64 s[34:35], vcc
	s_cbranch_execz .LBB325_237
; %bb.234:                              ;   in Loop: Header=BB325_10 Depth=1
	v_and_b32_e32 v0, 0x7f, v32
	v_cmp_ne_u32_e32 vcc, s39, v0
	v_mov_b32_e32 v1, 0x7fc02000
	buffer_store_dword v1, off, s[0:3], s32 offset:348 ; 4-byte Folded Spill
	s_and_saveexec_b64 s[36:37], vcc
	s_cbranch_execz .LBB325_236
; %bb.235:                              ;   in Loop: Header=BB325_10 Depth=1
	v_and_b32_e32 v1, 7, v32
	v_ffbh_u32_e32 v2, v1
	v_min_u32_e32 v6, 32, v2
	v_subrev_u32_e32 v2, 28, v6
	v_lshlrev_b64 v[2:3], v2, v[32:33]
	v_lshrrev_b32_e32 v5, 3, v0
	v_sub_u32_e32 v3, 29, v6
	v_cmp_gt_u32_e32 vcc, 8, v0
	v_and_b32_e32 v2, 7, v2
	v_cndmask_b32_e32 v0, v5, v3, vcc
	v_mov_b32_e32 v3, 0x2000
	v_cndmask_b32_e32 v1, v1, v2, vcc
	v_lshlrev_b32_e32 v2, 8, v32
	v_lshl_add_u32 v0, v0, 10, v3
	v_and_or_b32 v0, v2, s40, v0
	v_lshl_or_b32 v0, v1, 7, v0
	v_cvt_f32_f16_e32 v0, v0
	buffer_store_dword v0, off, s[0:3], s32 offset:348 ; 4-byte Folded Spill
.LBB325_236:                            ;   in Loop: Header=BB325_10 Depth=1
	s_or_b64 exec, exec, s[36:37]
.LBB325_237:                            ;   in Loop: Header=BB325_10 Depth=1
	s_or_b64 exec, exec, s[34:35]
.LBB325_238:                            ;   in Loop: Header=BB325_10 Depth=1
	s_or_b64 exec, exec, s[30:31]
	v_lshrrev_b32_e32 v32, 16, v30
	v_mov_b32_e32 v0, 0
	v_cmp_ne_u16_sdwa vcc, v32, v35 src0_sel:BYTE_0 src1_sel:DWORD
	buffer_store_dword v0, off, s[0:3], s32 offset:356 ; 4-byte Folded Spill
	v_mov_b32_e32 v0, 0
	buffer_store_dword v0, off, s[0:3], s32 offset:360 ; 4-byte Folded Spill
	s_and_saveexec_b64 s[30:31], vcc
	s_cbranch_execz .LBB325_244
; %bb.239:                              ;   in Loop: Header=BB325_10 Depth=1
	v_cmp_ne_u16_sdwa vcc, v32, s21 src0_sel:BYTE_0 src1_sel:DWORD
	v_bfrev_b32_e32 v0, 1
	buffer_store_dword v0, off, s[0:3], s32 offset:360 ; 4-byte Folded Spill
	s_and_saveexec_b64 s[34:35], vcc
	s_cbranch_execz .LBB325_243
; %bb.240:                              ;   in Loop: Header=BB325_10 Depth=1
	v_bfe_u32 v0, v30, 16, 7
	v_cmp_ne_u32_e32 vcc, s39, v0
	v_mov_b32_e32 v1, 0x7fc02000
	buffer_store_dword v1, off, s[0:3], s32 offset:360 ; 4-byte Folded Spill
	s_and_saveexec_b64 s[36:37], vcc
	s_cbranch_execz .LBB325_242
; %bb.241:                              ;   in Loop: Header=BB325_10 Depth=1
	v_and_b32_e32 v1, 7, v32
	v_ffbh_u32_e32 v2, v1
	v_min_u32_e32 v6, 32, v2
	v_subrev_u32_e32 v2, 28, v6
	v_lshlrev_b64 v[2:3], v2, v[32:33]
	v_lshrrev_b32_e32 v5, 3, v0
	v_sub_u32_e32 v3, 29, v6
	v_cmp_gt_u32_e32 vcc, 8, v0
	v_and_b32_e32 v2, 7, v2
	v_cndmask_b32_e32 v0, v5, v3, vcc
	v_mov_b32_e32 v3, 0x2000
	v_cndmask_b32_e32 v1, v1, v2, vcc
	v_lshlrev_b32_e32 v2, 8, v32
	v_lshl_add_u32 v0, v0, 10, v3
	v_and_or_b32 v0, v2, s40, v0
	v_lshl_or_b32 v0, v1, 7, v0
	v_cvt_f32_f16_e32 v0, v0
	buffer_store_dword v0, off, s[0:3], s32 offset:360 ; 4-byte Folded Spill
.LBB325_242:                            ;   in Loop: Header=BB325_10 Depth=1
	s_or_b64 exec, exec, s[36:37]
.LBB325_243:                            ;   in Loop: Header=BB325_10 Depth=1
	s_or_b64 exec, exec, s[34:35]
.LBB325_244:                            ;   in Loop: Header=BB325_10 Depth=1
	s_or_b64 exec, exec, s[30:31]
	v_cmp_lt_u32_e32 vcc, s41, v30
	s_and_saveexec_b64 s[30:31], vcc
	s_cbranch_execz .LBB325_250
; %bb.245:                              ;   in Loop: Header=BB325_10 Depth=1
	v_lshrrev_b32_e32 v30, 24, v30
	v_cmp_ne_u32_e32 vcc, s21, v30
	v_bfrev_b32_e32 v0, 1
	buffer_store_dword v0, off, s[0:3], s32 offset:356 ; 4-byte Folded Spill
	s_and_saveexec_b64 s[34:35], vcc
	s_cbranch_execz .LBB325_249
; %bb.246:                              ;   in Loop: Header=BB325_10 Depth=1
	v_and_b32_e32 v0, 0x7f, v30
	v_cmp_ne_u32_e32 vcc, s39, v0
	v_mov_b32_e32 v1, 0x7fc02000
	buffer_store_dword v1, off, s[0:3], s32 offset:356 ; 4-byte Folded Spill
	s_and_saveexec_b64 s[36:37], vcc
	s_cbranch_execz .LBB325_248
; %bb.247:                              ;   in Loop: Header=BB325_10 Depth=1
	v_and_b32_e32 v1, 7, v30
	v_ffbh_u32_e32 v2, v1
	v_min_u32_e32 v6, 32, v2
	v_subrev_u32_e32 v2, 28, v6
	v_lshlrev_b64 v[2:3], v2, v[30:31]
	v_lshrrev_b32_e32 v5, 3, v0
	v_sub_u32_e32 v3, 29, v6
	v_cmp_gt_u32_e32 vcc, 8, v0
	v_and_b32_e32 v2, 7, v2
	v_cndmask_b32_e32 v0, v5, v3, vcc
	v_mov_b32_e32 v3, 0x2000
	v_cndmask_b32_e32 v1, v1, v2, vcc
	v_lshlrev_b32_e32 v2, 8, v30
	v_lshl_add_u32 v0, v0, 10, v3
	v_and_or_b32 v0, v2, s40, v0
	v_lshl_or_b32 v0, v1, 7, v0
	v_cvt_f32_f16_e32 v0, v0
	buffer_store_dword v0, off, s[0:3], s32 offset:356 ; 4-byte Folded Spill
.LBB325_248:                            ;   in Loop: Header=BB325_10 Depth=1
	s_or_b64 exec, exec, s[36:37]
.LBB325_249:                            ;   in Loop: Header=BB325_10 Depth=1
	s_or_b64 exec, exec, s[34:35]
.LBB325_250:                            ;   in Loop: Header=BB325_10 Depth=1
	s_or_b64 exec, exec, s[30:31]
	flat_load_dword v30, v[28:29] offset:2560
	v_mov_b32_e32 v0, 0
	buffer_store_dword v0, off, s[0:3], s32 offset:368 ; 4-byte Folded Spill
	v_mov_b32_e32 v0, 0
	buffer_store_dword v0, off, s[0:3], s32 offset:364 ; 4-byte Folded Spill
	s_waitcnt vmcnt(0) lgkmcnt(0)
	v_cmp_ne_u16_sdwa vcc, v30, v35 src0_sel:BYTE_0 src1_sel:DWORD
	s_and_saveexec_b64 s[30:31], vcc
	s_cbranch_execz .LBB325_256
; %bb.251:                              ;   in Loop: Header=BB325_10 Depth=1
	v_cmp_ne_u16_sdwa vcc, v30, s21 src0_sel:BYTE_0 src1_sel:DWORD
	v_bfrev_b32_e32 v0, 1
	buffer_store_dword v0, off, s[0:3], s32 offset:364 ; 4-byte Folded Spill
	s_and_saveexec_b64 s[34:35], vcc
	s_cbranch_execz .LBB325_255
; %bb.252:                              ;   in Loop: Header=BB325_10 Depth=1
	v_and_b32_e32 v0, 0x7f, v30
	v_cmp_ne_u32_e32 vcc, s39, v0
	v_mov_b32_e32 v1, 0x7fc02000
	buffer_store_dword v1, off, s[0:3], s32 offset:364 ; 4-byte Folded Spill
	s_and_saveexec_b64 s[36:37], vcc
	s_cbranch_execz .LBB325_254
; %bb.253:                              ;   in Loop: Header=BB325_10 Depth=1
	v_and_b32_e32 v1, 7, v30
	v_ffbh_u32_e32 v2, v1
	v_min_u32_e32 v6, 32, v2
	v_subrev_u32_e32 v2, 28, v6
	v_lshlrev_b64 v[2:3], v2, v[30:31]
	v_lshrrev_b32_e32 v5, 3, v0
	v_sub_u32_e32 v3, 29, v6
	v_cmp_gt_u32_e32 vcc, 8, v0
	v_and_b32_e32 v2, 7, v2
	v_cndmask_b32_e32 v0, v5, v3, vcc
	v_mov_b32_e32 v3, 0x2000
	v_cndmask_b32_e32 v1, v1, v2, vcc
	v_lshlrev_b32_e32 v2, 8, v30
	v_lshl_add_u32 v0, v0, 10, v3
	v_and_or_b32 v0, v2, s40, v0
	v_lshl_or_b32 v0, v1, 7, v0
	v_cvt_f32_f16_e32 v0, v0
	buffer_store_dword v0, off, s[0:3], s32 offset:364 ; 4-byte Folded Spill
.LBB325_254:                            ;   in Loop: Header=BB325_10 Depth=1
	s_or_b64 exec, exec, s[36:37]
.LBB325_255:                            ;   in Loop: Header=BB325_10 Depth=1
	s_or_b64 exec, exec, s[34:35]
.LBB325_256:                            ;   in Loop: Header=BB325_10 Depth=1
	s_or_b64 exec, exec, s[30:31]
	v_lshrrev_b16_e32 v32, 8, v30
	v_cmp_ne_u16_e32 vcc, 0, v32
	s_and_saveexec_b64 s[30:31], vcc
	s_cbranch_execz .LBB325_262
; %bb.257:                              ;   in Loop: Header=BB325_10 Depth=1
	v_cmp_ne_u16_e32 vcc, s21, v32
	v_bfrev_b32_e32 v0, 1
	buffer_store_dword v0, off, s[0:3], s32 offset:368 ; 4-byte Folded Spill
	s_and_saveexec_b64 s[34:35], vcc
	s_cbranch_execz .LBB325_261
; %bb.258:                              ;   in Loop: Header=BB325_10 Depth=1
	v_and_b32_e32 v0, 0x7f, v32
	v_cmp_ne_u32_e32 vcc, s39, v0
	v_mov_b32_e32 v1, 0x7fc02000
	buffer_store_dword v1, off, s[0:3], s32 offset:368 ; 4-byte Folded Spill
	s_and_saveexec_b64 s[36:37], vcc
	s_cbranch_execz .LBB325_260
; %bb.259:                              ;   in Loop: Header=BB325_10 Depth=1
	v_and_b32_e32 v2, 7, v32
	v_lshrrev_b32_e32 v3, 3, v0
	v_cmp_gt_u32_e32 vcc, 8, v0
	v_ffbh_u32_e32 v0, v2
	v_min_u32_e32 v5, 32, v0
	v_subrev_u32_e32 v0, 28, v5
	v_lshlrev_b64 v[0:1], v0, v[32:33]
	v_sub_u32_e32 v1, 29, v5
	v_and_b32_e32 v0, 7, v0
	v_cndmask_b32_e32 v1, v3, v1, vcc
	v_mov_b32_e32 v3, 0x2000
	v_cndmask_b32_e32 v0, v2, v0, vcc
	v_lshlrev_b32_e32 v2, 8, v32
	v_lshl_add_u32 v1, v1, 10, v3
	v_and_or_b32 v1, v2, s40, v1
	v_lshl_or_b32 v0, v0, 7, v1
	v_cvt_f32_f16_e32 v0, v0
	buffer_store_dword v0, off, s[0:3], s32 offset:368 ; 4-byte Folded Spill
.LBB325_260:                            ;   in Loop: Header=BB325_10 Depth=1
	s_or_b64 exec, exec, s[36:37]
.LBB325_261:                            ;   in Loop: Header=BB325_10 Depth=1
	s_or_b64 exec, exec, s[34:35]
.LBB325_262:                            ;   in Loop: Header=BB325_10 Depth=1
	s_or_b64 exec, exec, s[30:31]
	v_lshrrev_b32_e32 v32, 16, v30
	v_mov_b32_e32 v0, 0
	v_cmp_ne_u16_sdwa vcc, v32, v35 src0_sel:BYTE_0 src1_sel:DWORD
	buffer_store_dword v0, off, s[0:3], s32 offset:372 ; 4-byte Folded Spill
	v_mov_b32_e32 v0, 0
	buffer_store_dword v0, off, s[0:3], s32 offset:376 ; 4-byte Folded Spill
	s_and_saveexec_b64 s[30:31], vcc
	s_cbranch_execz .LBB325_268
; %bb.263:                              ;   in Loop: Header=BB325_10 Depth=1
	v_cmp_ne_u16_sdwa vcc, v32, s21 src0_sel:BYTE_0 src1_sel:DWORD
	v_bfrev_b32_e32 v0, 1
	buffer_store_dword v0, off, s[0:3], s32 offset:376 ; 4-byte Folded Spill
	s_and_saveexec_b64 s[34:35], vcc
	s_cbranch_execz .LBB325_267
; %bb.264:                              ;   in Loop: Header=BB325_10 Depth=1
	v_bfe_u32 v0, v30, 16, 7
	v_cmp_ne_u32_e32 vcc, s39, v0
	v_mov_b32_e32 v1, 0x7fc02000
	buffer_store_dword v1, off, s[0:3], s32 offset:376 ; 4-byte Folded Spill
	s_and_saveexec_b64 s[36:37], vcc
	s_cbranch_execz .LBB325_266
; %bb.265:                              ;   in Loop: Header=BB325_10 Depth=1
	v_and_b32_e32 v1, 7, v32
	v_ffbh_u32_e32 v2, v1
	v_min_u32_e32 v6, 32, v2
	v_subrev_u32_e32 v2, 28, v6
	v_lshlrev_b64 v[2:3], v2, v[32:33]
	v_lshrrev_b32_e32 v5, 3, v0
	v_sub_u32_e32 v3, 29, v6
	v_cmp_gt_u32_e32 vcc, 8, v0
	v_and_b32_e32 v2, 7, v2
	v_cndmask_b32_e32 v0, v5, v3, vcc
	v_mov_b32_e32 v3, 0x2000
	v_cndmask_b32_e32 v1, v1, v2, vcc
	v_lshlrev_b32_e32 v2, 8, v32
	v_lshl_add_u32 v0, v0, 10, v3
	v_and_or_b32 v0, v2, s40, v0
	v_lshl_or_b32 v0, v1, 7, v0
	v_cvt_f32_f16_e32 v0, v0
	buffer_store_dword v0, off, s[0:3], s32 offset:376 ; 4-byte Folded Spill
.LBB325_266:                            ;   in Loop: Header=BB325_10 Depth=1
	s_or_b64 exec, exec, s[36:37]
.LBB325_267:                            ;   in Loop: Header=BB325_10 Depth=1
	s_or_b64 exec, exec, s[34:35]
.LBB325_268:                            ;   in Loop: Header=BB325_10 Depth=1
	s_or_b64 exec, exec, s[30:31]
	v_cmp_lt_u32_e32 vcc, s41, v30
	s_and_saveexec_b64 s[30:31], vcc
	s_cbranch_execz .LBB325_274
; %bb.269:                              ;   in Loop: Header=BB325_10 Depth=1
	v_lshrrev_b32_e32 v30, 24, v30
	v_cmp_ne_u32_e32 vcc, s21, v30
	v_bfrev_b32_e32 v0, 1
	buffer_store_dword v0, off, s[0:3], s32 offset:372 ; 4-byte Folded Spill
	s_and_saveexec_b64 s[34:35], vcc
	s_cbranch_execz .LBB325_273
; %bb.270:                              ;   in Loop: Header=BB325_10 Depth=1
	v_and_b32_e32 v0, 0x7f, v30
	v_cmp_ne_u32_e32 vcc, s39, v0
	v_mov_b32_e32 v1, 0x7fc02000
	buffer_store_dword v1, off, s[0:3], s32 offset:372 ; 4-byte Folded Spill
	s_and_saveexec_b64 s[36:37], vcc
	s_cbranch_execz .LBB325_272
; %bb.271:                              ;   in Loop: Header=BB325_10 Depth=1
	v_and_b32_e32 v1, 7, v30
	v_ffbh_u32_e32 v2, v1
	v_min_u32_e32 v6, 32, v2
	v_subrev_u32_e32 v2, 28, v6
	v_lshlrev_b64 v[2:3], v2, v[30:31]
	v_lshrrev_b32_e32 v5, 3, v0
	v_sub_u32_e32 v3, 29, v6
	v_cmp_gt_u32_e32 vcc, 8, v0
	v_and_b32_e32 v2, 7, v2
	v_cndmask_b32_e32 v0, v5, v3, vcc
	v_mov_b32_e32 v3, 0x2000
	v_cndmask_b32_e32 v1, v1, v2, vcc
	v_lshlrev_b32_e32 v2, 8, v30
	v_lshl_add_u32 v0, v0, 10, v3
	v_and_or_b32 v0, v2, s40, v0
	v_lshl_or_b32 v0, v1, 7, v0
	v_cvt_f32_f16_e32 v0, v0
	buffer_store_dword v0, off, s[0:3], s32 offset:372 ; 4-byte Folded Spill
.LBB325_272:                            ;   in Loop: Header=BB325_10 Depth=1
	s_or_b64 exec, exec, s[36:37]
.LBB325_273:                            ;   in Loop: Header=BB325_10 Depth=1
	s_or_b64 exec, exec, s[34:35]
.LBB325_274:                            ;   in Loop: Header=BB325_10 Depth=1
	s_or_b64 exec, exec, s[30:31]
	flat_load_dword v30, v[28:29] offset:2568
	v_mov_b32_e32 v0, 0
	buffer_store_dword v0, off, s[0:3], s32 offset:380 ; 4-byte Folded Spill
	v_mov_b32_e32 v0, 0
	buffer_store_dword v0, off, s[0:3], s32 offset:384 ; 4-byte Folded Spill
	s_waitcnt vmcnt(0) lgkmcnt(0)
	v_cmp_ne_u16_sdwa vcc, v30, v35 src0_sel:BYTE_0 src1_sel:DWORD
	s_and_saveexec_b64 s[30:31], vcc
	s_cbranch_execz .LBB325_280
; %bb.275:                              ;   in Loop: Header=BB325_10 Depth=1
	v_cmp_ne_u16_sdwa vcc, v30, s21 src0_sel:BYTE_0 src1_sel:DWORD
	v_bfrev_b32_e32 v0, 1
	buffer_store_dword v0, off, s[0:3], s32 offset:384 ; 4-byte Folded Spill
	s_and_saveexec_b64 s[34:35], vcc
	s_cbranch_execz .LBB325_279
; %bb.276:                              ;   in Loop: Header=BB325_10 Depth=1
	v_and_b32_e32 v0, 0x7f, v30
	v_cmp_ne_u32_e32 vcc, s39, v0
	v_mov_b32_e32 v1, 0x7fc02000
	buffer_store_dword v1, off, s[0:3], s32 offset:384 ; 4-byte Folded Spill
	s_and_saveexec_b64 s[36:37], vcc
	s_cbranch_execz .LBB325_278
; %bb.277:                              ;   in Loop: Header=BB325_10 Depth=1
	v_and_b32_e32 v1, 7, v30
	v_ffbh_u32_e32 v2, v1
	v_min_u32_e32 v6, 32, v2
	v_subrev_u32_e32 v2, 28, v6
	v_lshlrev_b64 v[2:3], v2, v[30:31]
	v_lshrrev_b32_e32 v5, 3, v0
	v_sub_u32_e32 v3, 29, v6
	v_cmp_gt_u32_e32 vcc, 8, v0
	v_and_b32_e32 v2, 7, v2
	v_cndmask_b32_e32 v0, v5, v3, vcc
	v_mov_b32_e32 v3, 0x2000
	v_cndmask_b32_e32 v1, v1, v2, vcc
	v_lshlrev_b32_e32 v2, 8, v30
	v_lshl_add_u32 v0, v0, 10, v3
	v_and_or_b32 v0, v2, s40, v0
	v_lshl_or_b32 v0, v1, 7, v0
	v_cvt_f32_f16_e32 v0, v0
	buffer_store_dword v0, off, s[0:3], s32 offset:384 ; 4-byte Folded Spill
.LBB325_278:                            ;   in Loop: Header=BB325_10 Depth=1
	s_or_b64 exec, exec, s[36:37]
.LBB325_279:                            ;   in Loop: Header=BB325_10 Depth=1
	s_or_b64 exec, exec, s[34:35]
.LBB325_280:                            ;   in Loop: Header=BB325_10 Depth=1
	s_or_b64 exec, exec, s[30:31]
	v_lshrrev_b16_e32 v32, 8, v30
	v_cmp_ne_u16_e32 vcc, 0, v32
	s_and_saveexec_b64 s[30:31], vcc
	s_cbranch_execz .LBB325_286
; %bb.281:                              ;   in Loop: Header=BB325_10 Depth=1
	v_cmp_ne_u16_e32 vcc, s21, v32
	v_bfrev_b32_e32 v0, 1
	buffer_store_dword v0, off, s[0:3], s32 offset:380 ; 4-byte Folded Spill
	s_and_saveexec_b64 s[34:35], vcc
	s_cbranch_execz .LBB325_285
; %bb.282:                              ;   in Loop: Header=BB325_10 Depth=1
	v_and_b32_e32 v0, 0x7f, v32
	v_cmp_ne_u32_e32 vcc, s39, v0
	v_mov_b32_e32 v1, 0x7fc02000
	buffer_store_dword v1, off, s[0:3], s32 offset:380 ; 4-byte Folded Spill
	s_and_saveexec_b64 s[36:37], vcc
	s_cbranch_execz .LBB325_284
; %bb.283:                              ;   in Loop: Header=BB325_10 Depth=1
	v_and_b32_e32 v1, 7, v32
	v_ffbh_u32_e32 v2, v1
	v_min_u32_e32 v6, 32, v2
	v_subrev_u32_e32 v2, 28, v6
	v_lshlrev_b64 v[2:3], v2, v[32:33]
	v_lshrrev_b32_e32 v5, 3, v0
	v_sub_u32_e32 v3, 29, v6
	v_cmp_gt_u32_e32 vcc, 8, v0
	v_and_b32_e32 v2, 7, v2
	v_cndmask_b32_e32 v0, v5, v3, vcc
	v_mov_b32_e32 v3, 0x2000
	v_cndmask_b32_e32 v1, v1, v2, vcc
	v_lshlrev_b32_e32 v2, 8, v32
	v_lshl_add_u32 v0, v0, 10, v3
	v_and_or_b32 v0, v2, s40, v0
	v_lshl_or_b32 v0, v1, 7, v0
	v_cvt_f32_f16_e32 v0, v0
	buffer_store_dword v0, off, s[0:3], s32 offset:380 ; 4-byte Folded Spill
.LBB325_284:                            ;   in Loop: Header=BB325_10 Depth=1
	s_or_b64 exec, exec, s[36:37]
.LBB325_285:                            ;   in Loop: Header=BB325_10 Depth=1
	s_or_b64 exec, exec, s[34:35]
.LBB325_286:                            ;   in Loop: Header=BB325_10 Depth=1
	s_or_b64 exec, exec, s[30:31]
	v_lshrrev_b32_e32 v32, 16, v30
	v_mov_b32_e32 v0, 0
	v_cmp_ne_u16_sdwa vcc, v32, v35 src0_sel:BYTE_0 src1_sel:DWORD
	buffer_store_dword v0, off, s[0:3], s32 offset:388 ; 4-byte Folded Spill
	v_mov_b32_e32 v0, 0
	buffer_store_dword v0, off, s[0:3], s32 offset:392 ; 4-byte Folded Spill
	s_and_saveexec_b64 s[30:31], vcc
	s_cbranch_execz .LBB325_292
; %bb.287:                              ;   in Loop: Header=BB325_10 Depth=1
	v_cmp_ne_u16_sdwa vcc, v32, s21 src0_sel:BYTE_0 src1_sel:DWORD
	v_bfrev_b32_e32 v0, 1
	buffer_store_dword v0, off, s[0:3], s32 offset:392 ; 4-byte Folded Spill
	s_and_saveexec_b64 s[34:35], vcc
	s_cbranch_execz .LBB325_291
; %bb.288:                              ;   in Loop: Header=BB325_10 Depth=1
	v_bfe_u32 v0, v30, 16, 7
	v_cmp_ne_u32_e32 vcc, s39, v0
	v_mov_b32_e32 v1, 0x7fc02000
	buffer_store_dword v1, off, s[0:3], s32 offset:392 ; 4-byte Folded Spill
	s_and_saveexec_b64 s[36:37], vcc
	s_cbranch_execz .LBB325_290
; %bb.289:                              ;   in Loop: Header=BB325_10 Depth=1
	v_and_b32_e32 v1, 7, v32
	v_ffbh_u32_e32 v2, v1
	v_min_u32_e32 v6, 32, v2
	v_subrev_u32_e32 v2, 28, v6
	v_lshlrev_b64 v[2:3], v2, v[32:33]
	v_lshrrev_b32_e32 v5, 3, v0
	v_sub_u32_e32 v3, 29, v6
	v_cmp_gt_u32_e32 vcc, 8, v0
	v_and_b32_e32 v2, 7, v2
	v_cndmask_b32_e32 v0, v5, v3, vcc
	v_mov_b32_e32 v3, 0x2000
	v_cndmask_b32_e32 v1, v1, v2, vcc
	v_lshlrev_b32_e32 v2, 8, v32
	v_lshl_add_u32 v0, v0, 10, v3
	v_and_or_b32 v0, v2, s40, v0
	v_lshl_or_b32 v0, v1, 7, v0
	v_cvt_f32_f16_e32 v0, v0
	buffer_store_dword v0, off, s[0:3], s32 offset:392 ; 4-byte Folded Spill
.LBB325_290:                            ;   in Loop: Header=BB325_10 Depth=1
	s_or_b64 exec, exec, s[36:37]
.LBB325_291:                            ;   in Loop: Header=BB325_10 Depth=1
	s_or_b64 exec, exec, s[34:35]
.LBB325_292:                            ;   in Loop: Header=BB325_10 Depth=1
	s_or_b64 exec, exec, s[30:31]
	v_cmp_lt_u32_e32 vcc, s41, v30
	s_and_saveexec_b64 s[30:31], vcc
	s_cbranch_execz .LBB325_298
; %bb.293:                              ;   in Loop: Header=BB325_10 Depth=1
	v_lshrrev_b32_e32 v30, 24, v30
	v_cmp_ne_u32_e32 vcc, s21, v30
	v_bfrev_b32_e32 v0, 1
	buffer_store_dword v0, off, s[0:3], s32 offset:388 ; 4-byte Folded Spill
	s_and_saveexec_b64 s[34:35], vcc
	s_cbranch_execz .LBB325_297
; %bb.294:                              ;   in Loop: Header=BB325_10 Depth=1
	v_and_b32_e32 v0, 0x7f, v30
	v_cmp_ne_u32_e32 vcc, s39, v0
	v_mov_b32_e32 v1, 0x7fc02000
	buffer_store_dword v1, off, s[0:3], s32 offset:388 ; 4-byte Folded Spill
	s_and_saveexec_b64 s[36:37], vcc
	s_cbranch_execz .LBB325_296
; %bb.295:                              ;   in Loop: Header=BB325_10 Depth=1
	v_and_b32_e32 v1, 7, v30
	v_ffbh_u32_e32 v2, v1
	v_min_u32_e32 v6, 32, v2
	v_subrev_u32_e32 v2, 28, v6
	v_lshlrev_b64 v[2:3], v2, v[30:31]
	v_lshrrev_b32_e32 v5, 3, v0
	v_sub_u32_e32 v3, 29, v6
	v_cmp_gt_u32_e32 vcc, 8, v0
	v_and_b32_e32 v2, 7, v2
	v_cndmask_b32_e32 v0, v5, v3, vcc
	v_mov_b32_e32 v3, 0x2000
	v_cndmask_b32_e32 v1, v1, v2, vcc
	v_lshlrev_b32_e32 v2, 8, v30
	v_lshl_add_u32 v0, v0, 10, v3
	v_and_or_b32 v0, v2, s40, v0
	v_lshl_or_b32 v0, v1, 7, v0
	v_cvt_f32_f16_e32 v0, v0
	buffer_store_dword v0, off, s[0:3], s32 offset:388 ; 4-byte Folded Spill
.LBB325_296:                            ;   in Loop: Header=BB325_10 Depth=1
	s_or_b64 exec, exec, s[36:37]
.LBB325_297:                            ;   in Loop: Header=BB325_10 Depth=1
	s_or_b64 exec, exec, s[34:35]
.LBB325_298:                            ;   in Loop: Header=BB325_10 Depth=1
	s_or_b64 exec, exec, s[30:31]
	flat_load_dword v30, v[28:29] offset:3072
	v_mov_b32_e32 v0, 0
	buffer_store_dword v0, off, s[0:3], s32 offset:396 ; 4-byte Folded Spill
	v_mov_b32_e32 v0, 0
	buffer_store_dword v0, off, s[0:3], s32 offset:400 ; 4-byte Folded Spill
	s_waitcnt vmcnt(0) lgkmcnt(0)
	v_cmp_ne_u16_sdwa vcc, v30, v35 src0_sel:BYTE_0 src1_sel:DWORD
	s_and_saveexec_b64 s[30:31], vcc
	s_cbranch_execz .LBB325_304
; %bb.299:                              ;   in Loop: Header=BB325_10 Depth=1
	v_cmp_ne_u16_sdwa vcc, v30, s21 src0_sel:BYTE_0 src1_sel:DWORD
	v_bfrev_b32_e32 v0, 1
	buffer_store_dword v0, off, s[0:3], s32 offset:400 ; 4-byte Folded Spill
	s_and_saveexec_b64 s[34:35], vcc
	s_cbranch_execz .LBB325_303
; %bb.300:                              ;   in Loop: Header=BB325_10 Depth=1
	v_and_b32_e32 v0, 0x7f, v30
	v_cmp_ne_u32_e32 vcc, s39, v0
	v_mov_b32_e32 v1, 0x7fc02000
	buffer_store_dword v1, off, s[0:3], s32 offset:400 ; 4-byte Folded Spill
	s_and_saveexec_b64 s[36:37], vcc
	s_cbranch_execz .LBB325_302
; %bb.301:                              ;   in Loop: Header=BB325_10 Depth=1
	v_and_b32_e32 v1, 7, v30
	v_ffbh_u32_e32 v2, v1
	v_min_u32_e32 v6, 32, v2
	v_subrev_u32_e32 v2, 28, v6
	v_lshlrev_b64 v[2:3], v2, v[30:31]
	v_lshrrev_b32_e32 v5, 3, v0
	v_sub_u32_e32 v3, 29, v6
	v_cmp_gt_u32_e32 vcc, 8, v0
	v_and_b32_e32 v2, 7, v2
	v_cndmask_b32_e32 v0, v5, v3, vcc
	v_mov_b32_e32 v3, 0x2000
	v_cndmask_b32_e32 v1, v1, v2, vcc
	v_lshlrev_b32_e32 v2, 8, v30
	v_lshl_add_u32 v0, v0, 10, v3
	v_and_or_b32 v0, v2, s40, v0
	v_lshl_or_b32 v0, v1, 7, v0
	v_cvt_f32_f16_e32 v0, v0
	buffer_store_dword v0, off, s[0:3], s32 offset:400 ; 4-byte Folded Spill
.LBB325_302:                            ;   in Loop: Header=BB325_10 Depth=1
	s_or_b64 exec, exec, s[36:37]
.LBB325_303:                            ;   in Loop: Header=BB325_10 Depth=1
	s_or_b64 exec, exec, s[34:35]
.LBB325_304:                            ;   in Loop: Header=BB325_10 Depth=1
	s_or_b64 exec, exec, s[30:31]
	v_lshrrev_b16_e32 v32, 8, v30
	v_cmp_ne_u16_e32 vcc, 0, v32
	s_and_saveexec_b64 s[30:31], vcc
	s_cbranch_execz .LBB325_310
; %bb.305:                              ;   in Loop: Header=BB325_10 Depth=1
	v_cmp_ne_u16_e32 vcc, s21, v32
	v_bfrev_b32_e32 v0, 1
	buffer_store_dword v0, off, s[0:3], s32 offset:396 ; 4-byte Folded Spill
	s_and_saveexec_b64 s[34:35], vcc
	s_cbranch_execz .LBB325_309
; %bb.306:                              ;   in Loop: Header=BB325_10 Depth=1
	v_and_b32_e32 v0, 0x7f, v32
	v_cmp_ne_u32_e32 vcc, s39, v0
	v_mov_b32_e32 v1, 0x7fc02000
	buffer_store_dword v1, off, s[0:3], s32 offset:396 ; 4-byte Folded Spill
	s_and_saveexec_b64 s[36:37], vcc
	s_cbranch_execz .LBB325_308
; %bb.307:                              ;   in Loop: Header=BB325_10 Depth=1
	v_and_b32_e32 v1, 7, v32
	v_ffbh_u32_e32 v2, v1
	v_min_u32_e32 v6, 32, v2
	v_subrev_u32_e32 v2, 28, v6
	v_lshlrev_b64 v[2:3], v2, v[32:33]
	v_lshrrev_b32_e32 v5, 3, v0
	v_sub_u32_e32 v3, 29, v6
	v_cmp_gt_u32_e32 vcc, 8, v0
	v_and_b32_e32 v2, 7, v2
	v_cndmask_b32_e32 v0, v5, v3, vcc
	v_mov_b32_e32 v3, 0x2000
	v_cndmask_b32_e32 v1, v1, v2, vcc
	v_lshlrev_b32_e32 v2, 8, v32
	v_lshl_add_u32 v0, v0, 10, v3
	v_and_or_b32 v0, v2, s40, v0
	v_lshl_or_b32 v0, v1, 7, v0
	v_cvt_f32_f16_e32 v0, v0
	buffer_store_dword v0, off, s[0:3], s32 offset:396 ; 4-byte Folded Spill
.LBB325_308:                            ;   in Loop: Header=BB325_10 Depth=1
	s_or_b64 exec, exec, s[36:37]
.LBB325_309:                            ;   in Loop: Header=BB325_10 Depth=1
	s_or_b64 exec, exec, s[34:35]
.LBB325_310:                            ;   in Loop: Header=BB325_10 Depth=1
	s_or_b64 exec, exec, s[30:31]
	v_lshrrev_b32_e32 v32, 16, v30
	v_mov_b32_e32 v0, 0
	v_cmp_ne_u16_sdwa vcc, v32, v35 src0_sel:BYTE_0 src1_sel:DWORD
	buffer_store_dword v0, off, s[0:3], s32 offset:404 ; 4-byte Folded Spill
	v_mov_b32_e32 v0, 0
	buffer_store_dword v0, off, s[0:3], s32 offset:408 ; 4-byte Folded Spill
	s_and_saveexec_b64 s[30:31], vcc
	s_cbranch_execz .LBB325_316
; %bb.311:                              ;   in Loop: Header=BB325_10 Depth=1
	v_cmp_ne_u16_sdwa vcc, v32, s21 src0_sel:BYTE_0 src1_sel:DWORD
	v_bfrev_b32_e32 v0, 1
	buffer_store_dword v0, off, s[0:3], s32 offset:408 ; 4-byte Folded Spill
	s_and_saveexec_b64 s[34:35], vcc
	s_cbranch_execz .LBB325_315
; %bb.312:                              ;   in Loop: Header=BB325_10 Depth=1
	v_bfe_u32 v0, v30, 16, 7
	v_cmp_ne_u32_e32 vcc, s39, v0
	v_mov_b32_e32 v1, 0x7fc02000
	buffer_store_dword v1, off, s[0:3], s32 offset:408 ; 4-byte Folded Spill
	s_and_saveexec_b64 s[36:37], vcc
	s_cbranch_execz .LBB325_314
; %bb.313:                              ;   in Loop: Header=BB325_10 Depth=1
	v_and_b32_e32 v1, 7, v32
	v_ffbh_u32_e32 v2, v1
	v_min_u32_e32 v6, 32, v2
	v_subrev_u32_e32 v2, 28, v6
	v_lshlrev_b64 v[2:3], v2, v[32:33]
	v_lshrrev_b32_e32 v5, 3, v0
	v_sub_u32_e32 v3, 29, v6
	v_cmp_gt_u32_e32 vcc, 8, v0
	v_and_b32_e32 v2, 7, v2
	v_cndmask_b32_e32 v0, v5, v3, vcc
	v_mov_b32_e32 v3, 0x2000
	v_cndmask_b32_e32 v1, v1, v2, vcc
	v_lshlrev_b32_e32 v2, 8, v32
	v_lshl_add_u32 v0, v0, 10, v3
	v_and_or_b32 v0, v2, s40, v0
	v_lshl_or_b32 v0, v1, 7, v0
	v_cvt_f32_f16_e32 v0, v0
	buffer_store_dword v0, off, s[0:3], s32 offset:408 ; 4-byte Folded Spill
.LBB325_314:                            ;   in Loop: Header=BB325_10 Depth=1
	s_or_b64 exec, exec, s[36:37]
.LBB325_315:                            ;   in Loop: Header=BB325_10 Depth=1
	s_or_b64 exec, exec, s[34:35]
.LBB325_316:                            ;   in Loop: Header=BB325_10 Depth=1
	s_or_b64 exec, exec, s[30:31]
	v_cmp_lt_u32_e32 vcc, s41, v30
	s_and_saveexec_b64 s[30:31], vcc
	s_cbranch_execz .LBB325_322
; %bb.317:                              ;   in Loop: Header=BB325_10 Depth=1
	v_lshrrev_b32_e32 v30, 24, v30
	v_cmp_ne_u32_e32 vcc, s21, v30
	v_bfrev_b32_e32 v0, 1
	buffer_store_dword v0, off, s[0:3], s32 offset:404 ; 4-byte Folded Spill
	s_and_saveexec_b64 s[34:35], vcc
	s_cbranch_execz .LBB325_321
; %bb.318:                              ;   in Loop: Header=BB325_10 Depth=1
	v_and_b32_e32 v0, 0x7f, v30
	v_cmp_ne_u32_e32 vcc, s39, v0
	v_mov_b32_e32 v1, 0x7fc02000
	buffer_store_dword v1, off, s[0:3], s32 offset:404 ; 4-byte Folded Spill
	s_and_saveexec_b64 s[36:37], vcc
	s_cbranch_execz .LBB325_320
; %bb.319:                              ;   in Loop: Header=BB325_10 Depth=1
	v_and_b32_e32 v1, 7, v30
	v_ffbh_u32_e32 v2, v1
	v_min_u32_e32 v6, 32, v2
	v_subrev_u32_e32 v2, 28, v6
	v_lshlrev_b64 v[2:3], v2, v[30:31]
	v_lshrrev_b32_e32 v5, 3, v0
	v_sub_u32_e32 v3, 29, v6
	v_cmp_gt_u32_e32 vcc, 8, v0
	v_and_b32_e32 v2, 7, v2
	v_cndmask_b32_e32 v0, v5, v3, vcc
	v_mov_b32_e32 v3, 0x2000
	v_cndmask_b32_e32 v1, v1, v2, vcc
	v_lshlrev_b32_e32 v2, 8, v30
	v_lshl_add_u32 v0, v0, 10, v3
	v_and_or_b32 v0, v2, s40, v0
	v_lshl_or_b32 v0, v1, 7, v0
	v_cvt_f32_f16_e32 v0, v0
	buffer_store_dword v0, off, s[0:3], s32 offset:404 ; 4-byte Folded Spill
.LBB325_320:                            ;   in Loop: Header=BB325_10 Depth=1
	s_or_b64 exec, exec, s[36:37]
.LBB325_321:                            ;   in Loop: Header=BB325_10 Depth=1
	s_or_b64 exec, exec, s[34:35]
.LBB325_322:                            ;   in Loop: Header=BB325_10 Depth=1
	s_or_b64 exec, exec, s[30:31]
	flat_load_dword v30, v[28:29] offset:3080
	v_mov_b32_e32 v0, 0
	buffer_store_dword v0, off, s[0:3], s32 offset:412 ; 4-byte Folded Spill
	v_mov_b32_e32 v0, 0
	buffer_store_dword v0, off, s[0:3], s32 offset:416 ; 4-byte Folded Spill
	s_waitcnt vmcnt(0) lgkmcnt(0)
	v_cmp_ne_u16_sdwa vcc, v30, v35 src0_sel:BYTE_0 src1_sel:DWORD
	s_and_saveexec_b64 s[30:31], vcc
	s_cbranch_execz .LBB325_328
; %bb.323:                              ;   in Loop: Header=BB325_10 Depth=1
	v_cmp_ne_u16_sdwa vcc, v30, s21 src0_sel:BYTE_0 src1_sel:DWORD
	v_bfrev_b32_e32 v0, 1
	buffer_store_dword v0, off, s[0:3], s32 offset:416 ; 4-byte Folded Spill
	s_and_saveexec_b64 s[34:35], vcc
	s_cbranch_execz .LBB325_327
; %bb.324:                              ;   in Loop: Header=BB325_10 Depth=1
	v_and_b32_e32 v0, 0x7f, v30
	v_cmp_ne_u32_e32 vcc, s39, v0
	v_mov_b32_e32 v1, 0x7fc02000
	buffer_store_dword v1, off, s[0:3], s32 offset:416 ; 4-byte Folded Spill
	s_and_saveexec_b64 s[36:37], vcc
	s_cbranch_execz .LBB325_326
; %bb.325:                              ;   in Loop: Header=BB325_10 Depth=1
	v_and_b32_e32 v1, 7, v30
	v_ffbh_u32_e32 v2, v1
	v_min_u32_e32 v6, 32, v2
	v_subrev_u32_e32 v2, 28, v6
	v_lshlrev_b64 v[2:3], v2, v[30:31]
	v_lshrrev_b32_e32 v5, 3, v0
	v_sub_u32_e32 v3, 29, v6
	v_cmp_gt_u32_e32 vcc, 8, v0
	v_and_b32_e32 v2, 7, v2
	v_cndmask_b32_e32 v0, v5, v3, vcc
	v_mov_b32_e32 v3, 0x2000
	v_cndmask_b32_e32 v1, v1, v2, vcc
	v_lshlrev_b32_e32 v2, 8, v30
	v_lshl_add_u32 v0, v0, 10, v3
	v_and_or_b32 v0, v2, s40, v0
	v_lshl_or_b32 v0, v1, 7, v0
	v_cvt_f32_f16_e32 v0, v0
	buffer_store_dword v0, off, s[0:3], s32 offset:416 ; 4-byte Folded Spill
.LBB325_326:                            ;   in Loop: Header=BB325_10 Depth=1
	s_or_b64 exec, exec, s[36:37]
.LBB325_327:                            ;   in Loop: Header=BB325_10 Depth=1
	s_or_b64 exec, exec, s[34:35]
.LBB325_328:                            ;   in Loop: Header=BB325_10 Depth=1
	s_or_b64 exec, exec, s[30:31]
	v_lshrrev_b16_e32 v32, 8, v30
	v_cmp_ne_u16_e32 vcc, 0, v32
	s_and_saveexec_b64 s[30:31], vcc
	s_cbranch_execz .LBB325_334
; %bb.329:                              ;   in Loop: Header=BB325_10 Depth=1
	v_cmp_ne_u16_e32 vcc, s21, v32
	v_bfrev_b32_e32 v0, 1
	buffer_store_dword v0, off, s[0:3], s32 offset:412 ; 4-byte Folded Spill
	s_and_saveexec_b64 s[34:35], vcc
	s_cbranch_execz .LBB325_333
; %bb.330:                              ;   in Loop: Header=BB325_10 Depth=1
	v_and_b32_e32 v0, 0x7f, v32
	v_cmp_ne_u32_e32 vcc, s39, v0
	v_mov_b32_e32 v1, 0x7fc02000
	buffer_store_dword v1, off, s[0:3], s32 offset:412 ; 4-byte Folded Spill
	s_and_saveexec_b64 s[36:37], vcc
	s_cbranch_execz .LBB325_332
; %bb.331:                              ;   in Loop: Header=BB325_10 Depth=1
	v_and_b32_e32 v1, 7, v32
	v_ffbh_u32_e32 v2, v1
	v_min_u32_e32 v6, 32, v2
	v_subrev_u32_e32 v2, 28, v6
	v_lshlrev_b64 v[2:3], v2, v[32:33]
	v_lshrrev_b32_e32 v5, 3, v0
	v_sub_u32_e32 v3, 29, v6
	v_cmp_gt_u32_e32 vcc, 8, v0
	v_and_b32_e32 v2, 7, v2
	v_cndmask_b32_e32 v0, v5, v3, vcc
	v_mov_b32_e32 v3, 0x2000
	v_cndmask_b32_e32 v1, v1, v2, vcc
	v_lshlrev_b32_e32 v2, 8, v32
	v_lshl_add_u32 v0, v0, 10, v3
	v_and_or_b32 v0, v2, s40, v0
	v_lshl_or_b32 v0, v1, 7, v0
	v_cvt_f32_f16_e32 v0, v0
	buffer_store_dword v0, off, s[0:3], s32 offset:412 ; 4-byte Folded Spill
.LBB325_332:                            ;   in Loop: Header=BB325_10 Depth=1
	s_or_b64 exec, exec, s[36:37]
.LBB325_333:                            ;   in Loop: Header=BB325_10 Depth=1
	s_or_b64 exec, exec, s[34:35]
.LBB325_334:                            ;   in Loop: Header=BB325_10 Depth=1
	s_or_b64 exec, exec, s[30:31]
	v_lshrrev_b32_e32 v32, 16, v30
	v_mov_b32_e32 v0, 0
	v_cmp_ne_u16_sdwa vcc, v32, v35 src0_sel:BYTE_0 src1_sel:DWORD
	buffer_store_dword v0, off, s[0:3], s32 offset:420 ; 4-byte Folded Spill
	v_mov_b32_e32 v0, 0
	buffer_store_dword v0, off, s[0:3], s32 offset:424 ; 4-byte Folded Spill
	s_and_saveexec_b64 s[30:31], vcc
	s_cbranch_execz .LBB325_340
; %bb.335:                              ;   in Loop: Header=BB325_10 Depth=1
	v_cmp_ne_u16_sdwa vcc, v32, s21 src0_sel:BYTE_0 src1_sel:DWORD
	v_bfrev_b32_e32 v0, 1
	buffer_store_dword v0, off, s[0:3], s32 offset:424 ; 4-byte Folded Spill
	s_and_saveexec_b64 s[34:35], vcc
	s_cbranch_execz .LBB325_339
; %bb.336:                              ;   in Loop: Header=BB325_10 Depth=1
	v_bfe_u32 v0, v30, 16, 7
	v_cmp_ne_u32_e32 vcc, s39, v0
	v_mov_b32_e32 v1, 0x7fc02000
	buffer_store_dword v1, off, s[0:3], s32 offset:424 ; 4-byte Folded Spill
	s_and_saveexec_b64 s[36:37], vcc
	s_cbranch_execz .LBB325_338
; %bb.337:                              ;   in Loop: Header=BB325_10 Depth=1
	v_and_b32_e32 v1, 7, v32
	v_ffbh_u32_e32 v2, v1
	v_min_u32_e32 v6, 32, v2
	v_subrev_u32_e32 v2, 28, v6
	v_lshlrev_b64 v[2:3], v2, v[32:33]
	v_lshrrev_b32_e32 v5, 3, v0
	v_sub_u32_e32 v3, 29, v6
	v_cmp_gt_u32_e32 vcc, 8, v0
	v_and_b32_e32 v2, 7, v2
	v_cndmask_b32_e32 v0, v5, v3, vcc
	v_mov_b32_e32 v3, 0x2000
	v_cndmask_b32_e32 v1, v1, v2, vcc
	v_lshlrev_b32_e32 v2, 8, v32
	v_lshl_add_u32 v0, v0, 10, v3
	v_and_or_b32 v0, v2, s40, v0
	v_lshl_or_b32 v0, v1, 7, v0
	v_cvt_f32_f16_e32 v0, v0
	buffer_store_dword v0, off, s[0:3], s32 offset:424 ; 4-byte Folded Spill
.LBB325_338:                            ;   in Loop: Header=BB325_10 Depth=1
	s_or_b64 exec, exec, s[36:37]
.LBB325_339:                            ;   in Loop: Header=BB325_10 Depth=1
	s_or_b64 exec, exec, s[34:35]
.LBB325_340:                            ;   in Loop: Header=BB325_10 Depth=1
	s_or_b64 exec, exec, s[30:31]
	v_cmp_lt_u32_e32 vcc, s41, v30
	s_and_saveexec_b64 s[30:31], vcc
	s_cbranch_execz .LBB325_346
; %bb.341:                              ;   in Loop: Header=BB325_10 Depth=1
	v_lshrrev_b32_e32 v30, 24, v30
	v_cmp_ne_u32_e32 vcc, s21, v30
	v_bfrev_b32_e32 v0, 1
	buffer_store_dword v0, off, s[0:3], s32 offset:420 ; 4-byte Folded Spill
	s_and_saveexec_b64 s[34:35], vcc
	s_cbranch_execz .LBB325_345
; %bb.342:                              ;   in Loop: Header=BB325_10 Depth=1
	v_and_b32_e32 v0, 0x7f, v30
	v_cmp_ne_u32_e32 vcc, s39, v0
	v_mov_b32_e32 v1, 0x7fc02000
	buffer_store_dword v1, off, s[0:3], s32 offset:420 ; 4-byte Folded Spill
	s_and_saveexec_b64 s[36:37], vcc
	s_cbranch_execz .LBB325_344
; %bb.343:                              ;   in Loop: Header=BB325_10 Depth=1
	v_and_b32_e32 v1, 7, v30
	v_ffbh_u32_e32 v2, v1
	v_min_u32_e32 v6, 32, v2
	v_subrev_u32_e32 v2, 28, v6
	v_lshlrev_b64 v[2:3], v2, v[30:31]
	v_lshrrev_b32_e32 v5, 3, v0
	v_sub_u32_e32 v3, 29, v6
	v_cmp_gt_u32_e32 vcc, 8, v0
	v_and_b32_e32 v2, 7, v2
	v_cndmask_b32_e32 v0, v5, v3, vcc
	v_mov_b32_e32 v3, 0x2000
	v_cndmask_b32_e32 v1, v1, v2, vcc
	v_lshlrev_b32_e32 v2, 8, v30
	v_lshl_add_u32 v0, v0, 10, v3
	v_and_or_b32 v0, v2, s40, v0
	v_lshl_or_b32 v0, v1, 7, v0
	v_cvt_f32_f16_e32 v0, v0
	buffer_store_dword v0, off, s[0:3], s32 offset:420 ; 4-byte Folded Spill
.LBB325_344:                            ;   in Loop: Header=BB325_10 Depth=1
	s_or_b64 exec, exec, s[36:37]
.LBB325_345:                            ;   in Loop: Header=BB325_10 Depth=1
	s_or_b64 exec, exec, s[34:35]
.LBB325_346:                            ;   in Loop: Header=BB325_10 Depth=1
	s_or_b64 exec, exec, s[30:31]
	flat_load_dword v30, v[28:29] offset:3584
	v_mov_b32_e32 v0, 0
	buffer_store_dword v0, off, s[0:3], s32 offset:428 ; 4-byte Folded Spill
	v_mov_b32_e32 v0, 0
	buffer_store_dword v0, off, s[0:3], s32 offset:432 ; 4-byte Folded Spill
	s_waitcnt vmcnt(0) lgkmcnt(0)
	v_cmp_ne_u16_sdwa vcc, v30, v35 src0_sel:BYTE_0 src1_sel:DWORD
	s_and_saveexec_b64 s[30:31], vcc
	s_cbranch_execz .LBB325_352
; %bb.347:                              ;   in Loop: Header=BB325_10 Depth=1
	v_cmp_ne_u16_sdwa vcc, v30, s21 src0_sel:BYTE_0 src1_sel:DWORD
	v_bfrev_b32_e32 v0, 1
	buffer_store_dword v0, off, s[0:3], s32 offset:432 ; 4-byte Folded Spill
	s_and_saveexec_b64 s[34:35], vcc
	s_cbranch_execz .LBB325_351
; %bb.348:                              ;   in Loop: Header=BB325_10 Depth=1
	v_and_b32_e32 v0, 0x7f, v30
	v_cmp_ne_u32_e32 vcc, s39, v0
	v_mov_b32_e32 v1, 0x7fc02000
	buffer_store_dword v1, off, s[0:3], s32 offset:432 ; 4-byte Folded Spill
	s_and_saveexec_b64 s[36:37], vcc
	s_cbranch_execz .LBB325_350
; %bb.349:                              ;   in Loop: Header=BB325_10 Depth=1
	v_and_b32_e32 v1, 7, v30
	v_ffbh_u32_e32 v2, v1
	v_min_u32_e32 v6, 32, v2
	v_subrev_u32_e32 v2, 28, v6
	v_lshlrev_b64 v[2:3], v2, v[30:31]
	v_lshrrev_b32_e32 v5, 3, v0
	v_sub_u32_e32 v3, 29, v6
	v_cmp_gt_u32_e32 vcc, 8, v0
	v_and_b32_e32 v2, 7, v2
	v_cndmask_b32_e32 v0, v5, v3, vcc
	v_mov_b32_e32 v3, 0x2000
	v_cndmask_b32_e32 v1, v1, v2, vcc
	v_lshlrev_b32_e32 v2, 8, v30
	v_lshl_add_u32 v0, v0, 10, v3
	v_and_or_b32 v0, v2, s40, v0
	v_lshl_or_b32 v0, v1, 7, v0
	v_cvt_f32_f16_e32 v0, v0
	buffer_store_dword v0, off, s[0:3], s32 offset:432 ; 4-byte Folded Spill
.LBB325_350:                            ;   in Loop: Header=BB325_10 Depth=1
	s_or_b64 exec, exec, s[36:37]
.LBB325_351:                            ;   in Loop: Header=BB325_10 Depth=1
	s_or_b64 exec, exec, s[34:35]
.LBB325_352:                            ;   in Loop: Header=BB325_10 Depth=1
	s_or_b64 exec, exec, s[30:31]
	v_lshrrev_b16_e32 v32, 8, v30
	v_cmp_ne_u16_e32 vcc, 0, v32
	s_and_saveexec_b64 s[30:31], vcc
	s_cbranch_execz .LBB325_358
; %bb.353:                              ;   in Loop: Header=BB325_10 Depth=1
	v_cmp_ne_u16_e32 vcc, s21, v32
	v_bfrev_b32_e32 v0, 1
	buffer_store_dword v0, off, s[0:3], s32 offset:428 ; 4-byte Folded Spill
	s_and_saveexec_b64 s[34:35], vcc
	s_cbranch_execz .LBB325_357
; %bb.354:                              ;   in Loop: Header=BB325_10 Depth=1
	v_and_b32_e32 v0, 0x7f, v32
	v_cmp_ne_u32_e32 vcc, s39, v0
	v_mov_b32_e32 v1, 0x7fc02000
	buffer_store_dword v1, off, s[0:3], s32 offset:428 ; 4-byte Folded Spill
	s_and_saveexec_b64 s[36:37], vcc
	s_cbranch_execz .LBB325_356
; %bb.355:                              ;   in Loop: Header=BB325_10 Depth=1
	v_and_b32_e32 v1, 7, v32
	v_ffbh_u32_e32 v2, v1
	v_min_u32_e32 v6, 32, v2
	v_subrev_u32_e32 v2, 28, v6
	v_lshlrev_b64 v[2:3], v2, v[32:33]
	v_lshrrev_b32_e32 v5, 3, v0
	v_sub_u32_e32 v3, 29, v6
	v_cmp_gt_u32_e32 vcc, 8, v0
	v_and_b32_e32 v2, 7, v2
	v_cndmask_b32_e32 v0, v5, v3, vcc
	v_mov_b32_e32 v3, 0x2000
	v_cndmask_b32_e32 v1, v1, v2, vcc
	v_lshlrev_b32_e32 v2, 8, v32
	v_lshl_add_u32 v0, v0, 10, v3
	v_and_or_b32 v0, v2, s40, v0
	v_lshl_or_b32 v0, v1, 7, v0
	v_cvt_f32_f16_e32 v0, v0
	buffer_store_dword v0, off, s[0:3], s32 offset:428 ; 4-byte Folded Spill
.LBB325_356:                            ;   in Loop: Header=BB325_10 Depth=1
	s_or_b64 exec, exec, s[36:37]
.LBB325_357:                            ;   in Loop: Header=BB325_10 Depth=1
	s_or_b64 exec, exec, s[34:35]
.LBB325_358:                            ;   in Loop: Header=BB325_10 Depth=1
	s_or_b64 exec, exec, s[30:31]
	v_lshrrev_b32_e32 v32, 16, v30
	v_mov_b32_e32 v0, 0
	v_cmp_ne_u16_sdwa vcc, v32, v35 src0_sel:BYTE_0 src1_sel:DWORD
	buffer_store_dword v0, off, s[0:3], s32 offset:436 ; 4-byte Folded Spill
	v_mov_b32_e32 v0, 0
	buffer_store_dword v0, off, s[0:3], s32 offset:440 ; 4-byte Folded Spill
	s_and_saveexec_b64 s[30:31], vcc
	s_cbranch_execz .LBB325_364
; %bb.359:                              ;   in Loop: Header=BB325_10 Depth=1
	v_cmp_ne_u16_sdwa vcc, v32, s21 src0_sel:BYTE_0 src1_sel:DWORD
	v_bfrev_b32_e32 v0, 1
	buffer_store_dword v0, off, s[0:3], s32 offset:440 ; 4-byte Folded Spill
	s_and_saveexec_b64 s[34:35], vcc
	s_cbranch_execz .LBB325_363
; %bb.360:                              ;   in Loop: Header=BB325_10 Depth=1
	v_bfe_u32 v0, v30, 16, 7
	v_cmp_ne_u32_e32 vcc, s39, v0
	v_mov_b32_e32 v1, 0x7fc02000
	buffer_store_dword v1, off, s[0:3], s32 offset:440 ; 4-byte Folded Spill
	s_and_saveexec_b64 s[36:37], vcc
	s_cbranch_execz .LBB325_362
; %bb.361:                              ;   in Loop: Header=BB325_10 Depth=1
	v_and_b32_e32 v1, 7, v32
	v_ffbh_u32_e32 v2, v1
	v_min_u32_e32 v6, 32, v2
	v_subrev_u32_e32 v2, 28, v6
	v_lshlrev_b64 v[2:3], v2, v[32:33]
	v_lshrrev_b32_e32 v5, 3, v0
	v_sub_u32_e32 v3, 29, v6
	v_cmp_gt_u32_e32 vcc, 8, v0
	v_and_b32_e32 v2, 7, v2
	v_cndmask_b32_e32 v0, v5, v3, vcc
	v_mov_b32_e32 v3, 0x2000
	v_cndmask_b32_e32 v1, v1, v2, vcc
	v_lshlrev_b32_e32 v2, 8, v32
	v_lshl_add_u32 v0, v0, 10, v3
	v_and_or_b32 v0, v2, s40, v0
	v_lshl_or_b32 v0, v1, 7, v0
	v_cvt_f32_f16_e32 v0, v0
	buffer_store_dword v0, off, s[0:3], s32 offset:440 ; 4-byte Folded Spill
.LBB325_362:                            ;   in Loop: Header=BB325_10 Depth=1
	s_or_b64 exec, exec, s[36:37]
.LBB325_363:                            ;   in Loop: Header=BB325_10 Depth=1
	s_or_b64 exec, exec, s[34:35]
.LBB325_364:                            ;   in Loop: Header=BB325_10 Depth=1
	s_or_b64 exec, exec, s[30:31]
	v_cmp_lt_u32_e32 vcc, s41, v30
	s_and_saveexec_b64 s[30:31], vcc
	s_cbranch_execz .LBB325_370
; %bb.365:                              ;   in Loop: Header=BB325_10 Depth=1
	v_lshrrev_b32_e32 v30, 24, v30
	v_cmp_ne_u32_e32 vcc, s21, v30
	v_bfrev_b32_e32 v0, 1
	buffer_store_dword v0, off, s[0:3], s32 offset:436 ; 4-byte Folded Spill
	s_and_saveexec_b64 s[34:35], vcc
	s_cbranch_execz .LBB325_369
; %bb.366:                              ;   in Loop: Header=BB325_10 Depth=1
	v_and_b32_e32 v0, 0x7f, v30
	v_cmp_ne_u32_e32 vcc, s39, v0
	v_mov_b32_e32 v1, 0x7fc02000
	buffer_store_dword v1, off, s[0:3], s32 offset:436 ; 4-byte Folded Spill
	s_and_saveexec_b64 s[36:37], vcc
	s_cbranch_execz .LBB325_368
; %bb.367:                              ;   in Loop: Header=BB325_10 Depth=1
	v_and_b32_e32 v1, 7, v30
	v_ffbh_u32_e32 v2, v1
	v_min_u32_e32 v6, 32, v2
	v_subrev_u32_e32 v2, 28, v6
	v_lshlrev_b64 v[2:3], v2, v[30:31]
	v_lshrrev_b32_e32 v5, 3, v0
	v_sub_u32_e32 v3, 29, v6
	v_cmp_gt_u32_e32 vcc, 8, v0
	v_and_b32_e32 v2, 7, v2
	v_cndmask_b32_e32 v0, v5, v3, vcc
	v_mov_b32_e32 v3, 0x2000
	v_cndmask_b32_e32 v1, v1, v2, vcc
	v_lshlrev_b32_e32 v2, 8, v30
	v_lshl_add_u32 v0, v0, 10, v3
	v_and_or_b32 v0, v2, s40, v0
	v_lshl_or_b32 v0, v1, 7, v0
	v_cvt_f32_f16_e32 v0, v0
	buffer_store_dword v0, off, s[0:3], s32 offset:436 ; 4-byte Folded Spill
.LBB325_368:                            ;   in Loop: Header=BB325_10 Depth=1
	s_or_b64 exec, exec, s[36:37]
.LBB325_369:                            ;   in Loop: Header=BB325_10 Depth=1
	s_or_b64 exec, exec, s[34:35]
.LBB325_370:                            ;   in Loop: Header=BB325_10 Depth=1
	s_or_b64 exec, exec, s[30:31]
	flat_load_dword v30, v[28:29] offset:3592
	v_mov_b32_e32 v0, 0
	buffer_store_dword v0, off, s[0:3], s32 offset:444 ; 4-byte Folded Spill
	v_mov_b32_e32 v0, 0
	buffer_store_dword v0, off, s[0:3], s32 offset:448 ; 4-byte Folded Spill
	s_waitcnt vmcnt(0) lgkmcnt(0)
	v_cmp_ne_u16_sdwa vcc, v30, v35 src0_sel:BYTE_0 src1_sel:DWORD
	s_and_saveexec_b64 s[30:31], vcc
	s_cbranch_execz .LBB325_376
; %bb.371:                              ;   in Loop: Header=BB325_10 Depth=1
	v_cmp_ne_u16_sdwa vcc, v30, s21 src0_sel:BYTE_0 src1_sel:DWORD
	v_bfrev_b32_e32 v0, 1
	buffer_store_dword v0, off, s[0:3], s32 offset:448 ; 4-byte Folded Spill
	s_and_saveexec_b64 s[34:35], vcc
	s_cbranch_execz .LBB325_375
; %bb.372:                              ;   in Loop: Header=BB325_10 Depth=1
	v_and_b32_e32 v0, 0x7f, v30
	v_cmp_ne_u32_e32 vcc, s39, v0
	v_mov_b32_e32 v1, 0x7fc02000
	buffer_store_dword v1, off, s[0:3], s32 offset:448 ; 4-byte Folded Spill
	s_and_saveexec_b64 s[36:37], vcc
	s_cbranch_execz .LBB325_374
; %bb.373:                              ;   in Loop: Header=BB325_10 Depth=1
	v_and_b32_e32 v1, 7, v30
	v_ffbh_u32_e32 v2, v1
	v_min_u32_e32 v6, 32, v2
	v_subrev_u32_e32 v2, 28, v6
	v_lshlrev_b64 v[2:3], v2, v[30:31]
	v_lshrrev_b32_e32 v5, 3, v0
	v_sub_u32_e32 v3, 29, v6
	v_cmp_gt_u32_e32 vcc, 8, v0
	v_and_b32_e32 v2, 7, v2
	v_cndmask_b32_e32 v0, v5, v3, vcc
	v_mov_b32_e32 v3, 0x2000
	v_cndmask_b32_e32 v1, v1, v2, vcc
	v_lshlrev_b32_e32 v2, 8, v30
	v_lshl_add_u32 v0, v0, 10, v3
	v_and_or_b32 v0, v2, s40, v0
	v_lshl_or_b32 v0, v1, 7, v0
	v_cvt_f32_f16_e32 v0, v0
	buffer_store_dword v0, off, s[0:3], s32 offset:448 ; 4-byte Folded Spill
.LBB325_374:                            ;   in Loop: Header=BB325_10 Depth=1
	s_or_b64 exec, exec, s[36:37]
.LBB325_375:                            ;   in Loop: Header=BB325_10 Depth=1
	s_or_b64 exec, exec, s[34:35]
.LBB325_376:                            ;   in Loop: Header=BB325_10 Depth=1
	s_or_b64 exec, exec, s[30:31]
	v_lshrrev_b16_e32 v32, 8, v30
	v_cmp_ne_u16_e32 vcc, 0, v32
	s_and_saveexec_b64 s[30:31], vcc
	s_cbranch_execz .LBB325_382
; %bb.377:                              ;   in Loop: Header=BB325_10 Depth=1
	v_cmp_ne_u16_e32 vcc, s21, v32
	v_bfrev_b32_e32 v0, 1
	buffer_store_dword v0, off, s[0:3], s32 offset:444 ; 4-byte Folded Spill
	s_and_saveexec_b64 s[34:35], vcc
	s_cbranch_execz .LBB325_381
; %bb.378:                              ;   in Loop: Header=BB325_10 Depth=1
	v_and_b32_e32 v0, 0x7f, v32
	v_cmp_ne_u32_e32 vcc, s39, v0
	v_mov_b32_e32 v1, 0x7fc02000
	buffer_store_dword v1, off, s[0:3], s32 offset:444 ; 4-byte Folded Spill
	s_and_saveexec_b64 s[36:37], vcc
	s_cbranch_execz .LBB325_380
; %bb.379:                              ;   in Loop: Header=BB325_10 Depth=1
	v_and_b32_e32 v1, 7, v32
	v_ffbh_u32_e32 v2, v1
	v_min_u32_e32 v6, 32, v2
	v_subrev_u32_e32 v2, 28, v6
	v_lshlrev_b64 v[2:3], v2, v[32:33]
	v_lshrrev_b32_e32 v5, 3, v0
	v_sub_u32_e32 v3, 29, v6
	v_cmp_gt_u32_e32 vcc, 8, v0
	v_and_b32_e32 v2, 7, v2
	v_cndmask_b32_e32 v0, v5, v3, vcc
	v_mov_b32_e32 v3, 0x2000
	v_cndmask_b32_e32 v1, v1, v2, vcc
	v_lshlrev_b32_e32 v2, 8, v32
	v_lshl_add_u32 v0, v0, 10, v3
	v_and_or_b32 v0, v2, s40, v0
	v_lshl_or_b32 v0, v1, 7, v0
	v_cvt_f32_f16_e32 v0, v0
	buffer_store_dword v0, off, s[0:3], s32 offset:444 ; 4-byte Folded Spill
.LBB325_380:                            ;   in Loop: Header=BB325_10 Depth=1
	s_or_b64 exec, exec, s[36:37]
.LBB325_381:                            ;   in Loop: Header=BB325_10 Depth=1
	s_or_b64 exec, exec, s[34:35]
.LBB325_382:                            ;   in Loop: Header=BB325_10 Depth=1
	s_or_b64 exec, exec, s[30:31]
	v_lshrrev_b32_e32 v32, 16, v30
	v_mov_b32_e32 v0, 0
	v_cmp_ne_u16_sdwa vcc, v32, v35 src0_sel:BYTE_0 src1_sel:DWORD
	buffer_store_dword v0, off, s[0:3], s32 offset:452 ; 4-byte Folded Spill
	v_mov_b32_e32 v0, 0
	buffer_store_dword v0, off, s[0:3], s32 offset:456 ; 4-byte Folded Spill
	s_and_saveexec_b64 s[30:31], vcc
	s_cbranch_execz .LBB325_388
; %bb.383:                              ;   in Loop: Header=BB325_10 Depth=1
	v_cmp_ne_u16_sdwa vcc, v32, s21 src0_sel:BYTE_0 src1_sel:DWORD
	v_bfrev_b32_e32 v0, 1
	buffer_store_dword v0, off, s[0:3], s32 offset:456 ; 4-byte Folded Spill
	s_and_saveexec_b64 s[34:35], vcc
	s_cbranch_execz .LBB325_387
; %bb.384:                              ;   in Loop: Header=BB325_10 Depth=1
	v_bfe_u32 v0, v30, 16, 7
	v_cmp_ne_u32_e32 vcc, s39, v0
	v_mov_b32_e32 v1, 0x7fc02000
	buffer_store_dword v1, off, s[0:3], s32 offset:456 ; 4-byte Folded Spill
	s_and_saveexec_b64 s[36:37], vcc
	s_cbranch_execz .LBB325_386
; %bb.385:                              ;   in Loop: Header=BB325_10 Depth=1
	v_and_b32_e32 v1, 7, v32
	v_ffbh_u32_e32 v2, v1
	v_min_u32_e32 v6, 32, v2
	v_subrev_u32_e32 v2, 28, v6
	v_lshlrev_b64 v[2:3], v2, v[32:33]
	v_lshrrev_b32_e32 v5, 3, v0
	v_sub_u32_e32 v3, 29, v6
	v_cmp_gt_u32_e32 vcc, 8, v0
	v_and_b32_e32 v2, 7, v2
	v_cndmask_b32_e32 v0, v5, v3, vcc
	v_mov_b32_e32 v3, 0x2000
	v_cndmask_b32_e32 v1, v1, v2, vcc
	v_lshlrev_b32_e32 v2, 8, v32
	v_lshl_add_u32 v0, v0, 10, v3
	v_and_or_b32 v0, v2, s40, v0
	v_lshl_or_b32 v0, v1, 7, v0
	v_cvt_f32_f16_e32 v0, v0
	buffer_store_dword v0, off, s[0:3], s32 offset:456 ; 4-byte Folded Spill
.LBB325_386:                            ;   in Loop: Header=BB325_10 Depth=1
	s_or_b64 exec, exec, s[36:37]
.LBB325_387:                            ;   in Loop: Header=BB325_10 Depth=1
	s_or_b64 exec, exec, s[34:35]
.LBB325_388:                            ;   in Loop: Header=BB325_10 Depth=1
	s_or_b64 exec, exec, s[30:31]
	v_cmp_lt_u32_e32 vcc, s41, v30
	s_and_saveexec_b64 s[30:31], vcc
	s_cbranch_execz .LBB325_394
; %bb.389:                              ;   in Loop: Header=BB325_10 Depth=1
	v_lshrrev_b32_e32 v30, 24, v30
	v_cmp_ne_u32_e32 vcc, s21, v30
	v_bfrev_b32_e32 v0, 1
	buffer_store_dword v0, off, s[0:3], s32 offset:452 ; 4-byte Folded Spill
	s_and_saveexec_b64 s[34:35], vcc
	s_cbranch_execz .LBB325_393
; %bb.390:                              ;   in Loop: Header=BB325_10 Depth=1
	v_and_b32_e32 v0, 0x7f, v30
	v_cmp_ne_u32_e32 vcc, s39, v0
	v_mov_b32_e32 v1, 0x7fc02000
	buffer_store_dword v1, off, s[0:3], s32 offset:452 ; 4-byte Folded Spill
	s_and_saveexec_b64 s[36:37], vcc
	s_cbranch_execz .LBB325_392
; %bb.391:                              ;   in Loop: Header=BB325_10 Depth=1
	v_and_b32_e32 v1, 7, v30
	v_ffbh_u32_e32 v2, v1
	v_min_u32_e32 v6, 32, v2
	v_subrev_u32_e32 v2, 28, v6
	v_lshlrev_b64 v[2:3], v2, v[30:31]
	v_lshrrev_b32_e32 v5, 3, v0
	v_sub_u32_e32 v3, 29, v6
	v_cmp_gt_u32_e32 vcc, 8, v0
	v_and_b32_e32 v2, 7, v2
	v_cndmask_b32_e32 v0, v5, v3, vcc
	v_mov_b32_e32 v3, 0x2000
	v_cndmask_b32_e32 v1, v1, v2, vcc
	v_lshlrev_b32_e32 v2, 8, v30
	v_lshl_add_u32 v0, v0, 10, v3
	v_and_or_b32 v0, v2, s40, v0
	v_lshl_or_b32 v0, v1, 7, v0
	v_cvt_f32_f16_e32 v0, v0
	buffer_store_dword v0, off, s[0:3], s32 offset:452 ; 4-byte Folded Spill
.LBB325_392:                            ;   in Loop: Header=BB325_10 Depth=1
	s_or_b64 exec, exec, s[36:37]
.LBB325_393:                            ;   in Loop: Header=BB325_10 Depth=1
	s_or_b64 exec, exec, s[34:35]
.LBB325_394:                            ;   in Loop: Header=BB325_10 Depth=1
	s_or_b64 exec, exec, s[30:31]
	v_add_co_u32_e32 v0, vcc, 0x1000, v28
	v_addc_co_u32_e32 v1, vcc, 0, v29, vcc
	flat_load_dword v30, v[0:1]
	v_mov_b32_e32 v0, 0
	buffer_store_dword v0, off, s[0:3], s32 offset:460 ; 4-byte Folded Spill
	v_mov_b32_e32 v0, 0
	buffer_store_dword v0, off, s[0:3], s32 offset:464 ; 4-byte Folded Spill
	s_waitcnt vmcnt(0) lgkmcnt(0)
	v_cmp_ne_u16_sdwa vcc, v30, v35 src0_sel:BYTE_0 src1_sel:DWORD
	s_and_saveexec_b64 s[30:31], vcc
	s_cbranch_execz .LBB325_400
; %bb.395:                              ;   in Loop: Header=BB325_10 Depth=1
	v_cmp_ne_u16_sdwa vcc, v30, s21 src0_sel:BYTE_0 src1_sel:DWORD
	v_bfrev_b32_e32 v0, 1
	buffer_store_dword v0, off, s[0:3], s32 offset:464 ; 4-byte Folded Spill
	s_and_saveexec_b64 s[34:35], vcc
	s_cbranch_execz .LBB325_399
; %bb.396:                              ;   in Loop: Header=BB325_10 Depth=1
	v_and_b32_e32 v0, 0x7f, v30
	v_cmp_ne_u32_e32 vcc, s39, v0
	v_mov_b32_e32 v1, 0x7fc02000
	buffer_store_dword v1, off, s[0:3], s32 offset:464 ; 4-byte Folded Spill
	s_and_saveexec_b64 s[36:37], vcc
	s_cbranch_execz .LBB325_398
; %bb.397:                              ;   in Loop: Header=BB325_10 Depth=1
	v_and_b32_e32 v1, 7, v30
	v_ffbh_u32_e32 v2, v1
	v_min_u32_e32 v6, 32, v2
	v_subrev_u32_e32 v2, 28, v6
	v_lshlrev_b64 v[2:3], v2, v[30:31]
	v_lshrrev_b32_e32 v5, 3, v0
	v_sub_u32_e32 v3, 29, v6
	v_cmp_gt_u32_e32 vcc, 8, v0
	v_and_b32_e32 v2, 7, v2
	v_cndmask_b32_e32 v0, v5, v3, vcc
	v_mov_b32_e32 v3, 0x2000
	v_cndmask_b32_e32 v1, v1, v2, vcc
	v_lshlrev_b32_e32 v2, 8, v30
	v_lshl_add_u32 v0, v0, 10, v3
	v_and_or_b32 v0, v2, s40, v0
	v_lshl_or_b32 v0, v1, 7, v0
	v_cvt_f32_f16_e32 v0, v0
	buffer_store_dword v0, off, s[0:3], s32 offset:464 ; 4-byte Folded Spill
.LBB325_398:                            ;   in Loop: Header=BB325_10 Depth=1
	s_or_b64 exec, exec, s[36:37]
.LBB325_399:                            ;   in Loop: Header=BB325_10 Depth=1
	s_or_b64 exec, exec, s[34:35]
.LBB325_400:                            ;   in Loop: Header=BB325_10 Depth=1
	s_or_b64 exec, exec, s[30:31]
	v_lshrrev_b16_e32 v32, 8, v30
	v_cmp_ne_u16_e32 vcc, 0, v32
	s_and_saveexec_b64 s[30:31], vcc
	s_cbranch_execz .LBB325_406
; %bb.401:                              ;   in Loop: Header=BB325_10 Depth=1
	v_cmp_ne_u16_e32 vcc, s21, v32
	v_bfrev_b32_e32 v0, 1
	buffer_store_dword v0, off, s[0:3], s32 offset:460 ; 4-byte Folded Spill
	s_and_saveexec_b64 s[34:35], vcc
	s_cbranch_execz .LBB325_405
; %bb.402:                              ;   in Loop: Header=BB325_10 Depth=1
	v_and_b32_e32 v0, 0x7f, v32
	v_cmp_ne_u32_e32 vcc, s39, v0
	v_mov_b32_e32 v1, 0x7fc02000
	buffer_store_dword v1, off, s[0:3], s32 offset:460 ; 4-byte Folded Spill
	s_and_saveexec_b64 s[36:37], vcc
	s_cbranch_execz .LBB325_404
; %bb.403:                              ;   in Loop: Header=BB325_10 Depth=1
	v_and_b32_e32 v1, 7, v32
	v_ffbh_u32_e32 v2, v1
	v_min_u32_e32 v6, 32, v2
	v_subrev_u32_e32 v2, 28, v6
	v_lshlrev_b64 v[2:3], v2, v[32:33]
	v_lshrrev_b32_e32 v5, 3, v0
	v_sub_u32_e32 v3, 29, v6
	v_cmp_gt_u32_e32 vcc, 8, v0
	v_and_b32_e32 v2, 7, v2
	v_cndmask_b32_e32 v0, v5, v3, vcc
	v_mov_b32_e32 v3, 0x2000
	v_cndmask_b32_e32 v1, v1, v2, vcc
	v_lshlrev_b32_e32 v2, 8, v32
	v_lshl_add_u32 v0, v0, 10, v3
	v_and_or_b32 v0, v2, s40, v0
	v_lshl_or_b32 v0, v1, 7, v0
	v_cvt_f32_f16_e32 v0, v0
	buffer_store_dword v0, off, s[0:3], s32 offset:460 ; 4-byte Folded Spill
.LBB325_404:                            ;   in Loop: Header=BB325_10 Depth=1
	s_or_b64 exec, exec, s[36:37]
.LBB325_405:                            ;   in Loop: Header=BB325_10 Depth=1
	s_or_b64 exec, exec, s[34:35]
.LBB325_406:                            ;   in Loop: Header=BB325_10 Depth=1
	s_or_b64 exec, exec, s[30:31]
	v_lshrrev_b32_e32 v32, 16, v30
	v_mov_b32_e32 v0, 0
	v_cmp_ne_u16_sdwa vcc, v32, v35 src0_sel:BYTE_0 src1_sel:DWORD
	buffer_store_dword v0, off, s[0:3], s32 offset:468 ; 4-byte Folded Spill
	v_mov_b32_e32 v0, 0
	buffer_store_dword v0, off, s[0:3], s32 offset:472 ; 4-byte Folded Spill
	s_and_saveexec_b64 s[30:31], vcc
	s_cbranch_execz .LBB325_412
; %bb.407:                              ;   in Loop: Header=BB325_10 Depth=1
	v_cmp_ne_u16_sdwa vcc, v32, s21 src0_sel:BYTE_0 src1_sel:DWORD
	v_bfrev_b32_e32 v0, 1
	buffer_store_dword v0, off, s[0:3], s32 offset:472 ; 4-byte Folded Spill
	s_and_saveexec_b64 s[34:35], vcc
	s_cbranch_execz .LBB325_411
; %bb.408:                              ;   in Loop: Header=BB325_10 Depth=1
	v_bfe_u32 v0, v30, 16, 7
	v_cmp_ne_u32_e32 vcc, s39, v0
	v_mov_b32_e32 v1, 0x7fc02000
	buffer_store_dword v1, off, s[0:3], s32 offset:472 ; 4-byte Folded Spill
	s_and_saveexec_b64 s[36:37], vcc
	s_cbranch_execz .LBB325_410
; %bb.409:                              ;   in Loop: Header=BB325_10 Depth=1
	v_and_b32_e32 v1, 7, v32
	v_ffbh_u32_e32 v2, v1
	v_min_u32_e32 v6, 32, v2
	v_subrev_u32_e32 v2, 28, v6
	v_lshlrev_b64 v[2:3], v2, v[32:33]
	v_lshrrev_b32_e32 v5, 3, v0
	v_sub_u32_e32 v3, 29, v6
	v_cmp_gt_u32_e32 vcc, 8, v0
	v_and_b32_e32 v2, 7, v2
	v_cndmask_b32_e32 v0, v5, v3, vcc
	v_mov_b32_e32 v3, 0x2000
	v_cndmask_b32_e32 v1, v1, v2, vcc
	v_lshlrev_b32_e32 v2, 8, v32
	v_lshl_add_u32 v0, v0, 10, v3
	v_and_or_b32 v0, v2, s40, v0
	v_lshl_or_b32 v0, v1, 7, v0
	v_cvt_f32_f16_e32 v0, v0
	buffer_store_dword v0, off, s[0:3], s32 offset:472 ; 4-byte Folded Spill
.LBB325_410:                            ;   in Loop: Header=BB325_10 Depth=1
	s_or_b64 exec, exec, s[36:37]
.LBB325_411:                            ;   in Loop: Header=BB325_10 Depth=1
	s_or_b64 exec, exec, s[34:35]
.LBB325_412:                            ;   in Loop: Header=BB325_10 Depth=1
	s_or_b64 exec, exec, s[30:31]
	v_cmp_lt_u32_e32 vcc, s41, v30
	s_and_saveexec_b64 s[30:31], vcc
	s_cbranch_execz .LBB325_418
; %bb.413:                              ;   in Loop: Header=BB325_10 Depth=1
	v_lshrrev_b32_e32 v30, 24, v30
	v_cmp_ne_u32_e32 vcc, s21, v30
	v_bfrev_b32_e32 v0, 1
	buffer_store_dword v0, off, s[0:3], s32 offset:468 ; 4-byte Folded Spill
	s_and_saveexec_b64 s[34:35], vcc
	s_cbranch_execz .LBB325_417
; %bb.414:                              ;   in Loop: Header=BB325_10 Depth=1
	v_and_b32_e32 v0, 0x7f, v30
	v_cmp_ne_u32_e32 vcc, s39, v0
	v_mov_b32_e32 v1, 0x7fc02000
	buffer_store_dword v1, off, s[0:3], s32 offset:468 ; 4-byte Folded Spill
	s_and_saveexec_b64 s[36:37], vcc
	s_cbranch_execz .LBB325_416
; %bb.415:                              ;   in Loop: Header=BB325_10 Depth=1
	v_and_b32_e32 v1, 7, v30
	v_ffbh_u32_e32 v2, v1
	v_min_u32_e32 v6, 32, v2
	v_subrev_u32_e32 v2, 28, v6
	v_lshlrev_b64 v[2:3], v2, v[30:31]
	v_lshrrev_b32_e32 v5, 3, v0
	v_sub_u32_e32 v3, 29, v6
	v_cmp_gt_u32_e32 vcc, 8, v0
	v_and_b32_e32 v2, 7, v2
	v_cndmask_b32_e32 v0, v5, v3, vcc
	v_mov_b32_e32 v3, 0x2000
	v_cndmask_b32_e32 v1, v1, v2, vcc
	v_lshlrev_b32_e32 v2, 8, v30
	v_lshl_add_u32 v0, v0, 10, v3
	v_and_or_b32 v0, v2, s40, v0
	v_lshl_or_b32 v0, v1, 7, v0
	v_cvt_f32_f16_e32 v0, v0
	buffer_store_dword v0, off, s[0:3], s32 offset:468 ; 4-byte Folded Spill
.LBB325_416:                            ;   in Loop: Header=BB325_10 Depth=1
	s_or_b64 exec, exec, s[36:37]
.LBB325_417:                            ;   in Loop: Header=BB325_10 Depth=1
	s_or_b64 exec, exec, s[34:35]
.LBB325_418:                            ;   in Loop: Header=BB325_10 Depth=1
	s_or_b64 exec, exec, s[30:31]
	v_add_co_u32_e32 v0, vcc, 0x1000, v28
	v_addc_co_u32_e32 v1, vcc, 0, v29, vcc
	flat_load_dword v30, v[0:1] offset:8
	v_mov_b32_e32 v0, 0
	buffer_store_dword v0, off, s[0:3], s32 offset:476 ; 4-byte Folded Spill
	v_mov_b32_e32 v0, 0
	buffer_store_dword v0, off, s[0:3], s32 offset:480 ; 4-byte Folded Spill
	s_waitcnt vmcnt(0) lgkmcnt(0)
	v_cmp_ne_u16_sdwa vcc, v30, v35 src0_sel:BYTE_0 src1_sel:DWORD
	s_and_saveexec_b64 s[30:31], vcc
	s_cbranch_execz .LBB325_424
; %bb.419:                              ;   in Loop: Header=BB325_10 Depth=1
	v_cmp_ne_u16_sdwa vcc, v30, s21 src0_sel:BYTE_0 src1_sel:DWORD
	v_bfrev_b32_e32 v0, 1
	buffer_store_dword v0, off, s[0:3], s32 offset:480 ; 4-byte Folded Spill
	s_and_saveexec_b64 s[34:35], vcc
	s_cbranch_execz .LBB325_423
; %bb.420:                              ;   in Loop: Header=BB325_10 Depth=1
	v_and_b32_e32 v0, 0x7f, v30
	v_cmp_ne_u32_e32 vcc, s39, v0
	v_mov_b32_e32 v1, 0x7fc02000
	buffer_store_dword v1, off, s[0:3], s32 offset:480 ; 4-byte Folded Spill
	s_and_saveexec_b64 s[36:37], vcc
	s_cbranch_execz .LBB325_422
; %bb.421:                              ;   in Loop: Header=BB325_10 Depth=1
	v_and_b32_e32 v1, 7, v30
	v_ffbh_u32_e32 v2, v1
	v_min_u32_e32 v6, 32, v2
	v_subrev_u32_e32 v2, 28, v6
	v_lshlrev_b64 v[2:3], v2, v[30:31]
	v_lshrrev_b32_e32 v5, 3, v0
	v_sub_u32_e32 v3, 29, v6
	v_cmp_gt_u32_e32 vcc, 8, v0
	v_and_b32_e32 v2, 7, v2
	v_cndmask_b32_e32 v0, v5, v3, vcc
	v_mov_b32_e32 v3, 0x2000
	v_cndmask_b32_e32 v1, v1, v2, vcc
	v_lshlrev_b32_e32 v2, 8, v30
	v_lshl_add_u32 v0, v0, 10, v3
	v_and_or_b32 v0, v2, s40, v0
	v_lshl_or_b32 v0, v1, 7, v0
	v_cvt_f32_f16_e32 v0, v0
	buffer_store_dword v0, off, s[0:3], s32 offset:480 ; 4-byte Folded Spill
.LBB325_422:                            ;   in Loop: Header=BB325_10 Depth=1
	s_or_b64 exec, exec, s[36:37]
.LBB325_423:                            ;   in Loop: Header=BB325_10 Depth=1
	s_or_b64 exec, exec, s[34:35]
.LBB325_424:                            ;   in Loop: Header=BB325_10 Depth=1
	s_or_b64 exec, exec, s[30:31]
	v_lshrrev_b16_e32 v32, 8, v30
	v_cmp_ne_u16_e32 vcc, 0, v32
	s_and_saveexec_b64 s[30:31], vcc
	s_cbranch_execz .LBB325_430
; %bb.425:                              ;   in Loop: Header=BB325_10 Depth=1
	v_cmp_ne_u16_e32 vcc, s21, v32
	v_bfrev_b32_e32 v0, 1
	buffer_store_dword v0, off, s[0:3], s32 offset:476 ; 4-byte Folded Spill
	s_and_saveexec_b64 s[34:35], vcc
	s_cbranch_execz .LBB325_429
; %bb.426:                              ;   in Loop: Header=BB325_10 Depth=1
	v_and_b32_e32 v0, 0x7f, v32
	v_cmp_ne_u32_e32 vcc, s39, v0
	v_mov_b32_e32 v1, 0x7fc02000
	buffer_store_dword v1, off, s[0:3], s32 offset:476 ; 4-byte Folded Spill
	s_and_saveexec_b64 s[36:37], vcc
	s_cbranch_execz .LBB325_428
; %bb.427:                              ;   in Loop: Header=BB325_10 Depth=1
	v_and_b32_e32 v1, 7, v32
	v_ffbh_u32_e32 v2, v1
	v_min_u32_e32 v6, 32, v2
	v_subrev_u32_e32 v2, 28, v6
	v_lshlrev_b64 v[2:3], v2, v[32:33]
	v_lshrrev_b32_e32 v5, 3, v0
	v_sub_u32_e32 v3, 29, v6
	v_cmp_gt_u32_e32 vcc, 8, v0
	v_and_b32_e32 v2, 7, v2
	v_cndmask_b32_e32 v0, v5, v3, vcc
	v_mov_b32_e32 v3, 0x2000
	v_cndmask_b32_e32 v1, v1, v2, vcc
	v_lshlrev_b32_e32 v2, 8, v32
	v_lshl_add_u32 v0, v0, 10, v3
	v_and_or_b32 v0, v2, s40, v0
	v_lshl_or_b32 v0, v1, 7, v0
	v_cvt_f32_f16_e32 v0, v0
	buffer_store_dword v0, off, s[0:3], s32 offset:476 ; 4-byte Folded Spill
.LBB325_428:                            ;   in Loop: Header=BB325_10 Depth=1
	s_or_b64 exec, exec, s[36:37]
.LBB325_429:                            ;   in Loop: Header=BB325_10 Depth=1
	s_or_b64 exec, exec, s[34:35]
.LBB325_430:                            ;   in Loop: Header=BB325_10 Depth=1
	s_or_b64 exec, exec, s[30:31]
	v_lshrrev_b32_e32 v32, 16, v30
	v_mov_b32_e32 v0, 0
	v_cmp_ne_u16_sdwa vcc, v32, v35 src0_sel:BYTE_0 src1_sel:DWORD
	buffer_store_dword v0, off, s[0:3], s32 offset:484 ; 4-byte Folded Spill
	v_mov_b32_e32 v0, 0
	buffer_store_dword v0, off, s[0:3], s32 offset:488 ; 4-byte Folded Spill
	s_and_saveexec_b64 s[30:31], vcc
	s_cbranch_execz .LBB325_436
; %bb.431:                              ;   in Loop: Header=BB325_10 Depth=1
	v_cmp_ne_u16_sdwa vcc, v32, s21 src0_sel:BYTE_0 src1_sel:DWORD
	v_bfrev_b32_e32 v0, 1
	buffer_store_dword v0, off, s[0:3], s32 offset:488 ; 4-byte Folded Spill
	s_and_saveexec_b64 s[34:35], vcc
	s_cbranch_execz .LBB325_435
; %bb.432:                              ;   in Loop: Header=BB325_10 Depth=1
	v_bfe_u32 v0, v30, 16, 7
	v_cmp_ne_u32_e32 vcc, s39, v0
	v_mov_b32_e32 v1, 0x7fc02000
	buffer_store_dword v1, off, s[0:3], s32 offset:488 ; 4-byte Folded Spill
	s_and_saveexec_b64 s[36:37], vcc
	s_cbranch_execz .LBB325_434
; %bb.433:                              ;   in Loop: Header=BB325_10 Depth=1
	v_and_b32_e32 v1, 7, v32
	v_ffbh_u32_e32 v2, v1
	v_min_u32_e32 v6, 32, v2
	v_subrev_u32_e32 v2, 28, v6
	v_lshlrev_b64 v[2:3], v2, v[32:33]
	v_lshrrev_b32_e32 v5, 3, v0
	v_sub_u32_e32 v3, 29, v6
	v_cmp_gt_u32_e32 vcc, 8, v0
	v_and_b32_e32 v2, 7, v2
	v_cndmask_b32_e32 v0, v5, v3, vcc
	v_mov_b32_e32 v3, 0x2000
	v_cndmask_b32_e32 v1, v1, v2, vcc
	v_lshlrev_b32_e32 v2, 8, v32
	v_lshl_add_u32 v0, v0, 10, v3
	v_and_or_b32 v0, v2, s40, v0
	v_lshl_or_b32 v0, v1, 7, v0
	v_cvt_f32_f16_e32 v0, v0
	buffer_store_dword v0, off, s[0:3], s32 offset:488 ; 4-byte Folded Spill
.LBB325_434:                            ;   in Loop: Header=BB325_10 Depth=1
	s_or_b64 exec, exec, s[36:37]
.LBB325_435:                            ;   in Loop: Header=BB325_10 Depth=1
	s_or_b64 exec, exec, s[34:35]
.LBB325_436:                            ;   in Loop: Header=BB325_10 Depth=1
	s_or_b64 exec, exec, s[30:31]
	v_cmp_lt_u32_e32 vcc, s41, v30
	s_and_saveexec_b64 s[30:31], vcc
	s_cbranch_execz .LBB325_442
; %bb.437:                              ;   in Loop: Header=BB325_10 Depth=1
	v_lshrrev_b32_e32 v30, 24, v30
	v_cmp_ne_u32_e32 vcc, s21, v30
	v_bfrev_b32_e32 v0, 1
	buffer_store_dword v0, off, s[0:3], s32 offset:484 ; 4-byte Folded Spill
	s_and_saveexec_b64 s[34:35], vcc
	s_cbranch_execz .LBB325_441
; %bb.438:                              ;   in Loop: Header=BB325_10 Depth=1
	v_and_b32_e32 v0, 0x7f, v30
	v_cmp_ne_u32_e32 vcc, s39, v0
	v_mov_b32_e32 v1, 0x7fc02000
	buffer_store_dword v1, off, s[0:3], s32 offset:484 ; 4-byte Folded Spill
	s_and_saveexec_b64 s[36:37], vcc
	s_cbranch_execz .LBB325_440
; %bb.439:                              ;   in Loop: Header=BB325_10 Depth=1
	v_and_b32_e32 v1, 7, v30
	v_ffbh_u32_e32 v2, v1
	v_min_u32_e32 v6, 32, v2
	v_subrev_u32_e32 v2, 28, v6
	v_lshlrev_b64 v[2:3], v2, v[30:31]
	v_lshrrev_b32_e32 v5, 3, v0
	v_sub_u32_e32 v3, 29, v6
	v_cmp_gt_u32_e32 vcc, 8, v0
	v_and_b32_e32 v2, 7, v2
	v_cndmask_b32_e32 v0, v5, v3, vcc
	v_mov_b32_e32 v3, 0x2000
	v_cndmask_b32_e32 v1, v1, v2, vcc
	v_lshlrev_b32_e32 v2, 8, v30
	v_lshl_add_u32 v0, v0, 10, v3
	v_and_or_b32 v0, v2, s40, v0
	v_lshl_or_b32 v0, v1, 7, v0
	v_cvt_f32_f16_e32 v0, v0
	buffer_store_dword v0, off, s[0:3], s32 offset:484 ; 4-byte Folded Spill
.LBB325_440:                            ;   in Loop: Header=BB325_10 Depth=1
	s_or_b64 exec, exec, s[36:37]
.LBB325_441:                            ;   in Loop: Header=BB325_10 Depth=1
	s_or_b64 exec, exec, s[34:35]
.LBB325_442:                            ;   in Loop: Header=BB325_10 Depth=1
	s_or_b64 exec, exec, s[30:31]
	v_add_co_u32_e32 v0, vcc, 0x1000, v28
	v_addc_co_u32_e32 v1, vcc, 0, v29, vcc
	flat_load_dword v30, v[0:1] offset:512
	v_mov_b32_e32 v0, 0
	buffer_store_dword v0, off, s[0:3], s32 offset:496 ; 4-byte Folded Spill
	v_mov_b32_e32 v0, 0
	buffer_store_dword v0, off, s[0:3], s32 offset:492 ; 4-byte Folded Spill
	s_waitcnt vmcnt(0) lgkmcnt(0)
	v_cmp_ne_u16_sdwa vcc, v30, v35 src0_sel:BYTE_0 src1_sel:DWORD
	s_and_saveexec_b64 s[30:31], vcc
	s_cbranch_execz .LBB325_448
; %bb.443:                              ;   in Loop: Header=BB325_10 Depth=1
	v_cmp_ne_u16_sdwa vcc, v30, s21 src0_sel:BYTE_0 src1_sel:DWORD
	v_bfrev_b32_e32 v0, 1
	buffer_store_dword v0, off, s[0:3], s32 offset:492 ; 4-byte Folded Spill
	s_and_saveexec_b64 s[34:35], vcc
	s_cbranch_execz .LBB325_447
; %bb.444:                              ;   in Loop: Header=BB325_10 Depth=1
	v_and_b32_e32 v0, 0x7f, v30
	v_cmp_ne_u32_e32 vcc, s39, v0
	v_mov_b32_e32 v1, 0x7fc02000
	buffer_store_dword v1, off, s[0:3], s32 offset:492 ; 4-byte Folded Spill
	s_and_saveexec_b64 s[36:37], vcc
	s_cbranch_execz .LBB325_446
; %bb.445:                              ;   in Loop: Header=BB325_10 Depth=1
	v_and_b32_e32 v1, 7, v30
	v_ffbh_u32_e32 v2, v1
	v_min_u32_e32 v6, 32, v2
	v_subrev_u32_e32 v2, 28, v6
	v_lshlrev_b64 v[2:3], v2, v[30:31]
	v_lshrrev_b32_e32 v5, 3, v0
	v_sub_u32_e32 v3, 29, v6
	v_cmp_gt_u32_e32 vcc, 8, v0
	v_and_b32_e32 v2, 7, v2
	v_cndmask_b32_e32 v0, v5, v3, vcc
	v_mov_b32_e32 v3, 0x2000
	v_cndmask_b32_e32 v1, v1, v2, vcc
	v_lshlrev_b32_e32 v2, 8, v30
	v_lshl_add_u32 v0, v0, 10, v3
	v_and_or_b32 v0, v2, s40, v0
	v_lshl_or_b32 v0, v1, 7, v0
	v_cvt_f32_f16_e32 v0, v0
	buffer_store_dword v0, off, s[0:3], s32 offset:492 ; 4-byte Folded Spill
.LBB325_446:                            ;   in Loop: Header=BB325_10 Depth=1
	s_or_b64 exec, exec, s[36:37]
.LBB325_447:                            ;   in Loop: Header=BB325_10 Depth=1
	s_or_b64 exec, exec, s[34:35]
.LBB325_448:                            ;   in Loop: Header=BB325_10 Depth=1
	s_or_b64 exec, exec, s[30:31]
	v_lshrrev_b16_e32 v32, 8, v30
	v_cmp_ne_u16_e32 vcc, 0, v32
	s_and_saveexec_b64 s[30:31], vcc
	s_cbranch_execz .LBB325_454
; %bb.449:                              ;   in Loop: Header=BB325_10 Depth=1
	v_cmp_ne_u16_e32 vcc, s21, v32
	v_bfrev_b32_e32 v0, 1
	buffer_store_dword v0, off, s[0:3], s32 offset:496 ; 4-byte Folded Spill
	s_and_saveexec_b64 s[34:35], vcc
	s_cbranch_execz .LBB325_453
; %bb.450:                              ;   in Loop: Header=BB325_10 Depth=1
	v_and_b32_e32 v0, 0x7f, v32
	v_cmp_ne_u32_e32 vcc, s39, v0
	v_mov_b32_e32 v1, 0x7fc02000
	buffer_store_dword v1, off, s[0:3], s32 offset:496 ; 4-byte Folded Spill
	s_and_saveexec_b64 s[36:37], vcc
	s_cbranch_execz .LBB325_452
; %bb.451:                              ;   in Loop: Header=BB325_10 Depth=1
	v_and_b32_e32 v2, 7, v32
	v_lshrrev_b32_e32 v3, 3, v0
	v_cmp_gt_u32_e32 vcc, 8, v0
	v_ffbh_u32_e32 v0, v2
	v_min_u32_e32 v5, 32, v0
	v_subrev_u32_e32 v0, 28, v5
	v_lshlrev_b64 v[0:1], v0, v[32:33]
	v_sub_u32_e32 v1, 29, v5
	v_and_b32_e32 v0, 7, v0
	v_cndmask_b32_e32 v1, v3, v1, vcc
	v_mov_b32_e32 v3, 0x2000
	v_cndmask_b32_e32 v0, v2, v0, vcc
	v_lshlrev_b32_e32 v2, 8, v32
	v_lshl_add_u32 v1, v1, 10, v3
	v_and_or_b32 v1, v2, s40, v1
	v_lshl_or_b32 v0, v0, 7, v1
	v_cvt_f32_f16_e32 v0, v0
	buffer_store_dword v0, off, s[0:3], s32 offset:496 ; 4-byte Folded Spill
.LBB325_452:                            ;   in Loop: Header=BB325_10 Depth=1
	s_or_b64 exec, exec, s[36:37]
.LBB325_453:                            ;   in Loop: Header=BB325_10 Depth=1
	s_or_b64 exec, exec, s[34:35]
.LBB325_454:                            ;   in Loop: Header=BB325_10 Depth=1
	s_or_b64 exec, exec, s[30:31]
	v_lshrrev_b32_e32 v32, 16, v30
	v_cmp_ne_u16_sdwa vcc, v32, v35 src0_sel:BYTE_0 src1_sel:DWORD
	v_mov_b32_e32 v15, 0
	v_mov_b32_e32 v10, 0
	s_and_saveexec_b64 s[30:31], vcc
	s_cbranch_execz .LBB325_460
; %bb.455:                              ;   in Loop: Header=BB325_10 Depth=1
	v_cmp_ne_u16_sdwa vcc, v32, s21 src0_sel:BYTE_0 src1_sel:DWORD
	v_bfrev_b32_e32 v10, 1
	s_and_saveexec_b64 s[34:35], vcc
	s_cbranch_execz .LBB325_459
; %bb.456:                              ;   in Loop: Header=BB325_10 Depth=1
	v_bfe_u32 v0, v30, 16, 7
	v_cmp_ne_u32_e32 vcc, s39, v0
	v_mov_b32_e32 v10, 0x7fc02000
	s_and_saveexec_b64 s[36:37], vcc
	s_cbranch_execz .LBB325_458
; %bb.457:                              ;   in Loop: Header=BB325_10 Depth=1
	v_and_b32_e32 v2, 7, v32
	v_lshrrev_b32_e32 v3, 3, v0
	v_cmp_gt_u32_e32 vcc, 8, v0
	v_ffbh_u32_e32 v0, v2
	v_min_u32_e32 v5, 32, v0
	v_subrev_u32_e32 v0, 28, v5
	v_lshlrev_b64 v[0:1], v0, v[32:33]
	v_sub_u32_e32 v1, 29, v5
	v_and_b32_e32 v0, 7, v0
	v_cndmask_b32_e32 v1, v3, v1, vcc
	v_mov_b32_e32 v3, 0x2000
	v_cndmask_b32_e32 v0, v2, v0, vcc
	v_lshlrev_b32_e32 v2, 8, v32
	v_lshl_add_u32 v1, v1, 10, v3
	v_and_or_b32 v1, v2, s40, v1
	v_lshl_or_b32 v0, v0, 7, v1
	v_cvt_f32_f16_e32 v10, v0
.LBB325_458:                            ;   in Loop: Header=BB325_10 Depth=1
	s_or_b64 exec, exec, s[36:37]
.LBB325_459:                            ;   in Loop: Header=BB325_10 Depth=1
	s_or_b64 exec, exec, s[34:35]
.LBB325_460:                            ;   in Loop: Header=BB325_10 Depth=1
	s_or_b64 exec, exec, s[30:31]
	v_cmp_lt_u32_e32 vcc, s41, v30
	s_and_saveexec_b64 s[30:31], vcc
	s_cbranch_execz .LBB325_466
; %bb.461:                              ;   in Loop: Header=BB325_10 Depth=1
	v_lshrrev_b32_e32 v30, 24, v30
	v_cmp_ne_u32_e32 vcc, s21, v30
	v_bfrev_b32_e32 v15, 1
	s_and_saveexec_b64 s[34:35], vcc
	s_cbranch_execz .LBB325_465
; %bb.462:                              ;   in Loop: Header=BB325_10 Depth=1
	v_and_b32_e32 v0, 0x7f, v30
	v_cmp_ne_u32_e32 vcc, s39, v0
	v_mov_b32_e32 v15, 0x7fc02000
	s_and_saveexec_b64 s[36:37], vcc
	s_cbranch_execz .LBB325_464
; %bb.463:                              ;   in Loop: Header=BB325_10 Depth=1
	v_and_b32_e32 v2, 7, v30
	v_lshrrev_b32_e32 v3, 3, v0
	v_cmp_gt_u32_e32 vcc, 8, v0
	v_ffbh_u32_e32 v0, v2
	v_min_u32_e32 v5, 32, v0
	v_subrev_u32_e32 v0, 28, v5
	v_lshlrev_b64 v[0:1], v0, v[30:31]
	v_sub_u32_e32 v1, 29, v5
	v_and_b32_e32 v0, 7, v0
	v_cndmask_b32_e32 v1, v3, v1, vcc
	v_mov_b32_e32 v3, 0x2000
	v_cndmask_b32_e32 v0, v2, v0, vcc
	v_lshlrev_b32_e32 v2, 8, v30
	v_lshl_add_u32 v1, v1, 10, v3
	v_and_or_b32 v1, v2, s40, v1
	v_lshl_or_b32 v0, v0, 7, v1
	v_cvt_f32_f16_e32 v15, v0
.LBB325_464:                            ;   in Loop: Header=BB325_10 Depth=1
	s_or_b64 exec, exec, s[36:37]
.LBB325_465:                            ;   in Loop: Header=BB325_10 Depth=1
	s_or_b64 exec, exec, s[34:35]
.LBB325_466:                            ;   in Loop: Header=BB325_10 Depth=1
	s_or_b64 exec, exec, s[30:31]
	v_add_co_u32_e32 v0, vcc, 0x1200, v28
	v_addc_co_u32_e32 v1, vcc, 0, v29, vcc
	flat_load_dword v30, v[0:1] offset:8
	v_mov_b32_e32 v57, 0
	v_mov_b32_e32 v0, 0
	s_waitcnt vmcnt(0) lgkmcnt(0)
	v_cmp_ne_u16_sdwa vcc, v30, v35 src0_sel:BYTE_0 src1_sel:DWORD
	s_and_saveexec_b64 s[30:31], vcc
	s_cbranch_execz .LBB325_472
; %bb.467:                              ;   in Loop: Header=BB325_10 Depth=1
	v_cmp_ne_u16_sdwa vcc, v30, s21 src0_sel:BYTE_0 src1_sel:DWORD
	v_bfrev_b32_e32 v0, 1
	s_and_saveexec_b64 s[34:35], vcc
	s_cbranch_execz .LBB325_471
; %bb.468:                              ;   in Loop: Header=BB325_10 Depth=1
	v_and_b32_e32 v1, 0x7f, v30
	v_cmp_ne_u32_e32 vcc, s39, v1
	v_mov_b32_e32 v0, 0x7fc02000
	s_and_saveexec_b64 s[36:37], vcc
	s_cbranch_execz .LBB325_470
; %bb.469:                              ;   in Loop: Header=BB325_10 Depth=1
	v_and_b32_e32 v2, 7, v30
	v_ffbh_u32_e32 v0, v2
	v_min_u32_e32 v5, 32, v0
	v_subrev_u32_e32 v0, 28, v5
	v_lshrrev_b32_e32 v3, 3, v1
	v_cmp_gt_u32_e32 vcc, 8, v1
	v_lshlrev_b64 v[0:1], v0, v[30:31]
	v_sub_u32_e32 v1, 29, v5
	v_and_b32_e32 v0, 7, v0
	v_cndmask_b32_e32 v1, v3, v1, vcc
	v_mov_b32_e32 v3, 0x2000
	v_cndmask_b32_e32 v0, v2, v0, vcc
	v_lshlrev_b32_e32 v2, 8, v30
	v_lshl_add_u32 v1, v1, 10, v3
	v_and_or_b32 v1, v2, s40, v1
	v_lshl_or_b32 v0, v0, 7, v1
	v_cvt_f32_f16_e32 v0, v0
.LBB325_470:                            ;   in Loop: Header=BB325_10 Depth=1
	s_or_b64 exec, exec, s[36:37]
.LBB325_471:                            ;   in Loop: Header=BB325_10 Depth=1
	s_or_b64 exec, exec, s[34:35]
.LBB325_472:                            ;   in Loop: Header=BB325_10 Depth=1
	s_or_b64 exec, exec, s[30:31]
	v_lshrrev_b16_e32 v32, 8, v30
	v_cmp_ne_u16_e32 vcc, 0, v32
	s_and_saveexec_b64 s[30:31], vcc
	s_cbranch_execz .LBB325_478
; %bb.473:                              ;   in Loop: Header=BB325_10 Depth=1
	v_cmp_ne_u16_e32 vcc, s21, v32
	v_bfrev_b32_e32 v57, 1
	s_and_saveexec_b64 s[34:35], vcc
	s_cbranch_execz .LBB325_477
; %bb.474:                              ;   in Loop: Header=BB325_10 Depth=1
	v_and_b32_e32 v1, 0x7f, v32
	v_cmp_ne_u32_e32 vcc, s39, v1
	v_mov_b32_e32 v57, 0x7fc02000
	s_and_saveexec_b64 s[36:37], vcc
	s_cbranch_execz .LBB325_476
; %bb.475:                              ;   in Loop: Header=BB325_10 Depth=1
	v_and_b32_e32 v5, 7, v32
	v_lshrrev_b32_e32 v6, 3, v1
	v_cmp_gt_u32_e32 vcc, 8, v1
	v_ffbh_u32_e32 v1, v5
	v_min_u32_e32 v1, 32, v1
	v_subrev_u32_e32 v2, 28, v1
	v_lshlrev_b64 v[2:3], v2, v[32:33]
	v_sub_u32_e32 v1, 29, v1
	v_and_b32_e32 v2, 7, v2
	v_cndmask_b32_e32 v1, v6, v1, vcc
	v_cndmask_b32_e32 v2, v5, v2, vcc
	v_mov_b32_e32 v5, 0x2000
	v_lshlrev_b32_e32 v3, 8, v32
	v_lshl_add_u32 v1, v1, 10, v5
	v_and_or_b32 v1, v3, s40, v1
	v_lshl_or_b32 v1, v2, 7, v1
	v_cvt_f32_f16_e32 v57, v1
.LBB325_476:                            ;   in Loop: Header=BB325_10 Depth=1
	s_or_b64 exec, exec, s[36:37]
.LBB325_477:                            ;   in Loop: Header=BB325_10 Depth=1
	s_or_b64 exec, exec, s[34:35]
.LBB325_478:                            ;   in Loop: Header=BB325_10 Depth=1
	s_or_b64 exec, exec, s[30:31]
	v_lshrrev_b32_e32 v32, 16, v30
	v_cmp_ne_u16_sdwa vcc, v32, v35 src0_sel:BYTE_0 src1_sel:DWORD
	v_mov_b32_e32 v19, 0
	v_mov_b32_e32 v18, 0
	s_and_saveexec_b64 s[30:31], vcc
	s_cbranch_execz .LBB325_484
; %bb.479:                              ;   in Loop: Header=BB325_10 Depth=1
	v_cmp_ne_u16_sdwa vcc, v32, s21 src0_sel:BYTE_0 src1_sel:DWORD
	v_bfrev_b32_e32 v18, 1
	s_and_saveexec_b64 s[34:35], vcc
	s_cbranch_execz .LBB325_483
; %bb.480:                              ;   in Loop: Header=BB325_10 Depth=1
	v_bfe_u32 v1, v30, 16, 7
	v_cmp_ne_u32_e32 vcc, s39, v1
	v_mov_b32_e32 v18, 0x7fc02000
	s_and_saveexec_b64 s[36:37], vcc
	s_cbranch_execz .LBB325_482
; %bb.481:                              ;   in Loop: Header=BB325_10 Depth=1
	v_and_b32_e32 v5, 7, v32
	v_lshrrev_b32_e32 v6, 3, v1
	v_cmp_gt_u32_e32 vcc, 8, v1
	v_ffbh_u32_e32 v1, v5
	v_min_u32_e32 v1, 32, v1
	v_subrev_u32_e32 v2, 28, v1
	v_lshlrev_b64 v[2:3], v2, v[32:33]
	v_sub_u32_e32 v1, 29, v1
	v_and_b32_e32 v2, 7, v2
	v_cndmask_b32_e32 v1, v6, v1, vcc
	v_cndmask_b32_e32 v2, v5, v2, vcc
	v_mov_b32_e32 v5, 0x2000
	v_lshlrev_b32_e32 v3, 8, v32
	v_lshl_add_u32 v1, v1, 10, v5
	v_and_or_b32 v1, v3, s40, v1
	v_lshl_or_b32 v1, v2, 7, v1
	v_cvt_f32_f16_e32 v18, v1
.LBB325_482:                            ;   in Loop: Header=BB325_10 Depth=1
	s_or_b64 exec, exec, s[36:37]
.LBB325_483:                            ;   in Loop: Header=BB325_10 Depth=1
	s_or_b64 exec, exec, s[34:35]
.LBB325_484:                            ;   in Loop: Header=BB325_10 Depth=1
	s_or_b64 exec, exec, s[30:31]
	v_cmp_lt_u32_e32 vcc, s41, v30
	s_and_saveexec_b64 s[30:31], vcc
	s_cbranch_execz .LBB325_490
; %bb.485:                              ;   in Loop: Header=BB325_10 Depth=1
	v_lshrrev_b32_e32 v30, 24, v30
	v_cmp_ne_u32_e32 vcc, s21, v30
	v_bfrev_b32_e32 v19, 1
	s_and_saveexec_b64 s[34:35], vcc
	s_cbranch_execz .LBB325_489
; %bb.486:                              ;   in Loop: Header=BB325_10 Depth=1
	v_and_b32_e32 v1, 0x7f, v30
	v_cmp_ne_u32_e32 vcc, s39, v1
	v_mov_b32_e32 v19, 0x7fc02000
	s_and_saveexec_b64 s[36:37], vcc
	s_cbranch_execz .LBB325_488
; %bb.487:                              ;   in Loop: Header=BB325_10 Depth=1
	v_and_b32_e32 v5, 7, v30
	v_lshrrev_b32_e32 v6, 3, v1
	v_cmp_gt_u32_e32 vcc, 8, v1
	v_ffbh_u32_e32 v1, v5
	v_min_u32_e32 v1, 32, v1
	v_subrev_u32_e32 v2, 28, v1
	v_lshlrev_b64 v[2:3], v2, v[30:31]
	v_sub_u32_e32 v1, 29, v1
	v_and_b32_e32 v2, 7, v2
	v_cndmask_b32_e32 v1, v6, v1, vcc
	v_cndmask_b32_e32 v2, v5, v2, vcc
	v_mov_b32_e32 v5, 0x2000
	v_lshlrev_b32_e32 v3, 8, v30
	v_lshl_add_u32 v1, v1, 10, v5
	v_and_or_b32 v1, v3, s40, v1
	v_lshl_or_b32 v1, v2, 7, v1
	v_cvt_f32_f16_e32 v19, v1
.LBB325_488:                            ;   in Loop: Header=BB325_10 Depth=1
	s_or_b64 exec, exec, s[36:37]
.LBB325_489:                            ;   in Loop: Header=BB325_10 Depth=1
	s_or_b64 exec, exec, s[34:35]
.LBB325_490:                            ;   in Loop: Header=BB325_10 Depth=1
	s_or_b64 exec, exec, s[30:31]
	v_add_co_u32_e32 v2, vcc, 0x1000, v28
	v_addc_co_u32_e32 v3, vcc, 0, v29, vcc
	flat_load_dword v30, v[2:3] offset:1024
	v_mov_b32_e32 v62, 0
	v_mov_b32_e32 v22, 0
	s_waitcnt vmcnt(0) lgkmcnt(0)
	v_cmp_ne_u16_sdwa vcc, v30, v35 src0_sel:BYTE_0 src1_sel:DWORD
	s_and_saveexec_b64 s[30:31], vcc
	s_cbranch_execz .LBB325_496
; %bb.491:                              ;   in Loop: Header=BB325_10 Depth=1
	v_cmp_ne_u16_sdwa vcc, v30, s21 src0_sel:BYTE_0 src1_sel:DWORD
	v_bfrev_b32_e32 v22, 1
	s_and_saveexec_b64 s[34:35], vcc
	s_cbranch_execz .LBB325_495
; %bb.492:                              ;   in Loop: Header=BB325_10 Depth=1
	v_and_b32_e32 v1, 0x7f, v30
	v_cmp_ne_u32_e32 vcc, s39, v1
	v_mov_b32_e32 v22, 0x7fc02000
	s_and_saveexec_b64 s[36:37], vcc
	s_cbranch_execz .LBB325_494
; %bb.493:                              ;   in Loop: Header=BB325_10 Depth=1
	v_and_b32_e32 v5, 7, v30
	v_lshrrev_b32_e32 v6, 3, v1
	v_cmp_gt_u32_e32 vcc, 8, v1
	v_ffbh_u32_e32 v1, v5
	v_min_u32_e32 v1, 32, v1
	v_subrev_u32_e32 v2, 28, v1
	v_lshlrev_b64 v[2:3], v2, v[30:31]
	v_sub_u32_e32 v1, 29, v1
	v_and_b32_e32 v2, 7, v2
	v_cndmask_b32_e32 v1, v6, v1, vcc
	v_cndmask_b32_e32 v2, v5, v2, vcc
	v_mov_b32_e32 v5, 0x2000
	v_lshlrev_b32_e32 v3, 8, v30
	v_lshl_add_u32 v1, v1, 10, v5
	v_and_or_b32 v1, v3, s40, v1
	v_lshl_or_b32 v1, v2, 7, v1
	v_cvt_f32_f16_e32 v22, v1
.LBB325_494:                            ;   in Loop: Header=BB325_10 Depth=1
	s_or_b64 exec, exec, s[36:37]
.LBB325_495:                            ;   in Loop: Header=BB325_10 Depth=1
	s_or_b64 exec, exec, s[34:35]
.LBB325_496:                            ;   in Loop: Header=BB325_10 Depth=1
	s_or_b64 exec, exec, s[30:31]
	v_lshrrev_b16_e32 v32, 8, v30
	v_cmp_ne_u16_e32 vcc, 0, v32
	s_and_saveexec_b64 s[30:31], vcc
	s_cbranch_execz .LBB325_502
; %bb.497:                              ;   in Loop: Header=BB325_10 Depth=1
	v_cmp_ne_u16_e32 vcc, s21, v32
	v_bfrev_b32_e32 v62, 1
	s_and_saveexec_b64 s[34:35], vcc
	s_cbranch_execz .LBB325_501
; %bb.498:                              ;   in Loop: Header=BB325_10 Depth=1
	v_and_b32_e32 v1, 0x7f, v32
	v_cmp_ne_u32_e32 vcc, s39, v1
	v_mov_b32_e32 v62, 0x7fc02000
	s_and_saveexec_b64 s[36:37], vcc
	s_cbranch_execz .LBB325_500
; %bb.499:                              ;   in Loop: Header=BB325_10 Depth=1
	v_and_b32_e32 v5, 7, v32
	v_lshrrev_b32_e32 v6, 3, v1
	v_cmp_gt_u32_e32 vcc, 8, v1
	v_ffbh_u32_e32 v1, v5
	v_min_u32_e32 v1, 32, v1
	v_subrev_u32_e32 v2, 28, v1
	v_lshlrev_b64 v[2:3], v2, v[32:33]
	v_sub_u32_e32 v1, 29, v1
	v_and_b32_e32 v2, 7, v2
	v_cndmask_b32_e32 v1, v6, v1, vcc
	v_cndmask_b32_e32 v2, v5, v2, vcc
	v_mov_b32_e32 v5, 0x2000
	v_lshlrev_b32_e32 v3, 8, v32
	v_lshl_add_u32 v1, v1, 10, v5
	v_and_or_b32 v1, v3, s40, v1
	v_lshl_or_b32 v1, v2, 7, v1
	v_cvt_f32_f16_e32 v62, v1
.LBB325_500:                            ;   in Loop: Header=BB325_10 Depth=1
	s_or_b64 exec, exec, s[36:37]
.LBB325_501:                            ;   in Loop: Header=BB325_10 Depth=1
	s_or_b64 exec, exec, s[34:35]
.LBB325_502:                            ;   in Loop: Header=BB325_10 Depth=1
	s_or_b64 exec, exec, s[30:31]
	v_lshrrev_b32_e32 v32, 16, v30
	v_cmp_ne_u16_sdwa vcc, v32, v35 src0_sel:BYTE_0 src1_sel:DWORD
	v_mov_b32_e32 v38, 0
	v_mov_b32_e32 v36, 0
	s_and_saveexec_b64 s[30:31], vcc
	s_cbranch_execz .LBB325_508
; %bb.503:                              ;   in Loop: Header=BB325_10 Depth=1
	v_cmp_ne_u16_sdwa vcc, v32, s21 src0_sel:BYTE_0 src1_sel:DWORD
	v_bfrev_b32_e32 v36, 1
	s_and_saveexec_b64 s[34:35], vcc
	s_cbranch_execz .LBB325_507
; %bb.504:                              ;   in Loop: Header=BB325_10 Depth=1
	v_bfe_u32 v1, v30, 16, 7
	v_cmp_ne_u32_e32 vcc, s39, v1
	v_mov_b32_e32 v36, 0x7fc02000
	s_and_saveexec_b64 s[36:37], vcc
	s_cbranch_execz .LBB325_506
; %bb.505:                              ;   in Loop: Header=BB325_10 Depth=1
	v_and_b32_e32 v5, 7, v32
	v_lshrrev_b32_e32 v6, 3, v1
	v_cmp_gt_u32_e32 vcc, 8, v1
	v_ffbh_u32_e32 v1, v5
	v_min_u32_e32 v1, 32, v1
	v_subrev_u32_e32 v2, 28, v1
	v_lshlrev_b64 v[2:3], v2, v[32:33]
	v_sub_u32_e32 v1, 29, v1
	v_and_b32_e32 v2, 7, v2
	v_cndmask_b32_e32 v1, v6, v1, vcc
	v_cndmask_b32_e32 v2, v5, v2, vcc
	v_mov_b32_e32 v5, 0x2000
	v_lshlrev_b32_e32 v3, 8, v32
	v_lshl_add_u32 v1, v1, 10, v5
	v_and_or_b32 v1, v3, s40, v1
	v_lshl_or_b32 v1, v2, 7, v1
	v_cvt_f32_f16_e32 v36, v1
.LBB325_506:                            ;   in Loop: Header=BB325_10 Depth=1
	s_or_b64 exec, exec, s[36:37]
.LBB325_507:                            ;   in Loop: Header=BB325_10 Depth=1
	s_or_b64 exec, exec, s[34:35]
.LBB325_508:                            ;   in Loop: Header=BB325_10 Depth=1
	s_or_b64 exec, exec, s[30:31]
	v_cmp_lt_u32_e32 vcc, s41, v30
	s_and_saveexec_b64 s[30:31], vcc
	s_cbranch_execz .LBB325_514
; %bb.509:                              ;   in Loop: Header=BB325_10 Depth=1
	v_lshrrev_b32_e32 v30, 24, v30
	v_cmp_ne_u32_e32 vcc, s21, v30
	v_bfrev_b32_e32 v38, 1
	s_and_saveexec_b64 s[34:35], vcc
	s_cbranch_execz .LBB325_513
; %bb.510:                              ;   in Loop: Header=BB325_10 Depth=1
	v_and_b32_e32 v1, 0x7f, v30
	v_cmp_ne_u32_e32 vcc, s39, v1
	v_mov_b32_e32 v38, 0x7fc02000
	s_and_saveexec_b64 s[36:37], vcc
	s_cbranch_execz .LBB325_512
; %bb.511:                              ;   in Loop: Header=BB325_10 Depth=1
	v_and_b32_e32 v5, 7, v30
	v_lshrrev_b32_e32 v6, 3, v1
	v_cmp_gt_u32_e32 vcc, 8, v1
	v_ffbh_u32_e32 v1, v5
	v_min_u32_e32 v1, 32, v1
	v_subrev_u32_e32 v2, 28, v1
	v_lshlrev_b64 v[2:3], v2, v[30:31]
	v_sub_u32_e32 v1, 29, v1
	v_and_b32_e32 v2, 7, v2
	v_cndmask_b32_e32 v1, v6, v1, vcc
	v_cndmask_b32_e32 v2, v5, v2, vcc
	v_mov_b32_e32 v5, 0x2000
	v_lshlrev_b32_e32 v3, 8, v30
	v_lshl_add_u32 v1, v1, 10, v5
	v_and_or_b32 v1, v3, s40, v1
	v_lshl_or_b32 v1, v2, 7, v1
	v_cvt_f32_f16_e32 v38, v1
.LBB325_512:                            ;   in Loop: Header=BB325_10 Depth=1
	s_or_b64 exec, exec, s[36:37]
.LBB325_513:                            ;   in Loop: Header=BB325_10 Depth=1
	s_or_b64 exec, exec, s[34:35]
.LBB325_514:                            ;   in Loop: Header=BB325_10 Depth=1
	s_or_b64 exec, exec, s[30:31]
	v_add_co_u32_e32 v2, vcc, 0x1400, v28
	v_addc_co_u32_e32 v3, vcc, 0, v29, vcc
	flat_load_dword v30, v[2:3] offset:8
	v_mov_b32_e32 v52, 0
	v_mov_b32_e32 v24, 0
	s_waitcnt vmcnt(0) lgkmcnt(0)
	v_cmp_ne_u16_sdwa vcc, v30, v35 src0_sel:BYTE_0 src1_sel:DWORD
	s_and_saveexec_b64 s[30:31], vcc
	s_cbranch_execz .LBB325_520
; %bb.515:                              ;   in Loop: Header=BB325_10 Depth=1
	v_cmp_ne_u16_sdwa vcc, v30, s21 src0_sel:BYTE_0 src1_sel:DWORD
	v_bfrev_b32_e32 v24, 1
	s_and_saveexec_b64 s[34:35], vcc
	s_cbranch_execz .LBB325_519
; %bb.516:                              ;   in Loop: Header=BB325_10 Depth=1
	v_and_b32_e32 v1, 0x7f, v30
	v_cmp_ne_u32_e32 vcc, s39, v1
	v_mov_b32_e32 v24, 0x7fc02000
	s_and_saveexec_b64 s[36:37], vcc
	s_cbranch_execz .LBB325_518
; %bb.517:                              ;   in Loop: Header=BB325_10 Depth=1
	v_and_b32_e32 v5, 7, v30
	v_lshrrev_b32_e32 v6, 3, v1
	v_cmp_gt_u32_e32 vcc, 8, v1
	v_ffbh_u32_e32 v1, v5
	v_min_u32_e32 v1, 32, v1
	v_subrev_u32_e32 v2, 28, v1
	v_lshlrev_b64 v[2:3], v2, v[30:31]
	v_sub_u32_e32 v1, 29, v1
	v_and_b32_e32 v2, 7, v2
	v_cndmask_b32_e32 v1, v6, v1, vcc
	v_cndmask_b32_e32 v2, v5, v2, vcc
	v_mov_b32_e32 v5, 0x2000
	v_lshlrev_b32_e32 v3, 8, v30
	v_lshl_add_u32 v1, v1, 10, v5
	v_and_or_b32 v1, v3, s40, v1
	v_lshl_or_b32 v1, v2, 7, v1
	v_cvt_f32_f16_e32 v24, v1
.LBB325_518:                            ;   in Loop: Header=BB325_10 Depth=1
	s_or_b64 exec, exec, s[36:37]
.LBB325_519:                            ;   in Loop: Header=BB325_10 Depth=1
	s_or_b64 exec, exec, s[34:35]
.LBB325_520:                            ;   in Loop: Header=BB325_10 Depth=1
	s_or_b64 exec, exec, s[30:31]
	v_lshrrev_b16_e32 v32, 8, v30
	v_cmp_ne_u16_e32 vcc, 0, v32
	s_and_saveexec_b64 s[30:31], vcc
	s_cbranch_execz .LBB325_526
; %bb.521:                              ;   in Loop: Header=BB325_10 Depth=1
	v_cmp_ne_u16_e32 vcc, s21, v32
	v_bfrev_b32_e32 v52, 1
	s_and_saveexec_b64 s[34:35], vcc
	s_cbranch_execz .LBB325_525
; %bb.522:                              ;   in Loop: Header=BB325_10 Depth=1
	v_and_b32_e32 v1, 0x7f, v32
	v_cmp_ne_u32_e32 vcc, s39, v1
	v_mov_b32_e32 v52, 0x7fc02000
	s_and_saveexec_b64 s[36:37], vcc
	s_cbranch_execz .LBB325_524
; %bb.523:                              ;   in Loop: Header=BB325_10 Depth=1
	v_and_b32_e32 v5, 7, v32
	v_lshrrev_b32_e32 v6, 3, v1
	v_cmp_gt_u32_e32 vcc, 8, v1
	v_ffbh_u32_e32 v1, v5
	v_min_u32_e32 v1, 32, v1
	v_subrev_u32_e32 v2, 28, v1
	v_lshlrev_b64 v[2:3], v2, v[32:33]
	v_sub_u32_e32 v1, 29, v1
	v_and_b32_e32 v2, 7, v2
	v_cndmask_b32_e32 v1, v6, v1, vcc
	v_cndmask_b32_e32 v2, v5, v2, vcc
	v_mov_b32_e32 v5, 0x2000
	v_lshlrev_b32_e32 v3, 8, v32
	v_lshl_add_u32 v1, v1, 10, v5
	v_and_or_b32 v1, v3, s40, v1
	v_lshl_or_b32 v1, v2, 7, v1
	v_cvt_f32_f16_e32 v52, v1
.LBB325_524:                            ;   in Loop: Header=BB325_10 Depth=1
	s_or_b64 exec, exec, s[36:37]
.LBB325_525:                            ;   in Loop: Header=BB325_10 Depth=1
	s_or_b64 exec, exec, s[34:35]
.LBB325_526:                            ;   in Loop: Header=BB325_10 Depth=1
	s_or_b64 exec, exec, s[30:31]
	v_lshrrev_b32_e32 v32, 16, v30
	v_cmp_ne_u16_sdwa vcc, v32, v35 src0_sel:BYTE_0 src1_sel:DWORD
	v_mov_b32_e32 v12, 0
	v_mov_b32_e32 v11, 0
	s_and_saveexec_b64 s[30:31], vcc
	s_cbranch_execz .LBB325_532
; %bb.527:                              ;   in Loop: Header=BB325_10 Depth=1
	v_cmp_ne_u16_sdwa vcc, v32, s21 src0_sel:BYTE_0 src1_sel:DWORD
	v_bfrev_b32_e32 v11, 1
	s_and_saveexec_b64 s[34:35], vcc
	s_cbranch_execz .LBB325_531
; %bb.528:                              ;   in Loop: Header=BB325_10 Depth=1
	v_bfe_u32 v1, v30, 16, 7
	v_cmp_ne_u32_e32 vcc, s39, v1
	v_mov_b32_e32 v11, 0x7fc02000
	s_and_saveexec_b64 s[36:37], vcc
	s_cbranch_execz .LBB325_530
; %bb.529:                              ;   in Loop: Header=BB325_10 Depth=1
	v_and_b32_e32 v5, 7, v32
	v_lshrrev_b32_e32 v6, 3, v1
	v_cmp_gt_u32_e32 vcc, 8, v1
	v_ffbh_u32_e32 v1, v5
	v_min_u32_e32 v1, 32, v1
	v_subrev_u32_e32 v2, 28, v1
	v_lshlrev_b64 v[2:3], v2, v[32:33]
	v_sub_u32_e32 v1, 29, v1
	v_and_b32_e32 v2, 7, v2
	v_cndmask_b32_e32 v1, v6, v1, vcc
	v_cndmask_b32_e32 v2, v5, v2, vcc
	v_mov_b32_e32 v5, 0x2000
	v_lshlrev_b32_e32 v3, 8, v32
	v_lshl_add_u32 v1, v1, 10, v5
	v_and_or_b32 v1, v3, s40, v1
	v_lshl_or_b32 v1, v2, 7, v1
	v_cvt_f32_f16_e32 v11, v1
.LBB325_530:                            ;   in Loop: Header=BB325_10 Depth=1
	s_or_b64 exec, exec, s[36:37]
.LBB325_531:                            ;   in Loop: Header=BB325_10 Depth=1
	s_or_b64 exec, exec, s[34:35]
.LBB325_532:                            ;   in Loop: Header=BB325_10 Depth=1
	s_or_b64 exec, exec, s[30:31]
	v_cmp_lt_u32_e32 vcc, s41, v30
	s_and_saveexec_b64 s[30:31], vcc
	s_cbranch_execz .LBB325_538
; %bb.533:                              ;   in Loop: Header=BB325_10 Depth=1
	v_lshrrev_b32_e32 v30, 24, v30
	v_cmp_ne_u32_e32 vcc, s21, v30
	v_bfrev_b32_e32 v12, 1
	s_and_saveexec_b64 s[34:35], vcc
	s_cbranch_execz .LBB325_537
; %bb.534:                              ;   in Loop: Header=BB325_10 Depth=1
	v_and_b32_e32 v1, 0x7f, v30
	v_cmp_ne_u32_e32 vcc, s39, v1
	v_mov_b32_e32 v12, 0x7fc02000
	s_and_saveexec_b64 s[36:37], vcc
	s_cbranch_execz .LBB325_536
; %bb.535:                              ;   in Loop: Header=BB325_10 Depth=1
	v_and_b32_e32 v5, 7, v30
	v_lshrrev_b32_e32 v6, 3, v1
	v_cmp_gt_u32_e32 vcc, 8, v1
	v_ffbh_u32_e32 v1, v5
	v_min_u32_e32 v1, 32, v1
	v_subrev_u32_e32 v2, 28, v1
	v_lshlrev_b64 v[2:3], v2, v[30:31]
	v_sub_u32_e32 v1, 29, v1
	v_and_b32_e32 v2, 7, v2
	v_cndmask_b32_e32 v1, v6, v1, vcc
	v_cndmask_b32_e32 v2, v5, v2, vcc
	v_mov_b32_e32 v5, 0x2000
	v_lshlrev_b32_e32 v3, 8, v30
	v_lshl_add_u32 v1, v1, 10, v5
	v_and_or_b32 v1, v3, s40, v1
	v_lshl_or_b32 v1, v2, 7, v1
	v_cvt_f32_f16_e32 v12, v1
.LBB325_536:                            ;   in Loop: Header=BB325_10 Depth=1
	s_or_b64 exec, exec, s[36:37]
.LBB325_537:                            ;   in Loop: Header=BB325_10 Depth=1
	s_or_b64 exec, exec, s[34:35]
.LBB325_538:                            ;   in Loop: Header=BB325_10 Depth=1
	s_or_b64 exec, exec, s[30:31]
	v_add_co_u32_e32 v2, vcc, 0x1000, v28
	v_addc_co_u32_e32 v3, vcc, 0, v29, vcc
	flat_load_dword v30, v[2:3] offset:1536
	v_mov_b32_e32 v39, 0
	v_mov_b32_e32 v48, 0
	s_waitcnt vmcnt(0) lgkmcnt(0)
	v_cmp_ne_u16_sdwa vcc, v30, v35 src0_sel:BYTE_0 src1_sel:DWORD
	s_and_saveexec_b64 s[30:31], vcc
	s_cbranch_execz .LBB325_544
; %bb.539:                              ;   in Loop: Header=BB325_10 Depth=1
	v_cmp_ne_u16_sdwa vcc, v30, s21 src0_sel:BYTE_0 src1_sel:DWORD
	v_bfrev_b32_e32 v48, 1
	s_and_saveexec_b64 s[34:35], vcc
	s_cbranch_execz .LBB325_543
; %bb.540:                              ;   in Loop: Header=BB325_10 Depth=1
	v_and_b32_e32 v1, 0x7f, v30
	v_cmp_ne_u32_e32 vcc, s39, v1
	v_mov_b32_e32 v48, 0x7fc02000
	s_and_saveexec_b64 s[36:37], vcc
	s_cbranch_execz .LBB325_542
; %bb.541:                              ;   in Loop: Header=BB325_10 Depth=1
	v_and_b32_e32 v5, 7, v30
	v_lshrrev_b32_e32 v6, 3, v1
	v_cmp_gt_u32_e32 vcc, 8, v1
	v_ffbh_u32_e32 v1, v5
	v_min_u32_e32 v1, 32, v1
	v_subrev_u32_e32 v2, 28, v1
	v_lshlrev_b64 v[2:3], v2, v[30:31]
	v_sub_u32_e32 v1, 29, v1
	v_and_b32_e32 v2, 7, v2
	v_cndmask_b32_e32 v1, v6, v1, vcc
	v_cndmask_b32_e32 v2, v5, v2, vcc
	v_mov_b32_e32 v5, 0x2000
	v_lshlrev_b32_e32 v3, 8, v30
	v_lshl_add_u32 v1, v1, 10, v5
	v_and_or_b32 v1, v3, s40, v1
	v_lshl_or_b32 v1, v2, 7, v1
	v_cvt_f32_f16_e32 v48, v1
.LBB325_542:                            ;   in Loop: Header=BB325_10 Depth=1
	s_or_b64 exec, exec, s[36:37]
.LBB325_543:                            ;   in Loop: Header=BB325_10 Depth=1
	s_or_b64 exec, exec, s[34:35]
.LBB325_544:                            ;   in Loop: Header=BB325_10 Depth=1
	s_or_b64 exec, exec, s[30:31]
	v_lshrrev_b16_e32 v32, 8, v30
	v_cmp_ne_u16_e32 vcc, 0, v32
	s_and_saveexec_b64 s[30:31], vcc
	s_cbranch_execz .LBB325_550
; %bb.545:                              ;   in Loop: Header=BB325_10 Depth=1
	v_cmp_ne_u16_e32 vcc, s21, v32
	v_bfrev_b32_e32 v39, 1
	s_and_saveexec_b64 s[34:35], vcc
	s_cbranch_execz .LBB325_549
; %bb.546:                              ;   in Loop: Header=BB325_10 Depth=1
	v_and_b32_e32 v1, 0x7f, v32
	v_cmp_ne_u32_e32 vcc, s39, v1
	v_mov_b32_e32 v39, 0x7fc02000
	s_and_saveexec_b64 s[36:37], vcc
	s_cbranch_execz .LBB325_548
; %bb.547:                              ;   in Loop: Header=BB325_10 Depth=1
	v_and_b32_e32 v5, 7, v32
	v_lshrrev_b32_e32 v6, 3, v1
	v_cmp_gt_u32_e32 vcc, 8, v1
	v_ffbh_u32_e32 v1, v5
	v_min_u32_e32 v1, 32, v1
	v_subrev_u32_e32 v2, 28, v1
	v_lshlrev_b64 v[2:3], v2, v[32:33]
	v_sub_u32_e32 v1, 29, v1
	v_and_b32_e32 v2, 7, v2
	v_cndmask_b32_e32 v1, v6, v1, vcc
	v_cndmask_b32_e32 v2, v5, v2, vcc
	v_mov_b32_e32 v5, 0x2000
	v_lshlrev_b32_e32 v3, 8, v32
	v_lshl_add_u32 v1, v1, 10, v5
	v_and_or_b32 v1, v3, s40, v1
	v_lshl_or_b32 v1, v2, 7, v1
	v_cvt_f32_f16_e32 v39, v1
.LBB325_548:                            ;   in Loop: Header=BB325_10 Depth=1
	s_or_b64 exec, exec, s[36:37]
.LBB325_549:                            ;   in Loop: Header=BB325_10 Depth=1
	s_or_b64 exec, exec, s[34:35]
.LBB325_550:                            ;   in Loop: Header=BB325_10 Depth=1
	s_or_b64 exec, exec, s[30:31]
	v_lshrrev_b32_e32 v32, 16, v30
	v_cmp_ne_u16_sdwa vcc, v32, v35 src0_sel:BYTE_0 src1_sel:DWORD
	v_mov_b32_e32 v25, 0
	v_mov_b32_e32 v17, 0
	s_and_saveexec_b64 s[30:31], vcc
	s_cbranch_execz .LBB325_556
; %bb.551:                              ;   in Loop: Header=BB325_10 Depth=1
	v_cmp_ne_u16_sdwa vcc, v32, s21 src0_sel:BYTE_0 src1_sel:DWORD
	v_bfrev_b32_e32 v17, 1
	s_and_saveexec_b64 s[34:35], vcc
	s_cbranch_execz .LBB325_555
; %bb.552:                              ;   in Loop: Header=BB325_10 Depth=1
	v_bfe_u32 v1, v30, 16, 7
	v_cmp_ne_u32_e32 vcc, s39, v1
	v_mov_b32_e32 v17, 0x7fc02000
	s_and_saveexec_b64 s[36:37], vcc
	s_cbranch_execz .LBB325_554
; %bb.553:                              ;   in Loop: Header=BB325_10 Depth=1
	v_and_b32_e32 v5, 7, v32
	v_lshrrev_b32_e32 v6, 3, v1
	v_cmp_gt_u32_e32 vcc, 8, v1
	v_ffbh_u32_e32 v1, v5
	v_min_u32_e32 v1, 32, v1
	v_subrev_u32_e32 v2, 28, v1
	v_lshlrev_b64 v[2:3], v2, v[32:33]
	v_sub_u32_e32 v1, 29, v1
	v_and_b32_e32 v2, 7, v2
	v_cndmask_b32_e32 v1, v6, v1, vcc
	v_cndmask_b32_e32 v2, v5, v2, vcc
	v_mov_b32_e32 v5, 0x2000
	v_lshlrev_b32_e32 v3, 8, v32
	v_lshl_add_u32 v1, v1, 10, v5
	v_and_or_b32 v1, v3, s40, v1
	v_lshl_or_b32 v1, v2, 7, v1
	v_cvt_f32_f16_e32 v17, v1
.LBB325_554:                            ;   in Loop: Header=BB325_10 Depth=1
	s_or_b64 exec, exec, s[36:37]
.LBB325_555:                            ;   in Loop: Header=BB325_10 Depth=1
	s_or_b64 exec, exec, s[34:35]
.LBB325_556:                            ;   in Loop: Header=BB325_10 Depth=1
	s_or_b64 exec, exec, s[30:31]
	v_cmp_lt_u32_e32 vcc, s41, v30
	s_and_saveexec_b64 s[30:31], vcc
	s_cbranch_execz .LBB325_562
; %bb.557:                              ;   in Loop: Header=BB325_10 Depth=1
	v_lshrrev_b32_e32 v30, 24, v30
	v_cmp_ne_u32_e32 vcc, s21, v30
	v_bfrev_b32_e32 v25, 1
	s_and_saveexec_b64 s[34:35], vcc
	s_cbranch_execz .LBB325_561
; %bb.558:                              ;   in Loop: Header=BB325_10 Depth=1
	v_and_b32_e32 v1, 0x7f, v30
	v_cmp_ne_u32_e32 vcc, s39, v1
	v_mov_b32_e32 v25, 0x7fc02000
	s_and_saveexec_b64 s[36:37], vcc
	s_cbranch_execz .LBB325_560
; %bb.559:                              ;   in Loop: Header=BB325_10 Depth=1
	v_and_b32_e32 v5, 7, v30
	v_lshrrev_b32_e32 v6, 3, v1
	v_cmp_gt_u32_e32 vcc, 8, v1
	v_ffbh_u32_e32 v1, v5
	v_min_u32_e32 v1, 32, v1
	v_subrev_u32_e32 v2, 28, v1
	v_lshlrev_b64 v[2:3], v2, v[30:31]
	v_sub_u32_e32 v1, 29, v1
	v_and_b32_e32 v2, 7, v2
	v_cndmask_b32_e32 v1, v6, v1, vcc
	v_cndmask_b32_e32 v2, v5, v2, vcc
	v_mov_b32_e32 v5, 0x2000
	v_lshlrev_b32_e32 v3, 8, v30
	v_lshl_add_u32 v1, v1, 10, v5
	v_and_or_b32 v1, v3, s40, v1
	v_lshl_or_b32 v1, v2, 7, v1
	v_cvt_f32_f16_e32 v25, v1
.LBB325_560:                            ;   in Loop: Header=BB325_10 Depth=1
	s_or_b64 exec, exec, s[36:37]
.LBB325_561:                            ;   in Loop: Header=BB325_10 Depth=1
	s_or_b64 exec, exec, s[34:35]
.LBB325_562:                            ;   in Loop: Header=BB325_10 Depth=1
	s_or_b64 exec, exec, s[30:31]
	v_add_co_u32_e32 v2, vcc, 0x1600, v28
	v_addc_co_u32_e32 v3, vcc, 0, v29, vcc
	flat_load_dword v30, v[2:3] offset:8
	v_mov_b32_e32 v40, 0
	v_mov_b32_e32 v51, 0
	s_waitcnt vmcnt(0) lgkmcnt(0)
	v_cmp_ne_u16_sdwa vcc, v30, v35 src0_sel:BYTE_0 src1_sel:DWORD
	s_and_saveexec_b64 s[30:31], vcc
	s_cbranch_execz .LBB325_568
; %bb.563:                              ;   in Loop: Header=BB325_10 Depth=1
	v_cmp_ne_u16_sdwa vcc, v30, s21 src0_sel:BYTE_0 src1_sel:DWORD
	v_bfrev_b32_e32 v51, 1
	s_and_saveexec_b64 s[34:35], vcc
	s_cbranch_execz .LBB325_567
; %bb.564:                              ;   in Loop: Header=BB325_10 Depth=1
	v_and_b32_e32 v1, 0x7f, v30
	v_cmp_ne_u32_e32 vcc, s39, v1
	v_mov_b32_e32 v51, 0x7fc02000
	s_and_saveexec_b64 s[36:37], vcc
	s_cbranch_execz .LBB325_566
; %bb.565:                              ;   in Loop: Header=BB325_10 Depth=1
	v_and_b32_e32 v5, 7, v30
	v_lshrrev_b32_e32 v6, 3, v1
	v_cmp_gt_u32_e32 vcc, 8, v1
	v_ffbh_u32_e32 v1, v5
	v_min_u32_e32 v1, 32, v1
	v_subrev_u32_e32 v2, 28, v1
	v_lshlrev_b64 v[2:3], v2, v[30:31]
	v_sub_u32_e32 v1, 29, v1
	v_and_b32_e32 v2, 7, v2
	v_cndmask_b32_e32 v1, v6, v1, vcc
	v_cndmask_b32_e32 v2, v5, v2, vcc
	v_mov_b32_e32 v5, 0x2000
	v_lshlrev_b32_e32 v3, 8, v30
	v_lshl_add_u32 v1, v1, 10, v5
	v_and_or_b32 v1, v3, s40, v1
	v_lshl_or_b32 v1, v2, 7, v1
	v_cvt_f32_f16_e32 v51, v1
.LBB325_566:                            ;   in Loop: Header=BB325_10 Depth=1
	s_or_b64 exec, exec, s[36:37]
.LBB325_567:                            ;   in Loop: Header=BB325_10 Depth=1
	s_or_b64 exec, exec, s[34:35]
.LBB325_568:                            ;   in Loop: Header=BB325_10 Depth=1
	s_or_b64 exec, exec, s[30:31]
	v_lshrrev_b16_e32 v32, 8, v30
	v_cmp_ne_u16_e32 vcc, 0, v32
	s_and_saveexec_b64 s[30:31], vcc
	s_cbranch_execz .LBB325_574
; %bb.569:                              ;   in Loop: Header=BB325_10 Depth=1
	v_cmp_ne_u16_e32 vcc, s21, v32
	v_bfrev_b32_e32 v40, 1
	s_and_saveexec_b64 s[34:35], vcc
	s_cbranch_execz .LBB325_573
; %bb.570:                              ;   in Loop: Header=BB325_10 Depth=1
	v_and_b32_e32 v1, 0x7f, v32
	v_cmp_ne_u32_e32 vcc, s39, v1
	v_mov_b32_e32 v40, 0x7fc02000
	s_and_saveexec_b64 s[36:37], vcc
	s_cbranch_execz .LBB325_572
; %bb.571:                              ;   in Loop: Header=BB325_10 Depth=1
	v_and_b32_e32 v5, 7, v32
	v_lshrrev_b32_e32 v6, 3, v1
	v_cmp_gt_u32_e32 vcc, 8, v1
	v_ffbh_u32_e32 v1, v5
	v_min_u32_e32 v1, 32, v1
	v_subrev_u32_e32 v2, 28, v1
	v_lshlrev_b64 v[2:3], v2, v[32:33]
	v_sub_u32_e32 v1, 29, v1
	v_and_b32_e32 v2, 7, v2
	v_cndmask_b32_e32 v1, v6, v1, vcc
	v_cndmask_b32_e32 v2, v5, v2, vcc
	v_mov_b32_e32 v5, 0x2000
	v_lshlrev_b32_e32 v3, 8, v32
	v_lshl_add_u32 v1, v1, 10, v5
	v_and_or_b32 v1, v3, s40, v1
	v_lshl_or_b32 v1, v2, 7, v1
	v_cvt_f32_f16_e32 v40, v1
.LBB325_572:                            ;   in Loop: Header=BB325_10 Depth=1
	s_or_b64 exec, exec, s[36:37]
.LBB325_573:                            ;   in Loop: Header=BB325_10 Depth=1
	s_or_b64 exec, exec, s[34:35]
.LBB325_574:                            ;   in Loop: Header=BB325_10 Depth=1
	s_or_b64 exec, exec, s[30:31]
	v_lshrrev_b32_e32 v32, 16, v30
	v_cmp_ne_u16_sdwa vcc, v32, v35 src0_sel:BYTE_0 src1_sel:DWORD
	v_mov_b32_e32 v56, 0
	v_mov_b32_e32 v54, 0
	s_and_saveexec_b64 s[30:31], vcc
	s_cbranch_execz .LBB325_580
; %bb.575:                              ;   in Loop: Header=BB325_10 Depth=1
	v_cmp_ne_u16_sdwa vcc, v32, s21 src0_sel:BYTE_0 src1_sel:DWORD
	v_bfrev_b32_e32 v54, 1
	s_and_saveexec_b64 s[34:35], vcc
	s_cbranch_execz .LBB325_579
; %bb.576:                              ;   in Loop: Header=BB325_10 Depth=1
	v_bfe_u32 v1, v30, 16, 7
	v_cmp_ne_u32_e32 vcc, s39, v1
	v_mov_b32_e32 v54, 0x7fc02000
	s_and_saveexec_b64 s[36:37], vcc
	s_cbranch_execz .LBB325_578
; %bb.577:                              ;   in Loop: Header=BB325_10 Depth=1
	v_and_b32_e32 v5, 7, v32
	v_lshrrev_b32_e32 v6, 3, v1
	v_cmp_gt_u32_e32 vcc, 8, v1
	v_ffbh_u32_e32 v1, v5
	v_min_u32_e32 v1, 32, v1
	v_subrev_u32_e32 v2, 28, v1
	v_lshlrev_b64 v[2:3], v2, v[32:33]
	v_sub_u32_e32 v1, 29, v1
	v_and_b32_e32 v2, 7, v2
	v_cndmask_b32_e32 v1, v6, v1, vcc
	v_cndmask_b32_e32 v2, v5, v2, vcc
	v_mov_b32_e32 v5, 0x2000
	v_lshlrev_b32_e32 v3, 8, v32
	v_lshl_add_u32 v1, v1, 10, v5
	v_and_or_b32 v1, v3, s40, v1
	v_lshl_or_b32 v1, v2, 7, v1
	v_cvt_f32_f16_e32 v54, v1
.LBB325_578:                            ;   in Loop: Header=BB325_10 Depth=1
	s_or_b64 exec, exec, s[36:37]
.LBB325_579:                            ;   in Loop: Header=BB325_10 Depth=1
	s_or_b64 exec, exec, s[34:35]
.LBB325_580:                            ;   in Loop: Header=BB325_10 Depth=1
	s_or_b64 exec, exec, s[30:31]
	v_cmp_lt_u32_e32 vcc, s41, v30
	s_and_saveexec_b64 s[30:31], vcc
	s_cbranch_execz .LBB325_586
; %bb.581:                              ;   in Loop: Header=BB325_10 Depth=1
	v_lshrrev_b32_e32 v30, 24, v30
	v_cmp_ne_u32_e32 vcc, s21, v30
	v_bfrev_b32_e32 v56, 1
	s_and_saveexec_b64 s[34:35], vcc
	s_cbranch_execz .LBB325_585
; %bb.582:                              ;   in Loop: Header=BB325_10 Depth=1
	v_and_b32_e32 v1, 0x7f, v30
	v_cmp_ne_u32_e32 vcc, s39, v1
	v_mov_b32_e32 v56, 0x7fc02000
	s_and_saveexec_b64 s[36:37], vcc
	s_cbranch_execz .LBB325_584
; %bb.583:                              ;   in Loop: Header=BB325_10 Depth=1
	v_and_b32_e32 v5, 7, v30
	v_lshrrev_b32_e32 v6, 3, v1
	v_cmp_gt_u32_e32 vcc, 8, v1
	v_ffbh_u32_e32 v1, v5
	v_min_u32_e32 v1, 32, v1
	v_subrev_u32_e32 v2, 28, v1
	v_lshlrev_b64 v[2:3], v2, v[30:31]
	v_sub_u32_e32 v1, 29, v1
	v_and_b32_e32 v2, 7, v2
	v_cndmask_b32_e32 v1, v6, v1, vcc
	v_cndmask_b32_e32 v2, v5, v2, vcc
	v_mov_b32_e32 v5, 0x2000
	v_lshlrev_b32_e32 v3, 8, v30
	v_lshl_add_u32 v1, v1, 10, v5
	v_and_or_b32 v1, v3, s40, v1
	v_lshl_or_b32 v1, v2, 7, v1
	v_cvt_f32_f16_e32 v56, v1
.LBB325_584:                            ;   in Loop: Header=BB325_10 Depth=1
	s_or_b64 exec, exec, s[36:37]
.LBB325_585:                            ;   in Loop: Header=BB325_10 Depth=1
	s_or_b64 exec, exec, s[34:35]
.LBB325_586:                            ;   in Loop: Header=BB325_10 Depth=1
	s_or_b64 exec, exec, s[30:31]
	v_add_co_u32_e32 v2, vcc, 0x1000, v28
	v_addc_co_u32_e32 v3, vcc, 0, v29, vcc
	flat_load_dword v30, v[2:3] offset:2048
	v_mov_b32_e32 v8, 0
	v_mov_b32_e32 v26, 0
	s_waitcnt vmcnt(0) lgkmcnt(0)
	v_cmp_ne_u16_sdwa vcc, v30, v35 src0_sel:BYTE_0 src1_sel:DWORD
	s_and_saveexec_b64 s[30:31], vcc
	s_cbranch_execz .LBB325_592
; %bb.587:                              ;   in Loop: Header=BB325_10 Depth=1
	v_cmp_ne_u16_sdwa vcc, v30, s21 src0_sel:BYTE_0 src1_sel:DWORD
	v_bfrev_b32_e32 v26, 1
	s_and_saveexec_b64 s[34:35], vcc
	s_cbranch_execz .LBB325_591
; %bb.588:                              ;   in Loop: Header=BB325_10 Depth=1
	v_and_b32_e32 v1, 0x7f, v30
	v_cmp_ne_u32_e32 vcc, s39, v1
	v_mov_b32_e32 v26, 0x7fc02000
	s_and_saveexec_b64 s[36:37], vcc
	s_cbranch_execz .LBB325_590
; %bb.589:                              ;   in Loop: Header=BB325_10 Depth=1
	v_and_b32_e32 v5, 7, v30
	v_lshrrev_b32_e32 v6, 3, v1
	v_cmp_gt_u32_e32 vcc, 8, v1
	v_ffbh_u32_e32 v1, v5
	v_min_u32_e32 v1, 32, v1
	v_subrev_u32_e32 v2, 28, v1
	v_lshlrev_b64 v[2:3], v2, v[30:31]
	v_sub_u32_e32 v1, 29, v1
	v_and_b32_e32 v2, 7, v2
	v_cndmask_b32_e32 v1, v6, v1, vcc
	v_cndmask_b32_e32 v2, v5, v2, vcc
	v_mov_b32_e32 v5, 0x2000
	v_lshlrev_b32_e32 v3, 8, v30
	v_lshl_add_u32 v1, v1, 10, v5
	v_and_or_b32 v1, v3, s40, v1
	v_lshl_or_b32 v1, v2, 7, v1
	v_cvt_f32_f16_e32 v26, v1
.LBB325_590:                            ;   in Loop: Header=BB325_10 Depth=1
	s_or_b64 exec, exec, s[36:37]
.LBB325_591:                            ;   in Loop: Header=BB325_10 Depth=1
	s_or_b64 exec, exec, s[34:35]
.LBB325_592:                            ;   in Loop: Header=BB325_10 Depth=1
	s_or_b64 exec, exec, s[30:31]
	v_lshrrev_b16_e32 v32, 8, v30
	v_cmp_ne_u16_e32 vcc, 0, v32
	s_and_saveexec_b64 s[30:31], vcc
	s_cbranch_execz .LBB325_598
; %bb.593:                              ;   in Loop: Header=BB325_10 Depth=1
	v_cmp_ne_u16_e32 vcc, s21, v32
	v_bfrev_b32_e32 v8, 1
	s_and_saveexec_b64 s[34:35], vcc
	s_cbranch_execz .LBB325_597
; %bb.594:                              ;   in Loop: Header=BB325_10 Depth=1
	v_and_b32_e32 v1, 0x7f, v32
	v_cmp_ne_u32_e32 vcc, s39, v1
	v_mov_b32_e32 v8, 0x7fc02000
	s_and_saveexec_b64 s[36:37], vcc
	s_cbranch_execz .LBB325_596
; %bb.595:                              ;   in Loop: Header=BB325_10 Depth=1
	v_and_b32_e32 v5, 7, v32
	v_lshrrev_b32_e32 v6, 3, v1
	v_cmp_gt_u32_e32 vcc, 8, v1
	v_ffbh_u32_e32 v1, v5
	v_min_u32_e32 v1, 32, v1
	v_subrev_u32_e32 v2, 28, v1
	v_lshlrev_b64 v[2:3], v2, v[32:33]
	v_sub_u32_e32 v1, 29, v1
	v_and_b32_e32 v2, 7, v2
	v_cndmask_b32_e32 v1, v6, v1, vcc
	v_cndmask_b32_e32 v2, v5, v2, vcc
	v_mov_b32_e32 v5, 0x2000
	v_lshlrev_b32_e32 v3, 8, v32
	v_lshl_add_u32 v1, v1, 10, v5
	v_and_or_b32 v1, v3, s40, v1
	v_lshl_or_b32 v1, v2, 7, v1
	v_cvt_f32_f16_e32 v8, v1
.LBB325_596:                            ;   in Loop: Header=BB325_10 Depth=1
	s_or_b64 exec, exec, s[36:37]
.LBB325_597:                            ;   in Loop: Header=BB325_10 Depth=1
	s_or_b64 exec, exec, s[34:35]
.LBB325_598:                            ;   in Loop: Header=BB325_10 Depth=1
	s_or_b64 exec, exec, s[30:31]
	v_lshrrev_b32_e32 v32, 16, v30
	v_cmp_ne_u16_sdwa vcc, v32, v35 src0_sel:BYTE_0 src1_sel:DWORD
	v_mov_b32_e32 v2, 0
	v_mov_b32_e32 v33, 0
	s_and_saveexec_b64 s[30:31], vcc
	s_cbranch_execz .LBB325_604
; %bb.599:                              ;   in Loop: Header=BB325_10 Depth=1
	v_cmp_ne_u16_sdwa vcc, v32, s21 src0_sel:BYTE_0 src1_sel:DWORD
	v_bfrev_b32_e32 v33, 1
	s_and_saveexec_b64 s[34:35], vcc
	s_cbranch_execz .LBB325_603
; %bb.600:                              ;   in Loop: Header=BB325_10 Depth=1
	v_bfe_u32 v1, v30, 16, 7
	v_cmp_ne_u32_e32 vcc, s39, v1
	v_mov_b32_e32 v33, 0x7fc02000
	s_and_saveexec_b64 s[36:37], vcc
	s_cbranch_execz .LBB325_602
; %bb.601:                              ;   in Loop: Header=BB325_10 Depth=1
	v_and_b32_e32 v3, 7, v32
	v_lshrrev_b32_e32 v5, 3, v1
	v_cmp_gt_u32_e32 vcc, 8, v1
	v_ffbh_u32_e32 v1, v3
	v_min_u32_e32 v1, 32, v1
	v_subrev_u32_e32 v6, 28, v1
	v_lshlrev_b64 v[6:7], v6, v[32:33]
	v_sub_u32_e32 v1, 29, v1
	v_and_b32_e32 v6, 7, v6
	v_cndmask_b32_e32 v1, v5, v1, vcc
	v_cndmask_b32_e32 v3, v3, v6, vcc
	v_mov_b32_e32 v6, 0x2000
	v_lshlrev_b32_e32 v5, 8, v32
	v_lshl_add_u32 v1, v1, 10, v6
	v_and_or_b32 v1, v5, s40, v1
	v_lshl_or_b32 v1, v3, 7, v1
	v_cvt_f32_f16_e32 v33, v1
.LBB325_602:                            ;   in Loop: Header=BB325_10 Depth=1
	s_or_b64 exec, exec, s[36:37]
.LBB325_603:                            ;   in Loop: Header=BB325_10 Depth=1
	s_or_b64 exec, exec, s[34:35]
.LBB325_604:                            ;   in Loop: Header=BB325_10 Depth=1
	s_or_b64 exec, exec, s[30:31]
	v_cmp_lt_u32_e32 vcc, s41, v30
	s_and_saveexec_b64 s[30:31], vcc
	s_cbranch_execz .LBB325_610
; %bb.605:                              ;   in Loop: Header=BB325_10 Depth=1
	v_lshrrev_b32_e32 v30, 24, v30
	v_cmp_ne_u32_e32 vcc, s21, v30
	v_bfrev_b32_e32 v2, 1
	s_and_saveexec_b64 s[34:35], vcc
	s_cbranch_execz .LBB325_609
; %bb.606:                              ;   in Loop: Header=BB325_10 Depth=1
	v_and_b32_e32 v1, 0x7f, v30
	v_cmp_ne_u32_e32 vcc, s39, v1
	v_mov_b32_e32 v2, 0x7fc02000
	s_and_saveexec_b64 s[36:37], vcc
	s_cbranch_execz .LBB325_608
; %bb.607:                              ;   in Loop: Header=BB325_10 Depth=1
	v_and_b32_e32 v5, 7, v30
	v_lshrrev_b32_e32 v6, 3, v1
	v_cmp_gt_u32_e32 vcc, 8, v1
	v_ffbh_u32_e32 v1, v5
	v_min_u32_e32 v1, 32, v1
	v_subrev_u32_e32 v2, 28, v1
	v_lshlrev_b64 v[2:3], v2, v[30:31]
	v_sub_u32_e32 v1, 29, v1
	v_and_b32_e32 v2, 7, v2
	v_cndmask_b32_e32 v1, v6, v1, vcc
	v_cndmask_b32_e32 v2, v5, v2, vcc
	v_mov_b32_e32 v5, 0x2000
	v_lshlrev_b32_e32 v3, 8, v30
	v_lshl_add_u32 v1, v1, 10, v5
	v_and_or_b32 v1, v3, s40, v1
	v_lshl_or_b32 v1, v2, 7, v1
	v_cvt_f32_f16_e32 v2, v1
.LBB325_608:                            ;   in Loop: Header=BB325_10 Depth=1
	s_or_b64 exec, exec, s[36:37]
.LBB325_609:                            ;   in Loop: Header=BB325_10 Depth=1
	s_or_b64 exec, exec, s[34:35]
.LBB325_610:                            ;   in Loop: Header=BB325_10 Depth=1
	s_or_b64 exec, exec, s[30:31]
	v_add_co_u32_e32 v6, vcc, 0x1800, v28
	v_addc_co_u32_e32 v7, vcc, 0, v29, vcc
	flat_load_dword v30, v[6:7] offset:8
	v_mov_b32_e32 v16, 0
	v_mov_b32_e32 v6, 0
	s_waitcnt vmcnt(0) lgkmcnt(0)
	v_cmp_ne_u16_sdwa vcc, v30, v35 src0_sel:BYTE_0 src1_sel:DWORD
	s_and_saveexec_b64 s[30:31], vcc
	s_cbranch_execz .LBB325_616
; %bb.611:                              ;   in Loop: Header=BB325_10 Depth=1
	v_cmp_ne_u16_sdwa vcc, v30, s21 src0_sel:BYTE_0 src1_sel:DWORD
	v_bfrev_b32_e32 v6, 1
	s_and_saveexec_b64 s[34:35], vcc
	s_cbranch_execz .LBB325_615
; %bb.612:                              ;   in Loop: Header=BB325_10 Depth=1
	v_and_b32_e32 v1, 0x7f, v30
	v_cmp_ne_u32_e32 vcc, s39, v1
	v_mov_b32_e32 v6, 0x7fc02000
	s_and_saveexec_b64 s[36:37], vcc
	s_cbranch_execz .LBB325_614
; %bb.613:                              ;   in Loop: Header=BB325_10 Depth=1
	v_and_b32_e32 v3, 7, v30
	v_lshrrev_b32_e32 v5, 3, v1
	v_cmp_gt_u32_e32 vcc, 8, v1
	v_ffbh_u32_e32 v1, v3
	v_min_u32_e32 v1, 32, v1
	v_subrev_u32_e32 v6, 28, v1
	v_lshlrev_b64 v[6:7], v6, v[30:31]
	v_sub_u32_e32 v1, 29, v1
	v_and_b32_e32 v6, 7, v6
	v_cndmask_b32_e32 v1, v5, v1, vcc
	v_cndmask_b32_e32 v3, v3, v6, vcc
	v_mov_b32_e32 v6, 0x2000
	v_lshlrev_b32_e32 v5, 8, v30
	v_lshl_add_u32 v1, v1, 10, v6
	v_and_or_b32 v1, v5, s40, v1
	v_lshl_or_b32 v1, v3, 7, v1
	v_cvt_f32_f16_e32 v6, v1
.LBB325_614:                            ;   in Loop: Header=BB325_10 Depth=1
	s_or_b64 exec, exec, s[36:37]
.LBB325_615:                            ;   in Loop: Header=BB325_10 Depth=1
	s_or_b64 exec, exec, s[34:35]
.LBB325_616:                            ;   in Loop: Header=BB325_10 Depth=1
	s_or_b64 exec, exec, s[30:31]
	v_lshrrev_b16_e32 v32, 8, v30
	v_cmp_ne_u16_e32 vcc, 0, v32
	s_and_saveexec_b64 s[30:31], vcc
	s_cbranch_execz .LBB325_622
; %bb.617:                              ;   in Loop: Header=BB325_10 Depth=1
	v_cmp_ne_u16_e32 vcc, s21, v32
	v_bfrev_b32_e32 v16, 1
	s_and_saveexec_b64 s[34:35], vcc
	s_cbranch_execz .LBB325_621
; %bb.618:                              ;   in Loop: Header=BB325_10 Depth=1
	v_and_b32_e32 v1, 0x7f, v32
	v_cmp_ne_u32_e32 vcc, s39, v1
	v_mov_b32_e32 v16, 0x7fc02000
	s_and_saveexec_b64 s[36:37], vcc
	s_cbranch_execz .LBB325_620
; %bb.619:                              ;   in Loop: Header=BB325_10 Depth=1
	v_and_b32_e32 v3, 7, v32
	v_lshrrev_b32_e32 v5, 3, v1
	v_cmp_gt_u32_e32 vcc, 8, v1
	v_ffbh_u32_e32 v1, v3
	v_min_u32_e32 v1, 32, v1
	v_subrev_u32_e32 v7, 28, v1
	v_lshlrev_b64 v[20:21], v7, v[32:33]
	v_sub_u32_e32 v1, 29, v1
	v_and_b32_e32 v7, 7, v20
	v_cndmask_b32_e32 v1, v5, v1, vcc
	v_cndmask_b32_e32 v3, v3, v7, vcc
	v_mov_b32_e32 v7, 0x2000
	v_lshlrev_b32_e32 v5, 8, v32
	v_lshl_add_u32 v1, v1, 10, v7
	v_and_or_b32 v1, v5, s40, v1
	v_lshl_or_b32 v1, v3, 7, v1
	v_cvt_f32_f16_e32 v16, v1
.LBB325_620:                            ;   in Loop: Header=BB325_10 Depth=1
	s_or_b64 exec, exec, s[36:37]
.LBB325_621:                            ;   in Loop: Header=BB325_10 Depth=1
	s_or_b64 exec, exec, s[34:35]
.LBB325_622:                            ;   in Loop: Header=BB325_10 Depth=1
	s_or_b64 exec, exec, s[30:31]
	v_lshrrev_b32_e32 v32, 16, v30
	v_cmp_ne_u16_sdwa vcc, v32, v35 src0_sel:BYTE_0 src1_sel:DWORD
	v_mov_b32_e32 v5, 0
	v_mov_b32_e32 v47, 0
	s_and_saveexec_b64 s[30:31], vcc
	s_cbranch_execz .LBB325_628
; %bb.623:                              ;   in Loop: Header=BB325_10 Depth=1
	v_cmp_ne_u16_sdwa vcc, v32, s21 src0_sel:BYTE_0 src1_sel:DWORD
	v_bfrev_b32_e32 v47, 1
	s_and_saveexec_b64 s[34:35], vcc
	s_cbranch_execz .LBB325_627
; %bb.624:                              ;   in Loop: Header=BB325_10 Depth=1
	v_bfe_u32 v1, v30, 16, 7
	v_cmp_ne_u32_e32 vcc, s39, v1
	v_mov_b32_e32 v47, 0x7fc02000
	s_and_saveexec_b64 s[36:37], vcc
	s_cbranch_execz .LBB325_626
; %bb.625:                              ;   in Loop: Header=BB325_10 Depth=1
	v_and_b32_e32 v3, 7, v32
	v_lshrrev_b32_e32 v7, 3, v1
	v_cmp_gt_u32_e32 vcc, 8, v1
	v_ffbh_u32_e32 v1, v3
	v_min_u32_e32 v1, 32, v1
	v_subrev_u32_e32 v9, 28, v1
	v_lshlrev_b64 v[20:21], v9, v[32:33]
	v_sub_u32_e32 v1, 29, v1
	v_and_b32_e32 v9, 7, v20
	v_cndmask_b32_e32 v1, v7, v1, vcc
	v_cndmask_b32_e32 v3, v3, v9, vcc
	v_mov_b32_e32 v9, 0x2000
	v_lshlrev_b32_e32 v7, 8, v32
	v_lshl_add_u32 v1, v1, 10, v9
	v_and_or_b32 v1, v7, s40, v1
	v_lshl_or_b32 v1, v3, 7, v1
	v_cvt_f32_f16_e32 v47, v1
.LBB325_626:                            ;   in Loop: Header=BB325_10 Depth=1
	s_or_b64 exec, exec, s[36:37]
.LBB325_627:                            ;   in Loop: Header=BB325_10 Depth=1
	s_or_b64 exec, exec, s[34:35]
.LBB325_628:                            ;   in Loop: Header=BB325_10 Depth=1
	s_or_b64 exec, exec, s[30:31]
	v_cmp_lt_u32_e32 vcc, s41, v30
	s_and_saveexec_b64 s[30:31], vcc
	s_cbranch_execz .LBB325_634
; %bb.629:                              ;   in Loop: Header=BB325_10 Depth=1
	v_lshrrev_b32_e32 v30, 24, v30
	v_cmp_ne_u32_e32 vcc, s21, v30
	v_bfrev_b32_e32 v5, 1
	s_and_saveexec_b64 s[34:35], vcc
	s_cbranch_execz .LBB325_633
; %bb.630:                              ;   in Loop: Header=BB325_10 Depth=1
	v_and_b32_e32 v1, 0x7f, v30
	v_cmp_ne_u32_e32 vcc, s39, v1
	v_mov_b32_e32 v5, 0x7fc02000
	s_and_saveexec_b64 s[36:37], vcc
	s_cbranch_execz .LBB325_632
; %bb.631:                              ;   in Loop: Header=BB325_10 Depth=1
	v_and_b32_e32 v3, 7, v30
	v_lshrrev_b32_e32 v5, 3, v1
	v_cmp_gt_u32_e32 vcc, 8, v1
	v_ffbh_u32_e32 v1, v3
	v_min_u32_e32 v1, 32, v1
	v_subrev_u32_e32 v7, 28, v1
	v_lshlrev_b64 v[20:21], v7, v[30:31]
	v_sub_u32_e32 v1, 29, v1
	v_and_b32_e32 v7, 7, v20
	v_cndmask_b32_e32 v1, v5, v1, vcc
	v_cndmask_b32_e32 v3, v3, v7, vcc
	v_mov_b32_e32 v7, 0x2000
	v_lshlrev_b32_e32 v5, 8, v30
	v_lshl_add_u32 v1, v1, 10, v7
	v_and_or_b32 v1, v5, s40, v1
	v_lshl_or_b32 v1, v3, 7, v1
	v_cvt_f32_f16_e32 v5, v1
.LBB325_632:                            ;   in Loop: Header=BB325_10 Depth=1
	s_or_b64 exec, exec, s[36:37]
.LBB325_633:                            ;   in Loop: Header=BB325_10 Depth=1
	s_or_b64 exec, exec, s[34:35]
.LBB325_634:                            ;   in Loop: Header=BB325_10 Depth=1
	s_or_b64 exec, exec, s[30:31]
	v_add_co_u32_e32 v20, vcc, 0x1000, v28
	v_addc_co_u32_e32 v21, vcc, 0, v29, vcc
	flat_load_dword v30, v[20:21] offset:2560
	v_mov_b32_e32 v7, 0
	v_mov_b32_e32 v20, 0
	s_waitcnt vmcnt(0) lgkmcnt(0)
	v_cmp_ne_u16_sdwa vcc, v30, v35 src0_sel:BYTE_0 src1_sel:DWORD
	s_and_saveexec_b64 s[30:31], vcc
	s_cbranch_execz .LBB325_640
; %bb.635:                              ;   in Loop: Header=BB325_10 Depth=1
	v_cmp_ne_u16_sdwa vcc, v30, s21 src0_sel:BYTE_0 src1_sel:DWORD
	v_bfrev_b32_e32 v20, 1
	s_and_saveexec_b64 s[34:35], vcc
	s_cbranch_execz .LBB325_639
; %bb.636:                              ;   in Loop: Header=BB325_10 Depth=1
	v_and_b32_e32 v1, 0x7f, v30
	v_cmp_ne_u32_e32 vcc, s39, v1
	v_mov_b32_e32 v20, 0x7fc02000
	s_and_saveexec_b64 s[36:37], vcc
	s_cbranch_execz .LBB325_638
; %bb.637:                              ;   in Loop: Header=BB325_10 Depth=1
	v_and_b32_e32 v3, 7, v30
	v_lshrrev_b32_e32 v9, 3, v1
	v_cmp_gt_u32_e32 vcc, 8, v1
	v_ffbh_u32_e32 v1, v3
	v_min_u32_e32 v1, 32, v1
	v_subrev_u32_e32 v13, 28, v1
	v_lshlrev_b64 v[20:21], v13, v[30:31]
	v_sub_u32_e32 v1, 29, v1
	v_and_b32_e32 v13, 7, v20
	v_cndmask_b32_e32 v1, v9, v1, vcc
	v_cndmask_b32_e32 v3, v3, v13, vcc
	v_mov_b32_e32 v13, 0x2000
	v_lshlrev_b32_e32 v9, 8, v30
	v_lshl_add_u32 v1, v1, 10, v13
	v_and_or_b32 v1, v9, s40, v1
	v_lshl_or_b32 v1, v3, 7, v1
	v_cvt_f32_f16_e32 v20, v1
.LBB325_638:                            ;   in Loop: Header=BB325_10 Depth=1
	s_or_b64 exec, exec, s[36:37]
.LBB325_639:                            ;   in Loop: Header=BB325_10 Depth=1
	s_or_b64 exec, exec, s[34:35]
.LBB325_640:                            ;   in Loop: Header=BB325_10 Depth=1
	s_or_b64 exec, exec, s[30:31]
	v_lshrrev_b16_e32 v32, 8, v30
	v_cmp_ne_u16_e32 vcc, 0, v32
	s_and_saveexec_b64 s[30:31], vcc
	s_cbranch_execz .LBB325_646
; %bb.641:                              ;   in Loop: Header=BB325_10 Depth=1
	v_cmp_ne_u16_e32 vcc, s21, v32
	v_bfrev_b32_e32 v7, 1
	s_and_saveexec_b64 s[34:35], vcc
	s_cbranch_execz .LBB325_645
; %bb.642:                              ;   in Loop: Header=BB325_10 Depth=1
	v_and_b32_e32 v1, 0x7f, v32
	v_cmp_ne_u32_e32 vcc, s39, v1
	v_mov_b32_e32 v7, 0x7fc02000
	s_and_saveexec_b64 s[36:37], vcc
	s_cbranch_execz .LBB325_644
; %bb.643:                              ;   in Loop: Header=BB325_10 Depth=1
	v_and_b32_e32 v3, 7, v32
	v_lshrrev_b32_e32 v7, 3, v1
	v_cmp_gt_u32_e32 vcc, 8, v1
	v_ffbh_u32_e32 v1, v3
	v_min_u32_e32 v1, 32, v1
	v_subrev_u32_e32 v9, 28, v1
	v_lshlrev_b64 v[42:43], v9, v[32:33]
	v_sub_u32_e32 v1, 29, v1
	v_and_b32_e32 v9, 7, v42
	v_cndmask_b32_e32 v1, v7, v1, vcc
	v_cndmask_b32_e32 v3, v3, v9, vcc
	v_mov_b32_e32 v9, 0x2000
	v_lshlrev_b32_e32 v7, 8, v32
	v_lshl_add_u32 v1, v1, 10, v9
	v_and_or_b32 v1, v7, s40, v1
	v_lshl_or_b32 v1, v3, 7, v1
	v_cvt_f32_f16_e32 v7, v1
.LBB325_644:                            ;   in Loop: Header=BB325_10 Depth=1
	s_or_b64 exec, exec, s[36:37]
.LBB325_645:                            ;   in Loop: Header=BB325_10 Depth=1
	s_or_b64 exec, exec, s[34:35]
.LBB325_646:                            ;   in Loop: Header=BB325_10 Depth=1
	s_or_b64 exec, exec, s[30:31]
	v_lshrrev_b32_e32 v32, 16, v30
	v_cmp_ne_u16_sdwa vcc, v32, v35 src0_sel:BYTE_0 src1_sel:DWORD
	v_mov_b32_e32 v9, 0
	v_mov_b32_e32 v21, 0
	s_and_saveexec_b64 s[30:31], vcc
	s_cbranch_execz .LBB325_652
; %bb.647:                              ;   in Loop: Header=BB325_10 Depth=1
	v_cmp_ne_u16_sdwa vcc, v32, s21 src0_sel:BYTE_0 src1_sel:DWORD
	v_bfrev_b32_e32 v21, 1
	s_and_saveexec_b64 s[34:35], vcc
	s_cbranch_execz .LBB325_651
; %bb.648:                              ;   in Loop: Header=BB325_10 Depth=1
	v_bfe_u32 v1, v30, 16, 7
	v_cmp_ne_u32_e32 vcc, s39, v1
	v_mov_b32_e32 v21, 0x7fc02000
	s_and_saveexec_b64 s[36:37], vcc
	s_cbranch_execz .LBB325_650
; %bb.649:                              ;   in Loop: Header=BB325_10 Depth=1
	v_and_b32_e32 v3, 7, v32
	v_lshrrev_b32_e32 v13, 3, v1
	v_cmp_gt_u32_e32 vcc, 8, v1
	v_ffbh_u32_e32 v1, v3
	v_min_u32_e32 v1, 32, v1
	v_subrev_u32_e32 v21, 28, v1
	v_sub_u32_e32 v1, 29, v1
	v_lshlrev_b64 v[42:43], v21, v[32:33]
	v_cndmask_b32_e32 v1, v13, v1, vcc
	v_mov_b32_e32 v14, 0x2000
	v_and_b32_e32 v21, 7, v42
	v_lshlrev_b32_e32 v13, 8, v32
	v_lshl_add_u32 v1, v1, 10, v14
	v_cndmask_b32_e32 v3, v3, v21, vcc
	v_and_or_b32 v1, v13, s40, v1
	v_lshl_or_b32 v1, v3, 7, v1
	v_cvt_f32_f16_e32 v21, v1
.LBB325_650:                            ;   in Loop: Header=BB325_10 Depth=1
	s_or_b64 exec, exec, s[36:37]
.LBB325_651:                            ;   in Loop: Header=BB325_10 Depth=1
	s_or_b64 exec, exec, s[34:35]
.LBB325_652:                            ;   in Loop: Header=BB325_10 Depth=1
	s_or_b64 exec, exec, s[30:31]
	v_cmp_lt_u32_e32 vcc, s41, v30
	s_and_saveexec_b64 s[30:31], vcc
	s_cbranch_execz .LBB325_658
; %bb.653:                              ;   in Loop: Header=BB325_10 Depth=1
	v_lshrrev_b32_e32 v30, 24, v30
	v_cmp_ne_u32_e32 vcc, s21, v30
	v_bfrev_b32_e32 v9, 1
	s_and_saveexec_b64 s[34:35], vcc
	s_cbranch_execz .LBB325_657
; %bb.654:                              ;   in Loop: Header=BB325_10 Depth=1
	v_and_b32_e32 v1, 0x7f, v30
	v_cmp_ne_u32_e32 vcc, s39, v1
	v_mov_b32_e32 v9, 0x7fc02000
	s_and_saveexec_b64 s[36:37], vcc
	s_cbranch_execz .LBB325_656
; %bb.655:                              ;   in Loop: Header=BB325_10 Depth=1
	v_and_b32_e32 v3, 7, v30
	v_lshrrev_b32_e32 v9, 3, v1
	v_cmp_gt_u32_e32 vcc, 8, v1
	v_ffbh_u32_e32 v1, v3
	v_min_u32_e32 v1, 32, v1
	v_subrev_u32_e32 v13, 28, v1
	v_lshlrev_b64 v[42:43], v13, v[30:31]
	v_sub_u32_e32 v1, 29, v1
	v_and_b32_e32 v13, 7, v42
	v_cndmask_b32_e32 v1, v9, v1, vcc
	v_cndmask_b32_e32 v3, v3, v13, vcc
	v_mov_b32_e32 v13, 0x2000
	v_lshlrev_b32_e32 v9, 8, v30
	v_lshl_add_u32 v1, v1, 10, v13
	v_and_or_b32 v1, v9, s40, v1
	v_lshl_or_b32 v1, v3, 7, v1
	v_cvt_f32_f16_e32 v9, v1
.LBB325_656:                            ;   in Loop: Header=BB325_10 Depth=1
	s_or_b64 exec, exec, s[36:37]
.LBB325_657:                            ;   in Loop: Header=BB325_10 Depth=1
	s_or_b64 exec, exec, s[34:35]
.LBB325_658:                            ;   in Loop: Header=BB325_10 Depth=1
	s_or_b64 exec, exec, s[30:31]
	v_add_co_u32_e32 v30, vcc, 0x1a00, v28
	v_addc_co_u32_e32 v31, vcc, 0, v29, vcc
	flat_load_dword v30, v[30:31] offset:8
	v_mov_b32_e32 v3, 0
	v_mov_b32_e32 v27, 0
	s_waitcnt vmcnt(0) lgkmcnt(0)
	v_cmp_ne_u16_sdwa vcc, v30, v35 src0_sel:BYTE_0 src1_sel:DWORD
	s_and_saveexec_b64 s[30:31], vcc
	s_cbranch_execz .LBB325_664
; %bb.659:                              ;   in Loop: Header=BB325_10 Depth=1
	v_cmp_ne_u16_sdwa vcc, v30, s21 src0_sel:BYTE_0 src1_sel:DWORD
	v_bfrev_b32_e32 v27, 1
	s_and_saveexec_b64 s[34:35], vcc
	s_cbranch_execz .LBB325_663
; %bb.660:                              ;   in Loop: Header=BB325_10 Depth=1
	v_and_b32_e32 v1, 0x7f, v30
	v_cmp_ne_u32_e32 vcc, s39, v1
	v_mov_b32_e32 v27, 0x7fc02000
	s_and_saveexec_b64 s[36:37], vcc
	s_cbranch_execz .LBB325_662
; %bb.661:                              ;   in Loop: Header=BB325_10 Depth=1
	v_and_b32_e32 v13, 7, v30
	v_lshrrev_b32_e32 v23, 3, v1
	v_cmp_gt_u32_e32 vcc, 8, v1
	v_ffbh_u32_e32 v1, v13
	v_min_u32_e32 v1, 32, v1
	v_subrev_u32_e32 v27, 28, v1
	v_sub_u32_e32 v1, 29, v1
	v_lshlrev_b64 v[42:43], v27, v[30:31]
	v_cndmask_b32_e32 v1, v23, v1, vcc
	v_mov_b32_e32 v14, 0x2000
	v_and_b32_e32 v27, 7, v42
	v_lshlrev_b32_e32 v23, 8, v30
	v_lshl_add_u32 v1, v1, 10, v14
	v_cndmask_b32_e32 v13, v13, v27, vcc
	v_and_or_b32 v1, v23, s40, v1
	v_lshl_or_b32 v1, v13, 7, v1
	v_cvt_f32_f16_e32 v27, v1
.LBB325_662:                            ;   in Loop: Header=BB325_10 Depth=1
	s_or_b64 exec, exec, s[36:37]
.LBB325_663:                            ;   in Loop: Header=BB325_10 Depth=1
	s_or_b64 exec, exec, s[34:35]
.LBB325_664:                            ;   in Loop: Header=BB325_10 Depth=1
	s_or_b64 exec, exec, s[30:31]
	v_lshrrev_b16_e32 v32, 8, v30
	v_cmp_ne_u16_e32 vcc, 0, v32
	s_and_saveexec_b64 s[30:31], vcc
	s_cbranch_execz .LBB325_670
; %bb.665:                              ;   in Loop: Header=BB325_10 Depth=1
	v_cmp_ne_u16_e32 vcc, s21, v32
	v_bfrev_b32_e32 v3, 1
	s_and_saveexec_b64 s[34:35], vcc
	s_cbranch_execz .LBB325_669
; %bb.666:                              ;   in Loop: Header=BB325_10 Depth=1
	v_and_b32_e32 v1, 0x7f, v32
	v_cmp_ne_u32_e32 vcc, s39, v1
	v_mov_b32_e32 v3, 0x7fc02000
	s_and_saveexec_b64 s[36:37], vcc
	s_cbranch_execz .LBB325_668
; %bb.667:                              ;   in Loop: Header=BB325_10 Depth=1
	v_and_b32_e32 v3, 7, v32
	v_lshrrev_b32_e32 v13, 3, v1
	v_cmp_gt_u32_e32 vcc, 8, v1
	v_ffbh_u32_e32 v1, v3
	v_min_u32_e32 v1, 32, v1
	v_subrev_u32_e32 v23, 28, v1
	v_sub_u32_e32 v1, 29, v1
	v_lshlrev_b64 v[42:43], v23, v[32:33]
	v_cndmask_b32_e32 v1, v13, v1, vcc
	v_mov_b32_e32 v14, 0x2000
	v_and_b32_e32 v23, 7, v42
	v_lshlrev_b32_e32 v13, 8, v32
	v_lshl_add_u32 v1, v1, 10, v14
	v_cndmask_b32_e32 v3, v3, v23, vcc
	v_and_or_b32 v1, v13, s40, v1
	v_lshl_or_b32 v1, v3, 7, v1
	v_cvt_f32_f16_e32 v3, v1
.LBB325_668:                            ;   in Loop: Header=BB325_10 Depth=1
	s_or_b64 exec, exec, s[36:37]
.LBB325_669:                            ;   in Loop: Header=BB325_10 Depth=1
	s_or_b64 exec, exec, s[34:35]
.LBB325_670:                            ;   in Loop: Header=BB325_10 Depth=1
	s_or_b64 exec, exec, s[30:31]
	v_lshrrev_b32_e32 v32, 16, v30
	v_cmp_ne_u16_sdwa vcc, v32, v35 src0_sel:BYTE_0 src1_sel:DWORD
	v_mov_b32_e32 v31, 0
	v_mov_b32_e32 v37, 0
	s_and_saveexec_b64 s[30:31], vcc
	s_cbranch_execz .LBB325_676
; %bb.671:                              ;   in Loop: Header=BB325_10 Depth=1
	v_cmp_ne_u16_sdwa vcc, v32, s21 src0_sel:BYTE_0 src1_sel:DWORD
	v_bfrev_b32_e32 v37, 1
	s_and_saveexec_b64 s[34:35], vcc
	s_cbranch_execz .LBB325_675
; %bb.672:                              ;   in Loop: Header=BB325_10 Depth=1
	v_bfe_u32 v1, v30, 16, 7
	v_cmp_ne_u32_e32 vcc, s39, v1
	v_mov_b32_e32 v37, 0x7fc02000
	s_and_saveexec_b64 s[36:37], vcc
	s_cbranch_execz .LBB325_674
; %bb.673:                              ;   in Loop: Header=BB325_10 Depth=1
	v_and_b32_e32 v13, 7, v32
	v_lshrrev_b32_e32 v23, 3, v1
	v_cmp_gt_u32_e32 vcc, 8, v1
	v_ffbh_u32_e32 v1, v13
	v_min_u32_e32 v1, 32, v1
	v_subrev_u32_e32 v34, 28, v1
	v_sub_u32_e32 v1, 29, v1
	v_lshlrev_b64 v[42:43], v34, v[32:33]
	v_cndmask_b32_e32 v1, v23, v1, vcc
	v_mov_b32_e32 v14, 0x2000
	v_and_b32_e32 v34, 7, v42
	v_lshlrev_b32_e32 v23, 8, v32
	v_lshl_add_u32 v1, v1, 10, v14
	v_cndmask_b32_e32 v13, v13, v34, vcc
	v_and_or_b32 v1, v23, s40, v1
	v_lshl_or_b32 v1, v13, 7, v1
	v_cvt_f32_f16_e32 v37, v1
.LBB325_674:                            ;   in Loop: Header=BB325_10 Depth=1
	s_or_b64 exec, exec, s[36:37]
.LBB325_675:                            ;   in Loop: Header=BB325_10 Depth=1
	s_or_b64 exec, exec, s[34:35]
.LBB325_676:                            ;   in Loop: Header=BB325_10 Depth=1
	s_or_b64 exec, exec, s[30:31]
	v_cmp_lt_u32_e32 vcc, s41, v30
	s_and_saveexec_b64 s[30:31], vcc
	s_cbranch_execz .LBB325_682
; %bb.677:                              ;   in Loop: Header=BB325_10 Depth=1
	v_lshrrev_b32_e32 v30, 24, v30
	v_cmp_ne_u32_e32 vcc, s21, v30
	v_bfrev_b32_e32 v31, 1
	s_and_saveexec_b64 s[34:35], vcc
	s_cbranch_execz .LBB325_681
; %bb.678:                              ;   in Loop: Header=BB325_10 Depth=1
	v_and_b32_e32 v1, 0x7f, v30
	v_cmp_ne_u32_e32 vcc, s39, v1
	v_mov_b32_e32 v31, 0x7fc02000
	s_and_saveexec_b64 s[36:37], vcc
	s_cbranch_execz .LBB325_680
; %bb.679:                              ;   in Loop: Header=BB325_10 Depth=1
	v_and_b32_e32 v13, 7, v30
	v_lshrrev_b32_e32 v23, 3, v1
	v_cmp_gt_u32_e32 vcc, 8, v1
	v_ffbh_u32_e32 v1, v13
	v_min_u32_e32 v1, 32, v1
	v_subrev_u32_e32 v31, 28, v1
	v_sub_u32_e32 v1, 29, v1
	v_lshlrev_b64 v[42:43], v31, v[30:31]
	v_cndmask_b32_e32 v1, v23, v1, vcc
	v_mov_b32_e32 v14, 0x2000
	v_and_b32_e32 v31, 7, v42
	v_lshlrev_b32_e32 v23, 8, v30
	v_lshl_add_u32 v1, v1, 10, v14
	v_cndmask_b32_e32 v13, v13, v31, vcc
	v_and_or_b32 v1, v23, s40, v1
	v_lshl_or_b32 v1, v13, 7, v1
	v_cvt_f32_f16_e32 v31, v1
.LBB325_680:                            ;   in Loop: Header=BB325_10 Depth=1
	s_or_b64 exec, exec, s[36:37]
.LBB325_681:                            ;   in Loop: Header=BB325_10 Depth=1
	s_or_b64 exec, exec, s[34:35]
.LBB325_682:                            ;   in Loop: Header=BB325_10 Depth=1
	s_or_b64 exec, exec, s[30:31]
	v_add_co_u32_e32 v42, vcc, 0x1000, v28
	v_addc_co_u32_e32 v43, vcc, 0, v29, vcc
	flat_load_dword v30, v[42:43] offset:3072
	v_mov_b32_e32 v13, 0
	v_mov_b32_e32 v50, 0
	s_waitcnt vmcnt(0) lgkmcnt(0)
	v_cmp_ne_u16_sdwa vcc, v30, v35 src0_sel:BYTE_0 src1_sel:DWORD
	s_and_saveexec_b64 s[30:31], vcc
	s_cbranch_execz .LBB325_688
; %bb.683:                              ;   in Loop: Header=BB325_10 Depth=1
	v_cmp_ne_u16_sdwa vcc, v30, s21 src0_sel:BYTE_0 src1_sel:DWORD
	v_bfrev_b32_e32 v50, 1
	s_and_saveexec_b64 s[34:35], vcc
	s_cbranch_execz .LBB325_687
; %bb.684:                              ;   in Loop: Header=BB325_10 Depth=1
	v_and_b32_e32 v1, 0x7f, v30
	v_cmp_ne_u32_e32 vcc, s39, v1
	v_mov_b32_e32 v50, 0x7fc02000
	s_and_saveexec_b64 s[36:37], vcc
	s_cbranch_execz .LBB325_686
; %bb.685:                              ;   in Loop: Header=BB325_10 Depth=1
	v_and_b32_e32 v23, 7, v30
	v_lshrrev_b32_e32 v32, 3, v1
	v_cmp_gt_u32_e32 vcc, 8, v1
	v_ffbh_u32_e32 v1, v23
	v_min_u32_e32 v1, 32, v1
	v_subrev_u32_e32 v34, 28, v1
	v_sub_u32_e32 v1, 29, v1
	v_lshlrev_b64 v[42:43], v34, v[30:31]
	v_cndmask_b32_e32 v1, v32, v1, vcc
	v_mov_b32_e32 v14, 0x2000
	v_and_b32_e32 v34, 7, v42
	v_lshlrev_b32_e32 v32, 8, v30
	v_lshl_add_u32 v1, v1, 10, v14
	v_cndmask_b32_e32 v23, v23, v34, vcc
	v_and_or_b32 v1, v32, s40, v1
	v_lshl_or_b32 v1, v23, 7, v1
	v_cvt_f32_f16_e32 v50, v1
.LBB325_686:                            ;   in Loop: Header=BB325_10 Depth=1
	s_or_b64 exec, exec, s[36:37]
.LBB325_687:                            ;   in Loop: Header=BB325_10 Depth=1
	s_or_b64 exec, exec, s[34:35]
.LBB325_688:                            ;   in Loop: Header=BB325_10 Depth=1
	s_or_b64 exec, exec, s[30:31]
	v_lshrrev_b16_e32 v32, 8, v30
	v_cmp_ne_u16_e32 vcc, 0, v32
	s_and_saveexec_b64 s[30:31], vcc
	s_cbranch_execz .LBB325_694
; %bb.689:                              ;   in Loop: Header=BB325_10 Depth=1
	v_cmp_ne_u16_e32 vcc, s21, v32
	v_bfrev_b32_e32 v13, 1
	s_and_saveexec_b64 s[34:35], vcc
	s_cbranch_execz .LBB325_693
; %bb.690:                              ;   in Loop: Header=BB325_10 Depth=1
	v_and_b32_e32 v1, 0x7f, v32
	v_cmp_ne_u32_e32 vcc, s39, v1
	v_mov_b32_e32 v13, 0x7fc02000
	s_and_saveexec_b64 s[36:37], vcc
	s_cbranch_execz .LBB325_692
; %bb.691:                              ;   in Loop: Header=BB325_10 Depth=1
	v_and_b32_e32 v13, 7, v32
	v_lshrrev_b32_e32 v23, 3, v1
	v_cmp_gt_u32_e32 vcc, 8, v1
	v_ffbh_u32_e32 v1, v13
	v_min_u32_e32 v1, 32, v1
	v_subrev_u32_e32 v34, 28, v1
	v_sub_u32_e32 v1, 29, v1
	v_lshlrev_b64 v[42:43], v34, v[32:33]
	v_cndmask_b32_e32 v1, v23, v1, vcc
	v_mov_b32_e32 v14, 0x2000
	v_and_b32_e32 v34, 7, v42
	v_lshlrev_b32_e32 v23, 8, v32
	v_lshl_add_u32 v1, v1, 10, v14
	v_cndmask_b32_e32 v13, v13, v34, vcc
	v_and_or_b32 v1, v23, s40, v1
	v_lshl_or_b32 v1, v13, 7, v1
	v_cvt_f32_f16_e32 v13, v1
.LBB325_692:                            ;   in Loop: Header=BB325_10 Depth=1
	s_or_b64 exec, exec, s[36:37]
.LBB325_693:                            ;   in Loop: Header=BB325_10 Depth=1
	s_or_b64 exec, exec, s[34:35]
.LBB325_694:                            ;   in Loop: Header=BB325_10 Depth=1
	s_or_b64 exec, exec, s[30:31]
	v_lshrrev_b32_e32 v32, 16, v30
	v_cmp_ne_u16_sdwa vcc, v32, v35 src0_sel:BYTE_0 src1_sel:DWORD
	v_mov_b32_e32 v1, 0
	v_mov_b32_e32 v55, 0
	s_and_saveexec_b64 s[30:31], vcc
	s_cbranch_execz .LBB325_700
; %bb.695:                              ;   in Loop: Header=BB325_10 Depth=1
	v_cmp_ne_u16_sdwa vcc, v32, s21 src0_sel:BYTE_0 src1_sel:DWORD
	v_bfrev_b32_e32 v55, 1
	s_and_saveexec_b64 s[34:35], vcc
	s_cbranch_execz .LBB325_699
; %bb.696:                              ;   in Loop: Header=BB325_10 Depth=1
	v_bfe_u32 v23, v30, 16, 7
	v_cmp_ne_u32_e32 vcc, s39, v23
	v_mov_b32_e32 v55, 0x7fc02000
	s_and_saveexec_b64 s[36:37], vcc
	s_cbranch_execz .LBB325_698
; %bb.697:                              ;   in Loop: Header=BB325_10 Depth=1
	v_and_b32_e32 v34, 7, v32
	v_lshrrev_b32_e32 v49, 3, v23
	v_cmp_gt_u32_e32 vcc, 8, v23
	v_ffbh_u32_e32 v23, v34
	v_min_u32_e32 v23, 32, v23
	v_subrev_u32_e32 v53, 28, v23
	v_sub_u32_e32 v23, 29, v23
	v_lshlrev_b64 v[42:43], v53, v[32:33]
	v_cndmask_b32_e32 v23, v49, v23, vcc
	v_mov_b32_e32 v14, 0x2000
	v_and_b32_e32 v53, 7, v42
	v_lshlrev_b32_e32 v32, 8, v32
	v_lshl_add_u32 v23, v23, 10, v14
	v_cndmask_b32_e32 v34, v34, v53, vcc
	v_and_or_b32 v23, v32, s40, v23
	v_lshl_or_b32 v23, v34, 7, v23
	v_cvt_f32_f16_e32 v55, v23
.LBB325_698:                            ;   in Loop: Header=BB325_10 Depth=1
	s_or_b64 exec, exec, s[36:37]
.LBB325_699:                            ;   in Loop: Header=BB325_10 Depth=1
	s_or_b64 exec, exec, s[34:35]
.LBB325_700:                            ;   in Loop: Header=BB325_10 Depth=1
	s_or_b64 exec, exec, s[30:31]
	v_cmp_lt_u32_e32 vcc, s41, v30
	s_and_saveexec_b64 s[30:31], vcc
	s_cbranch_execz .LBB325_706
; %bb.701:                              ;   in Loop: Header=BB325_10 Depth=1
	v_lshrrev_b32_e32 v30, 24, v30
	v_cmp_ne_u32_e32 vcc, s21, v30
	v_bfrev_b32_e32 v1, 1
	s_and_saveexec_b64 s[34:35], vcc
	s_cbranch_execz .LBB325_705
; %bb.702:                              ;   in Loop: Header=BB325_10 Depth=1
	v_and_b32_e32 v23, 0x7f, v30
	v_cmp_ne_u32_e32 vcc, s39, v23
	v_mov_b32_e32 v1, 0x7fc02000
	s_and_saveexec_b64 s[36:37], vcc
	s_cbranch_execz .LBB325_704
; %bb.703:                              ;   in Loop: Header=BB325_10 Depth=1
	v_and_b32_e32 v1, 7, v30
	v_lshrrev_b32_e32 v32, 3, v23
	v_cmp_gt_u32_e32 vcc, 8, v23
	v_ffbh_u32_e32 v23, v1
	v_min_u32_e32 v23, 32, v23
	v_subrev_u32_e32 v34, 28, v23
	v_sub_u32_e32 v23, 29, v23
	v_lshlrev_b64 v[42:43], v34, v[30:31]
	v_cndmask_b32_e32 v23, v32, v23, vcc
	v_mov_b32_e32 v14, 0x2000
	v_and_b32_e32 v34, 7, v42
	v_lshlrev_b32_e32 v30, 8, v30
	v_lshl_add_u32 v23, v23, 10, v14
	v_cndmask_b32_e32 v1, v1, v34, vcc
	v_and_or_b32 v23, v30, s40, v23
	v_lshl_or_b32 v1, v1, 7, v23
	v_cvt_f32_f16_e32 v1, v1
.LBB325_704:                            ;   in Loop: Header=BB325_10 Depth=1
	s_or_b64 exec, exec, s[36:37]
.LBB325_705:                            ;   in Loop: Header=BB325_10 Depth=1
	s_or_b64 exec, exec, s[34:35]
.LBB325_706:                            ;   in Loop: Header=BB325_10 Depth=1
	s_or_b64 exec, exec, s[30:31]
	v_add_co_u32_e32 v42, vcc, 0x1c00, v28
	v_addc_co_u32_e32 v43, vcc, 0, v29, vcc
	flat_load_dword v30, v[42:43] offset:8
	v_mov_b32_e32 v42, 0
	v_mov_b32_e32 v43, 0
	s_waitcnt vmcnt(0) lgkmcnt(0)
	v_cmp_ne_u16_sdwa vcc, v30, v35 src0_sel:BYTE_0 src1_sel:DWORD
	s_and_saveexec_b64 s[30:31], vcc
	s_cbranch_execz .LBB325_712
; %bb.707:                              ;   in Loop: Header=BB325_10 Depth=1
	v_cmp_ne_u16_sdwa vcc, v30, s21 src0_sel:BYTE_0 src1_sel:DWORD
	v_bfrev_b32_e32 v43, 1
	s_and_saveexec_b64 s[34:35], vcc
	s_cbranch_execz .LBB325_711
; %bb.708:                              ;   in Loop: Header=BB325_10 Depth=1
	v_and_b32_e32 v23, 0x7f, v30
	v_cmp_ne_u32_e32 vcc, s39, v23
	v_mov_b32_e32 v43, 0x7fc02000
	s_and_saveexec_b64 s[36:37], vcc
	s_cbranch_execz .LBB325_710
; %bb.709:                              ;   in Loop: Header=BB325_10 Depth=1
	v_and_b32_e32 v32, 7, v30
	v_lshrrev_b32_e32 v34, 3, v23
	v_cmp_gt_u32_e32 vcc, 8, v23
	v_ffbh_u32_e32 v23, v32
	v_min_u32_e32 v23, 32, v23
	v_subrev_u32_e32 v49, 28, v23
	v_sub_u32_e32 v23, 29, v23
	v_lshlrev_b64 v[44:45], v49, v[30:31]
	v_cndmask_b32_e32 v23, v34, v23, vcc
	v_mov_b32_e32 v14, 0x2000
	v_and_b32_e32 v49, 7, v44
	v_lshlrev_b32_e32 v34, 8, v30
	v_lshl_add_u32 v23, v23, 10, v14
	v_cndmask_b32_e32 v32, v32, v49, vcc
	v_and_or_b32 v23, v34, s40, v23
	v_lshl_or_b32 v23, v32, 7, v23
	v_cvt_f32_f16_e32 v43, v23
.LBB325_710:                            ;   in Loop: Header=BB325_10 Depth=1
	s_or_b64 exec, exec, s[36:37]
.LBB325_711:                            ;   in Loop: Header=BB325_10 Depth=1
	s_or_b64 exec, exec, s[34:35]
.LBB325_712:                            ;   in Loop: Header=BB325_10 Depth=1
	s_or_b64 exec, exec, s[30:31]
	v_lshrrev_b16_e32 v32, 8, v30
	v_cmp_ne_u16_e32 vcc, 0, v32
	s_and_saveexec_b64 s[30:31], vcc
	s_cbranch_execz .LBB325_718
; %bb.713:                              ;   in Loop: Header=BB325_10 Depth=1
	v_cmp_ne_u16_e32 vcc, s21, v32
	v_bfrev_b32_e32 v42, 1
	s_and_saveexec_b64 s[34:35], vcc
	s_cbranch_execz .LBB325_717
; %bb.714:                              ;   in Loop: Header=BB325_10 Depth=1
	v_and_b32_e32 v23, 0x7f, v32
	v_cmp_ne_u32_e32 vcc, s39, v23
	v_mov_b32_e32 v42, 0x7fc02000
	s_and_saveexec_b64 s[36:37], vcc
	s_cbranch_execz .LBB325_716
; %bb.715:                              ;   in Loop: Header=BB325_10 Depth=1
	v_and_b32_e32 v34, 7, v32
	v_lshrrev_b32_e32 v49, 3, v23
	v_cmp_gt_u32_e32 vcc, 8, v23
	v_ffbh_u32_e32 v23, v34
	v_min_u32_e32 v23, 32, v23
	v_subrev_u32_e32 v53, 28, v23
	v_sub_u32_e32 v23, 29, v23
	v_lshlrev_b64 v[44:45], v53, v[32:33]
	v_cndmask_b32_e32 v23, v49, v23, vcc
	v_mov_b32_e32 v14, 0x2000
	v_and_b32_e32 v53, 7, v44
	v_lshlrev_b32_e32 v32, 8, v32
	v_lshl_add_u32 v23, v23, 10, v14
	v_cndmask_b32_e32 v34, v34, v53, vcc
	v_and_or_b32 v23, v32, s40, v23
	v_lshl_or_b32 v23, v34, 7, v23
	v_cvt_f32_f16_e32 v42, v23
.LBB325_716:                            ;   in Loop: Header=BB325_10 Depth=1
	s_or_b64 exec, exec, s[36:37]
.LBB325_717:                            ;   in Loop: Header=BB325_10 Depth=1
	s_or_b64 exec, exec, s[34:35]
.LBB325_718:                            ;   in Loop: Header=BB325_10 Depth=1
	s_or_b64 exec, exec, s[30:31]
	v_lshrrev_b32_e32 v32, 16, v30
	v_cmp_ne_u16_sdwa vcc, v32, v35 src0_sel:BYTE_0 src1_sel:DWORD
	v_mov_b32_e32 v34, 0
	v_mov_b32_e32 v44, 0
	s_and_saveexec_b64 s[30:31], vcc
	s_cbranch_execz .LBB325_724
; %bb.719:                              ;   in Loop: Header=BB325_10 Depth=1
	v_cmp_ne_u16_sdwa vcc, v32, s21 src0_sel:BYTE_0 src1_sel:DWORD
	v_bfrev_b32_e32 v44, 1
	s_and_saveexec_b64 s[34:35], vcc
	s_cbranch_execz .LBB325_723
; %bb.720:                              ;   in Loop: Header=BB325_10 Depth=1
	v_bfe_u32 v23, v30, 16, 7
	v_cmp_ne_u32_e32 vcc, s39, v23
	v_mov_b32_e32 v44, 0x7fc02000
	s_and_saveexec_b64 s[36:37], vcc
	s_cbranch_execz .LBB325_722
; %bb.721:                              ;   in Loop: Header=BB325_10 Depth=1
	v_and_b32_e32 v49, 7, v32
	v_lshrrev_b32_e32 v53, 3, v23
	v_cmp_gt_u32_e32 vcc, 8, v23
	v_ffbh_u32_e32 v23, v49
	v_min_u32_e32 v23, 32, v23
	v_subrev_u32_e32 v41, 28, v23
	v_sub_u32_e32 v23, 29, v23
	v_lshlrev_b64 v[44:45], v41, v[32:33]
	v_cndmask_b32_e32 v23, v53, v23, vcc
	v_mov_b32_e32 v14, 0x2000
	v_and_b32_e32 v41, 7, v44
	v_lshlrev_b32_e32 v32, 8, v32
	v_lshl_add_u32 v23, v23, 10, v14
	v_cndmask_b32_e32 v49, v49, v41, vcc
	v_and_or_b32 v23, v32, s40, v23
	v_lshl_or_b32 v23, v49, 7, v23
	v_cvt_f32_f16_e32 v44, v23
.LBB325_722:                            ;   in Loop: Header=BB325_10 Depth=1
	s_or_b64 exec, exec, s[36:37]
.LBB325_723:                            ;   in Loop: Header=BB325_10 Depth=1
	s_or_b64 exec, exec, s[34:35]
.LBB325_724:                            ;   in Loop: Header=BB325_10 Depth=1
	s_or_b64 exec, exec, s[30:31]
	v_cmp_lt_u32_e32 vcc, s41, v30
	s_and_saveexec_b64 s[30:31], vcc
	s_cbranch_execz .LBB325_730
; %bb.725:                              ;   in Loop: Header=BB325_10 Depth=1
	v_lshrrev_b32_e32 v30, 24, v30
	v_cmp_ne_u32_e32 vcc, s21, v30
	v_bfrev_b32_e32 v34, 1
	s_and_saveexec_b64 s[34:35], vcc
	s_cbranch_execz .LBB325_729
; %bb.726:                              ;   in Loop: Header=BB325_10 Depth=1
	v_and_b32_e32 v23, 0x7f, v30
	v_cmp_ne_u32_e32 vcc, s39, v23
	v_mov_b32_e32 v34, 0x7fc02000
	s_and_saveexec_b64 s[36:37], vcc
	s_cbranch_execz .LBB325_728
; %bb.727:                              ;   in Loop: Header=BB325_10 Depth=1
	v_and_b32_e32 v32, 7, v30
	v_lshrrev_b32_e32 v34, 3, v23
	v_cmp_gt_u32_e32 vcc, 8, v23
	v_ffbh_u32_e32 v23, v32
	v_min_u32_e32 v23, 32, v23
	v_subrev_u32_e32 v49, 28, v23
	v_sub_u32_e32 v23, 29, v23
	v_lshlrev_b64 v[58:59], v49, v[30:31]
	v_cndmask_b32_e32 v23, v34, v23, vcc
	v_mov_b32_e32 v14, 0x2000
	v_and_b32_e32 v49, 7, v58
	v_lshlrev_b32_e32 v30, 8, v30
	v_lshl_add_u32 v23, v23, 10, v14
	v_cndmask_b32_e32 v32, v32, v49, vcc
	v_and_or_b32 v23, v30, s40, v23
	v_lshl_or_b32 v23, v32, 7, v23
	v_cvt_f32_f16_e32 v34, v23
.LBB325_728:                            ;   in Loop: Header=BB325_10 Depth=1
	s_or_b64 exec, exec, s[36:37]
.LBB325_729:                            ;   in Loop: Header=BB325_10 Depth=1
	s_or_b64 exec, exec, s[34:35]
.LBB325_730:                            ;   in Loop: Header=BB325_10 Depth=1
	s_or_b64 exec, exec, s[30:31]
	v_add_co_u32_e32 v58, vcc, 0x1000, v28
	v_addc_co_u32_e32 v59, vcc, 0, v29, vcc
	flat_load_dword v30, v[58:59] offset:3584
	v_mov_b32_e32 v49, 0
	v_mov_b32_e32 v45, 0
	s_waitcnt vmcnt(0) lgkmcnt(0)
	v_cmp_ne_u16_sdwa vcc, v30, v35 src0_sel:BYTE_0 src1_sel:DWORD
	s_and_saveexec_b64 s[30:31], vcc
	s_cbranch_execz .LBB325_736
; %bb.731:                              ;   in Loop: Header=BB325_10 Depth=1
	v_cmp_ne_u16_sdwa vcc, v30, s21 src0_sel:BYTE_0 src1_sel:DWORD
	v_bfrev_b32_e32 v45, 1
	s_and_saveexec_b64 s[34:35], vcc
	s_cbranch_execz .LBB325_735
; %bb.732:                              ;   in Loop: Header=BB325_10 Depth=1
	v_and_b32_e32 v23, 0x7f, v30
	v_cmp_ne_u32_e32 vcc, s39, v23
	v_mov_b32_e32 v45, 0x7fc02000
	s_and_saveexec_b64 s[36:37], vcc
	s_cbranch_execz .LBB325_734
; %bb.733:                              ;   in Loop: Header=BB325_10 Depth=1
	v_and_b32_e32 v32, 7, v30
	v_lshrrev_b32_e32 v53, 3, v23
	v_cmp_gt_u32_e32 vcc, 8, v23
	v_ffbh_u32_e32 v23, v32
	v_min_u32_e32 v23, 32, v23
	v_subrev_u32_e32 v41, 28, v23
	v_sub_u32_e32 v23, 29, v23
	v_lshlrev_b64 v[58:59], v41, v[30:31]
	v_cndmask_b32_e32 v23, v53, v23, vcc
	v_mov_b32_e32 v14, 0x2000
	v_and_b32_e32 v41, 7, v58
	v_lshlrev_b32_e32 v53, 8, v30
	v_lshl_add_u32 v23, v23, 10, v14
	v_cndmask_b32_e32 v32, v32, v41, vcc
	v_and_or_b32 v23, v53, s40, v23
	v_lshl_or_b32 v23, v32, 7, v23
	v_cvt_f32_f16_e32 v45, v23
.LBB325_734:                            ;   in Loop: Header=BB325_10 Depth=1
	s_or_b64 exec, exec, s[36:37]
.LBB325_735:                            ;   in Loop: Header=BB325_10 Depth=1
	s_or_b64 exec, exec, s[34:35]
.LBB325_736:                            ;   in Loop: Header=BB325_10 Depth=1
	s_or_b64 exec, exec, s[30:31]
	v_lshrrev_b16_e32 v32, 8, v30
	v_cmp_ne_u16_e32 vcc, 0, v32
	s_and_saveexec_b64 s[30:31], vcc
	s_cbranch_execz .LBB325_742
; %bb.737:                              ;   in Loop: Header=BB325_10 Depth=1
	v_cmp_ne_u16_e32 vcc, s21, v32
	v_bfrev_b32_e32 v49, 1
	s_and_saveexec_b64 s[34:35], vcc
	s_cbranch_execz .LBB325_741
; %bb.738:                              ;   in Loop: Header=BB325_10 Depth=1
	v_and_b32_e32 v23, 0x7f, v32
	v_cmp_ne_u32_e32 vcc, s39, v23
	v_mov_b32_e32 v49, 0x7fc02000
	s_and_saveexec_b64 s[36:37], vcc
	s_cbranch_execz .LBB325_740
; %bb.739:                              ;   in Loop: Header=BB325_10 Depth=1
	v_and_b32_e32 v49, 7, v32
	v_lshrrev_b32_e32 v53, 3, v23
	v_cmp_gt_u32_e32 vcc, 8, v23
	v_ffbh_u32_e32 v23, v49
	v_min_u32_e32 v23, 32, v23
	v_subrev_u32_e32 v41, 28, v23
	v_sub_u32_e32 v23, 29, v23
	v_lshlrev_b64 v[58:59], v41, v[32:33]
	v_cndmask_b32_e32 v23, v53, v23, vcc
	v_mov_b32_e32 v14, 0x2000
	v_and_b32_e32 v41, 7, v58
	v_lshlrev_b32_e32 v32, 8, v32
	v_lshl_add_u32 v23, v23, 10, v14
	v_cndmask_b32_e32 v49, v49, v41, vcc
	v_and_or_b32 v23, v32, s40, v23
	v_lshl_or_b32 v23, v49, 7, v23
	v_cvt_f32_f16_e32 v49, v23
.LBB325_740:                            ;   in Loop: Header=BB325_10 Depth=1
	s_or_b64 exec, exec, s[36:37]
.LBB325_741:                            ;   in Loop: Header=BB325_10 Depth=1
	s_or_b64 exec, exec, s[34:35]
.LBB325_742:                            ;   in Loop: Header=BB325_10 Depth=1
	s_or_b64 exec, exec, s[30:31]
	v_lshrrev_b32_e32 v32, 16, v30
	v_cmp_ne_u16_sdwa vcc, v32, v35 src0_sel:BYTE_0 src1_sel:DWORD
	v_mov_b32_e32 v23, 0
	v_mov_b32_e32 v46, 0
	s_and_saveexec_b64 s[30:31], vcc
	s_cbranch_execz .LBB325_748
; %bb.743:                              ;   in Loop: Header=BB325_10 Depth=1
	v_cmp_ne_u16_sdwa vcc, v32, s21 src0_sel:BYTE_0 src1_sel:DWORD
	v_bfrev_b32_e32 v46, 1
	s_and_saveexec_b64 s[34:35], vcc
	s_cbranch_execz .LBB325_747
; %bb.744:                              ;   in Loop: Header=BB325_10 Depth=1
	v_bfe_u32 v53, v30, 16, 7
	v_cmp_ne_u32_e32 vcc, s39, v53
	v_mov_b32_e32 v46, 0x7fc02000
	s_and_saveexec_b64 s[36:37], vcc
	s_cbranch_execz .LBB325_746
; %bb.745:                              ;   in Loop: Header=BB325_10 Depth=1
	v_and_b32_e32 v41, 7, v32
	v_lshrrev_b32_e32 v46, 3, v53
	v_cmp_gt_u32_e32 vcc, 8, v53
	v_ffbh_u32_e32 v53, v41
	v_min_u32_e32 v53, 32, v53
	v_subrev_u32_e32 v58, 28, v53
	v_sub_u32_e32 v53, 29, v53
	v_lshlrev_b64 v[58:59], v58, v[32:33]
	v_cndmask_b32_e32 v53, v46, v53, vcc
	v_mov_b32_e32 v14, 0x2000
	v_and_b32_e32 v58, 7, v58
	v_lshlrev_b32_e32 v32, 8, v32
	v_lshl_add_u32 v53, v53, 10, v14
	v_cndmask_b32_e32 v41, v41, v58, vcc
	v_and_or_b32 v32, v32, s40, v53
	v_lshl_or_b32 v32, v41, 7, v32
	v_cvt_f32_f16_e32 v46, v32
.LBB325_746:                            ;   in Loop: Header=BB325_10 Depth=1
	s_or_b64 exec, exec, s[36:37]
.LBB325_747:                            ;   in Loop: Header=BB325_10 Depth=1
	s_or_b64 exec, exec, s[34:35]
.LBB325_748:                            ;   in Loop: Header=BB325_10 Depth=1
	s_or_b64 exec, exec, s[30:31]
	v_cmp_lt_u32_e32 vcc, s41, v30
	s_and_saveexec_b64 s[30:31], vcc
	s_cbranch_execz .LBB325_754
; %bb.749:                              ;   in Loop: Header=BB325_10 Depth=1
	v_lshrrev_b32_e32 v30, 24, v30
	v_cmp_ne_u32_e32 vcc, s21, v30
	v_bfrev_b32_e32 v23, 1
	s_and_saveexec_b64 s[34:35], vcc
	s_cbranch_execz .LBB325_753
; %bb.750:                              ;   in Loop: Header=BB325_10 Depth=1
	v_and_b32_e32 v32, 0x7f, v30
	v_cmp_ne_u32_e32 vcc, s39, v32
	v_mov_b32_e32 v23, 0x7fc02000
	s_and_saveexec_b64 s[36:37], vcc
	s_cbranch_execz .LBB325_752
; %bb.751:                              ;   in Loop: Header=BB325_10 Depth=1
	v_and_b32_e32 v23, 7, v30
	v_lshrrev_b32_e32 v53, 3, v32
	v_cmp_gt_u32_e32 vcc, 8, v32
	v_ffbh_u32_e32 v32, v23
	v_min_u32_e32 v32, 32, v32
	v_subrev_u32_e32 v41, 28, v32
	v_sub_u32_e32 v32, 29, v32
	v_lshlrev_b64 v[58:59], v41, v[30:31]
	v_cndmask_b32_e32 v32, v53, v32, vcc
	v_mov_b32_e32 v14, 0x2000
	v_and_b32_e32 v41, 7, v58
	v_lshlrev_b32_e32 v30, 8, v30
	v_lshl_add_u32 v32, v32, 10, v14
	v_cndmask_b32_e32 v23, v23, v41, vcc
	v_and_or_b32 v30, v30, s40, v32
	v_lshl_or_b32 v23, v23, 7, v30
	v_cvt_f32_f16_e32 v23, v23
.LBB325_752:                            ;   in Loop: Header=BB325_10 Depth=1
	s_or_b64 exec, exec, s[36:37]
.LBB325_753:                            ;   in Loop: Header=BB325_10 Depth=1
	s_or_b64 exec, exec, s[34:35]
.LBB325_754:                            ;   in Loop: Header=BB325_10 Depth=1
	s_or_b64 exec, exec, s[30:31]
	v_add_co_u32_e32 v28, vcc, 0x1e00, v28
	v_addc_co_u32_e32 v29, vcc, 0, v29, vcc
	flat_load_dword v28, v[28:29] offset:8
	v_mov_b32_e32 v32, 0
	v_mov_b32_e32 v29, 0
	s_waitcnt vmcnt(0) lgkmcnt(0)
	v_cmp_ne_u16_sdwa vcc, v28, v35 src0_sel:BYTE_0 src1_sel:DWORD
	s_and_saveexec_b64 s[30:31], vcc
	s_cbranch_execz .LBB325_760
; %bb.755:                              ;   in Loop: Header=BB325_10 Depth=1
	v_cmp_ne_u16_sdwa vcc, v28, s21 src0_sel:BYTE_0 src1_sel:DWORD
	v_bfrev_b32_e32 v29, 1
	s_and_saveexec_b64 s[34:35], vcc
	s_cbranch_execz .LBB325_759
; %bb.756:                              ;   in Loop: Header=BB325_10 Depth=1
	v_and_b32_e32 v30, 0x7f, v28
	v_cmp_ne_u32_e32 vcc, s39, v30
	v_mov_b32_e32 v29, 0x7fc02000
	s_and_saveexec_b64 s[36:37], vcc
	s_cbranch_execz .LBB325_758
; %bb.757:                              ;   in Loop: Header=BB325_10 Depth=1
	v_and_b32_e32 v29, 7, v28
	v_lshrrev_b32_e32 v53, 3, v30
	v_cmp_gt_u32_e32 vcc, 8, v30
	v_ffbh_u32_e32 v30, v29
	v_min_u32_e32 v30, 32, v30
	v_subrev_u32_e32 v41, 28, v30
	v_sub_u32_e32 v30, 29, v30
	v_lshlrev_b64 v[58:59], v41, v[28:29]
	v_cndmask_b32_e32 v30, v53, v30, vcc
	v_mov_b32_e32 v14, 0x2000
	v_and_b32_e32 v41, 7, v58
	v_lshlrev_b32_e32 v53, 8, v28
	v_lshl_add_u32 v30, v30, 10, v14
	v_cndmask_b32_e32 v29, v29, v41, vcc
	v_and_or_b32 v30, v53, s40, v30
	v_lshl_or_b32 v29, v29, 7, v30
	v_cvt_f32_f16_e32 v29, v29
.LBB325_758:                            ;   in Loop: Header=BB325_10 Depth=1
	s_or_b64 exec, exec, s[36:37]
.LBB325_759:                            ;   in Loop: Header=BB325_10 Depth=1
	s_or_b64 exec, exec, s[34:35]
.LBB325_760:                            ;   in Loop: Header=BB325_10 Depth=1
	s_or_b64 exec, exec, s[30:31]
	v_lshrrev_b16_e32 v30, 8, v28
	v_cmp_ne_u16_e32 vcc, 0, v30
	s_and_saveexec_b64 s[30:31], vcc
	s_cbranch_execz .LBB325_766
; %bb.761:                              ;   in Loop: Header=BB325_10 Depth=1
	v_cmp_ne_u16_e32 vcc, s21, v30
	v_bfrev_b32_e32 v32, 1
	s_and_saveexec_b64 s[34:35], vcc
	s_cbranch_execz .LBB325_765
; %bb.762:                              ;   in Loop: Header=BB325_10 Depth=1
	v_and_b32_e32 v53, 0x7f, v30
	v_cmp_ne_u32_e32 vcc, s39, v53
	v_mov_b32_e32 v32, 0x7fc02000
	s_and_saveexec_b64 s[36:37], vcc
	s_cbranch_execz .LBB325_764
; %bb.763:                              ;   in Loop: Header=BB325_10 Depth=1
	v_and_b32_e32 v32, 7, v30
	v_lshrrev_b32_e32 v41, 3, v53
	v_cmp_gt_u32_e32 vcc, 8, v53
	v_ffbh_u32_e32 v53, v32
	v_min_u32_e32 v53, 32, v53
	v_subrev_u32_e32 v58, 28, v53
	v_sub_u32_e32 v53, 29, v53
	v_lshlrev_b64 v[58:59], v58, v[30:31]
	v_cndmask_b32_e32 v53, v41, v53, vcc
	v_mov_b32_e32 v14, 0x2000
	v_and_b32_e32 v58, 7, v58
	v_lshlrev_b32_e32 v30, 8, v30
	v_lshl_add_u32 v53, v53, 10, v14
	v_cndmask_b32_e32 v32, v32, v58, vcc
	v_and_or_b32 v30, v30, s40, v53
	v_lshl_or_b32 v30, v32, 7, v30
	v_cvt_f32_f16_e32 v32, v30
.LBB325_764:                            ;   in Loop: Header=BB325_10 Depth=1
	s_or_b64 exec, exec, s[36:37]
.LBB325_765:                            ;   in Loop: Header=BB325_10 Depth=1
	s_or_b64 exec, exec, s[34:35]
.LBB325_766:                            ;   in Loop: Header=BB325_10 Depth=1
	s_or_b64 exec, exec, s[30:31]
	v_lshrrev_b32_e32 v30, 16, v28
	v_cmp_ne_u16_sdwa vcc, v30, v35 src0_sel:BYTE_0 src1_sel:DWORD
	v_mov_b32_e32 v41, 0
	v_mov_b32_e32 v53, 0
	s_and_saveexec_b64 s[30:31], vcc
	s_cbranch_execz .LBB325_772
; %bb.767:                              ;   in Loop: Header=BB325_10 Depth=1
	v_cmp_ne_u16_sdwa vcc, v30, s21 src0_sel:BYTE_0 src1_sel:DWORD
	v_bfrev_b32_e32 v53, 1
	s_and_saveexec_b64 s[34:35], vcc
	s_cbranch_execz .LBB325_771
; %bb.768:                              ;   in Loop: Header=BB325_10 Depth=1
	v_bfe_u32 v58, v28, 16, 7
	v_cmp_ne_u32_e32 vcc, s39, v58
	v_mov_b32_e32 v53, 0x7fc02000
	s_and_saveexec_b64 s[36:37], vcc
	s_cbranch_execz .LBB325_770
; %bb.769:                              ;   in Loop: Header=BB325_10 Depth=1
	v_and_b32_e32 v53, 7, v30
	v_mov_b32_e32 v14, v60
	v_lshrrev_b32_e32 v60, 3, v58
	v_cmp_gt_u32_e32 vcc, 8, v58
	v_ffbh_u32_e32 v58, v53
	v_accvgpr_write_b32 a40, v61
	v_min_u32_e32 v61, 32, v58
	v_subrev_u32_e32 v58, 28, v61
	v_lshlrev_b64 v[58:59], v58, v[30:31]
	v_sub_u32_e32 v59, 29, v61
	v_and_b32_e32 v58, 7, v58
	v_cndmask_b32_e32 v59, v60, v59, vcc
	v_mov_b32_e32 v60, v14
	v_mov_b32_e32 v14, 0x2000
	v_cndmask_b32_e32 v53, v53, v58, vcc
	v_lshlrev_b32_e32 v30, 8, v30
	v_lshl_add_u32 v58, v59, 10, v14
	v_and_or_b32 v30, v30, s40, v58
	v_lshl_or_b32 v30, v53, 7, v30
	v_cvt_f32_f16_e32 v53, v30
	v_accvgpr_read_b32 v61, a40
.LBB325_770:                            ;   in Loop: Header=BB325_10 Depth=1
	s_or_b64 exec, exec, s[36:37]
.LBB325_771:                            ;   in Loop: Header=BB325_10 Depth=1
	s_or_b64 exec, exec, s[34:35]
.LBB325_772:                            ;   in Loop: Header=BB325_10 Depth=1
	s_or_b64 exec, exec, s[30:31]
	v_accvgpr_write_b32 a41, v61
	v_accvgpr_write_b32 a40, v60
	v_cmp_lt_u32_e32 vcc, s41, v28
	s_and_saveexec_b64 s[30:31], vcc
	s_cbranch_execz .LBB325_778
; %bb.773:                              ;   in Loop: Header=BB325_10 Depth=1
	v_lshrrev_b32_e32 v28, 24, v28
	v_cmp_ne_u32_e32 vcc, s21, v28
	v_bfrev_b32_e32 v41, 1
	s_and_saveexec_b64 s[34:35], vcc
	s_cbranch_execz .LBB325_777
; %bb.774:                              ;   in Loop: Header=BB325_10 Depth=1
	v_and_b32_e32 v30, 0x7f, v28
	v_cmp_ne_u32_e32 vcc, s39, v30
	v_mov_b32_e32 v41, 0x7fc02000
	s_and_saveexec_b64 s[36:37], vcc
	s_cbranch_execz .LBB325_776
; %bb.775:                              ;   in Loop: Header=BB325_10 Depth=1
	v_and_b32_e32 v41, 7, v28
	v_lshrrev_b32_e32 v60, 3, v30
	v_cmp_gt_u32_e32 vcc, 8, v30
	v_ffbh_u32_e32 v30, v41
	v_min_u32_e32 v30, 32, v30
	v_subrev_u32_e32 v58, 28, v30
	v_sub_u32_e32 v30, 29, v30
	v_lshlrev_b64 v[58:59], v58, v[28:29]
	v_cndmask_b32_e32 v30, v60, v30, vcc
	v_mov_b32_e32 v14, 0x2000
	v_and_b32_e32 v58, 7, v58
	v_lshlrev_b32_e32 v28, 8, v28
	v_lshl_add_u32 v30, v30, 10, v14
	v_cndmask_b32_e32 v41, v41, v58, vcc
	v_and_or_b32 v28, v28, s40, v30
	v_lshl_or_b32 v28, v41, 7, v28
	v_cvt_f32_f16_e32 v41, v28
.LBB325_776:                            ;   in Loop: Header=BB325_10 Depth=1
	s_or_b64 exec, exec, s[36:37]
.LBB325_777:                            ;   in Loop: Header=BB325_10 Depth=1
	s_or_b64 exec, exec, s[34:35]
.LBB325_778:                            ;   in Loop: Header=BB325_10 Depth=1
	s_or_b64 exec, exec, s[30:31]
	v_fma_mixlo_f16 v0, v4, v0, 0
	v_accvgpr_write_b32 a26, v0
	v_fma_mixlo_f16 v0, v4, v18, 0
	v_accvgpr_write_b32 a32, v0
	;; [unrolled: 2-line block ×3, first 2 shown]
	buffer_load_dword v0, off, s[0:3], s32 offset:496 ; 4-byte Folded Reload
	v_fma_mixlo_f16 v1, v4, v1, 0
	buffer_store_dword v1, off, s[0:3], s32 offset:564 ; 4-byte Folded Spill
	v_fma_mixlo_f16 v1, v4, v3, 0
	v_accvgpr_write_b32 a58, v1
	v_fma_mixlo_f16 v1, v4, v27, 0
	v_accvgpr_write_b32 a59, v1
	v_fma_mixlo_f16 v1, v4, v37, 0
	v_fma_mixlo_f16 v14, v4, v49, 0
	buffer_store_dword v14, off, s[0:3], s32 offset:540 ; 4-byte Folded Spill
	v_fma_mixlo_f16 v14, v4, v45, 0
	buffer_store_dword v14, off, s[0:3], s32 offset:544 ; 4-byte Folded Spill
	;; [unrolled: 2-line block ×4, first 2 shown]
	v_fma_mixlo_f16 v14, v4, v42, 0
	v_accvgpr_write_b32 a57, v1
	v_fma_mixlo_f16 v1, v4, v31, 0
	v_accvgpr_write_b32 a56, v1
	;; [unrolled: 2-line block ×4, first 2 shown]
	v_fma_mixlo_f16 v1, v4, v21, 0
	v_fma_mixlo_f16 v13, v4, v13, 0
	v_accvgpr_write_b32 a54, v13
	v_fma_mixlo_f16 v13, v4, v50, 0
	v_accvgpr_write_b32 a61, v1
	v_fma_mixlo_f16 v1, v4, v9, 0
	v_accvgpr_write_b32 a60, v1
	v_fma_mixlo_f16 v1, v4, v16, 0
	v_accvgpr_write_b32 a50, v1
	v_fma_mixlo_f16 v1, v4, v6, 0
	v_accvgpr_write_b32 a49, v1
	v_fma_mixlo_f16 v1, v4, v47, 0
	v_accvgpr_write_b32 a51, v1
	v_fma_mixlo_f16 v1, v4, v5, 0
	buffer_store_dword v14, off, s[0:3], s32 offset:556 ; 4-byte Folded Spill
	v_fma_mixlo_f16 v14, v4, v43, 0
	buffer_store_dword v14, off, s[0:3], s32 offset:560 ; 4-byte Folded Spill
	;; [unrolled: 2-line block ×4, first 2 shown]
	v_accvgpr_write_b32 a52, v1
	v_fma_mixlo_f16 v1, v4, v8, 0
	v_accvgpr_write_b32 a46, v1
	v_fma_mixlo_f16 v1, v4, v26, 0
	;; [unrolled: 2-line block ×17, first 2 shown]
	v_accvgpr_write_b32 a25, v1
	s_waitcnt vmcnt(9)
	v_fma_mixlo_f16 v0, v4, v0, 0
	v_accvgpr_write_b32 a34, v0
	buffer_load_dword v0, off, s[0:3], s32 offset:492 ; 4-byte Folded Reload
	v_fma_mixlo_f16 v1, v4, v22, 0
	v_accvgpr_write_b32 a55, v13
	v_fma_mixlo_f16 v13, v4, v55, 0
	v_accvgpr_write_b32 a30, v1
	;; [unrolled: 2-line block ×4, first 2 shown]
	v_accvgpr_write_b32 a33, v1
	v_fma_mixlo_f16 v1, v4, v57, 0
	v_accvgpr_write_b32 a16, v1
	buffer_load_dword v7, off, s[0:3], s32 offset:584 ; 4-byte Folded Reload
	s_waitcnt vmcnt(1)
	v_fma_mixlo_f16 v0, v4, v0, 0
	v_accvgpr_write_b32 a35, v0
	v_fma_mixlo_f16 v0, v4, v10, 0
	v_accvgpr_write_b32 a29, v0
	;; [unrolled: 2-line block ×3, first 2 shown]
	buffer_load_dword v0, off, s[0:3], s32 offset:476 ; 4-byte Folded Reload
	s_waitcnt vmcnt(0)
	v_fma_mixlo_f16 v0, v4, v0, 0
	v_accvgpr_write_b32 a14, v0
	buffer_load_dword v0, off, s[0:3], s32 offset:480 ; 4-byte Folded Reload
	s_waitcnt vmcnt(0)
	v_fma_mixlo_f16 v0, v4, v0, 0
	v_accvgpr_write_b32 a13, v0
	;; [unrolled: 4-line block ×16, first 2 shown]
	buffer_load_dword v0, off, s[0:3], s32 offset:412 ; 4-byte Folded Reload
	s_waitcnt vmcnt(0)
	v_fma_mixlo_f16 v37, v4, v0, 0
	buffer_load_dword v0, off, s[0:3], s32 offset:416 ; 4-byte Folded Reload
	v_accvgpr_write_b32 a0, v37
	s_waitcnt vmcnt(0)
	v_fma_mixlo_f16 v37, v4, v0, 0
	buffer_load_dword v0, off, s[0:3], s32 offset:424 ; 4-byte Folded Reload
	s_waitcnt vmcnt(0)
	v_fma_mixlo_f16 v0, v4, v0, 0
	v_accvgpr_write_b32 a1, v0
	buffer_load_dword v0, off, s[0:3], s32 offset:420 ; 4-byte Folded Reload
	s_waitcnt vmcnt(0)
	v_fma_mixlo_f16 v0, v4, v0, 0
	v_accvgpr_write_b32 a2, v0
	buffer_load_dword v0, off, s[0:3], s32 offset:396 ; 4-byte Folded Reload
	s_waitcnt vmcnt(0)
	v_fma_mixlo_f16 v42, v4, v0, 0
	buffer_load_dword v0, off, s[0:3], s32 offset:400 ; 4-byte Folded Reload
	s_waitcnt vmcnt(0)
	v_fma_mixlo_f16 v28, v4, v0, 0
	;; [unrolled: 3-line block ×24, first 2 shown]
	buffer_load_dword v0, off, s[0:3], s32 offset:304 ; 4-byte Folded Reload
	v_and_b32_e32 v3, 0xffff, v3
	s_waitcnt vmcnt(0)
	v_fma_mixlo_f16 v19, v4, v0, 0
	buffer_load_dword v0, off, s[0:3], s32 offset:300 ; 4-byte Folded Reload
	s_waitcnt vmcnt(0)
	v_fma_mixlo_f16 v52, v4, v0, 0
	buffer_load_dword v0, off, s[0:3], s32 offset:312 ; 4-byte Folded Reload
	;; [unrolled: 3-line block ×17, first 2 shown]
	v_and_b32_e32 v16, 0xffff, v16
	s_waitcnt vmcnt(0)
	v_fma_mixlo_f16 v49, v4, v0, 0
	buffer_load_dword v0, off, s[0:3], s32 offset:248 ; 4-byte Folded Reload
	s_waitcnt vmcnt(0)
	v_fma_mixlo_f16 v2, v4, v0, 0
	buffer_load_dword v0, off, s[0:3], s32 offset:244 ; 4-byte Folded Reload
	v_and_b32_e32 v2, 0xffff, v2
	s_waitcnt vmcnt(0)
	v_fma_mixlo_f16 v61, v4, v0, 0
	buffer_load_dword v0, off, s[0:3], s32 offset:220 ; 4-byte Folded Reload
	s_waitcnt vmcnt(0)
	v_fma_mixlo_f16 v10, v4, v0, 0
	buffer_load_dword v0, off, s[0:3], s32 offset:224 ; 4-byte Folded Reload
	;; [unrolled: 7-line block ×3, first 2 shown]
	v_and_b32_e32 v24, 0xffff, v24
	s_waitcnt vmcnt(0)
	v_fma_mixlo_f16 v11, v4, v0, 0
	v_accvgpr_read_b32 v0, a41
	v_fma_mixlo_f16 v57, v4, v0, 0
	v_accvgpr_read_b32 v0, a40
	v_fma_mixlo_f16 v62, v4, v0, 0
	buffer_load_dword v0, off, s[0:3], s32 offset:216 ; 4-byte Folded Reload
	v_and_b32_e32 v11, 0xffff, v11
	s_waitcnt vmcnt(0)
	v_fma_mixlo_f16 v23, v4, v0, 0
	buffer_load_dword v0, off, s[0:3], s32 offset:212 ; 4-byte Folded Reload
	s_waitcnt vmcnt(0)
	v_fma_mixlo_f16 v6, v4, v0, 0
	v_fma_mixlo_f16 v0, v4, v32, 0
	v_accvgpr_write_b32 a41, v0
	v_fma_mixlo_f16 v0, v4, v29, 0
	v_accvgpr_write_b32 a40, v0
	v_fma_mixlo_f16 v0, v4, v53, 0
	buffer_store_dword v0, off, s[0:3], s32 offset:216 ; 4-byte Folded Spill
	v_fma_mixlo_f16 v0, v4, v41, 0
	buffer_store_dword v0, off, s[0:3], s32 offset:212 ; 4-byte Folded Spill
	ds_read_b64 v[0:1], v7
	s_waitcnt lgkmcnt(0)
	v_lshrrev_b32_e32 v4, 16, v0
	v_and_b32_e32 v0, 0xffff, v0
	;;#ASMSTART
	v_cvt_f32_f16 v29, v0;
	;;#ASMEND
	v_and_b32_e32 v0, 0xffff, v62
	;;#ASMSTART
	v_cvt_f32_f16 v32, v4;
	;;#ASMEND
	;;#ASMSTART
	v_cvt_f32_f16 v53, v0;
	;;#ASMEND
	v_and_b32_e32 v0, 0xffff, v57
	;;#ASMSTART
	v_cvt_f32_f16 v41, v0;
	;;#ASMEND
	v_lshrrev_b32_e32 v0, 16, v1
	v_and_b32_e32 v1, 0xffff, v1
	;;#ASMSTART
	v_cvt_f32_f16 v57, v1;
	;;#ASMEND
	;;#ASMSTART
	v_cvt_f32_f16 v62, v0;
	;;#ASMEND
	v_and_b32_e32 v0, 0xffff, v23
	;;#ASMSTART
	v_cvt_f32_f16 v23, v0;
	;;#ASMEND
	v_and_b32_e32 v0, 0xffff, v6
	;;#ASMSTART
	v_cvt_f32_f16 v6, v0;
	;;#ASMEND
	ds_read_b64 v[0:1], v7 offset:8
	s_waitcnt lgkmcnt(0)
	v_lshrrev_b32_e32 v4, 16, v0
	v_and_b32_e32 v0, 0xffff, v0
	;;#ASMSTART
	v_cvt_f32_f16 v0, v0;
	;;#ASMEND
	;;#ASMSTART
	v_cvt_f32_f16 v47, v4;
	;;#ASMEND
	v_and_b32_e32 v4, 0xffff, v59
	;;#ASMSTART
	v_cvt_f32_f16 v4, v4;
	;;#ASMEND
	;;#ASMSTART
	v_cvt_f32_f16 v10, v10;
	;;#ASMEND
	v_mul_f32_e32 v4, v0, v4
	v_lshrrev_b32_e32 v0, 16, v1
	v_and_b32_e32 v1, 0xffff, v1
	v_mul_f32_e32 v10, v47, v10
	;;#ASMSTART
	v_cvt_f32_f16 v1, v1;
	;;#ASMEND
	;;#ASMSTART
	v_cvt_f32_f16 v0, v0;
	;;#ASMEND
	v_fmac_f32_e32 v4, v29, v53
	v_fmac_f32_e32 v10, v32, v41
	;;#ASMSTART
	v_cvt_f32_f16 v24, v24;
	;;#ASMEND
	;;#ASMSTART
	v_cvt_f32_f16 v29, v11;
	;;#ASMEND
	v_mul_f32_e32 v11, v1, v24
	v_mul_f32_e32 v32, v0, v29
	ds_read_b64 v[0:1], v7 offset:16
	v_fmac_f32_e32 v32, v62, v6
	v_fmac_f32_e32 v11, v57, v23
	v_and_b32_e32 v23, 0xffff, v49
	s_waitcnt lgkmcnt(0)
	v_lshrrev_b32_e32 v6, 16, v0
	v_and_b32_e32 v0, 0xffff, v0
	;;#ASMSTART
	v_cvt_f32_f16 v0, v0;
	;;#ASMEND
	;;#ASMSTART
	v_cvt_f32_f16 v6, v6;
	;;#ASMEND
	;; [unrolled: 3-line block ×3, first 2 shown]
	v_fmac_f32_e32 v4, v0, v23
	v_lshrrev_b32_e32 v0, 16, v1
	v_and_b32_e32 v1, 0xffff, v1
	;;#ASMSTART
	v_cvt_f32_f16 v16, v16;
	;;#ASMEND
	v_fmac_f32_e32 v10, v6, v16
	;;#ASMSTART
	v_cvt_f32_f16 v1, v1;
	;;#ASMEND
	;;#ASMSTART
	v_cvt_f32_f16 v0, v0;
	;;#ASMEND
	v_and_b32_e32 v6, 0xffff, v61
	;;#ASMSTART
	v_cvt_f32_f16 v2, v2;
	;;#ASMEND
	;;#ASMSTART
	v_cvt_f32_f16 v6, v6;
	;;#ASMEND
	v_fmac_f32_e32 v11, v1, v2
	v_fmac_f32_e32 v32, v0, v6
	ds_read_b64 v[0:1], v7 offset:24
	v_and_b32_e32 v6, 0xffff, v34
	v_and_b32_e32 v16, 0xffff, v33
	s_waitcnt lgkmcnt(0)
	v_lshrrev_b32_e32 v2, 16, v0
	v_and_b32_e32 v0, 0xffff, v0
	;;#ASMSTART
	v_cvt_f32_f16 v0, v0;
	;;#ASMEND
	;;#ASMSTART
	v_cvt_f32_f16 v2, v2;
	;;#ASMEND
	;;#ASMSTART
	v_cvt_f32_f16 v6, v6;
	;;#ASMEND
	v_fmac_f32_e32 v4, v0, v6
	v_lshrrev_b32_e32 v0, 16, v1
	v_and_b32_e32 v1, 0xffff, v1
	;;#ASMSTART
	v_cvt_f32_f16 v16, v16;
	;;#ASMEND
	v_fmac_f32_e32 v10, v2, v16
	;;#ASMSTART
	v_cvt_f32_f16 v1, v1;
	;;#ASMEND
	;;#ASMSTART
	v_cvt_f32_f16 v0, v0;
	;;#ASMEND
	v_and_b32_e32 v2, 0xffff, v60
	v_and_b32_e32 v6, 0xffff, v8
	;;#ASMSTART
	v_cvt_f32_f16 v2, v2;
	;;#ASMEND
	;;#ASMSTART
	v_cvt_f32_f16 v6, v6;
	;;#ASMEND
	v_fmac_f32_e32 v11, v1, v2
	v_fmac_f32_e32 v32, v0, v6
	ds_read_b64 v[0:1], v7 offset:32
	v_and_b32_e32 v6, 0xffff, v40
	v_and_b32_e32 v8, 0xffff, v18
	s_waitcnt lgkmcnt(0)
	v_lshrrev_b32_e32 v2, 16, v0
	v_and_b32_e32 v0, 0xffff, v0
	;;#ASMSTART
	v_cvt_f32_f16 v0, v0;
	;;#ASMEND
	;;#ASMSTART
	v_cvt_f32_f16 v2, v2;
	;;#ASMEND
	;;#ASMSTART
	v_cvt_f32_f16 v6, v6;
	;;#ASMEND
	v_fmac_f32_e32 v4, v0, v6
	v_lshrrev_b32_e32 v0, 16, v1
	v_and_b32_e32 v1, 0xffff, v1
	;;#ASMSTART
	v_cvt_f32_f16 v8, v8;
	;;#ASMEND
	v_fmac_f32_e32 v10, v2, v8
	;;#ASMSTART
	v_cvt_f32_f16 v1, v1;
	;;#ASMEND
	;;#ASMSTART
	v_cvt_f32_f16 v0, v0;
	;;#ASMEND
	v_and_b32_e32 v2, 0xffff, v26
	;; [unrolled: 38-line block ×5, first 2 shown]
	;;#ASMSTART
	v_cvt_f32_f16 v2, v2;
	;;#ASMEND
	;;#ASMSTART
	v_cvt_f32_f16 v3, v3;
	;;#ASMEND
	v_fmac_f32_e32 v11, v1, v2
	v_fmac_f32_e32 v32, v0, v3
	ds_read_b64 v[0:1], v7 offset:64
	v_and_b32_e32 v3, 0xffff, v55
	v_and_b32_e32 v6, 0xffff, v43
	s_waitcnt lgkmcnt(0)
	v_lshrrev_b32_e32 v2, 16, v0
	v_and_b32_e32 v0, 0xffff, v0
	;;#ASMSTART
	v_cvt_f32_f16 v0, v0;
	;;#ASMEND
	;;#ASMSTART
	v_cvt_f32_f16 v2, v2;
	;;#ASMEND
	;; [unrolled: 3-line block ×3, first 2 shown]
	v_fmac_f32_e32 v4, v0, v3
	v_lshrrev_b32_e32 v0, 16, v1
	v_and_b32_e32 v1, 0xffff, v1
	;;#ASMSTART
	v_cvt_f32_f16 v6, v6;
	;;#ASMEND
	v_fmac_f32_e32 v10, v2, v6
	;;#ASMSTART
	v_cvt_f32_f16 v1, v1;
	;;#ASMEND
	;;#ASMSTART
	v_cvt_f32_f16 v0, v0;
	;;#ASMEND
	v_and_b32_e32 v2, 0xffff, v15
	v_and_b32_e32 v3, 0xffff, v51
	;;#ASMSTART
	v_cvt_f32_f16 v2, v2;
	;;#ASMEND
	;;#ASMSTART
	v_cvt_f32_f16 v3, v3;
	;;#ASMEND
	v_fmac_f32_e32 v11, v1, v2
	v_fmac_f32_e32 v32, v0, v3
	ds_read_b64 v[0:1], v7 offset:72
	v_and_b32_e32 v3, 0xffff, v25
	v_and_b32_e32 v6, 0xffff, v48
	s_waitcnt lgkmcnt(0)
	v_lshrrev_b32_e32 v2, 16, v0
	v_and_b32_e32 v0, 0xffff, v0
	;;#ASMSTART
	v_cvt_f32_f16 v0, v0;
	;;#ASMEND
	;;#ASMSTART
	v_cvt_f32_f16 v2, v2;
	;;#ASMEND
	;; [unrolled: 3-line block ×3, first 2 shown]
	v_fmac_f32_e32 v4, v0, v3
	v_lshrrev_b32_e32 v0, 16, v1
	v_and_b32_e32 v1, 0xffff, v1
	;;#ASMSTART
	v_cvt_f32_f16 v6, v6;
	;;#ASMEND
	v_fmac_f32_e32 v10, v2, v6
	;;#ASMSTART
	v_cvt_f32_f16 v1, v1;
	;;#ASMEND
	;;#ASMSTART
	v_cvt_f32_f16 v0, v0;
	;;#ASMEND
	v_and_b32_e32 v2, 0xffff, v39
	v_and_b32_e32 v3, 0xffff, v22
	;;#ASMSTART
	v_cvt_f32_f16 v2, v2;
	;;#ASMEND
	;;#ASMSTART
	v_cvt_f32_f16 v3, v3;
	;;#ASMEND
	v_fmac_f32_e32 v11, v1, v2
	v_fmac_f32_e32 v32, v0, v3
	ds_read_b64 v[0:1], v7 offset:80
	v_and_b32_e32 v3, 0xffff, v5
	v_and_b32_e32 v6, 0xffff, v50
	;; [unrolled: 1-line block ×3, first 2 shown]
	s_waitcnt lgkmcnt(0)
	v_lshrrev_b32_e32 v2, 16, v0
	v_and_b32_e32 v0, 0xffff, v0
	;;#ASMSTART
	v_cvt_f32_f16 v0, v0;
	;;#ASMEND
	;;#ASMSTART
	v_cvt_f32_f16 v2, v2;
	;;#ASMEND
	;; [unrolled: 3-line block ×3, first 2 shown]
	v_fmac_f32_e32 v4, v0, v3
	v_lshrrev_b32_e32 v0, 16, v1
	v_and_b32_e32 v1, 0xffff, v1
	;;#ASMSTART
	v_cvt_f32_f16 v6, v6;
	;;#ASMEND
	v_fmac_f32_e32 v10, v2, v6
	;;#ASMSTART
	v_cvt_f32_f16 v1, v1;
	;;#ASMEND
	;;#ASMSTART
	v_cvt_f32_f16 v0, v0;
	;;#ASMEND
	v_and_b32_e32 v2, 0xffff, v9
	v_and_b32_e32 v3, 0xffff, v14
	;;#ASMSTART
	v_cvt_f32_f16 v2, v2;
	;;#ASMEND
	;;#ASMSTART
	v_cvt_f32_f16 v3, v3;
	;;#ASMEND
	v_fmac_f32_e32 v11, v1, v2
	v_fmac_f32_e32 v32, v0, v3
	ds_read_b64 v[0:1], v7 offset:88
	v_and_b32_e32 v3, 0xffff, v45
	s_waitcnt lgkmcnt(0)
	v_lshrrev_b32_e32 v2, 16, v0
	v_and_b32_e32 v0, 0xffff, v0
	;;#ASMSTART
	v_cvt_f32_f16 v0, v0;
	;;#ASMEND
	;;#ASMSTART
	v_cvt_f32_f16 v2, v2;
	;;#ASMEND
	;; [unrolled: 3-line block ×3, first 2 shown]
	v_fmac_f32_e32 v4, v0, v3
	v_lshrrev_b32_e32 v0, 16, v1
	v_and_b32_e32 v1, 0xffff, v1
	;;#ASMSTART
	v_cvt_f32_f16 v5, v5;
	;;#ASMEND
	v_fmac_f32_e32 v10, v2, v5
	;;#ASMSTART
	v_cvt_f32_f16 v1, v1;
	;;#ASMEND
	;;#ASMSTART
	v_cvt_f32_f16 v0, v0;
	;;#ASMEND
	v_and_b32_e32 v2, 0xffff, v21
	v_and_b32_e32 v3, 0xffff, v27
	;;#ASMSTART
	v_cvt_f32_f16 v2, v2;
	;;#ASMEND
	;;#ASMSTART
	v_cvt_f32_f16 v3, v3;
	;;#ASMEND
	v_fmac_f32_e32 v11, v1, v2
	v_fmac_f32_e32 v32, v0, v3
	ds_read_b64 v[0:1], v7 offset:96
	v_and_b32_e32 v3, 0xffff, v28
	v_and_b32_e32 v5, 0xffff, v42
	s_waitcnt lgkmcnt(0)
	v_lshrrev_b32_e32 v2, 16, v0
	v_and_b32_e32 v0, 0xffff, v0
	;;#ASMSTART
	v_cvt_f32_f16 v0, v0;
	;;#ASMEND
	;;#ASMSTART
	v_cvt_f32_f16 v2, v2;
	;;#ASMEND
	;; [unrolled: 3-line block ×3, first 2 shown]
	v_fmac_f32_e32 v4, v0, v3
	v_lshrrev_b32_e32 v0, 16, v1
	v_and_b32_e32 v1, 0xffff, v1
	;;#ASMSTART
	v_cvt_f32_f16 v5, v5;
	;;#ASMEND
	v_fmac_f32_e32 v10, v2, v5
	;;#ASMSTART
	v_cvt_f32_f16 v1, v1;
	;;#ASMEND
	;;#ASMSTART
	v_cvt_f32_f16 v0, v0;
	;;#ASMEND
	v_and_b32_e32 v2, 0xffff, v30
	v_and_b32_e32 v3, 0xffff, v31
	;;#ASMSTART
	v_cvt_f32_f16 v2, v2;
	;;#ASMEND
	;;#ASMSTART
	v_cvt_f32_f16 v3, v3;
	;;#ASMEND
	v_fmac_f32_e32 v11, v1, v2
	v_fmac_f32_e32 v32, v0, v3
	ds_read_b64 v[0:1], v7 offset:104
	v_and_b32_e32 v3, 0xffff, v37
	v_accvgpr_read_b32 v37, a0
	v_and_b32_e32 v5, 0xffff, v37
	s_waitcnt lgkmcnt(0)
	v_lshrrev_b32_e32 v2, 16, v0
	v_and_b32_e32 v0, 0xffff, v0
	;;#ASMSTART
	v_cvt_f32_f16 v0, v0;
	;;#ASMEND
	;;#ASMSTART
	v_cvt_f32_f16 v2, v2;
	;;#ASMEND
	;;#ASMSTART
	v_cvt_f32_f16 v3, v3;
	;;#ASMEND
	;;#ASMSTART
	v_cvt_f32_f16 v5, v5;
	;;#ASMEND
	v_fmac_f32_e32 v4, v0, v3
	v_fmac_f32_e32 v10, v2, v5
	v_lshrrev_b32_e32 v0, 16, v1
	v_and_b32_e32 v1, 0xffff, v1
	v_accvgpr_read_b32 v2, a1
	v_accvgpr_read_b32 v3, a2
	;;#ASMSTART
	v_cvt_f32_f16 v1, v1;
	;;#ASMEND
	;;#ASMSTART
	v_cvt_f32_f16 v0, v0;
	;;#ASMEND
	v_and_b32_e32 v2, 0xffff, v2
	v_and_b32_e32 v3, 0xffff, v3
	;;#ASMSTART
	v_cvt_f32_f16 v2, v2;
	;;#ASMEND
	;;#ASMSTART
	v_cvt_f32_f16 v3, v3;
	;;#ASMEND
	v_fmac_f32_e32 v11, v1, v2
	v_fmac_f32_e32 v32, v0, v3
	ds_read_b64 v[0:1], v7 offset:112
	v_accvgpr_read_b32 v3, a3
	v_and_b32_e32 v3, 0xffff, v3
	v_accvgpr_read_b32 v5, a4
	v_and_b32_e32 v5, 0xffff, v5
	s_waitcnt lgkmcnt(0)
	v_lshrrev_b32_e32 v2, 16, v0
	v_and_b32_e32 v0, 0xffff, v0
	;;#ASMSTART
	v_cvt_f32_f16 v0, v0;
	;;#ASMEND
	;;#ASMSTART
	v_cvt_f32_f16 v2, v2;
	;;#ASMEND
	;;#ASMSTART
	v_cvt_f32_f16 v3, v3;
	;;#ASMEND
	;;#ASMSTART
	v_cvt_f32_f16 v5, v5;
	;;#ASMEND
	v_fmac_f32_e32 v4, v0, v3
	v_fmac_f32_e32 v10, v2, v5
	v_lshrrev_b32_e32 v0, 16, v1
	v_and_b32_e32 v1, 0xffff, v1
	v_accvgpr_read_b32 v2, a5
	v_accvgpr_read_b32 v3, a6
	;;#ASMSTART
	v_cvt_f32_f16 v1, v1;
	;;#ASMEND
	;;#ASMSTART
	v_cvt_f32_f16 v0, v0;
	;;#ASMEND
	v_and_b32_e32 v2, 0xffff, v2
	v_and_b32_e32 v3, 0xffff, v3
	;;#ASMSTART
	v_cvt_f32_f16 v2, v2;
	;;#ASMEND
	;;#ASMSTART
	v_cvt_f32_f16 v3, v3;
	;;#ASMEND
	v_fmac_f32_e32 v11, v1, v2
	v_fmac_f32_e32 v32, v0, v3
	ds_read_b64 v[0:1], v7 offset:120
	v_accvgpr_read_b32 v3, a7
	;; [unrolled: 42-line block ×5, first 2 shown]
	v_and_b32_e32 v3, 0xffff, v3
	v_accvgpr_read_b32 v5, a34
	v_and_b32_e32 v5, 0xffff, v5
	s_waitcnt lgkmcnt(0)
	v_lshrrev_b32_e32 v2, 16, v0
	v_and_b32_e32 v0, 0xffff, v0
	;;#ASMSTART
	v_cvt_f32_f16 v0, v0;
	;;#ASMEND
	;;#ASMSTART
	v_cvt_f32_f16 v2, v2;
	;;#ASMEND
	;; [unrolled: 3-line block ×4, first 2 shown]
	v_fmac_f32_e32 v4, v0, v3
	v_fmac_f32_e32 v10, v2, v5
	v_accvgpr_read_b32 v2, a29
	v_accvgpr_read_b32 v3, a27
	v_lshrrev_b32_e32 v0, 16, v1
	v_and_b32_e32 v1, 0xffff, v1
	v_and_b32_e32 v2, 0xffff, v2
	;; [unrolled: 1-line block ×3, first 2 shown]
	;;#ASMSTART
	v_cvt_f32_f16 v1, v1;
	;;#ASMEND
	;;#ASMSTART
	v_cvt_f32_f16 v0, v0;
	;;#ASMEND
	;; [unrolled: 3-line block ×4, first 2 shown]
	ds_read_b64 v[28:29], v7 offset:152
	v_fmac_f32_e32 v11, v1, v2
	v_fmac_f32_e32 v32, v0, v3
	v_accvgpr_read_b32 v2, a26
	v_accvgpr_read_b32 v3, a16
	s_waitcnt lgkmcnt(0)
	v_lshrrev_b32_e32 v0, 16, v28
	v_and_b32_e32 v1, 0xffff, v28
	v_and_b32_e32 v2, 0xffff, v2
	;; [unrolled: 1-line block ×3, first 2 shown]
	;;#ASMSTART
	v_cvt_f32_f16 v1, v1;
	;;#ASMEND
	;;#ASMSTART
	v_cvt_f32_f16 v0, v0;
	;;#ASMEND
	;; [unrolled: 3-line block ×4, first 2 shown]
	v_fmac_f32_e32 v4, v1, v2
	v_fmac_f32_e32 v10, v0, v3
	v_lshrrev_b32_e32 v0, 16, v29
	v_and_b32_e32 v1, 0xffff, v29
	v_accvgpr_read_b32 v2, a32
	v_accvgpr_read_b32 v3, a31
	;;#ASMSTART
	v_cvt_f32_f16 v1, v1;
	;;#ASMEND
	;;#ASMSTART
	v_cvt_f32_f16 v0, v0;
	;;#ASMEND
	v_and_b32_e32 v2, 0xffff, v2
	v_and_b32_e32 v3, 0xffff, v3
	;;#ASMSTART
	v_cvt_f32_f16 v2, v2;
	;;#ASMEND
	;;#ASMSTART
	v_cvt_f32_f16 v3, v3;
	;;#ASMEND
	v_fmac_f32_e32 v11, v1, v2
	v_fmac_f32_e32 v32, v0, v3
	ds_read_b64 v[0:1], v7 offset:160
	v_accvgpr_read_b32 v3, a30
	v_and_b32_e32 v3, 0xffff, v3
	v_accvgpr_read_b32 v5, a25
	v_and_b32_e32 v5, 0xffff, v5
	s_waitcnt lgkmcnt(0)
	v_lshrrev_b32_e32 v2, 16, v0
	v_and_b32_e32 v0, 0xffff, v0
	;;#ASMSTART
	v_cvt_f32_f16 v0, v0;
	;;#ASMEND
	;;#ASMSTART
	v_cvt_f32_f16 v2, v2;
	;;#ASMEND
	;; [unrolled: 3-line block ×4, first 2 shown]
	v_fmac_f32_e32 v4, v0, v3
	v_fmac_f32_e32 v10, v2, v5
	v_accvgpr_read_b32 v2, a17
	v_accvgpr_read_b32 v3, a33
	v_lshrrev_b32_e32 v0, 16, v1
	v_and_b32_e32 v1, 0xffff, v1
	v_and_b32_e32 v2, 0xffff, v2
	;; [unrolled: 1-line block ×3, first 2 shown]
	;;#ASMSTART
	v_cvt_f32_f16 v1, v1;
	;;#ASMEND
	;;#ASMSTART
	v_cvt_f32_f16 v0, v0;
	;;#ASMEND
	;; [unrolled: 3-line block ×4, first 2 shown]
	ds_read_b64 v[28:29], v7 offset:168
	v_fmac_f32_e32 v11, v1, v2
	v_fmac_f32_e32 v32, v0, v3
	v_accvgpr_read_b32 v2, a36
	v_accvgpr_read_b32 v3, a28
	s_waitcnt lgkmcnt(0)
	v_lshrrev_b32_e32 v0, 16, v28
	v_and_b32_e32 v1, 0xffff, v28
	v_and_b32_e32 v2, 0xffff, v2
	;; [unrolled: 1-line block ×3, first 2 shown]
	;;#ASMSTART
	v_cvt_f32_f16 v1, v1;
	;;#ASMEND
	;;#ASMSTART
	v_cvt_f32_f16 v0, v0;
	;;#ASMEND
	;;#ASMSTART
	v_cvt_f32_f16 v2, v2;
	;;#ASMEND
	;;#ASMSTART
	v_cvt_f32_f16 v3, v3;
	;;#ASMEND
	v_fmac_f32_e32 v4, v1, v2
	v_fmac_f32_e32 v10, v0, v3
	v_lshrrev_b32_e32 v0, 16, v29
	v_and_b32_e32 v1, 0xffff, v29
	v_accvgpr_read_b32 v2, a18
	v_accvgpr_read_b32 v3, a19
	;;#ASMSTART
	v_cvt_f32_f16 v1, v1;
	;;#ASMEND
	;;#ASMSTART
	v_cvt_f32_f16 v0, v0;
	;;#ASMEND
	v_and_b32_e32 v2, 0xffff, v2
	v_and_b32_e32 v3, 0xffff, v3
	;;#ASMSTART
	v_cvt_f32_f16 v2, v2;
	;;#ASMEND
	;;#ASMSTART
	v_cvt_f32_f16 v3, v3;
	;;#ASMEND
	v_fmac_f32_e32 v11, v1, v2
	v_fmac_f32_e32 v32, v0, v3
	ds_read_b64 v[0:1], v7 offset:176
	v_accvgpr_read_b32 v3, a20
	v_and_b32_e32 v3, 0xffff, v3
	v_accvgpr_read_b32 v5, a21
	v_and_b32_e32 v5, 0xffff, v5
	s_waitcnt lgkmcnt(0)
	v_lshrrev_b32_e32 v2, 16, v0
	v_and_b32_e32 v0, 0xffff, v0
	;;#ASMSTART
	v_cvt_f32_f16 v0, v0;
	;;#ASMEND
	;;#ASMSTART
	v_cvt_f32_f16 v2, v2;
	;;#ASMEND
	;;#ASMSTART
	v_cvt_f32_f16 v3, v3;
	;;#ASMEND
	;;#ASMSTART
	v_cvt_f32_f16 v5, v5;
	;;#ASMEND
	v_fmac_f32_e32 v4, v0, v3
	v_fmac_f32_e32 v10, v2, v5
	v_lshrrev_b32_e32 v0, 16, v1
	v_and_b32_e32 v1, 0xffff, v1
	v_accvgpr_read_b32 v2, a22
	v_accvgpr_read_b32 v3, a23
	;;#ASMSTART
	v_cvt_f32_f16 v1, v1;
	;;#ASMEND
	;;#ASMSTART
	v_cvt_f32_f16 v0, v0;
	;;#ASMEND
	v_and_b32_e32 v2, 0xffff, v2
	v_and_b32_e32 v3, 0xffff, v3
	;;#ASMSTART
	v_cvt_f32_f16 v2, v2;
	;;#ASMEND
	;;#ASMSTART
	v_cvt_f32_f16 v3, v3;
	;;#ASMEND
	v_fmac_f32_e32 v11, v1, v2
	v_fmac_f32_e32 v32, v0, v3
	ds_read_b64 v[0:1], v7 offset:184
	v_accvgpr_read_b32 v3, a24
	v_and_b32_e32 v3, 0xffff, v3
	v_accvgpr_read_b32 v5, a42
	v_and_b32_e32 v5, 0xffff, v5
	s_waitcnt lgkmcnt(0)
	v_lshrrev_b32_e32 v2, 16, v0
	v_and_b32_e32 v0, 0xffff, v0
	;; [unrolled: 42-line block ×6, first 2 shown]
	;;#ASMSTART
	v_cvt_f32_f16 v0, v0;
	;;#ASMEND
	;;#ASMSTART
	v_cvt_f32_f16 v2, v2;
	;;#ASMEND
	;; [unrolled: 3-line block ×4, first 2 shown]
	v_fmac_f32_e32 v4, v0, v3
	v_fmac_f32_e32 v10, v2, v5
	v_lshrrev_b32_e32 v0, 16, v1
	v_and_b32_e32 v1, 0xffff, v1
	v_accvgpr_read_b32 v2, a57
	v_accvgpr_read_b32 v3, a56
	;;#ASMSTART
	v_cvt_f32_f16 v1, v1;
	;;#ASMEND
	;;#ASMSTART
	v_cvt_f32_f16 v0, v0;
	;;#ASMEND
	v_and_b32_e32 v2, 0xffff, v2
	v_and_b32_e32 v3, 0xffff, v3
	;;#ASMSTART
	v_cvt_f32_f16 v2, v2;
	;;#ASMEND
	;;#ASMSTART
	v_cvt_f32_f16 v3, v3;
	;;#ASMEND
	v_fmac_f32_e32 v11, v1, v2
	v_fmac_f32_e32 v32, v0, v3
	ds_read_b64 v[0:1], v7 offset:224
	v_accvgpr_read_b32 v3, a55
	v_accvgpr_read_b32 v5, a54
	v_and_b32_e32 v3, 0xffff, v3
	v_and_b32_e32 v5, 0xffff, v5
	s_waitcnt lgkmcnt(0)
	v_lshrrev_b32_e32 v2, 16, v0
	v_and_b32_e32 v0, 0xffff, v0
	;;#ASMSTART
	v_cvt_f32_f16 v0, v0;
	;;#ASMEND
	;;#ASMSTART
	v_cvt_f32_f16 v2, v2;
	;;#ASMEND
	;; [unrolled: 3-line block ×4, first 2 shown]
	v_fmac_f32_e32 v10, v2, v5
	v_accvgpr_read_b32 v2, a53
	v_fmac_f32_e32 v4, v0, v3
	v_lshrrev_b32_e32 v0, 16, v1
	v_and_b32_e32 v1, 0xffff, v1
	v_and_b32_e32 v2, 0xffff, v2
	;;#ASMSTART
	v_cvt_f32_f16 v1, v1;
	;;#ASMEND
	;;#ASMSTART
	v_cvt_f32_f16 v0, v0;
	;;#ASMEND
	;; [unrolled: 3-line block ×3, first 2 shown]
	buffer_load_dword v3, off, s[0:3], s32 offset:564 ; 4-byte Folded Reload
	v_fmac_f32_e32 v11, v1, v2
	s_waitcnt vmcnt(0)
	v_and_b32_e32 v3, 0xffff, v3
	;;#ASMSTART
	v_cvt_f32_f16 v3, v3;
	;;#ASMEND
	v_fmac_f32_e32 v32, v0, v3
	ds_read_b64 v[0:1], v7 offset:232
	s_waitcnt lgkmcnt(0)
	v_lshrrev_b32_e32 v2, 16, v0
	v_and_b32_e32 v0, 0xffff, v0
	;;#ASMSTART
	v_cvt_f32_f16 v0, v0;
	;;#ASMEND
	;;#ASMSTART
	v_cvt_f32_f16 v2, v2;
	;;#ASMEND
	buffer_load_dword v3, off, s[0:3], s32 offset:560 ; 4-byte Folded Reload
	s_waitcnt vmcnt(0)
	v_and_b32_e32 v3, 0xffff, v3
	;;#ASMSTART
	v_cvt_f32_f16 v3, v3;
	;;#ASMEND
	buffer_load_dword v5, off, s[0:3], s32 offset:556 ; 4-byte Folded Reload
	v_fmac_f32_e32 v4, v0, v3
	v_lshrrev_b32_e32 v0, 16, v1
	v_and_b32_e32 v1, 0xffff, v1
	s_waitcnt vmcnt(0)
	v_and_b32_e32 v5, 0xffff, v5
	;;#ASMSTART
	v_cvt_f32_f16 v5, v5;
	;;#ASMEND
	v_fmac_f32_e32 v10, v2, v5
	;;#ASMSTART
	v_cvt_f32_f16 v1, v1;
	;;#ASMEND
	;;#ASMSTART
	v_cvt_f32_f16 v0, v0;
	;;#ASMEND
	buffer_load_dword v2, off, s[0:3], s32 offset:552 ; 4-byte Folded Reload
	s_waitcnt vmcnt(0)
	v_and_b32_e32 v2, 0xffff, v2
	;;#ASMSTART
	v_cvt_f32_f16 v2, v2;
	;;#ASMEND
	buffer_load_dword v3, off, s[0:3], s32 offset:548 ; 4-byte Folded Reload
	v_fmac_f32_e32 v11, v1, v2
	s_waitcnt vmcnt(0)
	v_and_b32_e32 v3, 0xffff, v3
	;;#ASMSTART
	v_cvt_f32_f16 v3, v3;
	;;#ASMEND
	v_fmac_f32_e32 v32, v0, v3
	ds_read_b64 v[0:1], v7 offset:240
	s_waitcnt lgkmcnt(0)
	v_lshrrev_b32_e32 v2, 16, v0
	v_and_b32_e32 v0, 0xffff, v0
	;;#ASMSTART
	v_cvt_f32_f16 v0, v0;
	;;#ASMEND
	;;#ASMSTART
	v_cvt_f32_f16 v2, v2;
	;;#ASMEND
	buffer_load_dword v3, off, s[0:3], s32 offset:544 ; 4-byte Folded Reload
	s_waitcnt vmcnt(0)
	v_and_b32_e32 v3, 0xffff, v3
	;;#ASMSTART
	v_cvt_f32_f16 v3, v3;
	;;#ASMEND
	buffer_load_dword v5, off, s[0:3], s32 offset:540 ; 4-byte Folded Reload
	v_fmac_f32_e32 v4, v0, v3
	v_lshrrev_b32_e32 v0, 16, v1
	v_and_b32_e32 v1, 0xffff, v1
	s_waitcnt vmcnt(0)
	v_and_b32_e32 v5, 0xffff, v5
	;;#ASMSTART
	v_cvt_f32_f16 v5, v5;
	;;#ASMEND
	v_fmac_f32_e32 v10, v2, v5
	;;#ASMSTART
	v_cvt_f32_f16 v1, v1;
	;;#ASMEND
	;;#ASMSTART
	v_cvt_f32_f16 v0, v0;
	;;#ASMEND
	buffer_load_dword v2, off, s[0:3], s32 offset:536 ; 4-byte Folded Reload
	v_accvgpr_read_b32 v5, a41
	v_and_b32_e32 v5, 0xffff, v5
	s_waitcnt vmcnt(0)
	v_and_b32_e32 v2, 0xffff, v2
	;;#ASMSTART
	v_cvt_f32_f16 v2, v2;
	;;#ASMEND
	buffer_load_dword v3, off, s[0:3], s32 offset:532 ; 4-byte Folded Reload
	v_fmac_f32_e32 v11, v1, v2
	s_waitcnt vmcnt(0)
	v_and_b32_e32 v3, 0xffff, v3
	;;#ASMSTART
	v_cvt_f32_f16 v3, v3;
	;;#ASMEND
	v_fmac_f32_e32 v32, v0, v3
	ds_read_b64 v[0:1], v7 offset:248
	v_accvgpr_read_b32 v3, a40
	v_and_b32_e32 v3, 0xffff, v3
	s_waitcnt lgkmcnt(0)
	v_lshrrev_b32_e32 v2, 16, v0
	v_and_b32_e32 v0, 0xffff, v0
	;;#ASMSTART
	v_cvt_f32_f16 v0, v0;
	;;#ASMEND
	;;#ASMSTART
	v_cvt_f32_f16 v2, v2;
	;;#ASMEND
	;; [unrolled: 3-line block ×3, first 2 shown]
	v_fmac_f32_e32 v4, v0, v3
	v_lshrrev_b32_e32 v0, 16, v1
	v_and_b32_e32 v1, 0xffff, v1
	;;#ASMSTART
	v_cvt_f32_f16 v5, v5;
	;;#ASMEND
	v_fmac_f32_e32 v10, v2, v5
	;;#ASMSTART
	v_cvt_f32_f16 v1, v1;
	;;#ASMEND
	;;#ASMSTART
	v_cvt_f32_f16 v0, v0;
	;;#ASMEND
	buffer_load_dword v2, off, s[0:3], s32 offset:216 ; 4-byte Folded Reload
	s_waitcnt vmcnt(0)
	v_and_b32_e32 v2, 0xffff, v2
	;;#ASMSTART
	v_cvt_f32_f16 v2, v2;
	;;#ASMEND
	buffer_load_dword v3, off, s[0:3], s32 offset:212 ; 4-byte Folded Reload
	v_fmac_f32_e32 v11, v1, v2
	s_waitcnt vmcnt(0)
	v_and_b32_e32 v3, 0xffff, v3
	;;#ASMSTART
	v_cvt_f32_f16 v3, v3;
	;;#ASMEND
	v_fmac_f32_e32 v32, v0, v3
	buffer_load_dword v3, off, s[0:3], s32 offset:568 ; 4-byte Folded Reload
	v_add_f32_e32 v0, v4, v10
	v_add_f32_e32 v0, v0, v11
	;; [unrolled: 1-line block ×3, first 2 shown]
	s_waitcnt vmcnt(0)
	v_and_b32_e32 v0, 64, v3
	v_xor_b32_e32 v2, 1, v3
	v_add_u32_e32 v0, 64, v0
	v_cmp_lt_i32_e32 vcc, v2, v0
	v_cndmask_b32_e32 v2, v3, v2, vcc
	v_lshlrev_b32_e32 v2, 2, v2
	ds_bpermute_b32 v2, v2, v1
	s_mov_b64 s[30:31], exec
	buffer_load_dword v8, off, s[0:3], s32 offset:528 ; 4-byte Folded Reload
	s_and_b64 vcc, s[30:31], s[8:9]
	s_mov_b64 exec, vcc
	s_cbranch_execz .LBB325_9
; %bb.779:                              ;   in Loop: Header=BB325_10 Depth=1
	buffer_load_dword v5, off, s[0:3], s32 offset:500 ; 4-byte Folded Reload
	buffer_load_dword v3, off, s[0:3], s32 offset:612 ; 4-byte Folded Reload
	s_waitcnt lgkmcnt(0)
	v_add_f32_e32 v1, v1, v2
	buffer_load_dword v2, off, s[0:3], s32 offset:604 ; 4-byte Folded Reload
	s_load_dword vcc_lo, s[26:27], 0x0
	buffer_load_dword v4, off, s[0:3], s32 offset:608 ; 4-byte Folded Reload
	s_waitcnt vmcnt(2)
	v_add_u32_e32 v3, v3, v5
	v_cvt_f32_i32_e32 v3, v3
	s_waitcnt vmcnt(1)
	v_mul_f32_e32 v2, v2, v3
	buffer_load_dword v3, off, s[0:3], s32 offset:504 ; 4-byte Folded Reload
	buffer_load_dword v6, off, s[0:3], s32 offset:196 ; 4-byte Folded Reload
	;; [unrolled: 1-line block ×3, first 2 shown]
	v_cndmask_b32_e64 v2, 0, v2, s[10:11]
	s_waitcnt vmcnt(3)
	v_fmac_f32_e32 v2, v1, v4
	s_waitcnt vmcnt(2) lgkmcnt(0)
	v_add_u32_e32 v3, vcc_lo, v3
	s_waitcnt vmcnt(1)
	v_cmp_lt_i32_e32 vcc, v5, v6
	v_cndmask_b32_e32 v1, 0, v2, vcc
	ds_write_b32 v3, v1
	buffer_load_dword v3, off, s[0:3], s32 offset:572 ; 4-byte Folded Reload
	s_waitcnt vmcnt(0)
	v_max_f32_e32 v1, v3, v3
	v_max_f32_e32 v1, v1, v2
	v_cndmask_b32_e32 v3, v3, v1, vcc
	buffer_store_dword v3, off, s[0:3], s32 offset:572 ; 4-byte Folded Spill
	s_branch .LBB325_9
.LBB325_780:
	s_or_b64 exec, exec, s[28:29]
	buffer_load_dword v20, off, s[0:3], s32 offset:624 ; 4-byte Folded Reload
	buffer_load_dword v11, off, s[0:3], s32 offset:688 ; 4-byte Folded Reload
	;; [unrolled: 1-line block ×10, first 2 shown]
.LBB325_781:
	s_or_b64 exec, exec, s[16:17]
	buffer_load_dword v8, off, s[0:3], s32 offset:568 ; 4-byte Folded Reload
	buffer_load_dword v14, off, s[0:3], s32 offset:572 ; 4-byte Folded Reload
	s_waitcnt vmcnt(11)
	v_and_b32_e32 v33, 63, v20
	s_waitcnt lgkmcnt(0)
	s_lshr_b32 s30, s38, 16
	s_waitcnt vmcnt(1)
	v_xor_b32_e32 v1, 32, v8
	v_cmp_lt_i32_e32 vcc, v1, v0
	v_cndmask_b32_e32 v1, v8, v1, vcc
	v_lshlrev_b32_e32 v2, 2, v1
	s_waitcnt vmcnt(0)
	ds_bpermute_b32 v1, v2, v14
	v_xor_b32_e32 v4, 16, v8
	v_max_f32_e32 v3, v14, v14
	v_cmp_lt_i32_e32 vcc, v4, v0
	v_xor_b32_e32 v5, 8, v8
	s_waitcnt lgkmcnt(0)
	v_max_f32_e32 v1, v1, v1
	v_max_f32_e32 v1, v3, v1
	v_cndmask_b32_e32 v3, v8, v4, vcc
	v_lshlrev_b32_e32 v3, 2, v3
	ds_bpermute_b32 v4, v3, v1
	v_cmp_lt_i32_e32 vcc, v5, v0
	v_xor_b32_e32 v6, 4, v8
	v_xor_b32_e32 v7, 2, v8
	s_waitcnt lgkmcnt(0)
	v_max_f32_e32 v4, v4, v4
	v_max_f32_e32 v1, v1, v4
	v_cndmask_b32_e32 v4, v8, v5, vcc
	v_lshlrev_b32_e32 v4, 2, v4
	ds_bpermute_b32 v5, v4, v1
	v_cmp_lt_i32_e32 vcc, v6, v0
	s_waitcnt lgkmcnt(0)
	v_max_f32_e32 v5, v5, v5
	v_max_f32_e32 v1, v1, v5
	v_cndmask_b32_e32 v5, v8, v6, vcc
	v_lshlrev_b32_e32 v5, 2, v5
	ds_bpermute_b32 v6, v5, v1
	v_cmp_lt_i32_e32 vcc, v7, v0
	s_waitcnt lgkmcnt(0)
	v_max_f32_e32 v6, v6, v6
	v_max_f32_e32 v1, v1, v6
	v_cndmask_b32_e32 v6, v8, v7, vcc
	v_lshlrev_b32_e32 v36, 2, v6
	ds_bpermute_b32 v7, v36, v1
	v_cmp_eq_u32_e32 vcc, 0, v33
	v_lshlrev_b32_e32 v6, 2, v34
	s_and_saveexec_b64 s[8:9], vcc
	s_cbranch_execz .LBB325_783
; %bb.782:
	s_waitcnt lgkmcnt(0)
	v_max_f32_e32 v7, v7, v7
	v_max_f32_e32 v1, v1, v1
	;; [unrolled: 1-line block ×3, first 2 shown]
	ds_write_b32 v6, v1 offset:512
.LBB325_783:
	s_or_b64 exec, exec, s[8:9]
	v_cmp_gt_u32_e64 s[8:9], 2, v33
	v_mov_b32_e32 v1, 0xff7fffff
	s_waitcnt lgkmcnt(0)
	v_lshlrev_b32_e32 v7, 2, v33
	s_barrier
	s_and_saveexec_b64 s[10:11], s[8:9]
	s_cbranch_execz .LBB325_785
; %bb.784:
	ds_read_b32 v1, v7 offset:512
.LBB325_785:
	s_or_b64 exec, exec, s[10:11]
	buffer_load_dword v12, off, s[0:3], s32 offset:568 ; 4-byte Folded Reload
	v_mov_b32_e32 v16, 0
	s_waitcnt vmcnt(0)
	v_xor_b32_e32 v8, 1, v12
	v_cmp_lt_i32_e64 s[10:11], v8, v0
	v_cndmask_b32_e64 v0, v12, v8, s[10:11]
	v_lshlrev_b32_e32 v37, 2, v0
	s_waitcnt lgkmcnt(0)
	ds_bpermute_b32 v0, v37, v1
	buffer_load_dword v8, off, s[0:3], s32 offset:508 ; 4-byte Folded Reload
	v_max_f32_e32 v1, v1, v1
	s_waitcnt lgkmcnt(0)
	v_max_f32_e32 v0, v0, v0
	v_max_f32_e32 v0, v1, v0
	v_lshlrev_b32_e32 v1, 2, v12
	buffer_load_dword v12, off, s[0:3], s32 offset:196 ; 4-byte Folded Reload
	buffer_load_dword v13, off, s[0:3], s32 offset:200 ; 4-byte Folded Reload
	s_waitcnt vmcnt(2)
	v_subrev_u32_e32 v8, s23, v8
	v_lshl_add_u32 v9, v8, 5, s25
	v_and_b32_e32 v8, 0xffffff00, v1
	ds_bpermute_b32 v0, v8, v0
	s_waitcnt vmcnt(1)
	v_min_i32_e32 v9, v9, v12
	v_subrev_u32_e32 v1, s25, v9
	v_cmp_lt_i32_e64 s[10:11], v20, v1
	s_and_saveexec_b64 s[26:27], s[10:11]
	s_cbranch_execz .LBB325_789
; %bb.786:
	s_ashr_i32 s21, s20, 31
	s_lshl_b64 s[16:17], s[20:21], 2
	s_getpc_b64 s[28:29]
	s_add_u32 s28, s28, llvm.amdgcn.dynlds.offset.table@rel32@lo+4
	s_addc_u32 s29, s29, llvm.amdgcn.dynlds.offset.table@rel32@hi+12
	s_add_u32 s16, s16, s28
	s_addc_u32 s17, s17, s29
	s_load_dword s16, s[16:17], 0x0
	s_mov_b64 s[28:29], 0
	v_mov_b32_e32 v16, 0
	v_mov_b32_e32 v12, v20
	s_waitcnt lgkmcnt(0)
	v_lshl_add_u32 v15, v20, 2, s16
.LBB325_787:                            ; =>This Inner Loop Header: Depth=1
	s_waitcnt vmcnt(0)
	ds_read_b32 v13, v15
	v_add_u32_e32 v12, 0x80, v12
	v_cmp_ge_i32_e64 s[16:17], v12, v1
	s_or_b64 s[28:29], s[16:17], s[28:29]
	s_waitcnt lgkmcnt(0)
	v_sub_f32_e32 v13, v13, v0
	v_mul_f32_e32 v13, 0x3fb8aa3b, v13
	v_exp_f32_e32 v13, v13
	ds_write_b32 v15, v13
	v_add_f32_e32 v16, v16, v13
	v_add_u32_e32 v15, 0x200, v15
	s_andn2_b64 exec, exec, s[28:29]
	s_cbranch_execnz .LBB325_787
; %bb.788:
	s_or_b64 exec, exec, s[28:29]
.LBB325_789:
	s_or_b64 exec, exec, s[26:27]
	ds_bpermute_b32 v2, v2, v16
	s_waitcnt lgkmcnt(0)
	v_add_f32_e32 v2, v16, v2
	ds_bpermute_b32 v3, v3, v2
	s_waitcnt lgkmcnt(0)
	v_add_f32_e32 v2, v2, v3
	;; [unrolled: 3-line block ×6, first 2 shown]
	s_and_saveexec_b64 s[16:17], vcc
	s_cbranch_execz .LBB325_791
; %bb.790:
	ds_write_b32 v6, v2 offset:520
.LBB325_791:
	s_or_b64 exec, exec, s[16:17]
	s_waitcnt lgkmcnt(0)
	s_barrier
	s_and_saveexec_b64 s[16:17], s[8:9]
	s_cbranch_execz .LBB325_793
; %bb.792:
	ds_read_b32 v2, v7 offset:520
.LBB325_793:
	s_or_b64 exec, exec, s[16:17]
	s_waitcnt lgkmcnt(0)
	ds_bpermute_b32 v3, v37, v2
	s_waitcnt lgkmcnt(0)
	v_add_f32_e32 v2, v2, v3
	ds_bpermute_b32 v2, v8, v2
	s_and_saveexec_b64 s[8:9], s[10:11]
	s_cbranch_execz .LBB325_806
; %bb.794:
	s_waitcnt lgkmcnt(0)
	v_add_f32_e32 v3, 0x358637bd, v2
	v_div_scale_f32 v4, s[10:11], v3, v3, 1.0
	v_rcp_f32_e32 v5, v4
	v_div_scale_f32 v6, vcc, 1.0, v3, 1.0
	s_movk_i32 s10, 0x7f
	v_fma_f32 v7, -v4, v5, 1.0
	v_fmac_f32_e32 v5, v7, v5
	v_mul_f32_e32 v7, v6, v5
	v_fma_f32 v8, -v4, v7, v6
	v_fmac_f32_e32 v7, v8, v5
	v_fma_f32 v4, -v4, v7, v6
	v_div_fmas_f32 v4, v4, v5, v7
	v_div_fixup_f32 v8, v4, v3, 1.0
	v_xad_u32 v3, v20, -1, v9
	v_subrev_u32_e32 v4, s25, v3
	v_cmp_lt_u32_e32 vcc, s10, v4
	s_mov_b64 s[16:17], -1
	v_mov_b32_e32 v3, v20
	s_and_saveexec_b64 s[10:11], vcc
	s_cbranch_execz .LBB325_803
; %bb.795:
	v_lshrrev_b32_e32 v3, 7, v4
	v_add_u32_e32 v5, -1, v3
	v_lshrrev_b32_e32 v4, 1, v5
	v_mov_b32_e32 v9, v8
	v_add_u32_e32 v4, 1, v4
	v_cmp_lt_u32_e32 vcc, 13, v5
	v_mov_b32_e32 v7, 0
	s_and_saveexec_b64 s[16:17], vcc
	s_cbranch_execz .LBB325_799
; %bb.796:
	s_ashr_i32 s21, s20, 31
	s_lshl_b64 s[26:27], s[20:21], 2
	s_getpc_b64 s[28:29]
	s_add_u32 s28, s28, llvm.amdgcn.dynlds.offset.table@rel32@lo+4
	s_addc_u32 s29, s29, llvm.amdgcn.dynlds.offset.table@rel32@hi+12
	s_add_u32 s26, s26, s28
	s_addc_u32 s27, s27, s29
	s_load_dword s23, s[26:27], 0x0
	v_and_b32_e32 v5, -8, v4
	s_mov_b32 s21, 0
	s_mov_b64 s[26:27], 0
	s_waitcnt lgkmcnt(0)
	v_lshl_add_u32 v6, v20, 2, s23
.LBB325_797:                            ; =>This Inner Loop Header: Depth=1
	ds_read2st64_b32 v[22:23], v6 offset1:2
	s_waitcnt vmcnt(0)
	ds_read2st64_b32 v[12:13], v6 offset0:4 offset1:6
	ds_read2st64_b32 v[18:19], v6 offset0:8 offset1:10
	;; [unrolled: 1-line block ×3, first 2 shown]
	v_add_u32_e32 v5, -8, v5
	s_waitcnt lgkmcnt(3)
	v_pk_mul_f32 v[22:23], v[8:9], v[22:23]
	s_waitcnt lgkmcnt(2)
	v_pk_mul_f32 v[12:13], v[8:9], v[12:13]
	ds_write2st64_b32 v6, v22, v23 offset1:2
	ds_write2st64_b32 v6, v12, v13 offset0:4 offset1:6
	ds_read2st64_b32 v[12:13], v6 offset0:16 offset1:18
	s_waitcnt lgkmcnt(4)
	v_pk_mul_f32 v[18:19], v[8:9], v[18:19]
	s_waitcnt lgkmcnt(3)
	v_pk_mul_f32 v[16:17], v[8:9], v[16:17]
	ds_write2st64_b32 v6, v18, v19 offset0:8 offset1:10
	ds_write2st64_b32 v6, v16, v17 offset0:12 offset1:14
	s_waitcnt lgkmcnt(2)
	v_pk_mul_f32 v[12:13], v[8:9], v[12:13]
	ds_read2st64_b32 v[18:19], v6 offset0:20 offset1:22
	ds_read2st64_b32 v[16:17], v6 offset0:24 offset1:26
	ds_write2st64_b32 v6, v12, v13 offset0:16 offset1:18
	ds_read2st64_b32 v[12:13], v6 offset0:28 offset1:30
	s_add_i32 s21, s21, 16
	s_waitcnt lgkmcnt(3)
	v_pk_mul_f32 v[18:19], v[8:9], v[18:19]
	s_waitcnt lgkmcnt(2)
	v_pk_mul_f32 v[16:17], v[8:9], v[16:17]
	v_cmp_eq_u32_e32 vcc, 0, v5
	s_waitcnt lgkmcnt(0)
	v_pk_mul_f32 v[12:13], v[8:9], v[12:13]
	ds_write2st64_b32 v6, v18, v19 offset0:20 offset1:22
	ds_write2st64_b32 v6, v16, v17 offset0:24 offset1:26
	;; [unrolled: 1-line block ×3, first 2 shown]
	v_add_u32_e32 v6, 0x2000, v6
	s_or_b64 s[26:27], vcc, s[26:27]
	v_mov_b32_e32 v7, s21
	s_andn2_b64 exec, exec, s[26:27]
	s_cbranch_execnz .LBB325_797
; %bb.798:
	s_or_b64 exec, exec, s[26:27]
.LBB325_799:
	s_or_b64 exec, exec, s[16:17]
	v_and_b32_e32 v4, 7, v4
	v_cmp_ne_u32_e32 vcc, 0, v4
	s_and_saveexec_b64 s[16:17], vcc
	s_cbranch_execz .LBB325_802
; %bb.800:
	s_ashr_i32 s21, s20, 31
	s_lshl_b64 s[26:27], s[20:21], 2
	s_getpc_b64 s[28:29]
	s_add_u32 s28, s28, llvm.amdgcn.dynlds.offset.table@rel32@lo+4
	s_addc_u32 s29, s29, llvm.amdgcn.dynlds.offset.table@rel32@hi+12
	s_add_u32 s26, s26, s28
	s_addc_u32 s27, s27, s29
	s_load_dword s21, s[26:27], 0x0
	v_lshlrev_b32_e32 v5, 9, v7
	v_lshlrev_b32_e32 v6, 2, v20
	s_mov_b64 s[26:27], 0
	s_waitcnt lgkmcnt(0)
	v_add3_u32 v5, v5, v6, s21
.LBB325_801:                            ; =>This Inner Loop Header: Depth=1
	ds_read2st64_b32 v[6:7], v5 offset1:2
	v_add_u32_e32 v4, -1, v4
	v_cmp_eq_u32_e32 vcc, 0, v4
	s_or_b64 s[26:27], vcc, s[26:27]
	s_waitcnt lgkmcnt(0)
	v_pk_mul_f32 v[6:7], v[8:9], v[6:7]
	ds_write2st64_b32 v5, v6, v7 offset1:2
	v_add_u32_e32 v5, 0x400, v5
	s_andn2_b64 exec, exec, s[26:27]
	s_cbranch_execnz .LBB325_801
.LBB325_802:
	s_or_b64 exec, exec, s[16:17]
	v_add_u32_e32 v4, 1, v3
	v_and_b32_e32 v5, 0x3fffffe, v4
	v_cmp_ne_u32_e32 vcc, v4, v5
	v_lshl_add_u32 v3, v5, 7, v20
	s_orn2_b64 s[16:17], vcc, exec
.LBB325_803:
	s_or_b64 exec, exec, s[10:11]
	s_and_b64 exec, exec, s[16:17]
	s_cbranch_execz .LBB325_806
; %bb.804:
	s_ashr_i32 s21, s20, 31
	s_lshl_b64 s[10:11], s[20:21], 2
	s_getpc_b64 s[16:17]
	s_add_u32 s16, s16, llvm.amdgcn.dynlds.offset.table@rel32@lo+4
	s_addc_u32 s17, s17, llvm.amdgcn.dynlds.offset.table@rel32@hi+12
	s_add_u32 s10, s10, s16
	s_addc_u32 s11, s11, s17
	s_load_dword s10, s[10:11], 0x0
	s_waitcnt lgkmcnt(0)
	v_lshl_add_u32 v4, v3, 2, s10
	s_mov_b64 s[10:11], 0
.LBB325_805:                            ; =>This Inner Loop Header: Depth=1
	ds_read_b32 v5, v4
	v_add_u32_e32 v3, 0x80, v3
	v_cmp_ge_i32_e32 vcc, v3, v1
	s_or_b64 s[10:11], vcc, s[10:11]
	s_waitcnt lgkmcnt(0)
	v_mul_f32_e32 v5, v8, v5
	ds_write_b32 v4, v5
	v_add_u32_e32 v4, 0x200, v4
	s_andn2_b64 exec, exec, s[10:11]
	s_cbranch_execnz .LBB325_805
.LBB325_806:
	s_or_b64 exec, exec, s[8:9]
	v_cmp_ne_u16_e64 s[8:9], s30, 0
	s_cmp_lg_u64 s[8:9], 0
	s_addc_u32 s23, s13, 0
	s_mul_i32 s8, s23, s24
	v_cmp_eq_u32_e32 vcc, 0, v20
	s_mul_i32 s8, s8, s15
	s_waitcnt lgkmcnt(0)
	s_barrier
	s_and_saveexec_b64 s[10:11], vcc
	s_cbranch_execz .LBB325_808
; %bb.807:
	s_mul_i32 s12, s23, s12
	s_ashr_i32 s9, s8, 31
	s_ashr_i32 s13, s12, 31
	;; [unrolled: 1-line block ×3, first 2 shown]
	s_lshl_b64 s[16:17], s[8:9], 2
	s_lshl_b64 s[12:13], s[12:13], 2
	;; [unrolled: 1-line block ×3, first 2 shown]
	s_add_u32 s9, s26, s12
	s_addc_u32 s12, s27, s13
	s_add_u32 s9, s9, s16
	s_addc_u32 s12, s12, s17
	v_mov_b32_e32 v1, s12
	v_add_co_u32_e32 v4, vcc, s9, v27
	v_addc_co_u32_e32 v5, vcc, v1, v26, vcc
	flat_store_dword v[4:5], v0
	v_add_co_u32_e32 v0, vcc, s9, v25
	v_addc_co_u32_e32 v1, vcc, v1, v24, vcc
	flat_store_dword v[0:1], v2
.LBB325_808:
	s_or_b64 exec, exec, s[10:11]
	v_mov_b32_e32 v30, 0
	v_and_b32_e32 v38, 3, v20
	v_mov_b32_e32 v31, 0
	v_mov_b32_e32 v28, 0
	;; [unrolled: 1-line block ×8, first 2 shown]
	s_waitcnt vmcnt(0)
	v_mov_b32_e32 v13, 0
	v_mov_b32_e32 v8, 0
	v_mov_b32_e32 v9, 0
	v_mov_b32_e32 v2, 0
	v_mov_b32_e32 v3, 0
	v_mov_b32_e32 v0, 0
	v_mov_b32_e32 v1, 0
	s_and_saveexec_b64 s[10:11], s[6:7]
	s_cbranch_execz .LBB325_1612
; %bb.809:
	buffer_load_dword v0, off, s[0:3], s32 offset:652 ; 4-byte Folded Reload
	s_ashr_i32 s21, s20, 31
	s_lshl_b64 s[6:7], s[20:21], 2
	s_getpc_b64 s[12:13]
	s_add_u32 s12, s12, llvm.amdgcn.dynlds.offset.table@rel32@lo+4
	s_addc_u32 s13, s13, llvm.amdgcn.dynlds.offset.table@rel32@hi+12
	s_add_u32 s6, s6, s12
	s_addc_u32 s7, s7, s13
	s_load_dword s6, s[6:7], 0x0
	v_and_b32_e32 v2, 24, v32
	s_mov_b32 s12, -1
	v_accvgpr_write_b32 a13, v37
	v_accvgpr_write_b32 a12, v36
	;; [unrolled: 1-line block ×3, first 2 shown]
	s_mov_b32 s13, 0xffffff
	v_accvgpr_write_b32 a7, v38
	s_mov_b64 s[16:17], 0
	s_movk_i32 s9, 0x80
	s_movk_i32 s15, 0x7f
	s_mov_b32 s21, 0x8000
	s_movk_i32 s30, 0x380
	s_mov_b32 s31, 0x3020706
	s_mov_b32 s34, 0x1000504
	;; [unrolled: 1-line block ×3, first 2 shown]
	v_mov_b32_e32 v41, 0x2000
	v_mov_b32_e32 v9, 0
	;; [unrolled: 1-line block ×13, first 2 shown]
	s_waitcnt vmcnt(0)
	v_add_co_u32_e32 v4, vcc, v10, v0
	buffer_load_dword v0, off, s[0:3], s32 offset:648 ; 4-byte Folded Reload
	s_waitcnt vmcnt(0)
	v_addc_co_u32_e32 v5, vcc, v11, v0, vcc
	v_add_u32_e32 v0, -1, v35
	v_accvgpr_write_b32 a15, v5
	v_accvgpr_write_b32 a16, v0
	v_and_b32_e32 v0, 0x1f8, v32
	v_accvgpr_write_b32 a14, v4
	v_or_b32_e32 v4, 0x1000, v0
	v_accvgpr_write_b32 a24, v4
	v_or_b32_e32 v4, 0x1200, v0
	;; [unrolled: 2-line block ×8, first 2 shown]
	v_accvgpr_write_b32 a40, v0
	buffer_load_dword v0, off, s[0:3], s32 offset:196 ; 4-byte Folded Reload
	buffer_load_dword v1, off, s[0:3], s32 offset:200 ; 4-byte Folded Reload
	v_accvgpr_write_b32 a36, v4
	v_mov_b32_e32 v35, 0
	s_waitcnt vmcnt(0)
	v_mov_b32_e32 v17, v0
	buffer_load_dword v0, off, s[0:3], s32 offset:204 ; 4-byte Folded Reload
	buffer_load_dword v1, off, s[0:3], s32 offset:208 ; 4-byte Folded Reload
	;; [unrolled: 1-line block ×5, first 2 shown]
	s_waitcnt vmcnt(0)
	v_lshlrev_b64 v[0:1], 2, v[0:1]
	v_add_co_u32_e32 v0, vcc, v4, v0
	v_addc_co_u32_e32 v1, vcc, v5, v1, vcc
	v_add_co_u32_e32 v14, vcc, v3, v0
	buffer_load_dword v0, off, s[0:3], s32 offset:616 ; 4-byte Folded Reload
	v_mov_b32_e32 v3, 0
	s_waitcnt vmcnt(0)
	v_addc_co_u32_e32 v15, vcc, v0, v1, vcc
	buffer_load_dword v0, off, s[0:3], s32 offset:636 ; 4-byte Folded Reload
	v_mov_b32_e32 v1, 0
	s_waitcnt vmcnt(0)
	v_add3_u32 v7, s25, v0, v2
	v_lshlrev_b32_e32 v0, 5, v38
	v_lshl_or_b32 v0, v34, 7, v0
	s_waitcnt lgkmcnt(0)
	v_add_u32_e32 v23, s6, v0
	v_mov_b32_e32 v0, 0
	v_mov_b32_e32 v2, 0
	s_branch .LBB325_811
.LBB325_810:                            ;   in Loop: Header=BB325_811 Depth=1
	s_or_b64 exec, exec, s[6:7]
	v_add_f32_e32 v10, v10, v11
	v_add_f32_e32 v3, v3, v10
	;; [unrolled: 1-line block ×12, first 2 shown]
	v_accvgpr_read_b32 v6, a41
	v_accvgpr_read_b32 v10, a42
	v_add_f32_e32 v6, v6, v10
	v_add_f32_e32 v21, v21, v6
	v_accvgpr_read_b32 v6, a37
	v_accvgpr_read_b32 v10, a39
	v_add_f32_e32 v6, v6, v10
	v_add_f32_e32 v20, v20, v6
	;; [unrolled: 4-line block ×7, first 2 shown]
	v_accvgpr_read_b32 v6, a19
	v_accvgpr_read_b32 v10, a20
	v_add_f32_e32 v6, v6, v10
	;;#ASMSTART
	v_pk_mul_f16 v5, v5, v44;

	;;#ASMEND
	;;#ASMSTART
	v_pk_mul_f16 v4, v4, v34;

	;;#ASMEND
	v_add_f32_e32 v30, v30, v6
	;;#ASMSTART
	v_pk_mul_f16 v6, v49, v19;

	;;#ASMEND
	;;#ASMSTART
	v_pk_mul_f16 v10, v39, v18;

	;;#ASMEND
	;;#ASMSTART
	v_pk_add_f16 v4, v5, v4;

	;;#ASMEND
	;;#ASMSTART
	v_pk_add_f16 v4, v4, v6;
	;; [unrolled: 4-line block ×3, first 2 shown]

	;;#ASMEND
	v_lshrrev_b32_e32 v5, 16, v4
	v_and_b32_e32 v4, 0xffff, v4
	;;#ASMSTART
	v_cvt_f32_f16 v4, v4;
	;;#ASMEND
	;;#ASMSTART
	v_cvt_f32_f16 v5, v5;
	;;#ASMEND
	v_add_f32_e32 v4, v4, v5
	v_add_f32_e32 v1, v1, v4
	buffer_load_dword v4, off, s[0:3], s32 offset:204 ; 4-byte Folded Reload
	buffer_load_dword v5, off, s[0:3], s32 offset:208 ; 4-byte Folded Reload
	v_add_co_u32_e32 v14, vcc, 8, v14
	v_addc_co_u32_e32 v15, vcc, 0, v15, vcc
	v_add_f32_e32 v16, v16, v58
	v_add_f32_e32 v0, v0, v16
	v_add_u32_e32 v7, 64, v7
	v_add_u32_e32 v23, 0x100, v23
	s_waitcnt vmcnt(1)
	v_mov_b32_e32 v6, v4
	v_add_u32_e32 v6, 2, v6
	v_mov_b32_e32 v4, v6
	s_waitcnt vmcnt(0)
	buffer_store_dword v4, off, s[0:3], s32 offset:204 ; 4-byte Folded Spill
	s_nop 0
	buffer_store_dword v5, off, s[0:3], s32 offset:208 ; 4-byte Folded Spill
	buffer_load_dword v4, off, s[0:3], s32 offset:508 ; 4-byte Folded Reload
	s_waitcnt vmcnt(0)
	v_cmp_ge_i32_e32 vcc, v6, v4
	s_or_b64 s[16:17], vcc, s[16:17]
	s_andn2_b64 exec, exec, s[16:17]
	s_cbranch_execz .LBB325_1611
.LBB325_811:                            ; =>This Inner Loop Header: Depth=1
	flat_load_dword v16, v[14:15]
	ds_read2_b64 v[36:39], v23 offset1:1
	ds_read2_b64 v[48:51], v23 offset0:2 offset1:3
	v_accvgpr_read_b32 v33, a15
	v_accvgpr_read_b32 v32, a14
	s_waitcnt lgkmcnt(0)
	;;#ASMSTART
	v_cvt_f16_f32 v4, v36;

	;;#ASMEND
	;;#ASMSTART
	v_cvt_f16_f32 v5, v37;

	;;#ASMEND
	;; [unrolled: 4-line block ×8, first 2 shown]
	buffer_load_dword v18, off, s[0:3], s32 offset:512 ; 4-byte Folded Reload
	buffer_load_dword v19, off, s[0:3], s32 offset:516 ; 4-byte Folded Reload
	v_mov_b32_e32 v56, 0
	s_waitcnt vmcnt(0)
	v_mad_i64_i32 v[18:19], s[6:7], v16, v18, v[32:33]
	v_accvgpr_read_b32 v16, a18
	v_add_co_u32_e32 v44, vcc, v18, v16
	v_addc_co_u32_e32 v45, vcc, 0, v19, vcc
	flat_load_dwordx2 v[58:59], v[44:45]
	buffer_load_dword v32, off, s[0:3], s32 offset:188 ; 4-byte Folded Reload
	buffer_load_dword v33, off, s[0:3], s32 offset:192 ; 4-byte Folded Reload
	s_waitcnt vmcnt(0) lgkmcnt(0)
	v_cmp_ne_u16_sdwa s[24:25], v58, v35 src0_sel:BYTE_0 src1_sel:DWORD
	flat_load_dword v46, v[32:33]
	s_and_saveexec_b64 s[6:7], s[24:25]
	s_cbranch_execz .LBB325_817
; %bb.812:                              ;   in Loop: Header=BB325_811 Depth=1
	v_cmp_ne_u16_sdwa s[26:27], v58, s9 src0_sel:BYTE_0 src1_sel:DWORD
	v_bfrev_b32_e32 v56, 1
	s_and_saveexec_b64 s[24:25], s[26:27]
	s_cbranch_execz .LBB325_816
; %bb.813:                              ;   in Loop: Header=BB325_811 Depth=1
	v_and_b32_e32 v16, 0x7f, v58
	v_cmp_ne_u32_e32 vcc, s15, v16
	v_mov_b32_e32 v56, 0x7fc02000
	s_and_saveexec_b64 s[26:27], vcc
	s_cbranch_execz .LBB325_815
; %bb.814:                              ;   in Loop: Header=BB325_811 Depth=1
	v_and_b32_e32 v32, 7, v58
	v_ffbh_u32_e32 v32, v32
	v_min_u32_e32 v32, 32, v32
	v_subrev_u32_e32 v33, 28, v32
	v_cmp_gt_u32_e32 vcc, 8, v16
	v_lshrrev_b32_e32 v34, 3, v16
	v_sub_u32_e32 v36, 29, v32
	v_cndmask_b32_e32 v16, 0, v33, vcc
	v_lshlrev_b64 v[32:33], v16, v[58:59]
	v_cndmask_b32_e32 v16, v34, v36, vcc
	v_lshlrev_b32_e32 v33, 8, v58
	v_lshl_add_u32 v16, v16, 10, v41
	v_lshlrev_b32_e32 v32, 7, v32
	v_and_or_b32 v16, v33, s21, v16
	v_and_or_b32 v16, v32, s30, v16
	v_cvt_f32_f16_e32 v56, v16
.LBB325_815:                            ;   in Loop: Header=BB325_811 Depth=1
	s_or_b64 exec, exec, s[26:27]
.LBB325_816:                            ;   in Loop: Header=BB325_811 Depth=1
	s_or_b64 exec, exec, s[24:25]
.LBB325_817:                            ;   in Loop: Header=BB325_811 Depth=1
	s_or_b64 exec, exec, s[6:7]
	v_lshrrev_b16_e32 v34, 8, v58
	v_cmp_ne_u16_e32 vcc, 0, v34
	v_mov_b32_e32 v57, 0
	v_mov_b32_e32 v60, 0
	s_and_saveexec_b64 s[6:7], vcc
	s_cbranch_execz .LBB325_823
; %bb.818:                              ;   in Loop: Header=BB325_811 Depth=1
	v_cmp_ne_u16_e32 vcc, s9, v34
	v_bfrev_b32_e32 v60, 1
	s_and_saveexec_b64 s[24:25], vcc
	s_cbranch_execz .LBB325_822
; %bb.819:                              ;   in Loop: Header=BB325_811 Depth=1
	v_and_b32_e32 v16, 0x7f, v34
	v_cmp_ne_u32_e32 vcc, s15, v16
	v_mov_b32_e32 v60, 0x7fc02000
	s_and_saveexec_b64 s[26:27], vcc
	s_cbranch_execz .LBB325_821
; %bb.820:                              ;   in Loop: Header=BB325_811 Depth=1
	v_and_b32_e32 v36, 7, v34
	v_ffbh_u32_e32 v32, v36
	v_min_u32_e32 v38, 32, v32
	v_subrev_u32_e32 v32, 28, v38
	v_lshlrev_b64 v[32:33], v32, v[34:35]
	v_lshrrev_b32_e32 v37, 3, v16
	v_sub_u32_e32 v33, 29, v38
	v_cmp_gt_u32_e32 vcc, 8, v16
	v_cndmask_b32_e32 v16, v37, v33, vcc
	v_and_b32_e32 v32, 7, v32
	v_lshlrev_b32_e32 v33, 8, v34
	v_lshl_add_u32 v16, v16, 10, v41
	v_cndmask_b32_e32 v32, v36, v32, vcc
	v_and_or_b32 v16, v33, s21, v16
	v_lshl_or_b32 v16, v32, 7, v16
	v_cvt_f32_f16_e32 v60, v16
.LBB325_821:                            ;   in Loop: Header=BB325_811 Depth=1
	s_or_b64 exec, exec, s[26:27]
.LBB325_822:                            ;   in Loop: Header=BB325_811 Depth=1
	s_or_b64 exec, exec, s[24:25]
.LBB325_823:                            ;   in Loop: Header=BB325_811 Depth=1
	s_or_b64 exec, exec, s[6:7]
	v_lshrrev_b32_e32 v34, 16, v58
	v_cmp_ne_u16_sdwa s[24:25], v34, v35 src0_sel:BYTE_0 src1_sel:DWORD
	s_and_saveexec_b64 s[6:7], s[24:25]
	s_cbranch_execz .LBB325_829
; %bb.824:                              ;   in Loop: Header=BB325_811 Depth=1
	v_cmp_ne_u16_sdwa s[26:27], v34, s9 src0_sel:BYTE_0 src1_sel:DWORD
	v_bfrev_b32_e32 v57, 1
	s_and_saveexec_b64 s[24:25], s[26:27]
	s_cbranch_execz .LBB325_828
; %bb.825:                              ;   in Loop: Header=BB325_811 Depth=1
	v_bfe_u32 v16, v58, 16, 7
	v_cmp_ne_u32_e32 vcc, s15, v16
	v_mov_b32_e32 v57, 0x7fc02000
	s_and_saveexec_b64 s[26:27], vcc
	s_cbranch_execz .LBB325_827
; %bb.826:                              ;   in Loop: Header=BB325_811 Depth=1
	v_and_b32_e32 v36, 7, v34
	v_ffbh_u32_e32 v32, v36
	v_min_u32_e32 v38, 32, v32
	v_subrev_u32_e32 v32, 28, v38
	v_lshlrev_b64 v[32:33], v32, v[34:35]
	v_lshrrev_b32_e32 v37, 3, v16
	v_sub_u32_e32 v33, 29, v38
	v_cmp_gt_u32_e32 vcc, 8, v16
	v_cndmask_b32_e32 v16, v37, v33, vcc
	v_and_b32_e32 v32, 7, v32
	v_lshlrev_b32_e32 v33, 8, v34
	v_lshl_add_u32 v16, v16, 10, v41
	v_cndmask_b32_e32 v32, v36, v32, vcc
	v_and_or_b32 v16, v33, s21, v16
	v_lshl_or_b32 v16, v32, 7, v16
	v_cvt_f32_f16_e32 v57, v16
.LBB325_827:                            ;   in Loop: Header=BB325_811 Depth=1
	s_or_b64 exec, exec, s[26:27]
.LBB325_828:                            ;   in Loop: Header=BB325_811 Depth=1
	s_or_b64 exec, exec, s[24:25]
.LBB325_829:                            ;   in Loop: Header=BB325_811 Depth=1
	s_or_b64 exec, exec, s[6:7]
	v_cmp_lt_u32_e32 vcc, s13, v58
	v_mov_b32_e32 v16, 0
	v_mov_b32_e32 v61, 0
	s_and_saveexec_b64 s[6:7], vcc
	s_cbranch_execz .LBB325_835
; %bb.830:                              ;   in Loop: Header=BB325_811 Depth=1
	v_lshrrev_b32_e32 v34, 24, v58
	v_cmp_ne_u32_e32 vcc, s9, v34
	v_bfrev_b32_e32 v61, 1
	s_and_saveexec_b64 s[24:25], vcc
	s_cbranch_execz .LBB325_834
; %bb.831:                              ;   in Loop: Header=BB325_811 Depth=1
	v_and_b32_e32 v32, 0x7f, v34
	v_cmp_ne_u32_e32 vcc, s15, v32
	v_mov_b32_e32 v61, 0x7fc02000
	s_and_saveexec_b64 s[26:27], vcc
	s_cbranch_execz .LBB325_833
; %bb.832:                              ;   in Loop: Header=BB325_811 Depth=1
	v_and_b32_e32 v33, 7, v34
	v_ffbh_u32_e32 v36, v33
	v_min_u32_e32 v39, 32, v36
	v_subrev_u32_e32 v36, 28, v39
	v_lshlrev_b64 v[36:37], v36, v[34:35]
	v_lshrrev_b32_e32 v38, 3, v32
	v_sub_u32_e32 v37, 29, v39
	v_cmp_gt_u32_e32 vcc, 8, v32
	v_cndmask_b32_e32 v32, v38, v37, vcc
	v_and_b32_e32 v36, 7, v36
	v_lshlrev_b32_e32 v34, 8, v34
	v_lshl_add_u32 v32, v32, 10, v41
	v_cndmask_b32_e32 v33, v33, v36, vcc
	v_and_or_b32 v32, v34, s21, v32
	v_lshl_or_b32 v32, v33, 7, v32
	v_cvt_f32_f16_e32 v61, v32
.LBB325_833:                            ;   in Loop: Header=BB325_811 Depth=1
	s_or_b64 exec, exec, s[26:27]
.LBB325_834:                            ;   in Loop: Header=BB325_811 Depth=1
	s_or_b64 exec, exec, s[24:25]
.LBB325_835:                            ;   in Loop: Header=BB325_811 Depth=1
	s_or_b64 exec, exec, s[6:7]
	v_mov_b32_e32 v34, v59
	v_cmp_ne_u16_sdwa s[24:25], v59, v35 src0_sel:BYTE_0 src1_sel:DWORD
	s_and_saveexec_b64 s[6:7], s[24:25]
	s_cbranch_execz .LBB325_841
; %bb.836:                              ;   in Loop: Header=BB325_811 Depth=1
	v_cmp_ne_u16_sdwa s[26:27], v59, s9 src0_sel:BYTE_0 src1_sel:DWORD
	v_bfrev_b32_e32 v16, 1
	s_and_saveexec_b64 s[24:25], s[26:27]
	s_cbranch_execz .LBB325_840
; %bb.837:                              ;   in Loop: Header=BB325_811 Depth=1
	v_and_b32_e32 v32, 0x7f, v59
	v_cmp_ne_u32_e32 vcc, s15, v32
	v_mov_b32_e32 v16, 0x7fc02000
	s_and_saveexec_b64 s[26:27], vcc
	s_cbranch_execz .LBB325_839
; %bb.838:                              ;   in Loop: Header=BB325_811 Depth=1
	v_and_b32_e32 v16, 7, v59
	v_ffbh_u32_e32 v16, v16
	v_min_u32_e32 v16, 32, v16
	v_subrev_u32_e32 v33, 28, v16
	v_cmp_gt_u32_e32 vcc, 8, v32
	v_lshrrev_b32_e32 v36, 3, v32
	v_sub_u32_e32 v16, 29, v16
	v_cndmask_b32_e32 v32, 0, v33, vcc
	v_lshlrev_b64 v[32:33], v32, v[34:35]
	v_cndmask_b32_e32 v16, v36, v16, vcc
	v_lshlrev_b32_e32 v33, 8, v59
	v_lshl_add_u32 v16, v16, 10, v41
	v_lshlrev_b32_e32 v32, 7, v32
	v_and_or_b32 v16, v33, s21, v16
	v_and_or_b32 v16, v32, s30, v16
	v_cvt_f32_f16_e32 v16, v16
.LBB325_839:                            ;   in Loop: Header=BB325_811 Depth=1
	s_or_b64 exec, exec, s[26:27]
.LBB325_840:                            ;   in Loop: Header=BB325_811 Depth=1
	s_or_b64 exec, exec, s[24:25]
.LBB325_841:                            ;   in Loop: Header=BB325_811 Depth=1
	s_or_b64 exec, exec, s[6:7]
	v_lshrrev_b16_e32 v34, 8, v34
	v_cmp_ne_u16_e32 vcc, 0, v34
	v_mov_b32_e32 v32, 0
	v_mov_b32_e32 v33, 0
	s_and_saveexec_b64 s[6:7], vcc
	s_cbranch_execz .LBB325_847
; %bb.842:                              ;   in Loop: Header=BB325_811 Depth=1
	v_cmp_ne_u16_e32 vcc, s9, v34
	v_bfrev_b32_e32 v33, 1
	s_and_saveexec_b64 s[24:25], vcc
	s_cbranch_execz .LBB325_846
; %bb.843:                              ;   in Loop: Header=BB325_811 Depth=1
	v_and_b32_e32 v36, 0x7f, v34
	v_cmp_ne_u32_e32 vcc, s15, v36
	v_mov_b32_e32 v33, 0x7fc02000
	s_and_saveexec_b64 s[26:27], vcc
	s_cbranch_execz .LBB325_845
; %bb.844:                              ;   in Loop: Header=BB325_811 Depth=1
	v_and_b32_e32 v33, 7, v34
	v_ffbh_u32_e32 v38, v33
	v_min_u32_e32 v48, 32, v38
	v_subrev_u32_e32 v38, 28, v48
	v_lshlrev_b64 v[38:39], v38, v[34:35]
	v_lshrrev_b32_e32 v37, 3, v36
	v_sub_u32_e32 v39, 29, v48
	v_cmp_gt_u32_e32 vcc, 8, v36
	v_cndmask_b32_e32 v36, v37, v39, vcc
	v_and_b32_e32 v38, 7, v38
	v_lshlrev_b32_e32 v34, 8, v34
	v_lshl_add_u32 v36, v36, 10, v41
	v_cndmask_b32_e32 v33, v33, v38, vcc
	v_and_or_b32 v34, v34, s21, v36
	v_lshl_or_b32 v33, v33, 7, v34
	v_cvt_f32_f16_e32 v33, v33
.LBB325_845:                            ;   in Loop: Header=BB325_811 Depth=1
	s_or_b64 exec, exec, s[26:27]
.LBB325_846:                            ;   in Loop: Header=BB325_811 Depth=1
	s_or_b64 exec, exec, s[24:25]
.LBB325_847:                            ;   in Loop: Header=BB325_811 Depth=1
	s_or_b64 exec, exec, s[6:7]
	v_lshrrev_b32_e32 v34, 16, v59
	v_cmp_ne_u16_sdwa s[24:25], v34, v35 src0_sel:BYTE_0 src1_sel:DWORD
	s_and_saveexec_b64 s[6:7], s[24:25]
	s_cbranch_execz .LBB325_853
; %bb.848:                              ;   in Loop: Header=BB325_811 Depth=1
	v_cmp_ne_u16_sdwa s[26:27], v34, s9 src0_sel:BYTE_0 src1_sel:DWORD
	v_bfrev_b32_e32 v32, 1
	s_and_saveexec_b64 s[24:25], s[26:27]
	s_cbranch_execz .LBB325_852
; %bb.849:                              ;   in Loop: Header=BB325_811 Depth=1
	v_bfe_u32 v36, v59, 16, 7
	v_cmp_ne_u32_e32 vcc, s15, v36
	v_mov_b32_e32 v32, 0x7fc02000
	s_and_saveexec_b64 s[26:27], vcc
	s_cbranch_execz .LBB325_851
; %bb.850:                              ;   in Loop: Header=BB325_811 Depth=1
	v_and_b32_e32 v32, 7, v34
	v_ffbh_u32_e32 v38, v32
	v_min_u32_e32 v48, 32, v38
	v_subrev_u32_e32 v38, 28, v48
	v_lshlrev_b64 v[38:39], v38, v[34:35]
	v_lshrrev_b32_e32 v37, 3, v36
	v_sub_u32_e32 v39, 29, v48
	v_cmp_gt_u32_e32 vcc, 8, v36
	v_cndmask_b32_e32 v36, v37, v39, vcc
	v_and_b32_e32 v38, 7, v38
	v_lshlrev_b32_e32 v34, 8, v34
	v_lshl_add_u32 v36, v36, 10, v41
	v_cndmask_b32_e32 v32, v32, v38, vcc
	v_and_or_b32 v34, v34, s21, v36
	v_lshl_or_b32 v32, v32, 7, v34
	v_cvt_f32_f16_e32 v32, v32
.LBB325_851:                            ;   in Loop: Header=BB325_811 Depth=1
	s_or_b64 exec, exec, s[26:27]
.LBB325_852:                            ;   in Loop: Header=BB325_811 Depth=1
	s_or_b64 exec, exec, s[24:25]
.LBB325_853:                            ;   in Loop: Header=BB325_811 Depth=1
	s_or_b64 exec, exec, s[6:7]
	v_cmp_lt_u64_e32 vcc, s[12:13], v[58:59]
	v_mov_b32_e32 v36, 0
	s_and_saveexec_b64 s[6:7], vcc
	s_cbranch_execz .LBB325_859
; %bb.854:                              ;   in Loop: Header=BB325_811 Depth=1
	v_lshrrev_b32_e32 v34, 24, v59
	v_cmp_ne_u32_e32 vcc, s9, v34
	v_bfrev_b32_e32 v36, 1
	s_and_saveexec_b64 s[24:25], vcc
	s_cbranch_execz .LBB325_858
; %bb.855:                              ;   in Loop: Header=BB325_811 Depth=1
	v_and_b32_e32 v37, 0x7f, v34
	v_cmp_ne_u32_e32 vcc, s15, v37
	v_mov_b32_e32 v36, 0x7fc02000
	s_and_saveexec_b64 s[26:27], vcc
	s_cbranch_execz .LBB325_857
; %bb.856:                              ;   in Loop: Header=BB325_811 Depth=1
	v_and_b32_e32 v36, 7, v34
	v_ffbh_u32_e32 v38, v36
	v_min_u32_e32 v49, 32, v38
	v_subrev_u32_e32 v38, 28, v49
	v_lshlrev_b64 v[38:39], v38, v[34:35]
	v_lshrrev_b32_e32 v48, 3, v37
	v_sub_u32_e32 v39, 29, v49
	v_cmp_gt_u32_e32 vcc, 8, v37
	v_cndmask_b32_e32 v37, v48, v39, vcc
	v_and_b32_e32 v38, 7, v38
	v_lshlrev_b32_e32 v34, 8, v34
	v_lshl_add_u32 v37, v37, 10, v41
	v_cndmask_b32_e32 v36, v36, v38, vcc
	v_and_or_b32 v34, v34, s21, v37
	v_lshl_or_b32 v34, v36, 7, v34
	v_cvt_f32_f16_e32 v36, v34
.LBB325_857:                            ;   in Loop: Header=BB325_811 Depth=1
	s_or_b64 exec, exec, s[26:27]
.LBB325_858:                            ;   in Loop: Header=BB325_811 Depth=1
	s_or_b64 exec, exec, s[24:25]
.LBB325_859:                            ;   in Loop: Header=BB325_811 Depth=1
	s_or_b64 exec, exec, s[6:7]
	buffer_load_dword v50, off, s[0:3], s32 offset:204 ; 4-byte Folded Reload
	buffer_load_dword v51, off, s[0:3], s32 offset:208 ; 4-byte Folded Reload
	s_waitcnt vmcnt(0) lgkmcnt(0)
	v_pk_mul_f32 v[38:39], v[46:47], v[60:61] op_sel_hi:[0,1]
	v_pk_mul_f32 v[48:49], v[46:47], v[56:57] op_sel_hi:[0,1]
	v_cvt_f16_f32_e32 v34, v39
	v_cvt_f16_f32_e32 v37, v38
	;; [unrolled: 1-line block ×4, first 2 shown]
	v_fma_mixlo_f16 v33, v46, v33, 0
	v_accvgpr_read_b32 v49, a16
	v_pack_b32_f16 v37, v37, v34
	v_pack_b32_f16 v38, v39, v38
	v_fma_mixlo_f16 v39, v46, v32, 0
	v_fma_mixlo_f16 v32, v46, v36, 0
	v_or_b32_e32 v36, 7, v7
	v_lshlrev_b32_e32 v33, 16, v33
	v_fma_mixlo_f16 v16, v46, v16, 0
	v_lshlrev_b32_e32 v32, 16, v32
	v_accvgpr_write_b32 a17, v36
	v_or_b32_e32 v36, 6, v7
	v_perm_b32 v34, v38, v37, s31
	v_perm_b32 v48, v38, v37, s34
	v_or_b32_sdwa v16, v33, v16 dst_sel:DWORD dst_unused:UNUSED_PAD src0_sel:DWORD src1_sel:WORD_0
	v_or_b32_sdwa v32, v32, v39 dst_sel:DWORD dst_unused:UNUSED_PAD src0_sel:DWORD src1_sel:WORD_0
	v_add_u32_e32 v38, 1, v7
	v_or_b32_e32 v62, 3, v7
	v_or_b32_e32 v33, 2, v7
	;; [unrolled: 1-line block ×4, first 2 shown]
	v_accvgpr_write_b32 a11, v36
	v_cmp_eq_u32_e32 vcc, v49, v50
	s_and_saveexec_b64 s[24:25], vcc
	s_cbranch_execz .LBB325_861
; %bb.860:                              ;   in Loop: Header=BB325_811 Depth=1
	buffer_load_dword v50, off, s[0:3], s32 offset:196 ; 4-byte Folded Reload
	buffer_load_dword v51, off, s[0:3], s32 offset:200 ; 4-byte Folded Reload
	v_lshrrev_b32_e32 v36, 16, v48
	v_cmp_lt_i32_e64 s[6:7], v38, v17
	v_cndmask_b32_e64 v36, 0, v36, s[6:7]
	v_lshrrev_b32_e32 v32, 16, v32
	s_waitcnt vmcnt(1)
	v_cmp_lt_i32_e64 s[6:7], v7, v50
	v_cndmask_b32_e64 v37, 0, v48, s[6:7]
	v_perm_b32 v48, v36, v37, s35
	v_lshrrev_b32_e32 v36, 16, v34
	v_cmp_lt_i32_e64 s[6:7], v62, v17
	v_cndmask_b32_e64 v36, 0, v36, s[6:7]
	v_cmp_lt_i32_e64 s[6:7], v33, v50
	v_cndmask_b32_e64 v34, 0, v34, s[6:7]
	v_perm_b32 v34, v36, v34, s35
	v_lshrrev_b32_e32 v36, 16, v16
	v_cmp_lt_i32_e64 s[6:7], v43, v17
	v_cndmask_b32_e64 v36, 0, v36, s[6:7]
	v_cmp_lt_i32_e64 s[6:7], v55, v50
	v_cndmask_b32_e64 v16, 0, v16, s[6:7]
	v_perm_b32 v16, v36, v16, s35
	v_accvgpr_read_b32 v36, a17
	v_cmp_lt_i32_e64 s[6:7], v36, v17
	v_accvgpr_read_b32 v36, a11
	v_cndmask_b32_e64 v32, 0, v32, s[6:7]
	v_cmp_lt_i32_e64 s[6:7], v36, v50
	v_cndmask_b32_e64 v36, 0, v39, s[6:7]
	v_perm_b32 v32, v32, v36, s35
.LBB325_861:                            ;   in Loop: Header=BB325_811 Depth=1
	s_or_b64 exec, exec, s[24:25]
	v_and_b32_e32 v4, 0xffff, v4
	v_lshl_or_b32 v5, v5, 16, v4
	v_and_b32_e32 v4, 0xffff, v6
	v_and_b32_e32 v6, 0xffff, v11
	v_lshl_or_b32 v49, v22, 16, v6
	v_and_b32_e32 v6, 0xffff, v26
	v_lshl_or_b32 v39, v27, 16, v6
	;;#ASMSTART
	v_pk_mul_f16 v6, v5, v48;

	;;#ASMEND
	v_lshl_or_b32 v4, v10, 16, v4
	;;#ASMSTART
	v_pk_mul_f16 v10, v4, v34;

	;;#ASMEND
	;;#ASMSTART
	v_pk_mul_f16 v11, v49, v16;

	;;#ASMEND
	;;#ASMSTART
	v_pk_mul_f16 v16, v39, v32;

	;;#ASMEND
	;;#ASMSTART
	v_pk_add_f16 v6, v6, v10;

	;;#ASMEND
	;;#ASMSTART
	v_pk_add_f16 v6, v6, v11;

	;;#ASMEND
	;; [unrolled: 4-line block ×3, first 2 shown]
	v_lshrrev_b32_e32 v10, 16, v6
	v_and_b32_e32 v6, 0xffff, v6
	;;#ASMSTART
	v_cvt_f32_f16 v6, v6;
	;;#ASMEND
	v_accvgpr_write_b32 a19, v6
	;;#ASMSTART
	v_cvt_f32_f16 v6, v10;
	;;#ASMEND
	flat_load_dwordx2 v[60:61], v[44:45] offset:512
	buffer_load_dword v10, off, s[0:3], s32 offset:188 ; 4-byte Folded Reload
	buffer_load_dword v11, off, s[0:3], s32 offset:192 ; 4-byte Folded Reload
	v_accvgpr_write_b32 a20, v6
	v_mov_b32_e32 v58, 0
	v_mov_b32_e32 v56, 0
	s_waitcnt vmcnt(0) lgkmcnt(0)
	v_cmp_ne_u16_sdwa s[6:7], v60, v35 src0_sel:BYTE_0 src1_sel:DWORD
	flat_load_dword v46, v[10:11]
	s_and_saveexec_b64 s[24:25], s[6:7]
	s_cbranch_execz .LBB325_867
; %bb.862:                              ;   in Loop: Header=BB325_811 Depth=1
	v_cmp_ne_u16_sdwa s[6:7], v60, s9 src0_sel:BYTE_0 src1_sel:DWORD
	v_bfrev_b32_e32 v56, 1
	s_and_saveexec_b64 s[26:27], s[6:7]
	s_cbranch_execz .LBB325_866
; %bb.863:                              ;   in Loop: Header=BB325_811 Depth=1
	v_and_b32_e32 v6, 0x7f, v60
	v_cmp_ne_u32_e64 s[6:7], s15, v6
	v_mov_b32_e32 v56, 0x7fc02000
	s_and_saveexec_b64 s[28:29], s[6:7]
	s_cbranch_execz .LBB325_865
; %bb.864:                              ;   in Loop: Header=BB325_811 Depth=1
	v_and_b32_e32 v10, 7, v60
	v_ffbh_u32_e32 v10, v10
	v_min_u32_e32 v10, 32, v10
	v_subrev_u32_e32 v11, 28, v10
	v_cmp_gt_u32_e64 s[6:7], 8, v6
	v_lshrrev_b32_e32 v16, 3, v6
	v_sub_u32_e32 v22, 29, v10
	v_cndmask_b32_e64 v6, 0, v11, s[6:7]
	v_lshlrev_b64 v[10:11], v6, v[60:61]
	v_cndmask_b32_e64 v6, v16, v22, s[6:7]
	v_lshlrev_b32_e32 v11, 8, v60
	v_lshl_add_u32 v6, v6, 10, v41
	v_lshlrev_b32_e32 v10, 7, v10
	v_and_or_b32 v6, v11, s21, v6
	v_and_or_b32 v6, v10, s30, v6
	v_cvt_f32_f16_e32 v56, v6
.LBB325_865:                            ;   in Loop: Header=BB325_811 Depth=1
	s_or_b64 exec, exec, s[28:29]
.LBB325_866:                            ;   in Loop: Header=BB325_811 Depth=1
	s_or_b64 exec, exec, s[26:27]
.LBB325_867:                            ;   in Loop: Header=BB325_811 Depth=1
	s_or_b64 exec, exec, s[24:25]
	v_lshrrev_b16_e32 v34, 8, v60
	v_cmp_ne_u16_e64 s[6:7], 0, v34
	s_and_saveexec_b64 s[24:25], s[6:7]
	s_cbranch_execz .LBB325_873
; %bb.868:                              ;   in Loop: Header=BB325_811 Depth=1
	v_cmp_ne_u16_e64 s[6:7], s9, v34
	v_bfrev_b32_e32 v58, 1
	s_and_saveexec_b64 s[26:27], s[6:7]
	s_cbranch_execz .LBB325_872
; %bb.869:                              ;   in Loop: Header=BB325_811 Depth=1
	v_and_b32_e32 v6, 0x7f, v34
	v_cmp_ne_u32_e64 s[6:7], s15, v6
	v_mov_b32_e32 v58, 0x7fc02000
	s_and_saveexec_b64 s[28:29], s[6:7]
	s_cbranch_execz .LBB325_871
; %bb.870:                              ;   in Loop: Header=BB325_811 Depth=1
	v_and_b32_e32 v16, 7, v34
	v_ffbh_u32_e32 v10, v16
	v_min_u32_e32 v26, 32, v10
	v_subrev_u32_e32 v10, 28, v26
	v_lshlrev_b64 v[10:11], v10, v[34:35]
	v_lshrrev_b32_e32 v22, 3, v6
	v_sub_u32_e32 v11, 29, v26
	v_cmp_gt_u32_e64 s[6:7], 8, v6
	v_cndmask_b32_e64 v6, v22, v11, s[6:7]
	v_and_b32_e32 v10, 7, v10
	v_lshlrev_b32_e32 v11, 8, v34
	v_lshl_add_u32 v6, v6, 10, v41
	v_cndmask_b32_e64 v10, v16, v10, s[6:7]
	v_and_or_b32 v6, v11, s21, v6
	v_lshl_or_b32 v6, v10, 7, v6
	v_cvt_f32_f16_e32 v58, v6
.LBB325_871:                            ;   in Loop: Header=BB325_811 Depth=1
	s_or_b64 exec, exec, s[28:29]
.LBB325_872:                            ;   in Loop: Header=BB325_811 Depth=1
	s_or_b64 exec, exec, s[26:27]
.LBB325_873:                            ;   in Loop: Header=BB325_811 Depth=1
	s_or_b64 exec, exec, s[24:25]
	v_lshrrev_b32_e32 v34, 16, v60
	v_cmp_ne_u16_sdwa s[6:7], v34, v35 src0_sel:BYTE_0 src1_sel:DWORD
	v_mov_b32_e32 v59, 0
	v_mov_b32_e32 v57, 0
	s_and_saveexec_b64 s[24:25], s[6:7]
	s_cbranch_execz .LBB325_879
; %bb.874:                              ;   in Loop: Header=BB325_811 Depth=1
	v_cmp_ne_u16_sdwa s[6:7], v34, s9 src0_sel:BYTE_0 src1_sel:DWORD
	v_bfrev_b32_e32 v57, 1
	s_and_saveexec_b64 s[26:27], s[6:7]
	s_cbranch_execz .LBB325_878
; %bb.875:                              ;   in Loop: Header=BB325_811 Depth=1
	v_bfe_u32 v6, v60, 16, 7
	v_cmp_ne_u32_e64 s[6:7], s15, v6
	v_mov_b32_e32 v57, 0x7fc02000
	s_and_saveexec_b64 s[28:29], s[6:7]
	s_cbranch_execz .LBB325_877
; %bb.876:                              ;   in Loop: Header=BB325_811 Depth=1
	v_and_b32_e32 v16, 7, v34
	v_ffbh_u32_e32 v10, v16
	v_min_u32_e32 v26, 32, v10
	v_subrev_u32_e32 v10, 28, v26
	v_lshlrev_b64 v[10:11], v10, v[34:35]
	v_lshrrev_b32_e32 v22, 3, v6
	v_sub_u32_e32 v11, 29, v26
	v_cmp_gt_u32_e64 s[6:7], 8, v6
	v_cndmask_b32_e64 v6, v22, v11, s[6:7]
	v_and_b32_e32 v10, 7, v10
	v_lshlrev_b32_e32 v11, 8, v34
	v_lshl_add_u32 v6, v6, 10, v41
	v_cndmask_b32_e64 v10, v16, v10, s[6:7]
	v_and_or_b32 v6, v11, s21, v6
	v_lshl_or_b32 v6, v10, 7, v6
	v_cvt_f32_f16_e32 v57, v6
.LBB325_877:                            ;   in Loop: Header=BB325_811 Depth=1
	s_or_b64 exec, exec, s[28:29]
.LBB325_878:                            ;   in Loop: Header=BB325_811 Depth=1
	s_or_b64 exec, exec, s[26:27]
.LBB325_879:                            ;   in Loop: Header=BB325_811 Depth=1
	s_or_b64 exec, exec, s[24:25]
	v_cmp_lt_u32_e64 s[6:7], s13, v60
	s_and_saveexec_b64 s[24:25], s[6:7]
	s_cbranch_execz .LBB325_885
; %bb.880:                              ;   in Loop: Header=BB325_811 Depth=1
	v_lshrrev_b32_e32 v34, 24, v60
	v_cmp_ne_u32_e64 s[6:7], s9, v34
	v_bfrev_b32_e32 v59, 1
	s_and_saveexec_b64 s[26:27], s[6:7]
	s_cbranch_execz .LBB325_884
; %bb.881:                              ;   in Loop: Header=BB325_811 Depth=1
	v_and_b32_e32 v6, 0x7f, v34
	v_cmp_ne_u32_e64 s[6:7], s15, v6
	v_mov_b32_e32 v59, 0x7fc02000
	s_and_saveexec_b64 s[28:29], s[6:7]
	s_cbranch_execz .LBB325_883
; %bb.882:                              ;   in Loop: Header=BB325_811 Depth=1
	v_and_b32_e32 v16, 7, v34
	v_ffbh_u32_e32 v10, v16
	v_min_u32_e32 v26, 32, v10
	v_subrev_u32_e32 v10, 28, v26
	v_lshlrev_b64 v[10:11], v10, v[34:35]
	v_lshrrev_b32_e32 v22, 3, v6
	v_sub_u32_e32 v11, 29, v26
	v_cmp_gt_u32_e64 s[6:7], 8, v6
	v_cndmask_b32_e64 v6, v22, v11, s[6:7]
	v_and_b32_e32 v10, 7, v10
	v_lshlrev_b32_e32 v11, 8, v34
	v_lshl_add_u32 v6, v6, 10, v41
	v_cndmask_b32_e64 v10, v16, v10, s[6:7]
	v_and_or_b32 v6, v11, s21, v6
	v_lshl_or_b32 v6, v10, 7, v6
	v_cvt_f32_f16_e32 v59, v6
.LBB325_883:                            ;   in Loop: Header=BB325_811 Depth=1
	s_or_b64 exec, exec, s[28:29]
.LBB325_884:                            ;   in Loop: Header=BB325_811 Depth=1
	s_or_b64 exec, exec, s[26:27]
.LBB325_885:                            ;   in Loop: Header=BB325_811 Depth=1
	s_or_b64 exec, exec, s[24:25]
	v_mov_b32_e32 v34, v61
	v_cmp_ne_u16_sdwa s[6:7], v61, v35 src0_sel:BYTE_0 src1_sel:DWORD
	v_mov_b32_e32 v10, 0
	v_mov_b32_e32 v6, 0
	s_and_saveexec_b64 s[24:25], s[6:7]
	s_cbranch_execz .LBB325_891
; %bb.886:                              ;   in Loop: Header=BB325_811 Depth=1
	v_cmp_ne_u16_sdwa s[6:7], v61, s9 src0_sel:BYTE_0 src1_sel:DWORD
	v_bfrev_b32_e32 v6, 1
	s_and_saveexec_b64 s[26:27], s[6:7]
	s_cbranch_execz .LBB325_890
; %bb.887:                              ;   in Loop: Header=BB325_811 Depth=1
	v_and_b32_e32 v11, 0x7f, v61
	v_cmp_ne_u32_e64 s[6:7], s15, v11
	v_mov_b32_e32 v6, 0x7fc02000
	s_and_saveexec_b64 s[28:29], s[6:7]
	s_cbranch_execz .LBB325_889
; %bb.888:                              ;   in Loop: Header=BB325_811 Depth=1
	v_and_b32_e32 v6, 7, v61
	v_ffbh_u32_e32 v6, v6
	v_min_u32_e32 v6, 32, v6
	v_lshrrev_b32_e32 v16, 3, v11
	v_subrev_u32_e32 v22, 28, v6
	v_sub_u32_e32 v6, 29, v6
	v_cmp_gt_u32_e64 s[6:7], 8, v11
	v_cndmask_b32_e64 v11, 0, v22, s[6:7]
	v_cndmask_b32_e64 v6, v16, v6, s[6:7]
	v_lshlrev_b64 v[26:27], v11, v[34:35]
	v_lshlrev_b32_e32 v16, 8, v61
	v_lshl_add_u32 v6, v6, 10, v41
	v_lshlrev_b32_e32 v11, 7, v26
	v_and_or_b32 v6, v16, s21, v6
	v_and_or_b32 v6, v11, s30, v6
	v_cvt_f32_f16_e32 v6, v6
.LBB325_889:                            ;   in Loop: Header=BB325_811 Depth=1
	s_or_b64 exec, exec, s[28:29]
.LBB325_890:                            ;   in Loop: Header=BB325_811 Depth=1
	s_or_b64 exec, exec, s[26:27]
.LBB325_891:                            ;   in Loop: Header=BB325_811 Depth=1
	s_or_b64 exec, exec, s[24:25]
	v_lshrrev_b16_e32 v34, 8, v34
	v_cmp_ne_u16_e64 s[6:7], 0, v34
	s_and_saveexec_b64 s[24:25], s[6:7]
	s_cbranch_execz .LBB325_897
; %bb.892:                              ;   in Loop: Header=BB325_811 Depth=1
	v_cmp_ne_u16_e64 s[6:7], s9, v34
	v_bfrev_b32_e32 v10, 1
	s_and_saveexec_b64 s[26:27], s[6:7]
	s_cbranch_execz .LBB325_896
; %bb.893:                              ;   in Loop: Header=BB325_811 Depth=1
	v_and_b32_e32 v11, 0x7f, v34
	v_cmp_ne_u32_e64 s[6:7], s15, v11
	v_mov_b32_e32 v10, 0x7fc02000
	s_and_saveexec_b64 s[28:29], s[6:7]
	s_cbranch_execz .LBB325_895
; %bb.894:                              ;   in Loop: Header=BB325_811 Depth=1
	v_and_b32_e32 v10, 7, v34
	v_ffbh_u32_e32 v22, v10
	v_min_u32_e32 v22, 32, v22
	v_lshrrev_b32_e32 v16, 3, v11
	v_subrev_u32_e32 v26, 28, v22
	v_sub_u32_e32 v22, 29, v22
	v_cmp_gt_u32_e64 s[6:7], 8, v11
	v_lshlrev_b64 v[26:27], v26, v[34:35]
	v_cndmask_b32_e64 v11, v16, v22, s[6:7]
	v_and_b32_e32 v26, 7, v26
	v_lshlrev_b32_e32 v16, 8, v34
	v_lshl_add_u32 v11, v11, 10, v41
	v_cndmask_b32_e64 v10, v10, v26, s[6:7]
	v_and_or_b32 v11, v16, s21, v11
	v_lshl_or_b32 v10, v10, 7, v11
	v_cvt_f32_f16_e32 v10, v10
.LBB325_895:                            ;   in Loop: Header=BB325_811 Depth=1
	s_or_b64 exec, exec, s[28:29]
.LBB325_896:                            ;   in Loop: Header=BB325_811 Depth=1
	s_or_b64 exec, exec, s[26:27]
.LBB325_897:                            ;   in Loop: Header=BB325_811 Depth=1
	s_or_b64 exec, exec, s[24:25]
	v_lshrrev_b32_e32 v34, 16, v61
	v_cmp_ne_u16_sdwa s[6:7], v34, v35 src0_sel:BYTE_0 src1_sel:DWORD
	v_mov_b32_e32 v11, 0
	v_mov_b32_e32 v16, 0
	s_and_saveexec_b64 s[24:25], s[6:7]
	s_cbranch_execz .LBB325_903
; %bb.898:                              ;   in Loop: Header=BB325_811 Depth=1
	v_cmp_ne_u16_sdwa s[6:7], v34, s9 src0_sel:BYTE_0 src1_sel:DWORD
	v_bfrev_b32_e32 v16, 1
	s_and_saveexec_b64 s[26:27], s[6:7]
	s_cbranch_execz .LBB325_902
; %bb.899:                              ;   in Loop: Header=BB325_811 Depth=1
	v_bfe_u32 v22, v61, 16, 7
	v_cmp_ne_u32_e64 s[6:7], s15, v22
	v_mov_b32_e32 v16, 0x7fc02000
	s_and_saveexec_b64 s[28:29], s[6:7]
	s_cbranch_execz .LBB325_901
; %bb.900:                              ;   in Loop: Header=BB325_811 Depth=1
	v_and_b32_e32 v16, 7, v34
	v_ffbh_u32_e32 v26, v16
	v_min_u32_e32 v36, 32, v26
	v_subrev_u32_e32 v26, 28, v36
	v_lshlrev_b64 v[26:27], v26, v[34:35]
	v_lshrrev_b32_e32 v32, 3, v22
	v_sub_u32_e32 v27, 29, v36
	v_cmp_gt_u32_e64 s[6:7], 8, v22
	v_and_b32_e32 v26, 7, v26
	v_cndmask_b32_e64 v22, v32, v27, s[6:7]
	v_cndmask_b32_e64 v16, v16, v26, s[6:7]
	v_lshlrev_b32_e32 v26, 8, v34
	v_lshl_add_u32 v22, v22, 10, v41
	v_and_or_b32 v22, v26, s21, v22
	v_lshl_or_b32 v16, v16, 7, v22
	v_cvt_f32_f16_e32 v16, v16
.LBB325_901:                            ;   in Loop: Header=BB325_811 Depth=1
	s_or_b64 exec, exec, s[28:29]
.LBB325_902:                            ;   in Loop: Header=BB325_811 Depth=1
	s_or_b64 exec, exec, s[26:27]
.LBB325_903:                            ;   in Loop: Header=BB325_811 Depth=1
	s_or_b64 exec, exec, s[24:25]
	v_cmp_lt_u64_e64 s[6:7], s[12:13], v[60:61]
	s_and_saveexec_b64 s[24:25], s[6:7]
	s_cbranch_execz .LBB325_909
; %bb.904:                              ;   in Loop: Header=BB325_811 Depth=1
	v_lshrrev_b32_e32 v34, 24, v61
	v_cmp_ne_u32_e64 s[6:7], s9, v34
	v_bfrev_b32_e32 v11, 1
	s_and_saveexec_b64 s[26:27], s[6:7]
	s_cbranch_execz .LBB325_908
; %bb.905:                              ;   in Loop: Header=BB325_811 Depth=1
	v_and_b32_e32 v22, 0x7f, v34
	v_cmp_ne_u32_e64 s[6:7], s15, v22
	v_mov_b32_e32 v11, 0x7fc02000
	s_and_saveexec_b64 s[28:29], s[6:7]
	s_cbranch_execz .LBB325_907
; %bb.906:                              ;   in Loop: Header=BB325_811 Depth=1
	v_and_b32_e32 v11, 7, v34
	v_ffbh_u32_e32 v26, v11
	v_min_u32_e32 v36, 32, v26
	v_subrev_u32_e32 v26, 28, v36
	v_lshlrev_b64 v[26:27], v26, v[34:35]
	v_lshrrev_b32_e32 v32, 3, v22
	v_sub_u32_e32 v27, 29, v36
	v_cmp_gt_u32_e64 s[6:7], 8, v22
	v_and_b32_e32 v26, 7, v26
	v_cndmask_b32_e64 v22, v32, v27, s[6:7]
	v_cndmask_b32_e64 v11, v11, v26, s[6:7]
	v_lshlrev_b32_e32 v26, 8, v34
	v_lshl_add_u32 v22, v22, 10, v41
	v_and_or_b32 v22, v26, s21, v22
	v_lshl_or_b32 v11, v11, 7, v22
	v_cvt_f32_f16_e32 v11, v11
.LBB325_907:                            ;   in Loop: Header=BB325_811 Depth=1
	s_or_b64 exec, exec, s[28:29]
.LBB325_908:                            ;   in Loop: Header=BB325_811 Depth=1
	s_or_b64 exec, exec, s[26:27]
.LBB325_909:                            ;   in Loop: Header=BB325_811 Depth=1
	s_or_b64 exec, exec, s[24:25]
	s_waitcnt vmcnt(0) lgkmcnt(0)
	v_pk_mul_f32 v[26:27], v[46:47], v[58:59] op_sel_hi:[0,1]
	v_pk_mul_f32 v[50:51], v[46:47], v[56:57] op_sel_hi:[0,1]
	v_cvt_f16_f32_e32 v22, v27
	v_cvt_f16_f32_e32 v26, v26
	;; [unrolled: 1-line block ×4, first 2 shown]
	v_fma_mixlo_f16 v10, v46, v10, 0
	v_lshlrev_b32_e32 v10, 16, v10
	v_fma_mixlo_f16 v6, v46, v6, 0
	v_or_b32_sdwa v6, v10, v6 dst_sel:DWORD dst_unused:UNUSED_PAD src0_sel:DWORD src1_sel:WORD_0
	v_fma_mixlo_f16 v10, v46, v11, 0
	v_pack_b32_f16 v26, v26, v22
	v_pack_b32_f16 v27, v32, v27
	v_fma_mixlo_f16 v16, v46, v16, 0
	v_lshlrev_b32_e32 v10, 16, v10
	v_perm_b32 v22, v27, v26, s31
	v_perm_b32 v26, v27, v26, s34
	v_or_b32_sdwa v10, v10, v16 dst_sel:DWORD dst_unused:UNUSED_PAD src0_sel:DWORD src1_sel:WORD_0
	s_and_saveexec_b64 s[24:25], vcc
	s_cbranch_execz .LBB325_911
; %bb.910:                              ;   in Loop: Header=BB325_811 Depth=1
	buffer_load_dword v36, off, s[0:3], s32 offset:196 ; 4-byte Folded Reload
	buffer_load_dword v37, off, s[0:3], s32 offset:200 ; 4-byte Folded Reload
	v_lshrrev_b32_e32 v11, 16, v26
	v_cmp_lt_i32_e64 s[6:7], v38, v17
	v_cndmask_b32_e64 v11, 0, v11, s[6:7]
	v_lshrrev_b32_e32 v10, 16, v10
	s_waitcnt vmcnt(1)
	v_mov_b32_e32 v32, v36
	v_cmp_lt_i32_e64 s[6:7], v7, v32
	v_cndmask_b32_e64 v26, 0, v26, s[6:7]
	v_perm_b32 v26, v11, v26, s35
	v_lshrrev_b32_e32 v11, 16, v22
	v_cmp_lt_i32_e64 s[6:7], v62, v17
	v_cndmask_b32_e64 v11, 0, v11, s[6:7]
	v_cmp_lt_i32_e64 s[6:7], v33, v32
	v_cndmask_b32_e64 v22, 0, v22, s[6:7]
	v_perm_b32 v22, v11, v22, s35
	v_lshrrev_b32_e32 v11, 16, v6
	v_cmp_lt_i32_e64 s[6:7], v43, v17
	v_cndmask_b32_e64 v11, 0, v11, s[6:7]
	v_cmp_lt_i32_e64 s[6:7], v55, v32
	v_cndmask_b32_e64 v6, 0, v6, s[6:7]
	v_perm_b32 v6, v11, v6, s35
	v_accvgpr_read_b32 v11, a17
	v_cmp_lt_i32_e64 s[6:7], v11, v17
	v_accvgpr_read_b32 v11, a11
	v_cndmask_b32_e64 v10, 0, v10, s[6:7]
	v_cmp_lt_i32_e64 s[6:7], v11, v32
	v_cndmask_b32_e64 v11, 0, v16, s[6:7]
	v_perm_b32 v10, v10, v11, s35
.LBB325_911:                            ;   in Loop: Header=BB325_811 Depth=1
	s_or_b64 exec, exec, s[24:25]
	;;#ASMSTART
	v_pk_mul_f16 v11, v5, v26;

	;;#ASMEND
	;;#ASMSTART
	v_pk_mul_f16 v16, v4, v22;

	;;#ASMEND
	;; [unrolled: 4-line block ×4, first 2 shown]
	;;#ASMSTART
	v_pk_add_f16 v11, v11, v16;

	;;#ASMEND
	;;#ASMSTART
	v_pk_add_f16 v6, v11, v6;

	;;#ASMEND
	;; [unrolled: 4-line block ×3, first 2 shown]
	v_lshrrev_b32_e32 v10, 16, v6
	v_and_b32_e32 v6, 0xffff, v6
	;;#ASMSTART
	v_cvt_f32_f16 v6, v6;
	;;#ASMEND
	v_accvgpr_write_b32 a21, v6
	;;#ASMSTART
	v_cvt_f32_f16 v6, v10;
	;;#ASMEND
	flat_load_dwordx2 v[60:61], v[44:45] offset:1024
	buffer_load_dword v10, off, s[0:3], s32 offset:188 ; 4-byte Folded Reload
	buffer_load_dword v11, off, s[0:3], s32 offset:192 ; 4-byte Folded Reload
	v_accvgpr_write_b32 a22, v6
	v_mov_b32_e32 v58, 0
	v_mov_b32_e32 v56, 0
	s_waitcnt vmcnt(0) lgkmcnt(0)
	v_cmp_ne_u16_sdwa s[6:7], v60, v35 src0_sel:BYTE_0 src1_sel:DWORD
	flat_load_dword v46, v[10:11]
	s_and_saveexec_b64 s[24:25], s[6:7]
	s_cbranch_execz .LBB325_917
; %bb.912:                              ;   in Loop: Header=BB325_811 Depth=1
	v_cmp_ne_u16_sdwa s[6:7], v60, s9 src0_sel:BYTE_0 src1_sel:DWORD
	v_bfrev_b32_e32 v56, 1
	s_and_saveexec_b64 s[26:27], s[6:7]
	s_cbranch_execz .LBB325_916
; %bb.913:                              ;   in Loop: Header=BB325_811 Depth=1
	v_and_b32_e32 v6, 0x7f, v60
	v_cmp_ne_u32_e64 s[6:7], s15, v6
	v_mov_b32_e32 v56, 0x7fc02000
	s_and_saveexec_b64 s[28:29], s[6:7]
	s_cbranch_execz .LBB325_915
; %bb.914:                              ;   in Loop: Header=BB325_811 Depth=1
	v_and_b32_e32 v10, 7, v60
	v_ffbh_u32_e32 v10, v10
	v_min_u32_e32 v10, 32, v10
	v_subrev_u32_e32 v11, 28, v10
	v_cmp_gt_u32_e64 s[6:7], 8, v6
	v_lshrrev_b32_e32 v16, 3, v6
	v_sub_u32_e32 v22, 29, v10
	v_cndmask_b32_e64 v6, 0, v11, s[6:7]
	v_lshlrev_b64 v[10:11], v6, v[60:61]
	v_cndmask_b32_e64 v6, v16, v22, s[6:7]
	v_lshlrev_b32_e32 v11, 8, v60
	v_lshl_add_u32 v6, v6, 10, v41
	v_lshlrev_b32_e32 v10, 7, v10
	v_and_or_b32 v6, v11, s21, v6
	v_and_or_b32 v6, v10, s30, v6
	v_cvt_f32_f16_e32 v56, v6
.LBB325_915:                            ;   in Loop: Header=BB325_811 Depth=1
	s_or_b64 exec, exec, s[28:29]
.LBB325_916:                            ;   in Loop: Header=BB325_811 Depth=1
	s_or_b64 exec, exec, s[26:27]
.LBB325_917:                            ;   in Loop: Header=BB325_811 Depth=1
	s_or_b64 exec, exec, s[24:25]
	v_lshrrev_b16_e32 v34, 8, v60
	v_cmp_ne_u16_e64 s[6:7], 0, v34
	s_and_saveexec_b64 s[24:25], s[6:7]
	s_cbranch_execz .LBB325_923
; %bb.918:                              ;   in Loop: Header=BB325_811 Depth=1
	v_cmp_ne_u16_e64 s[6:7], s9, v34
	v_bfrev_b32_e32 v58, 1
	s_and_saveexec_b64 s[26:27], s[6:7]
	s_cbranch_execz .LBB325_922
; %bb.919:                              ;   in Loop: Header=BB325_811 Depth=1
	v_and_b32_e32 v6, 0x7f, v34
	v_cmp_ne_u32_e64 s[6:7], s15, v6
	v_mov_b32_e32 v58, 0x7fc02000
	s_and_saveexec_b64 s[28:29], s[6:7]
	s_cbranch_execz .LBB325_921
; %bb.920:                              ;   in Loop: Header=BB325_811 Depth=1
	v_and_b32_e32 v16, 7, v34
	v_ffbh_u32_e32 v10, v16
	v_min_u32_e32 v26, 32, v10
	v_subrev_u32_e32 v10, 28, v26
	v_lshlrev_b64 v[10:11], v10, v[34:35]
	v_lshrrev_b32_e32 v22, 3, v6
	v_sub_u32_e32 v11, 29, v26
	v_cmp_gt_u32_e64 s[6:7], 8, v6
	v_cndmask_b32_e64 v6, v22, v11, s[6:7]
	v_and_b32_e32 v10, 7, v10
	v_lshlrev_b32_e32 v11, 8, v34
	v_lshl_add_u32 v6, v6, 10, v41
	v_cndmask_b32_e64 v10, v16, v10, s[6:7]
	v_and_or_b32 v6, v11, s21, v6
	v_lshl_or_b32 v6, v10, 7, v6
	v_cvt_f32_f16_e32 v58, v6
.LBB325_921:                            ;   in Loop: Header=BB325_811 Depth=1
	s_or_b64 exec, exec, s[28:29]
.LBB325_922:                            ;   in Loop: Header=BB325_811 Depth=1
	s_or_b64 exec, exec, s[26:27]
.LBB325_923:                            ;   in Loop: Header=BB325_811 Depth=1
	s_or_b64 exec, exec, s[24:25]
	v_lshrrev_b32_e32 v34, 16, v60
	v_cmp_ne_u16_sdwa s[6:7], v34, v35 src0_sel:BYTE_0 src1_sel:DWORD
	v_mov_b32_e32 v59, 0
	v_mov_b32_e32 v57, 0
	s_and_saveexec_b64 s[24:25], s[6:7]
	s_cbranch_execz .LBB325_929
; %bb.924:                              ;   in Loop: Header=BB325_811 Depth=1
	v_cmp_ne_u16_sdwa s[6:7], v34, s9 src0_sel:BYTE_0 src1_sel:DWORD
	v_bfrev_b32_e32 v57, 1
	s_and_saveexec_b64 s[26:27], s[6:7]
	s_cbranch_execz .LBB325_928
; %bb.925:                              ;   in Loop: Header=BB325_811 Depth=1
	v_bfe_u32 v6, v60, 16, 7
	v_cmp_ne_u32_e64 s[6:7], s15, v6
	v_mov_b32_e32 v57, 0x7fc02000
	s_and_saveexec_b64 s[28:29], s[6:7]
	s_cbranch_execz .LBB325_927
; %bb.926:                              ;   in Loop: Header=BB325_811 Depth=1
	v_and_b32_e32 v16, 7, v34
	v_ffbh_u32_e32 v10, v16
	v_min_u32_e32 v26, 32, v10
	v_subrev_u32_e32 v10, 28, v26
	v_lshlrev_b64 v[10:11], v10, v[34:35]
	v_lshrrev_b32_e32 v22, 3, v6
	v_sub_u32_e32 v11, 29, v26
	v_cmp_gt_u32_e64 s[6:7], 8, v6
	v_cndmask_b32_e64 v6, v22, v11, s[6:7]
	v_and_b32_e32 v10, 7, v10
	v_lshlrev_b32_e32 v11, 8, v34
	v_lshl_add_u32 v6, v6, 10, v41
	v_cndmask_b32_e64 v10, v16, v10, s[6:7]
	v_and_or_b32 v6, v11, s21, v6
	v_lshl_or_b32 v6, v10, 7, v6
	v_cvt_f32_f16_e32 v57, v6
.LBB325_927:                            ;   in Loop: Header=BB325_811 Depth=1
	s_or_b64 exec, exec, s[28:29]
.LBB325_928:                            ;   in Loop: Header=BB325_811 Depth=1
	s_or_b64 exec, exec, s[26:27]
.LBB325_929:                            ;   in Loop: Header=BB325_811 Depth=1
	s_or_b64 exec, exec, s[24:25]
	v_cmp_lt_u32_e64 s[6:7], s13, v60
	s_and_saveexec_b64 s[24:25], s[6:7]
	s_cbranch_execz .LBB325_935
; %bb.930:                              ;   in Loop: Header=BB325_811 Depth=1
	v_lshrrev_b32_e32 v34, 24, v60
	v_cmp_ne_u32_e64 s[6:7], s9, v34
	v_bfrev_b32_e32 v59, 1
	s_and_saveexec_b64 s[26:27], s[6:7]
	s_cbranch_execz .LBB325_934
; %bb.931:                              ;   in Loop: Header=BB325_811 Depth=1
	v_and_b32_e32 v6, 0x7f, v34
	v_cmp_ne_u32_e64 s[6:7], s15, v6
	v_mov_b32_e32 v59, 0x7fc02000
	s_and_saveexec_b64 s[28:29], s[6:7]
	s_cbranch_execz .LBB325_933
; %bb.932:                              ;   in Loop: Header=BB325_811 Depth=1
	v_and_b32_e32 v16, 7, v34
	v_ffbh_u32_e32 v10, v16
	v_min_u32_e32 v26, 32, v10
	v_subrev_u32_e32 v10, 28, v26
	v_lshlrev_b64 v[10:11], v10, v[34:35]
	v_lshrrev_b32_e32 v22, 3, v6
	v_sub_u32_e32 v11, 29, v26
	v_cmp_gt_u32_e64 s[6:7], 8, v6
	v_cndmask_b32_e64 v6, v22, v11, s[6:7]
	v_and_b32_e32 v10, 7, v10
	v_lshlrev_b32_e32 v11, 8, v34
	v_lshl_add_u32 v6, v6, 10, v41
	v_cndmask_b32_e64 v10, v16, v10, s[6:7]
	v_and_or_b32 v6, v11, s21, v6
	v_lshl_or_b32 v6, v10, 7, v6
	v_cvt_f32_f16_e32 v59, v6
.LBB325_933:                            ;   in Loop: Header=BB325_811 Depth=1
	s_or_b64 exec, exec, s[28:29]
.LBB325_934:                            ;   in Loop: Header=BB325_811 Depth=1
	s_or_b64 exec, exec, s[26:27]
.LBB325_935:                            ;   in Loop: Header=BB325_811 Depth=1
	s_or_b64 exec, exec, s[24:25]
	v_mov_b32_e32 v34, v61
	v_cmp_ne_u16_sdwa s[6:7], v61, v35 src0_sel:BYTE_0 src1_sel:DWORD
	v_mov_b32_e32 v10, 0
	v_mov_b32_e32 v6, 0
	s_and_saveexec_b64 s[24:25], s[6:7]
	s_cbranch_execz .LBB325_941
; %bb.936:                              ;   in Loop: Header=BB325_811 Depth=1
	v_cmp_ne_u16_sdwa s[6:7], v61, s9 src0_sel:BYTE_0 src1_sel:DWORD
	v_bfrev_b32_e32 v6, 1
	s_and_saveexec_b64 s[26:27], s[6:7]
	s_cbranch_execz .LBB325_940
; %bb.937:                              ;   in Loop: Header=BB325_811 Depth=1
	v_and_b32_e32 v11, 0x7f, v61
	v_cmp_ne_u32_e64 s[6:7], s15, v11
	v_mov_b32_e32 v6, 0x7fc02000
	s_and_saveexec_b64 s[28:29], s[6:7]
	s_cbranch_execz .LBB325_939
; %bb.938:                              ;   in Loop: Header=BB325_811 Depth=1
	v_and_b32_e32 v6, 7, v61
	v_ffbh_u32_e32 v6, v6
	v_min_u32_e32 v6, 32, v6
	v_lshrrev_b32_e32 v16, 3, v11
	v_subrev_u32_e32 v22, 28, v6
	v_sub_u32_e32 v6, 29, v6
	v_cmp_gt_u32_e64 s[6:7], 8, v11
	v_cndmask_b32_e64 v11, 0, v22, s[6:7]
	v_cndmask_b32_e64 v6, v16, v6, s[6:7]
	v_lshlrev_b64 v[26:27], v11, v[34:35]
	v_lshlrev_b32_e32 v16, 8, v61
	v_lshl_add_u32 v6, v6, 10, v41
	v_lshlrev_b32_e32 v11, 7, v26
	v_and_or_b32 v6, v16, s21, v6
	v_and_or_b32 v6, v11, s30, v6
	v_cvt_f32_f16_e32 v6, v6
.LBB325_939:                            ;   in Loop: Header=BB325_811 Depth=1
	s_or_b64 exec, exec, s[28:29]
.LBB325_940:                            ;   in Loop: Header=BB325_811 Depth=1
	s_or_b64 exec, exec, s[26:27]
.LBB325_941:                            ;   in Loop: Header=BB325_811 Depth=1
	s_or_b64 exec, exec, s[24:25]
	v_lshrrev_b16_e32 v34, 8, v34
	v_cmp_ne_u16_e64 s[6:7], 0, v34
	s_and_saveexec_b64 s[24:25], s[6:7]
	s_cbranch_execz .LBB325_947
; %bb.942:                              ;   in Loop: Header=BB325_811 Depth=1
	v_cmp_ne_u16_e64 s[6:7], s9, v34
	v_bfrev_b32_e32 v10, 1
	s_and_saveexec_b64 s[26:27], s[6:7]
	s_cbranch_execz .LBB325_946
; %bb.943:                              ;   in Loop: Header=BB325_811 Depth=1
	v_and_b32_e32 v11, 0x7f, v34
	v_cmp_ne_u32_e64 s[6:7], s15, v11
	v_mov_b32_e32 v10, 0x7fc02000
	s_and_saveexec_b64 s[28:29], s[6:7]
	s_cbranch_execz .LBB325_945
; %bb.944:                              ;   in Loop: Header=BB325_811 Depth=1
	v_and_b32_e32 v10, 7, v34
	v_ffbh_u32_e32 v22, v10
	v_min_u32_e32 v22, 32, v22
	v_lshrrev_b32_e32 v16, 3, v11
	v_subrev_u32_e32 v26, 28, v22
	v_sub_u32_e32 v22, 29, v22
	v_cmp_gt_u32_e64 s[6:7], 8, v11
	v_lshlrev_b64 v[26:27], v26, v[34:35]
	v_cndmask_b32_e64 v11, v16, v22, s[6:7]
	v_and_b32_e32 v26, 7, v26
	v_lshlrev_b32_e32 v16, 8, v34
	v_lshl_add_u32 v11, v11, 10, v41
	v_cndmask_b32_e64 v10, v10, v26, s[6:7]
	v_and_or_b32 v11, v16, s21, v11
	v_lshl_or_b32 v10, v10, 7, v11
	v_cvt_f32_f16_e32 v10, v10
.LBB325_945:                            ;   in Loop: Header=BB325_811 Depth=1
	s_or_b64 exec, exec, s[28:29]
.LBB325_946:                            ;   in Loop: Header=BB325_811 Depth=1
	s_or_b64 exec, exec, s[26:27]
.LBB325_947:                            ;   in Loop: Header=BB325_811 Depth=1
	s_or_b64 exec, exec, s[24:25]
	v_lshrrev_b32_e32 v34, 16, v61
	v_cmp_ne_u16_sdwa s[6:7], v34, v35 src0_sel:BYTE_0 src1_sel:DWORD
	v_mov_b32_e32 v11, 0
	v_mov_b32_e32 v16, 0
	s_and_saveexec_b64 s[24:25], s[6:7]
	s_cbranch_execz .LBB325_953
; %bb.948:                              ;   in Loop: Header=BB325_811 Depth=1
	v_cmp_ne_u16_sdwa s[6:7], v34, s9 src0_sel:BYTE_0 src1_sel:DWORD
	v_bfrev_b32_e32 v16, 1
	s_and_saveexec_b64 s[26:27], s[6:7]
	s_cbranch_execz .LBB325_952
; %bb.949:                              ;   in Loop: Header=BB325_811 Depth=1
	v_bfe_u32 v22, v61, 16, 7
	v_cmp_ne_u32_e64 s[6:7], s15, v22
	v_mov_b32_e32 v16, 0x7fc02000
	s_and_saveexec_b64 s[28:29], s[6:7]
	s_cbranch_execz .LBB325_951
; %bb.950:                              ;   in Loop: Header=BB325_811 Depth=1
	v_and_b32_e32 v16, 7, v34
	v_ffbh_u32_e32 v26, v16
	v_min_u32_e32 v36, 32, v26
	v_subrev_u32_e32 v26, 28, v36
	v_lshlrev_b64 v[26:27], v26, v[34:35]
	v_lshrrev_b32_e32 v32, 3, v22
	v_sub_u32_e32 v27, 29, v36
	v_cmp_gt_u32_e64 s[6:7], 8, v22
	v_and_b32_e32 v26, 7, v26
	v_cndmask_b32_e64 v22, v32, v27, s[6:7]
	v_cndmask_b32_e64 v16, v16, v26, s[6:7]
	v_lshlrev_b32_e32 v26, 8, v34
	v_lshl_add_u32 v22, v22, 10, v41
	v_and_or_b32 v22, v26, s21, v22
	v_lshl_or_b32 v16, v16, 7, v22
	v_cvt_f32_f16_e32 v16, v16
.LBB325_951:                            ;   in Loop: Header=BB325_811 Depth=1
	s_or_b64 exec, exec, s[28:29]
.LBB325_952:                            ;   in Loop: Header=BB325_811 Depth=1
	s_or_b64 exec, exec, s[26:27]
.LBB325_953:                            ;   in Loop: Header=BB325_811 Depth=1
	s_or_b64 exec, exec, s[24:25]
	v_cmp_lt_u64_e64 s[6:7], s[12:13], v[60:61]
	s_and_saveexec_b64 s[24:25], s[6:7]
	s_cbranch_execz .LBB325_959
; %bb.954:                              ;   in Loop: Header=BB325_811 Depth=1
	v_lshrrev_b32_e32 v34, 24, v61
	v_cmp_ne_u32_e64 s[6:7], s9, v34
	v_bfrev_b32_e32 v11, 1
	s_and_saveexec_b64 s[26:27], s[6:7]
	s_cbranch_execz .LBB325_958
; %bb.955:                              ;   in Loop: Header=BB325_811 Depth=1
	v_and_b32_e32 v22, 0x7f, v34
	v_cmp_ne_u32_e64 s[6:7], s15, v22
	v_mov_b32_e32 v11, 0x7fc02000
	s_and_saveexec_b64 s[28:29], s[6:7]
	s_cbranch_execz .LBB325_957
; %bb.956:                              ;   in Loop: Header=BB325_811 Depth=1
	v_and_b32_e32 v11, 7, v34
	v_ffbh_u32_e32 v26, v11
	v_min_u32_e32 v36, 32, v26
	v_subrev_u32_e32 v26, 28, v36
	v_lshlrev_b64 v[26:27], v26, v[34:35]
	v_lshrrev_b32_e32 v32, 3, v22
	v_sub_u32_e32 v27, 29, v36
	v_cmp_gt_u32_e64 s[6:7], 8, v22
	v_and_b32_e32 v26, 7, v26
	v_cndmask_b32_e64 v22, v32, v27, s[6:7]
	v_cndmask_b32_e64 v11, v11, v26, s[6:7]
	v_lshlrev_b32_e32 v26, 8, v34
	v_lshl_add_u32 v22, v22, 10, v41
	v_and_or_b32 v22, v26, s21, v22
	v_lshl_or_b32 v11, v11, 7, v22
	v_cvt_f32_f16_e32 v11, v11
.LBB325_957:                            ;   in Loop: Header=BB325_811 Depth=1
	s_or_b64 exec, exec, s[28:29]
.LBB325_958:                            ;   in Loop: Header=BB325_811 Depth=1
	s_or_b64 exec, exec, s[26:27]
.LBB325_959:                            ;   in Loop: Header=BB325_811 Depth=1
	s_or_b64 exec, exec, s[24:25]
	s_waitcnt vmcnt(0) lgkmcnt(0)
	v_pk_mul_f32 v[26:27], v[46:47], v[58:59] op_sel_hi:[0,1]
	v_pk_mul_f32 v[50:51], v[46:47], v[56:57] op_sel_hi:[0,1]
	v_cvt_f16_f32_e32 v22, v27
	v_cvt_f16_f32_e32 v26, v26
	;; [unrolled: 1-line block ×4, first 2 shown]
	v_fma_mixlo_f16 v10, v46, v10, 0
	v_lshlrev_b32_e32 v10, 16, v10
	v_fma_mixlo_f16 v6, v46, v6, 0
	v_or_b32_sdwa v6, v10, v6 dst_sel:DWORD dst_unused:UNUSED_PAD src0_sel:DWORD src1_sel:WORD_0
	v_fma_mixlo_f16 v10, v46, v11, 0
	v_pack_b32_f16 v26, v26, v22
	v_pack_b32_f16 v27, v32, v27
	v_fma_mixlo_f16 v16, v46, v16, 0
	v_lshlrev_b32_e32 v10, 16, v10
	v_perm_b32 v22, v27, v26, s31
	v_perm_b32 v26, v27, v26, s34
	v_or_b32_sdwa v10, v10, v16 dst_sel:DWORD dst_unused:UNUSED_PAD src0_sel:DWORD src1_sel:WORD_0
	s_and_saveexec_b64 s[24:25], vcc
	s_cbranch_execz .LBB325_961
; %bb.960:                              ;   in Loop: Header=BB325_811 Depth=1
	buffer_load_dword v36, off, s[0:3], s32 offset:196 ; 4-byte Folded Reload
	buffer_load_dword v37, off, s[0:3], s32 offset:200 ; 4-byte Folded Reload
	v_lshrrev_b32_e32 v11, 16, v26
	v_cmp_lt_i32_e64 s[6:7], v38, v17
	v_cndmask_b32_e64 v11, 0, v11, s[6:7]
	v_lshrrev_b32_e32 v10, 16, v10
	s_waitcnt vmcnt(1)
	v_mov_b32_e32 v32, v36
	v_cmp_lt_i32_e64 s[6:7], v7, v32
	v_cndmask_b32_e64 v26, 0, v26, s[6:7]
	v_perm_b32 v26, v11, v26, s35
	v_lshrrev_b32_e32 v11, 16, v22
	v_cmp_lt_i32_e64 s[6:7], v62, v17
	v_cndmask_b32_e64 v11, 0, v11, s[6:7]
	v_cmp_lt_i32_e64 s[6:7], v33, v32
	v_cndmask_b32_e64 v22, 0, v22, s[6:7]
	v_perm_b32 v22, v11, v22, s35
	v_lshrrev_b32_e32 v11, 16, v6
	v_cmp_lt_i32_e64 s[6:7], v43, v17
	v_cndmask_b32_e64 v11, 0, v11, s[6:7]
	v_cmp_lt_i32_e64 s[6:7], v55, v32
	v_cndmask_b32_e64 v6, 0, v6, s[6:7]
	v_perm_b32 v6, v11, v6, s35
	v_accvgpr_read_b32 v11, a17
	v_cmp_lt_i32_e64 s[6:7], v11, v17
	v_accvgpr_read_b32 v11, a11
	v_cndmask_b32_e64 v10, 0, v10, s[6:7]
	v_cmp_lt_i32_e64 s[6:7], v11, v32
	v_cndmask_b32_e64 v11, 0, v16, s[6:7]
	v_perm_b32 v10, v10, v11, s35
.LBB325_961:                            ;   in Loop: Header=BB325_811 Depth=1
	s_or_b64 exec, exec, s[24:25]
	;;#ASMSTART
	v_pk_mul_f16 v11, v5, v26;

	;;#ASMEND
	;;#ASMSTART
	v_pk_mul_f16 v16, v4, v22;

	;;#ASMEND
	;; [unrolled: 4-line block ×4, first 2 shown]
	;;#ASMSTART
	v_pk_add_f16 v11, v11, v16;

	;;#ASMEND
	;;#ASMSTART
	v_pk_add_f16 v6, v11, v6;

	;;#ASMEND
	;; [unrolled: 4-line block ×3, first 2 shown]
	v_lshrrev_b32_e32 v10, 16, v6
	v_and_b32_e32 v6, 0xffff, v6
	;;#ASMSTART
	v_cvt_f32_f16 v6, v6;
	;;#ASMEND
	v_accvgpr_write_b32 a23, v6
	;;#ASMSTART
	v_cvt_f32_f16 v6, v10;
	;;#ASMEND
	flat_load_dwordx2 v[60:61], v[44:45] offset:1536
	buffer_load_dword v10, off, s[0:3], s32 offset:188 ; 4-byte Folded Reload
	buffer_load_dword v11, off, s[0:3], s32 offset:192 ; 4-byte Folded Reload
	v_accvgpr_write_b32 a25, v6
	v_mov_b32_e32 v58, 0
	v_mov_b32_e32 v56, 0
	s_waitcnt vmcnt(0) lgkmcnt(0)
	v_cmp_ne_u16_sdwa s[6:7], v60, v35 src0_sel:BYTE_0 src1_sel:DWORD
	flat_load_dword v46, v[10:11]
	s_and_saveexec_b64 s[24:25], s[6:7]
	s_cbranch_execz .LBB325_967
; %bb.962:                              ;   in Loop: Header=BB325_811 Depth=1
	v_cmp_ne_u16_sdwa s[6:7], v60, s9 src0_sel:BYTE_0 src1_sel:DWORD
	v_bfrev_b32_e32 v56, 1
	s_and_saveexec_b64 s[26:27], s[6:7]
	s_cbranch_execz .LBB325_966
; %bb.963:                              ;   in Loop: Header=BB325_811 Depth=1
	v_and_b32_e32 v6, 0x7f, v60
	v_cmp_ne_u32_e64 s[6:7], s15, v6
	v_mov_b32_e32 v56, 0x7fc02000
	s_and_saveexec_b64 s[28:29], s[6:7]
	s_cbranch_execz .LBB325_965
; %bb.964:                              ;   in Loop: Header=BB325_811 Depth=1
	v_and_b32_e32 v10, 7, v60
	v_ffbh_u32_e32 v10, v10
	v_min_u32_e32 v10, 32, v10
	v_subrev_u32_e32 v11, 28, v10
	v_cmp_gt_u32_e64 s[6:7], 8, v6
	v_lshrrev_b32_e32 v16, 3, v6
	v_sub_u32_e32 v22, 29, v10
	v_cndmask_b32_e64 v6, 0, v11, s[6:7]
	v_lshlrev_b64 v[10:11], v6, v[60:61]
	v_cndmask_b32_e64 v6, v16, v22, s[6:7]
	v_lshlrev_b32_e32 v11, 8, v60
	v_lshl_add_u32 v6, v6, 10, v41
	v_lshlrev_b32_e32 v10, 7, v10
	v_and_or_b32 v6, v11, s21, v6
	v_and_or_b32 v6, v10, s30, v6
	v_cvt_f32_f16_e32 v56, v6
.LBB325_965:                            ;   in Loop: Header=BB325_811 Depth=1
	s_or_b64 exec, exec, s[28:29]
.LBB325_966:                            ;   in Loop: Header=BB325_811 Depth=1
	s_or_b64 exec, exec, s[26:27]
.LBB325_967:                            ;   in Loop: Header=BB325_811 Depth=1
	s_or_b64 exec, exec, s[24:25]
	v_lshrrev_b16_e32 v34, 8, v60
	v_cmp_ne_u16_e64 s[6:7], 0, v34
	s_and_saveexec_b64 s[24:25], s[6:7]
	s_cbranch_execz .LBB325_973
; %bb.968:                              ;   in Loop: Header=BB325_811 Depth=1
	v_cmp_ne_u16_e64 s[6:7], s9, v34
	v_bfrev_b32_e32 v58, 1
	s_and_saveexec_b64 s[26:27], s[6:7]
	s_cbranch_execz .LBB325_972
; %bb.969:                              ;   in Loop: Header=BB325_811 Depth=1
	v_and_b32_e32 v6, 0x7f, v34
	v_cmp_ne_u32_e64 s[6:7], s15, v6
	v_mov_b32_e32 v58, 0x7fc02000
	s_and_saveexec_b64 s[28:29], s[6:7]
	s_cbranch_execz .LBB325_971
; %bb.970:                              ;   in Loop: Header=BB325_811 Depth=1
	v_and_b32_e32 v16, 7, v34
	v_ffbh_u32_e32 v10, v16
	v_min_u32_e32 v26, 32, v10
	v_subrev_u32_e32 v10, 28, v26
	v_lshlrev_b64 v[10:11], v10, v[34:35]
	v_lshrrev_b32_e32 v22, 3, v6
	v_sub_u32_e32 v11, 29, v26
	v_cmp_gt_u32_e64 s[6:7], 8, v6
	v_cndmask_b32_e64 v6, v22, v11, s[6:7]
	v_and_b32_e32 v10, 7, v10
	v_lshlrev_b32_e32 v11, 8, v34
	v_lshl_add_u32 v6, v6, 10, v41
	v_cndmask_b32_e64 v10, v16, v10, s[6:7]
	v_and_or_b32 v6, v11, s21, v6
	v_lshl_or_b32 v6, v10, 7, v6
	v_cvt_f32_f16_e32 v58, v6
.LBB325_971:                            ;   in Loop: Header=BB325_811 Depth=1
	s_or_b64 exec, exec, s[28:29]
.LBB325_972:                            ;   in Loop: Header=BB325_811 Depth=1
	s_or_b64 exec, exec, s[26:27]
.LBB325_973:                            ;   in Loop: Header=BB325_811 Depth=1
	s_or_b64 exec, exec, s[24:25]
	v_lshrrev_b32_e32 v34, 16, v60
	v_cmp_ne_u16_sdwa s[6:7], v34, v35 src0_sel:BYTE_0 src1_sel:DWORD
	v_mov_b32_e32 v59, 0
	v_mov_b32_e32 v57, 0
	s_and_saveexec_b64 s[24:25], s[6:7]
	s_cbranch_execz .LBB325_979
; %bb.974:                              ;   in Loop: Header=BB325_811 Depth=1
	v_cmp_ne_u16_sdwa s[6:7], v34, s9 src0_sel:BYTE_0 src1_sel:DWORD
	v_bfrev_b32_e32 v57, 1
	s_and_saveexec_b64 s[26:27], s[6:7]
	s_cbranch_execz .LBB325_978
; %bb.975:                              ;   in Loop: Header=BB325_811 Depth=1
	v_bfe_u32 v6, v60, 16, 7
	v_cmp_ne_u32_e64 s[6:7], s15, v6
	v_mov_b32_e32 v57, 0x7fc02000
	s_and_saveexec_b64 s[28:29], s[6:7]
	s_cbranch_execz .LBB325_977
; %bb.976:                              ;   in Loop: Header=BB325_811 Depth=1
	v_and_b32_e32 v16, 7, v34
	v_ffbh_u32_e32 v10, v16
	v_min_u32_e32 v26, 32, v10
	v_subrev_u32_e32 v10, 28, v26
	v_lshlrev_b64 v[10:11], v10, v[34:35]
	v_lshrrev_b32_e32 v22, 3, v6
	v_sub_u32_e32 v11, 29, v26
	v_cmp_gt_u32_e64 s[6:7], 8, v6
	v_cndmask_b32_e64 v6, v22, v11, s[6:7]
	v_and_b32_e32 v10, 7, v10
	v_lshlrev_b32_e32 v11, 8, v34
	v_lshl_add_u32 v6, v6, 10, v41
	v_cndmask_b32_e64 v10, v16, v10, s[6:7]
	v_and_or_b32 v6, v11, s21, v6
	v_lshl_or_b32 v6, v10, 7, v6
	v_cvt_f32_f16_e32 v57, v6
.LBB325_977:                            ;   in Loop: Header=BB325_811 Depth=1
	s_or_b64 exec, exec, s[28:29]
.LBB325_978:                            ;   in Loop: Header=BB325_811 Depth=1
	s_or_b64 exec, exec, s[26:27]
.LBB325_979:                            ;   in Loop: Header=BB325_811 Depth=1
	s_or_b64 exec, exec, s[24:25]
	v_cmp_lt_u32_e64 s[6:7], s13, v60
	s_and_saveexec_b64 s[24:25], s[6:7]
	s_cbranch_execz .LBB325_985
; %bb.980:                              ;   in Loop: Header=BB325_811 Depth=1
	v_lshrrev_b32_e32 v34, 24, v60
	v_cmp_ne_u32_e64 s[6:7], s9, v34
	v_bfrev_b32_e32 v59, 1
	s_and_saveexec_b64 s[26:27], s[6:7]
	s_cbranch_execz .LBB325_984
; %bb.981:                              ;   in Loop: Header=BB325_811 Depth=1
	v_and_b32_e32 v6, 0x7f, v34
	v_cmp_ne_u32_e64 s[6:7], s15, v6
	v_mov_b32_e32 v59, 0x7fc02000
	s_and_saveexec_b64 s[28:29], s[6:7]
	s_cbranch_execz .LBB325_983
; %bb.982:                              ;   in Loop: Header=BB325_811 Depth=1
	v_and_b32_e32 v16, 7, v34
	v_ffbh_u32_e32 v10, v16
	v_min_u32_e32 v26, 32, v10
	v_subrev_u32_e32 v10, 28, v26
	v_lshlrev_b64 v[10:11], v10, v[34:35]
	v_lshrrev_b32_e32 v22, 3, v6
	v_sub_u32_e32 v11, 29, v26
	v_cmp_gt_u32_e64 s[6:7], 8, v6
	v_cndmask_b32_e64 v6, v22, v11, s[6:7]
	v_and_b32_e32 v10, 7, v10
	v_lshlrev_b32_e32 v11, 8, v34
	v_lshl_add_u32 v6, v6, 10, v41
	v_cndmask_b32_e64 v10, v16, v10, s[6:7]
	v_and_or_b32 v6, v11, s21, v6
	v_lshl_or_b32 v6, v10, 7, v6
	v_cvt_f32_f16_e32 v59, v6
.LBB325_983:                            ;   in Loop: Header=BB325_811 Depth=1
	s_or_b64 exec, exec, s[28:29]
.LBB325_984:                            ;   in Loop: Header=BB325_811 Depth=1
	s_or_b64 exec, exec, s[26:27]
.LBB325_985:                            ;   in Loop: Header=BB325_811 Depth=1
	s_or_b64 exec, exec, s[24:25]
	v_mov_b32_e32 v34, v61
	v_cmp_ne_u16_sdwa s[6:7], v61, v35 src0_sel:BYTE_0 src1_sel:DWORD
	v_mov_b32_e32 v10, 0
	v_mov_b32_e32 v6, 0
	s_and_saveexec_b64 s[24:25], s[6:7]
	s_cbranch_execz .LBB325_991
; %bb.986:                              ;   in Loop: Header=BB325_811 Depth=1
	v_cmp_ne_u16_sdwa s[6:7], v61, s9 src0_sel:BYTE_0 src1_sel:DWORD
	v_bfrev_b32_e32 v6, 1
	s_and_saveexec_b64 s[26:27], s[6:7]
	s_cbranch_execz .LBB325_990
; %bb.987:                              ;   in Loop: Header=BB325_811 Depth=1
	v_and_b32_e32 v11, 0x7f, v61
	v_cmp_ne_u32_e64 s[6:7], s15, v11
	v_mov_b32_e32 v6, 0x7fc02000
	s_and_saveexec_b64 s[28:29], s[6:7]
	s_cbranch_execz .LBB325_989
; %bb.988:                              ;   in Loop: Header=BB325_811 Depth=1
	v_and_b32_e32 v6, 7, v61
	v_ffbh_u32_e32 v6, v6
	v_min_u32_e32 v6, 32, v6
	v_lshrrev_b32_e32 v16, 3, v11
	v_subrev_u32_e32 v22, 28, v6
	v_sub_u32_e32 v6, 29, v6
	v_cmp_gt_u32_e64 s[6:7], 8, v11
	v_cndmask_b32_e64 v11, 0, v22, s[6:7]
	v_cndmask_b32_e64 v6, v16, v6, s[6:7]
	v_lshlrev_b64 v[26:27], v11, v[34:35]
	v_lshlrev_b32_e32 v16, 8, v61
	v_lshl_add_u32 v6, v6, 10, v41
	v_lshlrev_b32_e32 v11, 7, v26
	v_and_or_b32 v6, v16, s21, v6
	v_and_or_b32 v6, v11, s30, v6
	v_cvt_f32_f16_e32 v6, v6
.LBB325_989:                            ;   in Loop: Header=BB325_811 Depth=1
	s_or_b64 exec, exec, s[28:29]
.LBB325_990:                            ;   in Loop: Header=BB325_811 Depth=1
	s_or_b64 exec, exec, s[26:27]
.LBB325_991:                            ;   in Loop: Header=BB325_811 Depth=1
	s_or_b64 exec, exec, s[24:25]
	v_lshrrev_b16_e32 v34, 8, v34
	v_cmp_ne_u16_e64 s[6:7], 0, v34
	s_and_saveexec_b64 s[24:25], s[6:7]
	s_cbranch_execz .LBB325_997
; %bb.992:                              ;   in Loop: Header=BB325_811 Depth=1
	v_cmp_ne_u16_e64 s[6:7], s9, v34
	v_bfrev_b32_e32 v10, 1
	s_and_saveexec_b64 s[26:27], s[6:7]
	s_cbranch_execz .LBB325_996
; %bb.993:                              ;   in Loop: Header=BB325_811 Depth=1
	v_and_b32_e32 v11, 0x7f, v34
	v_cmp_ne_u32_e64 s[6:7], s15, v11
	v_mov_b32_e32 v10, 0x7fc02000
	s_and_saveexec_b64 s[28:29], s[6:7]
	s_cbranch_execz .LBB325_995
; %bb.994:                              ;   in Loop: Header=BB325_811 Depth=1
	v_and_b32_e32 v10, 7, v34
	v_ffbh_u32_e32 v22, v10
	v_min_u32_e32 v22, 32, v22
	v_lshrrev_b32_e32 v16, 3, v11
	v_subrev_u32_e32 v26, 28, v22
	v_sub_u32_e32 v22, 29, v22
	v_cmp_gt_u32_e64 s[6:7], 8, v11
	v_lshlrev_b64 v[26:27], v26, v[34:35]
	v_cndmask_b32_e64 v11, v16, v22, s[6:7]
	v_and_b32_e32 v26, 7, v26
	v_lshlrev_b32_e32 v16, 8, v34
	v_lshl_add_u32 v11, v11, 10, v41
	v_cndmask_b32_e64 v10, v10, v26, s[6:7]
	v_and_or_b32 v11, v16, s21, v11
	v_lshl_or_b32 v10, v10, 7, v11
	v_cvt_f32_f16_e32 v10, v10
.LBB325_995:                            ;   in Loop: Header=BB325_811 Depth=1
	s_or_b64 exec, exec, s[28:29]
.LBB325_996:                            ;   in Loop: Header=BB325_811 Depth=1
	s_or_b64 exec, exec, s[26:27]
.LBB325_997:                            ;   in Loop: Header=BB325_811 Depth=1
	s_or_b64 exec, exec, s[24:25]
	v_lshrrev_b32_e32 v34, 16, v61
	v_cmp_ne_u16_sdwa s[6:7], v34, v35 src0_sel:BYTE_0 src1_sel:DWORD
	v_mov_b32_e32 v11, 0
	v_mov_b32_e32 v16, 0
	s_and_saveexec_b64 s[24:25], s[6:7]
	s_cbranch_execz .LBB325_1003
; %bb.998:                              ;   in Loop: Header=BB325_811 Depth=1
	v_cmp_ne_u16_sdwa s[6:7], v34, s9 src0_sel:BYTE_0 src1_sel:DWORD
	v_bfrev_b32_e32 v16, 1
	s_and_saveexec_b64 s[26:27], s[6:7]
	s_cbranch_execz .LBB325_1002
; %bb.999:                              ;   in Loop: Header=BB325_811 Depth=1
	v_bfe_u32 v22, v61, 16, 7
	v_cmp_ne_u32_e64 s[6:7], s15, v22
	v_mov_b32_e32 v16, 0x7fc02000
	s_and_saveexec_b64 s[28:29], s[6:7]
	s_cbranch_execz .LBB325_1001
; %bb.1000:                             ;   in Loop: Header=BB325_811 Depth=1
	v_and_b32_e32 v16, 7, v34
	v_ffbh_u32_e32 v26, v16
	v_min_u32_e32 v36, 32, v26
	v_subrev_u32_e32 v26, 28, v36
	v_lshlrev_b64 v[26:27], v26, v[34:35]
	v_lshrrev_b32_e32 v32, 3, v22
	v_sub_u32_e32 v27, 29, v36
	v_cmp_gt_u32_e64 s[6:7], 8, v22
	v_and_b32_e32 v26, 7, v26
	v_cndmask_b32_e64 v22, v32, v27, s[6:7]
	v_cndmask_b32_e64 v16, v16, v26, s[6:7]
	v_lshlrev_b32_e32 v26, 8, v34
	v_lshl_add_u32 v22, v22, 10, v41
	v_and_or_b32 v22, v26, s21, v22
	v_lshl_or_b32 v16, v16, 7, v22
	v_cvt_f32_f16_e32 v16, v16
.LBB325_1001:                           ;   in Loop: Header=BB325_811 Depth=1
	s_or_b64 exec, exec, s[28:29]
.LBB325_1002:                           ;   in Loop: Header=BB325_811 Depth=1
	s_or_b64 exec, exec, s[26:27]
.LBB325_1003:                           ;   in Loop: Header=BB325_811 Depth=1
	s_or_b64 exec, exec, s[24:25]
	v_cmp_lt_u64_e64 s[6:7], s[12:13], v[60:61]
	s_and_saveexec_b64 s[24:25], s[6:7]
	s_cbranch_execz .LBB325_1009
; %bb.1004:                             ;   in Loop: Header=BB325_811 Depth=1
	v_lshrrev_b32_e32 v34, 24, v61
	v_cmp_ne_u32_e64 s[6:7], s9, v34
	v_bfrev_b32_e32 v11, 1
	s_and_saveexec_b64 s[26:27], s[6:7]
	s_cbranch_execz .LBB325_1008
; %bb.1005:                             ;   in Loop: Header=BB325_811 Depth=1
	v_and_b32_e32 v22, 0x7f, v34
	v_cmp_ne_u32_e64 s[6:7], s15, v22
	v_mov_b32_e32 v11, 0x7fc02000
	s_and_saveexec_b64 s[28:29], s[6:7]
	s_cbranch_execz .LBB325_1007
; %bb.1006:                             ;   in Loop: Header=BB325_811 Depth=1
	v_and_b32_e32 v11, 7, v34
	v_ffbh_u32_e32 v26, v11
	v_min_u32_e32 v36, 32, v26
	v_subrev_u32_e32 v26, 28, v36
	v_lshlrev_b64 v[26:27], v26, v[34:35]
	v_lshrrev_b32_e32 v32, 3, v22
	v_sub_u32_e32 v27, 29, v36
	v_cmp_gt_u32_e64 s[6:7], 8, v22
	v_and_b32_e32 v26, 7, v26
	v_cndmask_b32_e64 v22, v32, v27, s[6:7]
	v_cndmask_b32_e64 v11, v11, v26, s[6:7]
	v_lshlrev_b32_e32 v26, 8, v34
	v_lshl_add_u32 v22, v22, 10, v41
	v_and_or_b32 v22, v26, s21, v22
	v_lshl_or_b32 v11, v11, 7, v22
	v_cvt_f32_f16_e32 v11, v11
.LBB325_1007:                           ;   in Loop: Header=BB325_811 Depth=1
	s_or_b64 exec, exec, s[28:29]
.LBB325_1008:                           ;   in Loop: Header=BB325_811 Depth=1
	s_or_b64 exec, exec, s[26:27]
.LBB325_1009:                           ;   in Loop: Header=BB325_811 Depth=1
	s_or_b64 exec, exec, s[24:25]
	s_waitcnt vmcnt(0) lgkmcnt(0)
	v_pk_mul_f32 v[26:27], v[46:47], v[58:59] op_sel_hi:[0,1]
	v_pk_mul_f32 v[50:51], v[46:47], v[56:57] op_sel_hi:[0,1]
	v_cvt_f16_f32_e32 v22, v27
	v_cvt_f16_f32_e32 v26, v26
	;; [unrolled: 1-line block ×4, first 2 shown]
	v_fma_mixlo_f16 v10, v46, v10, 0
	v_lshlrev_b32_e32 v10, 16, v10
	v_fma_mixlo_f16 v6, v46, v6, 0
	v_or_b32_sdwa v6, v10, v6 dst_sel:DWORD dst_unused:UNUSED_PAD src0_sel:DWORD src1_sel:WORD_0
	v_fma_mixlo_f16 v10, v46, v11, 0
	v_pack_b32_f16 v26, v26, v22
	v_pack_b32_f16 v27, v32, v27
	v_fma_mixlo_f16 v16, v46, v16, 0
	v_lshlrev_b32_e32 v10, 16, v10
	v_perm_b32 v22, v27, v26, s31
	v_perm_b32 v26, v27, v26, s34
	v_or_b32_sdwa v10, v10, v16 dst_sel:DWORD dst_unused:UNUSED_PAD src0_sel:DWORD src1_sel:WORD_0
	s_and_saveexec_b64 s[24:25], vcc
	s_cbranch_execz .LBB325_1011
; %bb.1010:                             ;   in Loop: Header=BB325_811 Depth=1
	buffer_load_dword v36, off, s[0:3], s32 offset:196 ; 4-byte Folded Reload
	buffer_load_dword v37, off, s[0:3], s32 offset:200 ; 4-byte Folded Reload
	v_lshrrev_b32_e32 v11, 16, v26
	v_cmp_lt_i32_e64 s[6:7], v38, v17
	v_cndmask_b32_e64 v11, 0, v11, s[6:7]
	v_lshrrev_b32_e32 v10, 16, v10
	s_waitcnt vmcnt(1)
	v_mov_b32_e32 v32, v36
	v_cmp_lt_i32_e64 s[6:7], v7, v32
	v_cndmask_b32_e64 v26, 0, v26, s[6:7]
	v_perm_b32 v26, v11, v26, s35
	v_lshrrev_b32_e32 v11, 16, v22
	v_cmp_lt_i32_e64 s[6:7], v62, v17
	v_cndmask_b32_e64 v11, 0, v11, s[6:7]
	v_cmp_lt_i32_e64 s[6:7], v33, v32
	v_cndmask_b32_e64 v22, 0, v22, s[6:7]
	v_perm_b32 v22, v11, v22, s35
	v_lshrrev_b32_e32 v11, 16, v6
	v_cmp_lt_i32_e64 s[6:7], v43, v17
	v_cndmask_b32_e64 v11, 0, v11, s[6:7]
	v_cmp_lt_i32_e64 s[6:7], v55, v32
	v_cndmask_b32_e64 v6, 0, v6, s[6:7]
	v_perm_b32 v6, v11, v6, s35
	v_accvgpr_read_b32 v11, a17
	v_cmp_lt_i32_e64 s[6:7], v11, v17
	v_accvgpr_read_b32 v11, a11
	v_cndmask_b32_e64 v10, 0, v10, s[6:7]
	v_cmp_lt_i32_e64 s[6:7], v11, v32
	v_cndmask_b32_e64 v11, 0, v16, s[6:7]
	v_perm_b32 v10, v10, v11, s35
.LBB325_1011:                           ;   in Loop: Header=BB325_811 Depth=1
	s_or_b64 exec, exec, s[24:25]
	;;#ASMSTART
	v_pk_mul_f16 v11, v5, v26;

	;;#ASMEND
	;;#ASMSTART
	v_pk_mul_f16 v16, v4, v22;

	;;#ASMEND
	;; [unrolled: 4-line block ×4, first 2 shown]
	;;#ASMSTART
	v_pk_add_f16 v11, v11, v16;

	;;#ASMEND
	;;#ASMSTART
	v_pk_add_f16 v6, v11, v6;

	;;#ASMEND
	;; [unrolled: 4-line block ×3, first 2 shown]
	v_lshrrev_b32_e32 v10, 16, v6
	v_and_b32_e32 v6, 0xffff, v6
	;;#ASMSTART
	v_cvt_f32_f16 v6, v6;
	;;#ASMEND
	v_accvgpr_write_b32 a27, v6
	;;#ASMSTART
	v_cvt_f32_f16 v6, v10;
	;;#ASMEND
	flat_load_dwordx2 v[60:61], v[44:45] offset:2048
	buffer_load_dword v10, off, s[0:3], s32 offset:188 ; 4-byte Folded Reload
	buffer_load_dword v11, off, s[0:3], s32 offset:192 ; 4-byte Folded Reload
	v_accvgpr_write_b32 a28, v6
	v_mov_b32_e32 v58, 0
	v_mov_b32_e32 v56, 0
	s_waitcnt vmcnt(0) lgkmcnt(0)
	v_cmp_ne_u16_sdwa s[6:7], v60, v35 src0_sel:BYTE_0 src1_sel:DWORD
	flat_load_dword v46, v[10:11]
	s_and_saveexec_b64 s[24:25], s[6:7]
	s_cbranch_execz .LBB325_1017
; %bb.1012:                             ;   in Loop: Header=BB325_811 Depth=1
	v_cmp_ne_u16_sdwa s[6:7], v60, s9 src0_sel:BYTE_0 src1_sel:DWORD
	v_bfrev_b32_e32 v56, 1
	s_and_saveexec_b64 s[26:27], s[6:7]
	s_cbranch_execz .LBB325_1016
; %bb.1013:                             ;   in Loop: Header=BB325_811 Depth=1
	v_and_b32_e32 v6, 0x7f, v60
	v_cmp_ne_u32_e64 s[6:7], s15, v6
	v_mov_b32_e32 v56, 0x7fc02000
	s_and_saveexec_b64 s[28:29], s[6:7]
	s_cbranch_execz .LBB325_1015
; %bb.1014:                             ;   in Loop: Header=BB325_811 Depth=1
	v_and_b32_e32 v10, 7, v60
	v_ffbh_u32_e32 v10, v10
	v_min_u32_e32 v10, 32, v10
	v_subrev_u32_e32 v11, 28, v10
	v_cmp_gt_u32_e64 s[6:7], 8, v6
	v_lshrrev_b32_e32 v16, 3, v6
	v_sub_u32_e32 v22, 29, v10
	v_cndmask_b32_e64 v6, 0, v11, s[6:7]
	v_lshlrev_b64 v[10:11], v6, v[60:61]
	v_cndmask_b32_e64 v6, v16, v22, s[6:7]
	v_lshlrev_b32_e32 v11, 8, v60
	v_lshl_add_u32 v6, v6, 10, v41
	v_lshlrev_b32_e32 v10, 7, v10
	v_and_or_b32 v6, v11, s21, v6
	v_and_or_b32 v6, v10, s30, v6
	v_cvt_f32_f16_e32 v56, v6
.LBB325_1015:                           ;   in Loop: Header=BB325_811 Depth=1
	s_or_b64 exec, exec, s[28:29]
.LBB325_1016:                           ;   in Loop: Header=BB325_811 Depth=1
	s_or_b64 exec, exec, s[26:27]
.LBB325_1017:                           ;   in Loop: Header=BB325_811 Depth=1
	s_or_b64 exec, exec, s[24:25]
	v_lshrrev_b16_e32 v34, 8, v60
	v_cmp_ne_u16_e64 s[6:7], 0, v34
	s_and_saveexec_b64 s[24:25], s[6:7]
	s_cbranch_execz .LBB325_1023
; %bb.1018:                             ;   in Loop: Header=BB325_811 Depth=1
	v_cmp_ne_u16_e64 s[6:7], s9, v34
	v_bfrev_b32_e32 v58, 1
	s_and_saveexec_b64 s[26:27], s[6:7]
	s_cbranch_execz .LBB325_1022
; %bb.1019:                             ;   in Loop: Header=BB325_811 Depth=1
	v_and_b32_e32 v6, 0x7f, v34
	v_cmp_ne_u32_e64 s[6:7], s15, v6
	v_mov_b32_e32 v58, 0x7fc02000
	s_and_saveexec_b64 s[28:29], s[6:7]
	s_cbranch_execz .LBB325_1021
; %bb.1020:                             ;   in Loop: Header=BB325_811 Depth=1
	v_and_b32_e32 v16, 7, v34
	v_ffbh_u32_e32 v10, v16
	v_min_u32_e32 v26, 32, v10
	v_subrev_u32_e32 v10, 28, v26
	v_lshlrev_b64 v[10:11], v10, v[34:35]
	v_lshrrev_b32_e32 v22, 3, v6
	v_sub_u32_e32 v11, 29, v26
	v_cmp_gt_u32_e64 s[6:7], 8, v6
	v_cndmask_b32_e64 v6, v22, v11, s[6:7]
	v_and_b32_e32 v10, 7, v10
	v_lshlrev_b32_e32 v11, 8, v34
	v_lshl_add_u32 v6, v6, 10, v41
	v_cndmask_b32_e64 v10, v16, v10, s[6:7]
	v_and_or_b32 v6, v11, s21, v6
	v_lshl_or_b32 v6, v10, 7, v6
	v_cvt_f32_f16_e32 v58, v6
.LBB325_1021:                           ;   in Loop: Header=BB325_811 Depth=1
	s_or_b64 exec, exec, s[28:29]
.LBB325_1022:                           ;   in Loop: Header=BB325_811 Depth=1
	s_or_b64 exec, exec, s[26:27]
.LBB325_1023:                           ;   in Loop: Header=BB325_811 Depth=1
	s_or_b64 exec, exec, s[24:25]
	v_lshrrev_b32_e32 v34, 16, v60
	v_cmp_ne_u16_sdwa s[6:7], v34, v35 src0_sel:BYTE_0 src1_sel:DWORD
	v_mov_b32_e32 v59, 0
	v_mov_b32_e32 v57, 0
	s_and_saveexec_b64 s[24:25], s[6:7]
	s_cbranch_execz .LBB325_1029
; %bb.1024:                             ;   in Loop: Header=BB325_811 Depth=1
	v_cmp_ne_u16_sdwa s[6:7], v34, s9 src0_sel:BYTE_0 src1_sel:DWORD
	v_bfrev_b32_e32 v57, 1
	s_and_saveexec_b64 s[26:27], s[6:7]
	s_cbranch_execz .LBB325_1028
; %bb.1025:                             ;   in Loop: Header=BB325_811 Depth=1
	v_bfe_u32 v6, v60, 16, 7
	v_cmp_ne_u32_e64 s[6:7], s15, v6
	v_mov_b32_e32 v57, 0x7fc02000
	s_and_saveexec_b64 s[28:29], s[6:7]
	s_cbranch_execz .LBB325_1027
; %bb.1026:                             ;   in Loop: Header=BB325_811 Depth=1
	v_and_b32_e32 v16, 7, v34
	v_ffbh_u32_e32 v10, v16
	v_min_u32_e32 v26, 32, v10
	v_subrev_u32_e32 v10, 28, v26
	v_lshlrev_b64 v[10:11], v10, v[34:35]
	v_lshrrev_b32_e32 v22, 3, v6
	v_sub_u32_e32 v11, 29, v26
	v_cmp_gt_u32_e64 s[6:7], 8, v6
	v_cndmask_b32_e64 v6, v22, v11, s[6:7]
	v_and_b32_e32 v10, 7, v10
	v_lshlrev_b32_e32 v11, 8, v34
	v_lshl_add_u32 v6, v6, 10, v41
	v_cndmask_b32_e64 v10, v16, v10, s[6:7]
	v_and_or_b32 v6, v11, s21, v6
	v_lshl_or_b32 v6, v10, 7, v6
	v_cvt_f32_f16_e32 v57, v6
.LBB325_1027:                           ;   in Loop: Header=BB325_811 Depth=1
	s_or_b64 exec, exec, s[28:29]
.LBB325_1028:                           ;   in Loop: Header=BB325_811 Depth=1
	s_or_b64 exec, exec, s[26:27]
.LBB325_1029:                           ;   in Loop: Header=BB325_811 Depth=1
	s_or_b64 exec, exec, s[24:25]
	v_cmp_lt_u32_e64 s[6:7], s13, v60
	s_and_saveexec_b64 s[24:25], s[6:7]
	s_cbranch_execz .LBB325_1035
; %bb.1030:                             ;   in Loop: Header=BB325_811 Depth=1
	v_lshrrev_b32_e32 v34, 24, v60
	v_cmp_ne_u32_e64 s[6:7], s9, v34
	v_bfrev_b32_e32 v59, 1
	s_and_saveexec_b64 s[26:27], s[6:7]
	s_cbranch_execz .LBB325_1034
; %bb.1031:                             ;   in Loop: Header=BB325_811 Depth=1
	v_and_b32_e32 v6, 0x7f, v34
	v_cmp_ne_u32_e64 s[6:7], s15, v6
	v_mov_b32_e32 v59, 0x7fc02000
	s_and_saveexec_b64 s[28:29], s[6:7]
	s_cbranch_execz .LBB325_1033
; %bb.1032:                             ;   in Loop: Header=BB325_811 Depth=1
	v_and_b32_e32 v16, 7, v34
	v_ffbh_u32_e32 v10, v16
	v_min_u32_e32 v26, 32, v10
	v_subrev_u32_e32 v10, 28, v26
	v_lshlrev_b64 v[10:11], v10, v[34:35]
	v_lshrrev_b32_e32 v22, 3, v6
	v_sub_u32_e32 v11, 29, v26
	v_cmp_gt_u32_e64 s[6:7], 8, v6
	v_cndmask_b32_e64 v6, v22, v11, s[6:7]
	v_and_b32_e32 v10, 7, v10
	v_lshlrev_b32_e32 v11, 8, v34
	v_lshl_add_u32 v6, v6, 10, v41
	v_cndmask_b32_e64 v10, v16, v10, s[6:7]
	v_and_or_b32 v6, v11, s21, v6
	v_lshl_or_b32 v6, v10, 7, v6
	v_cvt_f32_f16_e32 v59, v6
.LBB325_1033:                           ;   in Loop: Header=BB325_811 Depth=1
	s_or_b64 exec, exec, s[28:29]
.LBB325_1034:                           ;   in Loop: Header=BB325_811 Depth=1
	s_or_b64 exec, exec, s[26:27]
.LBB325_1035:                           ;   in Loop: Header=BB325_811 Depth=1
	s_or_b64 exec, exec, s[24:25]
	v_mov_b32_e32 v34, v61
	v_cmp_ne_u16_sdwa s[6:7], v61, v35 src0_sel:BYTE_0 src1_sel:DWORD
	v_mov_b32_e32 v10, 0
	v_mov_b32_e32 v6, 0
	s_and_saveexec_b64 s[24:25], s[6:7]
	s_cbranch_execz .LBB325_1041
; %bb.1036:                             ;   in Loop: Header=BB325_811 Depth=1
	v_cmp_ne_u16_sdwa s[6:7], v61, s9 src0_sel:BYTE_0 src1_sel:DWORD
	v_bfrev_b32_e32 v6, 1
	s_and_saveexec_b64 s[26:27], s[6:7]
	s_cbranch_execz .LBB325_1040
; %bb.1037:                             ;   in Loop: Header=BB325_811 Depth=1
	v_and_b32_e32 v11, 0x7f, v61
	v_cmp_ne_u32_e64 s[6:7], s15, v11
	v_mov_b32_e32 v6, 0x7fc02000
	s_and_saveexec_b64 s[28:29], s[6:7]
	s_cbranch_execz .LBB325_1039
; %bb.1038:                             ;   in Loop: Header=BB325_811 Depth=1
	v_and_b32_e32 v6, 7, v61
	v_ffbh_u32_e32 v6, v6
	v_min_u32_e32 v6, 32, v6
	v_lshrrev_b32_e32 v16, 3, v11
	v_subrev_u32_e32 v22, 28, v6
	v_sub_u32_e32 v6, 29, v6
	v_cmp_gt_u32_e64 s[6:7], 8, v11
	v_cndmask_b32_e64 v11, 0, v22, s[6:7]
	v_cndmask_b32_e64 v6, v16, v6, s[6:7]
	v_lshlrev_b64 v[26:27], v11, v[34:35]
	v_lshlrev_b32_e32 v16, 8, v61
	v_lshl_add_u32 v6, v6, 10, v41
	v_lshlrev_b32_e32 v11, 7, v26
	v_and_or_b32 v6, v16, s21, v6
	v_and_or_b32 v6, v11, s30, v6
	v_cvt_f32_f16_e32 v6, v6
.LBB325_1039:                           ;   in Loop: Header=BB325_811 Depth=1
	s_or_b64 exec, exec, s[28:29]
.LBB325_1040:                           ;   in Loop: Header=BB325_811 Depth=1
	s_or_b64 exec, exec, s[26:27]
.LBB325_1041:                           ;   in Loop: Header=BB325_811 Depth=1
	s_or_b64 exec, exec, s[24:25]
	v_lshrrev_b16_e32 v34, 8, v34
	v_cmp_ne_u16_e64 s[6:7], 0, v34
	s_and_saveexec_b64 s[24:25], s[6:7]
	s_cbranch_execz .LBB325_1047
; %bb.1042:                             ;   in Loop: Header=BB325_811 Depth=1
	v_cmp_ne_u16_e64 s[6:7], s9, v34
	v_bfrev_b32_e32 v10, 1
	s_and_saveexec_b64 s[26:27], s[6:7]
	s_cbranch_execz .LBB325_1046
; %bb.1043:                             ;   in Loop: Header=BB325_811 Depth=1
	v_and_b32_e32 v11, 0x7f, v34
	v_cmp_ne_u32_e64 s[6:7], s15, v11
	v_mov_b32_e32 v10, 0x7fc02000
	s_and_saveexec_b64 s[28:29], s[6:7]
	s_cbranch_execz .LBB325_1045
; %bb.1044:                             ;   in Loop: Header=BB325_811 Depth=1
	v_and_b32_e32 v10, 7, v34
	v_ffbh_u32_e32 v22, v10
	v_min_u32_e32 v22, 32, v22
	v_lshrrev_b32_e32 v16, 3, v11
	v_subrev_u32_e32 v26, 28, v22
	v_sub_u32_e32 v22, 29, v22
	v_cmp_gt_u32_e64 s[6:7], 8, v11
	v_lshlrev_b64 v[26:27], v26, v[34:35]
	v_cndmask_b32_e64 v11, v16, v22, s[6:7]
	v_and_b32_e32 v26, 7, v26
	v_lshlrev_b32_e32 v16, 8, v34
	v_lshl_add_u32 v11, v11, 10, v41
	v_cndmask_b32_e64 v10, v10, v26, s[6:7]
	v_and_or_b32 v11, v16, s21, v11
	v_lshl_or_b32 v10, v10, 7, v11
	v_cvt_f32_f16_e32 v10, v10
.LBB325_1045:                           ;   in Loop: Header=BB325_811 Depth=1
	s_or_b64 exec, exec, s[28:29]
.LBB325_1046:                           ;   in Loop: Header=BB325_811 Depth=1
	s_or_b64 exec, exec, s[26:27]
.LBB325_1047:                           ;   in Loop: Header=BB325_811 Depth=1
	s_or_b64 exec, exec, s[24:25]
	v_lshrrev_b32_e32 v34, 16, v61
	v_cmp_ne_u16_sdwa s[6:7], v34, v35 src0_sel:BYTE_0 src1_sel:DWORD
	v_mov_b32_e32 v11, 0
	v_mov_b32_e32 v16, 0
	s_and_saveexec_b64 s[24:25], s[6:7]
	s_cbranch_execz .LBB325_1053
; %bb.1048:                             ;   in Loop: Header=BB325_811 Depth=1
	v_cmp_ne_u16_sdwa s[6:7], v34, s9 src0_sel:BYTE_0 src1_sel:DWORD
	v_bfrev_b32_e32 v16, 1
	s_and_saveexec_b64 s[26:27], s[6:7]
	s_cbranch_execz .LBB325_1052
; %bb.1049:                             ;   in Loop: Header=BB325_811 Depth=1
	v_bfe_u32 v22, v61, 16, 7
	v_cmp_ne_u32_e64 s[6:7], s15, v22
	v_mov_b32_e32 v16, 0x7fc02000
	s_and_saveexec_b64 s[28:29], s[6:7]
	s_cbranch_execz .LBB325_1051
; %bb.1050:                             ;   in Loop: Header=BB325_811 Depth=1
	v_and_b32_e32 v16, 7, v34
	v_ffbh_u32_e32 v26, v16
	v_min_u32_e32 v36, 32, v26
	v_subrev_u32_e32 v26, 28, v36
	v_lshlrev_b64 v[26:27], v26, v[34:35]
	v_lshrrev_b32_e32 v32, 3, v22
	v_sub_u32_e32 v27, 29, v36
	v_cmp_gt_u32_e64 s[6:7], 8, v22
	v_and_b32_e32 v26, 7, v26
	v_cndmask_b32_e64 v22, v32, v27, s[6:7]
	v_cndmask_b32_e64 v16, v16, v26, s[6:7]
	v_lshlrev_b32_e32 v26, 8, v34
	v_lshl_add_u32 v22, v22, 10, v41
	v_and_or_b32 v22, v26, s21, v22
	v_lshl_or_b32 v16, v16, 7, v22
	v_cvt_f32_f16_e32 v16, v16
.LBB325_1051:                           ;   in Loop: Header=BB325_811 Depth=1
	s_or_b64 exec, exec, s[28:29]
.LBB325_1052:                           ;   in Loop: Header=BB325_811 Depth=1
	s_or_b64 exec, exec, s[26:27]
.LBB325_1053:                           ;   in Loop: Header=BB325_811 Depth=1
	s_or_b64 exec, exec, s[24:25]
	v_cmp_lt_u64_e64 s[6:7], s[12:13], v[60:61]
	s_and_saveexec_b64 s[24:25], s[6:7]
	s_cbranch_execz .LBB325_1059
; %bb.1054:                             ;   in Loop: Header=BB325_811 Depth=1
	v_lshrrev_b32_e32 v34, 24, v61
	v_cmp_ne_u32_e64 s[6:7], s9, v34
	v_bfrev_b32_e32 v11, 1
	s_and_saveexec_b64 s[26:27], s[6:7]
	s_cbranch_execz .LBB325_1058
; %bb.1055:                             ;   in Loop: Header=BB325_811 Depth=1
	v_and_b32_e32 v22, 0x7f, v34
	v_cmp_ne_u32_e64 s[6:7], s15, v22
	v_mov_b32_e32 v11, 0x7fc02000
	s_and_saveexec_b64 s[28:29], s[6:7]
	s_cbranch_execz .LBB325_1057
; %bb.1056:                             ;   in Loop: Header=BB325_811 Depth=1
	v_and_b32_e32 v11, 7, v34
	v_ffbh_u32_e32 v26, v11
	v_min_u32_e32 v36, 32, v26
	v_subrev_u32_e32 v26, 28, v36
	v_lshlrev_b64 v[26:27], v26, v[34:35]
	v_lshrrev_b32_e32 v32, 3, v22
	v_sub_u32_e32 v27, 29, v36
	v_cmp_gt_u32_e64 s[6:7], 8, v22
	v_and_b32_e32 v26, 7, v26
	v_cndmask_b32_e64 v22, v32, v27, s[6:7]
	v_cndmask_b32_e64 v11, v11, v26, s[6:7]
	v_lshlrev_b32_e32 v26, 8, v34
	v_lshl_add_u32 v22, v22, 10, v41
	v_and_or_b32 v22, v26, s21, v22
	v_lshl_or_b32 v11, v11, 7, v22
	v_cvt_f32_f16_e32 v11, v11
.LBB325_1057:                           ;   in Loop: Header=BB325_811 Depth=1
	s_or_b64 exec, exec, s[28:29]
.LBB325_1058:                           ;   in Loop: Header=BB325_811 Depth=1
	s_or_b64 exec, exec, s[26:27]
.LBB325_1059:                           ;   in Loop: Header=BB325_811 Depth=1
	s_or_b64 exec, exec, s[24:25]
	s_waitcnt vmcnt(0) lgkmcnt(0)
	v_pk_mul_f32 v[26:27], v[46:47], v[58:59] op_sel_hi:[0,1]
	v_pk_mul_f32 v[50:51], v[46:47], v[56:57] op_sel_hi:[0,1]
	v_cvt_f16_f32_e32 v22, v27
	v_cvt_f16_f32_e32 v26, v26
	;; [unrolled: 1-line block ×4, first 2 shown]
	v_fma_mixlo_f16 v10, v46, v10, 0
	v_lshlrev_b32_e32 v10, 16, v10
	v_fma_mixlo_f16 v6, v46, v6, 0
	v_or_b32_sdwa v6, v10, v6 dst_sel:DWORD dst_unused:UNUSED_PAD src0_sel:DWORD src1_sel:WORD_0
	v_fma_mixlo_f16 v10, v46, v11, 0
	v_pack_b32_f16 v26, v26, v22
	v_pack_b32_f16 v27, v32, v27
	v_fma_mixlo_f16 v16, v46, v16, 0
	v_lshlrev_b32_e32 v10, 16, v10
	v_perm_b32 v22, v27, v26, s31
	v_perm_b32 v26, v27, v26, s34
	v_or_b32_sdwa v10, v10, v16 dst_sel:DWORD dst_unused:UNUSED_PAD src0_sel:DWORD src1_sel:WORD_0
	s_and_saveexec_b64 s[24:25], vcc
	s_cbranch_execz .LBB325_1061
; %bb.1060:                             ;   in Loop: Header=BB325_811 Depth=1
	buffer_load_dword v36, off, s[0:3], s32 offset:196 ; 4-byte Folded Reload
	buffer_load_dword v37, off, s[0:3], s32 offset:200 ; 4-byte Folded Reload
	v_lshrrev_b32_e32 v11, 16, v26
	v_cmp_lt_i32_e64 s[6:7], v38, v17
	v_cndmask_b32_e64 v11, 0, v11, s[6:7]
	v_lshrrev_b32_e32 v10, 16, v10
	s_waitcnt vmcnt(1)
	v_mov_b32_e32 v32, v36
	v_cmp_lt_i32_e64 s[6:7], v7, v32
	v_cndmask_b32_e64 v26, 0, v26, s[6:7]
	v_perm_b32 v26, v11, v26, s35
	v_lshrrev_b32_e32 v11, 16, v22
	v_cmp_lt_i32_e64 s[6:7], v62, v17
	v_cndmask_b32_e64 v11, 0, v11, s[6:7]
	v_cmp_lt_i32_e64 s[6:7], v33, v32
	v_cndmask_b32_e64 v22, 0, v22, s[6:7]
	v_perm_b32 v22, v11, v22, s35
	v_lshrrev_b32_e32 v11, 16, v6
	v_cmp_lt_i32_e64 s[6:7], v43, v17
	v_cndmask_b32_e64 v11, 0, v11, s[6:7]
	v_cmp_lt_i32_e64 s[6:7], v55, v32
	v_cndmask_b32_e64 v6, 0, v6, s[6:7]
	v_perm_b32 v6, v11, v6, s35
	v_accvgpr_read_b32 v11, a17
	v_cmp_lt_i32_e64 s[6:7], v11, v17
	v_accvgpr_read_b32 v11, a11
	v_cndmask_b32_e64 v10, 0, v10, s[6:7]
	v_cmp_lt_i32_e64 s[6:7], v11, v32
	v_cndmask_b32_e64 v11, 0, v16, s[6:7]
	v_perm_b32 v10, v10, v11, s35
.LBB325_1061:                           ;   in Loop: Header=BB325_811 Depth=1
	s_or_b64 exec, exec, s[24:25]
	;;#ASMSTART
	v_pk_mul_f16 v11, v5, v26;

	;;#ASMEND
	;;#ASMSTART
	v_pk_mul_f16 v16, v4, v22;

	;;#ASMEND
	;; [unrolled: 4-line block ×4, first 2 shown]
	;;#ASMSTART
	v_pk_add_f16 v11, v11, v16;

	;;#ASMEND
	;;#ASMSTART
	v_pk_add_f16 v6, v11, v6;

	;;#ASMEND
	;; [unrolled: 4-line block ×3, first 2 shown]
	v_lshrrev_b32_e32 v10, 16, v6
	v_and_b32_e32 v6, 0xffff, v6
	;;#ASMSTART
	v_cvt_f32_f16 v6, v6;
	;;#ASMEND
	v_accvgpr_write_b32 a29, v6
	;;#ASMSTART
	v_cvt_f32_f16 v6, v10;
	;;#ASMEND
	flat_load_dwordx2 v[60:61], v[44:45] offset:2560
	buffer_load_dword v10, off, s[0:3], s32 offset:188 ; 4-byte Folded Reload
	buffer_load_dword v11, off, s[0:3], s32 offset:192 ; 4-byte Folded Reload
	v_accvgpr_write_b32 a31, v6
	v_mov_b32_e32 v58, 0
	v_mov_b32_e32 v56, 0
	s_waitcnt vmcnt(0) lgkmcnt(0)
	v_cmp_ne_u16_sdwa s[6:7], v60, v35 src0_sel:BYTE_0 src1_sel:DWORD
	flat_load_dword v46, v[10:11]
	s_and_saveexec_b64 s[24:25], s[6:7]
	s_cbranch_execz .LBB325_1067
; %bb.1062:                             ;   in Loop: Header=BB325_811 Depth=1
	v_cmp_ne_u16_sdwa s[6:7], v60, s9 src0_sel:BYTE_0 src1_sel:DWORD
	v_bfrev_b32_e32 v56, 1
	s_and_saveexec_b64 s[26:27], s[6:7]
	s_cbranch_execz .LBB325_1066
; %bb.1063:                             ;   in Loop: Header=BB325_811 Depth=1
	v_and_b32_e32 v6, 0x7f, v60
	v_cmp_ne_u32_e64 s[6:7], s15, v6
	v_mov_b32_e32 v56, 0x7fc02000
	s_and_saveexec_b64 s[28:29], s[6:7]
	s_cbranch_execz .LBB325_1065
; %bb.1064:                             ;   in Loop: Header=BB325_811 Depth=1
	v_and_b32_e32 v10, 7, v60
	v_ffbh_u32_e32 v10, v10
	v_min_u32_e32 v10, 32, v10
	v_subrev_u32_e32 v11, 28, v10
	v_cmp_gt_u32_e64 s[6:7], 8, v6
	v_lshrrev_b32_e32 v16, 3, v6
	v_sub_u32_e32 v22, 29, v10
	v_cndmask_b32_e64 v6, 0, v11, s[6:7]
	v_lshlrev_b64 v[10:11], v6, v[60:61]
	v_cndmask_b32_e64 v6, v16, v22, s[6:7]
	v_lshlrev_b32_e32 v11, 8, v60
	v_lshl_add_u32 v6, v6, 10, v41
	v_lshlrev_b32_e32 v10, 7, v10
	v_and_or_b32 v6, v11, s21, v6
	v_and_or_b32 v6, v10, s30, v6
	v_cvt_f32_f16_e32 v56, v6
.LBB325_1065:                           ;   in Loop: Header=BB325_811 Depth=1
	s_or_b64 exec, exec, s[28:29]
.LBB325_1066:                           ;   in Loop: Header=BB325_811 Depth=1
	s_or_b64 exec, exec, s[26:27]
.LBB325_1067:                           ;   in Loop: Header=BB325_811 Depth=1
	s_or_b64 exec, exec, s[24:25]
	v_lshrrev_b16_e32 v34, 8, v60
	v_cmp_ne_u16_e64 s[6:7], 0, v34
	s_and_saveexec_b64 s[24:25], s[6:7]
	s_cbranch_execz .LBB325_1073
; %bb.1068:                             ;   in Loop: Header=BB325_811 Depth=1
	v_cmp_ne_u16_e64 s[6:7], s9, v34
	v_bfrev_b32_e32 v58, 1
	s_and_saveexec_b64 s[26:27], s[6:7]
	s_cbranch_execz .LBB325_1072
; %bb.1069:                             ;   in Loop: Header=BB325_811 Depth=1
	v_and_b32_e32 v6, 0x7f, v34
	v_cmp_ne_u32_e64 s[6:7], s15, v6
	v_mov_b32_e32 v58, 0x7fc02000
	s_and_saveexec_b64 s[28:29], s[6:7]
	s_cbranch_execz .LBB325_1071
; %bb.1070:                             ;   in Loop: Header=BB325_811 Depth=1
	v_and_b32_e32 v16, 7, v34
	v_ffbh_u32_e32 v10, v16
	v_min_u32_e32 v26, 32, v10
	v_subrev_u32_e32 v10, 28, v26
	v_lshlrev_b64 v[10:11], v10, v[34:35]
	v_lshrrev_b32_e32 v22, 3, v6
	v_sub_u32_e32 v11, 29, v26
	v_cmp_gt_u32_e64 s[6:7], 8, v6
	v_cndmask_b32_e64 v6, v22, v11, s[6:7]
	v_and_b32_e32 v10, 7, v10
	v_lshlrev_b32_e32 v11, 8, v34
	v_lshl_add_u32 v6, v6, 10, v41
	v_cndmask_b32_e64 v10, v16, v10, s[6:7]
	v_and_or_b32 v6, v11, s21, v6
	v_lshl_or_b32 v6, v10, 7, v6
	v_cvt_f32_f16_e32 v58, v6
.LBB325_1071:                           ;   in Loop: Header=BB325_811 Depth=1
	s_or_b64 exec, exec, s[28:29]
.LBB325_1072:                           ;   in Loop: Header=BB325_811 Depth=1
	s_or_b64 exec, exec, s[26:27]
.LBB325_1073:                           ;   in Loop: Header=BB325_811 Depth=1
	s_or_b64 exec, exec, s[24:25]
	v_lshrrev_b32_e32 v34, 16, v60
	v_cmp_ne_u16_sdwa s[6:7], v34, v35 src0_sel:BYTE_0 src1_sel:DWORD
	v_mov_b32_e32 v59, 0
	v_mov_b32_e32 v57, 0
	s_and_saveexec_b64 s[24:25], s[6:7]
	s_cbranch_execz .LBB325_1079
; %bb.1074:                             ;   in Loop: Header=BB325_811 Depth=1
	v_cmp_ne_u16_sdwa s[6:7], v34, s9 src0_sel:BYTE_0 src1_sel:DWORD
	v_bfrev_b32_e32 v57, 1
	s_and_saveexec_b64 s[26:27], s[6:7]
	s_cbranch_execz .LBB325_1078
; %bb.1075:                             ;   in Loop: Header=BB325_811 Depth=1
	v_bfe_u32 v6, v60, 16, 7
	v_cmp_ne_u32_e64 s[6:7], s15, v6
	v_mov_b32_e32 v57, 0x7fc02000
	s_and_saveexec_b64 s[28:29], s[6:7]
	s_cbranch_execz .LBB325_1077
; %bb.1076:                             ;   in Loop: Header=BB325_811 Depth=1
	v_and_b32_e32 v16, 7, v34
	v_ffbh_u32_e32 v10, v16
	v_min_u32_e32 v26, 32, v10
	v_subrev_u32_e32 v10, 28, v26
	v_lshlrev_b64 v[10:11], v10, v[34:35]
	v_lshrrev_b32_e32 v22, 3, v6
	v_sub_u32_e32 v11, 29, v26
	v_cmp_gt_u32_e64 s[6:7], 8, v6
	v_cndmask_b32_e64 v6, v22, v11, s[6:7]
	v_and_b32_e32 v10, 7, v10
	v_lshlrev_b32_e32 v11, 8, v34
	v_lshl_add_u32 v6, v6, 10, v41
	v_cndmask_b32_e64 v10, v16, v10, s[6:7]
	v_and_or_b32 v6, v11, s21, v6
	v_lshl_or_b32 v6, v10, 7, v6
	v_cvt_f32_f16_e32 v57, v6
.LBB325_1077:                           ;   in Loop: Header=BB325_811 Depth=1
	s_or_b64 exec, exec, s[28:29]
.LBB325_1078:                           ;   in Loop: Header=BB325_811 Depth=1
	s_or_b64 exec, exec, s[26:27]
.LBB325_1079:                           ;   in Loop: Header=BB325_811 Depth=1
	s_or_b64 exec, exec, s[24:25]
	v_cmp_lt_u32_e64 s[6:7], s13, v60
	s_and_saveexec_b64 s[24:25], s[6:7]
	s_cbranch_execz .LBB325_1085
; %bb.1080:                             ;   in Loop: Header=BB325_811 Depth=1
	v_lshrrev_b32_e32 v34, 24, v60
	v_cmp_ne_u32_e64 s[6:7], s9, v34
	v_bfrev_b32_e32 v59, 1
	s_and_saveexec_b64 s[26:27], s[6:7]
	s_cbranch_execz .LBB325_1084
; %bb.1081:                             ;   in Loop: Header=BB325_811 Depth=1
	v_and_b32_e32 v6, 0x7f, v34
	v_cmp_ne_u32_e64 s[6:7], s15, v6
	v_mov_b32_e32 v59, 0x7fc02000
	s_and_saveexec_b64 s[28:29], s[6:7]
	s_cbranch_execz .LBB325_1083
; %bb.1082:                             ;   in Loop: Header=BB325_811 Depth=1
	v_and_b32_e32 v16, 7, v34
	v_ffbh_u32_e32 v10, v16
	v_min_u32_e32 v26, 32, v10
	v_subrev_u32_e32 v10, 28, v26
	v_lshlrev_b64 v[10:11], v10, v[34:35]
	v_lshrrev_b32_e32 v22, 3, v6
	v_sub_u32_e32 v11, 29, v26
	v_cmp_gt_u32_e64 s[6:7], 8, v6
	v_cndmask_b32_e64 v6, v22, v11, s[6:7]
	v_and_b32_e32 v10, 7, v10
	v_lshlrev_b32_e32 v11, 8, v34
	v_lshl_add_u32 v6, v6, 10, v41
	v_cndmask_b32_e64 v10, v16, v10, s[6:7]
	v_and_or_b32 v6, v11, s21, v6
	v_lshl_or_b32 v6, v10, 7, v6
	v_cvt_f32_f16_e32 v59, v6
.LBB325_1083:                           ;   in Loop: Header=BB325_811 Depth=1
	s_or_b64 exec, exec, s[28:29]
.LBB325_1084:                           ;   in Loop: Header=BB325_811 Depth=1
	s_or_b64 exec, exec, s[26:27]
.LBB325_1085:                           ;   in Loop: Header=BB325_811 Depth=1
	s_or_b64 exec, exec, s[24:25]
	v_mov_b32_e32 v34, v61
	v_cmp_ne_u16_sdwa s[6:7], v61, v35 src0_sel:BYTE_0 src1_sel:DWORD
	v_mov_b32_e32 v10, 0
	v_mov_b32_e32 v6, 0
	s_and_saveexec_b64 s[24:25], s[6:7]
	s_cbranch_execz .LBB325_1091
; %bb.1086:                             ;   in Loop: Header=BB325_811 Depth=1
	v_cmp_ne_u16_sdwa s[6:7], v61, s9 src0_sel:BYTE_0 src1_sel:DWORD
	v_bfrev_b32_e32 v6, 1
	s_and_saveexec_b64 s[26:27], s[6:7]
	s_cbranch_execz .LBB325_1090
; %bb.1087:                             ;   in Loop: Header=BB325_811 Depth=1
	v_and_b32_e32 v11, 0x7f, v61
	v_cmp_ne_u32_e64 s[6:7], s15, v11
	v_mov_b32_e32 v6, 0x7fc02000
	s_and_saveexec_b64 s[28:29], s[6:7]
	s_cbranch_execz .LBB325_1089
; %bb.1088:                             ;   in Loop: Header=BB325_811 Depth=1
	v_and_b32_e32 v6, 7, v61
	v_ffbh_u32_e32 v6, v6
	v_min_u32_e32 v6, 32, v6
	v_lshrrev_b32_e32 v16, 3, v11
	v_subrev_u32_e32 v22, 28, v6
	v_sub_u32_e32 v6, 29, v6
	v_cmp_gt_u32_e64 s[6:7], 8, v11
	v_cndmask_b32_e64 v11, 0, v22, s[6:7]
	v_cndmask_b32_e64 v6, v16, v6, s[6:7]
	v_lshlrev_b64 v[26:27], v11, v[34:35]
	v_lshlrev_b32_e32 v16, 8, v61
	v_lshl_add_u32 v6, v6, 10, v41
	v_lshlrev_b32_e32 v11, 7, v26
	v_and_or_b32 v6, v16, s21, v6
	v_and_or_b32 v6, v11, s30, v6
	v_cvt_f32_f16_e32 v6, v6
.LBB325_1089:                           ;   in Loop: Header=BB325_811 Depth=1
	s_or_b64 exec, exec, s[28:29]
.LBB325_1090:                           ;   in Loop: Header=BB325_811 Depth=1
	s_or_b64 exec, exec, s[26:27]
.LBB325_1091:                           ;   in Loop: Header=BB325_811 Depth=1
	s_or_b64 exec, exec, s[24:25]
	v_lshrrev_b16_e32 v34, 8, v34
	v_cmp_ne_u16_e64 s[6:7], 0, v34
	s_and_saveexec_b64 s[24:25], s[6:7]
	s_cbranch_execz .LBB325_1097
; %bb.1092:                             ;   in Loop: Header=BB325_811 Depth=1
	v_cmp_ne_u16_e64 s[6:7], s9, v34
	v_bfrev_b32_e32 v10, 1
	s_and_saveexec_b64 s[26:27], s[6:7]
	s_cbranch_execz .LBB325_1096
; %bb.1093:                             ;   in Loop: Header=BB325_811 Depth=1
	v_and_b32_e32 v11, 0x7f, v34
	v_cmp_ne_u32_e64 s[6:7], s15, v11
	v_mov_b32_e32 v10, 0x7fc02000
	s_and_saveexec_b64 s[28:29], s[6:7]
	s_cbranch_execz .LBB325_1095
; %bb.1094:                             ;   in Loop: Header=BB325_811 Depth=1
	v_and_b32_e32 v10, 7, v34
	v_ffbh_u32_e32 v22, v10
	v_min_u32_e32 v22, 32, v22
	v_lshrrev_b32_e32 v16, 3, v11
	v_subrev_u32_e32 v26, 28, v22
	v_sub_u32_e32 v22, 29, v22
	v_cmp_gt_u32_e64 s[6:7], 8, v11
	v_lshlrev_b64 v[26:27], v26, v[34:35]
	v_cndmask_b32_e64 v11, v16, v22, s[6:7]
	v_and_b32_e32 v26, 7, v26
	v_lshlrev_b32_e32 v16, 8, v34
	v_lshl_add_u32 v11, v11, 10, v41
	v_cndmask_b32_e64 v10, v10, v26, s[6:7]
	v_and_or_b32 v11, v16, s21, v11
	v_lshl_or_b32 v10, v10, 7, v11
	v_cvt_f32_f16_e32 v10, v10
.LBB325_1095:                           ;   in Loop: Header=BB325_811 Depth=1
	s_or_b64 exec, exec, s[28:29]
.LBB325_1096:                           ;   in Loop: Header=BB325_811 Depth=1
	s_or_b64 exec, exec, s[26:27]
.LBB325_1097:                           ;   in Loop: Header=BB325_811 Depth=1
	s_or_b64 exec, exec, s[24:25]
	v_lshrrev_b32_e32 v34, 16, v61
	v_cmp_ne_u16_sdwa s[6:7], v34, v35 src0_sel:BYTE_0 src1_sel:DWORD
	v_mov_b32_e32 v11, 0
	v_mov_b32_e32 v16, 0
	s_and_saveexec_b64 s[24:25], s[6:7]
	s_cbranch_execz .LBB325_1103
; %bb.1098:                             ;   in Loop: Header=BB325_811 Depth=1
	v_cmp_ne_u16_sdwa s[6:7], v34, s9 src0_sel:BYTE_0 src1_sel:DWORD
	v_bfrev_b32_e32 v16, 1
	s_and_saveexec_b64 s[26:27], s[6:7]
	s_cbranch_execz .LBB325_1102
; %bb.1099:                             ;   in Loop: Header=BB325_811 Depth=1
	v_bfe_u32 v22, v61, 16, 7
	v_cmp_ne_u32_e64 s[6:7], s15, v22
	v_mov_b32_e32 v16, 0x7fc02000
	s_and_saveexec_b64 s[28:29], s[6:7]
	s_cbranch_execz .LBB325_1101
; %bb.1100:                             ;   in Loop: Header=BB325_811 Depth=1
	v_and_b32_e32 v16, 7, v34
	v_ffbh_u32_e32 v26, v16
	v_min_u32_e32 v36, 32, v26
	v_subrev_u32_e32 v26, 28, v36
	v_lshlrev_b64 v[26:27], v26, v[34:35]
	v_lshrrev_b32_e32 v32, 3, v22
	v_sub_u32_e32 v27, 29, v36
	v_cmp_gt_u32_e64 s[6:7], 8, v22
	v_and_b32_e32 v26, 7, v26
	v_cndmask_b32_e64 v22, v32, v27, s[6:7]
	v_cndmask_b32_e64 v16, v16, v26, s[6:7]
	v_lshlrev_b32_e32 v26, 8, v34
	v_lshl_add_u32 v22, v22, 10, v41
	v_and_or_b32 v22, v26, s21, v22
	v_lshl_or_b32 v16, v16, 7, v22
	v_cvt_f32_f16_e32 v16, v16
.LBB325_1101:                           ;   in Loop: Header=BB325_811 Depth=1
	s_or_b64 exec, exec, s[28:29]
.LBB325_1102:                           ;   in Loop: Header=BB325_811 Depth=1
	s_or_b64 exec, exec, s[26:27]
.LBB325_1103:                           ;   in Loop: Header=BB325_811 Depth=1
	s_or_b64 exec, exec, s[24:25]
	v_cmp_lt_u64_e64 s[6:7], s[12:13], v[60:61]
	s_and_saveexec_b64 s[24:25], s[6:7]
	s_cbranch_execz .LBB325_1109
; %bb.1104:                             ;   in Loop: Header=BB325_811 Depth=1
	v_lshrrev_b32_e32 v34, 24, v61
	v_cmp_ne_u32_e64 s[6:7], s9, v34
	v_bfrev_b32_e32 v11, 1
	s_and_saveexec_b64 s[26:27], s[6:7]
	s_cbranch_execz .LBB325_1108
; %bb.1105:                             ;   in Loop: Header=BB325_811 Depth=1
	v_and_b32_e32 v22, 0x7f, v34
	v_cmp_ne_u32_e64 s[6:7], s15, v22
	v_mov_b32_e32 v11, 0x7fc02000
	s_and_saveexec_b64 s[28:29], s[6:7]
	s_cbranch_execz .LBB325_1107
; %bb.1106:                             ;   in Loop: Header=BB325_811 Depth=1
	v_and_b32_e32 v11, 7, v34
	v_ffbh_u32_e32 v26, v11
	v_min_u32_e32 v36, 32, v26
	v_subrev_u32_e32 v26, 28, v36
	v_lshlrev_b64 v[26:27], v26, v[34:35]
	v_lshrrev_b32_e32 v32, 3, v22
	v_sub_u32_e32 v27, 29, v36
	v_cmp_gt_u32_e64 s[6:7], 8, v22
	v_and_b32_e32 v26, 7, v26
	v_cndmask_b32_e64 v22, v32, v27, s[6:7]
	v_cndmask_b32_e64 v11, v11, v26, s[6:7]
	v_lshlrev_b32_e32 v26, 8, v34
	v_lshl_add_u32 v22, v22, 10, v41
	v_and_or_b32 v22, v26, s21, v22
	v_lshl_or_b32 v11, v11, 7, v22
	v_cvt_f32_f16_e32 v11, v11
.LBB325_1107:                           ;   in Loop: Header=BB325_811 Depth=1
	s_or_b64 exec, exec, s[28:29]
.LBB325_1108:                           ;   in Loop: Header=BB325_811 Depth=1
	s_or_b64 exec, exec, s[26:27]
.LBB325_1109:                           ;   in Loop: Header=BB325_811 Depth=1
	s_or_b64 exec, exec, s[24:25]
	s_waitcnt vmcnt(0) lgkmcnt(0)
	v_pk_mul_f32 v[26:27], v[46:47], v[58:59] op_sel_hi:[0,1]
	v_pk_mul_f32 v[50:51], v[46:47], v[56:57] op_sel_hi:[0,1]
	v_cvt_f16_f32_e32 v22, v27
	v_cvt_f16_f32_e32 v26, v26
	;; [unrolled: 1-line block ×4, first 2 shown]
	v_fma_mixlo_f16 v10, v46, v10, 0
	v_lshlrev_b32_e32 v10, 16, v10
	v_fma_mixlo_f16 v6, v46, v6, 0
	v_or_b32_sdwa v6, v10, v6 dst_sel:DWORD dst_unused:UNUSED_PAD src0_sel:DWORD src1_sel:WORD_0
	v_fma_mixlo_f16 v10, v46, v11, 0
	v_pack_b32_f16 v26, v26, v22
	v_pack_b32_f16 v27, v32, v27
	v_fma_mixlo_f16 v16, v46, v16, 0
	v_lshlrev_b32_e32 v10, 16, v10
	v_perm_b32 v22, v27, v26, s31
	v_perm_b32 v26, v27, v26, s34
	v_or_b32_sdwa v10, v10, v16 dst_sel:DWORD dst_unused:UNUSED_PAD src0_sel:DWORD src1_sel:WORD_0
	s_and_saveexec_b64 s[24:25], vcc
	s_cbranch_execz .LBB325_1111
; %bb.1110:                             ;   in Loop: Header=BB325_811 Depth=1
	buffer_load_dword v36, off, s[0:3], s32 offset:196 ; 4-byte Folded Reload
	buffer_load_dword v37, off, s[0:3], s32 offset:200 ; 4-byte Folded Reload
	v_lshrrev_b32_e32 v11, 16, v26
	v_cmp_lt_i32_e64 s[6:7], v38, v17
	v_cndmask_b32_e64 v11, 0, v11, s[6:7]
	v_lshrrev_b32_e32 v10, 16, v10
	s_waitcnt vmcnt(1)
	v_mov_b32_e32 v32, v36
	v_cmp_lt_i32_e64 s[6:7], v7, v32
	v_cndmask_b32_e64 v26, 0, v26, s[6:7]
	v_perm_b32 v26, v11, v26, s35
	v_lshrrev_b32_e32 v11, 16, v22
	v_cmp_lt_i32_e64 s[6:7], v62, v17
	v_cndmask_b32_e64 v11, 0, v11, s[6:7]
	v_cmp_lt_i32_e64 s[6:7], v33, v32
	v_cndmask_b32_e64 v22, 0, v22, s[6:7]
	v_perm_b32 v22, v11, v22, s35
	v_lshrrev_b32_e32 v11, 16, v6
	v_cmp_lt_i32_e64 s[6:7], v43, v17
	v_cndmask_b32_e64 v11, 0, v11, s[6:7]
	v_cmp_lt_i32_e64 s[6:7], v55, v32
	v_cndmask_b32_e64 v6, 0, v6, s[6:7]
	v_perm_b32 v6, v11, v6, s35
	v_accvgpr_read_b32 v11, a17
	v_cmp_lt_i32_e64 s[6:7], v11, v17
	v_accvgpr_read_b32 v11, a11
	v_cndmask_b32_e64 v10, 0, v10, s[6:7]
	v_cmp_lt_i32_e64 s[6:7], v11, v32
	v_cndmask_b32_e64 v11, 0, v16, s[6:7]
	v_perm_b32 v10, v10, v11, s35
.LBB325_1111:                           ;   in Loop: Header=BB325_811 Depth=1
	s_or_b64 exec, exec, s[24:25]
	;;#ASMSTART
	v_pk_mul_f16 v11, v5, v26;

	;;#ASMEND
	;;#ASMSTART
	v_pk_mul_f16 v16, v4, v22;

	;;#ASMEND
	;; [unrolled: 4-line block ×4, first 2 shown]
	;;#ASMSTART
	v_pk_add_f16 v11, v11, v16;

	;;#ASMEND
	;;#ASMSTART
	v_pk_add_f16 v6, v11, v6;

	;;#ASMEND
	;; [unrolled: 4-line block ×3, first 2 shown]
	v_lshrrev_b32_e32 v10, 16, v6
	v_and_b32_e32 v6, 0xffff, v6
	;;#ASMSTART
	v_cvt_f32_f16 v6, v6;
	;;#ASMEND
	v_accvgpr_write_b32 a33, v6
	;;#ASMSTART
	v_cvt_f32_f16 v6, v10;
	;;#ASMEND
	flat_load_dwordx2 v[60:61], v[44:45] offset:3072
	buffer_load_dword v10, off, s[0:3], s32 offset:188 ; 4-byte Folded Reload
	buffer_load_dword v11, off, s[0:3], s32 offset:192 ; 4-byte Folded Reload
	v_accvgpr_write_b32 a35, v6
	v_mov_b32_e32 v58, 0
	v_mov_b32_e32 v56, 0
	s_waitcnt vmcnt(0) lgkmcnt(0)
	v_cmp_ne_u16_sdwa s[6:7], v60, v35 src0_sel:BYTE_0 src1_sel:DWORD
	flat_load_dword v46, v[10:11]
	s_and_saveexec_b64 s[24:25], s[6:7]
	s_cbranch_execz .LBB325_1117
; %bb.1112:                             ;   in Loop: Header=BB325_811 Depth=1
	v_cmp_ne_u16_sdwa s[6:7], v60, s9 src0_sel:BYTE_0 src1_sel:DWORD
	v_bfrev_b32_e32 v56, 1
	s_and_saveexec_b64 s[26:27], s[6:7]
	s_cbranch_execz .LBB325_1116
; %bb.1113:                             ;   in Loop: Header=BB325_811 Depth=1
	v_and_b32_e32 v6, 0x7f, v60
	v_cmp_ne_u32_e64 s[6:7], s15, v6
	v_mov_b32_e32 v56, 0x7fc02000
	s_and_saveexec_b64 s[28:29], s[6:7]
	s_cbranch_execz .LBB325_1115
; %bb.1114:                             ;   in Loop: Header=BB325_811 Depth=1
	v_and_b32_e32 v10, 7, v60
	v_ffbh_u32_e32 v10, v10
	v_min_u32_e32 v10, 32, v10
	v_subrev_u32_e32 v11, 28, v10
	v_cmp_gt_u32_e64 s[6:7], 8, v6
	v_lshrrev_b32_e32 v16, 3, v6
	v_sub_u32_e32 v22, 29, v10
	v_cndmask_b32_e64 v6, 0, v11, s[6:7]
	v_lshlrev_b64 v[10:11], v6, v[60:61]
	v_cndmask_b32_e64 v6, v16, v22, s[6:7]
	v_lshlrev_b32_e32 v11, 8, v60
	v_lshl_add_u32 v6, v6, 10, v41
	v_lshlrev_b32_e32 v10, 7, v10
	v_and_or_b32 v6, v11, s21, v6
	v_and_or_b32 v6, v10, s30, v6
	v_cvt_f32_f16_e32 v56, v6
.LBB325_1115:                           ;   in Loop: Header=BB325_811 Depth=1
	s_or_b64 exec, exec, s[28:29]
.LBB325_1116:                           ;   in Loop: Header=BB325_811 Depth=1
	s_or_b64 exec, exec, s[26:27]
.LBB325_1117:                           ;   in Loop: Header=BB325_811 Depth=1
	s_or_b64 exec, exec, s[24:25]
	v_lshrrev_b16_e32 v34, 8, v60
	v_cmp_ne_u16_e64 s[6:7], 0, v34
	s_and_saveexec_b64 s[24:25], s[6:7]
	s_cbranch_execz .LBB325_1123
; %bb.1118:                             ;   in Loop: Header=BB325_811 Depth=1
	v_cmp_ne_u16_e64 s[6:7], s9, v34
	v_bfrev_b32_e32 v58, 1
	s_and_saveexec_b64 s[26:27], s[6:7]
	s_cbranch_execz .LBB325_1122
; %bb.1119:                             ;   in Loop: Header=BB325_811 Depth=1
	v_and_b32_e32 v6, 0x7f, v34
	v_cmp_ne_u32_e64 s[6:7], s15, v6
	v_mov_b32_e32 v58, 0x7fc02000
	s_and_saveexec_b64 s[28:29], s[6:7]
	s_cbranch_execz .LBB325_1121
; %bb.1120:                             ;   in Loop: Header=BB325_811 Depth=1
	v_and_b32_e32 v16, 7, v34
	v_ffbh_u32_e32 v10, v16
	v_min_u32_e32 v26, 32, v10
	v_subrev_u32_e32 v10, 28, v26
	v_lshlrev_b64 v[10:11], v10, v[34:35]
	v_lshrrev_b32_e32 v22, 3, v6
	v_sub_u32_e32 v11, 29, v26
	v_cmp_gt_u32_e64 s[6:7], 8, v6
	v_cndmask_b32_e64 v6, v22, v11, s[6:7]
	v_and_b32_e32 v10, 7, v10
	v_lshlrev_b32_e32 v11, 8, v34
	v_lshl_add_u32 v6, v6, 10, v41
	v_cndmask_b32_e64 v10, v16, v10, s[6:7]
	v_and_or_b32 v6, v11, s21, v6
	v_lshl_or_b32 v6, v10, 7, v6
	v_cvt_f32_f16_e32 v58, v6
.LBB325_1121:                           ;   in Loop: Header=BB325_811 Depth=1
	s_or_b64 exec, exec, s[28:29]
.LBB325_1122:                           ;   in Loop: Header=BB325_811 Depth=1
	s_or_b64 exec, exec, s[26:27]
.LBB325_1123:                           ;   in Loop: Header=BB325_811 Depth=1
	s_or_b64 exec, exec, s[24:25]
	v_lshrrev_b32_e32 v34, 16, v60
	v_cmp_ne_u16_sdwa s[6:7], v34, v35 src0_sel:BYTE_0 src1_sel:DWORD
	v_mov_b32_e32 v59, 0
	v_mov_b32_e32 v57, 0
	s_and_saveexec_b64 s[24:25], s[6:7]
	s_cbranch_execz .LBB325_1129
; %bb.1124:                             ;   in Loop: Header=BB325_811 Depth=1
	v_cmp_ne_u16_sdwa s[6:7], v34, s9 src0_sel:BYTE_0 src1_sel:DWORD
	v_bfrev_b32_e32 v57, 1
	s_and_saveexec_b64 s[26:27], s[6:7]
	s_cbranch_execz .LBB325_1128
; %bb.1125:                             ;   in Loop: Header=BB325_811 Depth=1
	v_bfe_u32 v6, v60, 16, 7
	v_cmp_ne_u32_e64 s[6:7], s15, v6
	v_mov_b32_e32 v57, 0x7fc02000
	s_and_saveexec_b64 s[28:29], s[6:7]
	s_cbranch_execz .LBB325_1127
; %bb.1126:                             ;   in Loop: Header=BB325_811 Depth=1
	v_and_b32_e32 v16, 7, v34
	v_ffbh_u32_e32 v10, v16
	v_min_u32_e32 v26, 32, v10
	v_subrev_u32_e32 v10, 28, v26
	v_lshlrev_b64 v[10:11], v10, v[34:35]
	v_lshrrev_b32_e32 v22, 3, v6
	v_sub_u32_e32 v11, 29, v26
	v_cmp_gt_u32_e64 s[6:7], 8, v6
	v_cndmask_b32_e64 v6, v22, v11, s[6:7]
	v_and_b32_e32 v10, 7, v10
	v_lshlrev_b32_e32 v11, 8, v34
	v_lshl_add_u32 v6, v6, 10, v41
	v_cndmask_b32_e64 v10, v16, v10, s[6:7]
	v_and_or_b32 v6, v11, s21, v6
	v_lshl_or_b32 v6, v10, 7, v6
	v_cvt_f32_f16_e32 v57, v6
.LBB325_1127:                           ;   in Loop: Header=BB325_811 Depth=1
	s_or_b64 exec, exec, s[28:29]
.LBB325_1128:                           ;   in Loop: Header=BB325_811 Depth=1
	s_or_b64 exec, exec, s[26:27]
.LBB325_1129:                           ;   in Loop: Header=BB325_811 Depth=1
	s_or_b64 exec, exec, s[24:25]
	v_cmp_lt_u32_e64 s[6:7], s13, v60
	s_and_saveexec_b64 s[24:25], s[6:7]
	s_cbranch_execz .LBB325_1135
; %bb.1130:                             ;   in Loop: Header=BB325_811 Depth=1
	v_lshrrev_b32_e32 v34, 24, v60
	v_cmp_ne_u32_e64 s[6:7], s9, v34
	v_bfrev_b32_e32 v59, 1
	s_and_saveexec_b64 s[26:27], s[6:7]
	s_cbranch_execz .LBB325_1134
; %bb.1131:                             ;   in Loop: Header=BB325_811 Depth=1
	v_and_b32_e32 v6, 0x7f, v34
	v_cmp_ne_u32_e64 s[6:7], s15, v6
	v_mov_b32_e32 v59, 0x7fc02000
	s_and_saveexec_b64 s[28:29], s[6:7]
	s_cbranch_execz .LBB325_1133
; %bb.1132:                             ;   in Loop: Header=BB325_811 Depth=1
	v_and_b32_e32 v16, 7, v34
	v_ffbh_u32_e32 v10, v16
	v_min_u32_e32 v26, 32, v10
	v_subrev_u32_e32 v10, 28, v26
	v_lshlrev_b64 v[10:11], v10, v[34:35]
	v_lshrrev_b32_e32 v22, 3, v6
	v_sub_u32_e32 v11, 29, v26
	v_cmp_gt_u32_e64 s[6:7], 8, v6
	v_cndmask_b32_e64 v6, v22, v11, s[6:7]
	v_and_b32_e32 v10, 7, v10
	v_lshlrev_b32_e32 v11, 8, v34
	v_lshl_add_u32 v6, v6, 10, v41
	v_cndmask_b32_e64 v10, v16, v10, s[6:7]
	v_and_or_b32 v6, v11, s21, v6
	v_lshl_or_b32 v6, v10, 7, v6
	v_cvt_f32_f16_e32 v59, v6
.LBB325_1133:                           ;   in Loop: Header=BB325_811 Depth=1
	s_or_b64 exec, exec, s[28:29]
.LBB325_1134:                           ;   in Loop: Header=BB325_811 Depth=1
	s_or_b64 exec, exec, s[26:27]
.LBB325_1135:                           ;   in Loop: Header=BB325_811 Depth=1
	s_or_b64 exec, exec, s[24:25]
	v_mov_b32_e32 v34, v61
	v_cmp_ne_u16_sdwa s[6:7], v61, v35 src0_sel:BYTE_0 src1_sel:DWORD
	v_mov_b32_e32 v10, 0
	v_mov_b32_e32 v6, 0
	s_and_saveexec_b64 s[24:25], s[6:7]
	s_cbranch_execz .LBB325_1141
; %bb.1136:                             ;   in Loop: Header=BB325_811 Depth=1
	v_cmp_ne_u16_sdwa s[6:7], v61, s9 src0_sel:BYTE_0 src1_sel:DWORD
	v_bfrev_b32_e32 v6, 1
	s_and_saveexec_b64 s[26:27], s[6:7]
	s_cbranch_execz .LBB325_1140
; %bb.1137:                             ;   in Loop: Header=BB325_811 Depth=1
	v_and_b32_e32 v11, 0x7f, v61
	v_cmp_ne_u32_e64 s[6:7], s15, v11
	v_mov_b32_e32 v6, 0x7fc02000
	s_and_saveexec_b64 s[28:29], s[6:7]
	s_cbranch_execz .LBB325_1139
; %bb.1138:                             ;   in Loop: Header=BB325_811 Depth=1
	v_and_b32_e32 v6, 7, v61
	v_ffbh_u32_e32 v6, v6
	v_min_u32_e32 v6, 32, v6
	v_lshrrev_b32_e32 v16, 3, v11
	v_subrev_u32_e32 v22, 28, v6
	v_sub_u32_e32 v6, 29, v6
	v_cmp_gt_u32_e64 s[6:7], 8, v11
	v_cndmask_b32_e64 v11, 0, v22, s[6:7]
	v_cndmask_b32_e64 v6, v16, v6, s[6:7]
	v_lshlrev_b64 v[26:27], v11, v[34:35]
	v_lshlrev_b32_e32 v16, 8, v61
	v_lshl_add_u32 v6, v6, 10, v41
	v_lshlrev_b32_e32 v11, 7, v26
	v_and_or_b32 v6, v16, s21, v6
	v_and_or_b32 v6, v11, s30, v6
	v_cvt_f32_f16_e32 v6, v6
.LBB325_1139:                           ;   in Loop: Header=BB325_811 Depth=1
	s_or_b64 exec, exec, s[28:29]
.LBB325_1140:                           ;   in Loop: Header=BB325_811 Depth=1
	s_or_b64 exec, exec, s[26:27]
.LBB325_1141:                           ;   in Loop: Header=BB325_811 Depth=1
	s_or_b64 exec, exec, s[24:25]
	v_lshrrev_b16_e32 v34, 8, v34
	v_cmp_ne_u16_e64 s[6:7], 0, v34
	s_and_saveexec_b64 s[24:25], s[6:7]
	s_cbranch_execz .LBB325_1147
; %bb.1142:                             ;   in Loop: Header=BB325_811 Depth=1
	v_cmp_ne_u16_e64 s[6:7], s9, v34
	v_bfrev_b32_e32 v10, 1
	s_and_saveexec_b64 s[26:27], s[6:7]
	s_cbranch_execz .LBB325_1146
; %bb.1143:                             ;   in Loop: Header=BB325_811 Depth=1
	v_and_b32_e32 v11, 0x7f, v34
	v_cmp_ne_u32_e64 s[6:7], s15, v11
	v_mov_b32_e32 v10, 0x7fc02000
	s_and_saveexec_b64 s[28:29], s[6:7]
	s_cbranch_execz .LBB325_1145
; %bb.1144:                             ;   in Loop: Header=BB325_811 Depth=1
	v_and_b32_e32 v10, 7, v34
	v_ffbh_u32_e32 v22, v10
	v_min_u32_e32 v22, 32, v22
	v_lshrrev_b32_e32 v16, 3, v11
	v_subrev_u32_e32 v26, 28, v22
	v_sub_u32_e32 v22, 29, v22
	v_cmp_gt_u32_e64 s[6:7], 8, v11
	v_lshlrev_b64 v[26:27], v26, v[34:35]
	v_cndmask_b32_e64 v11, v16, v22, s[6:7]
	v_and_b32_e32 v26, 7, v26
	v_lshlrev_b32_e32 v16, 8, v34
	v_lshl_add_u32 v11, v11, 10, v41
	v_cndmask_b32_e64 v10, v10, v26, s[6:7]
	v_and_or_b32 v11, v16, s21, v11
	v_lshl_or_b32 v10, v10, 7, v11
	v_cvt_f32_f16_e32 v10, v10
.LBB325_1145:                           ;   in Loop: Header=BB325_811 Depth=1
	s_or_b64 exec, exec, s[28:29]
.LBB325_1146:                           ;   in Loop: Header=BB325_811 Depth=1
	s_or_b64 exec, exec, s[26:27]
.LBB325_1147:                           ;   in Loop: Header=BB325_811 Depth=1
	s_or_b64 exec, exec, s[24:25]
	v_lshrrev_b32_e32 v34, 16, v61
	v_cmp_ne_u16_sdwa s[6:7], v34, v35 src0_sel:BYTE_0 src1_sel:DWORD
	v_mov_b32_e32 v11, 0
	v_mov_b32_e32 v16, 0
	s_and_saveexec_b64 s[24:25], s[6:7]
	s_cbranch_execz .LBB325_1153
; %bb.1148:                             ;   in Loop: Header=BB325_811 Depth=1
	v_cmp_ne_u16_sdwa s[6:7], v34, s9 src0_sel:BYTE_0 src1_sel:DWORD
	v_bfrev_b32_e32 v16, 1
	s_and_saveexec_b64 s[26:27], s[6:7]
	s_cbranch_execz .LBB325_1152
; %bb.1149:                             ;   in Loop: Header=BB325_811 Depth=1
	v_bfe_u32 v22, v61, 16, 7
	v_cmp_ne_u32_e64 s[6:7], s15, v22
	v_mov_b32_e32 v16, 0x7fc02000
	s_and_saveexec_b64 s[28:29], s[6:7]
	s_cbranch_execz .LBB325_1151
; %bb.1150:                             ;   in Loop: Header=BB325_811 Depth=1
	v_and_b32_e32 v16, 7, v34
	v_ffbh_u32_e32 v26, v16
	v_min_u32_e32 v36, 32, v26
	v_subrev_u32_e32 v26, 28, v36
	v_lshlrev_b64 v[26:27], v26, v[34:35]
	v_lshrrev_b32_e32 v32, 3, v22
	v_sub_u32_e32 v27, 29, v36
	v_cmp_gt_u32_e64 s[6:7], 8, v22
	v_and_b32_e32 v26, 7, v26
	v_cndmask_b32_e64 v22, v32, v27, s[6:7]
	v_cndmask_b32_e64 v16, v16, v26, s[6:7]
	v_lshlrev_b32_e32 v26, 8, v34
	v_lshl_add_u32 v22, v22, 10, v41
	v_and_or_b32 v22, v26, s21, v22
	v_lshl_or_b32 v16, v16, 7, v22
	v_cvt_f32_f16_e32 v16, v16
.LBB325_1151:                           ;   in Loop: Header=BB325_811 Depth=1
	s_or_b64 exec, exec, s[28:29]
.LBB325_1152:                           ;   in Loop: Header=BB325_811 Depth=1
	s_or_b64 exec, exec, s[26:27]
.LBB325_1153:                           ;   in Loop: Header=BB325_811 Depth=1
	s_or_b64 exec, exec, s[24:25]
	v_cmp_lt_u64_e64 s[6:7], s[12:13], v[60:61]
	s_and_saveexec_b64 s[24:25], s[6:7]
	s_cbranch_execz .LBB325_1159
; %bb.1154:                             ;   in Loop: Header=BB325_811 Depth=1
	v_lshrrev_b32_e32 v34, 24, v61
	v_cmp_ne_u32_e64 s[6:7], s9, v34
	v_bfrev_b32_e32 v11, 1
	s_and_saveexec_b64 s[26:27], s[6:7]
	s_cbranch_execz .LBB325_1158
; %bb.1155:                             ;   in Loop: Header=BB325_811 Depth=1
	v_and_b32_e32 v22, 0x7f, v34
	v_cmp_ne_u32_e64 s[6:7], s15, v22
	v_mov_b32_e32 v11, 0x7fc02000
	s_and_saveexec_b64 s[28:29], s[6:7]
	s_cbranch_execz .LBB325_1157
; %bb.1156:                             ;   in Loop: Header=BB325_811 Depth=1
	v_and_b32_e32 v11, 7, v34
	v_ffbh_u32_e32 v26, v11
	v_min_u32_e32 v36, 32, v26
	v_subrev_u32_e32 v26, 28, v36
	v_lshlrev_b64 v[26:27], v26, v[34:35]
	v_lshrrev_b32_e32 v32, 3, v22
	v_sub_u32_e32 v27, 29, v36
	v_cmp_gt_u32_e64 s[6:7], 8, v22
	v_and_b32_e32 v26, 7, v26
	v_cndmask_b32_e64 v22, v32, v27, s[6:7]
	v_cndmask_b32_e64 v11, v11, v26, s[6:7]
	v_lshlrev_b32_e32 v26, 8, v34
	v_lshl_add_u32 v22, v22, 10, v41
	v_and_or_b32 v22, v26, s21, v22
	v_lshl_or_b32 v11, v11, 7, v22
	v_cvt_f32_f16_e32 v11, v11
.LBB325_1157:                           ;   in Loop: Header=BB325_811 Depth=1
	s_or_b64 exec, exec, s[28:29]
.LBB325_1158:                           ;   in Loop: Header=BB325_811 Depth=1
	s_or_b64 exec, exec, s[26:27]
.LBB325_1159:                           ;   in Loop: Header=BB325_811 Depth=1
	s_or_b64 exec, exec, s[24:25]
	s_waitcnt vmcnt(0) lgkmcnt(0)
	v_pk_mul_f32 v[26:27], v[46:47], v[58:59] op_sel_hi:[0,1]
	v_pk_mul_f32 v[50:51], v[46:47], v[56:57] op_sel_hi:[0,1]
	v_cvt_f16_f32_e32 v22, v27
	v_cvt_f16_f32_e32 v26, v26
	;; [unrolled: 1-line block ×4, first 2 shown]
	v_fma_mixlo_f16 v10, v46, v10, 0
	v_lshlrev_b32_e32 v10, 16, v10
	v_fma_mixlo_f16 v6, v46, v6, 0
	v_or_b32_sdwa v6, v10, v6 dst_sel:DWORD dst_unused:UNUSED_PAD src0_sel:DWORD src1_sel:WORD_0
	v_fma_mixlo_f16 v10, v46, v11, 0
	v_pack_b32_f16 v26, v26, v22
	v_pack_b32_f16 v27, v32, v27
	v_fma_mixlo_f16 v16, v46, v16, 0
	v_lshlrev_b32_e32 v10, 16, v10
	v_perm_b32 v22, v27, v26, s31
	v_perm_b32 v26, v27, v26, s34
	v_or_b32_sdwa v10, v10, v16 dst_sel:DWORD dst_unused:UNUSED_PAD src0_sel:DWORD src1_sel:WORD_0
	s_and_saveexec_b64 s[24:25], vcc
	s_cbranch_execz .LBB325_1161
; %bb.1160:                             ;   in Loop: Header=BB325_811 Depth=1
	buffer_load_dword v36, off, s[0:3], s32 offset:196 ; 4-byte Folded Reload
	buffer_load_dword v37, off, s[0:3], s32 offset:200 ; 4-byte Folded Reload
	v_lshrrev_b32_e32 v11, 16, v26
	v_cmp_lt_i32_e64 s[6:7], v38, v17
	v_cndmask_b32_e64 v11, 0, v11, s[6:7]
	v_lshrrev_b32_e32 v10, 16, v10
	s_waitcnt vmcnt(1)
	v_mov_b32_e32 v32, v36
	v_cmp_lt_i32_e64 s[6:7], v7, v32
	v_cndmask_b32_e64 v26, 0, v26, s[6:7]
	v_perm_b32 v26, v11, v26, s35
	v_lshrrev_b32_e32 v11, 16, v22
	v_cmp_lt_i32_e64 s[6:7], v62, v17
	v_cndmask_b32_e64 v11, 0, v11, s[6:7]
	v_cmp_lt_i32_e64 s[6:7], v33, v32
	v_cndmask_b32_e64 v22, 0, v22, s[6:7]
	v_perm_b32 v22, v11, v22, s35
	v_lshrrev_b32_e32 v11, 16, v6
	v_cmp_lt_i32_e64 s[6:7], v43, v17
	v_cndmask_b32_e64 v11, 0, v11, s[6:7]
	v_cmp_lt_i32_e64 s[6:7], v55, v32
	v_cndmask_b32_e64 v6, 0, v6, s[6:7]
	v_perm_b32 v6, v11, v6, s35
	v_accvgpr_read_b32 v11, a17
	v_cmp_lt_i32_e64 s[6:7], v11, v17
	v_accvgpr_read_b32 v11, a11
	v_cndmask_b32_e64 v10, 0, v10, s[6:7]
	v_cmp_lt_i32_e64 s[6:7], v11, v32
	v_cndmask_b32_e64 v11, 0, v16, s[6:7]
	v_perm_b32 v10, v10, v11, s35
.LBB325_1161:                           ;   in Loop: Header=BB325_811 Depth=1
	s_or_b64 exec, exec, s[24:25]
	;;#ASMSTART
	v_pk_mul_f16 v11, v5, v26;

	;;#ASMEND
	;;#ASMSTART
	v_pk_mul_f16 v16, v4, v22;

	;;#ASMEND
	;; [unrolled: 4-line block ×4, first 2 shown]
	;;#ASMSTART
	v_pk_add_f16 v11, v11, v16;

	;;#ASMEND
	;;#ASMSTART
	v_pk_add_f16 v6, v11, v6;

	;;#ASMEND
	;;#ASMSTART
	v_pk_add_f16 v6, v6, v10;

	;;#ASMEND
	v_lshrrev_b32_e32 v10, 16, v6
	v_and_b32_e32 v6, 0xffff, v6
	;;#ASMSTART
	v_cvt_f32_f16 v6, v6;
	;;#ASMEND
	v_accvgpr_write_b32 a37, v6
	;;#ASMSTART
	v_cvt_f32_f16 v6, v10;
	;;#ASMEND
	flat_load_dwordx2 v[58:59], v[44:45] offset:3584
	buffer_load_dword v10, off, s[0:3], s32 offset:188 ; 4-byte Folded Reload
	buffer_load_dword v11, off, s[0:3], s32 offset:192 ; 4-byte Folded Reload
	v_accvgpr_write_b32 a39, v6
	v_mov_b32_e32 v56, 0
	v_mov_b32_e32 v46, 0
	s_waitcnt vmcnt(0) lgkmcnt(0)
	v_cmp_ne_u16_sdwa s[6:7], v58, v35 src0_sel:BYTE_0 src1_sel:DWORD
	flat_load_dword v44, v[10:11]
	s_and_saveexec_b64 s[24:25], s[6:7]
	s_cbranch_execz .LBB325_1167
; %bb.1162:                             ;   in Loop: Header=BB325_811 Depth=1
	v_cmp_ne_u16_sdwa s[6:7], v58, s9 src0_sel:BYTE_0 src1_sel:DWORD
	v_bfrev_b32_e32 v46, 1
	s_and_saveexec_b64 s[26:27], s[6:7]
	s_cbranch_execz .LBB325_1166
; %bb.1163:                             ;   in Loop: Header=BB325_811 Depth=1
	v_and_b32_e32 v6, 0x7f, v58
	v_cmp_ne_u32_e64 s[6:7], s15, v6
	v_mov_b32_e32 v46, 0x7fc02000
	s_and_saveexec_b64 s[28:29], s[6:7]
	s_cbranch_execz .LBB325_1165
; %bb.1164:                             ;   in Loop: Header=BB325_811 Depth=1
	v_and_b32_e32 v10, 7, v58
	v_ffbh_u32_e32 v10, v10
	v_min_u32_e32 v10, 32, v10
	v_subrev_u32_e32 v11, 28, v10
	v_cmp_gt_u32_e64 s[6:7], 8, v6
	v_lshrrev_b32_e32 v16, 3, v6
	v_sub_u32_e32 v22, 29, v10
	v_cndmask_b32_e64 v6, 0, v11, s[6:7]
	v_lshlrev_b64 v[10:11], v6, v[58:59]
	v_cndmask_b32_e64 v6, v16, v22, s[6:7]
	v_lshlrev_b32_e32 v11, 8, v58
	v_lshl_add_u32 v6, v6, 10, v41
	v_lshlrev_b32_e32 v10, 7, v10
	v_and_or_b32 v6, v11, s21, v6
	v_and_or_b32 v6, v10, s30, v6
	v_cvt_f32_f16_e32 v46, v6
.LBB325_1165:                           ;   in Loop: Header=BB325_811 Depth=1
	s_or_b64 exec, exec, s[28:29]
.LBB325_1166:                           ;   in Loop: Header=BB325_811 Depth=1
	s_or_b64 exec, exec, s[26:27]
.LBB325_1167:                           ;   in Loop: Header=BB325_811 Depth=1
	s_or_b64 exec, exec, s[24:25]
	v_lshrrev_b16_e32 v34, 8, v58
	v_cmp_ne_u16_e64 s[6:7], 0, v34
	s_and_saveexec_b64 s[24:25], s[6:7]
	s_cbranch_execz .LBB325_1173
; %bb.1168:                             ;   in Loop: Header=BB325_811 Depth=1
	v_cmp_ne_u16_e64 s[6:7], s9, v34
	v_bfrev_b32_e32 v56, 1
	s_and_saveexec_b64 s[26:27], s[6:7]
	s_cbranch_execz .LBB325_1172
; %bb.1169:                             ;   in Loop: Header=BB325_811 Depth=1
	v_and_b32_e32 v6, 0x7f, v34
	v_cmp_ne_u32_e64 s[6:7], s15, v6
	v_mov_b32_e32 v56, 0x7fc02000
	s_and_saveexec_b64 s[28:29], s[6:7]
	s_cbranch_execz .LBB325_1171
; %bb.1170:                             ;   in Loop: Header=BB325_811 Depth=1
	v_and_b32_e32 v16, 7, v34
	v_ffbh_u32_e32 v10, v16
	v_min_u32_e32 v26, 32, v10
	v_subrev_u32_e32 v10, 28, v26
	v_lshlrev_b64 v[10:11], v10, v[34:35]
	v_lshrrev_b32_e32 v22, 3, v6
	v_sub_u32_e32 v11, 29, v26
	v_cmp_gt_u32_e64 s[6:7], 8, v6
	v_cndmask_b32_e64 v6, v22, v11, s[6:7]
	v_and_b32_e32 v10, 7, v10
	v_lshlrev_b32_e32 v11, 8, v34
	v_lshl_add_u32 v6, v6, 10, v41
	v_cndmask_b32_e64 v10, v16, v10, s[6:7]
	v_and_or_b32 v6, v11, s21, v6
	v_lshl_or_b32 v6, v10, 7, v6
	v_cvt_f32_f16_e32 v56, v6
.LBB325_1171:                           ;   in Loop: Header=BB325_811 Depth=1
	s_or_b64 exec, exec, s[28:29]
.LBB325_1172:                           ;   in Loop: Header=BB325_811 Depth=1
	s_or_b64 exec, exec, s[26:27]
.LBB325_1173:                           ;   in Loop: Header=BB325_811 Depth=1
	s_or_b64 exec, exec, s[24:25]
	v_lshrrev_b32_e32 v34, 16, v58
	v_cmp_ne_u16_sdwa s[6:7], v34, v35 src0_sel:BYTE_0 src1_sel:DWORD
	v_mov_b32_e32 v57, 0
	v_mov_b32_e32 v47, 0
	s_and_saveexec_b64 s[24:25], s[6:7]
	s_cbranch_execz .LBB325_1179
; %bb.1174:                             ;   in Loop: Header=BB325_811 Depth=1
	v_cmp_ne_u16_sdwa s[6:7], v34, s9 src0_sel:BYTE_0 src1_sel:DWORD
	v_bfrev_b32_e32 v47, 1
	s_and_saveexec_b64 s[26:27], s[6:7]
	s_cbranch_execz .LBB325_1178
; %bb.1175:                             ;   in Loop: Header=BB325_811 Depth=1
	v_bfe_u32 v6, v58, 16, 7
	v_cmp_ne_u32_e64 s[6:7], s15, v6
	v_mov_b32_e32 v47, 0x7fc02000
	s_and_saveexec_b64 s[28:29], s[6:7]
	s_cbranch_execz .LBB325_1177
; %bb.1176:                             ;   in Loop: Header=BB325_811 Depth=1
	v_and_b32_e32 v16, 7, v34
	v_ffbh_u32_e32 v10, v16
	v_min_u32_e32 v26, 32, v10
	v_subrev_u32_e32 v10, 28, v26
	v_lshlrev_b64 v[10:11], v10, v[34:35]
	v_lshrrev_b32_e32 v22, 3, v6
	v_sub_u32_e32 v11, 29, v26
	v_cmp_gt_u32_e64 s[6:7], 8, v6
	v_cndmask_b32_e64 v6, v22, v11, s[6:7]
	v_and_b32_e32 v10, 7, v10
	v_lshlrev_b32_e32 v11, 8, v34
	v_lshl_add_u32 v6, v6, 10, v41
	v_cndmask_b32_e64 v10, v16, v10, s[6:7]
	v_and_or_b32 v6, v11, s21, v6
	v_lshl_or_b32 v6, v10, 7, v6
	v_cvt_f32_f16_e32 v47, v6
.LBB325_1177:                           ;   in Loop: Header=BB325_811 Depth=1
	s_or_b64 exec, exec, s[28:29]
.LBB325_1178:                           ;   in Loop: Header=BB325_811 Depth=1
	s_or_b64 exec, exec, s[26:27]
.LBB325_1179:                           ;   in Loop: Header=BB325_811 Depth=1
	s_or_b64 exec, exec, s[24:25]
	v_cmp_lt_u32_e64 s[6:7], s13, v58
	s_and_saveexec_b64 s[24:25], s[6:7]
	s_cbranch_execz .LBB325_1185
; %bb.1180:                             ;   in Loop: Header=BB325_811 Depth=1
	v_lshrrev_b32_e32 v34, 24, v58
	v_cmp_ne_u32_e64 s[6:7], s9, v34
	v_bfrev_b32_e32 v57, 1
	s_and_saveexec_b64 s[26:27], s[6:7]
	s_cbranch_execz .LBB325_1184
; %bb.1181:                             ;   in Loop: Header=BB325_811 Depth=1
	v_and_b32_e32 v6, 0x7f, v34
	v_cmp_ne_u32_e64 s[6:7], s15, v6
	v_mov_b32_e32 v57, 0x7fc02000
	s_and_saveexec_b64 s[28:29], s[6:7]
	s_cbranch_execz .LBB325_1183
; %bb.1182:                             ;   in Loop: Header=BB325_811 Depth=1
	v_and_b32_e32 v16, 7, v34
	v_ffbh_u32_e32 v10, v16
	v_min_u32_e32 v26, 32, v10
	v_subrev_u32_e32 v10, 28, v26
	v_lshlrev_b64 v[10:11], v10, v[34:35]
	v_lshrrev_b32_e32 v22, 3, v6
	v_sub_u32_e32 v11, 29, v26
	v_cmp_gt_u32_e64 s[6:7], 8, v6
	v_cndmask_b32_e64 v6, v22, v11, s[6:7]
	v_and_b32_e32 v10, 7, v10
	v_lshlrev_b32_e32 v11, 8, v34
	v_lshl_add_u32 v6, v6, 10, v41
	v_cndmask_b32_e64 v10, v16, v10, s[6:7]
	v_and_or_b32 v6, v11, s21, v6
	v_lshl_or_b32 v6, v10, 7, v6
	v_cvt_f32_f16_e32 v57, v6
.LBB325_1183:                           ;   in Loop: Header=BB325_811 Depth=1
	s_or_b64 exec, exec, s[28:29]
.LBB325_1184:                           ;   in Loop: Header=BB325_811 Depth=1
	s_or_b64 exec, exec, s[26:27]
.LBB325_1185:                           ;   in Loop: Header=BB325_811 Depth=1
	s_or_b64 exec, exec, s[24:25]
	v_mov_b32_e32 v34, v59
	v_cmp_ne_u16_sdwa s[6:7], v59, v35 src0_sel:BYTE_0 src1_sel:DWORD
	v_mov_b32_e32 v10, 0
	v_mov_b32_e32 v6, 0
	s_and_saveexec_b64 s[24:25], s[6:7]
	s_cbranch_execz .LBB325_1191
; %bb.1186:                             ;   in Loop: Header=BB325_811 Depth=1
	v_cmp_ne_u16_sdwa s[6:7], v59, s9 src0_sel:BYTE_0 src1_sel:DWORD
	v_bfrev_b32_e32 v6, 1
	s_and_saveexec_b64 s[26:27], s[6:7]
	s_cbranch_execz .LBB325_1190
; %bb.1187:                             ;   in Loop: Header=BB325_811 Depth=1
	v_and_b32_e32 v11, 0x7f, v59
	v_cmp_ne_u32_e64 s[6:7], s15, v11
	v_mov_b32_e32 v6, 0x7fc02000
	s_and_saveexec_b64 s[28:29], s[6:7]
	s_cbranch_execz .LBB325_1189
; %bb.1188:                             ;   in Loop: Header=BB325_811 Depth=1
	v_and_b32_e32 v6, 7, v59
	v_ffbh_u32_e32 v6, v6
	v_min_u32_e32 v6, 32, v6
	v_lshrrev_b32_e32 v16, 3, v11
	v_subrev_u32_e32 v22, 28, v6
	v_sub_u32_e32 v6, 29, v6
	v_cmp_gt_u32_e64 s[6:7], 8, v11
	v_cndmask_b32_e64 v11, 0, v22, s[6:7]
	v_cndmask_b32_e64 v6, v16, v6, s[6:7]
	v_lshlrev_b64 v[26:27], v11, v[34:35]
	v_lshlrev_b32_e32 v16, 8, v59
	v_lshl_add_u32 v6, v6, 10, v41
	v_lshlrev_b32_e32 v11, 7, v26
	v_and_or_b32 v6, v16, s21, v6
	v_and_or_b32 v6, v11, s30, v6
	v_cvt_f32_f16_e32 v6, v6
.LBB325_1189:                           ;   in Loop: Header=BB325_811 Depth=1
	s_or_b64 exec, exec, s[28:29]
.LBB325_1190:                           ;   in Loop: Header=BB325_811 Depth=1
	s_or_b64 exec, exec, s[26:27]
.LBB325_1191:                           ;   in Loop: Header=BB325_811 Depth=1
	s_or_b64 exec, exec, s[24:25]
	v_lshrrev_b16_e32 v34, 8, v34
	v_cmp_ne_u16_e64 s[6:7], 0, v34
	s_and_saveexec_b64 s[24:25], s[6:7]
	s_cbranch_execz .LBB325_1197
; %bb.1192:                             ;   in Loop: Header=BB325_811 Depth=1
	v_cmp_ne_u16_e64 s[6:7], s9, v34
	v_bfrev_b32_e32 v10, 1
	s_and_saveexec_b64 s[26:27], s[6:7]
	s_cbranch_execz .LBB325_1196
; %bb.1193:                             ;   in Loop: Header=BB325_811 Depth=1
	v_and_b32_e32 v11, 0x7f, v34
	v_cmp_ne_u32_e64 s[6:7], s15, v11
	v_mov_b32_e32 v10, 0x7fc02000
	s_and_saveexec_b64 s[28:29], s[6:7]
	s_cbranch_execz .LBB325_1195
; %bb.1194:                             ;   in Loop: Header=BB325_811 Depth=1
	v_and_b32_e32 v10, 7, v34
	v_ffbh_u32_e32 v22, v10
	v_min_u32_e32 v22, 32, v22
	v_lshrrev_b32_e32 v16, 3, v11
	v_subrev_u32_e32 v26, 28, v22
	v_sub_u32_e32 v22, 29, v22
	v_cmp_gt_u32_e64 s[6:7], 8, v11
	v_lshlrev_b64 v[26:27], v26, v[34:35]
	v_cndmask_b32_e64 v11, v16, v22, s[6:7]
	v_and_b32_e32 v26, 7, v26
	v_lshlrev_b32_e32 v16, 8, v34
	v_lshl_add_u32 v11, v11, 10, v41
	v_cndmask_b32_e64 v10, v10, v26, s[6:7]
	v_and_or_b32 v11, v16, s21, v11
	v_lshl_or_b32 v10, v10, 7, v11
	v_cvt_f32_f16_e32 v10, v10
.LBB325_1195:                           ;   in Loop: Header=BB325_811 Depth=1
	s_or_b64 exec, exec, s[28:29]
.LBB325_1196:                           ;   in Loop: Header=BB325_811 Depth=1
	s_or_b64 exec, exec, s[26:27]
.LBB325_1197:                           ;   in Loop: Header=BB325_811 Depth=1
	s_or_b64 exec, exec, s[24:25]
	v_lshrrev_b32_e32 v34, 16, v59
	v_cmp_ne_u16_sdwa s[6:7], v34, v35 src0_sel:BYTE_0 src1_sel:DWORD
	v_mov_b32_e32 v11, 0
	v_mov_b32_e32 v16, 0
	s_and_saveexec_b64 s[24:25], s[6:7]
	s_cbranch_execz .LBB325_1203
; %bb.1198:                             ;   in Loop: Header=BB325_811 Depth=1
	v_cmp_ne_u16_sdwa s[6:7], v34, s9 src0_sel:BYTE_0 src1_sel:DWORD
	v_bfrev_b32_e32 v16, 1
	s_and_saveexec_b64 s[26:27], s[6:7]
	s_cbranch_execz .LBB325_1202
; %bb.1199:                             ;   in Loop: Header=BB325_811 Depth=1
	v_bfe_u32 v22, v59, 16, 7
	v_cmp_ne_u32_e64 s[6:7], s15, v22
	v_mov_b32_e32 v16, 0x7fc02000
	s_and_saveexec_b64 s[28:29], s[6:7]
	s_cbranch_execz .LBB325_1201
; %bb.1200:                             ;   in Loop: Header=BB325_811 Depth=1
	v_and_b32_e32 v16, 7, v34
	v_ffbh_u32_e32 v26, v16
	v_min_u32_e32 v36, 32, v26
	v_subrev_u32_e32 v26, 28, v36
	v_lshlrev_b64 v[26:27], v26, v[34:35]
	v_lshrrev_b32_e32 v32, 3, v22
	v_sub_u32_e32 v27, 29, v36
	v_cmp_gt_u32_e64 s[6:7], 8, v22
	v_and_b32_e32 v26, 7, v26
	v_cndmask_b32_e64 v22, v32, v27, s[6:7]
	v_cndmask_b32_e64 v16, v16, v26, s[6:7]
	v_lshlrev_b32_e32 v26, 8, v34
	v_lshl_add_u32 v22, v22, 10, v41
	v_and_or_b32 v22, v26, s21, v22
	v_lshl_or_b32 v16, v16, 7, v22
	v_cvt_f32_f16_e32 v16, v16
.LBB325_1201:                           ;   in Loop: Header=BB325_811 Depth=1
	s_or_b64 exec, exec, s[28:29]
.LBB325_1202:                           ;   in Loop: Header=BB325_811 Depth=1
	s_or_b64 exec, exec, s[26:27]
.LBB325_1203:                           ;   in Loop: Header=BB325_811 Depth=1
	s_or_b64 exec, exec, s[24:25]
	v_cmp_lt_u64_e64 s[6:7], s[12:13], v[58:59]
	s_and_saveexec_b64 s[24:25], s[6:7]
	s_cbranch_execz .LBB325_1209
; %bb.1204:                             ;   in Loop: Header=BB325_811 Depth=1
	v_lshrrev_b32_e32 v34, 24, v59
	v_cmp_ne_u32_e64 s[6:7], s9, v34
	v_bfrev_b32_e32 v11, 1
	s_and_saveexec_b64 s[26:27], s[6:7]
	s_cbranch_execz .LBB325_1208
; %bb.1205:                             ;   in Loop: Header=BB325_811 Depth=1
	v_and_b32_e32 v22, 0x7f, v34
	v_cmp_ne_u32_e64 s[6:7], s15, v22
	v_mov_b32_e32 v11, 0x7fc02000
	s_and_saveexec_b64 s[28:29], s[6:7]
	s_cbranch_execz .LBB325_1207
; %bb.1206:                             ;   in Loop: Header=BB325_811 Depth=1
	v_and_b32_e32 v11, 7, v34
	v_ffbh_u32_e32 v26, v11
	v_min_u32_e32 v36, 32, v26
	v_subrev_u32_e32 v26, 28, v36
	v_lshlrev_b64 v[26:27], v26, v[34:35]
	v_lshrrev_b32_e32 v32, 3, v22
	v_sub_u32_e32 v27, 29, v36
	v_cmp_gt_u32_e64 s[6:7], 8, v22
	v_and_b32_e32 v26, 7, v26
	v_cndmask_b32_e64 v22, v32, v27, s[6:7]
	v_cndmask_b32_e64 v11, v11, v26, s[6:7]
	v_lshlrev_b32_e32 v26, 8, v34
	v_lshl_add_u32 v22, v22, 10, v41
	v_and_or_b32 v22, v26, s21, v22
	v_lshl_or_b32 v11, v11, 7, v22
	v_cvt_f32_f16_e32 v11, v11
.LBB325_1207:                           ;   in Loop: Header=BB325_811 Depth=1
	s_or_b64 exec, exec, s[28:29]
.LBB325_1208:                           ;   in Loop: Header=BB325_811 Depth=1
	s_or_b64 exec, exec, s[26:27]
.LBB325_1209:                           ;   in Loop: Header=BB325_811 Depth=1
	s_or_b64 exec, exec, s[24:25]
	s_waitcnt vmcnt(0) lgkmcnt(0)
	v_pk_mul_f32 v[26:27], v[44:45], v[56:57] op_sel_hi:[0,1]
	v_pk_mul_f32 v[50:51], v[44:45], v[46:47] op_sel_hi:[0,1]
	v_cvt_f16_f32_e32 v22, v27
	v_cvt_f16_f32_e32 v26, v26
	;; [unrolled: 1-line block ×4, first 2 shown]
	v_fma_mixlo_f16 v10, v44, v10, 0
	v_lshlrev_b32_e32 v10, 16, v10
	v_fma_mixlo_f16 v6, v44, v6, 0
	v_or_b32_sdwa v6, v10, v6 dst_sel:DWORD dst_unused:UNUSED_PAD src0_sel:DWORD src1_sel:WORD_0
	v_fma_mixlo_f16 v10, v44, v11, 0
	v_pack_b32_f16 v26, v26, v22
	v_pack_b32_f16 v27, v32, v27
	v_fma_mixlo_f16 v16, v44, v16, 0
	v_lshlrev_b32_e32 v10, 16, v10
	v_perm_b32 v22, v27, v26, s31
	v_perm_b32 v26, v27, v26, s34
	v_or_b32_sdwa v10, v10, v16 dst_sel:DWORD dst_unused:UNUSED_PAD src0_sel:DWORD src1_sel:WORD_0
	s_and_saveexec_b64 s[24:25], vcc
	s_cbranch_execz .LBB325_1211
; %bb.1210:                             ;   in Loop: Header=BB325_811 Depth=1
	buffer_load_dword v36, off, s[0:3], s32 offset:196 ; 4-byte Folded Reload
	buffer_load_dword v37, off, s[0:3], s32 offset:200 ; 4-byte Folded Reload
	v_lshrrev_b32_e32 v11, 16, v26
	v_cmp_lt_i32_e64 s[6:7], v38, v17
	v_cndmask_b32_e64 v11, 0, v11, s[6:7]
	v_lshrrev_b32_e32 v10, 16, v10
	s_waitcnt vmcnt(1)
	v_mov_b32_e32 v32, v36
	v_cmp_lt_i32_e64 s[6:7], v7, v32
	v_cndmask_b32_e64 v26, 0, v26, s[6:7]
	v_perm_b32 v26, v11, v26, s35
	v_lshrrev_b32_e32 v11, 16, v22
	v_cmp_lt_i32_e64 s[6:7], v62, v17
	v_cndmask_b32_e64 v11, 0, v11, s[6:7]
	v_cmp_lt_i32_e64 s[6:7], v33, v32
	v_cndmask_b32_e64 v22, 0, v22, s[6:7]
	v_perm_b32 v22, v11, v22, s35
	v_lshrrev_b32_e32 v11, 16, v6
	v_cmp_lt_i32_e64 s[6:7], v43, v17
	v_cndmask_b32_e64 v11, 0, v11, s[6:7]
	v_cmp_lt_i32_e64 s[6:7], v55, v32
	v_cndmask_b32_e64 v6, 0, v6, s[6:7]
	v_perm_b32 v6, v11, v6, s35
	v_accvgpr_read_b32 v11, a17
	v_cmp_lt_i32_e64 s[6:7], v11, v17
	v_accvgpr_read_b32 v11, a11
	v_cndmask_b32_e64 v10, 0, v10, s[6:7]
	v_cmp_lt_i32_e64 s[6:7], v11, v32
	v_cndmask_b32_e64 v11, 0, v16, s[6:7]
	v_perm_b32 v10, v10, v11, s35
.LBB325_1211:                           ;   in Loop: Header=BB325_811 Depth=1
	s_or_b64 exec, exec, s[24:25]
	;;#ASMSTART
	v_pk_mul_f16 v11, v5, v26;

	;;#ASMEND
	;;#ASMSTART
	v_pk_mul_f16 v16, v4, v22;

	;;#ASMEND
	;; [unrolled: 4-line block ×4, first 2 shown]
	;;#ASMSTART
	v_pk_add_f16 v11, v11, v16;

	;;#ASMEND
	;;#ASMSTART
	v_pk_add_f16 v6, v11, v6;

	;;#ASMEND
	;; [unrolled: 4-line block ×3, first 2 shown]
	v_lshrrev_b32_e32 v10, 16, v6
	v_and_b32_e32 v6, 0xffff, v6
	;;#ASMSTART
	v_cvt_f32_f16 v6, v6;
	;;#ASMEND
	v_accvgpr_write_b32 a41, v6
	;;#ASMSTART
	v_cvt_f32_f16 v6, v10;
	;;#ASMEND
	v_accvgpr_write_b32 a42, v6
	v_accvgpr_read_b32 v6, a24
	v_add_co_u32_e64 v10, s[6:7], v18, v6
	v_addc_co_u32_e64 v11, s[6:7], 0, v19, s[6:7]
	flat_load_dwordx2 v[58:59], v[10:11]
	s_nop 0
	buffer_load_dword v10, off, s[0:3], s32 offset:188 ; 4-byte Folded Reload
	buffer_load_dword v11, off, s[0:3], s32 offset:192 ; 4-byte Folded Reload
	v_mov_b32_e32 v56, 0
	v_mov_b32_e32 v46, 0
	s_waitcnt vmcnt(0) lgkmcnt(0)
	v_cmp_ne_u16_sdwa s[6:7], v58, v35 src0_sel:BYTE_0 src1_sel:DWORD
	flat_load_dword v44, v[10:11]
	s_and_saveexec_b64 s[24:25], s[6:7]
	s_cbranch_execz .LBB325_1217
; %bb.1212:                             ;   in Loop: Header=BB325_811 Depth=1
	v_cmp_ne_u16_sdwa s[6:7], v58, s9 src0_sel:BYTE_0 src1_sel:DWORD
	v_bfrev_b32_e32 v46, 1
	s_and_saveexec_b64 s[26:27], s[6:7]
	s_cbranch_execz .LBB325_1216
; %bb.1213:                             ;   in Loop: Header=BB325_811 Depth=1
	v_and_b32_e32 v6, 0x7f, v58
	v_cmp_ne_u32_e64 s[6:7], s15, v6
	v_mov_b32_e32 v46, 0x7fc02000
	s_and_saveexec_b64 s[28:29], s[6:7]
	s_cbranch_execz .LBB325_1215
; %bb.1214:                             ;   in Loop: Header=BB325_811 Depth=1
	v_and_b32_e32 v10, 7, v58
	v_ffbh_u32_e32 v10, v10
	v_min_u32_e32 v10, 32, v10
	v_subrev_u32_e32 v11, 28, v10
	v_cmp_gt_u32_e64 s[6:7], 8, v6
	v_lshrrev_b32_e32 v16, 3, v6
	v_sub_u32_e32 v26, 29, v10
	v_cndmask_b32_e64 v6, 0, v11, s[6:7]
	v_lshlrev_b64 v[10:11], v6, v[58:59]
	v_cndmask_b32_e64 v6, v16, v26, s[6:7]
	v_lshlrev_b32_e32 v11, 8, v58
	v_lshl_add_u32 v6, v6, 10, v41
	v_lshlrev_b32_e32 v10, 7, v10
	v_and_or_b32 v6, v11, s21, v6
	v_and_or_b32 v6, v10, s30, v6
	v_cvt_f32_f16_e32 v46, v6
.LBB325_1215:                           ;   in Loop: Header=BB325_811 Depth=1
	s_or_b64 exec, exec, s[28:29]
.LBB325_1216:                           ;   in Loop: Header=BB325_811 Depth=1
	s_or_b64 exec, exec, s[26:27]
.LBB325_1217:                           ;   in Loop: Header=BB325_811 Depth=1
	s_or_b64 exec, exec, s[24:25]
	v_lshrrev_b16_e32 v34, 8, v58
	v_cmp_ne_u16_e64 s[6:7], 0, v34
	s_and_saveexec_b64 s[24:25], s[6:7]
	s_cbranch_execz .LBB325_1223
; %bb.1218:                             ;   in Loop: Header=BB325_811 Depth=1
	v_cmp_ne_u16_e64 s[6:7], s9, v34
	v_bfrev_b32_e32 v56, 1
	s_and_saveexec_b64 s[26:27], s[6:7]
	s_cbranch_execz .LBB325_1222
; %bb.1219:                             ;   in Loop: Header=BB325_811 Depth=1
	v_and_b32_e32 v6, 0x7f, v34
	v_cmp_ne_u32_e64 s[6:7], s15, v6
	v_mov_b32_e32 v56, 0x7fc02000
	s_and_saveexec_b64 s[28:29], s[6:7]
	s_cbranch_execz .LBB325_1221
; %bb.1220:                             ;   in Loop: Header=BB325_811 Depth=1
	v_and_b32_e32 v16, 7, v34
	v_ffbh_u32_e32 v10, v16
	v_min_u32_e32 v27, 32, v10
	v_subrev_u32_e32 v10, 28, v27
	v_lshlrev_b64 v[10:11], v10, v[34:35]
	v_lshrrev_b32_e32 v26, 3, v6
	v_sub_u32_e32 v11, 29, v27
	v_cmp_gt_u32_e64 s[6:7], 8, v6
	v_cndmask_b32_e64 v6, v26, v11, s[6:7]
	v_and_b32_e32 v10, 7, v10
	v_lshlrev_b32_e32 v11, 8, v34
	v_lshl_add_u32 v6, v6, 10, v41
	v_cndmask_b32_e64 v10, v16, v10, s[6:7]
	v_and_or_b32 v6, v11, s21, v6
	v_lshl_or_b32 v6, v10, 7, v6
	v_cvt_f32_f16_e32 v56, v6
.LBB325_1221:                           ;   in Loop: Header=BB325_811 Depth=1
	s_or_b64 exec, exec, s[28:29]
.LBB325_1222:                           ;   in Loop: Header=BB325_811 Depth=1
	s_or_b64 exec, exec, s[26:27]
.LBB325_1223:                           ;   in Loop: Header=BB325_811 Depth=1
	s_or_b64 exec, exec, s[24:25]
	v_lshrrev_b32_e32 v34, 16, v58
	v_cmp_ne_u16_sdwa s[6:7], v34, v35 src0_sel:BYTE_0 src1_sel:DWORD
	v_mov_b32_e32 v57, 0
	v_mov_b32_e32 v47, 0
	s_and_saveexec_b64 s[24:25], s[6:7]
	s_cbranch_execz .LBB325_1229
; %bb.1224:                             ;   in Loop: Header=BB325_811 Depth=1
	v_cmp_ne_u16_sdwa s[6:7], v34, s9 src0_sel:BYTE_0 src1_sel:DWORD
	v_bfrev_b32_e32 v47, 1
	s_and_saveexec_b64 s[26:27], s[6:7]
	s_cbranch_execz .LBB325_1228
; %bb.1225:                             ;   in Loop: Header=BB325_811 Depth=1
	v_bfe_u32 v6, v58, 16, 7
	v_cmp_ne_u32_e64 s[6:7], s15, v6
	v_mov_b32_e32 v47, 0x7fc02000
	s_and_saveexec_b64 s[28:29], s[6:7]
	s_cbranch_execz .LBB325_1227
; %bb.1226:                             ;   in Loop: Header=BB325_811 Depth=1
	v_and_b32_e32 v16, 7, v34
	v_ffbh_u32_e32 v10, v16
	v_min_u32_e32 v27, 32, v10
	v_subrev_u32_e32 v10, 28, v27
	v_lshlrev_b64 v[10:11], v10, v[34:35]
	v_lshrrev_b32_e32 v26, 3, v6
	v_sub_u32_e32 v11, 29, v27
	v_cmp_gt_u32_e64 s[6:7], 8, v6
	v_cndmask_b32_e64 v6, v26, v11, s[6:7]
	v_and_b32_e32 v10, 7, v10
	v_lshlrev_b32_e32 v11, 8, v34
	v_lshl_add_u32 v6, v6, 10, v41
	v_cndmask_b32_e64 v10, v16, v10, s[6:7]
	v_and_or_b32 v6, v11, s21, v6
	v_lshl_or_b32 v6, v10, 7, v6
	v_cvt_f32_f16_e32 v47, v6
.LBB325_1227:                           ;   in Loop: Header=BB325_811 Depth=1
	s_or_b64 exec, exec, s[28:29]
.LBB325_1228:                           ;   in Loop: Header=BB325_811 Depth=1
	s_or_b64 exec, exec, s[26:27]
.LBB325_1229:                           ;   in Loop: Header=BB325_811 Depth=1
	s_or_b64 exec, exec, s[24:25]
	v_cmp_lt_u32_e64 s[6:7], s13, v58
	s_and_saveexec_b64 s[24:25], s[6:7]
	s_cbranch_execz .LBB325_1235
; %bb.1230:                             ;   in Loop: Header=BB325_811 Depth=1
	v_lshrrev_b32_e32 v34, 24, v58
	v_cmp_ne_u32_e64 s[6:7], s9, v34
	v_bfrev_b32_e32 v57, 1
	s_and_saveexec_b64 s[26:27], s[6:7]
	s_cbranch_execz .LBB325_1234
; %bb.1231:                             ;   in Loop: Header=BB325_811 Depth=1
	v_and_b32_e32 v6, 0x7f, v34
	v_cmp_ne_u32_e64 s[6:7], s15, v6
	v_mov_b32_e32 v57, 0x7fc02000
	s_and_saveexec_b64 s[28:29], s[6:7]
	s_cbranch_execz .LBB325_1233
; %bb.1232:                             ;   in Loop: Header=BB325_811 Depth=1
	v_and_b32_e32 v16, 7, v34
	v_ffbh_u32_e32 v10, v16
	v_min_u32_e32 v27, 32, v10
	v_subrev_u32_e32 v10, 28, v27
	v_lshlrev_b64 v[10:11], v10, v[34:35]
	v_lshrrev_b32_e32 v26, 3, v6
	v_sub_u32_e32 v11, 29, v27
	v_cmp_gt_u32_e64 s[6:7], 8, v6
	v_cndmask_b32_e64 v6, v26, v11, s[6:7]
	v_and_b32_e32 v10, 7, v10
	v_lshlrev_b32_e32 v11, 8, v34
	v_lshl_add_u32 v6, v6, 10, v41
	v_cndmask_b32_e64 v10, v16, v10, s[6:7]
	v_and_or_b32 v6, v11, s21, v6
	v_lshl_or_b32 v6, v10, 7, v6
	v_cvt_f32_f16_e32 v57, v6
.LBB325_1233:                           ;   in Loop: Header=BB325_811 Depth=1
	s_or_b64 exec, exec, s[28:29]
.LBB325_1234:                           ;   in Loop: Header=BB325_811 Depth=1
	s_or_b64 exec, exec, s[26:27]
.LBB325_1235:                           ;   in Loop: Header=BB325_811 Depth=1
	s_or_b64 exec, exec, s[24:25]
	v_mov_b32_e32 v34, v59
	v_cmp_ne_u16_sdwa s[6:7], v59, v35 src0_sel:BYTE_0 src1_sel:DWORD
	v_mov_b32_e32 v10, 0
	v_mov_b32_e32 v6, 0
	s_and_saveexec_b64 s[24:25], s[6:7]
	s_cbranch_execz .LBB325_1241
; %bb.1236:                             ;   in Loop: Header=BB325_811 Depth=1
	v_cmp_ne_u16_sdwa s[6:7], v59, s9 src0_sel:BYTE_0 src1_sel:DWORD
	v_bfrev_b32_e32 v6, 1
	s_and_saveexec_b64 s[26:27], s[6:7]
	s_cbranch_execz .LBB325_1240
; %bb.1237:                             ;   in Loop: Header=BB325_811 Depth=1
	v_and_b32_e32 v11, 0x7f, v59
	v_cmp_ne_u32_e64 s[6:7], s15, v11
	v_mov_b32_e32 v6, 0x7fc02000
	s_and_saveexec_b64 s[28:29], s[6:7]
	s_cbranch_execz .LBB325_1239
; %bb.1238:                             ;   in Loop: Header=BB325_811 Depth=1
	v_and_b32_e32 v6, 7, v59
	v_ffbh_u32_e32 v6, v6
	v_min_u32_e32 v6, 32, v6
	v_lshrrev_b32_e32 v16, 3, v11
	v_subrev_u32_e32 v26, 28, v6
	v_sub_u32_e32 v6, 29, v6
	v_cmp_gt_u32_e64 s[6:7], 8, v11
	v_cndmask_b32_e64 v11, 0, v26, s[6:7]
	v_cndmask_b32_e64 v6, v16, v6, s[6:7]
	v_lshlrev_b64 v[26:27], v11, v[34:35]
	v_lshlrev_b32_e32 v16, 8, v59
	v_lshl_add_u32 v6, v6, 10, v41
	v_lshlrev_b32_e32 v11, 7, v26
	v_and_or_b32 v6, v16, s21, v6
	v_and_or_b32 v6, v11, s30, v6
	v_cvt_f32_f16_e32 v6, v6
.LBB325_1239:                           ;   in Loop: Header=BB325_811 Depth=1
	s_or_b64 exec, exec, s[28:29]
.LBB325_1240:                           ;   in Loop: Header=BB325_811 Depth=1
	s_or_b64 exec, exec, s[26:27]
.LBB325_1241:                           ;   in Loop: Header=BB325_811 Depth=1
	s_or_b64 exec, exec, s[24:25]
	v_lshrrev_b16_e32 v34, 8, v34
	v_cmp_ne_u16_e64 s[6:7], 0, v34
	s_and_saveexec_b64 s[24:25], s[6:7]
	s_cbranch_execz .LBB325_1247
; %bb.1242:                             ;   in Loop: Header=BB325_811 Depth=1
	v_cmp_ne_u16_e64 s[6:7], s9, v34
	v_bfrev_b32_e32 v10, 1
	s_and_saveexec_b64 s[26:27], s[6:7]
	s_cbranch_execz .LBB325_1246
; %bb.1243:                             ;   in Loop: Header=BB325_811 Depth=1
	v_and_b32_e32 v11, 0x7f, v34
	v_cmp_ne_u32_e64 s[6:7], s15, v11
	v_mov_b32_e32 v10, 0x7fc02000
	s_and_saveexec_b64 s[28:29], s[6:7]
	s_cbranch_execz .LBB325_1245
; %bb.1244:                             ;   in Loop: Header=BB325_811 Depth=1
	v_and_b32_e32 v10, 7, v34
	v_ffbh_u32_e32 v26, v10
	v_min_u32_e32 v32, 32, v26
	v_subrev_u32_e32 v26, 28, v32
	v_lshlrev_b64 v[26:27], v26, v[34:35]
	v_lshrrev_b32_e32 v16, 3, v11
	v_sub_u32_e32 v27, 29, v32
	v_cmp_gt_u32_e64 s[6:7], 8, v11
	v_cndmask_b32_e64 v11, v16, v27, s[6:7]
	v_and_b32_e32 v26, 7, v26
	v_lshlrev_b32_e32 v16, 8, v34
	v_lshl_add_u32 v11, v11, 10, v41
	v_cndmask_b32_e64 v10, v10, v26, s[6:7]
	v_and_or_b32 v11, v16, s21, v11
	v_lshl_or_b32 v10, v10, 7, v11
	v_cvt_f32_f16_e32 v10, v10
.LBB325_1245:                           ;   in Loop: Header=BB325_811 Depth=1
	s_or_b64 exec, exec, s[28:29]
.LBB325_1246:                           ;   in Loop: Header=BB325_811 Depth=1
	s_or_b64 exec, exec, s[26:27]
.LBB325_1247:                           ;   in Loop: Header=BB325_811 Depth=1
	s_or_b64 exec, exec, s[24:25]
	v_lshrrev_b32_e32 v34, 16, v59
	v_cmp_ne_u16_sdwa s[6:7], v34, v35 src0_sel:BYTE_0 src1_sel:DWORD
	v_mov_b32_e32 v11, 0
	v_mov_b32_e32 v16, 0
	s_and_saveexec_b64 s[24:25], s[6:7]
	s_cbranch_execz .LBB325_1253
; %bb.1248:                             ;   in Loop: Header=BB325_811 Depth=1
	v_cmp_ne_u16_sdwa s[6:7], v34, s9 src0_sel:BYTE_0 src1_sel:DWORD
	v_bfrev_b32_e32 v16, 1
	s_and_saveexec_b64 s[26:27], s[6:7]
	s_cbranch_execz .LBB325_1252
; %bb.1249:                             ;   in Loop: Header=BB325_811 Depth=1
	v_bfe_u32 v26, v59, 16, 7
	v_cmp_ne_u32_e64 s[6:7], s15, v26
	v_mov_b32_e32 v16, 0x7fc02000
	s_and_saveexec_b64 s[28:29], s[6:7]
	s_cbranch_execz .LBB325_1251
; %bb.1250:                             ;   in Loop: Header=BB325_811 Depth=1
	v_and_b32_e32 v16, 7, v34
	v_ffbh_u32_e32 v32, v16
	v_min_u32_e32 v32, 32, v32
	v_lshrrev_b32_e32 v27, 3, v26
	v_subrev_u32_e32 v36, 28, v32
	v_sub_u32_e32 v32, 29, v32
	v_cmp_gt_u32_e64 s[6:7], 8, v26
	v_lshlrev_b64 v[52:53], v36, v[34:35]
	v_cndmask_b32_e64 v26, v27, v32, s[6:7]
	v_and_b32_e32 v36, 7, v52
	v_lshlrev_b32_e32 v27, 8, v34
	v_lshl_add_u32 v26, v26, 10, v41
	v_cndmask_b32_e64 v16, v16, v36, s[6:7]
	v_and_or_b32 v26, v27, s21, v26
	v_lshl_or_b32 v16, v16, 7, v26
	v_cvt_f32_f16_e32 v16, v16
.LBB325_1251:                           ;   in Loop: Header=BB325_811 Depth=1
	s_or_b64 exec, exec, s[28:29]
.LBB325_1252:                           ;   in Loop: Header=BB325_811 Depth=1
	s_or_b64 exec, exec, s[26:27]
.LBB325_1253:                           ;   in Loop: Header=BB325_811 Depth=1
	s_or_b64 exec, exec, s[24:25]
	v_cmp_lt_u64_e64 s[6:7], s[12:13], v[58:59]
	s_and_saveexec_b64 s[24:25], s[6:7]
	s_cbranch_execz .LBB325_1259
; %bb.1254:                             ;   in Loop: Header=BB325_811 Depth=1
	v_lshrrev_b32_e32 v34, 24, v59
	v_cmp_ne_u32_e64 s[6:7], s9, v34
	v_bfrev_b32_e32 v11, 1
	s_and_saveexec_b64 s[26:27], s[6:7]
	s_cbranch_execz .LBB325_1258
; %bb.1255:                             ;   in Loop: Header=BB325_811 Depth=1
	v_and_b32_e32 v26, 0x7f, v34
	v_cmp_ne_u32_e64 s[6:7], s15, v26
	v_mov_b32_e32 v11, 0x7fc02000
	s_and_saveexec_b64 s[28:29], s[6:7]
	s_cbranch_execz .LBB325_1257
; %bb.1256:                             ;   in Loop: Header=BB325_811 Depth=1
	v_and_b32_e32 v11, 7, v34
	v_ffbh_u32_e32 v32, v11
	v_min_u32_e32 v32, 32, v32
	v_lshrrev_b32_e32 v27, 3, v26
	v_subrev_u32_e32 v36, 28, v32
	v_sub_u32_e32 v32, 29, v32
	v_cmp_gt_u32_e64 s[6:7], 8, v26
	v_lshlrev_b64 v[52:53], v36, v[34:35]
	v_cndmask_b32_e64 v26, v27, v32, s[6:7]
	v_and_b32_e32 v36, 7, v52
	v_lshlrev_b32_e32 v27, 8, v34
	v_lshl_add_u32 v26, v26, 10, v41
	v_cndmask_b32_e64 v11, v11, v36, s[6:7]
	v_and_or_b32 v26, v27, s21, v26
	v_lshl_or_b32 v11, v11, 7, v26
	v_cvt_f32_f16_e32 v11, v11
.LBB325_1257:                           ;   in Loop: Header=BB325_811 Depth=1
	s_or_b64 exec, exec, s[28:29]
.LBB325_1258:                           ;   in Loop: Header=BB325_811 Depth=1
	s_or_b64 exec, exec, s[26:27]
.LBB325_1259:                           ;   in Loop: Header=BB325_811 Depth=1
	s_or_b64 exec, exec, s[24:25]
	s_waitcnt vmcnt(0) lgkmcnt(0)
	v_pk_mul_f32 v[26:27], v[44:45], v[56:57] op_sel_hi:[0,1]
	v_pk_mul_f32 v[52:53], v[44:45], v[46:47] op_sel_hi:[0,1]
	v_cvt_f16_f32_e32 v27, v27
	v_cvt_f16_f32_e32 v26, v26
	;; [unrolled: 1-line block ×4, first 2 shown]
	v_fma_mixlo_f16 v10, v44, v10, 0
	v_lshlrev_b32_e32 v10, 16, v10
	v_fma_mixlo_f16 v6, v44, v6, 0
	v_or_b32_sdwa v6, v10, v6 dst_sel:DWORD dst_unused:UNUSED_PAD src0_sel:DWORD src1_sel:WORD_0
	v_fma_mixlo_f16 v10, v44, v11, 0
	v_pack_b32_f16 v27, v26, v27
	v_pack_b32_f16 v32, v34, v32
	v_fma_mixlo_f16 v16, v44, v16, 0
	v_lshlrev_b32_e32 v10, 16, v10
	v_perm_b32 v26, v32, v27, s31
	v_perm_b32 v27, v32, v27, s34
	v_or_b32_sdwa v10, v10, v16 dst_sel:DWORD dst_unused:UNUSED_PAD src0_sel:DWORD src1_sel:WORD_0
	s_and_saveexec_b64 s[24:25], vcc
	s_cbranch_execz .LBB325_1261
; %bb.1260:                             ;   in Loop: Header=BB325_811 Depth=1
	buffer_load_dword v36, off, s[0:3], s32 offset:196 ; 4-byte Folded Reload
	buffer_load_dword v37, off, s[0:3], s32 offset:200 ; 4-byte Folded Reload
	v_lshrrev_b32_e32 v11, 16, v27
	v_cmp_lt_i32_e64 s[6:7], v38, v17
	v_cndmask_b32_e64 v11, 0, v11, s[6:7]
	v_lshrrev_b32_e32 v10, 16, v10
	s_waitcnt vmcnt(1)
	v_mov_b32_e32 v22, v36
	v_cmp_lt_i32_e64 s[6:7], v7, v22
	v_cndmask_b32_e64 v27, 0, v27, s[6:7]
	v_perm_b32 v27, v11, v27, s35
	v_lshrrev_b32_e32 v11, 16, v26
	v_cmp_lt_i32_e64 s[6:7], v62, v17
	v_cndmask_b32_e64 v11, 0, v11, s[6:7]
	v_cmp_lt_i32_e64 s[6:7], v33, v22
	v_cndmask_b32_e64 v26, 0, v26, s[6:7]
	v_perm_b32 v26, v11, v26, s35
	v_lshrrev_b32_e32 v11, 16, v6
	v_cmp_lt_i32_e64 s[6:7], v43, v17
	v_cndmask_b32_e64 v11, 0, v11, s[6:7]
	v_cmp_lt_i32_e64 s[6:7], v55, v22
	v_cndmask_b32_e64 v6, 0, v6, s[6:7]
	v_perm_b32 v6, v11, v6, s35
	v_accvgpr_read_b32 v11, a17
	v_cmp_lt_i32_e64 s[6:7], v11, v17
	v_accvgpr_read_b32 v11, a11
	v_cndmask_b32_e64 v10, 0, v10, s[6:7]
	v_cmp_lt_i32_e64 s[6:7], v11, v22
	v_cndmask_b32_e64 v11, 0, v16, s[6:7]
	v_perm_b32 v10, v10, v11, s35
.LBB325_1261:                           ;   in Loop: Header=BB325_811 Depth=1
	s_or_b64 exec, exec, s[24:25]
	;;#ASMSTART
	v_pk_mul_f16 v11, v5, v27;

	;;#ASMEND
	;;#ASMSTART
	v_pk_mul_f16 v16, v4, v26;

	;;#ASMEND
	;; [unrolled: 4-line block ×4, first 2 shown]
	;;#ASMSTART
	v_pk_add_f16 v11, v11, v16;

	;;#ASMEND
	;;#ASMSTART
	v_pk_add_f16 v6, v11, v6;

	;;#ASMEND
	;; [unrolled: 4-line block ×3, first 2 shown]
	v_lshrrev_b32_e32 v10, 16, v6
	v_and_b32_e32 v6, 0xffff, v6
	;;#ASMSTART
	v_cvt_f32_f16 v6, v6;
	;;#ASMEND
	;;#ASMSTART
	v_cvt_f32_f16 v52, v10;
	;;#ASMEND
	v_accvgpr_read_b32 v10, a26
	v_add_co_u32_e64 v10, s[6:7], v18, v10
	v_addc_co_u32_e64 v11, s[6:7], 0, v19, s[6:7]
	flat_load_dwordx2 v[58:59], v[10:11]
	s_nop 0
	buffer_load_dword v10, off, s[0:3], s32 offset:188 ; 4-byte Folded Reload
	buffer_load_dword v11, off, s[0:3], s32 offset:192 ; 4-byte Folded Reload
	v_mov_b32_e32 v56, 0
	v_mov_b32_e32 v46, 0
	s_waitcnt vmcnt(0) lgkmcnt(0)
	v_cmp_ne_u16_sdwa s[6:7], v58, v35 src0_sel:BYTE_0 src1_sel:DWORD
	flat_load_dword v44, v[10:11]
	s_and_saveexec_b64 s[24:25], s[6:7]
	s_cbranch_execz .LBB325_1267
; %bb.1262:                             ;   in Loop: Header=BB325_811 Depth=1
	v_cmp_ne_u16_sdwa s[6:7], v58, s9 src0_sel:BYTE_0 src1_sel:DWORD
	v_bfrev_b32_e32 v46, 1
	s_and_saveexec_b64 s[26:27], s[6:7]
	s_cbranch_execz .LBB325_1266
; %bb.1263:                             ;   in Loop: Header=BB325_811 Depth=1
	v_and_b32_e32 v10, 0x7f, v58
	v_cmp_ne_u32_e64 s[6:7], s15, v10
	v_mov_b32_e32 v46, 0x7fc02000
	s_and_saveexec_b64 s[28:29], s[6:7]
	s_cbranch_execz .LBB325_1265
; %bb.1264:                             ;   in Loop: Header=BB325_811 Depth=1
	v_and_b32_e32 v11, 7, v58
	v_ffbh_u32_e32 v11, v11
	v_min_u32_e32 v11, 32, v11
	v_subrev_u32_e32 v26, 28, v11
	v_cmp_gt_u32_e64 s[6:7], 8, v10
	v_lshrrev_b32_e32 v16, 3, v10
	v_cndmask_b32_e64 v10, 0, v26, s[6:7]
	v_sub_u32_e32 v27, 29, v11
	v_lshlrev_b64 v[10:11], v10, v[58:59]
	v_cndmask_b32_e64 v11, v16, v27, s[6:7]
	v_lshlrev_b32_e32 v16, 8, v58
	v_lshl_add_u32 v11, v11, 10, v41
	v_lshlrev_b32_e32 v10, 7, v10
	v_and_or_b32 v11, v16, s21, v11
	v_and_or_b32 v10, v10, s30, v11
	v_cvt_f32_f16_e32 v46, v10
.LBB325_1265:                           ;   in Loop: Header=BB325_811 Depth=1
	s_or_b64 exec, exec, s[28:29]
.LBB325_1266:                           ;   in Loop: Header=BB325_811 Depth=1
	s_or_b64 exec, exec, s[26:27]
.LBB325_1267:                           ;   in Loop: Header=BB325_811 Depth=1
	s_or_b64 exec, exec, s[24:25]
	v_lshrrev_b16_e32 v34, 8, v58
	v_cmp_ne_u16_e64 s[6:7], 0, v34
	s_and_saveexec_b64 s[24:25], s[6:7]
	s_cbranch_execz .LBB325_1273
; %bb.1268:                             ;   in Loop: Header=BB325_811 Depth=1
	v_cmp_ne_u16_e64 s[6:7], s9, v34
	v_bfrev_b32_e32 v56, 1
	s_and_saveexec_b64 s[26:27], s[6:7]
	s_cbranch_execz .LBB325_1272
; %bb.1269:                             ;   in Loop: Header=BB325_811 Depth=1
	v_and_b32_e32 v10, 0x7f, v34
	v_cmp_ne_u32_e64 s[6:7], s15, v10
	v_mov_b32_e32 v56, 0x7fc02000
	s_and_saveexec_b64 s[28:29], s[6:7]
	s_cbranch_execz .LBB325_1271
; %bb.1270:                             ;   in Loop: Header=BB325_811 Depth=1
	v_and_b32_e32 v11, 7, v34
	v_ffbh_u32_e32 v26, v11
	v_min_u32_e32 v32, 32, v26
	v_subrev_u32_e32 v26, 28, v32
	v_lshlrev_b64 v[26:27], v26, v[34:35]
	v_lshrrev_b32_e32 v16, 3, v10
	v_sub_u32_e32 v27, 29, v32
	v_cmp_gt_u32_e64 s[6:7], 8, v10
	v_cndmask_b32_e64 v10, v16, v27, s[6:7]
	v_and_b32_e32 v26, 7, v26
	v_lshlrev_b32_e32 v16, 8, v34
	v_lshl_add_u32 v10, v10, 10, v41
	v_cndmask_b32_e64 v11, v11, v26, s[6:7]
	v_and_or_b32 v10, v16, s21, v10
	v_lshl_or_b32 v10, v11, 7, v10
	v_cvt_f32_f16_e32 v56, v10
.LBB325_1271:                           ;   in Loop: Header=BB325_811 Depth=1
	s_or_b64 exec, exec, s[28:29]
.LBB325_1272:                           ;   in Loop: Header=BB325_811 Depth=1
	s_or_b64 exec, exec, s[26:27]
.LBB325_1273:                           ;   in Loop: Header=BB325_811 Depth=1
	s_or_b64 exec, exec, s[24:25]
	v_lshrrev_b32_e32 v34, 16, v58
	v_cmp_ne_u16_sdwa s[6:7], v34, v35 src0_sel:BYTE_0 src1_sel:DWORD
	v_mov_b32_e32 v57, 0
	v_mov_b32_e32 v47, 0
	s_and_saveexec_b64 s[24:25], s[6:7]
	s_cbranch_execz .LBB325_1279
; %bb.1274:                             ;   in Loop: Header=BB325_811 Depth=1
	v_cmp_ne_u16_sdwa s[6:7], v34, s9 src0_sel:BYTE_0 src1_sel:DWORD
	v_bfrev_b32_e32 v47, 1
	s_and_saveexec_b64 s[26:27], s[6:7]
	s_cbranch_execz .LBB325_1278
; %bb.1275:                             ;   in Loop: Header=BB325_811 Depth=1
	v_bfe_u32 v10, v58, 16, 7
	v_cmp_ne_u32_e64 s[6:7], s15, v10
	v_mov_b32_e32 v47, 0x7fc02000
	s_and_saveexec_b64 s[28:29], s[6:7]
	s_cbranch_execz .LBB325_1277
; %bb.1276:                             ;   in Loop: Header=BB325_811 Depth=1
	v_and_b32_e32 v11, 7, v34
	v_ffbh_u32_e32 v26, v11
	v_min_u32_e32 v32, 32, v26
	v_subrev_u32_e32 v26, 28, v32
	v_lshlrev_b64 v[26:27], v26, v[34:35]
	v_lshrrev_b32_e32 v16, 3, v10
	v_sub_u32_e32 v27, 29, v32
	v_cmp_gt_u32_e64 s[6:7], 8, v10
	v_cndmask_b32_e64 v10, v16, v27, s[6:7]
	v_and_b32_e32 v26, 7, v26
	v_lshlrev_b32_e32 v16, 8, v34
	v_lshl_add_u32 v10, v10, 10, v41
	v_cndmask_b32_e64 v11, v11, v26, s[6:7]
	v_and_or_b32 v10, v16, s21, v10
	v_lshl_or_b32 v10, v11, 7, v10
	v_cvt_f32_f16_e32 v47, v10
.LBB325_1277:                           ;   in Loop: Header=BB325_811 Depth=1
	s_or_b64 exec, exec, s[28:29]
.LBB325_1278:                           ;   in Loop: Header=BB325_811 Depth=1
	s_or_b64 exec, exec, s[26:27]
.LBB325_1279:                           ;   in Loop: Header=BB325_811 Depth=1
	s_or_b64 exec, exec, s[24:25]
	v_cmp_lt_u32_e64 s[6:7], s13, v58
	s_and_saveexec_b64 s[24:25], s[6:7]
	s_cbranch_execz .LBB325_1285
; %bb.1280:                             ;   in Loop: Header=BB325_811 Depth=1
	v_lshrrev_b32_e32 v34, 24, v58
	v_cmp_ne_u32_e64 s[6:7], s9, v34
	v_bfrev_b32_e32 v57, 1
	s_and_saveexec_b64 s[26:27], s[6:7]
	s_cbranch_execz .LBB325_1284
; %bb.1281:                             ;   in Loop: Header=BB325_811 Depth=1
	v_and_b32_e32 v10, 0x7f, v34
	v_cmp_ne_u32_e64 s[6:7], s15, v10
	v_mov_b32_e32 v57, 0x7fc02000
	s_and_saveexec_b64 s[28:29], s[6:7]
	s_cbranch_execz .LBB325_1283
; %bb.1282:                             ;   in Loop: Header=BB325_811 Depth=1
	v_and_b32_e32 v11, 7, v34
	v_ffbh_u32_e32 v26, v11
	v_min_u32_e32 v32, 32, v26
	v_subrev_u32_e32 v26, 28, v32
	v_lshlrev_b64 v[26:27], v26, v[34:35]
	v_lshrrev_b32_e32 v16, 3, v10
	v_sub_u32_e32 v27, 29, v32
	v_cmp_gt_u32_e64 s[6:7], 8, v10
	v_cndmask_b32_e64 v10, v16, v27, s[6:7]
	v_and_b32_e32 v26, 7, v26
	v_lshlrev_b32_e32 v16, 8, v34
	v_lshl_add_u32 v10, v10, 10, v41
	v_cndmask_b32_e64 v11, v11, v26, s[6:7]
	v_and_or_b32 v10, v16, s21, v10
	v_lshl_or_b32 v10, v11, 7, v10
	v_cvt_f32_f16_e32 v57, v10
.LBB325_1283:                           ;   in Loop: Header=BB325_811 Depth=1
	s_or_b64 exec, exec, s[28:29]
.LBB325_1284:                           ;   in Loop: Header=BB325_811 Depth=1
	s_or_b64 exec, exec, s[26:27]
.LBB325_1285:                           ;   in Loop: Header=BB325_811 Depth=1
	s_or_b64 exec, exec, s[24:25]
	v_mov_b32_e32 v34, v59
	v_cmp_ne_u16_sdwa s[6:7], v59, v35 src0_sel:BYTE_0 src1_sel:DWORD
	v_mov_b32_e32 v11, 0
	v_mov_b32_e32 v10, 0
	s_and_saveexec_b64 s[24:25], s[6:7]
	s_cbranch_execz .LBB325_1291
; %bb.1286:                             ;   in Loop: Header=BB325_811 Depth=1
	v_cmp_ne_u16_sdwa s[6:7], v59, s9 src0_sel:BYTE_0 src1_sel:DWORD
	v_bfrev_b32_e32 v10, 1
	s_and_saveexec_b64 s[26:27], s[6:7]
	s_cbranch_execz .LBB325_1290
; %bb.1287:                             ;   in Loop: Header=BB325_811 Depth=1
	v_and_b32_e32 v16, 0x7f, v59
	v_cmp_ne_u32_e64 s[6:7], s15, v16
	v_mov_b32_e32 v10, 0x7fc02000
	s_and_saveexec_b64 s[28:29], s[6:7]
	s_cbranch_execz .LBB325_1289
; %bb.1288:                             ;   in Loop: Header=BB325_811 Depth=1
	v_and_b32_e32 v10, 7, v59
	v_ffbh_u32_e32 v10, v10
	v_min_u32_e32 v10, 32, v10
	v_subrev_u32_e32 v26, 28, v10
	v_cmp_gt_u32_e64 s[6:7], 8, v16
	v_lshrrev_b32_e32 v32, 3, v16
	v_sub_u32_e32 v10, 29, v10
	v_cndmask_b32_e64 v16, 0, v26, s[6:7]
	v_lshlrev_b64 v[26:27], v16, v[34:35]
	v_cndmask_b32_e64 v10, v32, v10, s[6:7]
	v_lshlrev_b32_e32 v16, 7, v26
	v_lshlrev_b32_e32 v26, 8, v59
	v_lshl_add_u32 v10, v10, 10, v41
	v_and_or_b32 v10, v26, s21, v10
	v_and_or_b32 v10, v16, s30, v10
	v_cvt_f32_f16_e32 v10, v10
.LBB325_1289:                           ;   in Loop: Header=BB325_811 Depth=1
	s_or_b64 exec, exec, s[28:29]
.LBB325_1290:                           ;   in Loop: Header=BB325_811 Depth=1
	s_or_b64 exec, exec, s[26:27]
.LBB325_1291:                           ;   in Loop: Header=BB325_811 Depth=1
	s_or_b64 exec, exec, s[24:25]
	v_lshrrev_b16_e32 v34, 8, v34
	v_cmp_ne_u16_e64 s[6:7], 0, v34
	s_and_saveexec_b64 s[24:25], s[6:7]
	s_cbranch_execz .LBB325_1297
; %bb.1292:                             ;   in Loop: Header=BB325_811 Depth=1
	v_cmp_ne_u16_e64 s[6:7], s9, v34
	v_bfrev_b32_e32 v11, 1
	s_and_saveexec_b64 s[26:27], s[6:7]
	s_cbranch_execz .LBB325_1296
; %bb.1293:                             ;   in Loop: Header=BB325_811 Depth=1
	v_and_b32_e32 v16, 0x7f, v34
	v_cmp_ne_u32_e64 s[6:7], s15, v16
	v_mov_b32_e32 v11, 0x7fc02000
	s_and_saveexec_b64 s[28:29], s[6:7]
	s_cbranch_execz .LBB325_1295
; %bb.1294:                             ;   in Loop: Header=BB325_811 Depth=1
	v_and_b32_e32 v11, 7, v34
	v_ffbh_u32_e32 v26, v11
	v_min_u32_e32 v36, 32, v26
	v_subrev_u32_e32 v26, 28, v36
	v_lshlrev_b64 v[26:27], v26, v[34:35]
	v_lshrrev_b32_e32 v32, 3, v16
	v_sub_u32_e32 v27, 29, v36
	v_cmp_gt_u32_e64 s[6:7], 8, v16
	v_and_b32_e32 v26, 7, v26
	v_cndmask_b32_e64 v16, v32, v27, s[6:7]
	v_cndmask_b32_e64 v11, v11, v26, s[6:7]
	v_lshlrev_b32_e32 v26, 8, v34
	v_lshl_add_u32 v16, v16, 10, v41
	v_and_or_b32 v16, v26, s21, v16
	v_lshl_or_b32 v11, v11, 7, v16
	v_cvt_f32_f16_e32 v11, v11
.LBB325_1295:                           ;   in Loop: Header=BB325_811 Depth=1
	s_or_b64 exec, exec, s[28:29]
.LBB325_1296:                           ;   in Loop: Header=BB325_811 Depth=1
	s_or_b64 exec, exec, s[26:27]
.LBB325_1297:                           ;   in Loop: Header=BB325_811 Depth=1
	s_or_b64 exec, exec, s[24:25]
	v_lshrrev_b32_e32 v34, 16, v59
	v_cmp_ne_u16_sdwa s[6:7], v34, v35 src0_sel:BYTE_0 src1_sel:DWORD
	v_mov_b32_e32 v16, 0
	v_mov_b32_e32 v26, 0
	s_and_saveexec_b64 s[24:25], s[6:7]
	s_cbranch_execz .LBB325_1303
; %bb.1298:                             ;   in Loop: Header=BB325_811 Depth=1
	v_cmp_ne_u16_sdwa s[6:7], v34, s9 src0_sel:BYTE_0 src1_sel:DWORD
	v_bfrev_b32_e32 v26, 1
	s_and_saveexec_b64 s[26:27], s[6:7]
	s_cbranch_execz .LBB325_1302
; %bb.1299:                             ;   in Loop: Header=BB325_811 Depth=1
	v_bfe_u32 v27, v59, 16, 7
	v_cmp_ne_u32_e64 s[6:7], s15, v27
	v_mov_b32_e32 v26, 0x7fc02000
	s_and_saveexec_b64 s[28:29], s[6:7]
	s_cbranch_execz .LBB325_1301
; %bb.1300:                             ;   in Loop: Header=BB325_811 Depth=1
	v_and_b32_e32 v26, 7, v34
	v_ffbh_u32_e32 v36, v26
	v_min_u32_e32 v36, 32, v36
	v_lshrrev_b32_e32 v32, 3, v27
	v_subrev_u32_e32 v37, 28, v36
	v_sub_u32_e32 v36, 29, v36
	v_cmp_gt_u32_e64 s[6:7], 8, v27
	v_lshlrev_b64 v[60:61], v37, v[34:35]
	v_cndmask_b32_e64 v27, v32, v36, s[6:7]
	v_and_b32_e32 v37, 7, v60
	v_lshlrev_b32_e32 v32, 8, v34
	v_lshl_add_u32 v27, v27, 10, v41
	v_cndmask_b32_e64 v26, v26, v37, s[6:7]
	v_and_or_b32 v27, v32, s21, v27
	v_lshl_or_b32 v26, v26, 7, v27
	v_cvt_f32_f16_e32 v26, v26
.LBB325_1301:                           ;   in Loop: Header=BB325_811 Depth=1
	s_or_b64 exec, exec, s[28:29]
.LBB325_1302:                           ;   in Loop: Header=BB325_811 Depth=1
	s_or_b64 exec, exec, s[26:27]
.LBB325_1303:                           ;   in Loop: Header=BB325_811 Depth=1
	s_or_b64 exec, exec, s[24:25]
	v_cmp_lt_u64_e64 s[6:7], s[12:13], v[58:59]
	s_and_saveexec_b64 s[24:25], s[6:7]
	s_cbranch_execz .LBB325_1309
; %bb.1304:                             ;   in Loop: Header=BB325_811 Depth=1
	v_lshrrev_b32_e32 v34, 24, v59
	v_cmp_ne_u32_e64 s[6:7], s9, v34
	v_bfrev_b32_e32 v16, 1
	s_and_saveexec_b64 s[26:27], s[6:7]
	s_cbranch_execz .LBB325_1308
; %bb.1305:                             ;   in Loop: Header=BB325_811 Depth=1
	v_and_b32_e32 v27, 0x7f, v34
	v_cmp_ne_u32_e64 s[6:7], s15, v27
	v_mov_b32_e32 v16, 0x7fc02000
	s_and_saveexec_b64 s[28:29], s[6:7]
	s_cbranch_execz .LBB325_1307
; %bb.1306:                             ;   in Loop: Header=BB325_811 Depth=1
	v_and_b32_e32 v16, 7, v34
	v_ffbh_u32_e32 v36, v16
	v_min_u32_e32 v36, 32, v36
	v_lshrrev_b32_e32 v32, 3, v27
	v_subrev_u32_e32 v37, 28, v36
	v_sub_u32_e32 v36, 29, v36
	v_cmp_gt_u32_e64 s[6:7], 8, v27
	v_lshlrev_b64 v[58:59], v37, v[34:35]
	v_cndmask_b32_e64 v27, v32, v36, s[6:7]
	v_and_b32_e32 v37, 7, v58
	v_lshlrev_b32_e32 v32, 8, v34
	v_lshl_add_u32 v27, v27, 10, v41
	v_cndmask_b32_e64 v16, v16, v37, s[6:7]
	v_and_or_b32 v27, v32, s21, v27
	v_lshl_or_b32 v16, v16, 7, v27
	v_cvt_f32_f16_e32 v16, v16
.LBB325_1307:                           ;   in Loop: Header=BB325_811 Depth=1
	s_or_b64 exec, exec, s[28:29]
.LBB325_1308:                           ;   in Loop: Header=BB325_811 Depth=1
	s_or_b64 exec, exec, s[26:27]
.LBB325_1309:                           ;   in Loop: Header=BB325_811 Depth=1
	s_or_b64 exec, exec, s[24:25]
	s_waitcnt vmcnt(0) lgkmcnt(0)
	v_pk_mul_f32 v[56:57], v[44:45], v[56:57] op_sel_hi:[0,1]
	v_pk_mul_f32 v[46:47], v[44:45], v[46:47] op_sel_hi:[0,1]
	v_cvt_f16_f32_e32 v27, v57
	v_cvt_f16_f32_e32 v32, v56
	;; [unrolled: 1-line block ×4, first 2 shown]
	v_fma_mixlo_f16 v11, v44, v11, 0
	v_lshlrev_b32_e32 v11, 16, v11
	v_fma_mixlo_f16 v10, v44, v10, 0
	v_or_b32_sdwa v10, v11, v10 dst_sel:DWORD dst_unused:UNUSED_PAD src0_sel:DWORD src1_sel:WORD_0
	v_fma_mixlo_f16 v11, v44, v16, 0
	v_pack_b32_f16 v32, v32, v27
	v_pack_b32_f16 v34, v36, v34
	v_fma_mixlo_f16 v26, v44, v26, 0
	v_lshlrev_b32_e32 v11, 16, v11
	v_perm_b32 v27, v34, v32, s31
	v_perm_b32 v32, v34, v32, s34
	v_or_b32_sdwa v11, v11, v26 dst_sel:DWORD dst_unused:UNUSED_PAD src0_sel:DWORD src1_sel:WORD_0
	s_and_saveexec_b64 s[24:25], vcc
	s_cbranch_execz .LBB325_1311
; %bb.1310:                             ;   in Loop: Header=BB325_811 Depth=1
	buffer_load_dword v36, off, s[0:3], s32 offset:196 ; 4-byte Folded Reload
	buffer_load_dword v37, off, s[0:3], s32 offset:200 ; 4-byte Folded Reload
	v_lshrrev_b32_e32 v16, 16, v32
	v_cmp_lt_i32_e64 s[6:7], v38, v17
	v_cndmask_b32_e64 v16, 0, v16, s[6:7]
	v_lshrrev_b32_e32 v11, 16, v11
	s_waitcnt vmcnt(1)
	v_mov_b32_e32 v22, v36
	v_cmp_lt_i32_e64 s[6:7], v7, v22
	v_cndmask_b32_e64 v32, 0, v32, s[6:7]
	v_perm_b32 v32, v16, v32, s35
	v_lshrrev_b32_e32 v16, 16, v27
	v_cmp_lt_i32_e64 s[6:7], v62, v17
	v_cndmask_b32_e64 v16, 0, v16, s[6:7]
	v_cmp_lt_i32_e64 s[6:7], v33, v22
	v_cndmask_b32_e64 v27, 0, v27, s[6:7]
	v_perm_b32 v27, v16, v27, s35
	v_lshrrev_b32_e32 v16, 16, v10
	v_cmp_lt_i32_e64 s[6:7], v43, v17
	v_cndmask_b32_e64 v16, 0, v16, s[6:7]
	v_cmp_lt_i32_e64 s[6:7], v55, v22
	v_cndmask_b32_e64 v10, 0, v10, s[6:7]
	v_perm_b32 v10, v16, v10, s35
	v_accvgpr_read_b32 v16, a17
	v_cmp_lt_i32_e64 s[6:7], v16, v17
	v_accvgpr_read_b32 v16, a11
	v_cndmask_b32_e64 v11, 0, v11, s[6:7]
	v_cmp_lt_i32_e64 s[6:7], v16, v22
	v_cndmask_b32_e64 v16, 0, v26, s[6:7]
	v_perm_b32 v11, v11, v16, s35
.LBB325_1311:                           ;   in Loop: Header=BB325_811 Depth=1
	s_or_b64 exec, exec, s[24:25]
	;;#ASMSTART
	v_pk_mul_f16 v16, v5, v32;

	;;#ASMEND
	;;#ASMSTART
	v_pk_mul_f16 v26, v4, v27;

	;;#ASMEND
	;; [unrolled: 4-line block ×4, first 2 shown]
	;;#ASMSTART
	v_pk_add_f16 v16, v16, v26;

	;;#ASMEND
	;;#ASMSTART
	v_pk_add_f16 v10, v16, v10;

	;;#ASMEND
	;; [unrolled: 4-line block ×3, first 2 shown]
	v_lshrrev_b32_e32 v11, 16, v10
	v_and_b32_e32 v10, 0xffff, v10
	;;#ASMSTART
	v_cvt_f32_f16 v54, v10;
	;;#ASMEND
	v_accvgpr_read_b32 v10, a30
	v_add_co_u32_e64 v10, s[6:7], v18, v10
	;;#ASMSTART
	v_cvt_f32_f16 v40, v11;
	;;#ASMEND
	v_addc_co_u32_e64 v11, s[6:7], 0, v19, s[6:7]
	flat_load_dwordx2 v[58:59], v[10:11]
	s_nop 0
	buffer_load_dword v10, off, s[0:3], s32 offset:188 ; 4-byte Folded Reload
	buffer_load_dword v11, off, s[0:3], s32 offset:192 ; 4-byte Folded Reload
	v_mov_b32_e32 v56, 0
	v_mov_b32_e32 v46, 0
	s_waitcnt vmcnt(0) lgkmcnt(0)
	v_cmp_ne_u16_sdwa s[6:7], v58, v35 src0_sel:BYTE_0 src1_sel:DWORD
	flat_load_dword v44, v[10:11]
	s_and_saveexec_b64 s[24:25], s[6:7]
	s_cbranch_execz .LBB325_1317
; %bb.1312:                             ;   in Loop: Header=BB325_811 Depth=1
	v_cmp_ne_u16_sdwa s[6:7], v58, s9 src0_sel:BYTE_0 src1_sel:DWORD
	v_bfrev_b32_e32 v46, 1
	s_and_saveexec_b64 s[26:27], s[6:7]
	s_cbranch_execz .LBB325_1316
; %bb.1313:                             ;   in Loop: Header=BB325_811 Depth=1
	v_and_b32_e32 v10, 0x7f, v58
	v_cmp_ne_u32_e64 s[6:7], s15, v10
	v_mov_b32_e32 v46, 0x7fc02000
	s_and_saveexec_b64 s[28:29], s[6:7]
	s_cbranch_execz .LBB325_1315
; %bb.1314:                             ;   in Loop: Header=BB325_811 Depth=1
	v_and_b32_e32 v11, 7, v58
	v_ffbh_u32_e32 v11, v11
	v_min_u32_e32 v11, 32, v11
	v_subrev_u32_e32 v26, 28, v11
	v_cmp_gt_u32_e64 s[6:7], 8, v10
	v_lshrrev_b32_e32 v16, 3, v10
	v_cndmask_b32_e64 v10, 0, v26, s[6:7]
	v_sub_u32_e32 v27, 29, v11
	v_lshlrev_b64 v[10:11], v10, v[58:59]
	v_cndmask_b32_e64 v11, v16, v27, s[6:7]
	v_lshlrev_b32_e32 v16, 8, v58
	v_lshl_add_u32 v11, v11, 10, v41
	v_lshlrev_b32_e32 v10, 7, v10
	v_and_or_b32 v11, v16, s21, v11
	v_and_or_b32 v10, v10, s30, v11
	v_cvt_f32_f16_e32 v46, v10
.LBB325_1315:                           ;   in Loop: Header=BB325_811 Depth=1
	s_or_b64 exec, exec, s[28:29]
.LBB325_1316:                           ;   in Loop: Header=BB325_811 Depth=1
	s_or_b64 exec, exec, s[26:27]
.LBB325_1317:                           ;   in Loop: Header=BB325_811 Depth=1
	s_or_b64 exec, exec, s[24:25]
	v_lshrrev_b16_e32 v34, 8, v58
	v_cmp_ne_u16_e64 s[6:7], 0, v34
	s_and_saveexec_b64 s[24:25], s[6:7]
	s_cbranch_execz .LBB325_1323
; %bb.1318:                             ;   in Loop: Header=BB325_811 Depth=1
	v_cmp_ne_u16_e64 s[6:7], s9, v34
	v_bfrev_b32_e32 v56, 1
	s_and_saveexec_b64 s[26:27], s[6:7]
	s_cbranch_execz .LBB325_1322
; %bb.1319:                             ;   in Loop: Header=BB325_811 Depth=1
	v_and_b32_e32 v10, 0x7f, v34
	v_cmp_ne_u32_e64 s[6:7], s15, v10
	v_mov_b32_e32 v56, 0x7fc02000
	s_and_saveexec_b64 s[28:29], s[6:7]
	s_cbranch_execz .LBB325_1321
; %bb.1320:                             ;   in Loop: Header=BB325_811 Depth=1
	v_and_b32_e32 v11, 7, v34
	v_ffbh_u32_e32 v26, v11
	v_min_u32_e32 v32, 32, v26
	v_subrev_u32_e32 v26, 28, v32
	v_lshlrev_b64 v[26:27], v26, v[34:35]
	v_lshrrev_b32_e32 v16, 3, v10
	v_sub_u32_e32 v27, 29, v32
	v_cmp_gt_u32_e64 s[6:7], 8, v10
	v_cndmask_b32_e64 v10, v16, v27, s[6:7]
	v_and_b32_e32 v26, 7, v26
	v_lshlrev_b32_e32 v16, 8, v34
	v_lshl_add_u32 v10, v10, 10, v41
	v_cndmask_b32_e64 v11, v11, v26, s[6:7]
	v_and_or_b32 v10, v16, s21, v10
	v_lshl_or_b32 v10, v11, 7, v10
	v_cvt_f32_f16_e32 v56, v10
.LBB325_1321:                           ;   in Loop: Header=BB325_811 Depth=1
	s_or_b64 exec, exec, s[28:29]
.LBB325_1322:                           ;   in Loop: Header=BB325_811 Depth=1
	s_or_b64 exec, exec, s[26:27]
.LBB325_1323:                           ;   in Loop: Header=BB325_811 Depth=1
	s_or_b64 exec, exec, s[24:25]
	v_lshrrev_b32_e32 v34, 16, v58
	v_cmp_ne_u16_sdwa s[6:7], v34, v35 src0_sel:BYTE_0 src1_sel:DWORD
	v_mov_b32_e32 v57, 0
	v_mov_b32_e32 v47, 0
	s_and_saveexec_b64 s[24:25], s[6:7]
	s_cbranch_execz .LBB325_1329
; %bb.1324:                             ;   in Loop: Header=BB325_811 Depth=1
	v_cmp_ne_u16_sdwa s[6:7], v34, s9 src0_sel:BYTE_0 src1_sel:DWORD
	v_bfrev_b32_e32 v47, 1
	s_and_saveexec_b64 s[26:27], s[6:7]
	s_cbranch_execz .LBB325_1328
; %bb.1325:                             ;   in Loop: Header=BB325_811 Depth=1
	v_bfe_u32 v10, v58, 16, 7
	v_cmp_ne_u32_e64 s[6:7], s15, v10
	v_mov_b32_e32 v47, 0x7fc02000
	s_and_saveexec_b64 s[28:29], s[6:7]
	s_cbranch_execz .LBB325_1327
; %bb.1326:                             ;   in Loop: Header=BB325_811 Depth=1
	v_and_b32_e32 v11, 7, v34
	v_ffbh_u32_e32 v26, v11
	v_min_u32_e32 v32, 32, v26
	v_subrev_u32_e32 v26, 28, v32
	v_lshlrev_b64 v[26:27], v26, v[34:35]
	v_lshrrev_b32_e32 v16, 3, v10
	v_sub_u32_e32 v27, 29, v32
	v_cmp_gt_u32_e64 s[6:7], 8, v10
	v_cndmask_b32_e64 v10, v16, v27, s[6:7]
	v_and_b32_e32 v26, 7, v26
	v_lshlrev_b32_e32 v16, 8, v34
	v_lshl_add_u32 v10, v10, 10, v41
	v_cndmask_b32_e64 v11, v11, v26, s[6:7]
	v_and_or_b32 v10, v16, s21, v10
	v_lshl_or_b32 v10, v11, 7, v10
	v_cvt_f32_f16_e32 v47, v10
.LBB325_1327:                           ;   in Loop: Header=BB325_811 Depth=1
	s_or_b64 exec, exec, s[28:29]
.LBB325_1328:                           ;   in Loop: Header=BB325_811 Depth=1
	s_or_b64 exec, exec, s[26:27]
.LBB325_1329:                           ;   in Loop: Header=BB325_811 Depth=1
	s_or_b64 exec, exec, s[24:25]
	v_cmp_lt_u32_e64 s[6:7], s13, v58
	s_and_saveexec_b64 s[24:25], s[6:7]
	s_cbranch_execz .LBB325_1335
; %bb.1330:                             ;   in Loop: Header=BB325_811 Depth=1
	v_lshrrev_b32_e32 v34, 24, v58
	v_cmp_ne_u32_e64 s[6:7], s9, v34
	v_bfrev_b32_e32 v57, 1
	s_and_saveexec_b64 s[26:27], s[6:7]
	s_cbranch_execz .LBB325_1334
; %bb.1331:                             ;   in Loop: Header=BB325_811 Depth=1
	v_and_b32_e32 v10, 0x7f, v34
	v_cmp_ne_u32_e64 s[6:7], s15, v10
	v_mov_b32_e32 v57, 0x7fc02000
	s_and_saveexec_b64 s[28:29], s[6:7]
	s_cbranch_execz .LBB325_1333
; %bb.1332:                             ;   in Loop: Header=BB325_811 Depth=1
	v_and_b32_e32 v11, 7, v34
	v_ffbh_u32_e32 v26, v11
	v_min_u32_e32 v32, 32, v26
	v_subrev_u32_e32 v26, 28, v32
	v_lshlrev_b64 v[26:27], v26, v[34:35]
	v_lshrrev_b32_e32 v16, 3, v10
	v_sub_u32_e32 v27, 29, v32
	v_cmp_gt_u32_e64 s[6:7], 8, v10
	v_cndmask_b32_e64 v10, v16, v27, s[6:7]
	v_and_b32_e32 v26, 7, v26
	v_lshlrev_b32_e32 v16, 8, v34
	v_lshl_add_u32 v10, v10, 10, v41
	v_cndmask_b32_e64 v11, v11, v26, s[6:7]
	v_and_or_b32 v10, v16, s21, v10
	v_lshl_or_b32 v10, v11, 7, v10
	v_cvt_f32_f16_e32 v57, v10
.LBB325_1333:                           ;   in Loop: Header=BB325_811 Depth=1
	s_or_b64 exec, exec, s[28:29]
.LBB325_1334:                           ;   in Loop: Header=BB325_811 Depth=1
	s_or_b64 exec, exec, s[26:27]
.LBB325_1335:                           ;   in Loop: Header=BB325_811 Depth=1
	s_or_b64 exec, exec, s[24:25]
	v_mov_b32_e32 v34, v59
	v_cmp_ne_u16_sdwa s[6:7], v59, v35 src0_sel:BYTE_0 src1_sel:DWORD
	v_mov_b32_e32 v11, 0
	v_mov_b32_e32 v10, 0
	s_and_saveexec_b64 s[24:25], s[6:7]
	s_cbranch_execz .LBB325_1341
; %bb.1336:                             ;   in Loop: Header=BB325_811 Depth=1
	v_cmp_ne_u16_sdwa s[6:7], v59, s9 src0_sel:BYTE_0 src1_sel:DWORD
	v_bfrev_b32_e32 v10, 1
	s_and_saveexec_b64 s[26:27], s[6:7]
	s_cbranch_execz .LBB325_1340
; %bb.1337:                             ;   in Loop: Header=BB325_811 Depth=1
	v_and_b32_e32 v16, 0x7f, v59
	v_cmp_ne_u32_e64 s[6:7], s15, v16
	v_mov_b32_e32 v10, 0x7fc02000
	s_and_saveexec_b64 s[28:29], s[6:7]
	s_cbranch_execz .LBB325_1339
; %bb.1338:                             ;   in Loop: Header=BB325_811 Depth=1
	v_and_b32_e32 v10, 7, v59
	v_ffbh_u32_e32 v10, v10
	v_min_u32_e32 v10, 32, v10
	v_subrev_u32_e32 v26, 28, v10
	v_cmp_gt_u32_e64 s[6:7], 8, v16
	v_lshrrev_b32_e32 v32, 3, v16
	v_sub_u32_e32 v10, 29, v10
	v_cndmask_b32_e64 v16, 0, v26, s[6:7]
	v_lshlrev_b64 v[26:27], v16, v[34:35]
	v_cndmask_b32_e64 v10, v32, v10, s[6:7]
	v_lshlrev_b32_e32 v16, 7, v26
	v_lshlrev_b32_e32 v26, 8, v59
	v_lshl_add_u32 v10, v10, 10, v41
	v_and_or_b32 v10, v26, s21, v10
	v_and_or_b32 v10, v16, s30, v10
	v_cvt_f32_f16_e32 v10, v10
.LBB325_1339:                           ;   in Loop: Header=BB325_811 Depth=1
	s_or_b64 exec, exec, s[28:29]
.LBB325_1340:                           ;   in Loop: Header=BB325_811 Depth=1
	s_or_b64 exec, exec, s[26:27]
.LBB325_1341:                           ;   in Loop: Header=BB325_811 Depth=1
	s_or_b64 exec, exec, s[24:25]
	v_lshrrev_b16_e32 v34, 8, v34
	v_cmp_ne_u16_e64 s[6:7], 0, v34
	s_and_saveexec_b64 s[24:25], s[6:7]
	s_cbranch_execz .LBB325_1347
; %bb.1342:                             ;   in Loop: Header=BB325_811 Depth=1
	v_cmp_ne_u16_e64 s[6:7], s9, v34
	v_bfrev_b32_e32 v11, 1
	s_and_saveexec_b64 s[26:27], s[6:7]
	s_cbranch_execz .LBB325_1346
; %bb.1343:                             ;   in Loop: Header=BB325_811 Depth=1
	v_and_b32_e32 v16, 0x7f, v34
	v_cmp_ne_u32_e64 s[6:7], s15, v16
	v_mov_b32_e32 v11, 0x7fc02000
	s_and_saveexec_b64 s[28:29], s[6:7]
	s_cbranch_execz .LBB325_1345
; %bb.1344:                             ;   in Loop: Header=BB325_811 Depth=1
	v_and_b32_e32 v11, 7, v34
	v_ffbh_u32_e32 v26, v11
	v_min_u32_e32 v36, 32, v26
	v_subrev_u32_e32 v26, 28, v36
	v_lshlrev_b64 v[26:27], v26, v[34:35]
	v_lshrrev_b32_e32 v32, 3, v16
	v_sub_u32_e32 v27, 29, v36
	v_cmp_gt_u32_e64 s[6:7], 8, v16
	v_and_b32_e32 v26, 7, v26
	v_cndmask_b32_e64 v16, v32, v27, s[6:7]
	v_cndmask_b32_e64 v11, v11, v26, s[6:7]
	v_lshlrev_b32_e32 v26, 8, v34
	v_lshl_add_u32 v16, v16, 10, v41
	v_and_or_b32 v16, v26, s21, v16
	v_lshl_or_b32 v11, v11, 7, v16
	v_cvt_f32_f16_e32 v11, v11
.LBB325_1345:                           ;   in Loop: Header=BB325_811 Depth=1
	s_or_b64 exec, exec, s[28:29]
.LBB325_1346:                           ;   in Loop: Header=BB325_811 Depth=1
	s_or_b64 exec, exec, s[26:27]
.LBB325_1347:                           ;   in Loop: Header=BB325_811 Depth=1
	s_or_b64 exec, exec, s[24:25]
	v_lshrrev_b32_e32 v34, 16, v59
	v_cmp_ne_u16_sdwa s[6:7], v34, v35 src0_sel:BYTE_0 src1_sel:DWORD
	v_mov_b32_e32 v16, 0
	v_mov_b32_e32 v26, 0
	s_and_saveexec_b64 s[24:25], s[6:7]
	s_cbranch_execz .LBB325_1353
; %bb.1348:                             ;   in Loop: Header=BB325_811 Depth=1
	v_cmp_ne_u16_sdwa s[6:7], v34, s9 src0_sel:BYTE_0 src1_sel:DWORD
	v_bfrev_b32_e32 v26, 1
	s_and_saveexec_b64 s[26:27], s[6:7]
	s_cbranch_execz .LBB325_1352
; %bb.1349:                             ;   in Loop: Header=BB325_811 Depth=1
	v_bfe_u32 v27, v59, 16, 7
	v_cmp_ne_u32_e64 s[6:7], s15, v27
	v_mov_b32_e32 v26, 0x7fc02000
	s_and_saveexec_b64 s[28:29], s[6:7]
	s_cbranch_execz .LBB325_1351
; %bb.1350:                             ;   in Loop: Header=BB325_811 Depth=1
	v_and_b32_e32 v26, 7, v34
	v_ffbh_u32_e32 v36, v26
	v_min_u32_e32 v36, 32, v36
	v_lshrrev_b32_e32 v32, 3, v27
	v_subrev_u32_e32 v37, 28, v36
	v_sub_u32_e32 v36, 29, v36
	v_cmp_gt_u32_e64 s[6:7], 8, v27
	v_lshlrev_b64 v[60:61], v37, v[34:35]
	v_cndmask_b32_e64 v27, v32, v36, s[6:7]
	v_and_b32_e32 v37, 7, v60
	v_lshlrev_b32_e32 v32, 8, v34
	v_lshl_add_u32 v27, v27, 10, v41
	v_cndmask_b32_e64 v26, v26, v37, s[6:7]
	v_and_or_b32 v27, v32, s21, v27
	v_lshl_or_b32 v26, v26, 7, v27
	v_cvt_f32_f16_e32 v26, v26
.LBB325_1351:                           ;   in Loop: Header=BB325_811 Depth=1
	s_or_b64 exec, exec, s[28:29]
.LBB325_1352:                           ;   in Loop: Header=BB325_811 Depth=1
	s_or_b64 exec, exec, s[26:27]
.LBB325_1353:                           ;   in Loop: Header=BB325_811 Depth=1
	s_or_b64 exec, exec, s[24:25]
	v_cmp_lt_u64_e64 s[6:7], s[12:13], v[58:59]
	s_and_saveexec_b64 s[24:25], s[6:7]
	s_cbranch_execz .LBB325_1359
; %bb.1354:                             ;   in Loop: Header=BB325_811 Depth=1
	v_lshrrev_b32_e32 v34, 24, v59
	v_cmp_ne_u32_e64 s[6:7], s9, v34
	v_bfrev_b32_e32 v16, 1
	s_and_saveexec_b64 s[26:27], s[6:7]
	s_cbranch_execz .LBB325_1358
; %bb.1355:                             ;   in Loop: Header=BB325_811 Depth=1
	v_and_b32_e32 v27, 0x7f, v34
	v_cmp_ne_u32_e64 s[6:7], s15, v27
	v_mov_b32_e32 v16, 0x7fc02000
	s_and_saveexec_b64 s[28:29], s[6:7]
	s_cbranch_execz .LBB325_1357
; %bb.1356:                             ;   in Loop: Header=BB325_811 Depth=1
	v_and_b32_e32 v16, 7, v34
	v_ffbh_u32_e32 v36, v16
	v_min_u32_e32 v36, 32, v36
	v_lshrrev_b32_e32 v32, 3, v27
	v_subrev_u32_e32 v37, 28, v36
	v_sub_u32_e32 v36, 29, v36
	v_cmp_gt_u32_e64 s[6:7], 8, v27
	v_lshlrev_b64 v[58:59], v37, v[34:35]
	v_cndmask_b32_e64 v27, v32, v36, s[6:7]
	v_and_b32_e32 v37, 7, v58
	v_lshlrev_b32_e32 v32, 8, v34
	v_lshl_add_u32 v27, v27, 10, v41
	v_cndmask_b32_e64 v16, v16, v37, s[6:7]
	v_and_or_b32 v27, v32, s21, v27
	v_lshl_or_b32 v16, v16, 7, v27
	v_cvt_f32_f16_e32 v16, v16
.LBB325_1357:                           ;   in Loop: Header=BB325_811 Depth=1
	s_or_b64 exec, exec, s[28:29]
.LBB325_1358:                           ;   in Loop: Header=BB325_811 Depth=1
	s_or_b64 exec, exec, s[26:27]
.LBB325_1359:                           ;   in Loop: Header=BB325_811 Depth=1
	s_or_b64 exec, exec, s[24:25]
	s_waitcnt vmcnt(0) lgkmcnt(0)
	v_pk_mul_f32 v[56:57], v[44:45], v[56:57] op_sel_hi:[0,1]
	v_pk_mul_f32 v[46:47], v[44:45], v[46:47] op_sel_hi:[0,1]
	v_cvt_f16_f32_e32 v27, v57
	v_cvt_f16_f32_e32 v32, v56
	;; [unrolled: 1-line block ×4, first 2 shown]
	v_fma_mixlo_f16 v11, v44, v11, 0
	v_lshlrev_b32_e32 v11, 16, v11
	v_fma_mixlo_f16 v10, v44, v10, 0
	v_or_b32_sdwa v10, v11, v10 dst_sel:DWORD dst_unused:UNUSED_PAD src0_sel:DWORD src1_sel:WORD_0
	v_fma_mixlo_f16 v11, v44, v16, 0
	v_pack_b32_f16 v32, v32, v27
	v_pack_b32_f16 v34, v36, v34
	v_fma_mixlo_f16 v26, v44, v26, 0
	v_lshlrev_b32_e32 v11, 16, v11
	v_perm_b32 v27, v34, v32, s31
	v_perm_b32 v32, v34, v32, s34
	v_or_b32_sdwa v11, v11, v26 dst_sel:DWORD dst_unused:UNUSED_PAD src0_sel:DWORD src1_sel:WORD_0
	s_and_saveexec_b64 s[24:25], vcc
	s_cbranch_execz .LBB325_1361
; %bb.1360:                             ;   in Loop: Header=BB325_811 Depth=1
	buffer_load_dword v36, off, s[0:3], s32 offset:196 ; 4-byte Folded Reload
	buffer_load_dword v37, off, s[0:3], s32 offset:200 ; 4-byte Folded Reload
	v_lshrrev_b32_e32 v16, 16, v32
	v_cmp_lt_i32_e64 s[6:7], v38, v17
	v_cndmask_b32_e64 v16, 0, v16, s[6:7]
	v_lshrrev_b32_e32 v11, 16, v11
	s_waitcnt vmcnt(1)
	v_mov_b32_e32 v22, v36
	v_cmp_lt_i32_e64 s[6:7], v7, v22
	v_cndmask_b32_e64 v32, 0, v32, s[6:7]
	v_perm_b32 v32, v16, v32, s35
	v_lshrrev_b32_e32 v16, 16, v27
	v_cmp_lt_i32_e64 s[6:7], v62, v17
	v_cndmask_b32_e64 v16, 0, v16, s[6:7]
	v_cmp_lt_i32_e64 s[6:7], v33, v22
	v_cndmask_b32_e64 v27, 0, v27, s[6:7]
	v_perm_b32 v27, v16, v27, s35
	v_lshrrev_b32_e32 v16, 16, v10
	v_cmp_lt_i32_e64 s[6:7], v43, v17
	v_cndmask_b32_e64 v16, 0, v16, s[6:7]
	v_cmp_lt_i32_e64 s[6:7], v55, v22
	v_cndmask_b32_e64 v10, 0, v10, s[6:7]
	v_perm_b32 v10, v16, v10, s35
	v_accvgpr_read_b32 v16, a17
	v_cmp_lt_i32_e64 s[6:7], v16, v17
	v_accvgpr_read_b32 v16, a11
	v_cndmask_b32_e64 v11, 0, v11, s[6:7]
	v_cmp_lt_i32_e64 s[6:7], v16, v22
	v_cndmask_b32_e64 v16, 0, v26, s[6:7]
	v_perm_b32 v11, v11, v16, s35
.LBB325_1361:                           ;   in Loop: Header=BB325_811 Depth=1
	s_or_b64 exec, exec, s[24:25]
	;;#ASMSTART
	v_pk_mul_f16 v16, v5, v32;

	;;#ASMEND
	;;#ASMSTART
	v_pk_mul_f16 v26, v4, v27;

	;;#ASMEND
	;; [unrolled: 4-line block ×4, first 2 shown]
	;;#ASMSTART
	v_pk_add_f16 v16, v16, v26;

	;;#ASMEND
	;;#ASMSTART
	v_pk_add_f16 v10, v16, v10;

	;;#ASMEND
	;; [unrolled: 4-line block ×3, first 2 shown]
	v_lshrrev_b32_e32 v11, 16, v10
	v_and_b32_e32 v10, 0xffff, v10
	;;#ASMSTART
	v_cvt_f32_f16 v42, v10;
	;;#ASMEND
	v_accvgpr_read_b32 v10, a32
	v_add_co_u32_e64 v10, s[6:7], v18, v10
	;;#ASMSTART
	v_cvt_f32_f16 v51, v11;
	;;#ASMEND
	v_addc_co_u32_e64 v11, s[6:7], 0, v19, s[6:7]
	flat_load_dwordx2 v[58:59], v[10:11]
	s_nop 0
	buffer_load_dword v10, off, s[0:3], s32 offset:188 ; 4-byte Folded Reload
	buffer_load_dword v11, off, s[0:3], s32 offset:192 ; 4-byte Folded Reload
	v_mov_b32_e32 v56, 0
	v_mov_b32_e32 v46, 0
	s_waitcnt vmcnt(0) lgkmcnt(0)
	v_cmp_ne_u16_sdwa s[6:7], v58, v35 src0_sel:BYTE_0 src1_sel:DWORD
	flat_load_dword v44, v[10:11]
	s_and_saveexec_b64 s[24:25], s[6:7]
	s_cbranch_execz .LBB325_1367
; %bb.1362:                             ;   in Loop: Header=BB325_811 Depth=1
	v_cmp_ne_u16_sdwa s[6:7], v58, s9 src0_sel:BYTE_0 src1_sel:DWORD
	v_bfrev_b32_e32 v46, 1
	s_and_saveexec_b64 s[26:27], s[6:7]
	s_cbranch_execz .LBB325_1366
; %bb.1363:                             ;   in Loop: Header=BB325_811 Depth=1
	v_and_b32_e32 v10, 0x7f, v58
	v_cmp_ne_u32_e64 s[6:7], s15, v10
	v_mov_b32_e32 v46, 0x7fc02000
	s_and_saveexec_b64 s[28:29], s[6:7]
	s_cbranch_execz .LBB325_1365
; %bb.1364:                             ;   in Loop: Header=BB325_811 Depth=1
	v_and_b32_e32 v11, 7, v58
	v_ffbh_u32_e32 v11, v11
	v_min_u32_e32 v11, 32, v11
	v_subrev_u32_e32 v26, 28, v11
	v_cmp_gt_u32_e64 s[6:7], 8, v10
	v_lshrrev_b32_e32 v16, 3, v10
	v_cndmask_b32_e64 v10, 0, v26, s[6:7]
	v_sub_u32_e32 v27, 29, v11
	v_lshlrev_b64 v[10:11], v10, v[58:59]
	v_cndmask_b32_e64 v11, v16, v27, s[6:7]
	v_lshlrev_b32_e32 v16, 8, v58
	v_lshl_add_u32 v11, v11, 10, v41
	v_lshlrev_b32_e32 v10, 7, v10
	v_and_or_b32 v11, v16, s21, v11
	v_and_or_b32 v10, v10, s30, v11
	v_cvt_f32_f16_e32 v46, v10
.LBB325_1365:                           ;   in Loop: Header=BB325_811 Depth=1
	s_or_b64 exec, exec, s[28:29]
.LBB325_1366:                           ;   in Loop: Header=BB325_811 Depth=1
	s_or_b64 exec, exec, s[26:27]
.LBB325_1367:                           ;   in Loop: Header=BB325_811 Depth=1
	s_or_b64 exec, exec, s[24:25]
	v_lshrrev_b16_e32 v34, 8, v58
	v_cmp_ne_u16_e64 s[6:7], 0, v34
	s_and_saveexec_b64 s[24:25], s[6:7]
	s_cbranch_execz .LBB325_1373
; %bb.1368:                             ;   in Loop: Header=BB325_811 Depth=1
	v_cmp_ne_u16_e64 s[6:7], s9, v34
	v_bfrev_b32_e32 v56, 1
	s_and_saveexec_b64 s[26:27], s[6:7]
	s_cbranch_execz .LBB325_1372
; %bb.1369:                             ;   in Loop: Header=BB325_811 Depth=1
	v_and_b32_e32 v10, 0x7f, v34
	v_cmp_ne_u32_e64 s[6:7], s15, v10
	v_mov_b32_e32 v56, 0x7fc02000
	s_and_saveexec_b64 s[28:29], s[6:7]
	s_cbranch_execz .LBB325_1371
; %bb.1370:                             ;   in Loop: Header=BB325_811 Depth=1
	v_and_b32_e32 v11, 7, v34
	v_ffbh_u32_e32 v26, v11
	v_min_u32_e32 v32, 32, v26
	v_subrev_u32_e32 v26, 28, v32
	v_lshlrev_b64 v[26:27], v26, v[34:35]
	v_lshrrev_b32_e32 v16, 3, v10
	v_sub_u32_e32 v27, 29, v32
	v_cmp_gt_u32_e64 s[6:7], 8, v10
	v_cndmask_b32_e64 v10, v16, v27, s[6:7]
	v_and_b32_e32 v26, 7, v26
	v_lshlrev_b32_e32 v16, 8, v34
	v_lshl_add_u32 v10, v10, 10, v41
	v_cndmask_b32_e64 v11, v11, v26, s[6:7]
	v_and_or_b32 v10, v16, s21, v10
	v_lshl_or_b32 v10, v11, 7, v10
	v_cvt_f32_f16_e32 v56, v10
.LBB325_1371:                           ;   in Loop: Header=BB325_811 Depth=1
	s_or_b64 exec, exec, s[28:29]
.LBB325_1372:                           ;   in Loop: Header=BB325_811 Depth=1
	s_or_b64 exec, exec, s[26:27]
.LBB325_1373:                           ;   in Loop: Header=BB325_811 Depth=1
	s_or_b64 exec, exec, s[24:25]
	v_lshrrev_b32_e32 v34, 16, v58
	v_cmp_ne_u16_sdwa s[6:7], v34, v35 src0_sel:BYTE_0 src1_sel:DWORD
	v_mov_b32_e32 v57, 0
	v_mov_b32_e32 v47, 0
	s_and_saveexec_b64 s[24:25], s[6:7]
	s_cbranch_execz .LBB325_1379
; %bb.1374:                             ;   in Loop: Header=BB325_811 Depth=1
	v_cmp_ne_u16_sdwa s[6:7], v34, s9 src0_sel:BYTE_0 src1_sel:DWORD
	v_bfrev_b32_e32 v47, 1
	s_and_saveexec_b64 s[26:27], s[6:7]
	s_cbranch_execz .LBB325_1378
; %bb.1375:                             ;   in Loop: Header=BB325_811 Depth=1
	v_bfe_u32 v10, v58, 16, 7
	v_cmp_ne_u32_e64 s[6:7], s15, v10
	v_mov_b32_e32 v47, 0x7fc02000
	s_and_saveexec_b64 s[28:29], s[6:7]
	s_cbranch_execz .LBB325_1377
; %bb.1376:                             ;   in Loop: Header=BB325_811 Depth=1
	v_and_b32_e32 v11, 7, v34
	v_ffbh_u32_e32 v26, v11
	v_min_u32_e32 v32, 32, v26
	v_subrev_u32_e32 v26, 28, v32
	v_lshlrev_b64 v[26:27], v26, v[34:35]
	v_lshrrev_b32_e32 v16, 3, v10
	v_sub_u32_e32 v27, 29, v32
	v_cmp_gt_u32_e64 s[6:7], 8, v10
	v_cndmask_b32_e64 v10, v16, v27, s[6:7]
	v_and_b32_e32 v26, 7, v26
	v_lshlrev_b32_e32 v16, 8, v34
	v_lshl_add_u32 v10, v10, 10, v41
	v_cndmask_b32_e64 v11, v11, v26, s[6:7]
	v_and_or_b32 v10, v16, s21, v10
	v_lshl_or_b32 v10, v11, 7, v10
	v_cvt_f32_f16_e32 v47, v10
.LBB325_1377:                           ;   in Loop: Header=BB325_811 Depth=1
	s_or_b64 exec, exec, s[28:29]
.LBB325_1378:                           ;   in Loop: Header=BB325_811 Depth=1
	s_or_b64 exec, exec, s[26:27]
.LBB325_1379:                           ;   in Loop: Header=BB325_811 Depth=1
	s_or_b64 exec, exec, s[24:25]
	v_cmp_lt_u32_e64 s[6:7], s13, v58
	s_and_saveexec_b64 s[24:25], s[6:7]
	s_cbranch_execz .LBB325_1385
; %bb.1380:                             ;   in Loop: Header=BB325_811 Depth=1
	v_lshrrev_b32_e32 v34, 24, v58
	v_cmp_ne_u32_e64 s[6:7], s9, v34
	v_bfrev_b32_e32 v57, 1
	s_and_saveexec_b64 s[26:27], s[6:7]
	s_cbranch_execz .LBB325_1384
; %bb.1381:                             ;   in Loop: Header=BB325_811 Depth=1
	v_and_b32_e32 v10, 0x7f, v34
	v_cmp_ne_u32_e64 s[6:7], s15, v10
	v_mov_b32_e32 v57, 0x7fc02000
	s_and_saveexec_b64 s[28:29], s[6:7]
	s_cbranch_execz .LBB325_1383
; %bb.1382:                             ;   in Loop: Header=BB325_811 Depth=1
	v_and_b32_e32 v11, 7, v34
	v_ffbh_u32_e32 v26, v11
	v_min_u32_e32 v32, 32, v26
	v_subrev_u32_e32 v26, 28, v32
	v_lshlrev_b64 v[26:27], v26, v[34:35]
	v_lshrrev_b32_e32 v16, 3, v10
	v_sub_u32_e32 v27, 29, v32
	v_cmp_gt_u32_e64 s[6:7], 8, v10
	v_cndmask_b32_e64 v10, v16, v27, s[6:7]
	v_and_b32_e32 v26, 7, v26
	v_lshlrev_b32_e32 v16, 8, v34
	v_lshl_add_u32 v10, v10, 10, v41
	v_cndmask_b32_e64 v11, v11, v26, s[6:7]
	v_and_or_b32 v10, v16, s21, v10
	v_lshl_or_b32 v10, v11, 7, v10
	v_cvt_f32_f16_e32 v57, v10
.LBB325_1383:                           ;   in Loop: Header=BB325_811 Depth=1
	s_or_b64 exec, exec, s[28:29]
.LBB325_1384:                           ;   in Loop: Header=BB325_811 Depth=1
	s_or_b64 exec, exec, s[26:27]
.LBB325_1385:                           ;   in Loop: Header=BB325_811 Depth=1
	s_or_b64 exec, exec, s[24:25]
	v_mov_b32_e32 v34, v59
	v_cmp_ne_u16_sdwa s[6:7], v59, v35 src0_sel:BYTE_0 src1_sel:DWORD
	v_mov_b32_e32 v11, 0
	v_mov_b32_e32 v10, 0
	s_and_saveexec_b64 s[24:25], s[6:7]
	s_cbranch_execz .LBB325_1391
; %bb.1386:                             ;   in Loop: Header=BB325_811 Depth=1
	v_cmp_ne_u16_sdwa s[6:7], v59, s9 src0_sel:BYTE_0 src1_sel:DWORD
	v_bfrev_b32_e32 v10, 1
	s_and_saveexec_b64 s[26:27], s[6:7]
	s_cbranch_execz .LBB325_1390
; %bb.1387:                             ;   in Loop: Header=BB325_811 Depth=1
	v_and_b32_e32 v16, 0x7f, v59
	v_cmp_ne_u32_e64 s[6:7], s15, v16
	v_mov_b32_e32 v10, 0x7fc02000
	s_and_saveexec_b64 s[28:29], s[6:7]
	s_cbranch_execz .LBB325_1389
; %bb.1388:                             ;   in Loop: Header=BB325_811 Depth=1
	v_and_b32_e32 v10, 7, v59
	v_ffbh_u32_e32 v10, v10
	v_min_u32_e32 v10, 32, v10
	v_subrev_u32_e32 v26, 28, v10
	v_cmp_gt_u32_e64 s[6:7], 8, v16
	v_lshrrev_b32_e32 v32, 3, v16
	v_sub_u32_e32 v10, 29, v10
	v_cndmask_b32_e64 v16, 0, v26, s[6:7]
	v_lshlrev_b64 v[26:27], v16, v[34:35]
	v_cndmask_b32_e64 v10, v32, v10, s[6:7]
	v_lshlrev_b32_e32 v16, 7, v26
	v_lshlrev_b32_e32 v26, 8, v59
	v_lshl_add_u32 v10, v10, 10, v41
	v_and_or_b32 v10, v26, s21, v10
	v_and_or_b32 v10, v16, s30, v10
	v_cvt_f32_f16_e32 v10, v10
.LBB325_1389:                           ;   in Loop: Header=BB325_811 Depth=1
	s_or_b64 exec, exec, s[28:29]
.LBB325_1390:                           ;   in Loop: Header=BB325_811 Depth=1
	s_or_b64 exec, exec, s[26:27]
.LBB325_1391:                           ;   in Loop: Header=BB325_811 Depth=1
	s_or_b64 exec, exec, s[24:25]
	v_lshrrev_b16_e32 v34, 8, v34
	v_cmp_ne_u16_e64 s[6:7], 0, v34
	s_and_saveexec_b64 s[24:25], s[6:7]
	s_cbranch_execz .LBB325_1397
; %bb.1392:                             ;   in Loop: Header=BB325_811 Depth=1
	v_cmp_ne_u16_e64 s[6:7], s9, v34
	v_bfrev_b32_e32 v11, 1
	s_and_saveexec_b64 s[26:27], s[6:7]
	s_cbranch_execz .LBB325_1396
; %bb.1393:                             ;   in Loop: Header=BB325_811 Depth=1
	v_and_b32_e32 v16, 0x7f, v34
	v_cmp_ne_u32_e64 s[6:7], s15, v16
	v_mov_b32_e32 v11, 0x7fc02000
	s_and_saveexec_b64 s[28:29], s[6:7]
	s_cbranch_execz .LBB325_1395
; %bb.1394:                             ;   in Loop: Header=BB325_811 Depth=1
	v_and_b32_e32 v11, 7, v34
	v_ffbh_u32_e32 v26, v11
	v_min_u32_e32 v36, 32, v26
	v_subrev_u32_e32 v26, 28, v36
	v_lshlrev_b64 v[26:27], v26, v[34:35]
	v_lshrrev_b32_e32 v32, 3, v16
	v_sub_u32_e32 v27, 29, v36
	v_cmp_gt_u32_e64 s[6:7], 8, v16
	v_and_b32_e32 v26, 7, v26
	v_cndmask_b32_e64 v16, v32, v27, s[6:7]
	v_cndmask_b32_e64 v11, v11, v26, s[6:7]
	v_lshlrev_b32_e32 v26, 8, v34
	v_lshl_add_u32 v16, v16, 10, v41
	v_and_or_b32 v16, v26, s21, v16
	v_lshl_or_b32 v11, v11, 7, v16
	v_cvt_f32_f16_e32 v11, v11
.LBB325_1395:                           ;   in Loop: Header=BB325_811 Depth=1
	s_or_b64 exec, exec, s[28:29]
.LBB325_1396:                           ;   in Loop: Header=BB325_811 Depth=1
	s_or_b64 exec, exec, s[26:27]
.LBB325_1397:                           ;   in Loop: Header=BB325_811 Depth=1
	s_or_b64 exec, exec, s[24:25]
	v_lshrrev_b32_e32 v34, 16, v59
	v_cmp_ne_u16_sdwa s[6:7], v34, v35 src0_sel:BYTE_0 src1_sel:DWORD
	v_mov_b32_e32 v16, 0
	v_mov_b32_e32 v26, 0
	s_and_saveexec_b64 s[24:25], s[6:7]
	s_cbranch_execz .LBB325_1403
; %bb.1398:                             ;   in Loop: Header=BB325_811 Depth=1
	v_cmp_ne_u16_sdwa s[6:7], v34, s9 src0_sel:BYTE_0 src1_sel:DWORD
	v_bfrev_b32_e32 v26, 1
	s_and_saveexec_b64 s[26:27], s[6:7]
	s_cbranch_execz .LBB325_1402
; %bb.1399:                             ;   in Loop: Header=BB325_811 Depth=1
	v_bfe_u32 v27, v59, 16, 7
	v_cmp_ne_u32_e64 s[6:7], s15, v27
	v_mov_b32_e32 v26, 0x7fc02000
	s_and_saveexec_b64 s[28:29], s[6:7]
	s_cbranch_execz .LBB325_1401
; %bb.1400:                             ;   in Loop: Header=BB325_811 Depth=1
	v_and_b32_e32 v26, 7, v34
	v_ffbh_u32_e32 v36, v26
	v_min_u32_e32 v36, 32, v36
	v_lshrrev_b32_e32 v32, 3, v27
	v_subrev_u32_e32 v37, 28, v36
	v_sub_u32_e32 v36, 29, v36
	v_cmp_gt_u32_e64 s[6:7], 8, v27
	v_lshlrev_b64 v[60:61], v37, v[34:35]
	v_cndmask_b32_e64 v27, v32, v36, s[6:7]
	v_and_b32_e32 v37, 7, v60
	v_lshlrev_b32_e32 v32, 8, v34
	v_lshl_add_u32 v27, v27, 10, v41
	v_cndmask_b32_e64 v26, v26, v37, s[6:7]
	v_and_or_b32 v27, v32, s21, v27
	v_lshl_or_b32 v26, v26, 7, v27
	v_cvt_f32_f16_e32 v26, v26
.LBB325_1401:                           ;   in Loop: Header=BB325_811 Depth=1
	s_or_b64 exec, exec, s[28:29]
.LBB325_1402:                           ;   in Loop: Header=BB325_811 Depth=1
	s_or_b64 exec, exec, s[26:27]
.LBB325_1403:                           ;   in Loop: Header=BB325_811 Depth=1
	s_or_b64 exec, exec, s[24:25]
	v_cmp_lt_u64_e64 s[6:7], s[12:13], v[58:59]
	s_and_saveexec_b64 s[24:25], s[6:7]
	s_cbranch_execz .LBB325_1409
; %bb.1404:                             ;   in Loop: Header=BB325_811 Depth=1
	v_lshrrev_b32_e32 v34, 24, v59
	v_cmp_ne_u32_e64 s[6:7], s9, v34
	v_bfrev_b32_e32 v16, 1
	s_and_saveexec_b64 s[26:27], s[6:7]
	s_cbranch_execz .LBB325_1408
; %bb.1405:                             ;   in Loop: Header=BB325_811 Depth=1
	v_and_b32_e32 v27, 0x7f, v34
	v_cmp_ne_u32_e64 s[6:7], s15, v27
	v_mov_b32_e32 v16, 0x7fc02000
	s_and_saveexec_b64 s[28:29], s[6:7]
	s_cbranch_execz .LBB325_1407
; %bb.1406:                             ;   in Loop: Header=BB325_811 Depth=1
	v_and_b32_e32 v16, 7, v34
	v_ffbh_u32_e32 v36, v16
	v_min_u32_e32 v36, 32, v36
	v_lshrrev_b32_e32 v32, 3, v27
	v_subrev_u32_e32 v37, 28, v36
	v_sub_u32_e32 v36, 29, v36
	v_cmp_gt_u32_e64 s[6:7], 8, v27
	v_lshlrev_b64 v[58:59], v37, v[34:35]
	v_cndmask_b32_e64 v27, v32, v36, s[6:7]
	v_and_b32_e32 v37, 7, v58
	v_lshlrev_b32_e32 v32, 8, v34
	v_lshl_add_u32 v27, v27, 10, v41
	v_cndmask_b32_e64 v16, v16, v37, s[6:7]
	v_and_or_b32 v27, v32, s21, v27
	v_lshl_or_b32 v16, v16, 7, v27
	v_cvt_f32_f16_e32 v16, v16
.LBB325_1407:                           ;   in Loop: Header=BB325_811 Depth=1
	s_or_b64 exec, exec, s[28:29]
.LBB325_1408:                           ;   in Loop: Header=BB325_811 Depth=1
	s_or_b64 exec, exec, s[26:27]
.LBB325_1409:                           ;   in Loop: Header=BB325_811 Depth=1
	s_or_b64 exec, exec, s[24:25]
	s_waitcnt vmcnt(0) lgkmcnt(0)
	v_pk_mul_f32 v[56:57], v[44:45], v[56:57] op_sel_hi:[0,1]
	v_pk_mul_f32 v[46:47], v[44:45], v[46:47] op_sel_hi:[0,1]
	v_cvt_f16_f32_e32 v27, v57
	v_cvt_f16_f32_e32 v32, v56
	;; [unrolled: 1-line block ×4, first 2 shown]
	v_fma_mixlo_f16 v11, v44, v11, 0
	v_lshlrev_b32_e32 v11, 16, v11
	v_fma_mixlo_f16 v10, v44, v10, 0
	v_or_b32_sdwa v10, v11, v10 dst_sel:DWORD dst_unused:UNUSED_PAD src0_sel:DWORD src1_sel:WORD_0
	v_fma_mixlo_f16 v11, v44, v16, 0
	v_pack_b32_f16 v32, v32, v27
	v_pack_b32_f16 v34, v36, v34
	v_fma_mixlo_f16 v26, v44, v26, 0
	v_lshlrev_b32_e32 v11, 16, v11
	v_perm_b32 v27, v34, v32, s31
	v_perm_b32 v32, v34, v32, s34
	v_or_b32_sdwa v11, v11, v26 dst_sel:DWORD dst_unused:UNUSED_PAD src0_sel:DWORD src1_sel:WORD_0
	s_and_saveexec_b64 s[24:25], vcc
	s_cbranch_execz .LBB325_1411
; %bb.1410:                             ;   in Loop: Header=BB325_811 Depth=1
	buffer_load_dword v36, off, s[0:3], s32 offset:196 ; 4-byte Folded Reload
	buffer_load_dword v37, off, s[0:3], s32 offset:200 ; 4-byte Folded Reload
	v_lshrrev_b32_e32 v16, 16, v32
	v_cmp_lt_i32_e64 s[6:7], v38, v17
	v_cndmask_b32_e64 v16, 0, v16, s[6:7]
	v_lshrrev_b32_e32 v11, 16, v11
	s_waitcnt vmcnt(1)
	v_mov_b32_e32 v22, v36
	v_cmp_lt_i32_e64 s[6:7], v7, v22
	v_cndmask_b32_e64 v32, 0, v32, s[6:7]
	v_perm_b32 v32, v16, v32, s35
	v_lshrrev_b32_e32 v16, 16, v27
	v_cmp_lt_i32_e64 s[6:7], v62, v17
	v_cndmask_b32_e64 v16, 0, v16, s[6:7]
	v_cmp_lt_i32_e64 s[6:7], v33, v22
	v_cndmask_b32_e64 v27, 0, v27, s[6:7]
	v_perm_b32 v27, v16, v27, s35
	v_lshrrev_b32_e32 v16, 16, v10
	v_cmp_lt_i32_e64 s[6:7], v43, v17
	v_cndmask_b32_e64 v16, 0, v16, s[6:7]
	v_cmp_lt_i32_e64 s[6:7], v55, v22
	v_cndmask_b32_e64 v10, 0, v10, s[6:7]
	v_perm_b32 v10, v16, v10, s35
	v_accvgpr_read_b32 v16, a17
	v_cmp_lt_i32_e64 s[6:7], v16, v17
	v_accvgpr_read_b32 v16, a11
	v_cndmask_b32_e64 v11, 0, v11, s[6:7]
	v_cmp_lt_i32_e64 s[6:7], v16, v22
	v_cndmask_b32_e64 v16, 0, v26, s[6:7]
	v_perm_b32 v11, v11, v16, s35
.LBB325_1411:                           ;   in Loop: Header=BB325_811 Depth=1
	s_or_b64 exec, exec, s[24:25]
	;;#ASMSTART
	v_pk_mul_f16 v16, v5, v32;

	;;#ASMEND
	;;#ASMSTART
	v_pk_mul_f16 v26, v4, v27;

	;;#ASMEND
	;; [unrolled: 4-line block ×4, first 2 shown]
	;;#ASMSTART
	v_pk_add_f16 v16, v16, v26;

	;;#ASMEND
	;;#ASMSTART
	v_pk_add_f16 v10, v16, v10;

	;;#ASMEND
	;; [unrolled: 4-line block ×3, first 2 shown]
	v_lshrrev_b32_e32 v11, 16, v10
	v_and_b32_e32 v10, 0xffff, v10
	;;#ASMSTART
	v_cvt_f32_f16 v53, v10;
	;;#ASMEND
	v_accvgpr_read_b32 v10, a34
	v_add_co_u32_e64 v10, s[6:7], v18, v10
	;;#ASMSTART
	v_cvt_f32_f16 v32, v11;
	;;#ASMEND
	v_addc_co_u32_e64 v11, s[6:7], 0, v19, s[6:7]
	flat_load_dwordx2 v[58:59], v[10:11]
	s_nop 0
	buffer_load_dword v10, off, s[0:3], s32 offset:188 ; 4-byte Folded Reload
	buffer_load_dword v11, off, s[0:3], s32 offset:192 ; 4-byte Folded Reload
	v_mov_b32_e32 v56, 0
	v_mov_b32_e32 v46, 0
	s_waitcnt vmcnt(0) lgkmcnt(0)
	v_cmp_ne_u16_sdwa s[6:7], v58, v35 src0_sel:BYTE_0 src1_sel:DWORD
	flat_load_dword v44, v[10:11]
	s_and_saveexec_b64 s[24:25], s[6:7]
	s_cbranch_execz .LBB325_1417
; %bb.1412:                             ;   in Loop: Header=BB325_811 Depth=1
	v_cmp_ne_u16_sdwa s[6:7], v58, s9 src0_sel:BYTE_0 src1_sel:DWORD
	v_bfrev_b32_e32 v46, 1
	s_and_saveexec_b64 s[26:27], s[6:7]
	s_cbranch_execz .LBB325_1416
; %bb.1413:                             ;   in Loop: Header=BB325_811 Depth=1
	v_and_b32_e32 v10, 0x7f, v58
	v_cmp_ne_u32_e64 s[6:7], s15, v10
	v_mov_b32_e32 v46, 0x7fc02000
	s_and_saveexec_b64 s[28:29], s[6:7]
	s_cbranch_execz .LBB325_1415
; %bb.1414:                             ;   in Loop: Header=BB325_811 Depth=1
	v_and_b32_e32 v11, 7, v58
	v_ffbh_u32_e32 v11, v11
	v_min_u32_e32 v11, 32, v11
	v_subrev_u32_e32 v26, 28, v11
	v_cmp_gt_u32_e64 s[6:7], 8, v10
	v_lshrrev_b32_e32 v16, 3, v10
	v_cndmask_b32_e64 v10, 0, v26, s[6:7]
	v_sub_u32_e32 v27, 29, v11
	v_lshlrev_b64 v[10:11], v10, v[58:59]
	v_cndmask_b32_e64 v11, v16, v27, s[6:7]
	v_lshlrev_b32_e32 v16, 8, v58
	v_lshl_add_u32 v11, v11, 10, v41
	v_lshlrev_b32_e32 v10, 7, v10
	v_and_or_b32 v11, v16, s21, v11
	v_and_or_b32 v10, v10, s30, v11
	v_cvt_f32_f16_e32 v46, v10
.LBB325_1415:                           ;   in Loop: Header=BB325_811 Depth=1
	s_or_b64 exec, exec, s[28:29]
.LBB325_1416:                           ;   in Loop: Header=BB325_811 Depth=1
	s_or_b64 exec, exec, s[26:27]
.LBB325_1417:                           ;   in Loop: Header=BB325_811 Depth=1
	s_or_b64 exec, exec, s[24:25]
	v_lshrrev_b16_e32 v34, 8, v58
	v_cmp_ne_u16_e64 s[6:7], 0, v34
	s_and_saveexec_b64 s[24:25], s[6:7]
	s_cbranch_execz .LBB325_1423
; %bb.1418:                             ;   in Loop: Header=BB325_811 Depth=1
	v_cmp_ne_u16_e64 s[6:7], s9, v34
	v_bfrev_b32_e32 v56, 1
	s_and_saveexec_b64 s[26:27], s[6:7]
	s_cbranch_execz .LBB325_1422
; %bb.1419:                             ;   in Loop: Header=BB325_811 Depth=1
	v_and_b32_e32 v10, 0x7f, v34
	v_cmp_ne_u32_e64 s[6:7], s15, v10
	v_mov_b32_e32 v56, 0x7fc02000
	s_and_saveexec_b64 s[28:29], s[6:7]
	s_cbranch_execz .LBB325_1421
; %bb.1420:                             ;   in Loop: Header=BB325_811 Depth=1
	v_and_b32_e32 v11, 7, v34
	v_ffbh_u32_e32 v26, v11
	v_min_u32_e32 v36, 32, v26
	v_subrev_u32_e32 v26, 28, v36
	v_lshlrev_b64 v[26:27], v26, v[34:35]
	v_lshrrev_b32_e32 v16, 3, v10
	v_sub_u32_e32 v27, 29, v36
	v_cmp_gt_u32_e64 s[6:7], 8, v10
	v_cndmask_b32_e64 v10, v16, v27, s[6:7]
	v_and_b32_e32 v26, 7, v26
	v_lshlrev_b32_e32 v16, 8, v34
	v_lshl_add_u32 v10, v10, 10, v41
	v_cndmask_b32_e64 v11, v11, v26, s[6:7]
	v_and_or_b32 v10, v16, s21, v10
	v_lshl_or_b32 v10, v11, 7, v10
	v_cvt_f32_f16_e32 v56, v10
.LBB325_1421:                           ;   in Loop: Header=BB325_811 Depth=1
	s_or_b64 exec, exec, s[28:29]
.LBB325_1422:                           ;   in Loop: Header=BB325_811 Depth=1
	s_or_b64 exec, exec, s[26:27]
.LBB325_1423:                           ;   in Loop: Header=BB325_811 Depth=1
	s_or_b64 exec, exec, s[24:25]
	v_lshrrev_b32_e32 v34, 16, v58
	v_cmp_ne_u16_sdwa s[6:7], v34, v35 src0_sel:BYTE_0 src1_sel:DWORD
	v_mov_b32_e32 v57, 0
	v_mov_b32_e32 v47, 0
	s_and_saveexec_b64 s[24:25], s[6:7]
	s_cbranch_execz .LBB325_1429
; %bb.1424:                             ;   in Loop: Header=BB325_811 Depth=1
	v_cmp_ne_u16_sdwa s[6:7], v34, s9 src0_sel:BYTE_0 src1_sel:DWORD
	v_bfrev_b32_e32 v47, 1
	s_and_saveexec_b64 s[26:27], s[6:7]
	s_cbranch_execz .LBB325_1428
; %bb.1425:                             ;   in Loop: Header=BB325_811 Depth=1
	v_bfe_u32 v10, v58, 16, 7
	v_cmp_ne_u32_e64 s[6:7], s15, v10
	v_mov_b32_e32 v47, 0x7fc02000
	s_and_saveexec_b64 s[28:29], s[6:7]
	s_cbranch_execz .LBB325_1427
; %bb.1426:                             ;   in Loop: Header=BB325_811 Depth=1
	v_and_b32_e32 v11, 7, v34
	v_ffbh_u32_e32 v26, v11
	v_min_u32_e32 v36, 32, v26
	v_subrev_u32_e32 v26, 28, v36
	v_lshlrev_b64 v[26:27], v26, v[34:35]
	v_lshrrev_b32_e32 v16, 3, v10
	v_sub_u32_e32 v27, 29, v36
	v_cmp_gt_u32_e64 s[6:7], 8, v10
	v_cndmask_b32_e64 v10, v16, v27, s[6:7]
	v_and_b32_e32 v26, 7, v26
	v_lshlrev_b32_e32 v16, 8, v34
	v_lshl_add_u32 v10, v10, 10, v41
	v_cndmask_b32_e64 v11, v11, v26, s[6:7]
	v_and_or_b32 v10, v16, s21, v10
	v_lshl_or_b32 v10, v11, 7, v10
	v_cvt_f32_f16_e32 v47, v10
.LBB325_1427:                           ;   in Loop: Header=BB325_811 Depth=1
	s_or_b64 exec, exec, s[28:29]
.LBB325_1428:                           ;   in Loop: Header=BB325_811 Depth=1
	s_or_b64 exec, exec, s[26:27]
.LBB325_1429:                           ;   in Loop: Header=BB325_811 Depth=1
	s_or_b64 exec, exec, s[24:25]
	v_cmp_lt_u32_e64 s[6:7], s13, v58
	s_and_saveexec_b64 s[24:25], s[6:7]
	s_cbranch_execz .LBB325_1435
; %bb.1430:                             ;   in Loop: Header=BB325_811 Depth=1
	v_lshrrev_b32_e32 v34, 24, v58
	v_cmp_ne_u32_e64 s[6:7], s9, v34
	v_bfrev_b32_e32 v57, 1
	s_and_saveexec_b64 s[26:27], s[6:7]
	s_cbranch_execz .LBB325_1434
; %bb.1431:                             ;   in Loop: Header=BB325_811 Depth=1
	v_and_b32_e32 v10, 0x7f, v34
	v_cmp_ne_u32_e64 s[6:7], s15, v10
	v_mov_b32_e32 v57, 0x7fc02000
	s_and_saveexec_b64 s[28:29], s[6:7]
	s_cbranch_execz .LBB325_1433
; %bb.1432:                             ;   in Loop: Header=BB325_811 Depth=1
	v_and_b32_e32 v11, 7, v34
	v_ffbh_u32_e32 v26, v11
	v_min_u32_e32 v36, 32, v26
	v_subrev_u32_e32 v26, 28, v36
	v_lshlrev_b64 v[26:27], v26, v[34:35]
	v_lshrrev_b32_e32 v16, 3, v10
	v_sub_u32_e32 v27, 29, v36
	v_cmp_gt_u32_e64 s[6:7], 8, v10
	v_cndmask_b32_e64 v10, v16, v27, s[6:7]
	v_and_b32_e32 v26, 7, v26
	v_lshlrev_b32_e32 v16, 8, v34
	v_lshl_add_u32 v10, v10, 10, v41
	v_cndmask_b32_e64 v11, v11, v26, s[6:7]
	v_and_or_b32 v10, v16, s21, v10
	v_lshl_or_b32 v10, v11, 7, v10
	v_cvt_f32_f16_e32 v57, v10
.LBB325_1433:                           ;   in Loop: Header=BB325_811 Depth=1
	s_or_b64 exec, exec, s[28:29]
.LBB325_1434:                           ;   in Loop: Header=BB325_811 Depth=1
	s_or_b64 exec, exec, s[26:27]
.LBB325_1435:                           ;   in Loop: Header=BB325_811 Depth=1
	s_or_b64 exec, exec, s[24:25]
	v_mov_b32_e32 v34, v59
	v_cmp_ne_u16_sdwa s[6:7], v59, v35 src0_sel:BYTE_0 src1_sel:DWORD
	v_mov_b32_e32 v11, 0
	v_mov_b32_e32 v10, 0
	s_and_saveexec_b64 s[24:25], s[6:7]
	s_cbranch_execz .LBB325_1441
; %bb.1436:                             ;   in Loop: Header=BB325_811 Depth=1
	v_cmp_ne_u16_sdwa s[6:7], v59, s9 src0_sel:BYTE_0 src1_sel:DWORD
	v_bfrev_b32_e32 v10, 1
	s_and_saveexec_b64 s[26:27], s[6:7]
	s_cbranch_execz .LBB325_1440
; %bb.1437:                             ;   in Loop: Header=BB325_811 Depth=1
	v_and_b32_e32 v16, 0x7f, v59
	v_cmp_ne_u32_e64 s[6:7], s15, v16
	v_mov_b32_e32 v10, 0x7fc02000
	s_and_saveexec_b64 s[28:29], s[6:7]
	s_cbranch_execz .LBB325_1439
; %bb.1438:                             ;   in Loop: Header=BB325_811 Depth=1
	v_and_b32_e32 v10, 7, v59
	v_ffbh_u32_e32 v10, v10
	v_min_u32_e32 v10, 32, v10
	v_subrev_u32_e32 v26, 28, v10
	v_cmp_gt_u32_e64 s[6:7], 8, v16
	v_lshrrev_b32_e32 v36, 3, v16
	v_sub_u32_e32 v10, 29, v10
	v_cndmask_b32_e64 v16, 0, v26, s[6:7]
	v_lshlrev_b64 v[26:27], v16, v[34:35]
	v_cndmask_b32_e64 v10, v36, v10, s[6:7]
	v_lshlrev_b32_e32 v16, 7, v26
	v_lshlrev_b32_e32 v26, 8, v59
	v_lshl_add_u32 v10, v10, 10, v41
	v_and_or_b32 v10, v26, s21, v10
	v_and_or_b32 v10, v16, s30, v10
	v_cvt_f32_f16_e32 v10, v10
.LBB325_1439:                           ;   in Loop: Header=BB325_811 Depth=1
	s_or_b64 exec, exec, s[28:29]
.LBB325_1440:                           ;   in Loop: Header=BB325_811 Depth=1
	s_or_b64 exec, exec, s[26:27]
.LBB325_1441:                           ;   in Loop: Header=BB325_811 Depth=1
	s_or_b64 exec, exec, s[24:25]
	v_lshrrev_b16_e32 v34, 8, v34
	v_cmp_ne_u16_e64 s[6:7], 0, v34
	s_and_saveexec_b64 s[24:25], s[6:7]
	s_cbranch_execz .LBB325_1447
; %bb.1442:                             ;   in Loop: Header=BB325_811 Depth=1
	v_cmp_ne_u16_e64 s[6:7], s9, v34
	v_bfrev_b32_e32 v11, 1
	s_and_saveexec_b64 s[26:27], s[6:7]
	s_cbranch_execz .LBB325_1446
; %bb.1443:                             ;   in Loop: Header=BB325_811 Depth=1
	v_and_b32_e32 v16, 0x7f, v34
	v_cmp_ne_u32_e64 s[6:7], s15, v16
	v_mov_b32_e32 v11, 0x7fc02000
	s_and_saveexec_b64 s[28:29], s[6:7]
	s_cbranch_execz .LBB325_1445
; %bb.1444:                             ;   in Loop: Header=BB325_811 Depth=1
	v_and_b32_e32 v11, 7, v34
	v_ffbh_u32_e32 v26, v11
	v_min_u32_e32 v37, 32, v26
	v_subrev_u32_e32 v26, 28, v37
	v_lshlrev_b64 v[26:27], v26, v[34:35]
	v_lshrrev_b32_e32 v36, 3, v16
	v_sub_u32_e32 v27, 29, v37
	v_cmp_gt_u32_e64 s[6:7], 8, v16
	v_and_b32_e32 v26, 7, v26
	v_cndmask_b32_e64 v16, v36, v27, s[6:7]
	v_cndmask_b32_e64 v11, v11, v26, s[6:7]
	v_lshlrev_b32_e32 v26, 8, v34
	v_lshl_add_u32 v16, v16, 10, v41
	v_and_or_b32 v16, v26, s21, v16
	v_lshl_or_b32 v11, v11, 7, v16
	v_cvt_f32_f16_e32 v11, v11
.LBB325_1445:                           ;   in Loop: Header=BB325_811 Depth=1
	s_or_b64 exec, exec, s[28:29]
.LBB325_1446:                           ;   in Loop: Header=BB325_811 Depth=1
	s_or_b64 exec, exec, s[26:27]
.LBB325_1447:                           ;   in Loop: Header=BB325_811 Depth=1
	s_or_b64 exec, exec, s[24:25]
	v_lshrrev_b32_e32 v34, 16, v59
	v_cmp_ne_u16_sdwa s[6:7], v34, v35 src0_sel:BYTE_0 src1_sel:DWORD
	v_mov_b32_e32 v16, 0
	v_mov_b32_e32 v26, 0
	s_and_saveexec_b64 s[24:25], s[6:7]
	s_cbranch_execz .LBB325_1453
; %bb.1448:                             ;   in Loop: Header=BB325_811 Depth=1
	v_cmp_ne_u16_sdwa s[6:7], v34, s9 src0_sel:BYTE_0 src1_sel:DWORD
	v_bfrev_b32_e32 v26, 1
	s_and_saveexec_b64 s[26:27], s[6:7]
	s_cbranch_execz .LBB325_1452
; %bb.1449:                             ;   in Loop: Header=BB325_811 Depth=1
	v_bfe_u32 v27, v59, 16, 7
	v_cmp_ne_u32_e64 s[6:7], s15, v27
	v_mov_b32_e32 v26, 0x7fc02000
	s_and_saveexec_b64 s[28:29], s[6:7]
	s_cbranch_execz .LBB325_1451
; %bb.1450:                             ;   in Loop: Header=BB325_811 Depth=1
	v_and_b32_e32 v26, 7, v34
	v_ffbh_u32_e32 v37, v26
	v_min_u32_e32 v37, 32, v37
	v_lshrrev_b32_e32 v36, 3, v27
	v_subrev_u32_e32 v48, 28, v37
	v_sub_u32_e32 v37, 29, v37
	v_cmp_gt_u32_e64 s[6:7], 8, v27
	v_lshlrev_b64 v[60:61], v48, v[34:35]
	v_cndmask_b32_e64 v27, v36, v37, s[6:7]
	v_and_b32_e32 v48, 7, v60
	v_lshlrev_b32_e32 v34, 8, v34
	v_lshl_add_u32 v27, v27, 10, v41
	v_cndmask_b32_e64 v26, v26, v48, s[6:7]
	v_and_or_b32 v27, v34, s21, v27
	v_lshl_or_b32 v26, v26, 7, v27
	v_cvt_f32_f16_e32 v26, v26
.LBB325_1451:                           ;   in Loop: Header=BB325_811 Depth=1
	s_or_b64 exec, exec, s[28:29]
.LBB325_1452:                           ;   in Loop: Header=BB325_811 Depth=1
	s_or_b64 exec, exec, s[26:27]
.LBB325_1453:                           ;   in Loop: Header=BB325_811 Depth=1
	s_or_b64 exec, exec, s[24:25]
	v_cmp_lt_u64_e64 s[6:7], s[12:13], v[58:59]
	s_and_saveexec_b64 s[24:25], s[6:7]
	s_cbranch_execz .LBB325_1459
; %bb.1454:                             ;   in Loop: Header=BB325_811 Depth=1
	v_lshrrev_b32_e32 v34, 24, v59
	v_cmp_ne_u32_e64 s[6:7], s9, v34
	v_bfrev_b32_e32 v16, 1
	s_and_saveexec_b64 s[26:27], s[6:7]
	s_cbranch_execz .LBB325_1458
; %bb.1455:                             ;   in Loop: Header=BB325_811 Depth=1
	v_and_b32_e32 v27, 0x7f, v34
	v_cmp_ne_u32_e64 s[6:7], s15, v27
	v_mov_b32_e32 v16, 0x7fc02000
	s_and_saveexec_b64 s[28:29], s[6:7]
	s_cbranch_execz .LBB325_1457
; %bb.1456:                             ;   in Loop: Header=BB325_811 Depth=1
	v_and_b32_e32 v16, 7, v34
	v_ffbh_u32_e32 v37, v16
	v_min_u32_e32 v37, 32, v37
	v_lshrrev_b32_e32 v36, 3, v27
	v_subrev_u32_e32 v48, 28, v37
	v_sub_u32_e32 v37, 29, v37
	v_cmp_gt_u32_e64 s[6:7], 8, v27
	v_lshlrev_b64 v[58:59], v48, v[34:35]
	v_cndmask_b32_e64 v27, v36, v37, s[6:7]
	v_and_b32_e32 v48, 7, v58
	v_lshlrev_b32_e32 v34, 8, v34
	v_lshl_add_u32 v27, v27, 10, v41
	v_cndmask_b32_e64 v16, v16, v48, s[6:7]
	v_and_or_b32 v27, v34, s21, v27
	v_lshl_or_b32 v16, v16, 7, v27
	v_cvt_f32_f16_e32 v16, v16
.LBB325_1457:                           ;   in Loop: Header=BB325_811 Depth=1
	s_or_b64 exec, exec, s[28:29]
.LBB325_1458:                           ;   in Loop: Header=BB325_811 Depth=1
	s_or_b64 exec, exec, s[26:27]
.LBB325_1459:                           ;   in Loop: Header=BB325_811 Depth=1
	s_or_b64 exec, exec, s[24:25]
	s_waitcnt vmcnt(0) lgkmcnt(0)
	v_pk_mul_f32 v[56:57], v[44:45], v[56:57] op_sel_hi:[0,1]
	v_pk_mul_f32 v[46:47], v[44:45], v[46:47] op_sel_hi:[0,1]
	v_cvt_f16_f32_e32 v27, v57
	v_cvt_f16_f32_e32 v34, v56
	v_cvt_f16_f32_e32 v36, v47
	v_cvt_f16_f32_e32 v37, v46
	v_fma_mixlo_f16 v11, v44, v11, 0
	v_lshlrev_b32_e32 v11, 16, v11
	v_fma_mixlo_f16 v10, v44, v10, 0
	v_or_b32_sdwa v10, v11, v10 dst_sel:DWORD dst_unused:UNUSED_PAD src0_sel:DWORD src1_sel:WORD_0
	v_fma_mixlo_f16 v11, v44, v16, 0
	v_pack_b32_f16 v34, v34, v27
	v_pack_b32_f16 v36, v37, v36
	v_fma_mixlo_f16 v26, v44, v26, 0
	v_lshlrev_b32_e32 v11, 16, v11
	v_perm_b32 v27, v36, v34, s31
	v_perm_b32 v34, v36, v34, s34
	v_or_b32_sdwa v11, v11, v26 dst_sel:DWORD dst_unused:UNUSED_PAD src0_sel:DWORD src1_sel:WORD_0
	s_and_saveexec_b64 s[24:25], vcc
	s_cbranch_execz .LBB325_1461
; %bb.1460:                             ;   in Loop: Header=BB325_811 Depth=1
	buffer_load_dword v36, off, s[0:3], s32 offset:196 ; 4-byte Folded Reload
	buffer_load_dword v37, off, s[0:3], s32 offset:200 ; 4-byte Folded Reload
	v_lshrrev_b32_e32 v16, 16, v34
	v_cmp_lt_i32_e64 s[6:7], v38, v17
	v_cndmask_b32_e64 v16, 0, v16, s[6:7]
	v_lshrrev_b32_e32 v11, 16, v11
	s_waitcnt vmcnt(1)
	v_mov_b32_e32 v22, v36
	v_cmp_lt_i32_e64 s[6:7], v7, v22
	v_cndmask_b32_e64 v34, 0, v34, s[6:7]
	v_perm_b32 v34, v16, v34, s35
	v_lshrrev_b32_e32 v16, 16, v27
	v_cmp_lt_i32_e64 s[6:7], v62, v17
	v_cndmask_b32_e64 v16, 0, v16, s[6:7]
	v_cmp_lt_i32_e64 s[6:7], v33, v22
	v_cndmask_b32_e64 v27, 0, v27, s[6:7]
	v_perm_b32 v27, v16, v27, s35
	v_lshrrev_b32_e32 v16, 16, v10
	v_cmp_lt_i32_e64 s[6:7], v43, v17
	v_cndmask_b32_e64 v16, 0, v16, s[6:7]
	v_cmp_lt_i32_e64 s[6:7], v55, v22
	v_cndmask_b32_e64 v10, 0, v10, s[6:7]
	v_perm_b32 v10, v16, v10, s35
	v_accvgpr_read_b32 v16, a17
	v_cmp_lt_i32_e64 s[6:7], v16, v17
	v_accvgpr_read_b32 v16, a11
	v_cndmask_b32_e64 v11, 0, v11, s[6:7]
	v_cmp_lt_i32_e64 s[6:7], v16, v22
	v_cndmask_b32_e64 v16, 0, v26, s[6:7]
	v_perm_b32 v11, v11, v16, s35
.LBB325_1461:                           ;   in Loop: Header=BB325_811 Depth=1
	s_or_b64 exec, exec, s[24:25]
	;;#ASMSTART
	v_pk_mul_f16 v16, v5, v34;

	;;#ASMEND
	;;#ASMSTART
	v_pk_mul_f16 v26, v4, v27;

	;;#ASMEND
	;; [unrolled: 4-line block ×4, first 2 shown]
	;;#ASMSTART
	v_pk_add_f16 v16, v16, v26;

	;;#ASMEND
	;;#ASMSTART
	v_pk_add_f16 v10, v16, v10;

	;;#ASMEND
	;; [unrolled: 4-line block ×3, first 2 shown]
	v_lshrrev_b32_e32 v11, 16, v10
	v_and_b32_e32 v10, 0xffff, v10
	;;#ASMSTART
	v_cvt_f32_f16 v26, v10;
	;;#ASMEND
	v_accvgpr_read_b32 v10, a36
	v_add_co_u32_e64 v10, s[6:7], v18, v10
	;;#ASMSTART
	v_cvt_f32_f16 v27, v11;
	;;#ASMEND
	v_addc_co_u32_e64 v11, s[6:7], 0, v19, s[6:7]
	flat_load_dwordx2 v[58:59], v[10:11]
	s_nop 0
	buffer_load_dword v10, off, s[0:3], s32 offset:188 ; 4-byte Folded Reload
	buffer_load_dword v11, off, s[0:3], s32 offset:192 ; 4-byte Folded Reload
	v_mov_b32_e32 v56, 0
	v_mov_b32_e32 v46, 0
	s_waitcnt vmcnt(0) lgkmcnt(0)
	v_cmp_ne_u16_sdwa s[6:7], v58, v35 src0_sel:BYTE_0 src1_sel:DWORD
	flat_load_dword v44, v[10:11]
	s_and_saveexec_b64 s[24:25], s[6:7]
	s_cbranch_execz .LBB325_1467
; %bb.1462:                             ;   in Loop: Header=BB325_811 Depth=1
	v_cmp_ne_u16_sdwa s[6:7], v58, s9 src0_sel:BYTE_0 src1_sel:DWORD
	v_bfrev_b32_e32 v46, 1
	s_and_saveexec_b64 s[26:27], s[6:7]
	s_cbranch_execz .LBB325_1466
; %bb.1463:                             ;   in Loop: Header=BB325_811 Depth=1
	v_and_b32_e32 v10, 0x7f, v58
	v_cmp_ne_u32_e64 s[6:7], s15, v10
	v_mov_b32_e32 v46, 0x7fc02000
	s_and_saveexec_b64 s[28:29], s[6:7]
	s_cbranch_execz .LBB325_1465
; %bb.1464:                             ;   in Loop: Header=BB325_811 Depth=1
	v_and_b32_e32 v11, 7, v58
	v_ffbh_u32_e32 v11, v11
	v_min_u32_e32 v11, 32, v11
	v_subrev_u32_e32 v34, 28, v11
	v_cmp_gt_u32_e64 s[6:7], 8, v10
	v_lshrrev_b32_e32 v16, 3, v10
	v_cndmask_b32_e64 v10, 0, v34, s[6:7]
	v_sub_u32_e32 v36, 29, v11
	v_lshlrev_b64 v[10:11], v10, v[58:59]
	v_cndmask_b32_e64 v11, v16, v36, s[6:7]
	v_lshlrev_b32_e32 v16, 8, v58
	v_lshl_add_u32 v11, v11, 10, v41
	v_lshlrev_b32_e32 v10, 7, v10
	v_and_or_b32 v11, v16, s21, v11
	v_and_or_b32 v10, v10, s30, v11
	v_cvt_f32_f16_e32 v46, v10
.LBB325_1465:                           ;   in Loop: Header=BB325_811 Depth=1
	s_or_b64 exec, exec, s[28:29]
.LBB325_1466:                           ;   in Loop: Header=BB325_811 Depth=1
	s_or_b64 exec, exec, s[26:27]
.LBB325_1467:                           ;   in Loop: Header=BB325_811 Depth=1
	s_or_b64 exec, exec, s[24:25]
	v_lshrrev_b16_e32 v34, 8, v58
	v_cmp_ne_u16_e64 s[6:7], 0, v34
	s_and_saveexec_b64 s[24:25], s[6:7]
	s_cbranch_execz .LBB325_1473
; %bb.1468:                             ;   in Loop: Header=BB325_811 Depth=1
	v_cmp_ne_u16_e64 s[6:7], s9, v34
	v_bfrev_b32_e32 v56, 1
	s_and_saveexec_b64 s[26:27], s[6:7]
	s_cbranch_execz .LBB325_1472
; %bb.1469:                             ;   in Loop: Header=BB325_811 Depth=1
	v_and_b32_e32 v10, 0x7f, v34
	v_cmp_ne_u32_e64 s[6:7], s15, v10
	v_mov_b32_e32 v56, 0x7fc02000
	s_and_saveexec_b64 s[28:29], s[6:7]
	s_cbranch_execz .LBB325_1471
; %bb.1470:                             ;   in Loop: Header=BB325_811 Depth=1
	v_and_b32_e32 v11, 7, v34
	v_ffbh_u32_e32 v36, v11
	v_min_u32_e32 v36, 32, v36
	v_lshrrev_b32_e32 v16, 3, v10
	v_subrev_u32_e32 v37, 28, v36
	v_sub_u32_e32 v36, 29, v36
	v_cmp_gt_u32_e64 s[6:7], 8, v10
	v_lshlrev_b64 v[56:57], v37, v[34:35]
	v_cndmask_b32_e64 v10, v16, v36, s[6:7]
	v_and_b32_e32 v37, 7, v56
	v_lshlrev_b32_e32 v16, 8, v34
	v_lshl_add_u32 v10, v10, 10, v41
	v_cndmask_b32_e64 v11, v11, v37, s[6:7]
	v_and_or_b32 v10, v16, s21, v10
	v_lshl_or_b32 v10, v11, 7, v10
	v_cvt_f32_f16_e32 v56, v10
.LBB325_1471:                           ;   in Loop: Header=BB325_811 Depth=1
	s_or_b64 exec, exec, s[28:29]
.LBB325_1472:                           ;   in Loop: Header=BB325_811 Depth=1
	s_or_b64 exec, exec, s[26:27]
.LBB325_1473:                           ;   in Loop: Header=BB325_811 Depth=1
	s_or_b64 exec, exec, s[24:25]
	v_lshrrev_b32_e32 v34, 16, v58
	v_cmp_ne_u16_sdwa s[6:7], v34, v35 src0_sel:BYTE_0 src1_sel:DWORD
	v_mov_b32_e32 v57, 0
	v_mov_b32_e32 v47, 0
	s_and_saveexec_b64 s[24:25], s[6:7]
	s_cbranch_execz .LBB325_1479
; %bb.1474:                             ;   in Loop: Header=BB325_811 Depth=1
	v_cmp_ne_u16_sdwa s[6:7], v34, s9 src0_sel:BYTE_0 src1_sel:DWORD
	v_bfrev_b32_e32 v47, 1
	s_and_saveexec_b64 s[26:27], s[6:7]
	s_cbranch_execz .LBB325_1478
; %bb.1475:                             ;   in Loop: Header=BB325_811 Depth=1
	v_bfe_u32 v10, v58, 16, 7
	v_cmp_ne_u32_e64 s[6:7], s15, v10
	v_mov_b32_e32 v47, 0x7fc02000
	s_and_saveexec_b64 s[28:29], s[6:7]
	s_cbranch_execz .LBB325_1477
; %bb.1476:                             ;   in Loop: Header=BB325_811 Depth=1
	v_and_b32_e32 v11, 7, v34
	v_ffbh_u32_e32 v36, v11
	v_min_u32_e32 v36, 32, v36
	v_lshrrev_b32_e32 v16, 3, v10
	v_subrev_u32_e32 v37, 28, v36
	v_sub_u32_e32 v36, 29, v36
	v_cmp_gt_u32_e64 s[6:7], 8, v10
	v_lshlrev_b64 v[60:61], v37, v[34:35]
	v_cndmask_b32_e64 v10, v16, v36, s[6:7]
	v_and_b32_e32 v37, 7, v60
	v_lshlrev_b32_e32 v16, 8, v34
	v_lshl_add_u32 v10, v10, 10, v41
	v_cndmask_b32_e64 v11, v11, v37, s[6:7]
	v_and_or_b32 v10, v16, s21, v10
	v_lshl_or_b32 v10, v11, 7, v10
	v_cvt_f32_f16_e32 v47, v10
.LBB325_1477:                           ;   in Loop: Header=BB325_811 Depth=1
	s_or_b64 exec, exec, s[28:29]
.LBB325_1478:                           ;   in Loop: Header=BB325_811 Depth=1
	s_or_b64 exec, exec, s[26:27]
.LBB325_1479:                           ;   in Loop: Header=BB325_811 Depth=1
	s_or_b64 exec, exec, s[24:25]
	v_cmp_lt_u32_e64 s[6:7], s13, v58
	s_and_saveexec_b64 s[24:25], s[6:7]
	s_cbranch_execz .LBB325_1485
; %bb.1480:                             ;   in Loop: Header=BB325_811 Depth=1
	v_lshrrev_b32_e32 v34, 24, v58
	v_cmp_ne_u32_e64 s[6:7], s9, v34
	v_bfrev_b32_e32 v57, 1
	s_and_saveexec_b64 s[26:27], s[6:7]
	s_cbranch_execz .LBB325_1484
; %bb.1481:                             ;   in Loop: Header=BB325_811 Depth=1
	v_and_b32_e32 v10, 0x7f, v34
	v_cmp_ne_u32_e64 s[6:7], s15, v10
	v_mov_b32_e32 v57, 0x7fc02000
	s_and_saveexec_b64 s[28:29], s[6:7]
	s_cbranch_execz .LBB325_1483
; %bb.1482:                             ;   in Loop: Header=BB325_811 Depth=1
	v_and_b32_e32 v11, 7, v34
	v_ffbh_u32_e32 v36, v11
	v_min_u32_e32 v36, 32, v36
	v_lshrrev_b32_e32 v16, 3, v10
	v_subrev_u32_e32 v37, 28, v36
	v_sub_u32_e32 v36, 29, v36
	v_cmp_gt_u32_e64 s[6:7], 8, v10
	v_lshlrev_b64 v[60:61], v37, v[34:35]
	v_cndmask_b32_e64 v10, v16, v36, s[6:7]
	v_and_b32_e32 v37, 7, v60
	v_lshlrev_b32_e32 v16, 8, v34
	v_lshl_add_u32 v10, v10, 10, v41
	v_cndmask_b32_e64 v11, v11, v37, s[6:7]
	v_and_or_b32 v10, v16, s21, v10
	v_lshl_or_b32 v10, v11, 7, v10
	v_cvt_f32_f16_e32 v57, v10
.LBB325_1483:                           ;   in Loop: Header=BB325_811 Depth=1
	s_or_b64 exec, exec, s[28:29]
.LBB325_1484:                           ;   in Loop: Header=BB325_811 Depth=1
	s_or_b64 exec, exec, s[26:27]
.LBB325_1485:                           ;   in Loop: Header=BB325_811 Depth=1
	s_or_b64 exec, exec, s[24:25]
	v_mov_b32_e32 v34, v59
	v_cmp_ne_u16_sdwa s[6:7], v59, v35 src0_sel:BYTE_0 src1_sel:DWORD
	v_mov_b32_e32 v11, 0
	v_mov_b32_e32 v10, 0
	s_and_saveexec_b64 s[24:25], s[6:7]
	s_cbranch_execz .LBB325_1491
; %bb.1486:                             ;   in Loop: Header=BB325_811 Depth=1
	v_cmp_ne_u16_sdwa s[6:7], v59, s9 src0_sel:BYTE_0 src1_sel:DWORD
	v_bfrev_b32_e32 v10, 1
	s_and_saveexec_b64 s[26:27], s[6:7]
	s_cbranch_execz .LBB325_1490
; %bb.1487:                             ;   in Loop: Header=BB325_811 Depth=1
	v_and_b32_e32 v16, 0x7f, v59
	v_cmp_ne_u32_e64 s[6:7], s15, v16
	v_mov_b32_e32 v10, 0x7fc02000
	s_and_saveexec_b64 s[28:29], s[6:7]
	s_cbranch_execz .LBB325_1489
; %bb.1488:                             ;   in Loop: Header=BB325_811 Depth=1
	v_and_b32_e32 v10, 7, v59
	v_ffbh_u32_e32 v10, v10
	v_min_u32_e32 v10, 32, v10
	v_lshrrev_b32_e32 v36, 3, v16
	v_subrev_u32_e32 v37, 28, v10
	v_sub_u32_e32 v10, 29, v10
	v_cmp_gt_u32_e64 s[6:7], 8, v16
	v_cndmask_b32_e64 v16, 0, v37, s[6:7]
	v_cndmask_b32_e64 v10, v36, v10, s[6:7]
	v_lshlrev_b64 v[60:61], v16, v[34:35]
	v_lshlrev_b32_e32 v36, 8, v59
	v_lshl_add_u32 v10, v10, 10, v41
	v_lshlrev_b32_e32 v16, 7, v60
	v_and_or_b32 v10, v36, s21, v10
	v_and_or_b32 v10, v16, s30, v10
	v_cvt_f32_f16_e32 v10, v10
.LBB325_1489:                           ;   in Loop: Header=BB325_811 Depth=1
	s_or_b64 exec, exec, s[28:29]
.LBB325_1490:                           ;   in Loop: Header=BB325_811 Depth=1
	s_or_b64 exec, exec, s[26:27]
.LBB325_1491:                           ;   in Loop: Header=BB325_811 Depth=1
	s_or_b64 exec, exec, s[24:25]
	v_lshrrev_b16_e32 v34, 8, v34
	v_cmp_ne_u16_e64 s[6:7], 0, v34
	s_and_saveexec_b64 s[24:25], s[6:7]
	s_cbranch_execz .LBB325_1497
; %bb.1492:                             ;   in Loop: Header=BB325_811 Depth=1
	v_cmp_ne_u16_e64 s[6:7], s9, v34
	v_bfrev_b32_e32 v11, 1
	s_and_saveexec_b64 s[26:27], s[6:7]
	s_cbranch_execz .LBB325_1496
; %bb.1493:                             ;   in Loop: Header=BB325_811 Depth=1
	v_and_b32_e32 v16, 0x7f, v34
	v_cmp_ne_u32_e64 s[6:7], s15, v16
	v_mov_b32_e32 v11, 0x7fc02000
	s_and_saveexec_b64 s[28:29], s[6:7]
	s_cbranch_execz .LBB325_1495
; %bb.1494:                             ;   in Loop: Header=BB325_811 Depth=1
	v_and_b32_e32 v11, 7, v34
	v_ffbh_u32_e32 v37, v11
	v_min_u32_e32 v37, 32, v37
	v_lshrrev_b32_e32 v36, 3, v16
	v_subrev_u32_e32 v48, 28, v37
	v_sub_u32_e32 v37, 29, v37
	v_cmp_gt_u32_e64 s[6:7], 8, v16
	v_lshlrev_b64 v[60:61], v48, v[34:35]
	v_cndmask_b32_e64 v16, v36, v37, s[6:7]
	v_and_b32_e32 v48, 7, v60
	v_lshlrev_b32_e32 v34, 8, v34
	v_lshl_add_u32 v16, v16, 10, v41
	v_cndmask_b32_e64 v11, v11, v48, s[6:7]
	v_and_or_b32 v16, v34, s21, v16
	v_lshl_or_b32 v11, v11, 7, v16
	v_cvt_f32_f16_e32 v11, v11
.LBB325_1495:                           ;   in Loop: Header=BB325_811 Depth=1
	s_or_b64 exec, exec, s[28:29]
.LBB325_1496:                           ;   in Loop: Header=BB325_811 Depth=1
	s_or_b64 exec, exec, s[26:27]
.LBB325_1497:                           ;   in Loop: Header=BB325_811 Depth=1
	s_or_b64 exec, exec, s[24:25]
	v_lshrrev_b32_e32 v34, 16, v59
	v_cmp_ne_u16_sdwa s[6:7], v34, v35 src0_sel:BYTE_0 src1_sel:DWORD
	v_mov_b32_e32 v16, 0
	v_mov_b32_e32 v48, 0
	s_and_saveexec_b64 s[24:25], s[6:7]
	s_cbranch_execz .LBB325_1503
; %bb.1498:                             ;   in Loop: Header=BB325_811 Depth=1
	v_cmp_ne_u16_sdwa s[6:7], v34, s9 src0_sel:BYTE_0 src1_sel:DWORD
	v_bfrev_b32_e32 v48, 1
	s_and_saveexec_b64 s[26:27], s[6:7]
	s_cbranch_execz .LBB325_1502
; %bb.1499:                             ;   in Loop: Header=BB325_811 Depth=1
	v_bfe_u32 v45, v59, 16, 7
	v_cmp_ne_u32_e64 s[6:7], s15, v45
	v_mov_b32_e32 v48, 0x7fc02000
	s_and_saveexec_b64 s[28:29], s[6:7]
	s_cbranch_execz .LBB325_1501
; %bb.1500:                             ;   in Loop: Header=BB325_811 Depth=1
	v_and_b32_e32 v36, 7, v34
	v_ffbh_u32_e32 v48, v36
	v_min_u32_e32 v48, 32, v48
	v_lshrrev_b32_e32 v37, 3, v45
	v_subrev_u32_e32 v60, 28, v48
	v_sub_u32_e32 v48, 29, v48
	v_cmp_gt_u32_e64 s[6:7], 8, v45
	v_lshlrev_b64 v[60:61], v60, v[34:35]
	v_cndmask_b32_e64 v37, v37, v48, s[6:7]
	v_and_b32_e32 v60, 7, v60
	v_lshlrev_b32_e32 v34, 8, v34
	v_lshl_add_u32 v37, v37, 10, v41
	v_cndmask_b32_e64 v36, v36, v60, s[6:7]
	v_and_or_b32 v34, v34, s21, v37
	v_lshl_or_b32 v34, v36, 7, v34
	v_cvt_f32_f16_e32 v48, v34
.LBB325_1501:                           ;   in Loop: Header=BB325_811 Depth=1
	s_or_b64 exec, exec, s[28:29]
.LBB325_1502:                           ;   in Loop: Header=BB325_811 Depth=1
	s_or_b64 exec, exec, s[26:27]
.LBB325_1503:                           ;   in Loop: Header=BB325_811 Depth=1
	s_or_b64 exec, exec, s[24:25]
	v_cmp_lt_u64_e64 s[6:7], s[12:13], v[58:59]
	s_and_saveexec_b64 s[24:25], s[6:7]
	s_cbranch_execz .LBB325_1509
; %bb.1504:                             ;   in Loop: Header=BB325_811 Depth=1
	v_lshrrev_b32_e32 v34, 24, v59
	v_cmp_ne_u32_e64 s[6:7], s9, v34
	v_bfrev_b32_e32 v16, 1
	s_and_saveexec_b64 s[26:27], s[6:7]
	s_cbranch_execz .LBB325_1508
; %bb.1505:                             ;   in Loop: Header=BB325_811 Depth=1
	v_and_b32_e32 v45, 0x7f, v34
	v_cmp_ne_u32_e64 s[6:7], s15, v45
	v_mov_b32_e32 v16, 0x7fc02000
	s_and_saveexec_b64 s[28:29], s[6:7]
	s_cbranch_execz .LBB325_1507
; %bb.1506:                             ;   in Loop: Header=BB325_811 Depth=1
	v_and_b32_e32 v16, 7, v34
	v_ffbh_u32_e32 v37, v16
	v_min_u32_e32 v37, 32, v37
	v_lshrrev_b32_e32 v36, 3, v45
	v_subrev_u32_e32 v58, 28, v37
	v_sub_u32_e32 v37, 29, v37
	v_cmp_gt_u32_e64 s[6:7], 8, v45
	v_lshlrev_b64 v[58:59], v58, v[34:35]
	v_cndmask_b32_e64 v36, v36, v37, s[6:7]
	v_and_b32_e32 v58, 7, v58
	v_lshlrev_b32_e32 v34, 8, v34
	v_lshl_add_u32 v36, v36, 10, v41
	v_cndmask_b32_e64 v16, v16, v58, s[6:7]
	v_and_or_b32 v34, v34, s21, v36
	v_lshl_or_b32 v16, v16, 7, v34
	v_cvt_f32_f16_e32 v16, v16
.LBB325_1507:                           ;   in Loop: Header=BB325_811 Depth=1
	s_or_b64 exec, exec, s[28:29]
.LBB325_1508:                           ;   in Loop: Header=BB325_811 Depth=1
	s_or_b64 exec, exec, s[26:27]
.LBB325_1509:                           ;   in Loop: Header=BB325_811 Depth=1
	s_or_b64 exec, exec, s[24:25]
	s_waitcnt vmcnt(0) lgkmcnt(0)
	v_pk_mul_f32 v[56:57], v[44:45], v[56:57] op_sel_hi:[0,1]
	v_pk_mul_f32 v[46:47], v[44:45], v[46:47] op_sel_hi:[0,1]
	v_cvt_f16_f32_e32 v34, v57
	v_cvt_f16_f32_e32 v36, v56
	;; [unrolled: 1-line block ×4, first 2 shown]
	v_fma_mixlo_f16 v11, v44, v11, 0
	v_lshlrev_b32_e32 v11, 16, v11
	v_fma_mixlo_f16 v10, v44, v10, 0
	v_or_b32_sdwa v10, v11, v10 dst_sel:DWORD dst_unused:UNUSED_PAD src0_sel:DWORD src1_sel:WORD_0
	v_fma_mixlo_f16 v11, v44, v16, 0
	v_pack_b32_f16 v36, v36, v34
	v_pack_b32_f16 v37, v45, v37
	v_fma_mixlo_f16 v48, v44, v48, 0
	v_lshlrev_b32_e32 v11, 16, v11
	v_perm_b32 v34, v37, v36, s31
	v_perm_b32 v45, v37, v36, s34
	v_or_b32_sdwa v11, v11, v48 dst_sel:DWORD dst_unused:UNUSED_PAD src0_sel:DWORD src1_sel:WORD_0
	s_and_saveexec_b64 s[24:25], vcc
	s_cbranch_execz .LBB325_1511
; %bb.1510:                             ;   in Loop: Header=BB325_811 Depth=1
	buffer_load_dword v36, off, s[0:3], s32 offset:196 ; 4-byte Folded Reload
	buffer_load_dword v37, off, s[0:3], s32 offset:200 ; 4-byte Folded Reload
	v_lshrrev_b32_e32 v16, 16, v45
	v_cmp_lt_i32_e64 s[6:7], v38, v17
	v_cndmask_b32_e64 v16, 0, v16, s[6:7]
	v_lshrrev_b32_e32 v11, 16, v11
	s_waitcnt vmcnt(1)
	v_mov_b32_e32 v22, v36
	v_cmp_lt_i32_e64 s[6:7], v7, v22
	v_cndmask_b32_e64 v36, 0, v45, s[6:7]
	v_perm_b32 v45, v16, v36, s35
	v_lshrrev_b32_e32 v16, 16, v34
	v_cmp_lt_i32_e64 s[6:7], v62, v17
	v_cndmask_b32_e64 v16, 0, v16, s[6:7]
	v_cmp_lt_i32_e64 s[6:7], v33, v22
	v_cndmask_b32_e64 v34, 0, v34, s[6:7]
	v_perm_b32 v34, v16, v34, s35
	v_lshrrev_b32_e32 v16, 16, v10
	v_cmp_lt_i32_e64 s[6:7], v43, v17
	v_cndmask_b32_e64 v16, 0, v16, s[6:7]
	v_cmp_lt_i32_e64 s[6:7], v55, v22
	v_cndmask_b32_e64 v10, 0, v10, s[6:7]
	v_perm_b32 v10, v16, v10, s35
	v_accvgpr_read_b32 v16, a17
	v_cmp_lt_i32_e64 s[6:7], v16, v17
	v_accvgpr_read_b32 v16, a11
	v_cndmask_b32_e64 v11, 0, v11, s[6:7]
	v_cmp_lt_i32_e64 s[6:7], v16, v22
	v_cndmask_b32_e64 v16, 0, v48, s[6:7]
	v_perm_b32 v11, v11, v16, s35
.LBB325_1511:                           ;   in Loop: Header=BB325_811 Depth=1
	s_or_b64 exec, exec, s[24:25]
	;;#ASMSTART
	v_pk_mul_f16 v16, v5, v45;

	;;#ASMEND
	;;#ASMSTART
	v_pk_mul_f16 v34, v4, v34;

	;;#ASMEND
	;; [unrolled: 4-line block ×4, first 2 shown]
	;;#ASMSTART
	v_pk_add_f16 v16, v16, v34;

	;;#ASMEND
	;;#ASMSTART
	v_pk_add_f16 v10, v16, v10;

	;;#ASMEND
	v_accvgpr_read_b32 v16, a38
	;;#ASMSTART
	v_pk_add_f16 v10, v10, v11;

	;;#ASMEND
	v_add_co_u32_e64 v44, s[6:7], v18, v16
	v_lshrrev_b32_e32 v11, 16, v10
	v_and_b32_e32 v10, 0xffff, v10
	v_addc_co_u32_e64 v45, s[6:7], 0, v19, s[6:7]
	;;#ASMSTART
	v_cvt_f32_f16 v10, v10;
	;;#ASMEND
	;;#ASMSTART
	v_cvt_f32_f16 v11, v11;
	;;#ASMEND
	flat_load_dwordx2 v[58:59], v[44:45]
	buffer_load_dword v36, off, s[0:3], s32 offset:188 ; 4-byte Folded Reload
	buffer_load_dword v37, off, s[0:3], s32 offset:192 ; 4-byte Folded Reload
	v_mov_b32_e32 v56, 0
	v_mov_b32_e32 v46, 0
	s_waitcnt vmcnt(0) lgkmcnt(0)
	v_cmp_ne_u16_sdwa s[6:7], v58, v35 src0_sel:BYTE_0 src1_sel:DWORD
	flat_load_dword v44, v[36:37]
	s_and_saveexec_b64 s[24:25], s[6:7]
	s_cbranch_execz .LBB325_1517
; %bb.1512:                             ;   in Loop: Header=BB325_811 Depth=1
	v_cmp_ne_u16_sdwa s[6:7], v58, s9 src0_sel:BYTE_0 src1_sel:DWORD
	v_bfrev_b32_e32 v46, 1
	s_and_saveexec_b64 s[26:27], s[6:7]
	s_cbranch_execz .LBB325_1516
; %bb.1513:                             ;   in Loop: Header=BB325_811 Depth=1
	v_and_b32_e32 v16, 0x7f, v58
	v_cmp_ne_u32_e64 s[6:7], s15, v16
	v_mov_b32_e32 v46, 0x7fc02000
	s_and_saveexec_b64 s[28:29], s[6:7]
	s_cbranch_execz .LBB325_1515
; %bb.1514:                             ;   in Loop: Header=BB325_811 Depth=1
	v_and_b32_e32 v34, 7, v58
	v_ffbh_u32_e32 v34, v34
	v_min_u32_e32 v34, 32, v34
	v_subrev_u32_e32 v37, 28, v34
	v_cmp_gt_u32_e64 s[6:7], 8, v16
	v_lshrrev_b32_e32 v36, 3, v16
	v_sub_u32_e32 v34, 29, v34
	v_cndmask_b32_e64 v16, 0, v37, s[6:7]
	v_lshlrev_b64 v[46:47], v16, v[58:59]
	v_cndmask_b32_e64 v16, v36, v34, s[6:7]
	v_lshlrev_b32_e32 v36, 8, v58
	v_lshl_add_u32 v16, v16, 10, v41
	v_lshlrev_b32_e32 v34, 7, v46
	v_and_or_b32 v16, v36, s21, v16
	v_and_or_b32 v16, v34, s30, v16
	v_cvt_f32_f16_e32 v46, v16
.LBB325_1515:                           ;   in Loop: Header=BB325_811 Depth=1
	s_or_b64 exec, exec, s[28:29]
.LBB325_1516:                           ;   in Loop: Header=BB325_811 Depth=1
	s_or_b64 exec, exec, s[26:27]
.LBB325_1517:                           ;   in Loop: Header=BB325_811 Depth=1
	s_or_b64 exec, exec, s[24:25]
	v_lshrrev_b16_e32 v34, 8, v58
	v_cmp_ne_u16_e64 s[6:7], 0, v34
	s_and_saveexec_b64 s[24:25], s[6:7]
	s_cbranch_execz .LBB325_1523
; %bb.1518:                             ;   in Loop: Header=BB325_811 Depth=1
	v_cmp_ne_u16_e64 s[6:7], s9, v34
	v_bfrev_b32_e32 v56, 1
	s_and_saveexec_b64 s[26:27], s[6:7]
	s_cbranch_execz .LBB325_1522
; %bb.1519:                             ;   in Loop: Header=BB325_811 Depth=1
	v_and_b32_e32 v16, 0x7f, v34
	v_cmp_ne_u32_e64 s[6:7], s15, v16
	v_mov_b32_e32 v56, 0x7fc02000
	s_and_saveexec_b64 s[28:29], s[6:7]
	s_cbranch_execz .LBB325_1521
; %bb.1520:                             ;   in Loop: Header=BB325_811 Depth=1
	v_and_b32_e32 v36, 7, v34
	v_ffbh_u32_e32 v48, v36
	v_min_u32_e32 v48, 32, v48
	v_lshrrev_b32_e32 v37, 3, v16
	v_subrev_u32_e32 v45, 28, v48
	v_sub_u32_e32 v48, 29, v48
	v_cmp_gt_u32_e64 s[6:7], 8, v16
	v_lshlrev_b64 v[56:57], v45, v[34:35]
	v_cndmask_b32_e64 v16, v37, v48, s[6:7]
	v_and_b32_e32 v45, 7, v56
	v_lshlrev_b32_e32 v34, 8, v34
	v_lshl_add_u32 v16, v16, 10, v41
	v_cndmask_b32_e64 v36, v36, v45, s[6:7]
	v_and_or_b32 v16, v34, s21, v16
	v_lshl_or_b32 v16, v36, 7, v16
	v_cvt_f32_f16_e32 v56, v16
.LBB325_1521:                           ;   in Loop: Header=BB325_811 Depth=1
	s_or_b64 exec, exec, s[28:29]
.LBB325_1522:                           ;   in Loop: Header=BB325_811 Depth=1
	s_or_b64 exec, exec, s[26:27]
.LBB325_1523:                           ;   in Loop: Header=BB325_811 Depth=1
	s_or_b64 exec, exec, s[24:25]
	v_lshrrev_b32_e32 v34, 16, v58
	v_cmp_ne_u16_sdwa s[6:7], v34, v35 src0_sel:BYTE_0 src1_sel:DWORD
	v_mov_b32_e32 v57, 0
	v_mov_b32_e32 v47, 0
	s_and_saveexec_b64 s[24:25], s[6:7]
	s_cbranch_execz .LBB325_1529
; %bb.1524:                             ;   in Loop: Header=BB325_811 Depth=1
	v_cmp_ne_u16_sdwa s[6:7], v34, s9 src0_sel:BYTE_0 src1_sel:DWORD
	v_bfrev_b32_e32 v47, 1
	s_and_saveexec_b64 s[26:27], s[6:7]
	s_cbranch_execz .LBB325_1528
; %bb.1525:                             ;   in Loop: Header=BB325_811 Depth=1
	v_bfe_u32 v16, v58, 16, 7
	v_cmp_ne_u32_e64 s[6:7], s15, v16
	v_mov_b32_e32 v47, 0x7fc02000
	s_and_saveexec_b64 s[28:29], s[6:7]
	s_cbranch_execz .LBB325_1527
; %bb.1526:                             ;   in Loop: Header=BB325_811 Depth=1
	v_and_b32_e32 v36, 7, v34
	v_ffbh_u32_e32 v48, v36
	v_min_u32_e32 v48, 32, v48
	v_lshrrev_b32_e32 v37, 3, v16
	v_subrev_u32_e32 v45, 28, v48
	v_sub_u32_e32 v48, 29, v48
	v_cmp_gt_u32_e64 s[6:7], 8, v16
	v_lshlrev_b64 v[60:61], v45, v[34:35]
	v_cndmask_b32_e64 v16, v37, v48, s[6:7]
	v_and_b32_e32 v45, 7, v60
	v_lshlrev_b32_e32 v34, 8, v34
	v_lshl_add_u32 v16, v16, 10, v41
	v_cndmask_b32_e64 v36, v36, v45, s[6:7]
	v_and_or_b32 v16, v34, s21, v16
	v_lshl_or_b32 v16, v36, 7, v16
	v_cvt_f32_f16_e32 v47, v16
.LBB325_1527:                           ;   in Loop: Header=BB325_811 Depth=1
	s_or_b64 exec, exec, s[28:29]
.LBB325_1528:                           ;   in Loop: Header=BB325_811 Depth=1
	s_or_b64 exec, exec, s[26:27]
.LBB325_1529:                           ;   in Loop: Header=BB325_811 Depth=1
	s_or_b64 exec, exec, s[24:25]
	v_cmp_lt_u32_e64 s[6:7], s13, v58
	s_and_saveexec_b64 s[24:25], s[6:7]
	s_cbranch_execz .LBB325_1535
; %bb.1530:                             ;   in Loop: Header=BB325_811 Depth=1
	v_lshrrev_b32_e32 v34, 24, v58
	v_cmp_ne_u32_e64 s[6:7], s9, v34
	v_bfrev_b32_e32 v57, 1
	s_and_saveexec_b64 s[26:27], s[6:7]
	s_cbranch_execz .LBB325_1534
; %bb.1531:                             ;   in Loop: Header=BB325_811 Depth=1
	v_and_b32_e32 v16, 0x7f, v34
	v_cmp_ne_u32_e64 s[6:7], s15, v16
	v_mov_b32_e32 v57, 0x7fc02000
	s_and_saveexec_b64 s[28:29], s[6:7]
	s_cbranch_execz .LBB325_1533
; %bb.1532:                             ;   in Loop: Header=BB325_811 Depth=1
	v_and_b32_e32 v36, 7, v34
	v_ffbh_u32_e32 v48, v36
	v_min_u32_e32 v48, 32, v48
	v_lshrrev_b32_e32 v37, 3, v16
	v_subrev_u32_e32 v45, 28, v48
	v_sub_u32_e32 v48, 29, v48
	v_cmp_gt_u32_e64 s[6:7], 8, v16
	v_lshlrev_b64 v[60:61], v45, v[34:35]
	v_cndmask_b32_e64 v16, v37, v48, s[6:7]
	v_and_b32_e32 v45, 7, v60
	v_lshlrev_b32_e32 v34, 8, v34
	v_lshl_add_u32 v16, v16, 10, v41
	v_cndmask_b32_e64 v36, v36, v45, s[6:7]
	v_and_or_b32 v16, v34, s21, v16
	v_lshl_or_b32 v16, v36, 7, v16
	v_cvt_f32_f16_e32 v57, v16
.LBB325_1533:                           ;   in Loop: Header=BB325_811 Depth=1
	s_or_b64 exec, exec, s[28:29]
.LBB325_1534:                           ;   in Loop: Header=BB325_811 Depth=1
	s_or_b64 exec, exec, s[26:27]
.LBB325_1535:                           ;   in Loop: Header=BB325_811 Depth=1
	s_or_b64 exec, exec, s[24:25]
	v_mov_b32_e32 v34, v59
	v_cmp_ne_u16_sdwa s[6:7], v59, v35 src0_sel:BYTE_0 src1_sel:DWORD
	v_mov_b32_e32 v45, 0
	v_mov_b32_e32 v16, 0
	s_and_saveexec_b64 s[24:25], s[6:7]
	s_cbranch_execz .LBB325_1541
; %bb.1536:                             ;   in Loop: Header=BB325_811 Depth=1
	v_cmp_ne_u16_sdwa s[6:7], v59, s9 src0_sel:BYTE_0 src1_sel:DWORD
	v_bfrev_b32_e32 v16, 1
	s_and_saveexec_b64 s[26:27], s[6:7]
	s_cbranch_execz .LBB325_1540
; %bb.1537:                             ;   in Loop: Header=BB325_811 Depth=1
	v_and_b32_e32 v48, 0x7f, v59
	v_cmp_ne_u32_e64 s[6:7], s15, v48
	v_mov_b32_e32 v16, 0x7fc02000
	s_and_saveexec_b64 s[28:29], s[6:7]
	s_cbranch_execz .LBB325_1539
; %bb.1538:                             ;   in Loop: Header=BB325_811 Depth=1
	v_and_b32_e32 v16, 7, v59
	v_ffbh_u32_e32 v16, v16
	v_min_u32_e32 v16, 32, v16
	v_lshrrev_b32_e32 v36, 3, v48
	v_subrev_u32_e32 v37, 28, v16
	v_sub_u32_e32 v16, 29, v16
	v_cmp_gt_u32_e64 s[6:7], 8, v48
	v_cndmask_b32_e64 v37, 0, v37, s[6:7]
	v_cndmask_b32_e64 v16, v36, v16, s[6:7]
	v_lshlrev_b64 v[60:61], v37, v[34:35]
	v_lshlrev_b32_e32 v37, 8, v59
	v_lshl_add_u32 v16, v16, 10, v41
	v_lshlrev_b32_e32 v36, 7, v60
	v_and_or_b32 v16, v37, s21, v16
	v_and_or_b32 v16, v36, s30, v16
	v_cvt_f32_f16_e32 v16, v16
.LBB325_1539:                           ;   in Loop: Header=BB325_811 Depth=1
	s_or_b64 exec, exec, s[28:29]
.LBB325_1540:                           ;   in Loop: Header=BB325_811 Depth=1
	s_or_b64 exec, exec, s[26:27]
.LBB325_1541:                           ;   in Loop: Header=BB325_811 Depth=1
	s_or_b64 exec, exec, s[24:25]
	v_lshrrev_b16_e32 v34, 8, v34
	v_cmp_ne_u16_e64 s[6:7], 0, v34
	s_and_saveexec_b64 s[24:25], s[6:7]
	s_cbranch_execz .LBB325_1547
; %bb.1542:                             ;   in Loop: Header=BB325_811 Depth=1
	v_cmp_ne_u16_e64 s[6:7], s9, v34
	v_bfrev_b32_e32 v45, 1
	s_and_saveexec_b64 s[26:27], s[6:7]
	s_cbranch_execz .LBB325_1546
; %bb.1543:                             ;   in Loop: Header=BB325_811 Depth=1
	v_and_b32_e32 v48, 0x7f, v34
	v_cmp_ne_u32_e64 s[6:7], s15, v48
	v_mov_b32_e32 v45, 0x7fc02000
	s_and_saveexec_b64 s[28:29], s[6:7]
	s_cbranch_execz .LBB325_1545
; %bb.1544:                             ;   in Loop: Header=BB325_811 Depth=1
	v_and_b32_e32 v36, 7, v34
	v_ffbh_u32_e32 v45, v36
	v_min_u32_e32 v45, 32, v45
	v_lshrrev_b32_e32 v37, 3, v48
	v_subrev_u32_e32 v60, 28, v45
	v_sub_u32_e32 v45, 29, v45
	v_cmp_gt_u32_e64 s[6:7], 8, v48
	v_lshlrev_b64 v[60:61], v60, v[34:35]
	v_cndmask_b32_e64 v37, v37, v45, s[6:7]
	v_and_b32_e32 v60, 7, v60
	v_lshlrev_b32_e32 v34, 8, v34
	v_lshl_add_u32 v37, v37, 10, v41
	v_cndmask_b32_e64 v36, v36, v60, s[6:7]
	v_and_or_b32 v34, v34, s21, v37
	v_lshl_or_b32 v34, v36, 7, v34
	v_cvt_f32_f16_e32 v45, v34
.LBB325_1545:                           ;   in Loop: Header=BB325_811 Depth=1
	s_or_b64 exec, exec, s[28:29]
.LBB325_1546:                           ;   in Loop: Header=BB325_811 Depth=1
	s_or_b64 exec, exec, s[26:27]
.LBB325_1547:                           ;   in Loop: Header=BB325_811 Depth=1
	s_or_b64 exec, exec, s[24:25]
	v_lshrrev_b32_e32 v34, 16, v59
	v_cmp_ne_u16_sdwa s[6:7], v34, v35 src0_sel:BYTE_0 src1_sel:DWORD
	v_mov_b32_e32 v48, 0
	v_mov_b32_e32 v60, 0
	s_and_saveexec_b64 s[24:25], s[6:7]
	s_cbranch_execz .LBB325_1553
; %bb.1548:                             ;   in Loop: Header=BB325_811 Depth=1
	v_cmp_ne_u16_sdwa s[6:7], v34, s9 src0_sel:BYTE_0 src1_sel:DWORD
	v_bfrev_b32_e32 v60, 1
	s_and_saveexec_b64 s[26:27], s[6:7]
	s_cbranch_execz .LBB325_1552
; %bb.1549:                             ;   in Loop: Header=BB325_811 Depth=1
	v_bfe_u32 v61, v59, 16, 7
	v_cmp_ne_u32_e64 s[6:7], s15, v61
	v_mov_b32_e32 v60, 0x7fc02000
	s_and_saveexec_b64 s[28:29], s[6:7]
	s_cbranch_execz .LBB325_1551
; %bb.1550:                             ;   in Loop: Header=BB325_811 Depth=1
	v_and_b32_e32 v60, 7, v34
	v_ffbh_u32_e32 v36, v60
	v_min_u32_e32 v50, 32, v36
	v_subrev_u32_e32 v36, 28, v50
	v_lshlrev_b64 v[36:37], v36, v[34:35]
	v_lshrrev_b32_e32 v22, 3, v61
	v_sub_u32_e32 v37, 29, v50
	v_cmp_gt_u32_e64 s[6:7], 8, v61
	v_cndmask_b32_e64 v22, v22, v37, s[6:7]
	v_and_b32_e32 v36, 7, v36
	v_lshlrev_b32_e32 v34, 8, v34
	v_lshl_add_u32 v22, v22, 10, v41
	v_cndmask_b32_e64 v36, v60, v36, s[6:7]
	v_and_or_b32 v22, v34, s21, v22
	v_lshl_or_b32 v22, v36, 7, v22
	v_cvt_f32_f16_e32 v60, v22
.LBB325_1551:                           ;   in Loop: Header=BB325_811 Depth=1
	s_or_b64 exec, exec, s[28:29]
.LBB325_1552:                           ;   in Loop: Header=BB325_811 Depth=1
	s_or_b64 exec, exec, s[26:27]
.LBB325_1553:                           ;   in Loop: Header=BB325_811 Depth=1
	s_or_b64 exec, exec, s[24:25]
	v_cmp_lt_u64_e64 s[6:7], s[12:13], v[58:59]
	s_and_saveexec_b64 s[24:25], s[6:7]
	s_cbranch_execz .LBB325_1559
; %bb.1554:                             ;   in Loop: Header=BB325_811 Depth=1
	v_lshrrev_b32_e32 v34, 24, v59
	v_cmp_ne_u32_e64 s[6:7], s9, v34
	v_bfrev_b32_e32 v48, 1
	s_and_saveexec_b64 s[26:27], s[6:7]
	s_cbranch_execz .LBB325_1558
; %bb.1555:                             ;   in Loop: Header=BB325_811 Depth=1
	v_and_b32_e32 v58, 0x7f, v34
	v_cmp_ne_u32_e64 s[6:7], s15, v58
	v_mov_b32_e32 v48, 0x7fc02000
	s_and_saveexec_b64 s[28:29], s[6:7]
	s_cbranch_execz .LBB325_1557
; %bb.1556:                             ;   in Loop: Header=BB325_811 Depth=1
	v_and_b32_e32 v22, 7, v34
	v_ffbh_u32_e32 v36, v22
	v_min_u32_e32 v50, 32, v36
	v_subrev_u32_e32 v36, 28, v50
	v_lshlrev_b64 v[36:37], v36, v[34:35]
	v_lshrrev_b32_e32 v48, 3, v58
	v_sub_u32_e32 v37, 29, v50
	v_cmp_gt_u32_e64 s[6:7], 8, v58
	v_and_b32_e32 v36, 7, v36
	v_cndmask_b32_e64 v37, v48, v37, s[6:7]
	v_cndmask_b32_e64 v22, v22, v36, s[6:7]
	v_lshlrev_b32_e32 v34, 8, v34
	v_lshl_add_u32 v36, v37, 10, v41
	v_and_or_b32 v34, v34, s21, v36
	v_lshl_or_b32 v22, v22, 7, v34
	v_cvt_f32_f16_e32 v48, v22
.LBB325_1557:                           ;   in Loop: Header=BB325_811 Depth=1
	s_or_b64 exec, exec, s[28:29]
.LBB325_1558:                           ;   in Loop: Header=BB325_811 Depth=1
	s_or_b64 exec, exec, s[26:27]
.LBB325_1559:                           ;   in Loop: Header=BB325_811 Depth=1
	s_or_b64 exec, exec, s[24:25]
	s_waitcnt vmcnt(0) lgkmcnt(0)
	v_pk_mul_f32 v[36:37], v[44:45], v[56:57] op_sel_hi:[0,1]
	v_pk_mul_f32 v[46:47], v[44:45], v[46:47] op_sel_hi:[0,1]
	v_cvt_f16_f32_e32 v22, v37
	v_cvt_f16_f32_e32 v34, v36
	;; [unrolled: 1-line block ×4, first 2 shown]
	v_fma_mixlo_f16 v16, v44, v16, 0
	v_pack_b32_f16 v22, v34, v22
	v_pack_b32_f16 v36, v37, v36
	v_perm_b32 v34, v36, v22, s31
	v_perm_b32 v46, v36, v22, s34
	v_fma_mixlo_f16 v22, v44, v45, 0
	v_lshlrev_b32_e32 v22, 16, v22
	v_or_b32_sdwa v16, v22, v16 dst_sel:DWORD dst_unused:UNUSED_PAD src0_sel:DWORD src1_sel:WORD_0
	v_fma_mixlo_f16 v22, v44, v48, 0
	v_fma_mixlo_f16 v45, v44, v60, 0
	v_lshlrev_b32_e32 v22, 16, v22
	v_or_b32_sdwa v48, v22, v45 dst_sel:DWORD dst_unused:UNUSED_PAD src0_sel:DWORD src1_sel:WORD_0
	s_and_saveexec_b64 s[24:25], vcc
	s_cbranch_execz .LBB325_1561
; %bb.1560:                             ;   in Loop: Header=BB325_811 Depth=1
	buffer_load_dword v36, off, s[0:3], s32 offset:196 ; 4-byte Folded Reload
	buffer_load_dword v37, off, s[0:3], s32 offset:200 ; 4-byte Folded Reload
	v_lshrrev_b32_e32 v22, 16, v46
	v_cmp_lt_i32_e64 s[6:7], v38, v17
	v_cndmask_b32_e64 v22, 0, v22, s[6:7]
	s_waitcnt vmcnt(1)
	v_mov_b32_e32 v50, v36
	v_cmp_lt_i32_e64 s[6:7], v7, v50
	v_cndmask_b32_e64 v36, 0, v46, s[6:7]
	v_perm_b32 v46, v22, v36, s35
	v_lshrrev_b32_e32 v22, 16, v34
	v_cmp_lt_i32_e64 s[6:7], v62, v17
	v_cndmask_b32_e64 v22, 0, v22, s[6:7]
	v_cmp_lt_i32_e64 s[6:7], v33, v50
	v_cndmask_b32_e64 v34, 0, v34, s[6:7]
	v_perm_b32 v34, v22, v34, s35
	v_lshrrev_b32_e32 v22, 16, v16
	v_cmp_lt_i32_e64 s[6:7], v43, v17
	v_cndmask_b32_e64 v22, 0, v22, s[6:7]
	v_cmp_lt_i32_e64 s[6:7], v55, v50
	v_cndmask_b32_e64 v16, 0, v16, s[6:7]
	v_accvgpr_read_b32 v36, a17
	v_perm_b32 v16, v22, v16, s35
	v_lshrrev_b32_e32 v22, 16, v48
	v_cmp_lt_i32_e64 s[6:7], v36, v17
	v_accvgpr_read_b32 v36, a11
	v_cndmask_b32_e64 v22, 0, v22, s[6:7]
	v_cmp_lt_i32_e64 s[6:7], v36, v50
	v_cndmask_b32_e64 v36, 0, v45, s[6:7]
	v_perm_b32 v48, v22, v36, s35
.LBB325_1561:                           ;   in Loop: Header=BB325_811 Depth=1
	s_or_b64 exec, exec, s[24:25]
	;;#ASMSTART
	v_pk_mul_f16 v22, v5, v46;

	;;#ASMEND
	;;#ASMSTART
	v_pk_mul_f16 v34, v4, v34;

	;;#ASMEND
	;; [unrolled: 4-line block ×4, first 2 shown]
	;;#ASMSTART
	v_pk_add_f16 v22, v22, v34;

	;;#ASMEND
	;;#ASMSTART
	v_pk_add_f16 v16, v22, v16;

	;;#ASMEND
	;; [unrolled: 4-line block ×3, first 2 shown]
	v_lshrrev_b32_e32 v22, 16, v16
	v_and_b32_e32 v16, 0xffff, v16
	;;#ASMSTART
	v_cvt_f32_f16 v16, v16;
	;;#ASMEND
	;;#ASMSTART
	v_cvt_f32_f16 v58, v22;
	;;#ASMEND
	v_accvgpr_read_b32 v22, a40
	v_add_co_u32_e64 v18, s[6:7], v18, v22
	v_addc_co_u32_e64 v19, s[6:7], 0, v19, s[6:7]
	flat_load_dwordx2 v[56:57], v[18:19]
	s_nop 0
	buffer_load_dword v18, off, s[0:3], s32 offset:188 ; 4-byte Folded Reload
	buffer_load_dword v19, off, s[0:3], s32 offset:192 ; 4-byte Folded Reload
	v_mov_b32_e32 v46, 0
	v_mov_b32_e32 v44, 0
	s_waitcnt vmcnt(0) lgkmcnt(0)
	v_cmp_ne_u16_sdwa s[6:7], v56, v35 src0_sel:BYTE_0 src1_sel:DWORD
	flat_load_dword v18, v[18:19]
	s_and_saveexec_b64 s[24:25], s[6:7]
	s_cbranch_execz .LBB325_1567
; %bb.1562:                             ;   in Loop: Header=BB325_811 Depth=1
	v_cmp_ne_u16_sdwa s[6:7], v56, s9 src0_sel:BYTE_0 src1_sel:DWORD
	v_bfrev_b32_e32 v44, 1
	s_and_saveexec_b64 s[26:27], s[6:7]
	s_cbranch_execz .LBB325_1566
; %bb.1563:                             ;   in Loop: Header=BB325_811 Depth=1
	v_and_b32_e32 v19, 0x7f, v56
	v_cmp_ne_u32_e64 s[6:7], s15, v19
	v_mov_b32_e32 v44, 0x7fc02000
	s_and_saveexec_b64 s[28:29], s[6:7]
	s_cbranch_execz .LBB325_1565
; %bb.1564:                             ;   in Loop: Header=BB325_811 Depth=1
	v_and_b32_e32 v22, 7, v56
	v_ffbh_u32_e32 v22, v22
	v_min_u32_e32 v22, 32, v22
	v_subrev_u32_e32 v36, 28, v22
	v_cmp_gt_u32_e64 s[6:7], 8, v19
	v_lshrrev_b32_e32 v34, 3, v19
	v_sub_u32_e32 v22, 29, v22
	v_cndmask_b32_e64 v19, 0, v36, s[6:7]
	v_lshlrev_b64 v[36:37], v19, v[56:57]
	v_cndmask_b32_e64 v19, v34, v22, s[6:7]
	v_lshlrev_b32_e32 v34, 8, v56
	v_lshl_add_u32 v19, v19, 10, v41
	v_lshlrev_b32_e32 v22, 7, v36
	v_and_or_b32 v19, v34, s21, v19
	v_and_or_b32 v19, v22, s30, v19
	v_cvt_f32_f16_e32 v44, v19
.LBB325_1565:                           ;   in Loop: Header=BB325_811 Depth=1
	s_or_b64 exec, exec, s[28:29]
.LBB325_1566:                           ;   in Loop: Header=BB325_811 Depth=1
	s_or_b64 exec, exec, s[26:27]
.LBB325_1567:                           ;   in Loop: Header=BB325_811 Depth=1
	s_or_b64 exec, exec, s[24:25]
	v_lshrrev_b16_e32 v34, 8, v56
	v_cmp_ne_u16_e64 s[6:7], 0, v34
	s_and_saveexec_b64 s[24:25], s[6:7]
	s_cbranch_execz .LBB325_1573
; %bb.1568:                             ;   in Loop: Header=BB325_811 Depth=1
	v_cmp_ne_u16_e64 s[6:7], s9, v34
	v_bfrev_b32_e32 v46, 1
	s_and_saveexec_b64 s[26:27], s[6:7]
	s_cbranch_execz .LBB325_1572
; %bb.1569:                             ;   in Loop: Header=BB325_811 Depth=1
	v_and_b32_e32 v19, 0x7f, v34
	v_cmp_ne_u32_e64 s[6:7], s15, v19
	v_mov_b32_e32 v46, 0x7fc02000
	s_and_saveexec_b64 s[28:29], s[6:7]
	s_cbranch_execz .LBB325_1571
; %bb.1570:                             ;   in Loop: Header=BB325_811 Depth=1
	v_and_b32_e32 v22, 7, v34
	v_ffbh_u32_e32 v36, v22
	v_min_u32_e32 v50, 32, v36
	v_subrev_u32_e32 v36, 28, v50
	v_lshlrev_b64 v[36:37], v36, v[34:35]
	v_lshrrev_b32_e32 v48, 3, v19
	v_sub_u32_e32 v37, 29, v50
	v_cmp_gt_u32_e64 s[6:7], 8, v19
	v_cndmask_b32_e64 v19, v48, v37, s[6:7]
	v_and_b32_e32 v36, 7, v36
	v_lshlrev_b32_e32 v34, 8, v34
	v_lshl_add_u32 v19, v19, 10, v41
	v_cndmask_b32_e64 v22, v22, v36, s[6:7]
	v_and_or_b32 v19, v34, s21, v19
	v_lshl_or_b32 v19, v22, 7, v19
	v_cvt_f32_f16_e32 v46, v19
.LBB325_1571:                           ;   in Loop: Header=BB325_811 Depth=1
	s_or_b64 exec, exec, s[28:29]
.LBB325_1572:                           ;   in Loop: Header=BB325_811 Depth=1
	s_or_b64 exec, exec, s[26:27]
.LBB325_1573:                           ;   in Loop: Header=BB325_811 Depth=1
	s_or_b64 exec, exec, s[24:25]
	v_lshrrev_b32_e32 v34, 16, v56
	v_cmp_ne_u16_sdwa s[6:7], v34, v35 src0_sel:BYTE_0 src1_sel:DWORD
	v_mov_b32_e32 v47, 0
	v_mov_b32_e32 v45, 0
	s_and_saveexec_b64 s[24:25], s[6:7]
	s_cbranch_execz .LBB325_1579
; %bb.1574:                             ;   in Loop: Header=BB325_811 Depth=1
	v_cmp_ne_u16_sdwa s[6:7], v34, s9 src0_sel:BYTE_0 src1_sel:DWORD
	v_bfrev_b32_e32 v45, 1
	s_and_saveexec_b64 s[26:27], s[6:7]
	s_cbranch_execz .LBB325_1578
; %bb.1575:                             ;   in Loop: Header=BB325_811 Depth=1
	v_bfe_u32 v19, v56, 16, 7
	v_cmp_ne_u32_e64 s[6:7], s15, v19
	v_mov_b32_e32 v45, 0x7fc02000
	s_and_saveexec_b64 s[28:29], s[6:7]
	s_cbranch_execz .LBB325_1577
; %bb.1576:                             ;   in Loop: Header=BB325_811 Depth=1
	v_and_b32_e32 v22, 7, v34
	v_ffbh_u32_e32 v36, v22
	v_min_u32_e32 v50, 32, v36
	v_subrev_u32_e32 v36, 28, v50
	v_lshlrev_b64 v[36:37], v36, v[34:35]
	v_lshrrev_b32_e32 v48, 3, v19
	v_sub_u32_e32 v37, 29, v50
	v_cmp_gt_u32_e64 s[6:7], 8, v19
	v_cndmask_b32_e64 v19, v48, v37, s[6:7]
	v_and_b32_e32 v36, 7, v36
	v_lshlrev_b32_e32 v34, 8, v34
	v_lshl_add_u32 v19, v19, 10, v41
	v_cndmask_b32_e64 v22, v22, v36, s[6:7]
	v_and_or_b32 v19, v34, s21, v19
	v_lshl_or_b32 v19, v22, 7, v19
	v_cvt_f32_f16_e32 v45, v19
.LBB325_1577:                           ;   in Loop: Header=BB325_811 Depth=1
	s_or_b64 exec, exec, s[28:29]
.LBB325_1578:                           ;   in Loop: Header=BB325_811 Depth=1
	s_or_b64 exec, exec, s[26:27]
.LBB325_1579:                           ;   in Loop: Header=BB325_811 Depth=1
	s_or_b64 exec, exec, s[24:25]
	v_cmp_lt_u32_e64 s[6:7], s13, v56
	s_and_saveexec_b64 s[24:25], s[6:7]
	s_cbranch_execz .LBB325_1585
; %bb.1580:                             ;   in Loop: Header=BB325_811 Depth=1
	v_lshrrev_b32_e32 v34, 24, v56
	v_cmp_ne_u32_e64 s[6:7], s9, v34
	v_bfrev_b32_e32 v47, 1
	s_and_saveexec_b64 s[26:27], s[6:7]
	s_cbranch_execz .LBB325_1584
; %bb.1581:                             ;   in Loop: Header=BB325_811 Depth=1
	v_and_b32_e32 v19, 0x7f, v34
	v_cmp_ne_u32_e64 s[6:7], s15, v19
	v_mov_b32_e32 v47, 0x7fc02000
	s_and_saveexec_b64 s[28:29], s[6:7]
	s_cbranch_execz .LBB325_1583
; %bb.1582:                             ;   in Loop: Header=BB325_811 Depth=1
	v_and_b32_e32 v22, 7, v34
	v_ffbh_u32_e32 v36, v22
	v_min_u32_e32 v50, 32, v36
	v_subrev_u32_e32 v36, 28, v50
	v_lshlrev_b64 v[36:37], v36, v[34:35]
	v_lshrrev_b32_e32 v48, 3, v19
	v_sub_u32_e32 v37, 29, v50
	v_cmp_gt_u32_e64 s[6:7], 8, v19
	v_cndmask_b32_e64 v19, v48, v37, s[6:7]
	v_and_b32_e32 v36, 7, v36
	v_lshlrev_b32_e32 v34, 8, v34
	v_lshl_add_u32 v19, v19, 10, v41
	v_cndmask_b32_e64 v22, v22, v36, s[6:7]
	v_and_or_b32 v19, v34, s21, v19
	v_lshl_or_b32 v19, v22, 7, v19
	v_cvt_f32_f16_e32 v47, v19
.LBB325_1583:                           ;   in Loop: Header=BB325_811 Depth=1
	s_or_b64 exec, exec, s[28:29]
.LBB325_1584:                           ;   in Loop: Header=BB325_811 Depth=1
	s_or_b64 exec, exec, s[26:27]
.LBB325_1585:                           ;   in Loop: Header=BB325_811 Depth=1
	s_or_b64 exec, exec, s[24:25]
	v_mov_b32_e32 v34, v57
	v_cmp_ne_u16_sdwa s[6:7], v57, v35 src0_sel:BYTE_0 src1_sel:DWORD
	v_mov_b32_e32 v59, 0
	v_mov_b32_e32 v19, 0
	s_and_saveexec_b64 s[24:25], s[6:7]
	s_cbranch_execz .LBB325_1591
; %bb.1586:                             ;   in Loop: Header=BB325_811 Depth=1
	v_cmp_ne_u16_sdwa s[6:7], v57, s9 src0_sel:BYTE_0 src1_sel:DWORD
	v_bfrev_b32_e32 v19, 1
	s_and_saveexec_b64 s[26:27], s[6:7]
	s_cbranch_execz .LBB325_1590
; %bb.1587:                             ;   in Loop: Header=BB325_811 Depth=1
	v_and_b32_e32 v48, 0x7f, v57
	v_cmp_ne_u32_e64 s[6:7], s15, v48
	v_mov_b32_e32 v19, 0x7fc02000
	s_and_saveexec_b64 s[28:29], s[6:7]
	s_cbranch_execz .LBB325_1589
; %bb.1588:                             ;   in Loop: Header=BB325_811 Depth=1
	v_and_b32_e32 v19, 7, v57
	v_ffbh_u32_e32 v19, v19
	v_min_u32_e32 v19, 32, v19
	v_subrev_u32_e32 v36, 28, v19
	v_cmp_gt_u32_e64 s[6:7], 8, v48
	v_lshrrev_b32_e32 v22, 3, v48
	v_sub_u32_e32 v19, 29, v19
	v_cndmask_b32_e64 v36, 0, v36, s[6:7]
	v_lshlrev_b64 v[36:37], v36, v[34:35]
	v_cndmask_b32_e64 v19, v22, v19, s[6:7]
	v_lshlrev_b32_e32 v22, 7, v36
	v_lshlrev_b32_e32 v36, 8, v57
	v_lshl_add_u32 v19, v19, 10, v41
	v_and_or_b32 v19, v36, s21, v19
	v_and_or_b32 v19, v22, s30, v19
	v_cvt_f32_f16_e32 v19, v19
.LBB325_1589:                           ;   in Loop: Header=BB325_811 Depth=1
	s_or_b64 exec, exec, s[28:29]
.LBB325_1590:                           ;   in Loop: Header=BB325_811 Depth=1
	s_or_b64 exec, exec, s[26:27]
.LBB325_1591:                           ;   in Loop: Header=BB325_811 Depth=1
	s_or_b64 exec, exec, s[24:25]
	v_lshrrev_b16_e32 v34, 8, v34
	v_cmp_ne_u16_e64 s[6:7], 0, v34
	s_and_saveexec_b64 s[24:25], s[6:7]
	s_cbranch_execz .LBB325_1597
; %bb.1592:                             ;   in Loop: Header=BB325_811 Depth=1
	v_cmp_ne_u16_e64 s[6:7], s9, v34
	v_bfrev_b32_e32 v59, 1
	s_and_saveexec_b64 s[26:27], s[6:7]
	s_cbranch_execz .LBB325_1596
; %bb.1593:                             ;   in Loop: Header=BB325_811 Depth=1
	v_and_b32_e32 v48, 0x7f, v34
	v_cmp_ne_u32_e64 s[6:7], s15, v48
	v_mov_b32_e32 v59, 0x7fc02000
	s_and_saveexec_b64 s[28:29], s[6:7]
	s_cbranch_execz .LBB325_1595
; %bb.1594:                             ;   in Loop: Header=BB325_811 Depth=1
	v_and_b32_e32 v22, 7, v34
	v_ffbh_u32_e32 v36, v22
	v_min_u32_e32 v59, 32, v36
	v_subrev_u32_e32 v36, 28, v59
	v_lshlrev_b64 v[36:37], v36, v[34:35]
	v_lshrrev_b32_e32 v50, 3, v48
	v_sub_u32_e32 v37, 29, v59
	v_cmp_gt_u32_e64 s[6:7], 8, v48
	v_and_b32_e32 v36, 7, v36
	v_cndmask_b32_e64 v37, v50, v37, s[6:7]
	v_cndmask_b32_e64 v22, v22, v36, s[6:7]
	v_lshlrev_b32_e32 v34, 8, v34
	v_lshl_add_u32 v36, v37, 10, v41
	v_and_or_b32 v34, v34, s21, v36
	v_lshl_or_b32 v22, v22, 7, v34
	v_cvt_f32_f16_e32 v59, v22
.LBB325_1595:                           ;   in Loop: Header=BB325_811 Depth=1
	s_or_b64 exec, exec, s[28:29]
.LBB325_1596:                           ;   in Loop: Header=BB325_811 Depth=1
	s_or_b64 exec, exec, s[26:27]
.LBB325_1597:                           ;   in Loop: Header=BB325_811 Depth=1
	s_or_b64 exec, exec, s[24:25]
	v_lshrrev_b32_e32 v34, 16, v57
	v_cmp_ne_u16_sdwa s[6:7], v34, v35 src0_sel:BYTE_0 src1_sel:DWORD
	v_mov_b32_e32 v48, 0
	v_mov_b32_e32 v60, 0
	s_and_saveexec_b64 s[24:25], s[6:7]
	s_cbranch_execz .LBB325_1603
; %bb.1598:                             ;   in Loop: Header=BB325_811 Depth=1
	v_cmp_ne_u16_sdwa s[6:7], v34, s9 src0_sel:BYTE_0 src1_sel:DWORD
	v_bfrev_b32_e32 v60, 1
	s_and_saveexec_b64 s[26:27], s[6:7]
	s_cbranch_execz .LBB325_1602
; %bb.1599:                             ;   in Loop: Header=BB325_811 Depth=1
	v_bfe_u32 v61, v57, 16, 7
	v_cmp_ne_u32_e64 s[6:7], s15, v61
	v_mov_b32_e32 v60, 0x7fc02000
	s_and_saveexec_b64 s[28:29], s[6:7]
	s_cbranch_execz .LBB325_1601
; %bb.1600:                             ;   in Loop: Header=BB325_811 Depth=1
	v_and_b32_e32 v22, 7, v34
	v_ffbh_u32_e32 v36, v22
	v_min_u32_e32 v60, 32, v36
	v_subrev_u32_e32 v36, 28, v60
	v_lshlrev_b64 v[36:37], v36, v[34:35]
	v_lshrrev_b32_e32 v50, 3, v61
	v_sub_u32_e32 v37, 29, v60
	v_cmp_gt_u32_e64 s[6:7], 8, v61
	v_and_b32_e32 v36, 7, v36
	v_cndmask_b32_e64 v37, v50, v37, s[6:7]
	v_cndmask_b32_e64 v22, v22, v36, s[6:7]
	v_lshlrev_b32_e32 v34, 8, v34
	v_lshl_add_u32 v36, v37, 10, v41
	v_and_or_b32 v34, v34, s21, v36
	v_lshl_or_b32 v22, v22, 7, v34
	v_cvt_f32_f16_e32 v60, v22
.LBB325_1601:                           ;   in Loop: Header=BB325_811 Depth=1
	s_or_b64 exec, exec, s[28:29]
.LBB325_1602:                           ;   in Loop: Header=BB325_811 Depth=1
	s_or_b64 exec, exec, s[26:27]
.LBB325_1603:                           ;   in Loop: Header=BB325_811 Depth=1
	s_or_b64 exec, exec, s[24:25]
	v_cmp_lt_u64_e64 s[6:7], s[12:13], v[56:57]
	s_and_saveexec_b64 s[24:25], s[6:7]
	s_cbranch_execz .LBB325_1609
; %bb.1604:                             ;   in Loop: Header=BB325_811 Depth=1
	v_lshrrev_b32_e32 v34, 24, v57
	v_cmp_ne_u32_e64 s[6:7], s9, v34
	v_bfrev_b32_e32 v48, 1
	s_and_saveexec_b64 s[26:27], s[6:7]
	s_cbranch_execz .LBB325_1608
; %bb.1605:                             ;   in Loop: Header=BB325_811 Depth=1
	v_and_b32_e32 v56, 0x7f, v34
	v_cmp_ne_u32_e64 s[6:7], s15, v56
	v_mov_b32_e32 v48, 0x7fc02000
	s_and_saveexec_b64 s[28:29], s[6:7]
	s_cbranch_execz .LBB325_1607
; %bb.1606:                             ;   in Loop: Header=BB325_811 Depth=1
	v_and_b32_e32 v22, 7, v34
	v_ffbh_u32_e32 v36, v22
	v_min_u32_e32 v50, 32, v36
	v_subrev_u32_e32 v36, 28, v50
	v_lshlrev_b64 v[36:37], v36, v[34:35]
	v_lshrrev_b32_e32 v48, 3, v56
	v_sub_u32_e32 v37, 29, v50
	v_cmp_gt_u32_e64 s[6:7], 8, v56
	v_and_b32_e32 v36, 7, v36
	v_cndmask_b32_e64 v37, v48, v37, s[6:7]
	v_cndmask_b32_e64 v22, v22, v36, s[6:7]
	v_lshlrev_b32_e32 v34, 8, v34
	v_lshl_add_u32 v36, v37, 10, v41
	v_and_or_b32 v34, v34, s21, v36
	v_lshl_or_b32 v22, v22, 7, v34
	v_cvt_f32_f16_e32 v48, v22
.LBB325_1607:                           ;   in Loop: Header=BB325_811 Depth=1
	s_or_b64 exec, exec, s[28:29]
.LBB325_1608:                           ;   in Loop: Header=BB325_811 Depth=1
	s_or_b64 exec, exec, s[26:27]
.LBB325_1609:                           ;   in Loop: Header=BB325_811 Depth=1
	s_or_b64 exec, exec, s[24:25]
	s_waitcnt vmcnt(0) lgkmcnt(0)
	v_pk_mul_f32 v[36:37], v[18:19], v[46:47] op_sel_hi:[0,1]
	v_pk_mul_f32 v[44:45], v[18:19], v[44:45] op_sel_hi:[0,1]
	v_cvt_f16_f32_e32 v22, v37
	v_cvt_f16_f32_e32 v34, v36
	v_cvt_f16_f32_e32 v36, v45
	v_cvt_f16_f32_e32 v37, v44
	v_fma_mixlo_f16 v19, v18, v19, 0
	v_pack_b32_f16 v22, v34, v22
	v_fma_mixlo_f16 v45, v18, v60, 0
	v_pack_b32_f16 v36, v37, v36
	v_perm_b32 v34, v36, v22, s31
	v_perm_b32 v44, v36, v22, s34
	v_fma_mixlo_f16 v22, v18, v59, 0
	v_fma_mixlo_f16 v18, v18, v48, 0
	v_lshlrev_b32_e32 v22, 16, v22
	v_lshlrev_b32_e32 v18, 16, v18
	v_or_b32_sdwa v19, v22, v19 dst_sel:DWORD dst_unused:UNUSED_PAD src0_sel:DWORD src1_sel:WORD_0
	v_or_b32_sdwa v18, v18, v45 dst_sel:DWORD dst_unused:UNUSED_PAD src0_sel:DWORD src1_sel:WORD_0
	s_and_saveexec_b64 s[6:7], vcc
	s_cbranch_execz .LBB325_810
; %bb.1610:                             ;   in Loop: Header=BB325_811 Depth=1
	buffer_load_dword v36, off, s[0:3], s32 offset:196 ; 4-byte Folded Reload
	buffer_load_dword v37, off, s[0:3], s32 offset:200 ; 4-byte Folded Reload
	v_lshrrev_b32_e32 v22, 16, v44
	v_cmp_lt_i32_e32 vcc, v38, v17
	v_cndmask_b32_e32 v22, 0, v22, vcc
	v_lshrrev_b32_e32 v18, 16, v18
	s_waitcnt vmcnt(1)
	v_mov_b32_e32 v38, v36
	v_cmp_lt_i32_e32 vcc, v7, v38
	v_cndmask_b32_e32 v36, 0, v44, vcc
	v_perm_b32 v44, v22, v36, s35
	v_lshrrev_b32_e32 v22, 16, v34
	v_cmp_lt_i32_e32 vcc, v62, v17
	v_cndmask_b32_e32 v22, 0, v22, vcc
	v_cmp_lt_i32_e32 vcc, v33, v38
	v_cndmask_b32_e32 v33, 0, v34, vcc
	v_perm_b32 v34, v22, v33, s35
	v_lshrrev_b32_e32 v22, 16, v19
	v_cmp_lt_i32_e32 vcc, v43, v17
	v_cndmask_b32_e32 v22, 0, v22, vcc
	v_cmp_lt_i32_e32 vcc, v55, v38
	v_cndmask_b32_e32 v19, 0, v19, vcc
	v_perm_b32 v19, v22, v19, s35
	v_accvgpr_read_b32 v22, a17
	v_cmp_lt_i32_e32 vcc, v22, v17
	v_accvgpr_read_b32 v22, a11
	v_cndmask_b32_e32 v18, 0, v18, vcc
	v_cmp_lt_i32_e32 vcc, v22, v38
	v_cndmask_b32_e32 v22, 0, v45, vcc
	v_perm_b32 v18, v18, v22, s35
	s_branch .LBB325_810
.LBB325_1611:
	s_or_b64 exec, exec, s[16:17]
	v_accvgpr_read_b32 v33, a9
	v_accvgpr_read_b32 v36, a12
	;; [unrolled: 1-line block ×4, first 2 shown]
.LBB325_1612:
	s_or_b64 exec, exec, s[10:11]
	ds_bpermute_b32 v4, v36, v30
	ds_bpermute_b32 v5, v36, v31
	;; [unrolled: 1-line block ×6, first 2 shown]
	s_waitcnt lgkmcnt(0)
	v_pk_add_f32 v[4:5], v[30:31], v[4:5]
	ds_bpermute_b32 v10, v37, v4
	v_pk_add_f32 v[16:17], v[28:29], v[6:7]
	ds_bpermute_b32 v11, v37, v5
	ds_bpermute_b32 v18, v37, v16
	;; [unrolled: 1-line block ×5, first 2 shown]
	s_waitcnt lgkmcnt(4)
	v_pk_add_f32 v[6:7], v[4:5], v[10:11]
	v_pk_add_f32 v[4:5], v[24:25], v[14:15]
	s_waitcnt lgkmcnt(2)
	v_pk_add_f32 v[10:11], v[16:17], v[18:19]
	ds_bpermute_b32 v16, v36, v12
	ds_bpermute_b32 v17, v36, v13
	;; [unrolled: 1-line block ×4, first 2 shown]
	s_waitcnt lgkmcnt(0)
	s_barrier
	v_pk_add_f32 v[12:13], v[12:13], v[16:17]
	v_pk_add_f32 v[14:15], v[4:5], v[14:15]
	;; [unrolled: 1-line block ×3, first 2 shown]
	ds_bpermute_b32 v20, v37, v12
	ds_bpermute_b32 v21, v37, v13
	ds_bpermute_b32 v16, v36, v8
	ds_bpermute_b32 v17, v36, v9
	ds_bpermute_b32 v22, v36, v2
	ds_bpermute_b32 v23, v36, v3
	s_waitcnt lgkmcnt(4)
	v_pk_add_f32 v[12:13], v[12:13], v[20:21]
	buffer_load_dword v20, off, s[0:3], s32 offset:624 ; 4-byte Folded Reload
	ds_bpermute_b32 v26, v36, v0
	ds_bpermute_b32 v27, v36, v1
	;; [unrolled: 1-line block ×4, first 2 shown]
	s_waitcnt lgkmcnt(6)
	v_pk_add_f32 v[8:9], v[8:9], v[16:17]
	s_waitcnt lgkmcnt(4)
	v_pk_add_f32 v[2:3], v[2:3], v[22:23]
	ds_bpermute_b32 v24, v37, v8
	ds_bpermute_b32 v25, v37, v9
	;; [unrolled: 1-line block ×4, first 2 shown]
	s_waitcnt lgkmcnt(6)
	v_pk_add_f32 v[0:1], v[0:1], v[26:27]
	s_waitcnt lgkmcnt(4)
	v_pk_add_f32 v[16:17], v[4:5], v[18:19]
	ds_bpermute_b32 v18, v37, v0
	ds_bpermute_b32 v19, v37, v1
	s_waitcnt lgkmcnt(4)
	v_pk_add_f32 v[8:9], v[8:9], v[24:25]
	s_waitcnt lgkmcnt(2)
	v_pk_add_f32 v[2:3], v[2:3], v[22:23]
	s_waitcnt vmcnt(0)
	v_and_b32_e32 v4, 0x3c3, v20
	v_cmp_ne_u32_e32 vcc, 64, v4
	s_and_saveexec_b64 s[6:7], vcc
	s_xor_b64 s[6:7], exec, s[6:7]
; %bb.1613:
                                        ; implicit-def: $vgpr33
; %bb.1614:
	s_or_saveexec_b64 s[6:7], s[6:7]
	s_waitcnt lgkmcnt(0)
	v_pk_add_f32 v[0:1], v[0:1], v[18:19]
	s_xor_b64 exec, exec, s[6:7]
	s_cbranch_execz .LBB325_1616
; %bb.1615:
	s_ashr_i32 s21, s20, 31
	s_lshl_b64 s[10:11], s[20:21], 2
	s_getpc_b64 s[12:13]
	s_add_u32 s12, s12, llvm.amdgcn.dynlds.offset.table@rel32@lo+4
	s_addc_u32 s13, s13, llvm.amdgcn.dynlds.offset.table@rel32@hi+12
	s_add_u32 s10, s10, s12
	s_addc_u32 s11, s11, s13
	s_load_dword s9, s[10:11], 0x0
	s_waitcnt lgkmcnt(0)
	v_add_u32_e32 v5, s9, v33
	ds_write2_b32 v5, v6, v7 offset1:16
	ds_write2_b32 v5, v10, v11 offset0:32 offset1:48
	ds_write2_b32 v5, v14, v15 offset0:64 offset1:80
	;; [unrolled: 1-line block ×7, first 2 shown]
.LBB325_1616:
	s_or_b64 exec, exec, s[6:7]
	s_waitcnt lgkmcnt(0)
	s_barrier
	s_and_saveexec_b64 s[6:7], s[4:5]
	s_cbranch_execz .LBB325_1635
; %bb.1617:
	v_cmp_eq_u32_e32 vcc, 0, v38
	v_lshrrev_b32_e32 v5, 2, v20
	s_and_saveexec_b64 s[4:5], vcc
	s_cbranch_execnz .LBB325_1638
; %bb.1618:
	s_or_b64 exec, exec, s[4:5]
	s_and_saveexec_b64 s[4:5], vcc
	s_cbranch_execnz .LBB325_1639
.LBB325_1619:
	s_or_b64 exec, exec, s[4:5]
	s_and_saveexec_b64 s[4:5], vcc
	s_cbranch_execnz .LBB325_1640
.LBB325_1620:
	s_or_b64 exec, exec, s[4:5]
	s_and_saveexec_b64 s[4:5], vcc
	s_cbranch_execnz .LBB325_1641
.LBB325_1621:
	s_or_b64 exec, exec, s[4:5]
	s_and_saveexec_b64 s[4:5], vcc
	s_cbranch_execnz .LBB325_1642
.LBB325_1622:
	s_or_b64 exec, exec, s[4:5]
	s_and_saveexec_b64 s[4:5], vcc
	s_cbranch_execnz .LBB325_1643
.LBB325_1623:
	s_or_b64 exec, exec, s[4:5]
	s_and_saveexec_b64 s[4:5], vcc
	s_cbranch_execnz .LBB325_1644
.LBB325_1624:
	s_or_b64 exec, exec, s[4:5]
	s_and_saveexec_b64 s[4:5], vcc
	s_cbranch_execnz .LBB325_1645
.LBB325_1625:
	s_or_b64 exec, exec, s[4:5]
	s_and_saveexec_b64 s[4:5], vcc
	s_cbranch_execnz .LBB325_1646
.LBB325_1626:
	s_or_b64 exec, exec, s[4:5]
	s_and_saveexec_b64 s[4:5], vcc
	s_cbranch_execnz .LBB325_1647
.LBB325_1627:
	s_or_b64 exec, exec, s[4:5]
	s_and_saveexec_b64 s[4:5], vcc
	s_cbranch_execnz .LBB325_1648
.LBB325_1628:
	s_or_b64 exec, exec, s[4:5]
	s_and_saveexec_b64 s[4:5], vcc
	s_cbranch_execnz .LBB325_1649
.LBB325_1629:
	s_or_b64 exec, exec, s[4:5]
	s_and_saveexec_b64 s[4:5], vcc
	s_cbranch_execnz .LBB325_1650
.LBB325_1630:
	s_or_b64 exec, exec, s[4:5]
	s_and_saveexec_b64 s[4:5], vcc
	s_cbranch_execnz .LBB325_1651
.LBB325_1631:
	s_or_b64 exec, exec, s[4:5]
	s_and_saveexec_b64 s[4:5], vcc
	s_cbranch_execnz .LBB325_1652
.LBB325_1632:
	s_or_b64 exec, exec, s[4:5]
	s_and_saveexec_b64 s[4:5], vcc
	s_cbranch_execz .LBB325_1634
.LBB325_1633:
	s_ashr_i32 s21, s20, 31
	s_lshl_b64 s[10:11], s[20:21], 2
	s_getpc_b64 s[12:13]
	s_add_u32 s12, s12, llvm.amdgcn.dynlds.offset.table@rel32@lo+4
	s_addc_u32 s13, s13, llvm.amdgcn.dynlds.offset.table@rel32@hi+12
	s_add_u32 s10, s10, s12
	s_addc_u32 s11, s11, s13
	s_load_dword s9, s[10:11], 0x0
	s_waitcnt lgkmcnt(0)
	v_lshl_add_u32 v5, v5, 2, s9
	ds_read_b32 v5, v5 offset:960
	s_waitcnt lgkmcnt(0)
	v_add_f32_e32 v1, v5, v1
.LBB325_1634:
	s_or_b64 exec, exec, s[4:5]
.LBB325_1635:
	s_or_b64 exec, exec, s[6:7]
	v_cmp_eq_u32_e32 vcc, 0, v4
	s_barrier
	s_and_b64 exec, exec, vcc
	s_cbranch_execz .LBB325_1637
; %bb.1636:
	buffer_load_dword v5, off, s[0:3], s32 offset:632 ; 4-byte Folded Reload
	buffer_load_dword v18, off, s[0:3], s32 offset:628 ; 4-byte Folded Reload
	s_lshl_b32 s4, s8, 8
	s_mul_i32 s6, s22, s23
	s_lshl_b32 s8, s14, 8
	s_ashr_i32 s5, s4, 31
	s_ashr_i32 s7, s6, 31
	;; [unrolled: 1-line block ×3, first 2 shown]
	s_lshl_b64 s[4:5], s[4:5], 1
	s_lshl_b64 s[6:7], s[6:7], 1
	;; [unrolled: 1-line block ×3, first 2 shown]
	s_add_u32 s6, s8, s6
	s_addc_u32 s7, s9, s7
	s_add_u32 s4, s6, s4
	s_addc_u32 s5, s7, s5
	v_mov_b32_e32 v4, s5
	;;#ASMSTART
	v_cvt_f16_f32 v6, v6;

	;;#ASMEND
	s_waitcnt vmcnt(1)
	v_add_co_u32_e32 v5, vcc, s4, v5
	s_waitcnt vmcnt(0)
	v_addc_co_u32_e32 v18, vcc, v4, v18, vcc
	v_lshrrev_b32_e32 v4, 1, v20
	v_add_co_u32_e32 v4, vcc, v5, v4
	v_addc_co_u32_e32 v5, vcc, 0, v18, vcc
	flat_store_short v[4:5], v6
	;;#ASMSTART
	v_cvt_f16_f32 v6, v7;

	;;#ASMEND
	flat_store_short v[4:5], v6 offset:32
	;;#ASMSTART
	v_cvt_f16_f32 v6, v10;

	;;#ASMEND
	flat_store_short v[4:5], v6 offset:64
	;; [unrolled: 5-line block ×15, first 2 shown]
.LBB325_1637:
	s_or_b64 exec, exec, s[18:19]
	buffer_load_dword a63, off, s[0:3], s32 ; 4-byte Folded Reload
	buffer_load_dword a62, off, s[0:3], s32 offset:4 ; 4-byte Folded Reload
	buffer_load_dword a61, off, s[0:3], s32 offset:8 ; 4-byte Folded Reload
	;; [unrolled: 1-line block ×46, first 2 shown]
	v_readlane_b32 s30, v63, 8
	v_readlane_b32 s31, v63, 9
	v_readlane_b32 s41, v63, 7
	v_readlane_b32 s40, v63, 6
	v_readlane_b32 s39, v63, 5
	v_readlane_b32 s38, v63, 4
	v_readlane_b32 s37, v63, 3
	v_readlane_b32 s36, v63, 2
	v_readlane_b32 s35, v63, 1
	v_readlane_b32 s34, v63, 0
	s_or_saveexec_b64 s[4:5], -1
	buffer_load_dword v63, off, s[0:3], s32 offset:692 ; 4-byte Folded Reload
	s_mov_b64 exec, s[4:5]
	s_waitcnt vmcnt(0) lgkmcnt(0)
	s_setpc_b64 s[30:31]
.LBB325_1638:
	s_ashr_i32 s21, s20, 31
	s_lshl_b64 s[10:11], s[20:21], 2
	s_getpc_b64 s[12:13]
	s_add_u32 s12, s12, llvm.amdgcn.dynlds.offset.table@rel32@lo+4
	s_addc_u32 s13, s13, llvm.amdgcn.dynlds.offset.table@rel32@hi+12
	s_add_u32 s10, s10, s12
	s_addc_u32 s11, s11, s13
	s_load_dword s9, s[10:11], 0x0
	s_waitcnt lgkmcnt(0)
	v_lshl_add_u32 v18, v5, 2, s9
	ds_read_b32 v18, v18
	s_waitcnt lgkmcnt(0)
	v_add_f32_e32 v6, v18, v6
	s_or_b64 exec, exec, s[4:5]
	s_and_saveexec_b64 s[4:5], vcc
	s_cbranch_execz .LBB325_1619
.LBB325_1639:
	s_ashr_i32 s21, s20, 31
	s_lshl_b64 s[10:11], s[20:21], 2
	s_getpc_b64 s[12:13]
	s_add_u32 s12, s12, llvm.amdgcn.dynlds.offset.table@rel32@lo+4
	s_addc_u32 s13, s13, llvm.amdgcn.dynlds.offset.table@rel32@hi+12
	s_add_u32 s10, s10, s12
	s_addc_u32 s11, s11, s13
	s_load_dword s9, s[10:11], 0x0
	s_waitcnt lgkmcnt(0)
	v_lshl_add_u32 v18, v5, 2, s9
	ds_read_b32 v18, v18 offset:64
	s_waitcnt lgkmcnt(0)
	v_add_f32_e32 v7, v18, v7
	s_or_b64 exec, exec, s[4:5]
	s_and_saveexec_b64 s[4:5], vcc
	s_cbranch_execz .LBB325_1620
.LBB325_1640:
	s_ashr_i32 s21, s20, 31
	s_lshl_b64 s[10:11], s[20:21], 2
	s_getpc_b64 s[12:13]
	s_add_u32 s12, s12, llvm.amdgcn.dynlds.offset.table@rel32@lo+4
	s_addc_u32 s13, s13, llvm.amdgcn.dynlds.offset.table@rel32@hi+12
	s_add_u32 s10, s10, s12
	s_addc_u32 s11, s11, s13
	s_load_dword s9, s[10:11], 0x0
	s_waitcnt lgkmcnt(0)
	v_lshl_add_u32 v18, v5, 2, s9
	ds_read_b32 v18, v18 offset:128
	s_waitcnt lgkmcnt(0)
	v_add_f32_e32 v10, v18, v10
	s_or_b64 exec, exec, s[4:5]
	s_and_saveexec_b64 s[4:5], vcc
	s_cbranch_execz .LBB325_1621
.LBB325_1641:
	s_ashr_i32 s21, s20, 31
	s_lshl_b64 s[10:11], s[20:21], 2
	s_getpc_b64 s[12:13]
	s_add_u32 s12, s12, llvm.amdgcn.dynlds.offset.table@rel32@lo+4
	s_addc_u32 s13, s13, llvm.amdgcn.dynlds.offset.table@rel32@hi+12
	s_add_u32 s10, s10, s12
	s_addc_u32 s11, s11, s13
	s_load_dword s9, s[10:11], 0x0
	s_waitcnt lgkmcnt(0)
	v_lshl_add_u32 v18, v5, 2, s9
	ds_read_b32 v18, v18 offset:192
	s_waitcnt lgkmcnt(0)
	v_add_f32_e32 v11, v18, v11
	s_or_b64 exec, exec, s[4:5]
	s_and_saveexec_b64 s[4:5], vcc
	s_cbranch_execz .LBB325_1622
.LBB325_1642:
	s_ashr_i32 s21, s20, 31
	s_lshl_b64 s[10:11], s[20:21], 2
	s_getpc_b64 s[12:13]
	s_add_u32 s12, s12, llvm.amdgcn.dynlds.offset.table@rel32@lo+4
	s_addc_u32 s13, s13, llvm.amdgcn.dynlds.offset.table@rel32@hi+12
	s_add_u32 s10, s10, s12
	s_addc_u32 s11, s11, s13
	s_load_dword s9, s[10:11], 0x0
	s_waitcnt lgkmcnt(0)
	v_lshl_add_u32 v18, v5, 2, s9
	ds_read_b32 v18, v18 offset:256
	s_waitcnt lgkmcnt(0)
	v_add_f32_e32 v14, v18, v14
	s_or_b64 exec, exec, s[4:5]
	s_and_saveexec_b64 s[4:5], vcc
	s_cbranch_execz .LBB325_1623
.LBB325_1643:
	s_ashr_i32 s21, s20, 31
	s_lshl_b64 s[10:11], s[20:21], 2
	s_getpc_b64 s[12:13]
	s_add_u32 s12, s12, llvm.amdgcn.dynlds.offset.table@rel32@lo+4
	s_addc_u32 s13, s13, llvm.amdgcn.dynlds.offset.table@rel32@hi+12
	s_add_u32 s10, s10, s12
	s_addc_u32 s11, s11, s13
	s_load_dword s9, s[10:11], 0x0
	s_waitcnt lgkmcnt(0)
	v_lshl_add_u32 v18, v5, 2, s9
	ds_read_b32 v18, v18 offset:320
	s_waitcnt lgkmcnt(0)
	v_add_f32_e32 v15, v18, v15
	s_or_b64 exec, exec, s[4:5]
	s_and_saveexec_b64 s[4:5], vcc
	s_cbranch_execz .LBB325_1624
.LBB325_1644:
	s_ashr_i32 s21, s20, 31
	s_lshl_b64 s[10:11], s[20:21], 2
	s_getpc_b64 s[12:13]
	s_add_u32 s12, s12, llvm.amdgcn.dynlds.offset.table@rel32@lo+4
	s_addc_u32 s13, s13, llvm.amdgcn.dynlds.offset.table@rel32@hi+12
	s_add_u32 s10, s10, s12
	s_addc_u32 s11, s11, s13
	s_load_dword s9, s[10:11], 0x0
	s_waitcnt lgkmcnt(0)
	v_lshl_add_u32 v18, v5, 2, s9
	ds_read_b32 v18, v18 offset:384
	s_waitcnt lgkmcnt(0)
	v_add_f32_e32 v16, v18, v16
	s_or_b64 exec, exec, s[4:5]
	s_and_saveexec_b64 s[4:5], vcc
	s_cbranch_execz .LBB325_1625
.LBB325_1645:
	s_ashr_i32 s21, s20, 31
	s_lshl_b64 s[10:11], s[20:21], 2
	s_getpc_b64 s[12:13]
	s_add_u32 s12, s12, llvm.amdgcn.dynlds.offset.table@rel32@lo+4
	s_addc_u32 s13, s13, llvm.amdgcn.dynlds.offset.table@rel32@hi+12
	s_add_u32 s10, s10, s12
	s_addc_u32 s11, s11, s13
	s_load_dword s9, s[10:11], 0x0
	s_waitcnt lgkmcnt(0)
	v_lshl_add_u32 v18, v5, 2, s9
	ds_read_b32 v18, v18 offset:448
	s_waitcnt lgkmcnt(0)
	v_add_f32_e32 v17, v18, v17
	s_or_b64 exec, exec, s[4:5]
	s_and_saveexec_b64 s[4:5], vcc
	s_cbranch_execz .LBB325_1626
.LBB325_1646:
	s_ashr_i32 s21, s20, 31
	s_lshl_b64 s[10:11], s[20:21], 2
	s_getpc_b64 s[12:13]
	s_add_u32 s12, s12, llvm.amdgcn.dynlds.offset.table@rel32@lo+4
	s_addc_u32 s13, s13, llvm.amdgcn.dynlds.offset.table@rel32@hi+12
	s_add_u32 s10, s10, s12
	s_addc_u32 s11, s11, s13
	s_load_dword s9, s[10:11], 0x0
	s_waitcnt lgkmcnt(0)
	v_lshl_add_u32 v18, v5, 2, s9
	ds_read_b32 v18, v18 offset:512
	s_waitcnt lgkmcnt(0)
	v_add_f32_e32 v12, v18, v12
	s_or_b64 exec, exec, s[4:5]
	s_and_saveexec_b64 s[4:5], vcc
	s_cbranch_execz .LBB325_1627
.LBB325_1647:
	s_ashr_i32 s21, s20, 31
	s_lshl_b64 s[10:11], s[20:21], 2
	s_getpc_b64 s[12:13]
	s_add_u32 s12, s12, llvm.amdgcn.dynlds.offset.table@rel32@lo+4
	s_addc_u32 s13, s13, llvm.amdgcn.dynlds.offset.table@rel32@hi+12
	s_add_u32 s10, s10, s12
	s_addc_u32 s11, s11, s13
	s_load_dword s9, s[10:11], 0x0
	s_waitcnt lgkmcnt(0)
	v_lshl_add_u32 v18, v5, 2, s9
	ds_read_b32 v18, v18 offset:576
	s_waitcnt lgkmcnt(0)
	v_add_f32_e32 v13, v18, v13
	s_or_b64 exec, exec, s[4:5]
	s_and_saveexec_b64 s[4:5], vcc
	s_cbranch_execz .LBB325_1628
.LBB325_1648:
	s_ashr_i32 s21, s20, 31
	s_lshl_b64 s[10:11], s[20:21], 2
	s_getpc_b64 s[12:13]
	s_add_u32 s12, s12, llvm.amdgcn.dynlds.offset.table@rel32@lo+4
	s_addc_u32 s13, s13, llvm.amdgcn.dynlds.offset.table@rel32@hi+12
	s_add_u32 s10, s10, s12
	s_addc_u32 s11, s11, s13
	s_load_dword s9, s[10:11], 0x0
	s_waitcnt lgkmcnt(0)
	v_lshl_add_u32 v18, v5, 2, s9
	ds_read_b32 v18, v18 offset:640
	s_waitcnt lgkmcnt(0)
	v_add_f32_e32 v8, v18, v8
	s_or_b64 exec, exec, s[4:5]
	s_and_saveexec_b64 s[4:5], vcc
	s_cbranch_execz .LBB325_1629
.LBB325_1649:
	s_ashr_i32 s21, s20, 31
	s_lshl_b64 s[10:11], s[20:21], 2
	s_getpc_b64 s[12:13]
	s_add_u32 s12, s12, llvm.amdgcn.dynlds.offset.table@rel32@lo+4
	s_addc_u32 s13, s13, llvm.amdgcn.dynlds.offset.table@rel32@hi+12
	s_add_u32 s10, s10, s12
	s_addc_u32 s11, s11, s13
	s_load_dword s9, s[10:11], 0x0
	s_waitcnt lgkmcnt(0)
	v_lshl_add_u32 v18, v5, 2, s9
	ds_read_b32 v18, v18 offset:704
	s_waitcnt lgkmcnt(0)
	v_add_f32_e32 v9, v18, v9
	s_or_b64 exec, exec, s[4:5]
	s_and_saveexec_b64 s[4:5], vcc
	s_cbranch_execz .LBB325_1630
.LBB325_1650:
	s_ashr_i32 s21, s20, 31
	s_lshl_b64 s[10:11], s[20:21], 2
	s_getpc_b64 s[12:13]
	s_add_u32 s12, s12, llvm.amdgcn.dynlds.offset.table@rel32@lo+4
	s_addc_u32 s13, s13, llvm.amdgcn.dynlds.offset.table@rel32@hi+12
	s_add_u32 s10, s10, s12
	s_addc_u32 s11, s11, s13
	s_load_dword s9, s[10:11], 0x0
	s_waitcnt lgkmcnt(0)
	v_lshl_add_u32 v18, v5, 2, s9
	ds_read_b32 v18, v18 offset:768
	s_waitcnt lgkmcnt(0)
	v_add_f32_e32 v2, v18, v2
	s_or_b64 exec, exec, s[4:5]
	s_and_saveexec_b64 s[4:5], vcc
	s_cbranch_execz .LBB325_1631
.LBB325_1651:
	s_ashr_i32 s21, s20, 31
	s_lshl_b64 s[10:11], s[20:21], 2
	s_getpc_b64 s[12:13]
	s_add_u32 s12, s12, llvm.amdgcn.dynlds.offset.table@rel32@lo+4
	s_addc_u32 s13, s13, llvm.amdgcn.dynlds.offset.table@rel32@hi+12
	s_add_u32 s10, s10, s12
	s_addc_u32 s11, s11, s13
	s_load_dword s9, s[10:11], 0x0
	s_waitcnt lgkmcnt(0)
	v_lshl_add_u32 v18, v5, 2, s9
	ds_read_b32 v18, v18 offset:832
	s_waitcnt lgkmcnt(0)
	v_add_f32_e32 v3, v18, v3
	s_or_b64 exec, exec, s[4:5]
	s_and_saveexec_b64 s[4:5], vcc
	s_cbranch_execz .LBB325_1632
.LBB325_1652:
	s_ashr_i32 s21, s20, 31
	s_lshl_b64 s[10:11], s[20:21], 2
	s_getpc_b64 s[12:13]
	s_add_u32 s12, s12, llvm.amdgcn.dynlds.offset.table@rel32@lo+4
	s_addc_u32 s13, s13, llvm.amdgcn.dynlds.offset.table@rel32@hi+12
	s_add_u32 s10, s10, s12
	s_addc_u32 s11, s11, s13
	s_load_dword s9, s[10:11], 0x0
	s_waitcnt lgkmcnt(0)
	v_lshl_add_u32 v18, v5, 2, s9
	ds_read_b32 v18, v18 offset:896
	s_waitcnt lgkmcnt(0)
	v_add_f32_e32 v0, v18, v0
	s_or_b64 exec, exec, s[4:5]
	s_and_saveexec_b64 s[4:5], vcc
	s_cbranch_execnz .LBB325_1633
	s_branch .LBB325_1634
.Lfunc_end325:
	.size	_ZN4vllm22paged_attention_kernelIthLi256ELi32ELi128ELNS_18Fp8KVCacheDataTypeE1ELb0ELi512EEEvPfS2_PT_PKS3_PKT0_S9_ifPKiSB_iPKfiiiSD_SD_iiiii, .Lfunc_end325-_ZN4vllm22paged_attention_kernelIthLi256ELi32ELi128ELNS_18Fp8KVCacheDataTypeE1ELb0ELi512EEEvPfS2_PT_PKS3_PKT0_S9_ifPKiSB_iPKfiiiSD_SD_iiiii
                                        ; -- End function
	.section	.AMDGPU.csdata,"",@progbits
; Function info:
; codeLenInByte = 71500
; NumSgprs: 46
; NumVgprs: 64
; NumAgprs: 64
; TotalNumVgprs: 128
; ScratchSize: 700
; MemoryBound: 0
	.section	.text._ZN4vllm25paged_attention_v2_kernelIthLi256ELi32ELi128ELNS_18Fp8KVCacheDataTypeE1ELb0ELi512EEEvPfS2_PT_PKS3_PKT0_S9_ifPKiSB_iPKfiiiSD_SD_iiiii,"axG",@progbits,_ZN4vllm25paged_attention_v2_kernelIthLi256ELi32ELi128ELNS_18Fp8KVCacheDataTypeE1ELb0ELi512EEEvPfS2_PT_PKS3_PKT0_S9_ifPKiSB_iPKfiiiSD_SD_iiiii,comdat
	.protected	_ZN4vllm25paged_attention_v2_kernelIthLi256ELi32ELi128ELNS_18Fp8KVCacheDataTypeE1ELb0ELi512EEEvPfS2_PT_PKS3_PKT0_S9_ifPKiSB_iPKfiiiSD_SD_iiiii ; -- Begin function _ZN4vllm25paged_attention_v2_kernelIthLi256ELi32ELi128ELNS_18Fp8KVCacheDataTypeE1ELb0ELi512EEEvPfS2_PT_PKS3_PKT0_S9_ifPKiSB_iPKfiiiSD_SD_iiiii
	.globl	_ZN4vllm25paged_attention_v2_kernelIthLi256ELi32ELi128ELNS_18Fp8KVCacheDataTypeE1ELb0ELi512EEEvPfS2_PT_PKS3_PKT0_S9_ifPKiSB_iPKfiiiSD_SD_iiiii
	.p2align	8
	.type	_ZN4vllm25paged_attention_v2_kernelIthLi256ELi32ELi128ELNS_18Fp8KVCacheDataTypeE1ELb0ELi512EEEvPfS2_PT_PKS3_PKT0_S9_ifPKiSB_iPKfiiiSD_SD_iiiii,@function
_ZN4vllm25paged_attention_v2_kernelIthLi256ELi32ELi128ELNS_18Fp8KVCacheDataTypeE1ELb0ELi512EEEvPfS2_PT_PKS3_PKT0_S9_ifPKiSB_iPKfiiiSD_SD_iiiii: ; @_ZN4vllm25paged_attention_v2_kernelIthLi256ELi32ELi128ELNS_18Fp8KVCacheDataTypeE1ELb0ELi512EEEvPfS2_PT_PKS3_PKT0_S9_ifPKiSB_iPKfiiiSD_SD_iiiii
; %bb.0:
	s_add_u32 flat_scratch_lo, s6, s11
	s_addc_u32 flat_scratch_hi, s7, 0
	s_add_u32 s0, s0, s11
	s_load_dwordx8 s[24:31], s[4:5], 0x0
	s_load_dwordx8 s[16:23], s[4:5], 0x20
	s_load_dwordx2 s[6:7], s[4:5], 0x40
	s_load_dwordx2 s[34:35], s[4:5], 0x50
	s_load_dword s11, s[4:5], 0x48
	s_load_dwordx8 s[36:43], s[4:5], 0x58
	s_addc_u32 s1, s1, 0
	s_mov_b32 s12, s8
	s_add_u32 s8, s4, 0x90
	s_mov_b32 s13, s9
	s_addc_u32 s9, s5, 0
	s_mov_b32 s14, s10
	s_mov_b32 s15, 52
	v_mov_b32_e32 v31, v0
	s_waitcnt lgkmcnt(0)
	v_mov_b32_e32 v0, s24
	v_mov_b32_e32 v1, s25
	;; [unrolled: 1-line block ×28, first 2 shown]
	s_mov_b32 s32, 0
	s_getpc_b64 s[4:5]
	s_add_u32 s4, s4, _ZN4vllm22paged_attention_kernelIthLi256ELi32ELi128ELNS_18Fp8KVCacheDataTypeE1ELb0ELi512EEEvPfS2_PT_PKS3_PKT0_S9_ifPKiSB_iPKfiiiSD_SD_iiiii@rel32@lo+4
	s_addc_u32 s5, s5, _ZN4vllm22paged_attention_kernelIthLi256ELi32ELi128ELNS_18Fp8KVCacheDataTypeE1ELb0ELi512EEEvPfS2_PT_PKS3_PKT0_S9_ifPKiSB_iPKfiiiSD_SD_iiiii@rel32@hi+12
	s_swappc_b64 s[30:31], s[4:5]
	s_endpgm
	.section	.rodata,"a",@progbits
	.p2align	6, 0x0
	.amdhsa_kernel _ZN4vllm25paged_attention_v2_kernelIthLi256ELi32ELi128ELNS_18Fp8KVCacheDataTypeE1ELb0ELi512EEEvPfS2_PT_PKS3_PKT0_S9_ifPKiSB_iPKfiiiSD_SD_iiiii
		.amdhsa_group_segment_fixed_size 528
		.amdhsa_private_segment_fixed_size 700
		.amdhsa_kernarg_size 400
		.amdhsa_user_sgpr_count 8
		.amdhsa_user_sgpr_private_segment_buffer 1
		.amdhsa_user_sgpr_dispatch_ptr 0
		.amdhsa_user_sgpr_queue_ptr 0
		.amdhsa_user_sgpr_kernarg_segment_ptr 1
		.amdhsa_user_sgpr_dispatch_id 0
		.amdhsa_user_sgpr_flat_scratch_init 1
		.amdhsa_user_sgpr_kernarg_preload_length 0
		.amdhsa_user_sgpr_kernarg_preload_offset 0
		.amdhsa_user_sgpr_private_segment_size 0
		.amdhsa_uses_dynamic_stack 0
		.amdhsa_system_sgpr_private_segment_wavefront_offset 1
		.amdhsa_system_sgpr_workgroup_id_x 1
		.amdhsa_system_sgpr_workgroup_id_y 1
		.amdhsa_system_sgpr_workgroup_id_z 1
		.amdhsa_system_sgpr_workgroup_info 0
		.amdhsa_system_vgpr_workitem_id 0
		.amdhsa_next_free_vgpr 128
		.amdhsa_next_free_sgpr 44
		.amdhsa_accum_offset 64
		.amdhsa_reserve_vcc 1
		.amdhsa_reserve_flat_scratch 1
		.amdhsa_float_round_mode_32 0
		.amdhsa_float_round_mode_16_64 0
		.amdhsa_float_denorm_mode_32 3
		.amdhsa_float_denorm_mode_16_64 3
		.amdhsa_dx10_clamp 1
		.amdhsa_ieee_mode 1
		.amdhsa_fp16_overflow 0
		.amdhsa_tg_split 0
		.amdhsa_exception_fp_ieee_invalid_op 0
		.amdhsa_exception_fp_denorm_src 0
		.amdhsa_exception_fp_ieee_div_zero 0
		.amdhsa_exception_fp_ieee_overflow 0
		.amdhsa_exception_fp_ieee_underflow 0
		.amdhsa_exception_fp_ieee_inexact 0
		.amdhsa_exception_int_div_zero 0
	.end_amdhsa_kernel
	.section	.text._ZN4vllm25paged_attention_v2_kernelIthLi256ELi32ELi128ELNS_18Fp8KVCacheDataTypeE1ELb0ELi512EEEvPfS2_PT_PKS3_PKT0_S9_ifPKiSB_iPKfiiiSD_SD_iiiii,"axG",@progbits,_ZN4vllm25paged_attention_v2_kernelIthLi256ELi32ELi128ELNS_18Fp8KVCacheDataTypeE1ELb0ELi512EEEvPfS2_PT_PKS3_PKT0_S9_ifPKiSB_iPKfiiiSD_SD_iiiii,comdat
.Lfunc_end326:
	.size	_ZN4vllm25paged_attention_v2_kernelIthLi256ELi32ELi128ELNS_18Fp8KVCacheDataTypeE1ELb0ELi512EEEvPfS2_PT_PKS3_PKT0_S9_ifPKiSB_iPKfiiiSD_SD_iiiii, .Lfunc_end326-_ZN4vllm25paged_attention_v2_kernelIthLi256ELi32ELi128ELNS_18Fp8KVCacheDataTypeE1ELb0ELi512EEEvPfS2_PT_PKS3_PKT0_S9_ifPKiSB_iPKfiiiSD_SD_iiiii
                                        ; -- End function
	.section	.AMDGPU.csdata,"",@progbits
; Kernel info:
; codeLenInByte = 244
; NumSgprs: 50
; NumVgprs: 64
; NumAgprs: 64
; TotalNumVgprs: 128
; ScratchSize: 700
; MemoryBound: 0
; FloatMode: 240
; IeeeMode: 1
; LDSByteSize: 528 bytes/workgroup (compile time only)
; SGPRBlocks: 6
; VGPRBlocks: 15
; NumSGPRsForWavesPerEU: 50
; NumVGPRsForWavesPerEU: 128
; AccumOffset: 64
; Occupancy: 4
; WaveLimiterHint : 1
; COMPUTE_PGM_RSRC2:SCRATCH_EN: 1
; COMPUTE_PGM_RSRC2:USER_SGPR: 8
; COMPUTE_PGM_RSRC2:TRAP_HANDLER: 0
; COMPUTE_PGM_RSRC2:TGID_X_EN: 1
; COMPUTE_PGM_RSRC2:TGID_Y_EN: 1
; COMPUTE_PGM_RSRC2:TGID_Z_EN: 1
; COMPUTE_PGM_RSRC2:TIDIG_COMP_CNT: 0
; COMPUTE_PGM_RSRC3_GFX90A:ACCUM_OFFSET: 15
; COMPUTE_PGM_RSRC3_GFX90A:TG_SPLIT: 0
	.section	.text._ZN4vllm25paged_attention_v2_kernelI14__hip_bfloat16hLi32ELi8ELi128ELNS_18Fp8KVCacheDataTypeE1ELb1ELi512EEEvPfS3_PT_PKS4_PKT0_SA_ifPKiSC_iPKfiiiSE_SE_iiiii,"axG",@progbits,_ZN4vllm25paged_attention_v2_kernelI14__hip_bfloat16hLi32ELi8ELi128ELNS_18Fp8KVCacheDataTypeE1ELb1ELi512EEEvPfS3_PT_PKS4_PKT0_SA_ifPKiSC_iPKfiiiSE_SE_iiiii,comdat
	.protected	_ZN4vllm25paged_attention_v2_kernelI14__hip_bfloat16hLi32ELi8ELi128ELNS_18Fp8KVCacheDataTypeE1ELb1ELi512EEEvPfS3_PT_PKS4_PKT0_SA_ifPKiSC_iPKfiiiSE_SE_iiiii ; -- Begin function _ZN4vllm25paged_attention_v2_kernelI14__hip_bfloat16hLi32ELi8ELi128ELNS_18Fp8KVCacheDataTypeE1ELb1ELi512EEEvPfS3_PT_PKS4_PKT0_SA_ifPKiSC_iPKfiiiSE_SE_iiiii
	.globl	_ZN4vllm25paged_attention_v2_kernelI14__hip_bfloat16hLi32ELi8ELi128ELNS_18Fp8KVCacheDataTypeE1ELb1ELi512EEEvPfS3_PT_PKS4_PKT0_SA_ifPKiSC_iPKfiiiSE_SE_iiiii
	.p2align	8
	.type	_ZN4vllm25paged_attention_v2_kernelI14__hip_bfloat16hLi32ELi8ELi128ELNS_18Fp8KVCacheDataTypeE1ELb1ELi512EEEvPfS3_PT_PKS4_PKT0_SA_ifPKiSC_iPKfiiiSE_SE_iiiii,@function
_ZN4vllm25paged_attention_v2_kernelI14__hip_bfloat16hLi32ELi8ELi128ELNS_18Fp8KVCacheDataTypeE1ELb1ELi512EEEvPfS3_PT_PKS4_PKT0_SA_ifPKiSC_iPKfiiiSE_SE_iiiii: ; @_ZN4vllm25paged_attention_v2_kernelI14__hip_bfloat16hLi32ELi8ELi128ELNS_18Fp8KVCacheDataTypeE1ELb1ELi512EEEvPfS3_PT_PKS4_PKT0_SA_ifPKiSC_iPKfiiiSE_SE_iiiii
; %bb.0:
	s_load_dwordx2 s[0:1], s[4:5], 0x40
	s_mov_b32 s34, s7
	s_ashr_i32 s35, s7, 31
	s_lshl_b64 s[2:3], s[34:35], 2
	s_waitcnt lgkmcnt(0)
	s_add_u32 s0, s0, s2
	s_addc_u32 s1, s1, s3
	s_load_dword s33, s[0:1], 0x0
	s_lshl_b32 s55, s8, 9
	s_waitcnt lgkmcnt(0)
	s_cmp_ge_i32 s55, s33
	s_cbranch_scc1 .LBB327_251
; %bb.1:
	s_load_dword s9, s[4:5], 0x90
	s_load_dwordx2 s[42:43], s[4:5], 0x30
	s_waitcnt lgkmcnt(0)
	s_abs_i32 s2, s9
	s_abs_i32 s0, s42
	v_cvt_f32_u32_e32 v1, s0
	s_sub_i32 s3, 0, s0
	s_xor_b32 s1, s9, s42
	s_ashr_i32 s1, s1, 31
	v_rcp_iflag_f32_e32 v1, v1
	v_mul_f32_e32 v1, 0x4f7ffffe, v1
	v_cvt_u32_f32_e32 v1, v1
	v_readfirstlane_b32 s7, v1
	s_mul_i32 s3, s3, s7
	s_mul_hi_u32 s3, s7, s3
	s_add_i32 s7, s7, s3
	s_mul_hi_u32 s3, s2, s7
	s_mul_i32 s7, s3, s0
	s_sub_i32 s2, s2, s7
	s_add_i32 s10, s3, 1
	s_sub_i32 s7, s2, s0
	s_cmp_ge_u32 s2, s0
	s_cselect_b32 s3, s10, s3
	s_cselect_b32 s2, s7, s2
	s_add_i32 s7, s3, 1
	s_cmp_ge_u32 s2, s0
	s_cselect_b32 s0, s7, s3
	s_xor_b32 s0, s0, s1
	s_sub_i32 s12, s0, s1
	s_abs_i32 s2, s12
	v_cvt_f32_u32_e32 v1, s2
	s_load_dwordx2 s[0:1], s[4:5], 0x50
	s_sub_i32 s10, 0, s2
	s_abs_i32 s3, s6
	v_rcp_iflag_f32_e32 v1, v1
	s_mov_b32 s7, 0
	v_mul_f32_e32 v1, 0x4f7ffffe, v1
	v_cvt_u32_f32_e32 v1, v1
	v_readfirstlane_b32 s11, v1
	s_mul_i32 s10, s10, s11
	s_mul_hi_u32 s10, s11, s10
	s_add_i32 s11, s11, s10
	s_waitcnt lgkmcnt(0)
	s_cmp_eq_u64 s[0:1], 0
	s_mul_hi_u32 s10, s3, s11
	s_cbranch_scc1 .LBB327_3
; %bb.2:
	s_ashr_i32 s7, s6, 31
	s_lshl_b64 s[14:15], s[6:7], 2
	s_add_u32 s0, s0, s14
	s_addc_u32 s1, s1, s15
	s_load_dword s7, s[0:1], 0x0
.LBB327_3:
	s_load_dwordx4 s[16:19], s[4:5], 0x58
	s_ashr_i32 s11, s6, 31
	s_ashr_i32 s12, s12, 31
	v_and_b32_e32 v2, 7, v0
	s_lshl_b32 s28, s6, 5
	v_cmp_gt_u32_e32 vcc, 32, v0
	s_and_saveexec_b64 s[0:1], vcc
	s_cbranch_execz .LBB327_5
; %bb.4:
	s_load_dwordx2 s[14:15], s[4:5], 0x18
	s_waitcnt lgkmcnt(0)
	s_mul_i32 s20, s34, s16
	s_ashr_i32 s21, s20, 31
	s_lshl_b64 s[20:21], s[20:21], 1
	v_lshlrev_b32_e32 v1, 1, v0
	s_add_u32 s13, s14, s20
	s_addc_u32 s16, s15, s21
	s_ashr_i32 s29, s28, 31
	s_lshl_b64 s[14:15], s[28:29], 1
	s_add_u32 s14, s13, s14
	s_addc_u32 s15, s16, s15
	global_load_ushort v1, v1, s[14:15]
	v_lshrrev_b32_e32 v3, 2, v0
	v_and_b32_e32 v3, 0xfe, v3
	v_lshl_add_u32 v3, v2, 3, v3
	s_waitcnt vmcnt(0)
	ds_write_b16 v3, v1
.LBB327_5:
	s_or_b64 exec, exec, s[0:1]
	s_mul_i32 s1, s10, s2
	s_sub_i32 s1, s3, s1
	s_xor_b32 s0, s11, s12
	s_add_i32 s3, s10, 1
	s_sub_i32 s11, s1, s2
	s_load_dwordx4 s[20:23], s[4:5], 0x78
	s_cmp_ge_u32 s1, s2
	s_cselect_b32 s3, s3, s10
	s_cselect_b32 s1, s11, s1
	s_load_dword s11, s[4:5], 0x88
	s_add_i32 s10, s3, 1
	s_cmp_ge_u32 s1, s2
	s_cselect_b32 s1, s10, s3
	s_waitcnt lgkmcnt(0)
	s_abs_i32 s35, s23
	v_cvt_f32_u32_e32 v1, s35
	s_xor_b32 s1, s1, s0
	s_sub_i32 s2, s1, s0
	s_sub_i32 s0, 0, s35
	v_rcp_iflag_f32_e32 v1, v1
	s_add_i32 s12, s33, -1
	s_abs_i32 s3, s12
	v_mul_f32_e32 v1, 0x4f7ffffe, v1
	v_cvt_u32_f32_e32 v1, v1
	s_barrier
	v_readfirstlane_b32 s52, v1
	s_mul_i32 s0, s0, s52
	s_mul_hi_u32 s0, s52, s0
	s_add_i32 s52, s52, s0
	s_cmp_lt_i32 s11, 0
	s_mul_hi_u32 s10, s3, s52
	s_cbranch_scc0 .LBB327_7
; %bb.6:
	s_mul_i32 s0, s20, s42
	s_add_i32 s0, s2, s0
	s_mul_i32 s0, s0, s11
	s_sub_i32 s42, 1, s0
	s_mov_b64 s[0:1], 0
	s_branch .LBB327_8
.LBB327_7:
	s_mov_b64 s[0:1], -1
                                        ; implicit-def: $sgpr42
.LBB327_8:
	s_load_dwordx2 s[36:37], s[4:5], 0x38
	s_ashr_i32 s16, s12, 31
	s_andn2_b64 vcc, exec, s[0:1]
	s_ashr_i32 s53, s23, 31
	s_cbranch_vccnz .LBB327_10
; %bb.9:
	s_mul_i32 s0, s9, s20
	s_add_i32 s0, s0, s6
	s_mul_i32 s0, s0, s11
	s_add_i32 s42, s0, 1
.LBB327_10:
	s_load_dwordx2 s[40:41], s[4:5], 0x28
	s_load_dword s0, s[4:5], 0x48
	s_load_dwordx4 s[24:27], s[4:5], 0x0
	s_load_dwordx2 s[30:31], s[4:5], 0x10
	s_load_dword s29, s[4:5], 0x98
	s_load_dwordx4 s[12:15], s[4:5], 0x68
	s_mul_i32 s1, s10, s35
	s_waitcnt lgkmcnt(0)
	s_mul_i32 s38, s34, s0
	s_sub_i32 s1, s3, s1
	s_ashr_i32 s39, s38, 31
	s_xor_b32 s0, s16, s53
	s_add_i32 s3, s10, 1
	s_sub_i32 s11, s1, s35
	s_cmp_ge_u32 s1, s35
	s_cselect_b32 s3, s3, s10
	s_cselect_b32 s1, s11, s1
	s_add_i32 s10, s3, 1
	s_cmp_ge_u32 s1, s35
	s_cselect_b32 s1, s10, s3
	s_xor_b32 s1, s1, s0
	s_sub_i32 s20, s1, s0
	s_add_i32 s0, s33, 7
	s_ashr_i32 s1, s0, 31
	s_lshr_b32 s1, s1, 29
	s_add_i32 s0, s0, s1
	s_lshl_b32 s56, s8, 6
	s_ashr_i32 s16, s0, 3
	s_add_i32 s0, s56, 64
	v_lshrrev_b32_e32 v16, 6, v0
	s_min_i32 s54, s0, s16
	v_or_b32_e32 v10, s56, v16
	v_cmp_gt_i32_e64 s[0:1], s54, v10
	v_mov_b32_e32 v20, 0xff7fffff
	s_mul_i32 s23, s2, s18
	v_ashrrev_i32_e32 v11, 31, v10
	v_lshl_add_u32 v1, v16, 3, s55
	v_mbcnt_lo_u32_b32 v3, -1, 0
	s_and_saveexec_b64 s[18:19], s[0:1]
	s_cbranch_execz .LBB327_60
; %bb.11:
	s_load_dwordx2 s[2:3], s[4:5], 0x20
	s_sub_i32 s57, s20, s21
	s_ashr_i32 s4, s23, 31
	v_bfe_u32 v15, v0, 3, 3
	v_lshlrev_b32_e32 v5, 4, v15
	s_waitcnt lgkmcnt(0)
	s_add_u32 s2, s2, s23
	s_addc_u32 s3, s3, s4
	s_abs_i32 s59, s22
	v_cvt_f32_u32_e32 v4, s59
	v_mov_b32_e32 v6, s3
	s_sub_i32 s4, 0, s59
	v_cmp_eq_u32_e32 vcc, 0, v2
	v_rcp_iflag_f32_e32 v7, v4
	v_add_co_u32_e64 v4, s[2:3], s2, v5
	v_addc_co_u32_e64 v5, s[2:3], 0, v6, s[2:3]
	v_mul_f32_e32 v6, 0x4f7ffffe, v7
	v_cvt_u32_f32_e32 v6, v6
	s_mov_b32 s58, s17
	v_mov_b32_e32 v17, 0
	v_lshlrev_b32_e32 v18, 3, v2
	v_mul_lo_u32 v7, s4, v6
	s_lshl_b64 s[4:5], s[38:39], 2
	v_mul_hi_u32 v7, v6, v7
	s_add_u32 s4, s36, s4
	v_add_u32_e32 v19, v6, v7
	v_lshlrev_b64 v[6:7], 2, v[10:11]
	s_addc_u32 s5, s37, s5
	v_mov_b32_e32 v8, s5
	v_add_co_u32_e64 v6, s[4:5], s4, v6
	v_addc_co_u32_e64 v7, s[4:5], v8, v7, s[4:5]
	v_lshlrev_b32_e32 v8, 2, v15
	v_lshl_or_b32 v8, v16, 5, v8
	v_add_u32_e32 v22, 0x50, v8
	v_subrev_u32_e32 v8, s33, v15
	v_cmp_neq_f32_e64 s[2:3], s7, 0
	v_lshl_add_u32 v21, v16, 3, s55
	v_add_u32_e32 v23, 1, v8
	s_mov_b64 s[44:45], 0
	v_mov_b32_e32 v24, 0xff7fffff
	s_movk_i32 s60, 0x80
	s_movk_i32 s61, 0x7f
	s_mov_b32 s62, 0x7f800000
	s_movk_i32 s63, 0x7fff
	v_bfrev_b32_e32 v25, 60
	v_mbcnt_hi_u32_b32 v26, -1, v3
	v_mov_b32_e32 v20, 0xff7fffff
	v_mov_b32_e32 v27, v10
	s_branch .LBB327_14
.LBB327_12:                             ;   in Loop: Header=BB327_14 Depth=1
	s_or_b64 exec, exec, s[46:47]
.LBB327_13:                             ;   in Loop: Header=BB327_14 Depth=1
	s_or_b64 exec, exec, s[10:11]
	v_add_co_u32_e64 v6, s[4:5], 8, v6
	v_add_u32_e32 v27, 2, v27
	v_addc_co_u32_e64 v7, s[4:5], 0, v7, s[4:5]
	v_cmp_le_i32_e64 s[4:5], s54, v27
	v_add_u32_e32 v21, 16, v21
	s_or_b64 s[44:45], s[4:5], s[44:45]
	v_add_u32_e32 v22, 64, v22
	s_andn2_b64 exec, exec, s[44:45]
	s_cbranch_execz .LBB327_59
.LBB327_14:                             ; =>This Inner Loop Header: Depth=1
	s_waitcnt lgkmcnt(0)
	v_sub_u32_e32 v9, 0, v21
	v_max_i32_e32 v9, v21, v9
	v_mul_hi_u32 v12, v9, s52
	v_mul_lo_u32 v13, v12, s35
	v_sub_u32_e32 v9, v9, v13
	v_add_u32_e32 v13, 1, v12
	v_cmp_le_u32_e64 s[4:5], s35, v9
	v_cndmask_b32_e64 v12, v12, v13, s[4:5]
	v_subrev_u32_e32 v13, s35, v9
	v_cndmask_b32_e64 v9, v9, v13, s[4:5]
	v_ashrrev_i32_e32 v8, 31, v21
	v_add_u32_e32 v13, 1, v12
	v_cmp_le_u32_e64 s[4:5], s35, v9
	v_xor_b32_e32 v8, s53, v8
	v_cndmask_b32_e64 v9, v12, v13, s[4:5]
	v_xor_b32_e32 v9, v9, v8
	v_sub_u32_e32 v8, v9, v8
	v_add_u32_e32 v9, s42, v8
	v_sub_u32_e32 v13, 0, v9
	v_ashrrev_i32_e32 v12, 31, v9
	v_max_i32_e32 v9, v9, v13
	v_mul_hi_u32 v13, v9, v19
	v_mul_lo_u32 v13, v13, s59
	v_sub_u32_e32 v9, v9, v13
	v_subrev_u32_e32 v13, s59, v9
	v_cmp_le_u32_e64 s[4:5], s59, v9
	v_cndmask_b32_e64 v9, v9, v13, s[4:5]
	v_subrev_u32_e32 v13, s59, v9
	v_cmp_le_u32_e64 s[4:5], s59, v9
	v_cndmask_b32_e64 v9, v9, v13, s[4:5]
	v_xor_b32_e32 v9, v9, v12
	v_sub_u32_e32 v9, v9, v12
	v_cmp_ne_u32_e64 s[4:5], 0, v9
	v_cmp_ge_i32_e64 s[10:11], s57, v8
	s_and_b64 s[4:5], s[4:5], s[10:11]
	s_and_b64 s[46:47], vcc, s[4:5]
	s_and_saveexec_b64 s[10:11], s[46:47]
	s_cbranch_execz .LBB327_16
; %bb.15:                               ;   in Loop: Header=BB327_14 Depth=1
	ds_write_b32 v22, v24
.LBB327_16:                             ;   in Loop: Header=BB327_14 Depth=1
	s_or_b64 exec, exec, s[10:11]
	s_xor_b64 s[4:5], s[4:5], -1
	s_and_saveexec_b64 s[10:11], s[4:5]
	s_cbranch_execz .LBB327_13
; %bb.17:                               ;   in Loop: Header=BB327_14 Depth=1
	global_load_dword v8, v[6:7], off
	s_load_dword s64, s[12:13], 0x0
	v_mov_b32_e32 v29, 0
	s_waitcnt vmcnt(0)
	v_mad_i64_i32 v[8:9], s[4:5], v8, s58, v[4:5]
	v_add_co_u32_e64 v12, s[4:5], v8, v2
	v_addc_co_u32_e64 v13, s[4:5], 0, v9, s[4:5]
	global_load_ubyte v28, v[12:13], off
	ds_read_b64 v[8:9], v18
	s_waitcnt vmcnt(0)
	v_cmp_ne_u16_e64 s[4:5], 0, v28
	s_and_saveexec_b64 s[46:47], s[4:5]
	s_cbranch_execz .LBB327_23
; %bb.18:                               ;   in Loop: Header=BB327_14 Depth=1
	v_cmp_ne_u16_e64 s[4:5], s60, v28
	v_bfrev_b32_e32 v29, 1
	s_and_saveexec_b64 s[48:49], s[4:5]
	s_cbranch_execz .LBB327_22
; %bb.19:                               ;   in Loop: Header=BB327_14 Depth=1
	v_and_b32_e32 v14, 0xffff, v28
	v_and_b32_e32 v30, 0x7f, v14
	v_cmp_ne_u32_e64 s[4:5], s61, v30
	v_mov_b32_e32 v29, 0x7f800001
	s_and_saveexec_b64 s[50:51], s[4:5]
	s_cbranch_execz .LBB327_21
; %bb.20:                               ;   in Loop: Header=BB327_14 Depth=1
	v_and_b32_e32 v29, 7, v14
	v_ffbh_u32_e32 v32, v29
	v_min_u32_e32 v34, 32, v32
	v_subrev_u32_e32 v32, 28, v34
	v_lshlrev_b64 v[32:33], v32, v[14:15]
	v_lshrrev_b32_e32 v31, 3, v30
	v_sub_u32_e32 v14, 29, v34
	v_and_b32_e32 v32, 7, v32
	v_cmp_gt_u32_e64 s[4:5], 8, v30
	v_cndmask_b32_e64 v14, v31, v14, s[4:5]
	v_cndmask_b32_e64 v29, v29, v32, s[4:5]
	v_lshlrev_b32_e32 v28, 24, v28
	v_lshlrev_b32_e32 v29, 20, v29
	v_and_b32_e32 v28, 0x80000000, v28
	v_lshl_add_u32 v14, v14, 23, v25
	v_or3_b32 v29, v28, v14, v29
.LBB327_21:                             ;   in Loop: Header=BB327_14 Depth=1
	s_or_b64 exec, exec, s[50:51]
.LBB327_22:                             ;   in Loop: Header=BB327_14 Depth=1
	s_or_b64 exec, exec, s[48:49]
.LBB327_23:                             ;   in Loop: Header=BB327_14 Depth=1
	s_or_b64 exec, exec, s[46:47]
	s_waitcnt lgkmcnt(0)
	v_mul_f32_e32 v14, s64, v29
	v_and_b32_e32 v28, 0x7f800000, v14
	v_cmp_ne_u32_e64 s[4:5], s62, v28
                                        ; implicit-def: $vgpr28
	s_and_saveexec_b64 s[46:47], s[4:5]
	s_xor_b64 s[4:5], exec, s[46:47]
; %bb.24:                               ;   in Loop: Header=BB327_14 Depth=1
	v_bfe_u32 v28, v14, 16, 1
	v_add3_u32 v28, v14, v28, s63
                                        ; implicit-def: $vgpr14
; %bb.25:                               ;   in Loop: Header=BB327_14 Depth=1
	s_andn2_saveexec_b64 s[46:47], s[4:5]
; %bb.26:                               ;   in Loop: Header=BB327_14 Depth=1
	v_or_b32_e32 v28, 0x10000, v14
	v_cmp_eq_u32_sdwa s[4:5], v14, v17 src0_sel:WORD_0 src1_sel:DWORD
	v_cndmask_b32_e64 v28, v28, v14, s[4:5]
; %bb.27:                               ;   in Loop: Header=BB327_14 Depth=1
	s_or_b64 exec, exec, s[46:47]
	global_load_ubyte v29, v[12:13], off offset:8
	v_mov_b32_e32 v30, 0
	s_waitcnt vmcnt(0)
	v_cmp_ne_u16_e64 s[4:5], 0, v29
	s_and_saveexec_b64 s[46:47], s[4:5]
	s_cbranch_execz .LBB327_33
; %bb.28:                               ;   in Loop: Header=BB327_14 Depth=1
	v_cmp_ne_u16_e64 s[4:5], s60, v29
	v_bfrev_b32_e32 v30, 1
	s_and_saveexec_b64 s[48:49], s[4:5]
	s_cbranch_execz .LBB327_32
; %bb.29:                               ;   in Loop: Header=BB327_14 Depth=1
	v_and_b32_e32 v14, 0xffff, v29
	v_and_b32_e32 v31, 0x7f, v14
	v_cmp_ne_u32_e64 s[4:5], s61, v31
	v_mov_b32_e32 v30, 0x7f800001
	s_and_saveexec_b64 s[50:51], s[4:5]
	s_cbranch_execz .LBB327_31
; %bb.30:                               ;   in Loop: Header=BB327_14 Depth=1
	v_and_b32_e32 v30, 7, v14
	v_ffbh_u32_e32 v32, v30
	v_min_u32_e32 v35, 32, v32
	v_subrev_u32_e32 v32, 28, v35
	v_lshlrev_b64 v[32:33], v32, v[14:15]
	v_lshrrev_b32_e32 v34, 3, v31
	v_sub_u32_e32 v14, 29, v35
	v_and_b32_e32 v32, 7, v32
	v_cmp_gt_u32_e64 s[4:5], 8, v31
	v_cndmask_b32_e64 v14, v34, v14, s[4:5]
	v_cndmask_b32_e64 v30, v30, v32, s[4:5]
	v_lshlrev_b32_e32 v29, 24, v29
	v_lshlrev_b32_e32 v30, 20, v30
	v_and_b32_e32 v29, 0x80000000, v29
	v_lshl_add_u32 v14, v14, 23, v25
	v_or3_b32 v30, v29, v14, v30
.LBB327_31:                             ;   in Loop: Header=BB327_14 Depth=1
	s_or_b64 exec, exec, s[50:51]
.LBB327_32:                             ;   in Loop: Header=BB327_14 Depth=1
	s_or_b64 exec, exec, s[48:49]
.LBB327_33:                             ;   in Loop: Header=BB327_14 Depth=1
	s_or_b64 exec, exec, s[46:47]
	v_mul_f32_e32 v14, s64, v30
	v_and_b32_e32 v29, 0x7f800000, v14
	v_cmp_ne_u32_e64 s[4:5], s62, v29
                                        ; implicit-def: $vgpr29
	s_and_saveexec_b64 s[46:47], s[4:5]
	s_xor_b64 s[4:5], exec, s[46:47]
; %bb.34:                               ;   in Loop: Header=BB327_14 Depth=1
	v_bfe_u32 v29, v14, 16, 1
	v_add3_u32 v29, v14, v29, s63
                                        ; implicit-def: $vgpr14
; %bb.35:                               ;   in Loop: Header=BB327_14 Depth=1
	s_andn2_saveexec_b64 s[46:47], s[4:5]
; %bb.36:                               ;   in Loop: Header=BB327_14 Depth=1
	v_or_b32_e32 v29, 0x10000, v14
	v_cmp_eq_u32_sdwa s[4:5], v14, v17 src0_sel:WORD_0 src1_sel:DWORD
	v_cndmask_b32_e64 v29, v29, v14, s[4:5]
; %bb.37:                               ;   in Loop: Header=BB327_14 Depth=1
	s_or_b64 exec, exec, s[46:47]
	global_load_ubyte v30, v[12:13], off offset:128
	v_mov_b32_e32 v31, 0
	s_waitcnt vmcnt(0)
	v_cmp_ne_u16_e64 s[4:5], 0, v30
	s_and_saveexec_b64 s[46:47], s[4:5]
	s_cbranch_execz .LBB327_43
; %bb.38:                               ;   in Loop: Header=BB327_14 Depth=1
	v_cmp_ne_u16_e64 s[4:5], s60, v30
	v_bfrev_b32_e32 v31, 1
	s_and_saveexec_b64 s[48:49], s[4:5]
	s_cbranch_execz .LBB327_42
; %bb.39:                               ;   in Loop: Header=BB327_14 Depth=1
	v_and_b32_e32 v14, 0xffff, v30
	v_and_b32_e32 v32, 0x7f, v14
	v_cmp_ne_u32_e64 s[4:5], s61, v32
	v_mov_b32_e32 v31, 0x7f800001
	s_and_saveexec_b64 s[50:51], s[4:5]
	s_cbranch_execz .LBB327_41
; %bb.40:                               ;   in Loop: Header=BB327_14 Depth=1
	v_and_b32_e32 v31, 7, v14
	v_ffbh_u32_e32 v34, v31
	v_min_u32_e32 v36, 32, v34
	v_subrev_u32_e32 v34, 28, v36
	v_lshlrev_b64 v[34:35], v34, v[14:15]
	v_lshrrev_b32_e32 v33, 3, v32
	v_sub_u32_e32 v14, 29, v36
	v_and_b32_e32 v34, 7, v34
	v_cmp_gt_u32_e64 s[4:5], 8, v32
	v_cndmask_b32_e64 v14, v33, v14, s[4:5]
	v_cndmask_b32_e64 v31, v31, v34, s[4:5]
	v_lshlrev_b32_e32 v30, 24, v30
	v_lshlrev_b32_e32 v31, 20, v31
	v_and_b32_e32 v30, 0x80000000, v30
	v_lshl_add_u32 v14, v14, 23, v25
	v_or3_b32 v31, v30, v14, v31
.LBB327_41:                             ;   in Loop: Header=BB327_14 Depth=1
	s_or_b64 exec, exec, s[50:51]
.LBB327_42:                             ;   in Loop: Header=BB327_14 Depth=1
	s_or_b64 exec, exec, s[48:49]
.LBB327_43:                             ;   in Loop: Header=BB327_14 Depth=1
	s_or_b64 exec, exec, s[46:47]
	v_mul_f32_e32 v30, s64, v31
	v_and_b32_e32 v14, 0x7f800000, v30
	v_cmp_ne_u32_e64 s[4:5], s62, v14
                                        ; implicit-def: $vgpr14
	s_and_saveexec_b64 s[46:47], s[4:5]
	s_xor_b64 s[4:5], exec, s[46:47]
; %bb.44:                               ;   in Loop: Header=BB327_14 Depth=1
	v_bfe_u32 v14, v30, 16, 1
	v_add3_u32 v14, v30, v14, s63
                                        ; implicit-def: $vgpr30
; %bb.45:                               ;   in Loop: Header=BB327_14 Depth=1
	s_andn2_saveexec_b64 s[46:47], s[4:5]
; %bb.46:                               ;   in Loop: Header=BB327_14 Depth=1
	v_or_b32_e32 v14, 0x10000, v30
	v_cmp_eq_u32_sdwa s[4:5], v30, v17 src0_sel:WORD_0 src1_sel:DWORD
	v_cndmask_b32_e64 v14, v14, v30, s[4:5]
; %bb.47:                               ;   in Loop: Header=BB327_14 Depth=1
	s_or_b64 exec, exec, s[46:47]
	global_load_ubyte v13, v[12:13], off offset:136
	v_mov_b32_e32 v30, 0
	s_waitcnt vmcnt(0)
	v_cmp_ne_u16_e64 s[4:5], 0, v13
	s_and_saveexec_b64 s[46:47], s[4:5]
	s_cbranch_execz .LBB327_53
; %bb.48:                               ;   in Loop: Header=BB327_14 Depth=1
	v_cmp_ne_u16_e64 s[4:5], s60, v13
	v_bfrev_b32_e32 v30, 1
	s_and_saveexec_b64 s[48:49], s[4:5]
	s_cbranch_execz .LBB327_52
; %bb.49:                               ;   in Loop: Header=BB327_14 Depth=1
	v_and_b32_e32 v12, 0xffff, v13
	v_and_b32_e32 v31, 0x7f, v12
	v_cmp_ne_u32_e64 s[4:5], s61, v31
	v_mov_b32_e32 v30, 0x7f800001
	s_and_saveexec_b64 s[50:51], s[4:5]
	s_cbranch_execz .LBB327_51
; %bb.50:                               ;   in Loop: Header=BB327_14 Depth=1
	v_and_b32_e32 v30, 7, v12
	v_ffbh_u32_e32 v32, v30
	v_min_u32_e32 v35, 32, v32
	v_subrev_u32_e32 v32, 28, v35
	v_lshlrev_b64 v[32:33], v32, v[12:13]
	v_lshrrev_b32_e32 v34, 3, v31
	v_sub_u32_e32 v12, 29, v35
	v_and_b32_e32 v32, 7, v32
	v_cmp_gt_u32_e64 s[4:5], 8, v31
	v_cndmask_b32_e64 v12, v34, v12, s[4:5]
	v_cndmask_b32_e64 v30, v30, v32, s[4:5]
	v_lshlrev_b32_e32 v13, 24, v13
	v_lshlrev_b32_e32 v30, 20, v30
	v_and_b32_e32 v13, 0x80000000, v13
	v_lshl_add_u32 v12, v12, 23, v25
	v_or3_b32 v30, v13, v12, v30
.LBB327_51:                             ;   in Loop: Header=BB327_14 Depth=1
	s_or_b64 exec, exec, s[50:51]
.LBB327_52:                             ;   in Loop: Header=BB327_14 Depth=1
	s_or_b64 exec, exec, s[48:49]
.LBB327_53:                             ;   in Loop: Header=BB327_14 Depth=1
	s_or_b64 exec, exec, s[46:47]
	v_mul_f32_e32 v13, s64, v30
	v_and_b32_e32 v12, 0x7f800000, v13
	v_cmp_ne_u32_e64 s[4:5], s62, v12
                                        ; implicit-def: $vgpr12
	s_and_saveexec_b64 s[46:47], s[4:5]
	s_xor_b64 s[4:5], exec, s[46:47]
; %bb.54:                               ;   in Loop: Header=BB327_14 Depth=1
	v_bfe_u32 v12, v13, 16, 1
	v_add3_u32 v12, v13, v12, s63
                                        ; implicit-def: $vgpr13
; %bb.55:                               ;   in Loop: Header=BB327_14 Depth=1
	s_andn2_saveexec_b64 s[46:47], s[4:5]
; %bb.56:                               ;   in Loop: Header=BB327_14 Depth=1
	v_or_b32_e32 v12, 0x10000, v13
	v_cmp_eq_u32_sdwa s[4:5], v13, v17 src0_sel:WORD_0 src1_sel:DWORD
	v_cndmask_b32_e64 v12, v12, v13, s[4:5]
; %bb.57:                               ;   in Loop: Header=BB327_14 Depth=1
	s_or_b64 exec, exec, s[46:47]
	v_and_b32_e32 v13, 0xffff0000, v14
	v_and_b32_e32 v14, 0xffff0000, v29
	v_lshlrev_b32_e32 v29, 16, v8
	v_and_b32_e32 v8, 0xffff0000, v8
	v_and_b32_e32 v31, 64, v26
	v_and_b32_e32 v28, 0xffff0000, v28
	v_add_u32_e32 v31, 64, v31
	v_xor_b32_e32 v32, 4, v26
	v_mul_f32_e32 v8, v8, v14
	v_lshlrev_b32_e32 v30, 16, v9
	v_cmp_lt_i32_e64 s[4:5], v32, v31
	v_fmac_f32_e32 v8, v29, v28
	v_and_b32_e32 v9, 0xffff0000, v9
	v_cndmask_b32_e64 v32, v26, v32, s[4:5]
	v_and_b32_e32 v12, 0xffff0000, v12
	v_fmac_f32_e32 v8, v30, v13
	v_lshlrev_b32_e32 v32, 2, v32
	v_fmac_f32_e32 v8, v9, v12
	ds_bpermute_b32 v9, v32, v8
	v_xor_b32_e32 v12, 2, v26
	v_cmp_lt_i32_e64 s[4:5], v12, v31
	v_cndmask_b32_e64 v12, v26, v12, s[4:5]
	v_lshlrev_b32_e32 v12, 2, v12
	s_waitcnt lgkmcnt(0)
	v_add_f32_e32 v8, v8, v9
	ds_bpermute_b32 v9, v12, v8
	v_xor_b32_e32 v12, 1, v26
	v_cmp_lt_i32_e64 s[4:5], v12, v31
	v_cndmask_b32_e64 v12, v26, v12, s[4:5]
	v_lshlrev_b32_e32 v12, 2, v12
	s_waitcnt lgkmcnt(0)
	v_add_f32_e32 v8, v8, v9
	ds_bpermute_b32 v9, v12, v8
	s_and_saveexec_b64 s[46:47], vcc
	s_cbranch_execz .LBB327_12
; %bb.58:                               ;   in Loop: Header=BB327_14 Depth=1
	v_add_u32_e32 v12, v23, v21
	v_cvt_f32_i32_e32 v12, v12
	s_waitcnt lgkmcnt(0)
	v_add_f32_e32 v8, v8, v9
	v_add_u32_e32 v13, v15, v21
	v_cmp_gt_i32_e64 s[4:5], s33, v13
	v_mul_f32_e32 v9, s7, v12
	v_cndmask_b32_e64 v9, 0, v9, s[2:3]
	v_fmac_f32_e32 v9, s43, v8
	v_cndmask_b32_e64 v8, 0, v9, s[4:5]
	ds_write_b32 v22, v8
	v_max_f32_e32 v8, v20, v20
	v_max_f32_e32 v8, v8, v9
	v_cndmask_b32_e64 v20, v20, v8, s[4:5]
	s_branch .LBB327_12
.LBB327_59:
	s_or_b64 exec, exec, s[44:45]
.LBB327_60:
	s_or_b64 exec, exec, s[18:19]
	v_mbcnt_hi_u32_b32 v2, -1, v3
	v_and_b32_e32 v3, 64, v2
	v_add_u32_e32 v3, 64, v3
	v_xor_b32_e32 v4, 32, v2
	v_cmp_lt_i32_e32 vcc, v4, v3
	v_cndmask_b32_e32 v4, v2, v4, vcc
	v_lshlrev_b32_e32 v6, 2, v4
	ds_bpermute_b32 v4, v6, v20
	v_xor_b32_e32 v7, 16, v2
	v_max_f32_e32 v5, v20, v20
	v_cmp_lt_i32_e32 vcc, v7, v3
	v_and_b32_e32 v18, 63, v0
	s_waitcnt lgkmcnt(0)
	v_max_f32_e32 v4, v4, v4
	v_max_f32_e32 v4, v5, v4
	v_cndmask_b32_e32 v5, v2, v7, vcc
	v_lshlrev_b32_e32 v8, 2, v5
	ds_bpermute_b32 v5, v8, v4
	v_xor_b32_e32 v7, 8, v2
	v_cmp_lt_i32_e32 vcc, v7, v3
	s_waitcnt lgkmcnt(0)
	v_max_f32_e32 v5, v5, v5
	v_max_f32_e32 v4, v4, v5
	v_cndmask_b32_e32 v5, v2, v7, vcc
	v_lshlrev_b32_e32 v9, 2, v5
	ds_bpermute_b32 v7, v9, v4
	v_cmp_eq_u32_e32 vcc, 0, v18
	v_lshlrev_b32_e32 v5, 2, v16
	s_and_saveexec_b64 s[2:3], vcc
	s_cbranch_execz .LBB327_62
; %bb.61:
	s_waitcnt lgkmcnt(0)
	v_max_f32_e32 v7, v7, v7
	v_max_f32_e32 v4, v4, v4
	v_max_f32_e32 v4, v4, v7
	ds_write_b32 v5, v4 offset:64
.LBB327_62:
	s_or_b64 exec, exec, s[2:3]
	v_cmp_gt_u32_e64 s[2:3], 2, v18
	v_mov_b32_e32 v4, 0xff7fffff
	s_waitcnt lgkmcnt(0)
	v_lshlrev_b32_e32 v7, 2, v18
	s_barrier
	s_and_saveexec_b64 s[4:5], s[2:3]
	s_cbranch_execz .LBB327_64
; %bb.63:
	ds_read_b32 v4, v7 offset:64
.LBB327_64:
	s_or_b64 exec, exec, s[4:5]
	v_xor_b32_e32 v12, 1, v2
	v_cmp_lt_i32_e64 s[4:5], v12, v3
	v_cndmask_b32_e64 v12, v2, v12, s[4:5]
	v_lshlrev_b32_e32 v12, 2, v12
	s_waitcnt lgkmcnt(0)
	ds_bpermute_b32 v13, v12, v4
	v_max_f32_e32 v4, v4, v4
	s_sub_i32 s4, s54, s56
	s_lshl_b32 s4, s4, 3
	s_add_i32 s4, s4, s55
	s_waitcnt lgkmcnt(0)
	v_max_f32_e32 v13, v13, v13
	v_max_f32_e32 v4, v4, v13
	v_lshlrev_b32_e32 v13, 2, v2
	v_and_b32_e32 v13, 0x100, v13
	ds_bpermute_b32 v4, v13, v4
	s_min_i32 s43, s4, s33
	s_sub_i32 s7, s43, s55
	v_cmp_gt_i32_e64 s[4:5], s7, v0
	v_mov_b32_e32 v14, 0
	s_and_saveexec_b64 s[12:13], s[4:5]
	s_cbranch_execz .LBB327_68
; %bb.65:
	v_mov_b32_e32 v14, 0x50
	v_lshl_add_u32 v15, v0, 2, v14
	s_mov_b64 s[18:19], 0
	v_mov_b32_e32 v14, 0
	v_mov_b32_e32 v17, v0
.LBB327_66:                             ; =>This Inner Loop Header: Depth=1
	ds_read_b32 v19, v15
	v_add_u32_e32 v17, 0x80, v17
	v_cmp_le_i32_e64 s[10:11], s7, v17
	s_or_b64 s[18:19], s[10:11], s[18:19]
	s_waitcnt lgkmcnt(0)
	v_sub_f32_e32 v19, v19, v4
	v_mul_f32_e32 v19, 0x3fb8aa3b, v19
	v_exp_f32_e32 v19, v19
	ds_write_b32 v15, v19
	v_add_f32_e32 v14, v14, v19
	v_add_u32_e32 v15, 0x200, v15
	s_andn2_b64 exec, exec, s[18:19]
	s_cbranch_execnz .LBB327_66
; %bb.67:
	s_or_b64 exec, exec, s[18:19]
.LBB327_68:
	s_or_b64 exec, exec, s[12:13]
	ds_bpermute_b32 v6, v6, v14
	s_waitcnt lgkmcnt(0)
	v_add_f32_e32 v6, v14, v6
	ds_bpermute_b32 v8, v8, v6
	s_waitcnt lgkmcnt(0)
	v_add_f32_e32 v6, v6, v8
	ds_bpermute_b32 v8, v9, v6
	v_xor_b32_e32 v9, 4, v2
	v_cmp_lt_i32_e64 s[10:11], v9, v3
	v_cndmask_b32_e64 v9, v2, v9, s[10:11]
	v_lshlrev_b32_e32 v9, 2, v9
	s_waitcnt lgkmcnt(0)
	v_add_f32_e32 v6, v6, v8
	ds_bpermute_b32 v8, v9, v6
	v_xor_b32_e32 v9, 2, v2
	v_cmp_lt_i32_e64 s[10:11], v9, v3
	v_cndmask_b32_e64 v2, v2, v9, s[10:11]
	v_lshlrev_b32_e32 v2, 2, v2
	s_waitcnt lgkmcnt(0)
	v_add_f32_e32 v3, v6, v8
	ds_bpermute_b32 v2, v2, v3
	s_waitcnt lgkmcnt(0)
	v_add_f32_e32 v2, v3, v2
	ds_bpermute_b32 v3, v12, v2
	s_waitcnt lgkmcnt(0)
	v_add_f32_e32 v2, v2, v3
	s_and_saveexec_b64 s[10:11], vcc
	s_cbranch_execz .LBB327_70
; %bb.69:
	ds_write_b32 v5, v2 offset:72
.LBB327_70:
	s_or_b64 exec, exec, s[10:11]
	s_waitcnt lgkmcnt(0)
	s_barrier
	s_and_saveexec_b64 s[10:11], s[2:3]
	s_cbranch_execz .LBB327_72
; %bb.71:
	ds_read_b32 v2, v7 offset:72
.LBB327_72:
	s_or_b64 exec, exec, s[10:11]
	s_waitcnt lgkmcnt(0)
	ds_bpermute_b32 v3, v12, v2
	s_waitcnt lgkmcnt(0)
	v_add_f32_e32 v2, v2, v3
	ds_bpermute_b32 v5, v13, v2
	s_and_saveexec_b64 s[2:3], s[4:5]
	s_cbranch_execz .LBB327_85
; %bb.73:
	s_waitcnt lgkmcnt(0)
	v_add_f32_e32 v2, 0x358637bd, v5
	v_div_scale_f32 v3, s[4:5], v2, v2, 1.0
	v_rcp_f32_e32 v6, v3
	v_div_scale_f32 v7, vcc, 1.0, v2, 1.0
	s_movk_i32 s4, 0x7f
	v_fma_f32 v8, -v3, v6, 1.0
	v_fmac_f32_e32 v6, v8, v6
	v_mul_f32_e32 v8, v7, v6
	v_fma_f32 v9, -v3, v8, v7
	v_fmac_f32_e32 v8, v9, v6
	v_fma_f32 v3, -v3, v8, v7
	v_div_fmas_f32 v3, v3, v6, v8
	v_div_fixup_f32 v2, v3, v2, 1.0
	v_xad_u32 v3, v0, -1, s43
	v_subrev_u32_e32 v6, s55, v3
	v_cmp_lt_u32_e32 vcc, s4, v6
	s_mov_b64 s[10:11], -1
	v_mov_b32_e32 v3, v0
	s_and_saveexec_b64 s[4:5], vcc
	s_cbranch_execz .LBB327_82
; %bb.74:
	v_lshrrev_b32_e32 v6, 7, v6
	v_add_u32_e32 v8, -1, v6
	v_lshrrev_b32_e32 v7, 1, v8
	v_mov_b32_e32 v3, v2
	v_add_u32_e32 v7, 1, v7
	v_cmp_lt_u32_e32 vcc, 13, v8
	v_mov_b32_e32 v12, 0
	s_and_saveexec_b64 s[10:11], vcc
	s_cbranch_execz .LBB327_78
; %bb.75:
	v_mov_b32_e32 v9, 0x50
	v_and_b32_e32 v8, -8, v7
	v_lshl_add_u32 v9, v0, 2, v9
	s_mov_b32 s18, 0
	s_mov_b64 s[12:13], 0
.LBB327_76:                             ; =>This Inner Loop Header: Depth=1
	ds_read2st64_b32 v[12:13], v9 offset1:2
	ds_read2st64_b32 v[14:15], v9 offset0:4 offset1:6
	ds_read2st64_b32 v[20:21], v9 offset0:8 offset1:10
	;; [unrolled: 1-line block ×3, first 2 shown]
	v_add_u32_e32 v8, -8, v8
	s_waitcnt lgkmcnt(3)
	v_pk_mul_f32 v[12:13], v[2:3], v[12:13]
	s_waitcnt lgkmcnt(2)
	v_pk_mul_f32 v[14:15], v[2:3], v[14:15]
	ds_write2st64_b32 v9, v12, v13 offset1:2
	ds_write2st64_b32 v9, v14, v15 offset0:4 offset1:6
	ds_read2st64_b32 v[14:15], v9 offset0:16 offset1:18
	s_waitcnt lgkmcnt(4)
	v_pk_mul_f32 v[12:13], v[2:3], v[20:21]
	ds_write2st64_b32 v9, v12, v13 offset0:8 offset1:10
	s_waitcnt lgkmcnt(4)
	v_pk_mul_f32 v[12:13], v[2:3], v[22:23]
	ds_write2st64_b32 v9, v12, v13 offset0:12 offset1:14
	ds_read2st64_b32 v[12:13], v9 offset0:20 offset1:22
	s_waitcnt lgkmcnt(3)
	v_pk_mul_f32 v[14:15], v[2:3], v[14:15]
	ds_read2st64_b32 v[20:21], v9 offset0:24 offset1:26
	ds_write2st64_b32 v9, v14, v15 offset0:16 offset1:18
	ds_read2st64_b32 v[14:15], v9 offset0:28 offset1:30
	s_waitcnt lgkmcnt(3)
	v_pk_mul_f32 v[12:13], v[2:3], v[12:13]
	ds_write2st64_b32 v9, v12, v13 offset0:20 offset1:22
	s_waitcnt lgkmcnt(3)
	v_pk_mul_f32 v[12:13], v[2:3], v[20:21]
	ds_write2st64_b32 v9, v12, v13 offset0:24 offset1:26
	s_waitcnt lgkmcnt(2)
	v_pk_mul_f32 v[12:13], v[2:3], v[14:15]
	s_add_i32 s18, s18, 16
	v_cmp_eq_u32_e32 vcc, 0, v8
	ds_write2st64_b32 v9, v12, v13 offset0:28 offset1:30
	v_add_u32_e32 v9, 0x2000, v9
	s_or_b64 s[12:13], vcc, s[12:13]
	v_mov_b32_e32 v12, s18
	s_andn2_b64 exec, exec, s[12:13]
	s_cbranch_execnz .LBB327_76
; %bb.77:
	s_or_b64 exec, exec, s[12:13]
.LBB327_78:
	s_or_b64 exec, exec, s[10:11]
	v_and_b32_e32 v7, 7, v7
	v_cmp_ne_u32_e32 vcc, 0, v7
	s_and_saveexec_b64 s[10:11], vcc
	s_cbranch_execz .LBB327_81
; %bb.79:
	v_lshlrev_b32_e32 v8, 9, v12
	v_lshlrev_b32_e32 v9, 2, v0
	s_movk_i32 s12, 0x50
	v_add3_u32 v8, v8, v9, s12
	s_mov_b64 s[12:13], 0
.LBB327_80:                             ; =>This Inner Loop Header: Depth=1
	ds_read2st64_b32 v[12:13], v8 offset1:2
	v_add_u32_e32 v7, -1, v7
	v_cmp_eq_u32_e32 vcc, 0, v7
	s_or_b64 s[12:13], vcc, s[12:13]
	s_waitcnt lgkmcnt(0)
	v_pk_mul_f32 v[12:13], v[2:3], v[12:13]
	ds_write2st64_b32 v8, v12, v13 offset1:2
	v_add_u32_e32 v8, 0x400, v8
	s_andn2_b64 exec, exec, s[12:13]
	s_cbranch_execnz .LBB327_80
.LBB327_81:
	s_or_b64 exec, exec, s[10:11]
	v_add_u32_e32 v6, 1, v6
	v_and_b32_e32 v7, 0x3fffffe, v6
	v_cmp_ne_u32_e32 vcc, v6, v7
	v_lshl_add_u32 v3, v7, 7, v0
	s_orn2_b64 s[10:11], vcc, exec
.LBB327_82:
	s_or_b64 exec, exec, s[4:5]
	s_and_b64 exec, exec, s[10:11]
	s_cbranch_execz .LBB327_85
; %bb.83:
	v_mov_b32_e32 v6, 0x50
	v_lshl_add_u32 v6, v3, 2, v6
	s_mov_b64 s[4:5], 0
.LBB327_84:                             ; =>This Inner Loop Header: Depth=1
	ds_read_b32 v7, v6
	v_add_u32_e32 v3, 0x80, v3
	v_cmp_le_i32_e32 vcc, s7, v3
	s_or_b64 s[4:5], vcc, s[4:5]
	s_waitcnt lgkmcnt(0)
	v_mul_f32_e32 v7, v2, v7
	ds_write_b32 v6, v7
	v_add_u32_e32 v6, 0x200, v6
	s_andn2_b64 exec, exec, s[4:5]
	s_cbranch_execnz .LBB327_84
.LBB327_85:
	s_or_b64 exec, exec, s[2:3]
	s_mul_i32 s2, s29, s34
	v_cmp_eq_u32_e32 vcc, 0, v0
	s_mul_i32 s4, s2, s9
	s_waitcnt lgkmcnt(0)
	s_barrier
	s_and_saveexec_b64 s[2:3], vcc
	s_cbranch_execz .LBB327_87
; %bb.86:
	s_ashr_i32 s5, s4, 31
	s_lshl_b64 s[10:11], s[4:5], 2
	s_add_u32 s5, s26, s10
	s_mul_i32 s6, s29, s6
	s_addc_u32 s9, s27, s11
	s_ashr_i32 s7, s6, 31
	s_lshl_b64 s[6:7], s[6:7], 2
	s_add_u32 s5, s5, s6
	s_addc_u32 s19, s9, s7
	s_ashr_i32 s9, s8, 31
	s_lshl_b64 s[12:13], s[8:9], 2
	s_add_u32 s18, s5, s12
	s_addc_u32 s19, s19, s13
	s_add_u32 s5, s24, s10
	s_addc_u32 s9, s25, s11
	;; [unrolled: 2-line block ×3, first 2 shown]
	s_add_u32 s6, s5, s12
	v_mov_b32_e32 v2, 0
	s_addc_u32 s7, s7, s13
	global_store_dword v2, v4, s[18:19]
	global_store_dword v2, v5, s[6:7]
.LBB327_87:
	s_or_b64 exec, exec, s[2:3]
	v_mov_b32_e32 v19, 0
	s_and_saveexec_b64 s[6:7], s[0:1]
	s_cbranch_execz .LBB327_241
; %bb.88:
	s_sub_i32 s5, s20, s21
	s_ashr_i32 s0, s23, 31
	s_add_u32 s1, s40, s23
	s_addc_u32 s0, s41, s0
	s_abs_i32 s9, s22
	v_cvt_f32_u32_e32 v2, s9
	v_lshlrev_b32_e32 v3, 3, v18
	v_mov_b32_e32 v4, s0
	v_add_co_u32_e64 v12, s[0:1], s1, v3
	v_rcp_iflag_f32_e32 v2, v2
	v_addc_co_u32_e64 v13, s[0:1], 0, v4, s[0:1]
	s_sub_i32 s0, 0, s9
	v_mul_f32_e32 v2, 0x4f7ffffe, v2
	v_cvt_u32_f32_e32 v2, v2
	s_add_i32 s25, s16, -1
	s_mov_b32 s10, -1
	v_cmp_gt_u32_e32 vcc, 32, v18
	v_mul_lo_u32 v3, s0, v2
	s_lshl_b64 s[0:1], s[38:39], 2
	v_mul_hi_u32 v3, v2, v3
	s_add_u32 s0, s36, s0
	v_add_u32_e32 v20, v2, v3
	v_lshlrev_b64 v[2:3], 2, v[10:11]
	s_addc_u32 s1, s37, s1
	v_mov_b32_e32 v4, s1
	v_add_co_u32_e64 v14, s[0:1], s0, v2
	v_mov_b32_e32 v2, 0x50
	s_mov_b32 s24, s17
	s_mov_b32 s11, 0xffffff
	v_addc_co_u32_e64 v15, s[0:1], v4, v3, s[0:1]
	v_lshl_add_u32 v11, v16, 5, v2
	s_mov_b64 s[12:13], 0
	v_mov_b32_e32 v17, 0
	s_mov_b32 s26, 0x7f800000
	s_movk_i32 s27, 0x7fff
	s_movk_i32 s34, 0x80
	s_movk_i32 s36, 0x7f
	v_bfrev_b32_e32 v21, 60
	v_mov_b32_e32 v19, 0
	s_branch .LBB327_92
.LBB327_89:                             ;   in Loop: Header=BB327_92 Depth=1
	s_or_b64 exec, exec, s[18:19]
	v_and_b32_e32 v7, 0xffff0000, v6
	v_and_b32_e32 v6, 0xffff0000, v8
	;; [unrolled: 1-line block ×8, first 2 shown]
	v_pk_add_f32 v[2:3], v[4:5], v[8:9]
	v_pk_add_f32 v[4:5], v[24:25], v[6:7]
	v_add_f32_e32 v2, v2, v3
	v_add_f32_e32 v2, v2, v4
	;; [unrolled: 1-line block ×4, first 2 shown]
.LBB327_90:                             ;   in Loop: Header=BB327_92 Depth=1
	s_or_b64 exec, exec, s[16:17]
.LBB327_91:                             ;   in Loop: Header=BB327_92 Depth=1
	s_or_b64 exec, exec, s[2:3]
	v_add_co_u32_e64 v14, s[0:1], 8, v14
	v_add_u32_e32 v10, 2, v10
	v_addc_co_u32_e64 v15, s[0:1], 0, v15, s[0:1]
	v_cmp_le_i32_e64 s[0:1], s54, v10
	v_add_u32_e32 v1, 16, v1
	s_or_b64 s[12:13], s[0:1], s[12:13]
	v_add_u32_e32 v11, 64, v11
	s_andn2_b64 exec, exec, s[12:13]
	s_cbranch_execz .LBB327_240
.LBB327_92:                             ; =>This Inner Loop Header: Depth=1
	v_sub_u32_e32 v3, 0, v1
	v_max_i32_e32 v3, v1, v3
	v_mul_hi_u32 v4, v3, s52
	v_mul_lo_u32 v5, v4, s35
	v_sub_u32_e32 v3, v3, v5
	v_add_u32_e32 v5, 1, v4
	v_cmp_le_u32_e64 s[0:1], s35, v3
	v_cndmask_b32_e64 v4, v4, v5, s[0:1]
	v_subrev_u32_e32 v5, s35, v3
	v_cndmask_b32_e64 v3, v3, v5, s[0:1]
	v_ashrrev_i32_e32 v2, 31, v1
	v_add_u32_e32 v5, 1, v4
	v_cmp_le_u32_e64 s[0:1], s35, v3
	v_xor_b32_e32 v2, s53, v2
	v_cndmask_b32_e64 v3, v4, v5, s[0:1]
	v_xor_b32_e32 v3, v3, v2
	v_sub_u32_e32 v2, v3, v2
	v_add_u32_e32 v3, s42, v2
	v_sub_u32_e32 v5, 0, v3
	v_ashrrev_i32_e32 v4, 31, v3
	v_max_i32_e32 v3, v3, v5
	v_mul_hi_u32 v5, v3, v20
	v_mul_lo_u32 v5, v5, s9
	v_sub_u32_e32 v3, v3, v5
	v_subrev_u32_e32 v5, s9, v3
	v_cmp_le_u32_e64 s[0:1], s9, v3
	v_cndmask_b32_e64 v3, v3, v5, s[0:1]
	v_subrev_u32_e32 v5, s9, v3
	v_cmp_le_u32_e64 s[0:1], s9, v3
	v_cndmask_b32_e64 v3, v3, v5, s[0:1]
	v_xor_b32_e32 v3, v3, v4
	v_sub_u32_e32 v3, v3, v4
	v_cmp_eq_u32_e64 s[0:1], 0, v3
	v_cmp_lt_i32_e64 s[2:3], s5, v2
	s_or_b64 s[0:1], s[0:1], s[2:3]
	s_and_saveexec_b64 s[2:3], s[0:1]
	s_cbranch_execz .LBB327_91
; %bb.93:                               ;   in Loop: Header=BB327_92 Depth=1
	global_load_dword v16, v[14:15], off
	ds_read2_b64 v[6:9], v11 offset1:1
	ds_read2_b64 v[2:5], v11 offset0:2 offset1:3
                                        ; implicit-def: $vgpr25
	s_waitcnt lgkmcnt(1)
	v_and_b32_e32 v22, 0x7f800000, v6
	v_cmp_ne_u32_e64 s[0:1], s26, v22
	s_and_saveexec_b64 s[16:17], s[0:1]
	s_xor_b64 s[0:1], exec, s[16:17]
; %bb.94:                               ;   in Loop: Header=BB327_92 Depth=1
	v_bfe_u32 v22, v6, 16, 1
	v_add3_u32 v25, v6, v22, s27
; %bb.95:                               ;   in Loop: Header=BB327_92 Depth=1
	s_andn2_saveexec_b64 s[16:17], s[0:1]
; %bb.96:                               ;   in Loop: Header=BB327_92 Depth=1
	v_or_b32_e32 v22, 0x10000, v6
	v_cmp_eq_u32_sdwa s[0:1], v6, v17 src0_sel:WORD_0 src1_sel:DWORD
	v_cndmask_b32_e64 v25, v22, v6, s[0:1]
; %bb.97:                               ;   in Loop: Header=BB327_92 Depth=1
	s_or_b64 exec, exec, s[16:17]
	v_and_b32_e32 v6, 0x7f800000, v7
	v_cmp_ne_u32_e64 s[0:1], s26, v6
                                        ; implicit-def: $vgpr24
	s_and_saveexec_b64 s[16:17], s[0:1]
	s_xor_b64 s[0:1], exec, s[16:17]
; %bb.98:                               ;   in Loop: Header=BB327_92 Depth=1
	v_bfe_u32 v6, v7, 16, 1
	v_add3_u32 v24, v7, v6, s27
; %bb.99:                               ;   in Loop: Header=BB327_92 Depth=1
	s_andn2_saveexec_b64 s[16:17], s[0:1]
; %bb.100:                              ;   in Loop: Header=BB327_92 Depth=1
	v_or_b32_e32 v6, 0x10000, v7
	v_cmp_eq_u32_sdwa s[0:1], v7, v17 src0_sel:WORD_0 src1_sel:DWORD
	v_cndmask_b32_e64 v24, v6, v7, s[0:1]
; %bb.101:                              ;   in Loop: Header=BB327_92 Depth=1
	s_or_b64 exec, exec, s[16:17]
	v_and_b32_e32 v6, 0x7f800000, v8
	v_cmp_ne_u32_e64 s[0:1], s26, v6
                                        ; implicit-def: $vgpr23
	s_and_saveexec_b64 s[16:17], s[0:1]
	s_xor_b64 s[0:1], exec, s[16:17]
; %bb.102:                              ;   in Loop: Header=BB327_92 Depth=1
	v_bfe_u32 v6, v8, 16, 1
	v_add3_u32 v23, v8, v6, s27
; %bb.103:                              ;   in Loop: Header=BB327_92 Depth=1
	s_andn2_saveexec_b64 s[16:17], s[0:1]
; %bb.104:                              ;   in Loop: Header=BB327_92 Depth=1
	v_or_b32_e32 v6, 0x10000, v8
	v_cmp_eq_u32_sdwa s[0:1], v8, v17 src0_sel:WORD_0 src1_sel:DWORD
	v_cndmask_b32_e64 v23, v6, v8, s[0:1]
; %bb.105:                              ;   in Loop: Header=BB327_92 Depth=1
	s_or_b64 exec, exec, s[16:17]
	v_and_b32_e32 v6, 0x7f800000, v9
	v_cmp_ne_u32_e64 s[0:1], s26, v6
                                        ; implicit-def: $vgpr22
	s_and_saveexec_b64 s[16:17], s[0:1]
	s_xor_b64 s[0:1], exec, s[16:17]
; %bb.106:                              ;   in Loop: Header=BB327_92 Depth=1
	v_bfe_u32 v6, v9, 16, 1
	v_add3_u32 v22, v9, v6, s27
                                        ; implicit-def: $vgpr6_vgpr7_vgpr8_vgpr9
; %bb.107:                              ;   in Loop: Header=BB327_92 Depth=1
	s_andn2_saveexec_b64 s[16:17], s[0:1]
; %bb.108:                              ;   in Loop: Header=BB327_92 Depth=1
	v_or_b32_e32 v6, 0x10000, v9
	v_cmp_eq_u32_sdwa s[0:1], v9, v17 src0_sel:WORD_0 src1_sel:DWORD
	v_cndmask_b32_e64 v22, v6, v9, s[0:1]
; %bb.109:                              ;   in Loop: Header=BB327_92 Depth=1
	s_or_b64 exec, exec, s[16:17]
	s_waitcnt lgkmcnt(0)
	v_and_b32_e32 v6, 0x7f800000, v2
	v_cmp_ne_u32_e64 s[0:1], s26, v6
                                        ; implicit-def: $vgpr9
	s_and_saveexec_b64 s[16:17], s[0:1]
	s_xor_b64 s[0:1], exec, s[16:17]
; %bb.110:                              ;   in Loop: Header=BB327_92 Depth=1
	v_bfe_u32 v6, v2, 16, 1
	v_add3_u32 v9, v2, v6, s27
; %bb.111:                              ;   in Loop: Header=BB327_92 Depth=1
	s_andn2_saveexec_b64 s[16:17], s[0:1]
; %bb.112:                              ;   in Loop: Header=BB327_92 Depth=1
	v_or_b32_e32 v6, 0x10000, v2
	v_cmp_eq_u32_sdwa s[0:1], v2, v17 src0_sel:WORD_0 src1_sel:DWORD
	v_cndmask_b32_e64 v9, v6, v2, s[0:1]
; %bb.113:                              ;   in Loop: Header=BB327_92 Depth=1
	s_or_b64 exec, exec, s[16:17]
	v_and_b32_e32 v2, 0x7f800000, v3
	v_cmp_ne_u32_e64 s[0:1], s26, v2
                                        ; implicit-def: $vgpr8
	s_and_saveexec_b64 s[16:17], s[0:1]
	s_xor_b64 s[0:1], exec, s[16:17]
; %bb.114:                              ;   in Loop: Header=BB327_92 Depth=1
	v_bfe_u32 v2, v3, 16, 1
	v_add3_u32 v8, v3, v2, s27
; %bb.115:                              ;   in Loop: Header=BB327_92 Depth=1
	s_andn2_saveexec_b64 s[16:17], s[0:1]
; %bb.116:                              ;   in Loop: Header=BB327_92 Depth=1
	v_or_b32_e32 v2, 0x10000, v3
	v_cmp_eq_u32_sdwa s[0:1], v3, v17 src0_sel:WORD_0 src1_sel:DWORD
	v_cndmask_b32_e64 v8, v2, v3, s[0:1]
; %bb.117:                              ;   in Loop: Header=BB327_92 Depth=1
	s_or_b64 exec, exec, s[16:17]
	v_and_b32_e32 v2, 0x7f800000, v4
	v_cmp_ne_u32_e64 s[0:1], s26, v2
                                        ; implicit-def: $vgpr7
	s_and_saveexec_b64 s[16:17], s[0:1]
	s_xor_b64 s[0:1], exec, s[16:17]
; %bb.118:                              ;   in Loop: Header=BB327_92 Depth=1
	v_bfe_u32 v2, v4, 16, 1
	v_add3_u32 v7, v4, v2, s27
; %bb.119:                              ;   in Loop: Header=BB327_92 Depth=1
	s_andn2_saveexec_b64 s[16:17], s[0:1]
; %bb.120:                              ;   in Loop: Header=BB327_92 Depth=1
	v_or_b32_e32 v2, 0x10000, v4
	v_cmp_eq_u32_sdwa s[0:1], v4, v17 src0_sel:WORD_0 src1_sel:DWORD
	v_cndmask_b32_e64 v7, v2, v4, s[0:1]
; %bb.121:                              ;   in Loop: Header=BB327_92 Depth=1
	s_or_b64 exec, exec, s[16:17]
	v_and_b32_e32 v2, 0x7f800000, v5
	v_cmp_ne_u32_e64 s[0:1], s26, v2
                                        ; implicit-def: $vgpr6
	s_and_saveexec_b64 s[16:17], s[0:1]
	s_xor_b64 s[0:1], exec, s[16:17]
	s_cbranch_execnz .LBB327_124
; %bb.122:                              ;   in Loop: Header=BB327_92 Depth=1
	s_andn2_saveexec_b64 s[16:17], s[0:1]
	s_cbranch_execnz .LBB327_125
.LBB327_123:                            ;   in Loop: Header=BB327_92 Depth=1
	s_or_b64 exec, exec, s[16:17]
	s_and_saveexec_b64 s[16:17], vcc
	s_cbranch_execz .LBB327_90
	s_branch .LBB327_126
.LBB327_124:                            ;   in Loop: Header=BB327_92 Depth=1
	v_bfe_u32 v2, v5, 16, 1
	v_add3_u32 v6, v5, v2, s27
                                        ; implicit-def: $vgpr2_vgpr3_vgpr4_vgpr5
	s_andn2_saveexec_b64 s[16:17], s[0:1]
	s_cbranch_execz .LBB327_123
.LBB327_125:                            ;   in Loop: Header=BB327_92 Depth=1
	v_or_b32_e32 v2, 0x10000, v5
	v_cmp_eq_u32_sdwa s[0:1], v5, v17 src0_sel:WORD_0 src1_sel:DWORD
	v_cndmask_b32_e64 v6, v2, v5, s[0:1]
	s_or_b64 exec, exec, s[16:17]
	s_and_saveexec_b64 s[16:17], vcc
	s_cbranch_execz .LBB327_90
.LBB327_126:                            ;   in Loop: Header=BB327_92 Depth=1
	s_waitcnt vmcnt(0)
	v_mad_i64_i32 v[2:3], s[0:1], v16, s24, v[12:13]
	global_load_dwordx2 v[2:3], v[2:3], off
	s_load_dword s37, s[14:15], 0x0
	v_mov_b32_e32 v4, 0
	s_waitcnt vmcnt(0)
	v_cmp_ne_u16_sdwa s[0:1], v2, v17 src0_sel:BYTE_0 src1_sel:DWORD
	s_and_saveexec_b64 s[18:19], s[0:1]
	s_cbranch_execz .LBB327_132
; %bb.127:                              ;   in Loop: Header=BB327_92 Depth=1
	v_cmp_ne_u16_sdwa s[0:1], v2, s34 src0_sel:BYTE_0 src1_sel:DWORD
	v_bfrev_b32_e32 v4, 1
	s_and_saveexec_b64 s[20:21], s[0:1]
	s_cbranch_execz .LBB327_131
; %bb.128:                              ;   in Loop: Header=BB327_92 Depth=1
	v_and_b32_e32 v5, 0x7f, v2
	v_cmp_ne_u32_e64 s[0:1], s36, v5
	v_mov_b32_e32 v4, 0x7f800001
	s_and_saveexec_b64 s[22:23], s[0:1]
	s_cbranch_execz .LBB327_130
; %bb.129:                              ;   in Loop: Header=BB327_92 Depth=1
	v_and_b32_e32 v4, 7, v2
	v_ffbh_u32_e32 v4, v4
	v_min_u32_e32 v4, 32, v4
	v_lshrrev_b32_e32 v16, 3, v5
	v_subrev_u32_e32 v26, 28, v4
	v_sub_u32_e32 v4, 29, v4
	v_cmp_gt_u32_e64 s[0:1], 8, v5
	v_cndmask_b32_e64 v16, v16, v4, s[0:1]
	v_cndmask_b32_e64 v4, 0, v26, s[0:1]
	v_lshlrev_b64 v[4:5], v4, v[2:3]
	v_lshlrev_b32_e32 v4, 20, v4
	v_lshlrev_b32_e32 v5, 24, v2
	v_and_b32_e32 v4, 0x700000, v4
	v_and_b32_e32 v5, 0x80000000, v5
	v_lshl_add_u32 v16, v16, 23, v21
	v_or3_b32 v4, v5, v16, v4
.LBB327_130:                            ;   in Loop: Header=BB327_92 Depth=1
	s_or_b64 exec, exec, s[22:23]
.LBB327_131:                            ;   in Loop: Header=BB327_92 Depth=1
	s_or_b64 exec, exec, s[20:21]
.LBB327_132:                            ;   in Loop: Header=BB327_92 Depth=1
	s_or_b64 exec, exec, s[18:19]
	s_waitcnt lgkmcnt(0)
	v_mul_f32_e32 v4, s37, v4
	v_and_b32_e32 v5, 0x7f800000, v4
	v_cmp_ne_u32_e64 s[0:1], s26, v5
                                        ; implicit-def: $vgpr5
	s_and_saveexec_b64 s[18:19], s[0:1]
	s_xor_b64 s[0:1], exec, s[18:19]
; %bb.133:                              ;   in Loop: Header=BB327_92 Depth=1
	v_bfe_u32 v5, v4, 16, 1
	v_add3_u32 v5, v4, v5, s27
                                        ; implicit-def: $vgpr4
; %bb.134:                              ;   in Loop: Header=BB327_92 Depth=1
	s_andn2_saveexec_b64 s[18:19], s[0:1]
; %bb.135:                              ;   in Loop: Header=BB327_92 Depth=1
	v_or_b32_e32 v5, 0x10000, v4
	v_cmp_eq_u32_sdwa s[0:1], v4, v17 src0_sel:WORD_0 src1_sel:DWORD
	v_cndmask_b32_e64 v5, v5, v4, s[0:1]
; %bb.136:                              ;   in Loop: Header=BB327_92 Depth=1
	s_or_b64 exec, exec, s[18:19]
	v_lshrrev_b16_e32 v4, 8, v2
	v_cmp_ne_u16_e64 s[0:1], 0, v4
	v_mov_b32_e32 v16, 0
	s_and_saveexec_b64 s[18:19], s[0:1]
	s_cbranch_execz .LBB327_142
; %bb.137:                              ;   in Loop: Header=BB327_92 Depth=1
	v_cmp_ne_u16_e64 s[0:1], s34, v4
	v_bfrev_b32_e32 v16, 1
	s_and_saveexec_b64 s[20:21], s[0:1]
	s_cbranch_execz .LBB327_141
; %bb.138:                              ;   in Loop: Header=BB327_92 Depth=1
	v_and_b32_e32 v26, 0x7f, v4
	v_cmp_ne_u32_e64 s[0:1], s36, v26
	v_mov_b32_e32 v16, 0x7f800001
	s_and_saveexec_b64 s[22:23], s[0:1]
	s_cbranch_execz .LBB327_140
; %bb.139:                              ;   in Loop: Header=BB327_92 Depth=1
	v_and_b32_e32 v16, 7, v4
	v_ffbh_u32_e32 v28, v16
	v_min_u32_e32 v30, 32, v28
	v_subrev_u32_e32 v28, 28, v30
	v_lshlrev_b64 v[28:29], v28, v[4:5]
	v_lshrrev_b32_e32 v27, 3, v26
	v_sub_u32_e32 v4, 29, v30
	v_and_b32_e32 v28, 7, v28
	v_cmp_gt_u32_e64 s[0:1], 8, v26
	v_cndmask_b32_e64 v4, v27, v4, s[0:1]
	v_cndmask_b32_e64 v16, v16, v28, s[0:1]
	v_lshlrev_b32_e32 v26, 16, v2
	v_lshlrev_b32_e32 v16, 20, v16
	v_and_b32_e32 v26, 0x80000000, v26
	v_lshl_add_u32 v4, v4, 23, v21
	v_or3_b32 v16, v26, v4, v16
.LBB327_140:                            ;   in Loop: Header=BB327_92 Depth=1
	s_or_b64 exec, exec, s[22:23]
.LBB327_141:                            ;   in Loop: Header=BB327_92 Depth=1
	s_or_b64 exec, exec, s[20:21]
.LBB327_142:                            ;   in Loop: Header=BB327_92 Depth=1
	s_or_b64 exec, exec, s[18:19]
	v_mul_f32_e32 v4, s37, v16
	v_and_b32_e32 v16, 0x7f800000, v4
	v_cmp_ne_u32_e64 s[0:1], s26, v16
                                        ; implicit-def: $vgpr26
	s_and_saveexec_b64 s[18:19], s[0:1]
	s_xor_b64 s[0:1], exec, s[18:19]
; %bb.143:                              ;   in Loop: Header=BB327_92 Depth=1
	v_bfe_u32 v16, v4, 16, 1
	v_add3_u32 v26, v4, v16, s27
                                        ; implicit-def: $vgpr4
; %bb.144:                              ;   in Loop: Header=BB327_92 Depth=1
	s_andn2_saveexec_b64 s[18:19], s[0:1]
; %bb.145:                              ;   in Loop: Header=BB327_92 Depth=1
	v_or_b32_e32 v16, 0x10000, v4
	v_cmp_eq_u32_sdwa s[0:1], v4, v17 src0_sel:WORD_0 src1_sel:DWORD
	v_cndmask_b32_e64 v26, v16, v4, s[0:1]
; %bb.146:                              ;   in Loop: Header=BB327_92 Depth=1
	s_or_b64 exec, exec, s[18:19]
	v_lshrrev_b32_e32 v4, 16, v2
	v_cmp_ne_u16_sdwa s[0:1], v4, v17 src0_sel:BYTE_0 src1_sel:DWORD
	v_mov_b32_e32 v16, 0
	s_and_saveexec_b64 s[18:19], s[0:1]
	s_cbranch_execz .LBB327_152
; %bb.147:                              ;   in Loop: Header=BB327_92 Depth=1
	v_cmp_ne_u16_sdwa s[0:1], v4, s34 src0_sel:BYTE_0 src1_sel:DWORD
	v_bfrev_b32_e32 v16, 1
	s_and_saveexec_b64 s[20:21], s[0:1]
	s_cbranch_execz .LBB327_151
; %bb.148:                              ;   in Loop: Header=BB327_92 Depth=1
	v_bfe_u32 v27, v2, 16, 7
	v_cmp_ne_u32_e64 s[0:1], s36, v27
	v_mov_b32_e32 v16, 0x7f800001
	s_and_saveexec_b64 s[22:23], s[0:1]
	s_cbranch_execz .LBB327_150
; %bb.149:                              ;   in Loop: Header=BB327_92 Depth=1
	v_and_b32_e32 v16, 7, v4
	v_ffbh_u32_e32 v28, v16
	v_min_u32_e32 v31, 32, v28
	v_subrev_u32_e32 v28, 28, v31
	v_lshlrev_b64 v[28:29], v28, v[4:5]
	v_lshrrev_b32_e32 v30, 3, v27
	v_sub_u32_e32 v29, 29, v31
	v_and_b32_e32 v28, 7, v28
	v_cmp_gt_u32_e64 s[0:1], 8, v27
	v_cndmask_b32_e64 v27, v30, v29, s[0:1]
	v_cndmask_b32_e64 v16, v16, v28, s[0:1]
	v_lshlrev_b32_e32 v4, 24, v4
	v_lshlrev_b32_e32 v16, 20, v16
	v_and_b32_e32 v4, 0x80000000, v4
	v_lshl_add_u32 v27, v27, 23, v21
	v_or3_b32 v16, v4, v27, v16
.LBB327_150:                            ;   in Loop: Header=BB327_92 Depth=1
	s_or_b64 exec, exec, s[22:23]
.LBB327_151:                            ;   in Loop: Header=BB327_92 Depth=1
	s_or_b64 exec, exec, s[20:21]
.LBB327_152:                            ;   in Loop: Header=BB327_92 Depth=1
	s_or_b64 exec, exec, s[18:19]
	v_mul_f32_e32 v4, s37, v16
	v_and_b32_e32 v16, 0x7f800000, v4
	v_cmp_ne_u32_e64 s[0:1], s26, v16
                                        ; implicit-def: $vgpr27
	s_and_saveexec_b64 s[18:19], s[0:1]
	s_xor_b64 s[0:1], exec, s[18:19]
; %bb.153:                              ;   in Loop: Header=BB327_92 Depth=1
	v_bfe_u32 v16, v4, 16, 1
	v_add3_u32 v27, v4, v16, s27
                                        ; implicit-def: $vgpr4
; %bb.154:                              ;   in Loop: Header=BB327_92 Depth=1
	s_andn2_saveexec_b64 s[18:19], s[0:1]
; %bb.155:                              ;   in Loop: Header=BB327_92 Depth=1
	v_or_b32_e32 v16, 0x10000, v4
	v_cmp_eq_u32_sdwa s[0:1], v4, v17 src0_sel:WORD_0 src1_sel:DWORD
	v_cndmask_b32_e64 v27, v16, v4, s[0:1]
; %bb.156:                              ;   in Loop: Header=BB327_92 Depth=1
	s_or_b64 exec, exec, s[18:19]
	v_cmp_lt_u32_e64 s[0:1], s11, v2
	v_mov_b32_e32 v16, 0
	s_and_saveexec_b64 s[18:19], s[0:1]
	s_cbranch_execz .LBB327_162
; %bb.157:                              ;   in Loop: Header=BB327_92 Depth=1
	v_lshrrev_b32_e32 v4, 24, v2
	v_cmp_ne_u32_e64 s[0:1], s34, v4
	v_bfrev_b32_e32 v16, 1
	s_and_saveexec_b64 s[20:21], s[0:1]
	s_cbranch_execz .LBB327_161
; %bb.158:                              ;   in Loop: Header=BB327_92 Depth=1
	v_bfe_u32 v28, v2, 24, 7
	v_cmp_ne_u32_e64 s[0:1], s36, v28
	v_mov_b32_e32 v16, 0x7f800001
	s_and_saveexec_b64 s[22:23], s[0:1]
	s_cbranch_execz .LBB327_160
; %bb.159:                              ;   in Loop: Header=BB327_92 Depth=1
	v_and_b32_e32 v16, 7, v4
	v_ffbh_u32_e32 v30, v16
	v_min_u32_e32 v32, 32, v30
	v_subrev_u32_e32 v30, 28, v32
	v_lshlrev_b64 v[30:31], v30, v[4:5]
	v_lshrrev_b32_e32 v29, 3, v28
	v_sub_u32_e32 v31, 29, v32
	v_and_b32_e32 v30, 7, v30
	v_cmp_gt_u32_e64 s[0:1], 8, v28
	v_cndmask_b32_e64 v28, v29, v31, s[0:1]
	v_cndmask_b32_e64 v16, v16, v30, s[0:1]
	v_lshlrev_b32_e32 v4, 24, v4
	v_lshlrev_b32_e32 v16, 20, v16
	v_and_b32_e32 v4, 0x80000000, v4
	v_lshl_add_u32 v28, v28, 23, v21
	v_or3_b32 v16, v4, v28, v16
.LBB327_160:                            ;   in Loop: Header=BB327_92 Depth=1
	s_or_b64 exec, exec, s[22:23]
.LBB327_161:                            ;   in Loop: Header=BB327_92 Depth=1
	s_or_b64 exec, exec, s[20:21]
.LBB327_162:                            ;   in Loop: Header=BB327_92 Depth=1
	s_or_b64 exec, exec, s[18:19]
	v_mul_f32_e32 v4, s37, v16
	v_and_b32_e32 v16, 0x7f800000, v4
	v_cmp_ne_u32_e64 s[0:1], s26, v16
                                        ; implicit-def: $vgpr28
	s_and_saveexec_b64 s[18:19], s[0:1]
	s_xor_b64 s[0:1], exec, s[18:19]
; %bb.163:                              ;   in Loop: Header=BB327_92 Depth=1
	v_bfe_u32 v16, v4, 16, 1
	v_add3_u32 v28, v4, v16, s27
                                        ; implicit-def: $vgpr4
; %bb.164:                              ;   in Loop: Header=BB327_92 Depth=1
	s_andn2_saveexec_b64 s[18:19], s[0:1]
; %bb.165:                              ;   in Loop: Header=BB327_92 Depth=1
	v_or_b32_e32 v16, 0x10000, v4
	v_cmp_eq_u32_sdwa s[0:1], v4, v17 src0_sel:WORD_0 src1_sel:DWORD
	v_cndmask_b32_e64 v28, v16, v4, s[0:1]
; %bb.166:                              ;   in Loop: Header=BB327_92 Depth=1
	s_or_b64 exec, exec, s[18:19]
	v_mov_b32_e32 v16, v3
	v_cmp_ne_u16_sdwa s[0:1], v3, v17 src0_sel:BYTE_0 src1_sel:DWORD
	v_mov_b32_e32 v4, 0
	s_and_saveexec_b64 s[18:19], s[0:1]
	s_cbranch_execz .LBB327_172
; %bb.167:                              ;   in Loop: Header=BB327_92 Depth=1
	v_cmp_ne_u16_sdwa s[0:1], v3, s34 src0_sel:BYTE_0 src1_sel:DWORD
	v_bfrev_b32_e32 v4, 1
	s_and_saveexec_b64 s[20:21], s[0:1]
	s_cbranch_execz .LBB327_171
; %bb.168:                              ;   in Loop: Header=BB327_92 Depth=1
	v_and_b32_e32 v29, 0x7f, v3
	v_cmp_ne_u32_e64 s[0:1], s36, v29
	v_mov_b32_e32 v4, 0x7f800001
	s_and_saveexec_b64 s[22:23], s[0:1]
	s_cbranch_execz .LBB327_170
; %bb.169:                              ;   in Loop: Header=BB327_92 Depth=1
	v_and_b32_e32 v4, 7, v3
	v_ffbh_u32_e32 v4, v4
	v_min_u32_e32 v4, 32, v4
	v_subrev_u32_e32 v31, 28, v4
	v_cmp_gt_u32_e64 s[0:1], 8, v29
	v_lshrrev_b32_e32 v30, 3, v29
	v_sub_u32_e32 v4, 29, v4
	v_cndmask_b32_e64 v29, 0, v31, s[0:1]
	v_cndmask_b32_e64 v4, v30, v4, s[0:1]
	v_lshlrev_b64 v[30:31], v29, v[16:17]
	v_lshlrev_b32_e32 v29, 20, v30
	v_lshlrev_b32_e32 v30, 24, v16
	v_and_b32_e32 v29, 0x700000, v29
	v_and_b32_e32 v30, 0x80000000, v30
	v_lshl_add_u32 v4, v4, 23, v21
	v_or3_b32 v4, v30, v4, v29
.LBB327_170:                            ;   in Loop: Header=BB327_92 Depth=1
	s_or_b64 exec, exec, s[22:23]
.LBB327_171:                            ;   in Loop: Header=BB327_92 Depth=1
	s_or_b64 exec, exec, s[20:21]
.LBB327_172:                            ;   in Loop: Header=BB327_92 Depth=1
	s_or_b64 exec, exec, s[18:19]
	v_mul_f32_e32 v4, s37, v4
	v_and_b32_e32 v29, 0x7f800000, v4
	v_cmp_ne_u32_e64 s[0:1], s26, v29
                                        ; implicit-def: $vgpr29
	s_and_saveexec_b64 s[18:19], s[0:1]
	s_xor_b64 s[0:1], exec, s[18:19]
; %bb.173:                              ;   in Loop: Header=BB327_92 Depth=1
	v_bfe_u32 v29, v4, 16, 1
	v_add3_u32 v29, v4, v29, s27
                                        ; implicit-def: $vgpr4
; %bb.174:                              ;   in Loop: Header=BB327_92 Depth=1
	s_andn2_saveexec_b64 s[18:19], s[0:1]
; %bb.175:                              ;   in Loop: Header=BB327_92 Depth=1
	v_or_b32_e32 v29, 0x10000, v4
	v_cmp_eq_u32_sdwa s[0:1], v4, v17 src0_sel:WORD_0 src1_sel:DWORD
	v_cndmask_b32_e64 v29, v29, v4, s[0:1]
; %bb.176:                              ;   in Loop: Header=BB327_92 Depth=1
	s_or_b64 exec, exec, s[18:19]
	v_lshrrev_b16_e32 v4, 8, v16
	v_cmp_ne_u16_e64 s[0:1], 0, v4
	v_mov_b32_e32 v30, 0
	s_and_saveexec_b64 s[18:19], s[0:1]
	s_cbranch_execz .LBB327_182
; %bb.177:                              ;   in Loop: Header=BB327_92 Depth=1
	v_cmp_ne_u16_e64 s[0:1], s34, v4
	v_bfrev_b32_e32 v30, 1
	s_and_saveexec_b64 s[20:21], s[0:1]
	s_cbranch_execz .LBB327_181
; %bb.178:                              ;   in Loop: Header=BB327_92 Depth=1
	v_and_b32_e32 v31, 0x7f, v4
	v_cmp_ne_u32_e64 s[0:1], s36, v31
	v_mov_b32_e32 v30, 0x7f800001
	s_and_saveexec_b64 s[22:23], s[0:1]
	s_cbranch_execz .LBB327_180
; %bb.179:                              ;   in Loop: Header=BB327_92 Depth=1
	v_and_b32_e32 v30, 7, v4
	v_ffbh_u32_e32 v32, v30
	v_min_u32_e32 v35, 32, v32
	v_subrev_u32_e32 v32, 28, v35
	v_lshlrev_b64 v[32:33], v32, v[4:5]
	v_lshrrev_b32_e32 v34, 3, v31
	v_sub_u32_e32 v4, 29, v35
	v_and_b32_e32 v32, 7, v32
	v_cmp_gt_u32_e64 s[0:1], 8, v31
	v_cndmask_b32_e64 v4, v34, v4, s[0:1]
	v_cndmask_b32_e64 v30, v30, v32, s[0:1]
	v_lshlrev_b32_e32 v16, 16, v16
	v_lshlrev_b32_e32 v30, 20, v30
	v_and_b32_e32 v16, 0x80000000, v16
	v_lshl_add_u32 v4, v4, 23, v21
	v_or3_b32 v30, v16, v4, v30
.LBB327_180:                            ;   in Loop: Header=BB327_92 Depth=1
	s_or_b64 exec, exec, s[22:23]
.LBB327_181:                            ;   in Loop: Header=BB327_92 Depth=1
	s_or_b64 exec, exec, s[20:21]
.LBB327_182:                            ;   in Loop: Header=BB327_92 Depth=1
	s_or_b64 exec, exec, s[18:19]
	v_mul_f32_e32 v4, s37, v30
	v_and_b32_e32 v16, 0x7f800000, v4
	v_cmp_ne_u32_e64 s[0:1], s26, v16
                                        ; implicit-def: $vgpr16
	s_and_saveexec_b64 s[18:19], s[0:1]
	s_xor_b64 s[0:1], exec, s[18:19]
; %bb.183:                              ;   in Loop: Header=BB327_92 Depth=1
	v_bfe_u32 v16, v4, 16, 1
	v_add3_u32 v16, v4, v16, s27
                                        ; implicit-def: $vgpr4
; %bb.184:                              ;   in Loop: Header=BB327_92 Depth=1
	s_andn2_saveexec_b64 s[18:19], s[0:1]
; %bb.185:                              ;   in Loop: Header=BB327_92 Depth=1
	v_or_b32_e32 v16, 0x10000, v4
	v_cmp_eq_u32_sdwa s[0:1], v4, v17 src0_sel:WORD_0 src1_sel:DWORD
	v_cndmask_b32_e64 v16, v16, v4, s[0:1]
; %bb.186:                              ;   in Loop: Header=BB327_92 Depth=1
	s_or_b64 exec, exec, s[18:19]
	v_lshrrev_b32_e32 v4, 16, v3
	v_cmp_ne_u16_sdwa s[0:1], v4, v17 src0_sel:BYTE_0 src1_sel:DWORD
	v_mov_b32_e32 v30, 0
	s_and_saveexec_b64 s[18:19], s[0:1]
	s_cbranch_execz .LBB327_192
; %bb.187:                              ;   in Loop: Header=BB327_92 Depth=1
	v_cmp_ne_u16_sdwa s[0:1], v4, s34 src0_sel:BYTE_0 src1_sel:DWORD
	v_bfrev_b32_e32 v30, 1
	s_and_saveexec_b64 s[20:21], s[0:1]
	s_cbranch_execz .LBB327_191
; %bb.188:                              ;   in Loop: Header=BB327_92 Depth=1
	v_bfe_u32 v31, v3, 16, 7
	v_cmp_ne_u32_e64 s[0:1], s36, v31
	v_mov_b32_e32 v30, 0x7f800001
	s_and_saveexec_b64 s[22:23], s[0:1]
	s_cbranch_execz .LBB327_190
; %bb.189:                              ;   in Loop: Header=BB327_92 Depth=1
	v_and_b32_e32 v30, 7, v4
	v_ffbh_u32_e32 v32, v30
	v_min_u32_e32 v35, 32, v32
	v_subrev_u32_e32 v32, 28, v35
	v_lshlrev_b64 v[32:33], v32, v[4:5]
	v_lshrrev_b32_e32 v34, 3, v31
	v_sub_u32_e32 v33, 29, v35
	v_and_b32_e32 v32, 7, v32
	v_cmp_gt_u32_e64 s[0:1], 8, v31
	v_cndmask_b32_e64 v31, v34, v33, s[0:1]
	v_cndmask_b32_e64 v30, v30, v32, s[0:1]
	v_lshlrev_b32_e32 v4, 24, v4
	v_lshlrev_b32_e32 v30, 20, v30
	v_and_b32_e32 v4, 0x80000000, v4
	v_lshl_add_u32 v31, v31, 23, v21
	v_or3_b32 v30, v4, v31, v30
.LBB327_190:                            ;   in Loop: Header=BB327_92 Depth=1
	s_or_b64 exec, exec, s[22:23]
.LBB327_191:                            ;   in Loop: Header=BB327_92 Depth=1
	s_or_b64 exec, exec, s[20:21]
.LBB327_192:                            ;   in Loop: Header=BB327_92 Depth=1
	s_or_b64 exec, exec, s[18:19]
	v_mul_f32_e32 v30, s37, v30
	v_and_b32_e32 v4, 0x7f800000, v30
	v_cmp_ne_u32_e64 s[0:1], s26, v4
                                        ; implicit-def: $vgpr4
	s_and_saveexec_b64 s[18:19], s[0:1]
	s_xor_b64 s[0:1], exec, s[18:19]
; %bb.193:                              ;   in Loop: Header=BB327_92 Depth=1
	v_bfe_u32 v4, v30, 16, 1
	v_add3_u32 v4, v30, v4, s27
                                        ; implicit-def: $vgpr30
; %bb.194:                              ;   in Loop: Header=BB327_92 Depth=1
	s_andn2_saveexec_b64 s[18:19], s[0:1]
; %bb.195:                              ;   in Loop: Header=BB327_92 Depth=1
	v_or_b32_e32 v4, 0x10000, v30
	v_cmp_eq_u32_sdwa s[0:1], v30, v17 src0_sel:WORD_0 src1_sel:DWORD
	v_cndmask_b32_e64 v4, v4, v30, s[0:1]
; %bb.196:                              ;   in Loop: Header=BB327_92 Depth=1
	s_or_b64 exec, exec, s[18:19]
	v_cmp_lt_u64_e64 s[0:1], s[10:11], v[2:3]
	v_mov_b32_e32 v30, 0
	s_and_saveexec_b64 s[18:19], s[0:1]
	s_cbranch_execz .LBB327_202
; %bb.197:                              ;   in Loop: Header=BB327_92 Depth=1
	v_lshrrev_b32_e32 v2, 24, v3
	v_cmp_ne_u32_e64 s[0:1], s34, v2
	v_bfrev_b32_e32 v30, 1
	s_and_saveexec_b64 s[20:21], s[0:1]
	s_cbranch_execz .LBB327_201
; %bb.198:                              ;   in Loop: Header=BB327_92 Depth=1
	v_bfe_u32 v3, v3, 24, 7
	v_cmp_ne_u32_e64 s[0:1], s36, v3
	v_mov_b32_e32 v30, 0x7f800001
	s_and_saveexec_b64 s[22:23], s[0:1]
	s_cbranch_execz .LBB327_200
; %bb.199:                              ;   in Loop: Header=BB327_92 Depth=1
	v_and_b32_e32 v32, 7, v2
	v_ffbh_u32_e32 v30, v32
	v_min_u32_e32 v34, 32, v30
	v_subrev_u32_e32 v30, 28, v34
	v_lshlrev_b64 v[30:31], v30, v[2:3]
	v_lshrrev_b32_e32 v33, 3, v3
	v_sub_u32_e32 v31, 29, v34
	v_and_b32_e32 v30, 7, v30
	v_cmp_gt_u32_e64 s[0:1], 8, v3
	v_cndmask_b32_e64 v3, v33, v31, s[0:1]
	v_cndmask_b32_e64 v30, v32, v30, s[0:1]
	v_lshlrev_b32_e32 v2, 24, v2
	v_lshlrev_b32_e32 v30, 20, v30
	v_and_b32_e32 v2, 0x80000000, v2
	v_lshl_add_u32 v3, v3, 23, v21
	v_or3_b32 v30, v2, v3, v30
.LBB327_200:                            ;   in Loop: Header=BB327_92 Depth=1
	s_or_b64 exec, exec, s[22:23]
.LBB327_201:                            ;   in Loop: Header=BB327_92 Depth=1
	s_or_b64 exec, exec, s[20:21]
.LBB327_202:                            ;   in Loop: Header=BB327_92 Depth=1
	s_or_b64 exec, exec, s[18:19]
	v_mul_f32_e32 v3, s37, v30
	v_and_b32_e32 v2, 0x7f800000, v3
	v_cmp_ne_u32_e64 s[0:1], s26, v2
                                        ; implicit-def: $vgpr2
	s_and_saveexec_b64 s[18:19], s[0:1]
	s_xor_b64 s[0:1], exec, s[18:19]
; %bb.203:                              ;   in Loop: Header=BB327_92 Depth=1
	v_bfe_u32 v2, v3, 16, 1
	v_add3_u32 v2, v3, v2, s27
                                        ; implicit-def: $vgpr3
; %bb.204:                              ;   in Loop: Header=BB327_92 Depth=1
	s_andn2_saveexec_b64 s[18:19], s[0:1]
; %bb.205:                              ;   in Loop: Header=BB327_92 Depth=1
	v_or_b32_e32 v2, 0x10000, v3
	v_cmp_eq_u32_sdwa s[0:1], v3, v17 src0_sel:WORD_0 src1_sel:DWORD
	v_cndmask_b32_e64 v2, v2, v3, s[0:1]
; %bb.206:                              ;   in Loop: Header=BB327_92 Depth=1
	s_or_b64 exec, exec, s[18:19]
	v_lshrrev_b32_e32 v16, 16, v16
	v_lshrrev_b32_e32 v29, 16, v29
	;; [unrolled: 1-line block ×8, first 2 shown]
	v_cmp_eq_u32_e64 s[0:1], s25, v10
	s_and_saveexec_b64 s[18:19], s[0:1]
	s_cbranch_execz .LBB327_208
; %bb.207:                              ;   in Loop: Header=BB327_92 Depth=1
	v_cmp_gt_i32_e64 s[0:1], s33, v1
	v_add_u32_e32 v5, 1, v1
	v_cndmask_b32_e64 v3, 0, v3, s[0:1]
	v_cmp_gt_i32_e64 s[0:1], s33, v5
	v_add_u32_e32 v5, 2, v1
	v_cndmask_b32_e64 v26, 0, v26, s[0:1]
	v_cmp_gt_i32_e64 s[0:1], s33, v5
	v_add_u32_e32 v5, 3, v1
	v_cndmask_b32_e64 v27, 0, v27, s[0:1]
	v_cmp_gt_i32_e64 s[0:1], s33, v5
	v_add_u32_e32 v5, 4, v1
	v_cndmask_b32_e64 v28, 0, v28, s[0:1]
	v_cmp_gt_i32_e64 s[0:1], s33, v5
	v_add_u32_e32 v5, 5, v1
	v_cndmask_b32_e64 v29, 0, v29, s[0:1]
	v_cmp_gt_i32_e64 s[0:1], s33, v5
	v_add_u32_e32 v5, 6, v1
	v_cndmask_b32_e64 v16, 0, v16, s[0:1]
	v_cmp_gt_i32_e64 s[0:1], s33, v5
	v_add_u32_e32 v5, 7, v1
	v_cndmask_b32_e64 v4, 0, v4, s[0:1]
	v_cmp_gt_i32_e64 s[0:1], s33, v5
	v_cndmask_b32_e64 v2, 0, v2, s[0:1]
.LBB327_208:                            ;   in Loop: Header=BB327_92 Depth=1
	s_or_b64 exec, exec, s[18:19]
	v_and_b32_e32 v5, 0xffff0000, v25
	v_lshlrev_b32_e32 v3, 16, v3
	v_mul_f32_e32 v5, v5, v3
	v_and_b32_e32 v3, 0x7f800000, v5
	v_cmp_ne_u32_e64 s[0:1], s26, v3
                                        ; implicit-def: $vgpr3
	s_and_saveexec_b64 s[18:19], s[0:1]
	s_xor_b64 s[0:1], exec, s[18:19]
; %bb.209:                              ;   in Loop: Header=BB327_92 Depth=1
	v_bfe_u32 v3, v5, 16, 1
	v_add3_u32 v3, v5, v3, s27
                                        ; implicit-def: $vgpr5
; %bb.210:                              ;   in Loop: Header=BB327_92 Depth=1
	s_andn2_saveexec_b64 s[18:19], s[0:1]
; %bb.211:                              ;   in Loop: Header=BB327_92 Depth=1
	v_or_b32_e32 v3, 0x10000, v5
	v_cmp_eq_u32_sdwa s[0:1], v5, v17 src0_sel:WORD_0 src1_sel:DWORD
	v_cndmask_b32_e64 v3, v3, v5, s[0:1]
; %bb.212:                              ;   in Loop: Header=BB327_92 Depth=1
	s_or_b64 exec, exec, s[18:19]
	v_and_b32_e32 v5, 0xffff0000, v24
	v_lshlrev_b32_e32 v24, 16, v26
	v_mul_f32_e32 v24, v5, v24
	v_and_b32_e32 v5, 0x7f800000, v24
	v_cmp_ne_u32_e64 s[0:1], s26, v5
                                        ; implicit-def: $vgpr5
	s_and_saveexec_b64 s[18:19], s[0:1]
	s_xor_b64 s[0:1], exec, s[18:19]
; %bb.213:                              ;   in Loop: Header=BB327_92 Depth=1
	v_bfe_u32 v5, v24, 16, 1
	v_add3_u32 v5, v24, v5, s27
                                        ; implicit-def: $vgpr24
; %bb.214:                              ;   in Loop: Header=BB327_92 Depth=1
	s_andn2_saveexec_b64 s[18:19], s[0:1]
; %bb.215:                              ;   in Loop: Header=BB327_92 Depth=1
	v_or_b32_e32 v5, 0x10000, v24
	v_cmp_eq_u32_sdwa s[0:1], v24, v17 src0_sel:WORD_0 src1_sel:DWORD
	v_cndmask_b32_e64 v5, v5, v24, s[0:1]
; %bb.216:                              ;   in Loop: Header=BB327_92 Depth=1
	s_or_b64 exec, exec, s[18:19]
	v_and_b32_e32 v23, 0xffff0000, v23
	v_lshlrev_b32_e32 v24, 16, v27
	v_mul_f32_e32 v24, v23, v24
	v_and_b32_e32 v23, 0x7f800000, v24
	v_cmp_ne_u32_e64 s[0:1], s26, v23
                                        ; implicit-def: $vgpr23
	s_and_saveexec_b64 s[18:19], s[0:1]
	s_xor_b64 s[0:1], exec, s[18:19]
; %bb.217:                              ;   in Loop: Header=BB327_92 Depth=1
	v_bfe_u32 v23, v24, 16, 1
	v_add3_u32 v23, v24, v23, s27
                                        ; implicit-def: $vgpr24
; %bb.218:                              ;   in Loop: Header=BB327_92 Depth=1
	s_andn2_saveexec_b64 s[18:19], s[0:1]
; %bb.219:                              ;   in Loop: Header=BB327_92 Depth=1
	v_or_b32_e32 v23, 0x10000, v24
	v_cmp_eq_u32_sdwa s[0:1], v24, v17 src0_sel:WORD_0 src1_sel:DWORD
	v_cndmask_b32_e64 v23, v23, v24, s[0:1]
; %bb.220:                              ;   in Loop: Header=BB327_92 Depth=1
	s_or_b64 exec, exec, s[18:19]
	v_and_b32_e32 v22, 0xffff0000, v22
	v_lshlrev_b32_e32 v24, 16, v28
	v_mul_f32_e32 v24, v22, v24
	v_and_b32_e32 v22, 0x7f800000, v24
	v_cmp_ne_u32_e64 s[0:1], s26, v22
                                        ; implicit-def: $vgpr22
	s_and_saveexec_b64 s[18:19], s[0:1]
	s_xor_b64 s[0:1], exec, s[18:19]
; %bb.221:                              ;   in Loop: Header=BB327_92 Depth=1
	v_bfe_u32 v22, v24, 16, 1
	v_add3_u32 v22, v24, v22, s27
                                        ; implicit-def: $vgpr24
; %bb.222:                              ;   in Loop: Header=BB327_92 Depth=1
	s_andn2_saveexec_b64 s[18:19], s[0:1]
; %bb.223:                              ;   in Loop: Header=BB327_92 Depth=1
	v_or_b32_e32 v22, 0x10000, v24
	v_cmp_eq_u32_sdwa s[0:1], v24, v17 src0_sel:WORD_0 src1_sel:DWORD
	v_cndmask_b32_e64 v22, v22, v24, s[0:1]
; %bb.224:                              ;   in Loop: Header=BB327_92 Depth=1
	s_or_b64 exec, exec, s[18:19]
	v_and_b32_e32 v9, 0xffff0000, v9
	v_lshlrev_b32_e32 v24, 16, v29
	v_mul_f32_e32 v24, v9, v24
	v_and_b32_e32 v9, 0x7f800000, v24
	v_cmp_ne_u32_e64 s[0:1], s26, v9
                                        ; implicit-def: $vgpr9
	s_and_saveexec_b64 s[18:19], s[0:1]
	s_xor_b64 s[0:1], exec, s[18:19]
; %bb.225:                              ;   in Loop: Header=BB327_92 Depth=1
	v_bfe_u32 v9, v24, 16, 1
	v_add3_u32 v9, v24, v9, s27
                                        ; implicit-def: $vgpr24
; %bb.226:                              ;   in Loop: Header=BB327_92 Depth=1
	s_andn2_saveexec_b64 s[18:19], s[0:1]
; %bb.227:                              ;   in Loop: Header=BB327_92 Depth=1
	v_or_b32_e32 v9, 0x10000, v24
	v_cmp_eq_u32_sdwa s[0:1], v24, v17 src0_sel:WORD_0 src1_sel:DWORD
	v_cndmask_b32_e64 v9, v9, v24, s[0:1]
; %bb.228:                              ;   in Loop: Header=BB327_92 Depth=1
	s_or_b64 exec, exec, s[18:19]
	v_and_b32_e32 v8, 0xffff0000, v8
	v_lshlrev_b32_e32 v16, 16, v16
	v_mul_f32_e32 v16, v8, v16
	v_and_b32_e32 v8, 0x7f800000, v16
	v_cmp_ne_u32_e64 s[0:1], s26, v8
                                        ; implicit-def: $vgpr8
	s_and_saveexec_b64 s[18:19], s[0:1]
	s_xor_b64 s[0:1], exec, s[18:19]
; %bb.229:                              ;   in Loop: Header=BB327_92 Depth=1
	v_bfe_u32 v8, v16, 16, 1
	v_add3_u32 v8, v16, v8, s27
                                        ; implicit-def: $vgpr16
; %bb.230:                              ;   in Loop: Header=BB327_92 Depth=1
	s_andn2_saveexec_b64 s[18:19], s[0:1]
; %bb.231:                              ;   in Loop: Header=BB327_92 Depth=1
	v_or_b32_e32 v8, 0x10000, v16
	v_cmp_eq_u32_sdwa s[0:1], v16, v17 src0_sel:WORD_0 src1_sel:DWORD
	v_cndmask_b32_e64 v8, v8, v16, s[0:1]
; %bb.232:                              ;   in Loop: Header=BB327_92 Depth=1
	s_or_b64 exec, exec, s[18:19]
	v_and_b32_e32 v7, 0xffff0000, v7
	v_lshlrev_b32_e32 v4, 16, v4
	v_mul_f32_e32 v7, v7, v4
	v_and_b32_e32 v4, 0x7f800000, v7
	v_cmp_ne_u32_e64 s[0:1], s26, v4
                                        ; implicit-def: $vgpr4
	s_and_saveexec_b64 s[18:19], s[0:1]
	s_xor_b64 s[0:1], exec, s[18:19]
; %bb.233:                              ;   in Loop: Header=BB327_92 Depth=1
	v_bfe_u32 v4, v7, 16, 1
	v_add3_u32 v4, v7, v4, s27
                                        ; implicit-def: $vgpr7
; %bb.234:                              ;   in Loop: Header=BB327_92 Depth=1
	s_andn2_saveexec_b64 s[18:19], s[0:1]
; %bb.235:                              ;   in Loop: Header=BB327_92 Depth=1
	v_or_b32_e32 v4, 0x10000, v7
	v_cmp_eq_u32_sdwa s[0:1], v7, v17 src0_sel:WORD_0 src1_sel:DWORD
	v_cndmask_b32_e64 v4, v4, v7, s[0:1]
; %bb.236:                              ;   in Loop: Header=BB327_92 Depth=1
	s_or_b64 exec, exec, s[18:19]
	v_and_b32_e32 v6, 0xffff0000, v6
	v_lshlrev_b32_e32 v2, 16, v2
	v_mul_f32_e32 v2, v6, v2
	v_and_b32_e32 v6, 0x7f800000, v2
	v_cmp_ne_u32_e64 s[0:1], s26, v6
                                        ; implicit-def: $vgpr6
	s_and_saveexec_b64 s[18:19], s[0:1]
	s_xor_b64 s[0:1], exec, s[18:19]
; %bb.237:                              ;   in Loop: Header=BB327_92 Depth=1
	v_bfe_u32 v6, v2, 16, 1
	v_add3_u32 v6, v2, v6, s27
                                        ; implicit-def: $vgpr2
; %bb.238:                              ;   in Loop: Header=BB327_92 Depth=1
	s_andn2_saveexec_b64 s[18:19], s[0:1]
	s_cbranch_execz .LBB327_89
; %bb.239:                              ;   in Loop: Header=BB327_92 Depth=1
	v_or_b32_e32 v6, 0x10000, v2
	v_cmp_eq_u32_sdwa s[0:1], v2, v17 src0_sel:WORD_0 src1_sel:DWORD
	v_cndmask_b32_e64 v6, v6, v2, s[0:1]
	s_branch .LBB327_89
.LBB327_240:
	s_or_b64 exec, exec, s[12:13]
.LBB327_241:
	s_or_b64 exec, exec, s[6:7]
	v_and_b32_e32 v1, 0x3c0, v0
	v_cmp_eq_u32_e64 s[0:1], 64, v1
	v_cmp_gt_u32_e32 vcc, 32, v18
	s_and_b64 s[2:3], s[0:1], vcc
	s_barrier
	s_and_saveexec_b64 s[0:1], s[2:3]
	s_cbranch_execz .LBB327_243
; %bb.242:
	v_mov_b32_e32 v1, 0x50
	v_lshl_add_u32 v1, v18, 2, v1
	ds_write_b32 v1, v19
.LBB327_243:
	s_or_b64 exec, exec, s[0:1]
	v_cmp_gt_u32_e64 s[0:1], 64, v0
	s_and_b64 s[0:1], s[0:1], vcc
	s_waitcnt lgkmcnt(0)
	s_barrier
	s_and_saveexec_b64 s[2:3], s[0:1]
	s_cbranch_execz .LBB327_245
; %bb.244:
	v_mov_b32_e32 v0, 0x50
	v_lshl_add_u32 v0, v18, 2, v0
	ds_read_b32 v0, v0
	s_waitcnt lgkmcnt(0)
	v_add_f32_e32 v19, v19, v0
.LBB327_245:
	s_or_b64 exec, exec, s[2:3]
	s_barrier
	s_and_saveexec_b64 s[2:3], s[0:1]
	s_cbranch_execz .LBB327_251
; %bb.246:
	s_mov_b32 s0, 0x7f800000
	v_and_b32_e32 v0, 0x7f800000, v19
	v_cmp_ne_u32_e32 vcc, s0, v0
                                        ; implicit-def: $vgpr0
	s_and_saveexec_b64 s[0:1], vcc
	s_xor_b64 s[0:1], exec, s[0:1]
; %bb.247:
	v_bfe_u32 v0, v19, 16, 1
	s_movk_i32 s2, 0x7fff
	v_add3_u32 v0, v19, v0, s2
                                        ; implicit-def: $vgpr19
; %bb.248:
	s_andn2_saveexec_b64 s[0:1], s[0:1]
; %bb.249:
	v_mov_b32_e32 v0, 0
	v_or_b32_e32 v1, 0x10000, v19
	v_cmp_eq_u32_sdwa vcc, v19, v0 src0_sel:WORD_0 src1_sel:DWORD
	v_cndmask_b32_e32 v0, v1, v19, vcc
; %bb.250:
	s_or_b64 exec, exec, s[0:1]
	s_lshl_b32 s0, s4, 5
	s_ashr_i32 s1, s0, 31
	s_lshl_b64 s[0:1], s[0:1], 1
	s_add_u32 s2, s30, s0
	s_mul_i32 s0, s29, s28
	s_addc_u32 s3, s31, s1
	s_ashr_i32 s1, s0, 31
	s_lshl_b64 s[0:1], s[0:1], 1
	s_add_u32 s2, s2, s0
	s_addc_u32 s3, s3, s1
	s_lshl_b32 s0, s8, 5
	s_ashr_i32 s1, s0, 31
	s_lshl_b64 s[0:1], s[0:1], 1
	s_add_u32 s0, s2, s0
	s_addc_u32 s1, s3, s1
	v_lshlrev_b32_e32 v1, 1, v18
	global_store_short_d16_hi v1, v0, s[0:1]
.LBB327_251:
	s_endpgm
	.section	.rodata,"a",@progbits
	.p2align	6, 0x0
	.amdhsa_kernel _ZN4vllm25paged_attention_v2_kernelI14__hip_bfloat16hLi32ELi8ELi128ELNS_18Fp8KVCacheDataTypeE1ELb1ELi512EEEvPfS3_PT_PKS4_PKT0_SA_ifPKiSC_iPKfiiiSE_SE_iiiii
		.amdhsa_group_segment_fixed_size 80
		.amdhsa_private_segment_fixed_size 0
		.amdhsa_kernarg_size 400
		.amdhsa_user_sgpr_count 6
		.amdhsa_user_sgpr_private_segment_buffer 1
		.amdhsa_user_sgpr_dispatch_ptr 0
		.amdhsa_user_sgpr_queue_ptr 0
		.amdhsa_user_sgpr_kernarg_segment_ptr 1
		.amdhsa_user_sgpr_dispatch_id 0
		.amdhsa_user_sgpr_flat_scratch_init 0
		.amdhsa_user_sgpr_kernarg_preload_length 0
		.amdhsa_user_sgpr_kernarg_preload_offset 0
		.amdhsa_user_sgpr_private_segment_size 0
		.amdhsa_uses_dynamic_stack 0
		.amdhsa_system_sgpr_private_segment_wavefront_offset 0
		.amdhsa_system_sgpr_workgroup_id_x 1
		.amdhsa_system_sgpr_workgroup_id_y 1
		.amdhsa_system_sgpr_workgroup_id_z 1
		.amdhsa_system_sgpr_workgroup_info 0
		.amdhsa_system_vgpr_workitem_id 0
		.amdhsa_next_free_vgpr 37
		.amdhsa_next_free_sgpr 65
		.amdhsa_accum_offset 40
		.amdhsa_reserve_vcc 1
		.amdhsa_reserve_flat_scratch 0
		.amdhsa_float_round_mode_32 0
		.amdhsa_float_round_mode_16_64 0
		.amdhsa_float_denorm_mode_32 3
		.amdhsa_float_denorm_mode_16_64 3
		.amdhsa_dx10_clamp 1
		.amdhsa_ieee_mode 1
		.amdhsa_fp16_overflow 0
		.amdhsa_tg_split 0
		.amdhsa_exception_fp_ieee_invalid_op 0
		.amdhsa_exception_fp_denorm_src 0
		.amdhsa_exception_fp_ieee_div_zero 0
		.amdhsa_exception_fp_ieee_overflow 0
		.amdhsa_exception_fp_ieee_underflow 0
		.amdhsa_exception_fp_ieee_inexact 0
		.amdhsa_exception_int_div_zero 0
	.end_amdhsa_kernel
	.section	.text._ZN4vllm25paged_attention_v2_kernelI14__hip_bfloat16hLi32ELi8ELi128ELNS_18Fp8KVCacheDataTypeE1ELb1ELi512EEEvPfS3_PT_PKS4_PKT0_SA_ifPKiSC_iPKfiiiSE_SE_iiiii,"axG",@progbits,_ZN4vllm25paged_attention_v2_kernelI14__hip_bfloat16hLi32ELi8ELi128ELNS_18Fp8KVCacheDataTypeE1ELb1ELi512EEEvPfS3_PT_PKS4_PKT0_SA_ifPKiSC_iPKfiiiSE_SE_iiiii,comdat
.Lfunc_end327:
	.size	_ZN4vllm25paged_attention_v2_kernelI14__hip_bfloat16hLi32ELi8ELi128ELNS_18Fp8KVCacheDataTypeE1ELb1ELi512EEEvPfS3_PT_PKS4_PKT0_SA_ifPKiSC_iPKfiiiSE_SE_iiiii, .Lfunc_end327-_ZN4vllm25paged_attention_v2_kernelI14__hip_bfloat16hLi32ELi8ELi128ELNS_18Fp8KVCacheDataTypeE1ELb1ELi512EEEvPfS3_PT_PKS4_PKT0_SA_ifPKiSC_iPKfiiiSE_SE_iiiii
                                        ; -- End function
	.section	.AMDGPU.csdata,"",@progbits
; Kernel info:
; codeLenInByte = 8824
; NumSgprs: 69
; NumVgprs: 37
; NumAgprs: 0
; TotalNumVgprs: 37
; ScratchSize: 0
; MemoryBound: 0
; FloatMode: 240
; IeeeMode: 1
; LDSByteSize: 80 bytes/workgroup (compile time only)
; SGPRBlocks: 8
; VGPRBlocks: 4
; NumSGPRsForWavesPerEU: 69
; NumVGPRsForWavesPerEU: 37
; AccumOffset: 40
; Occupancy: 8
; WaveLimiterHint : 1
; COMPUTE_PGM_RSRC2:SCRATCH_EN: 0
; COMPUTE_PGM_RSRC2:USER_SGPR: 6
; COMPUTE_PGM_RSRC2:TRAP_HANDLER: 0
; COMPUTE_PGM_RSRC2:TGID_X_EN: 1
; COMPUTE_PGM_RSRC2:TGID_Y_EN: 1
; COMPUTE_PGM_RSRC2:TGID_Z_EN: 1
; COMPUTE_PGM_RSRC2:TIDIG_COMP_CNT: 0
; COMPUTE_PGM_RSRC3_GFX90A:ACCUM_OFFSET: 9
; COMPUTE_PGM_RSRC3_GFX90A:TG_SPLIT: 0
	.section	.text._ZN4vllm25paged_attention_v2_kernelI14__hip_bfloat16hLi64ELi8ELi128ELNS_18Fp8KVCacheDataTypeE1ELb1ELi512EEEvPfS3_PT_PKS4_PKT0_SA_ifPKiSC_iPKfiiiSE_SE_iiiii,"axG",@progbits,_ZN4vllm25paged_attention_v2_kernelI14__hip_bfloat16hLi64ELi8ELi128ELNS_18Fp8KVCacheDataTypeE1ELb1ELi512EEEvPfS3_PT_PKS4_PKT0_SA_ifPKiSC_iPKfiiiSE_SE_iiiii,comdat
	.protected	_ZN4vllm25paged_attention_v2_kernelI14__hip_bfloat16hLi64ELi8ELi128ELNS_18Fp8KVCacheDataTypeE1ELb1ELi512EEEvPfS3_PT_PKS4_PKT0_SA_ifPKiSC_iPKfiiiSE_SE_iiiii ; -- Begin function _ZN4vllm25paged_attention_v2_kernelI14__hip_bfloat16hLi64ELi8ELi128ELNS_18Fp8KVCacheDataTypeE1ELb1ELi512EEEvPfS3_PT_PKS4_PKT0_SA_ifPKiSC_iPKfiiiSE_SE_iiiii
	.globl	_ZN4vllm25paged_attention_v2_kernelI14__hip_bfloat16hLi64ELi8ELi128ELNS_18Fp8KVCacheDataTypeE1ELb1ELi512EEEvPfS3_PT_PKS4_PKT0_SA_ifPKiSC_iPKfiiiSE_SE_iiiii
	.p2align	8
	.type	_ZN4vllm25paged_attention_v2_kernelI14__hip_bfloat16hLi64ELi8ELi128ELNS_18Fp8KVCacheDataTypeE1ELb1ELi512EEEvPfS3_PT_PKS4_PKT0_SA_ifPKiSC_iPKfiiiSE_SE_iiiii,@function
_ZN4vllm25paged_attention_v2_kernelI14__hip_bfloat16hLi64ELi8ELi128ELNS_18Fp8KVCacheDataTypeE1ELb1ELi512EEEvPfS3_PT_PKS4_PKT0_SA_ifPKiSC_iPKfiiiSE_SE_iiiii: ; @_ZN4vllm25paged_attention_v2_kernelI14__hip_bfloat16hLi64ELi8ELi128ELNS_18Fp8KVCacheDataTypeE1ELb1ELi512EEEvPfS3_PT_PKS4_PKT0_SA_ifPKiSC_iPKfiiiSE_SE_iiiii
; %bb.0:
	s_load_dwordx2 s[0:1], s[4:5], 0x40
	s_mov_b32 s36, s7
	s_ashr_i32 s37, s7, 31
	s_lshl_b64 s[2:3], s[36:37], 2
	s_waitcnt lgkmcnt(0)
	s_add_u32 s0, s0, s2
	s_addc_u32 s1, s1, s3
	s_load_dword s33, s[0:1], 0x0
	s_lshl_b32 s58, s8, 9
	s_waitcnt lgkmcnt(0)
	s_cmp_ge_i32 s58, s33
	s_cbranch_scc1 .LBB328_289
; %bb.1:
	s_load_dword s9, s[4:5], 0x90
	s_load_dwordx2 s[44:45], s[4:5], 0x30
	s_waitcnt lgkmcnt(0)
	s_abs_i32 s2, s9
	s_abs_i32 s0, s44
	v_cvt_f32_u32_e32 v1, s0
	s_sub_i32 s3, 0, s0
	s_xor_b32 s1, s9, s44
	s_ashr_i32 s1, s1, 31
	v_rcp_iflag_f32_e32 v1, v1
	v_mul_f32_e32 v1, 0x4f7ffffe, v1
	v_cvt_u32_f32_e32 v1, v1
	v_readfirstlane_b32 s7, v1
	s_mul_i32 s3, s3, s7
	s_mul_hi_u32 s3, s7, s3
	s_add_i32 s7, s7, s3
	s_mul_hi_u32 s3, s2, s7
	s_mul_i32 s7, s3, s0
	s_sub_i32 s2, s2, s7
	s_add_i32 s10, s3, 1
	s_sub_i32 s7, s2, s0
	s_cmp_ge_u32 s2, s0
	s_cselect_b32 s3, s10, s3
	s_cselect_b32 s2, s7, s2
	s_add_i32 s7, s3, 1
	s_cmp_ge_u32 s2, s0
	s_cselect_b32 s0, s7, s3
	s_xor_b32 s0, s0, s1
	s_sub_i32 s2, s0, s1
	s_abs_i32 s10, s2
	v_cvt_f32_u32_e32 v1, s10
	s_load_dwordx2 s[0:1], s[4:5], 0x50
	s_sub_i32 s3, 0, s10
	s_abs_i32 s11, s6
	v_rcp_iflag_f32_e32 v1, v1
	s_mov_b32 s7, 0
	v_mul_f32_e32 v1, 0x4f7ffffe, v1
	v_cvt_u32_f32_e32 v1, v1
	v_readfirstlane_b32 s12, v1
	s_mul_i32 s3, s3, s12
	s_mul_hi_u32 s3, s12, s3
	s_add_i32 s12, s12, s3
	s_waitcnt lgkmcnt(0)
	s_cmp_eq_u64 s[0:1], 0
	s_mul_hi_u32 s12, s11, s12
	s_cbranch_scc1 .LBB328_3
; %bb.2:
	s_ashr_i32 s7, s6, 31
	s_lshl_b64 s[14:15], s[6:7], 2
	s_add_u32 s0, s0, s14
	s_addc_u32 s1, s1, s15
	s_load_dword s7, s[0:1], 0x0
.LBB328_3:
	s_load_dwordx4 s[20:23], s[4:5], 0x58
	s_ashr_i32 s13, s6, 31
	s_ashr_i32 s16, s2, 31
	v_and_b32_e32 v6, 7, v0
	s_lshl_b32 s14, s6, 6
	v_cmp_gt_u32_e64 s[0:1], 64, v0
	s_and_saveexec_b64 s[2:3], s[0:1]
	s_cbranch_execz .LBB328_5
; %bb.4:
	s_load_dwordx2 s[18:19], s[4:5], 0x18
	s_waitcnt lgkmcnt(0)
	s_mul_i32 s24, s36, s20
	s_ashr_i32 s25, s24, 31
	s_lshl_b64 s[24:25], s[24:25], 1
	v_lshlrev_b32_e32 v1, 1, v0
	s_add_u32 s17, s18, s24
	s_addc_u32 s20, s19, s25
	s_ashr_i32 s15, s14, 31
	s_lshl_b64 s[18:19], s[14:15], 1
	s_add_u32 s18, s17, s18
	s_addc_u32 s19, s20, s19
	global_load_ushort v1, v1, s[18:19]
	v_lshrrev_b32_e32 v2, 2, v0
	v_and_b32_e32 v2, 0xfe, v2
	v_lshl_add_u32 v2, v6, 4, v2
	s_waitcnt vmcnt(0)
	ds_write_b16 v2, v1
.LBB328_5:
	s_or_b64 exec, exec, s[2:3]
	s_mul_i32 s3, s12, s10
	s_sub_i32 s3, s11, s3
	s_xor_b32 s2, s13, s16
	s_add_i32 s11, s12, 1
	s_sub_i32 s13, s3, s10
	s_load_dwordx4 s[24:27], s[4:5], 0x78
	s_cmp_ge_u32 s3, s10
	s_cselect_b32 s11, s11, s12
	s_cselect_b32 s3, s13, s3
	s_add_i32 s12, s11, 1
	s_cmp_ge_u32 s3, s10
	s_cselect_b32 s3, s12, s11
	s_load_dword s12, s[4:5], 0x88
	s_waitcnt lgkmcnt(0)
	s_abs_i32 s37, s27
	v_cvt_f32_u32_e32 v1, s37
	s_xor_b32 s3, s3, s2
	s_sub_i32 s57, s3, s2
	s_sub_i32 s2, 0, s37
	v_rcp_iflag_f32_e32 v1, v1
	s_add_i32 s13, s33, -1
	s_abs_i32 s10, s13
	v_mul_f32_e32 v1, 0x4f7ffffe, v1
	v_cvt_u32_f32_e32 v1, v1
	s_barrier
	v_readfirstlane_b32 s54, v1
	s_mul_i32 s2, s2, s54
	s_mul_hi_u32 s2, s54, s2
	s_add_i32 s54, s54, s2
	s_cmp_lt_i32 s12, 0
	s_mul_hi_u32 s11, s10, s54
	s_cbranch_scc0 .LBB328_7
; %bb.6:
	s_mul_i32 s2, s24, s44
	s_add_i32 s2, s57, s2
	s_mul_i32 s2, s2, s12
	s_sub_i32 s44, 1, s2
	s_mov_b64 s[2:3], 0
	s_branch .LBB328_8
.LBB328_7:
	s_mov_b64 s[2:3], -1
                                        ; implicit-def: $sgpr44
.LBB328_8:
	s_load_dwordx2 s[38:39], s[4:5], 0x38
	s_ashr_i32 s13, s13, 31
	s_andn2_b64 vcc, exec, s[2:3]
	s_ashr_i32 s27, s27, 31
	s_cbranch_vccnz .LBB328_10
; %bb.9:
	s_mul_i32 s2, s9, s24
	s_add_i32 s2, s2, s6
	s_mul_i32 s2, s2, s12
	s_add_i32 s44, s2, 1
.LBB328_10:
	s_load_dwordx2 s[42:43], s[4:5], 0x28
	s_load_dword s2, s[4:5], 0x48
	s_load_dwordx4 s[28:31], s[4:5], 0x0
	s_load_dwordx2 s[34:35], s[4:5], 0x10
	s_load_dword s15, s[4:5], 0x98
	s_load_dwordx4 s[16:19], s[4:5], 0x68
	s_mul_i32 s3, s11, s37
	s_waitcnt lgkmcnt(0)
	s_mul_i32 s40, s36, s2
	s_sub_i32 s3, s10, s3
	s_ashr_i32 s41, s40, 31
	s_xor_b32 s2, s13, s27
	s_add_i32 s10, s11, 1
	s_sub_i32 s12, s3, s37
	s_cmp_ge_u32 s3, s37
	s_cselect_b32 s10, s10, s11
	s_cselect_b32 s3, s12, s3
	s_add_i32 s11, s10, 1
	s_cmp_ge_u32 s3, s37
	s_cselect_b32 s3, s11, s10
	s_xor_b32 s3, s3, s2
	s_sub_i32 s56, s3, s2
	s_add_i32 s2, s33, 7
	s_ashr_i32 s3, s2, 31
	s_lshr_b32 s3, s3, 29
	s_add_i32 s2, s2, s3
	s_lshl_b32 s20, s8, 6
	s_ashr_i32 s55, s2, 3
	s_add_i32 s2, s20, 64
	v_lshrrev_b32_e32 v7, 6, v0
	s_min_i32 s24, s2, s55
	v_or_b32_e32 v10, s20, v7
	v_cmp_gt_i32_e64 s[2:3], s24, v10
	v_mov_b32_e32 v22, 0xff7fffff
	s_mul_i32 s57, s57, s22
	v_ashrrev_i32_e32 v11, 31, v10
	v_lshl_add_u32 v1, v7, 3, s58
	v_mbcnt_lo_u32_b32 v17, -1, 0
	s_and_saveexec_b64 s[22:23], s[2:3]
	s_cbranch_execz .LBB328_100
; %bb.11:
	s_load_dwordx2 s[4:5], s[4:5], 0x20
	s_sub_i32 s59, s56, s25
	s_ashr_i32 s10, s57, 31
	v_bfe_u32 v18, v0, 3, 3
	v_lshlrev_b32_e32 v3, 4, v18
	s_waitcnt lgkmcnt(0)
	s_add_u32 s4, s4, s57
	s_addc_u32 s5, s5, s10
	s_abs_i32 s61, s26
	v_cvt_f32_u32_e32 v2, s61
	s_sub_i32 s10, 0, s61
	v_mov_b32_e32 v4, s5
	v_add_co_u32_e64 v8, s[4:5], s4, v3
	v_rcp_iflag_f32_e32 v2, v2
	v_addc_co_u32_e64 v9, s[4:5], 0, v4, s[4:5]
	v_cmp_eq_u32_e32 vcc, 0, v6
	v_mul_f32_e32 v2, 0x4f7ffffe, v2
	v_cvt_u32_f32_e32 v2, v2
	s_mov_b32 s60, s21
	v_mov_b32_e32 v19, 0
	v_lshlrev_b32_e32 v20, 4, v6
	v_mul_lo_u32 v3, s10, v2
	s_lshl_b64 s[10:11], s[40:41], 2
	v_mul_hi_u32 v3, v2, v3
	s_add_u32 s10, s38, s10
	v_add_u32_e32 v21, v2, v3
	v_lshlrev_b64 v[2:3], 2, v[10:11]
	s_addc_u32 s11, s39, s11
	v_mov_b32_e32 v4, s11
	v_add_co_u32_e64 v12, s[10:11], s10, v2
	v_lshlrev_b32_e32 v2, 2, v18
	v_lshl_or_b32 v2, v7, 5, v2
	v_add_u32_e32 v24, 0x90, v2
	v_subrev_u32_e32 v2, s33, v18
	v_cmp_neq_f32_e64 s[4:5], s7, 0
	v_addc_co_u32_e64 v13, s[10:11], v4, v3, s[10:11]
	v_lshl_add_u32 v23, v7, 3, s58
	v_add_u32_e32 v25, 1, v2
	s_mov_b64 s[46:47], 0
	v_mov_b32_e32 v26, 0xff7fffff
	s_movk_i32 s62, 0x80
	s_movk_i32 s63, 0x7f
	s_mov_b32 s64, 0x7f800000
	s_movk_i32 s65, 0x7fff
	v_bfrev_b32_e32 v27, 60
	v_mbcnt_hi_u32_b32 v28, -1, v17
	v_mov_b32_e32 v22, 0xff7fffff
	v_mov_b32_e32 v29, v10
	s_branch .LBB328_14
.LBB328_12:                             ;   in Loop: Header=BB328_14 Depth=1
	s_or_b64 exec, exec, s[48:49]
.LBB328_13:                             ;   in Loop: Header=BB328_14 Depth=1
	s_or_b64 exec, exec, s[12:13]
	v_add_co_u32_e64 v12, s[10:11], 8, v12
	v_add_u32_e32 v29, 2, v29
	v_addc_co_u32_e64 v13, s[10:11], 0, v13, s[10:11]
	v_cmp_le_i32_e64 s[10:11], s24, v29
	v_add_u32_e32 v23, 16, v23
	s_or_b64 s[46:47], s[10:11], s[46:47]
	v_add_u32_e32 v24, 64, v24
	s_andn2_b64 exec, exec, s[46:47]
	s_cbranch_execz .LBB328_99
.LBB328_14:                             ; =>This Inner Loop Header: Depth=1
	s_waitcnt lgkmcnt(0)
	v_sub_u32_e32 v3, 0, v23
	v_max_i32_e32 v3, v23, v3
	v_mul_hi_u32 v4, v3, s54
	v_mul_lo_u32 v5, v4, s37
	v_sub_u32_e32 v3, v3, v5
	v_add_u32_e32 v5, 1, v4
	v_cmp_le_u32_e64 s[10:11], s37, v3
	v_cndmask_b32_e64 v4, v4, v5, s[10:11]
	v_subrev_u32_e32 v5, s37, v3
	v_cndmask_b32_e64 v3, v3, v5, s[10:11]
	v_ashrrev_i32_e32 v2, 31, v23
	v_add_u32_e32 v5, 1, v4
	v_cmp_le_u32_e64 s[10:11], s37, v3
	v_xor_b32_e32 v2, s27, v2
	v_cndmask_b32_e64 v3, v4, v5, s[10:11]
	v_xor_b32_e32 v3, v3, v2
	v_sub_u32_e32 v2, v3, v2
	v_add_u32_e32 v3, s44, v2
	v_sub_u32_e32 v5, 0, v3
	v_ashrrev_i32_e32 v4, 31, v3
	v_max_i32_e32 v3, v3, v5
	v_mul_hi_u32 v5, v3, v21
	v_mul_lo_u32 v5, v5, s61
	v_sub_u32_e32 v3, v3, v5
	v_subrev_u32_e32 v5, s61, v3
	v_cmp_le_u32_e64 s[10:11], s61, v3
	v_cndmask_b32_e64 v3, v3, v5, s[10:11]
	v_subrev_u32_e32 v5, s61, v3
	v_cmp_le_u32_e64 s[10:11], s61, v3
	v_cndmask_b32_e64 v3, v3, v5, s[10:11]
	v_xor_b32_e32 v3, v3, v4
	v_sub_u32_e32 v3, v3, v4
	v_cmp_ne_u32_e64 s[10:11], 0, v3
	v_cmp_ge_i32_e64 s[12:13], s59, v2
	s_and_b64 s[10:11], s[10:11], s[12:13]
	s_and_b64 s[48:49], vcc, s[10:11]
	s_and_saveexec_b64 s[12:13], s[48:49]
	s_cbranch_execz .LBB328_16
; %bb.15:                               ;   in Loop: Header=BB328_14 Depth=1
	ds_write_b32 v24, v26
.LBB328_16:                             ;   in Loop: Header=BB328_14 Depth=1
	s_or_b64 exec, exec, s[12:13]
	s_xor_b64 s[10:11], s[10:11], -1
	s_and_saveexec_b64 s[12:13], s[10:11]
	s_cbranch_execz .LBB328_13
; %bb.17:                               ;   in Loop: Header=BB328_14 Depth=1
	global_load_dword v2, v[12:13], off
	s_load_dword s66, s[16:17], 0x0
	v_mov_b32_e32 v31, 0
	s_waitcnt vmcnt(0)
	v_mad_i64_i32 v[2:3], s[10:11], v2, s60, v[8:9]
	v_add_co_u32_e64 v14, s[10:11], v2, v6
	v_addc_co_u32_e64 v15, s[10:11], 0, v3, s[10:11]
	global_load_ubyte v30, v[14:15], off
	ds_read_b128 v[2:5], v20
	s_waitcnt vmcnt(0)
	v_cmp_ne_u16_e64 s[10:11], 0, v30
	s_and_saveexec_b64 s[48:49], s[10:11]
	s_cbranch_execz .LBB328_23
; %bb.18:                               ;   in Loop: Header=BB328_14 Depth=1
	v_cmp_ne_u16_e64 s[10:11], s62, v30
	v_bfrev_b32_e32 v31, 1
	s_and_saveexec_b64 s[50:51], s[10:11]
	s_cbranch_execz .LBB328_22
; %bb.19:                               ;   in Loop: Header=BB328_14 Depth=1
	v_and_b32_e32 v16, 0xffff, v30
	v_and_b32_e32 v32, 0x7f, v16
	v_cmp_ne_u32_e64 s[10:11], s63, v32
	v_mov_b32_e32 v31, 0x7f800001
	s_and_saveexec_b64 s[52:53], s[10:11]
	s_cbranch_execz .LBB328_21
; %bb.20:                               ;   in Loop: Header=BB328_14 Depth=1
	v_and_b32_e32 v31, 7, v16
	v_ffbh_u32_e32 v34, v31
	v_min_u32_e32 v36, 32, v34
	v_subrev_u32_e32 v34, 28, v36
	v_lshlrev_b64 v[34:35], v34, v[16:17]
	v_lshrrev_b32_e32 v33, 3, v32
	v_sub_u32_e32 v16, 29, v36
	v_and_b32_e32 v34, 7, v34
	v_cmp_gt_u32_e64 s[10:11], 8, v32
	v_cndmask_b32_e64 v16, v33, v16, s[10:11]
	v_cndmask_b32_e64 v31, v31, v34, s[10:11]
	v_lshlrev_b32_e32 v30, 24, v30
	v_lshlrev_b32_e32 v31, 20, v31
	v_and_b32_e32 v30, 0x80000000, v30
	v_lshl_add_u32 v16, v16, 23, v27
	v_or3_b32 v31, v30, v16, v31
.LBB328_21:                             ;   in Loop: Header=BB328_14 Depth=1
	s_or_b64 exec, exec, s[52:53]
.LBB328_22:                             ;   in Loop: Header=BB328_14 Depth=1
	s_or_b64 exec, exec, s[50:51]
.LBB328_23:                             ;   in Loop: Header=BB328_14 Depth=1
	s_or_b64 exec, exec, s[48:49]
	s_waitcnt lgkmcnt(0)
	v_mul_f32_e32 v16, s66, v31
	v_and_b32_e32 v30, 0x7f800000, v16
	v_cmp_ne_u32_e64 s[10:11], s64, v30
                                        ; implicit-def: $vgpr30
	s_and_saveexec_b64 s[48:49], s[10:11]
	s_xor_b64 s[10:11], exec, s[48:49]
; %bb.24:                               ;   in Loop: Header=BB328_14 Depth=1
	v_bfe_u32 v30, v16, 16, 1
	v_add3_u32 v30, v16, v30, s65
                                        ; implicit-def: $vgpr16
; %bb.25:                               ;   in Loop: Header=BB328_14 Depth=1
	s_andn2_saveexec_b64 s[48:49], s[10:11]
; %bb.26:                               ;   in Loop: Header=BB328_14 Depth=1
	v_or_b32_e32 v30, 0x10000, v16
	v_cmp_eq_u32_sdwa s[10:11], v16, v19 src0_sel:WORD_0 src1_sel:DWORD
	v_cndmask_b32_e64 v30, v30, v16, s[10:11]
; %bb.27:                               ;   in Loop: Header=BB328_14 Depth=1
	s_or_b64 exec, exec, s[48:49]
	global_load_ubyte v31, v[14:15], off offset:8
	v_mov_b32_e32 v32, 0
	s_waitcnt vmcnt(0)
	v_cmp_ne_u16_e64 s[10:11], 0, v31
	s_and_saveexec_b64 s[48:49], s[10:11]
	s_cbranch_execz .LBB328_33
; %bb.28:                               ;   in Loop: Header=BB328_14 Depth=1
	v_cmp_ne_u16_e64 s[10:11], s62, v31
	v_bfrev_b32_e32 v32, 1
	s_and_saveexec_b64 s[50:51], s[10:11]
	s_cbranch_execz .LBB328_32
; %bb.29:                               ;   in Loop: Header=BB328_14 Depth=1
	v_and_b32_e32 v16, 0xffff, v31
	v_and_b32_e32 v33, 0x7f, v16
	v_cmp_ne_u32_e64 s[10:11], s63, v33
	v_mov_b32_e32 v32, 0x7f800001
	s_and_saveexec_b64 s[52:53], s[10:11]
	s_cbranch_execz .LBB328_31
; %bb.30:                               ;   in Loop: Header=BB328_14 Depth=1
	v_and_b32_e32 v32, 7, v16
	v_ffbh_u32_e32 v34, v32
	v_min_u32_e32 v37, 32, v34
	v_subrev_u32_e32 v34, 28, v37
	v_lshlrev_b64 v[34:35], v34, v[16:17]
	v_lshrrev_b32_e32 v36, 3, v33
	v_sub_u32_e32 v16, 29, v37
	v_and_b32_e32 v34, 7, v34
	v_cmp_gt_u32_e64 s[10:11], 8, v33
	v_cndmask_b32_e64 v16, v36, v16, s[10:11]
	v_cndmask_b32_e64 v32, v32, v34, s[10:11]
	v_lshlrev_b32_e32 v31, 24, v31
	v_lshlrev_b32_e32 v32, 20, v32
	v_and_b32_e32 v31, 0x80000000, v31
	v_lshl_add_u32 v16, v16, 23, v27
	v_or3_b32 v32, v31, v16, v32
.LBB328_31:                             ;   in Loop: Header=BB328_14 Depth=1
	s_or_b64 exec, exec, s[52:53]
.LBB328_32:                             ;   in Loop: Header=BB328_14 Depth=1
	s_or_b64 exec, exec, s[50:51]
.LBB328_33:                             ;   in Loop: Header=BB328_14 Depth=1
	s_or_b64 exec, exec, s[48:49]
	v_mul_f32_e32 v16, s66, v32
	v_and_b32_e32 v31, 0x7f800000, v16
	v_cmp_ne_u32_e64 s[10:11], s64, v31
                                        ; implicit-def: $vgpr31
	s_and_saveexec_b64 s[48:49], s[10:11]
	s_xor_b64 s[10:11], exec, s[48:49]
; %bb.34:                               ;   in Loop: Header=BB328_14 Depth=1
	v_bfe_u32 v31, v16, 16, 1
	v_add3_u32 v31, v16, v31, s65
                                        ; implicit-def: $vgpr16
; %bb.35:                               ;   in Loop: Header=BB328_14 Depth=1
	s_andn2_saveexec_b64 s[48:49], s[10:11]
; %bb.36:                               ;   in Loop: Header=BB328_14 Depth=1
	v_or_b32_e32 v31, 0x10000, v16
	v_cmp_eq_u32_sdwa s[10:11], v16, v19 src0_sel:WORD_0 src1_sel:DWORD
	v_cndmask_b32_e64 v31, v31, v16, s[10:11]
; %bb.37:                               ;   in Loop: Header=BB328_14 Depth=1
	s_or_b64 exec, exec, s[48:49]
	global_load_ubyte v32, v[14:15], off offset:128
	v_mov_b32_e32 v33, 0
	s_waitcnt vmcnt(0)
	v_cmp_ne_u16_e64 s[10:11], 0, v32
	s_and_saveexec_b64 s[48:49], s[10:11]
	s_cbranch_execz .LBB328_43
; %bb.38:                               ;   in Loop: Header=BB328_14 Depth=1
	v_cmp_ne_u16_e64 s[10:11], s62, v32
	v_bfrev_b32_e32 v33, 1
	s_and_saveexec_b64 s[50:51], s[10:11]
	s_cbranch_execz .LBB328_42
; %bb.39:                               ;   in Loop: Header=BB328_14 Depth=1
	v_and_b32_e32 v16, 0xffff, v32
	v_and_b32_e32 v34, 0x7f, v16
	v_cmp_ne_u32_e64 s[10:11], s63, v34
	v_mov_b32_e32 v33, 0x7f800001
	s_and_saveexec_b64 s[52:53], s[10:11]
	s_cbranch_execz .LBB328_41
; %bb.40:                               ;   in Loop: Header=BB328_14 Depth=1
	v_and_b32_e32 v33, 7, v16
	v_ffbh_u32_e32 v36, v33
	v_min_u32_e32 v38, 32, v36
	v_subrev_u32_e32 v36, 28, v38
	v_lshlrev_b64 v[36:37], v36, v[16:17]
	v_lshrrev_b32_e32 v35, 3, v34
	v_sub_u32_e32 v16, 29, v38
	v_and_b32_e32 v36, 7, v36
	v_cmp_gt_u32_e64 s[10:11], 8, v34
	v_cndmask_b32_e64 v16, v35, v16, s[10:11]
	v_cndmask_b32_e64 v33, v33, v36, s[10:11]
	v_lshlrev_b32_e32 v32, 24, v32
	v_lshlrev_b32_e32 v33, 20, v33
	v_and_b32_e32 v32, 0x80000000, v32
	v_lshl_add_u32 v16, v16, 23, v27
	v_or3_b32 v33, v32, v16, v33
.LBB328_41:                             ;   in Loop: Header=BB328_14 Depth=1
	s_or_b64 exec, exec, s[52:53]
.LBB328_42:                             ;   in Loop: Header=BB328_14 Depth=1
	s_or_b64 exec, exec, s[50:51]
.LBB328_43:                             ;   in Loop: Header=BB328_14 Depth=1
	s_or_b64 exec, exec, s[48:49]
	v_mul_f32_e32 v16, s66, v33
	v_and_b32_e32 v32, 0x7f800000, v16
	v_cmp_ne_u32_e64 s[10:11], s64, v32
                                        ; implicit-def: $vgpr32
	s_and_saveexec_b64 s[48:49], s[10:11]
	s_xor_b64 s[10:11], exec, s[48:49]
; %bb.44:                               ;   in Loop: Header=BB328_14 Depth=1
	v_bfe_u32 v32, v16, 16, 1
	v_add3_u32 v32, v16, v32, s65
                                        ; implicit-def: $vgpr16
; %bb.45:                               ;   in Loop: Header=BB328_14 Depth=1
	s_andn2_saveexec_b64 s[48:49], s[10:11]
; %bb.46:                               ;   in Loop: Header=BB328_14 Depth=1
	v_or_b32_e32 v32, 0x10000, v16
	v_cmp_eq_u32_sdwa s[10:11], v16, v19 src0_sel:WORD_0 src1_sel:DWORD
	v_cndmask_b32_e64 v32, v32, v16, s[10:11]
; %bb.47:                               ;   in Loop: Header=BB328_14 Depth=1
	s_or_b64 exec, exec, s[48:49]
	global_load_ubyte v33, v[14:15], off offset:136
	v_mov_b32_e32 v34, 0
	s_waitcnt vmcnt(0)
	v_cmp_ne_u16_e64 s[10:11], 0, v33
	s_and_saveexec_b64 s[48:49], s[10:11]
	s_cbranch_execz .LBB328_53
; %bb.48:                               ;   in Loop: Header=BB328_14 Depth=1
	v_cmp_ne_u16_e64 s[10:11], s62, v33
	v_bfrev_b32_e32 v34, 1
	s_and_saveexec_b64 s[50:51], s[10:11]
	s_cbranch_execz .LBB328_52
; %bb.49:                               ;   in Loop: Header=BB328_14 Depth=1
	v_and_b32_e32 v16, 0xffff, v33
	v_and_b32_e32 v35, 0x7f, v16
	v_cmp_ne_u32_e64 s[10:11], s63, v35
	v_mov_b32_e32 v34, 0x7f800001
	s_and_saveexec_b64 s[52:53], s[10:11]
	s_cbranch_execz .LBB328_51
; %bb.50:                               ;   in Loop: Header=BB328_14 Depth=1
	v_and_b32_e32 v34, 7, v16
	v_ffbh_u32_e32 v36, v34
	v_min_u32_e32 v39, 32, v36
	v_subrev_u32_e32 v36, 28, v39
	v_lshlrev_b64 v[36:37], v36, v[16:17]
	v_lshrrev_b32_e32 v38, 3, v35
	v_sub_u32_e32 v16, 29, v39
	v_and_b32_e32 v36, 7, v36
	v_cmp_gt_u32_e64 s[10:11], 8, v35
	v_cndmask_b32_e64 v16, v38, v16, s[10:11]
	v_cndmask_b32_e64 v34, v34, v36, s[10:11]
	v_lshlrev_b32_e32 v33, 24, v33
	v_lshlrev_b32_e32 v34, 20, v34
	v_and_b32_e32 v33, 0x80000000, v33
	v_lshl_add_u32 v16, v16, 23, v27
	v_or3_b32 v34, v33, v16, v34
.LBB328_51:                             ;   in Loop: Header=BB328_14 Depth=1
	s_or_b64 exec, exec, s[52:53]
.LBB328_52:                             ;   in Loop: Header=BB328_14 Depth=1
	s_or_b64 exec, exec, s[50:51]
.LBB328_53:                             ;   in Loop: Header=BB328_14 Depth=1
	s_or_b64 exec, exec, s[48:49]
	v_mul_f32_e32 v16, s66, v34
	v_and_b32_e32 v33, 0x7f800000, v16
	v_cmp_ne_u32_e64 s[10:11], s64, v33
                                        ; implicit-def: $vgpr33
	s_and_saveexec_b64 s[48:49], s[10:11]
	s_xor_b64 s[10:11], exec, s[48:49]
; %bb.54:                               ;   in Loop: Header=BB328_14 Depth=1
	v_bfe_u32 v33, v16, 16, 1
	v_add3_u32 v33, v16, v33, s65
                                        ; implicit-def: $vgpr16
; %bb.55:                               ;   in Loop: Header=BB328_14 Depth=1
	s_andn2_saveexec_b64 s[48:49], s[10:11]
; %bb.56:                               ;   in Loop: Header=BB328_14 Depth=1
	v_or_b32_e32 v33, 0x10000, v16
	v_cmp_eq_u32_sdwa s[10:11], v16, v19 src0_sel:WORD_0 src1_sel:DWORD
	v_cndmask_b32_e64 v33, v33, v16, s[10:11]
; %bb.57:                               ;   in Loop: Header=BB328_14 Depth=1
	s_or_b64 exec, exec, s[48:49]
	global_load_ubyte v34, v[14:15], off offset:256
	v_mov_b32_e32 v35, 0
	s_waitcnt vmcnt(0)
	v_cmp_ne_u16_e64 s[10:11], 0, v34
	s_and_saveexec_b64 s[48:49], s[10:11]
	s_cbranch_execz .LBB328_63
; %bb.58:                               ;   in Loop: Header=BB328_14 Depth=1
	v_cmp_ne_u16_e64 s[10:11], s62, v34
	v_bfrev_b32_e32 v35, 1
	s_and_saveexec_b64 s[50:51], s[10:11]
	s_cbranch_execz .LBB328_62
; %bb.59:                               ;   in Loop: Header=BB328_14 Depth=1
	v_and_b32_e32 v16, 0xffff, v34
	v_and_b32_e32 v36, 0x7f, v16
	v_cmp_ne_u32_e64 s[10:11], s63, v36
	v_mov_b32_e32 v35, 0x7f800001
	s_and_saveexec_b64 s[52:53], s[10:11]
	s_cbranch_execz .LBB328_61
; %bb.60:                               ;   in Loop: Header=BB328_14 Depth=1
	v_and_b32_e32 v35, 7, v16
	v_ffbh_u32_e32 v38, v35
	v_min_u32_e32 v40, 32, v38
	v_subrev_u32_e32 v38, 28, v40
	v_lshlrev_b64 v[38:39], v38, v[16:17]
	v_lshrrev_b32_e32 v37, 3, v36
	v_sub_u32_e32 v16, 29, v40
	v_and_b32_e32 v38, 7, v38
	v_cmp_gt_u32_e64 s[10:11], 8, v36
	v_cndmask_b32_e64 v16, v37, v16, s[10:11]
	v_cndmask_b32_e64 v35, v35, v38, s[10:11]
	v_lshlrev_b32_e32 v34, 24, v34
	v_lshlrev_b32_e32 v35, 20, v35
	v_and_b32_e32 v34, 0x80000000, v34
	v_lshl_add_u32 v16, v16, 23, v27
	v_or3_b32 v35, v34, v16, v35
.LBB328_61:                             ;   in Loop: Header=BB328_14 Depth=1
	s_or_b64 exec, exec, s[52:53]
.LBB328_62:                             ;   in Loop: Header=BB328_14 Depth=1
	s_or_b64 exec, exec, s[50:51]
.LBB328_63:                             ;   in Loop: Header=BB328_14 Depth=1
	s_or_b64 exec, exec, s[48:49]
	v_mul_f32_e32 v16, s66, v35
	v_and_b32_e32 v34, 0x7f800000, v16
	v_cmp_ne_u32_e64 s[10:11], s64, v34
                                        ; implicit-def: $vgpr34
	s_and_saveexec_b64 s[48:49], s[10:11]
	s_xor_b64 s[10:11], exec, s[48:49]
; %bb.64:                               ;   in Loop: Header=BB328_14 Depth=1
	v_bfe_u32 v34, v16, 16, 1
	v_add3_u32 v34, v16, v34, s65
                                        ; implicit-def: $vgpr16
; %bb.65:                               ;   in Loop: Header=BB328_14 Depth=1
	s_andn2_saveexec_b64 s[48:49], s[10:11]
; %bb.66:                               ;   in Loop: Header=BB328_14 Depth=1
	v_or_b32_e32 v34, 0x10000, v16
	v_cmp_eq_u32_sdwa s[10:11], v16, v19 src0_sel:WORD_0 src1_sel:DWORD
	v_cndmask_b32_e64 v34, v34, v16, s[10:11]
; %bb.67:                               ;   in Loop: Header=BB328_14 Depth=1
	s_or_b64 exec, exec, s[48:49]
	global_load_ubyte v35, v[14:15], off offset:264
	v_mov_b32_e32 v36, 0
	s_waitcnt vmcnt(0)
	v_cmp_ne_u16_e64 s[10:11], 0, v35
	s_and_saveexec_b64 s[48:49], s[10:11]
	s_cbranch_execz .LBB328_73
; %bb.68:                               ;   in Loop: Header=BB328_14 Depth=1
	v_cmp_ne_u16_e64 s[10:11], s62, v35
	v_bfrev_b32_e32 v36, 1
	s_and_saveexec_b64 s[50:51], s[10:11]
	s_cbranch_execz .LBB328_72
; %bb.69:                               ;   in Loop: Header=BB328_14 Depth=1
	v_and_b32_e32 v16, 0xffff, v35
	v_and_b32_e32 v37, 0x7f, v16
	v_cmp_ne_u32_e64 s[10:11], s63, v37
	v_mov_b32_e32 v36, 0x7f800001
	s_and_saveexec_b64 s[52:53], s[10:11]
	s_cbranch_execz .LBB328_71
; %bb.70:                               ;   in Loop: Header=BB328_14 Depth=1
	v_and_b32_e32 v36, 7, v16
	v_ffbh_u32_e32 v38, v36
	v_min_u32_e32 v41, 32, v38
	v_subrev_u32_e32 v38, 28, v41
	v_lshlrev_b64 v[38:39], v38, v[16:17]
	v_lshrrev_b32_e32 v40, 3, v37
	v_sub_u32_e32 v16, 29, v41
	v_and_b32_e32 v38, 7, v38
	v_cmp_gt_u32_e64 s[10:11], 8, v37
	v_cndmask_b32_e64 v16, v40, v16, s[10:11]
	v_cndmask_b32_e64 v36, v36, v38, s[10:11]
	v_lshlrev_b32_e32 v35, 24, v35
	v_lshlrev_b32_e32 v36, 20, v36
	v_and_b32_e32 v35, 0x80000000, v35
	v_lshl_add_u32 v16, v16, 23, v27
	v_or3_b32 v36, v35, v16, v36
.LBB328_71:                             ;   in Loop: Header=BB328_14 Depth=1
	s_or_b64 exec, exec, s[52:53]
.LBB328_72:                             ;   in Loop: Header=BB328_14 Depth=1
	s_or_b64 exec, exec, s[50:51]
.LBB328_73:                             ;   in Loop: Header=BB328_14 Depth=1
	s_or_b64 exec, exec, s[48:49]
	v_mul_f32_e32 v16, s66, v36
	v_and_b32_e32 v35, 0x7f800000, v16
	v_cmp_ne_u32_e64 s[10:11], s64, v35
                                        ; implicit-def: $vgpr35
	s_and_saveexec_b64 s[48:49], s[10:11]
	s_xor_b64 s[10:11], exec, s[48:49]
; %bb.74:                               ;   in Loop: Header=BB328_14 Depth=1
	v_bfe_u32 v35, v16, 16, 1
	v_add3_u32 v35, v16, v35, s65
                                        ; implicit-def: $vgpr16
; %bb.75:                               ;   in Loop: Header=BB328_14 Depth=1
	s_andn2_saveexec_b64 s[48:49], s[10:11]
; %bb.76:                               ;   in Loop: Header=BB328_14 Depth=1
	v_or_b32_e32 v35, 0x10000, v16
	v_cmp_eq_u32_sdwa s[10:11], v16, v19 src0_sel:WORD_0 src1_sel:DWORD
	v_cndmask_b32_e64 v35, v35, v16, s[10:11]
; %bb.77:                               ;   in Loop: Header=BB328_14 Depth=1
	s_or_b64 exec, exec, s[48:49]
	global_load_ubyte v36, v[14:15], off offset:384
	v_mov_b32_e32 v37, 0
	s_waitcnt vmcnt(0)
	v_cmp_ne_u16_e64 s[10:11], 0, v36
	s_and_saveexec_b64 s[48:49], s[10:11]
	s_cbranch_execz .LBB328_83
; %bb.78:                               ;   in Loop: Header=BB328_14 Depth=1
	v_cmp_ne_u16_e64 s[10:11], s62, v36
	v_bfrev_b32_e32 v37, 1
	s_and_saveexec_b64 s[50:51], s[10:11]
	s_cbranch_execz .LBB328_82
; %bb.79:                               ;   in Loop: Header=BB328_14 Depth=1
	v_and_b32_e32 v16, 0xffff, v36
	v_and_b32_e32 v38, 0x7f, v16
	v_cmp_ne_u32_e64 s[10:11], s63, v38
	v_mov_b32_e32 v37, 0x7f800001
	s_and_saveexec_b64 s[52:53], s[10:11]
	s_cbranch_execz .LBB328_81
; %bb.80:                               ;   in Loop: Header=BB328_14 Depth=1
	v_and_b32_e32 v37, 7, v16
	v_ffbh_u32_e32 v40, v37
	v_min_u32_e32 v42, 32, v40
	v_subrev_u32_e32 v40, 28, v42
	v_lshlrev_b64 v[40:41], v40, v[16:17]
	v_lshrrev_b32_e32 v39, 3, v38
	v_sub_u32_e32 v16, 29, v42
	v_and_b32_e32 v40, 7, v40
	v_cmp_gt_u32_e64 s[10:11], 8, v38
	v_cndmask_b32_e64 v16, v39, v16, s[10:11]
	v_cndmask_b32_e64 v37, v37, v40, s[10:11]
	v_lshlrev_b32_e32 v36, 24, v36
	v_lshlrev_b32_e32 v37, 20, v37
	v_and_b32_e32 v36, 0x80000000, v36
	v_lshl_add_u32 v16, v16, 23, v27
	v_or3_b32 v37, v36, v16, v37
.LBB328_81:                             ;   in Loop: Header=BB328_14 Depth=1
	s_or_b64 exec, exec, s[52:53]
.LBB328_82:                             ;   in Loop: Header=BB328_14 Depth=1
	s_or_b64 exec, exec, s[50:51]
.LBB328_83:                             ;   in Loop: Header=BB328_14 Depth=1
	s_or_b64 exec, exec, s[48:49]
	v_mul_f32_e32 v36, s66, v37
	v_and_b32_e32 v16, 0x7f800000, v36
	v_cmp_ne_u32_e64 s[10:11], s64, v16
                                        ; implicit-def: $vgpr16
	s_and_saveexec_b64 s[48:49], s[10:11]
	s_xor_b64 s[10:11], exec, s[48:49]
; %bb.84:                               ;   in Loop: Header=BB328_14 Depth=1
	v_bfe_u32 v16, v36, 16, 1
	v_add3_u32 v16, v36, v16, s65
                                        ; implicit-def: $vgpr36
; %bb.85:                               ;   in Loop: Header=BB328_14 Depth=1
	s_andn2_saveexec_b64 s[48:49], s[10:11]
; %bb.86:                               ;   in Loop: Header=BB328_14 Depth=1
	v_or_b32_e32 v16, 0x10000, v36
	v_cmp_eq_u32_sdwa s[10:11], v36, v19 src0_sel:WORD_0 src1_sel:DWORD
	v_cndmask_b32_e64 v16, v16, v36, s[10:11]
; %bb.87:                               ;   in Loop: Header=BB328_14 Depth=1
	s_or_b64 exec, exec, s[48:49]
	global_load_ubyte v15, v[14:15], off offset:392
	v_mov_b32_e32 v36, 0
	s_waitcnt vmcnt(0)
	v_cmp_ne_u16_e64 s[10:11], 0, v15
	s_and_saveexec_b64 s[48:49], s[10:11]
	s_cbranch_execz .LBB328_93
; %bb.88:                               ;   in Loop: Header=BB328_14 Depth=1
	v_cmp_ne_u16_e64 s[10:11], s62, v15
	v_bfrev_b32_e32 v36, 1
	s_and_saveexec_b64 s[50:51], s[10:11]
	s_cbranch_execz .LBB328_92
; %bb.89:                               ;   in Loop: Header=BB328_14 Depth=1
	v_and_b32_e32 v14, 0xffff, v15
	v_and_b32_e32 v37, 0x7f, v14
	v_cmp_ne_u32_e64 s[10:11], s63, v37
	v_mov_b32_e32 v36, 0x7f800001
	s_and_saveexec_b64 s[52:53], s[10:11]
	s_cbranch_execz .LBB328_91
; %bb.90:                               ;   in Loop: Header=BB328_14 Depth=1
	v_and_b32_e32 v36, 7, v14
	v_ffbh_u32_e32 v38, v36
	v_min_u32_e32 v41, 32, v38
	v_subrev_u32_e32 v38, 28, v41
	v_lshlrev_b64 v[38:39], v38, v[14:15]
	v_lshrrev_b32_e32 v40, 3, v37
	v_sub_u32_e32 v14, 29, v41
	v_and_b32_e32 v38, 7, v38
	v_cmp_gt_u32_e64 s[10:11], 8, v37
	v_cndmask_b32_e64 v14, v40, v14, s[10:11]
	v_cndmask_b32_e64 v36, v36, v38, s[10:11]
	v_lshlrev_b32_e32 v15, 24, v15
	v_lshlrev_b32_e32 v36, 20, v36
	v_and_b32_e32 v15, 0x80000000, v15
	v_lshl_add_u32 v14, v14, 23, v27
	v_or3_b32 v36, v15, v14, v36
.LBB328_91:                             ;   in Loop: Header=BB328_14 Depth=1
	s_or_b64 exec, exec, s[52:53]
.LBB328_92:                             ;   in Loop: Header=BB328_14 Depth=1
	s_or_b64 exec, exec, s[50:51]
.LBB328_93:                             ;   in Loop: Header=BB328_14 Depth=1
	s_or_b64 exec, exec, s[48:49]
	v_mul_f32_e32 v15, s66, v36
	v_and_b32_e32 v14, 0x7f800000, v15
	v_cmp_ne_u32_e64 s[10:11], s64, v14
                                        ; implicit-def: $vgpr14
	s_and_saveexec_b64 s[48:49], s[10:11]
	s_xor_b64 s[10:11], exec, s[48:49]
; %bb.94:                               ;   in Loop: Header=BB328_14 Depth=1
	v_bfe_u32 v14, v15, 16, 1
	v_add3_u32 v14, v15, v14, s65
                                        ; implicit-def: $vgpr15
; %bb.95:                               ;   in Loop: Header=BB328_14 Depth=1
	s_andn2_saveexec_b64 s[48:49], s[10:11]
; %bb.96:                               ;   in Loop: Header=BB328_14 Depth=1
	v_or_b32_e32 v14, 0x10000, v15
	v_cmp_eq_u32_sdwa s[10:11], v15, v19 src0_sel:WORD_0 src1_sel:DWORD
	v_cndmask_b32_e64 v14, v14, v15, s[10:11]
; %bb.97:                               ;   in Loop: Header=BB328_14 Depth=1
	s_or_b64 exec, exec, s[48:49]
	v_and_b32_e32 v15, 0xffff0000, v16
	v_and_b32_e32 v16, 0xffff0000, v35
	;; [unrolled: 1-line block ×3, first 2 shown]
	v_lshlrev_b32_e32 v35, 16, v2
	v_and_b32_e32 v2, 0xffff0000, v2
	v_and_b32_e32 v30, 0xffff0000, v30
	v_mul_f32_e32 v2, v2, v31
	v_and_b32_e32 v32, 0xffff0000, v32
	v_lshlrev_b32_e32 v36, 16, v3
	v_fmac_f32_e32 v2, v35, v30
	v_and_b32_e32 v33, 0xffff0000, v33
	v_and_b32_e32 v3, 0xffff0000, v3
	v_fmac_f32_e32 v2, v36, v32
	v_and_b32_e32 v34, 0xffff0000, v34
	v_lshlrev_b32_e32 v37, 16, v4
	v_and_b32_e32 v39, 64, v28
	v_fmac_f32_e32 v2, v3, v33
	v_and_b32_e32 v4, 0xffff0000, v4
	v_add_u32_e32 v39, 64, v39
	v_xor_b32_e32 v40, 4, v28
	v_fmac_f32_e32 v2, v37, v34
	v_lshlrev_b32_e32 v38, 16, v5
	v_cmp_lt_i32_e64 s[10:11], v40, v39
	v_fmac_f32_e32 v2, v4, v16
	v_and_b32_e32 v5, 0xffff0000, v5
	v_cndmask_b32_e64 v40, v28, v40, s[10:11]
	v_and_b32_e32 v14, 0xffff0000, v14
	v_fmac_f32_e32 v2, v38, v15
	v_lshlrev_b32_e32 v40, 2, v40
	v_fmac_f32_e32 v2, v5, v14
	ds_bpermute_b32 v3, v40, v2
	v_xor_b32_e32 v4, 2, v28
	v_cmp_lt_i32_e64 s[10:11], v4, v39
	v_cndmask_b32_e64 v4, v28, v4, s[10:11]
	v_lshlrev_b32_e32 v4, 2, v4
	s_waitcnt lgkmcnt(0)
	v_add_f32_e32 v2, v2, v3
	ds_bpermute_b32 v3, v4, v2
	v_xor_b32_e32 v4, 1, v28
	v_cmp_lt_i32_e64 s[10:11], v4, v39
	v_cndmask_b32_e64 v4, v28, v4, s[10:11]
	v_lshlrev_b32_e32 v4, 2, v4
	s_waitcnt lgkmcnt(0)
	v_add_f32_e32 v2, v2, v3
	ds_bpermute_b32 v3, v4, v2
	s_and_saveexec_b64 s[48:49], vcc
	s_cbranch_execz .LBB328_12
; %bb.98:                               ;   in Loop: Header=BB328_14 Depth=1
	v_add_u32_e32 v4, v25, v23
	v_cvt_f32_i32_e32 v4, v4
	s_waitcnt lgkmcnt(0)
	v_add_f32_e32 v2, v2, v3
	v_add_u32_e32 v5, v18, v23
	v_cmp_gt_i32_e64 s[10:11], s33, v5
	v_mul_f32_e32 v3, s7, v4
	v_cndmask_b32_e64 v3, 0, v3, s[4:5]
	v_fmac_f32_e32 v3, s45, v2
	v_cndmask_b32_e64 v2, 0, v3, s[10:11]
	ds_write_b32 v24, v2
	v_max_f32_e32 v2, v22, v22
	v_max_f32_e32 v2, v2, v3
	v_cndmask_b32_e64 v22, v22, v2, s[10:11]
	s_branch .LBB328_12
.LBB328_99:
	s_or_b64 exec, exec, s[46:47]
.LBB328_100:
	s_or_b64 exec, exec, s[22:23]
	v_mbcnt_hi_u32_b32 v2, -1, v17
	s_waitcnt lgkmcnt(0)
	v_and_b32_e32 v3, 64, v2
	v_add_u32_e32 v3, 64, v3
	v_xor_b32_e32 v4, 32, v2
	v_cmp_lt_i32_e32 vcc, v4, v3
	v_cndmask_b32_e32 v4, v2, v4, vcc
	v_lshlrev_b32_e32 v6, 2, v4
	ds_bpermute_b32 v4, v6, v22
	v_xor_b32_e32 v8, 16, v2
	v_max_f32_e32 v5, v22, v22
	v_cmp_lt_i32_e32 vcc, v8, v3
	v_and_b32_e32 v18, 63, v0
	s_waitcnt lgkmcnt(0)
	v_max_f32_e32 v4, v4, v4
	v_max_f32_e32 v4, v5, v4
	v_cndmask_b32_e32 v5, v2, v8, vcc
	v_lshlrev_b32_e32 v9, 2, v5
	ds_bpermute_b32 v5, v9, v4
	v_xor_b32_e32 v8, 8, v2
	v_cmp_lt_i32_e32 vcc, v8, v3
	s_waitcnt lgkmcnt(0)
	v_max_f32_e32 v5, v5, v5
	v_max_f32_e32 v4, v4, v5
	v_cndmask_b32_e32 v5, v2, v8, vcc
	v_lshlrev_b32_e32 v12, 2, v5
	ds_bpermute_b32 v8, v12, v4
	v_cmp_eq_u32_e32 vcc, 0, v18
	v_lshlrev_b32_e32 v5, 2, v7
	s_and_saveexec_b64 s[4:5], vcc
	s_cbranch_execz .LBB328_102
; %bb.101:
	s_waitcnt lgkmcnt(0)
	v_max_f32_e32 v8, v8, v8
	v_max_f32_e32 v4, v4, v4
	;; [unrolled: 1-line block ×3, first 2 shown]
	ds_write_b32 v5, v4 offset:128
.LBB328_102:
	s_or_b64 exec, exec, s[4:5]
	v_cmp_gt_u32_e64 s[4:5], 2, v18
	v_mov_b32_e32 v4, 0xff7fffff
	s_waitcnt lgkmcnt(0)
	v_lshlrev_b32_e32 v8, 2, v18
	s_barrier
	s_and_saveexec_b64 s[10:11], s[4:5]
	s_cbranch_execz .LBB328_104
; %bb.103:
	ds_read_b32 v4, v8 offset:128
.LBB328_104:
	s_or_b64 exec, exec, s[10:11]
	v_xor_b32_e32 v13, 1, v2
	v_cmp_lt_i32_e64 s[10:11], v13, v3
	v_cndmask_b32_e64 v13, v2, v13, s[10:11]
	v_lshlrev_b32_e32 v13, 2, v13
	s_waitcnt lgkmcnt(0)
	ds_bpermute_b32 v14, v13, v4
	v_max_f32_e32 v4, v4, v4
	s_sub_i32 s7, s24, s20
	s_lshl_b32 s7, s7, 3
	s_add_i32 s7, s7, s58
	s_waitcnt lgkmcnt(0)
	v_max_f32_e32 v14, v14, v14
	v_max_f32_e32 v4, v4, v14
	v_lshlrev_b32_e32 v14, 2, v2
	v_and_b32_e32 v14, 0x100, v14
	ds_bpermute_b32 v4, v14, v4
	s_min_i32 s45, s7, s33
	s_sub_i32 s7, s45, s58
	v_cmp_gt_i32_e64 s[10:11], s7, v0
	v_mov_b32_e32 v15, 0
	s_and_saveexec_b64 s[16:17], s[10:11]
	s_cbranch_execz .LBB328_108
; %bb.105:
	v_mov_b32_e32 v15, 0x90
	v_lshl_add_u32 v16, v0, 2, v15
	s_mov_b64 s[22:23], 0
	v_mov_b32_e32 v15, 0
	v_mov_b32_e32 v17, v0
.LBB328_106:                            ; =>This Inner Loop Header: Depth=1
	ds_read_b32 v19, v16
	v_add_u32_e32 v17, 0x80, v17
	v_cmp_le_i32_e64 s[12:13], s7, v17
	s_or_b64 s[22:23], s[12:13], s[22:23]
	s_waitcnt lgkmcnt(0)
	v_sub_f32_e32 v19, v19, v4
	v_mul_f32_e32 v19, 0x3fb8aa3b, v19
	v_exp_f32_e32 v19, v19
	ds_write_b32 v16, v19
	v_add_f32_e32 v15, v15, v19
	v_add_u32_e32 v16, 0x200, v16
	s_andn2_b64 exec, exec, s[22:23]
	s_cbranch_execnz .LBB328_106
; %bb.107:
	s_or_b64 exec, exec, s[22:23]
.LBB328_108:
	s_or_b64 exec, exec, s[16:17]
	ds_bpermute_b32 v6, v6, v15
	s_waitcnt lgkmcnt(0)
	v_add_f32_e32 v6, v15, v6
	ds_bpermute_b32 v9, v9, v6
	s_waitcnt lgkmcnt(0)
	v_add_f32_e32 v6, v6, v9
	ds_bpermute_b32 v9, v12, v6
	v_xor_b32_e32 v12, 4, v2
	v_cmp_lt_i32_e64 s[12:13], v12, v3
	v_cndmask_b32_e64 v12, v2, v12, s[12:13]
	v_lshlrev_b32_e32 v12, 2, v12
	s_waitcnt lgkmcnt(0)
	v_add_f32_e32 v6, v6, v9
	ds_bpermute_b32 v9, v12, v6
	v_xor_b32_e32 v12, 2, v2
	v_cmp_lt_i32_e64 s[12:13], v12, v3
	v_cndmask_b32_e64 v2, v2, v12, s[12:13]
	v_lshlrev_b32_e32 v2, 2, v2
	s_waitcnt lgkmcnt(0)
	v_add_f32_e32 v3, v6, v9
	ds_bpermute_b32 v2, v2, v3
	s_waitcnt lgkmcnt(0)
	v_add_f32_e32 v2, v3, v2
	ds_bpermute_b32 v3, v13, v2
	s_waitcnt lgkmcnt(0)
	v_add_f32_e32 v2, v2, v3
	s_and_saveexec_b64 s[12:13], vcc
	s_cbranch_execz .LBB328_110
; %bb.109:
	ds_write_b32 v5, v2 offset:136
.LBB328_110:
	s_or_b64 exec, exec, s[12:13]
	s_waitcnt lgkmcnt(0)
	s_barrier
	s_and_saveexec_b64 s[12:13], s[4:5]
	s_cbranch_execz .LBB328_112
; %bb.111:
	ds_read_b32 v2, v8 offset:136
.LBB328_112:
	s_or_b64 exec, exec, s[12:13]
	s_waitcnt lgkmcnt(0)
	ds_bpermute_b32 v3, v13, v2
	s_waitcnt lgkmcnt(0)
	v_add_f32_e32 v2, v2, v3
	ds_bpermute_b32 v5, v14, v2
	s_and_saveexec_b64 s[4:5], s[10:11]
	s_cbranch_execz .LBB328_125
; %bb.113:
	s_waitcnt lgkmcnt(0)
	v_add_f32_e32 v2, 0x358637bd, v5
	v_div_scale_f32 v3, s[10:11], v2, v2, 1.0
	v_rcp_f32_e32 v6, v3
	v_div_scale_f32 v8, vcc, 1.0, v2, 1.0
	s_movk_i32 s10, 0x7f
	v_fma_f32 v9, -v3, v6, 1.0
	v_fmac_f32_e32 v6, v9, v6
	v_mul_f32_e32 v9, v8, v6
	v_fma_f32 v12, -v3, v9, v8
	v_fmac_f32_e32 v9, v12, v6
	v_fma_f32 v3, -v3, v9, v8
	v_div_fmas_f32 v3, v3, v6, v9
	v_div_fixup_f32 v2, v3, v2, 1.0
	v_xad_u32 v3, v0, -1, s45
	v_subrev_u32_e32 v6, s58, v3
	v_cmp_lt_u32_e32 vcc, s10, v6
	s_mov_b64 s[12:13], -1
	v_mov_b32_e32 v3, v0
	s_and_saveexec_b64 s[10:11], vcc
	s_cbranch_execz .LBB328_122
; %bb.114:
	v_lshrrev_b32_e32 v6, 7, v6
	v_add_u32_e32 v9, -1, v6
	v_lshrrev_b32_e32 v8, 1, v9
	v_mov_b32_e32 v3, v2
	v_add_u32_e32 v8, 1, v8
	v_cmp_lt_u32_e32 vcc, 13, v9
	v_mov_b32_e32 v13, 0
	s_and_saveexec_b64 s[12:13], vcc
	s_cbranch_execz .LBB328_118
; %bb.115:
	v_mov_b32_e32 v12, 0x90
	v_and_b32_e32 v9, -8, v8
	v_lshl_add_u32 v12, v0, 2, v12
	s_mov_b32 s22, 0
	s_mov_b64 s[16:17], 0
.LBB328_116:                            ; =>This Inner Loop Header: Depth=1
	ds_read2st64_b32 v[14:15], v12 offset1:2
	ds_read2st64_b32 v[16:17], v12 offset0:4 offset1:6
	ds_read2st64_b32 v[20:21], v12 offset0:8 offset1:10
	;; [unrolled: 1-line block ×3, first 2 shown]
	v_add_u32_e32 v9, -8, v9
	s_waitcnt lgkmcnt(3)
	v_pk_mul_f32 v[14:15], v[2:3], v[14:15]
	s_waitcnt lgkmcnt(2)
	v_pk_mul_f32 v[16:17], v[2:3], v[16:17]
	ds_write2st64_b32 v12, v14, v15 offset1:2
	ds_write2st64_b32 v12, v16, v17 offset0:4 offset1:6
	ds_read2st64_b32 v[16:17], v12 offset0:16 offset1:18
	s_waitcnt lgkmcnt(4)
	v_pk_mul_f32 v[14:15], v[2:3], v[20:21]
	ds_write2st64_b32 v12, v14, v15 offset0:8 offset1:10
	s_waitcnt lgkmcnt(4)
	v_pk_mul_f32 v[14:15], v[2:3], v[22:23]
	ds_write2st64_b32 v12, v14, v15 offset0:12 offset1:14
	ds_read2st64_b32 v[14:15], v12 offset0:20 offset1:22
	s_waitcnt lgkmcnt(3)
	v_pk_mul_f32 v[16:17], v[2:3], v[16:17]
	ds_read2st64_b32 v[20:21], v12 offset0:24 offset1:26
	ds_write2st64_b32 v12, v16, v17 offset0:16 offset1:18
	ds_read2st64_b32 v[16:17], v12 offset0:28 offset1:30
	s_waitcnt lgkmcnt(3)
	v_pk_mul_f32 v[14:15], v[2:3], v[14:15]
	ds_write2st64_b32 v12, v14, v15 offset0:20 offset1:22
	s_waitcnt lgkmcnt(3)
	v_pk_mul_f32 v[14:15], v[2:3], v[20:21]
	ds_write2st64_b32 v12, v14, v15 offset0:24 offset1:26
	s_waitcnt lgkmcnt(2)
	v_pk_mul_f32 v[14:15], v[2:3], v[16:17]
	s_add_i32 s22, s22, 16
	v_cmp_eq_u32_e32 vcc, 0, v9
	ds_write2st64_b32 v12, v14, v15 offset0:28 offset1:30
	v_add_u32_e32 v12, 0x2000, v12
	s_or_b64 s[16:17], vcc, s[16:17]
	v_mov_b32_e32 v13, s22
	s_andn2_b64 exec, exec, s[16:17]
	s_cbranch_execnz .LBB328_116
; %bb.117:
	s_or_b64 exec, exec, s[16:17]
.LBB328_118:
	s_or_b64 exec, exec, s[12:13]
	v_and_b32_e32 v8, 7, v8
	v_cmp_ne_u32_e32 vcc, 0, v8
	s_and_saveexec_b64 s[12:13], vcc
	s_cbranch_execz .LBB328_121
; %bb.119:
	v_lshlrev_b32_e32 v9, 9, v13
	v_lshlrev_b32_e32 v12, 2, v0
	s_movk_i32 s16, 0x90
	v_add3_u32 v9, v9, v12, s16
	s_mov_b64 s[16:17], 0
.LBB328_120:                            ; =>This Inner Loop Header: Depth=1
	ds_read2st64_b32 v[12:13], v9 offset1:2
	v_add_u32_e32 v8, -1, v8
	v_cmp_eq_u32_e32 vcc, 0, v8
	s_or_b64 s[16:17], vcc, s[16:17]
	s_waitcnt lgkmcnt(0)
	v_pk_mul_f32 v[12:13], v[2:3], v[12:13]
	ds_write2st64_b32 v9, v12, v13 offset1:2
	v_add_u32_e32 v9, 0x400, v9
	s_andn2_b64 exec, exec, s[16:17]
	s_cbranch_execnz .LBB328_120
.LBB328_121:
	s_or_b64 exec, exec, s[12:13]
	v_add_u32_e32 v6, 1, v6
	v_and_b32_e32 v8, 0x3fffffe, v6
	v_cmp_ne_u32_e32 vcc, v6, v8
	v_lshl_add_u32 v3, v8, 7, v0
	s_orn2_b64 s[12:13], vcc, exec
.LBB328_122:
	s_or_b64 exec, exec, s[10:11]
	s_and_b64 exec, exec, s[12:13]
	s_cbranch_execz .LBB328_125
; %bb.123:
	v_mov_b32_e32 v6, 0x90
	v_lshl_add_u32 v6, v3, 2, v6
	s_mov_b64 s[10:11], 0
.LBB328_124:                            ; =>This Inner Loop Header: Depth=1
	ds_read_b32 v8, v6
	v_add_u32_e32 v3, 0x80, v3
	v_cmp_le_i32_e32 vcc, s7, v3
	s_or_b64 s[10:11], vcc, s[10:11]
	s_waitcnt lgkmcnt(0)
	v_mul_f32_e32 v8, v2, v8
	ds_write_b32 v6, v8
	v_add_u32_e32 v6, 0x200, v6
	s_andn2_b64 exec, exec, s[10:11]
	s_cbranch_execnz .LBB328_124
.LBB328_125:
	s_or_b64 exec, exec, s[4:5]
	s_mul_i32 s4, s15, s36
	v_cmp_eq_u32_e32 vcc, 0, v0
	s_mul_i32 s4, s4, s9
	s_waitcnt lgkmcnt(0)
	s_barrier
	s_and_saveexec_b64 s[10:11], vcc
	s_cbranch_execz .LBB328_127
; %bb.126:
	s_ashr_i32 s5, s4, 31
	s_lshl_b64 s[12:13], s[4:5], 2
	s_add_u32 s5, s30, s12
	s_mul_i32 s6, s15, s6
	s_addc_u32 s9, s31, s13
	s_ashr_i32 s7, s6, 31
	s_lshl_b64 s[6:7], s[6:7], 2
	s_add_u32 s5, s5, s6
	s_addc_u32 s17, s9, s7
	s_ashr_i32 s9, s8, 31
	s_lshl_b64 s[8:9], s[8:9], 2
	s_add_u32 s16, s5, s8
	s_addc_u32 s17, s17, s9
	s_add_u32 s5, s28, s12
	s_addc_u32 s12, s29, s13
	;; [unrolled: 2-line block ×3, first 2 shown]
	s_add_u32 s6, s5, s8
	v_mov_b32_e32 v2, 0
	s_addc_u32 s7, s7, s9
	global_store_dword v2, v4, s[16:17]
	global_store_dword v2, v5, s[6:7]
.LBB328_127:
	s_or_b64 exec, exec, s[10:11]
	v_mov_b32_e32 v19, 0
	s_and_saveexec_b64 s[6:7], s[2:3]
	s_cbranch_execz .LBB328_279
; %bb.128:
	s_sub_i32 s5, s56, s25
	s_ashr_i32 s2, s57, 31
	s_add_u32 s3, s42, s57
	s_addc_u32 s2, s43, s2
	s_abs_i32 s25, s26
	v_cvt_f32_u32_e32 v2, s25
	v_lshlrev_b32_e32 v3, 3, v18
	v_mov_b32_e32 v4, s2
	s_sub_i32 s2, 0, s25
	v_rcp_iflag_f32_e32 v2, v2
	v_add_co_u32_e32 v12, vcc, s3, v3
	s_add_i32 s55, s55, -1
	v_mul_f32_e32 v2, 0x4f7ffffe, v2
	v_cvt_u32_f32_e32 v2, v2
	v_addc_co_u32_e32 v13, vcc, 0, v4, vcc
	s_mov_b32 s8, -1
	v_mul_lo_u32 v3, s2, v2
	s_lshl_b64 s[2:3], s[40:41], 2
	v_mul_hi_u32 v3, v2, v3
	s_add_u32 s2, s38, s2
	v_add_u32_e32 v20, v2, v3
	v_lshlrev_b64 v[2:3], 2, v[10:11]
	s_addc_u32 s3, s39, s3
	v_mov_b32_e32 v4, s3
	v_add_co_u32_e32 v14, vcc, s2, v2
	v_mov_b32_e32 v2, 0x90
	s_mov_b32 s9, 0xffffff
	v_addc_co_u32_e32 v15, vcc, v4, v3, vcc
	v_lshl_add_u32 v11, v7, 5, v2
	s_mov_b64 s[10:11], 0
	v_mov_b32_e32 v17, 0
	s_mov_b32 s26, 0x7f800000
	s_movk_i32 s28, 0x7fff
	s_movk_i32 s29, 0x80
	;; [unrolled: 1-line block ×3, first 2 shown]
	v_bfrev_b32_e32 v21, 60
	v_mov_b32_e32 v19, 0
	s_branch .LBB328_131
.LBB328_129:                            ;   in Loop: Header=BB328_131 Depth=1
	s_or_b64 exec, exec, s[12:13]
	v_and_b32_e32 v7, 0xffff0000, v6
	v_and_b32_e32 v6, 0xffff0000, v8
	;; [unrolled: 1-line block ×8, first 2 shown]
	v_pk_add_f32 v[2:3], v[4:5], v[8:9]
	v_pk_add_f32 v[4:5], v[24:25], v[6:7]
	v_add_f32_e32 v2, v2, v3
	v_add_f32_e32 v2, v2, v4
	;; [unrolled: 1-line block ×4, first 2 shown]
.LBB328_130:                            ;   in Loop: Header=BB328_131 Depth=1
	s_or_b64 exec, exec, s[2:3]
	v_add_co_u32_e32 v14, vcc, 8, v14
	v_add_u32_e32 v10, 2, v10
	v_addc_co_u32_e32 v15, vcc, 0, v15, vcc
	v_cmp_le_i32_e32 vcc, s24, v10
	v_add_u32_e32 v1, 16, v1
	s_or_b64 s[10:11], vcc, s[10:11]
	v_add_u32_e32 v11, 64, v11
	s_andn2_b64 exec, exec, s[10:11]
	s_cbranch_execz .LBB328_278
.LBB328_131:                            ; =>This Inner Loop Header: Depth=1
	v_sub_u32_e32 v3, 0, v1
	v_max_i32_e32 v3, v1, v3
	v_mul_hi_u32 v4, v3, s54
	v_mul_lo_u32 v5, v4, s37
	v_sub_u32_e32 v3, v3, v5
	v_add_u32_e32 v5, 1, v4
	v_cmp_le_u32_e32 vcc, s37, v3
	v_cndmask_b32_e32 v4, v4, v5, vcc
	v_subrev_u32_e32 v5, s37, v3
	v_cndmask_b32_e32 v3, v3, v5, vcc
	v_ashrrev_i32_e32 v2, 31, v1
	v_add_u32_e32 v5, 1, v4
	v_cmp_le_u32_e32 vcc, s37, v3
	v_xor_b32_e32 v2, s27, v2
	v_cndmask_b32_e32 v3, v4, v5, vcc
	v_xor_b32_e32 v3, v3, v2
	v_sub_u32_e32 v2, v3, v2
	v_add_u32_e32 v3, s44, v2
	v_sub_u32_e32 v5, 0, v3
	v_ashrrev_i32_e32 v4, 31, v3
	v_max_i32_e32 v3, v3, v5
	v_mul_hi_u32 v5, v3, v20
	v_mul_lo_u32 v5, v5, s25
	v_sub_u32_e32 v3, v3, v5
	v_subrev_u32_e32 v5, s25, v3
	v_cmp_le_u32_e32 vcc, s25, v3
	v_cndmask_b32_e32 v3, v3, v5, vcc
	v_subrev_u32_e32 v5, s25, v3
	v_cmp_le_u32_e32 vcc, s25, v3
	v_cndmask_b32_e32 v3, v3, v5, vcc
	v_xor_b32_e32 v3, v3, v4
	v_sub_u32_e32 v3, v3, v4
	v_cmp_eq_u32_e32 vcc, 0, v3
	v_cmp_lt_i32_e64 s[2:3], s5, v2
	s_or_b64 s[12:13], vcc, s[2:3]
	s_and_saveexec_b64 s[2:3], s[12:13]
	s_cbranch_execz .LBB328_130
; %bb.132:                              ;   in Loop: Header=BB328_131 Depth=1
	global_load_dword v16, v[14:15], off
	ds_read2_b64 v[6:9], v11 offset1:1
	ds_read2_b64 v[2:5], v11 offset0:2 offset1:3
                                        ; implicit-def: $vgpr25
	s_waitcnt lgkmcnt(1)
	v_and_b32_e32 v22, 0x7f800000, v6
	v_cmp_ne_u32_e32 vcc, s26, v22
	s_and_saveexec_b64 s[12:13], vcc
	s_xor_b64 s[12:13], exec, s[12:13]
; %bb.133:                              ;   in Loop: Header=BB328_131 Depth=1
	v_bfe_u32 v22, v6, 16, 1
	v_add3_u32 v25, v6, v22, s28
; %bb.134:                              ;   in Loop: Header=BB328_131 Depth=1
	s_andn2_saveexec_b64 s[12:13], s[12:13]
; %bb.135:                              ;   in Loop: Header=BB328_131 Depth=1
	v_or_b32_e32 v22, 0x10000, v6
	v_cmp_eq_u32_sdwa vcc, v6, v17 src0_sel:WORD_0 src1_sel:DWORD
	v_cndmask_b32_e32 v25, v22, v6, vcc
; %bb.136:                              ;   in Loop: Header=BB328_131 Depth=1
	s_or_b64 exec, exec, s[12:13]
	v_and_b32_e32 v6, 0x7f800000, v7
	v_cmp_ne_u32_e32 vcc, s26, v6
                                        ; implicit-def: $vgpr24
	s_and_saveexec_b64 s[12:13], vcc
	s_xor_b64 s[12:13], exec, s[12:13]
; %bb.137:                              ;   in Loop: Header=BB328_131 Depth=1
	v_bfe_u32 v6, v7, 16, 1
	v_add3_u32 v24, v7, v6, s28
; %bb.138:                              ;   in Loop: Header=BB328_131 Depth=1
	s_andn2_saveexec_b64 s[12:13], s[12:13]
; %bb.139:                              ;   in Loop: Header=BB328_131 Depth=1
	v_or_b32_e32 v6, 0x10000, v7
	v_cmp_eq_u32_sdwa vcc, v7, v17 src0_sel:WORD_0 src1_sel:DWORD
	v_cndmask_b32_e32 v24, v6, v7, vcc
; %bb.140:                              ;   in Loop: Header=BB328_131 Depth=1
	s_or_b64 exec, exec, s[12:13]
	v_and_b32_e32 v6, 0x7f800000, v8
	v_cmp_ne_u32_e32 vcc, s26, v6
                                        ; implicit-def: $vgpr23
	s_and_saveexec_b64 s[12:13], vcc
	s_xor_b64 s[12:13], exec, s[12:13]
; %bb.141:                              ;   in Loop: Header=BB328_131 Depth=1
	v_bfe_u32 v6, v8, 16, 1
	v_add3_u32 v23, v8, v6, s28
; %bb.142:                              ;   in Loop: Header=BB328_131 Depth=1
	s_andn2_saveexec_b64 s[12:13], s[12:13]
; %bb.143:                              ;   in Loop: Header=BB328_131 Depth=1
	v_or_b32_e32 v6, 0x10000, v8
	v_cmp_eq_u32_sdwa vcc, v8, v17 src0_sel:WORD_0 src1_sel:DWORD
	v_cndmask_b32_e32 v23, v6, v8, vcc
; %bb.144:                              ;   in Loop: Header=BB328_131 Depth=1
	s_or_b64 exec, exec, s[12:13]
	v_and_b32_e32 v6, 0x7f800000, v9
	v_cmp_ne_u32_e32 vcc, s26, v6
                                        ; implicit-def: $vgpr22
	s_and_saveexec_b64 s[12:13], vcc
	s_xor_b64 s[12:13], exec, s[12:13]
; %bb.145:                              ;   in Loop: Header=BB328_131 Depth=1
	v_bfe_u32 v6, v9, 16, 1
	v_add3_u32 v22, v9, v6, s28
                                        ; implicit-def: $vgpr6_vgpr7_vgpr8_vgpr9
; %bb.146:                              ;   in Loop: Header=BB328_131 Depth=1
	s_andn2_saveexec_b64 s[12:13], s[12:13]
; %bb.147:                              ;   in Loop: Header=BB328_131 Depth=1
	v_or_b32_e32 v6, 0x10000, v9
	v_cmp_eq_u32_sdwa vcc, v9, v17 src0_sel:WORD_0 src1_sel:DWORD
	v_cndmask_b32_e32 v22, v6, v9, vcc
; %bb.148:                              ;   in Loop: Header=BB328_131 Depth=1
	s_or_b64 exec, exec, s[12:13]
	s_waitcnt lgkmcnt(0)
	v_and_b32_e32 v6, 0x7f800000, v2
	v_cmp_ne_u32_e32 vcc, s26, v6
                                        ; implicit-def: $vgpr9
	s_and_saveexec_b64 s[12:13], vcc
	s_xor_b64 s[12:13], exec, s[12:13]
; %bb.149:                              ;   in Loop: Header=BB328_131 Depth=1
	v_bfe_u32 v6, v2, 16, 1
	v_add3_u32 v9, v2, v6, s28
; %bb.150:                              ;   in Loop: Header=BB328_131 Depth=1
	s_andn2_saveexec_b64 s[12:13], s[12:13]
; %bb.151:                              ;   in Loop: Header=BB328_131 Depth=1
	v_or_b32_e32 v6, 0x10000, v2
	v_cmp_eq_u32_sdwa vcc, v2, v17 src0_sel:WORD_0 src1_sel:DWORD
	v_cndmask_b32_e32 v9, v6, v2, vcc
; %bb.152:                              ;   in Loop: Header=BB328_131 Depth=1
	s_or_b64 exec, exec, s[12:13]
	v_and_b32_e32 v2, 0x7f800000, v3
	v_cmp_ne_u32_e32 vcc, s26, v2
                                        ; implicit-def: $vgpr8
	s_and_saveexec_b64 s[12:13], vcc
	s_xor_b64 s[12:13], exec, s[12:13]
; %bb.153:                              ;   in Loop: Header=BB328_131 Depth=1
	v_bfe_u32 v2, v3, 16, 1
	v_add3_u32 v8, v3, v2, s28
; %bb.154:                              ;   in Loop: Header=BB328_131 Depth=1
	s_andn2_saveexec_b64 s[12:13], s[12:13]
; %bb.155:                              ;   in Loop: Header=BB328_131 Depth=1
	v_or_b32_e32 v2, 0x10000, v3
	v_cmp_eq_u32_sdwa vcc, v3, v17 src0_sel:WORD_0 src1_sel:DWORD
	v_cndmask_b32_e32 v8, v2, v3, vcc
; %bb.156:                              ;   in Loop: Header=BB328_131 Depth=1
	s_or_b64 exec, exec, s[12:13]
	v_and_b32_e32 v2, 0x7f800000, v4
	v_cmp_ne_u32_e32 vcc, s26, v2
                                        ; implicit-def: $vgpr7
	s_and_saveexec_b64 s[12:13], vcc
	s_xor_b64 s[12:13], exec, s[12:13]
; %bb.157:                              ;   in Loop: Header=BB328_131 Depth=1
	v_bfe_u32 v2, v4, 16, 1
	v_add3_u32 v7, v4, v2, s28
; %bb.158:                              ;   in Loop: Header=BB328_131 Depth=1
	s_andn2_saveexec_b64 s[12:13], s[12:13]
; %bb.159:                              ;   in Loop: Header=BB328_131 Depth=1
	v_or_b32_e32 v2, 0x10000, v4
	v_cmp_eq_u32_sdwa vcc, v4, v17 src0_sel:WORD_0 src1_sel:DWORD
	v_cndmask_b32_e32 v7, v2, v4, vcc
; %bb.160:                              ;   in Loop: Header=BB328_131 Depth=1
	s_or_b64 exec, exec, s[12:13]
	v_and_b32_e32 v2, 0x7f800000, v5
	v_cmp_ne_u32_e32 vcc, s26, v2
                                        ; implicit-def: $vgpr6
	s_and_saveexec_b64 s[12:13], vcc
	s_xor_b64 s[12:13], exec, s[12:13]
; %bb.161:                              ;   in Loop: Header=BB328_131 Depth=1
	v_bfe_u32 v2, v5, 16, 1
	v_add3_u32 v6, v5, v2, s28
                                        ; implicit-def: $vgpr2_vgpr3_vgpr4_vgpr5
; %bb.162:                              ;   in Loop: Header=BB328_131 Depth=1
	s_andn2_saveexec_b64 s[12:13], s[12:13]
; %bb.163:                              ;   in Loop: Header=BB328_131 Depth=1
	v_or_b32_e32 v2, 0x10000, v5
	v_cmp_eq_u32_sdwa vcc, v5, v17 src0_sel:WORD_0 src1_sel:DWORD
	v_cndmask_b32_e32 v6, v2, v5, vcc
; %bb.164:                              ;   in Loop: Header=BB328_131 Depth=1
	s_or_b64 exec, exec, s[12:13]
	s_waitcnt vmcnt(0)
	v_mad_i64_i32 v[2:3], s[12:13], v16, s21, v[12:13]
	global_load_dwordx2 v[2:3], v[2:3], off
	s_load_dword s31, s[18:19], 0x0
	v_mov_b32_e32 v4, 0
	s_waitcnt vmcnt(0)
	v_cmp_ne_u16_sdwa s[16:17], v2, v17 src0_sel:BYTE_0 src1_sel:DWORD
	s_and_saveexec_b64 s[12:13], s[16:17]
	s_cbranch_execz .LBB328_170
; %bb.165:                              ;   in Loop: Header=BB328_131 Depth=1
	v_cmp_ne_u16_sdwa s[22:23], v2, s29 src0_sel:BYTE_0 src1_sel:DWORD
	v_bfrev_b32_e32 v4, 1
	s_and_saveexec_b64 s[16:17], s[22:23]
	s_cbranch_execz .LBB328_169
; %bb.166:                              ;   in Loop: Header=BB328_131 Depth=1
	v_and_b32_e32 v5, 0x7f, v2
	v_cmp_ne_u32_e32 vcc, s30, v5
	v_mov_b32_e32 v4, 0x7f800001
	s_and_saveexec_b64 s[22:23], vcc
	s_cbranch_execz .LBB328_168
; %bb.167:                              ;   in Loop: Header=BB328_131 Depth=1
	v_and_b32_e32 v4, 7, v2
	v_ffbh_u32_e32 v4, v4
	v_min_u32_e32 v4, 32, v4
	v_lshrrev_b32_e32 v16, 3, v5
	v_subrev_u32_e32 v26, 28, v4
	v_sub_u32_e32 v4, 29, v4
	v_cmp_gt_u32_e32 vcc, 8, v5
	v_cndmask_b32_e32 v16, v16, v4, vcc
	v_cndmask_b32_e32 v4, 0, v26, vcc
	v_lshlrev_b64 v[4:5], v4, v[2:3]
	v_lshlrev_b32_e32 v4, 20, v4
	v_lshlrev_b32_e32 v5, 24, v2
	v_and_b32_e32 v4, 0x700000, v4
	v_and_b32_e32 v5, 0x80000000, v5
	v_lshl_add_u32 v16, v16, 23, v21
	v_or3_b32 v4, v5, v16, v4
.LBB328_168:                            ;   in Loop: Header=BB328_131 Depth=1
	s_or_b64 exec, exec, s[22:23]
.LBB328_169:                            ;   in Loop: Header=BB328_131 Depth=1
	s_or_b64 exec, exec, s[16:17]
.LBB328_170:                            ;   in Loop: Header=BB328_131 Depth=1
	s_or_b64 exec, exec, s[12:13]
	s_waitcnt lgkmcnt(0)
	v_mul_f32_e32 v4, s31, v4
	v_and_b32_e32 v5, 0x7f800000, v4
	v_cmp_ne_u32_e32 vcc, s26, v5
                                        ; implicit-def: $vgpr5
	s_and_saveexec_b64 s[12:13], vcc
	s_xor_b64 s[12:13], exec, s[12:13]
; %bb.171:                              ;   in Loop: Header=BB328_131 Depth=1
	v_bfe_u32 v5, v4, 16, 1
	v_add3_u32 v5, v4, v5, s28
                                        ; implicit-def: $vgpr4
; %bb.172:                              ;   in Loop: Header=BB328_131 Depth=1
	s_andn2_saveexec_b64 s[12:13], s[12:13]
; %bb.173:                              ;   in Loop: Header=BB328_131 Depth=1
	v_or_b32_e32 v5, 0x10000, v4
	v_cmp_eq_u32_sdwa vcc, v4, v17 src0_sel:WORD_0 src1_sel:DWORD
	v_cndmask_b32_e32 v5, v5, v4, vcc
; %bb.174:                              ;   in Loop: Header=BB328_131 Depth=1
	s_or_b64 exec, exec, s[12:13]
	v_lshrrev_b16_e32 v4, 8, v2
	v_cmp_ne_u16_e32 vcc, 0, v4
	v_mov_b32_e32 v16, 0
	s_and_saveexec_b64 s[12:13], vcc
	s_cbranch_execz .LBB328_180
; %bb.175:                              ;   in Loop: Header=BB328_131 Depth=1
	v_cmp_ne_u16_e32 vcc, s29, v4
	v_bfrev_b32_e32 v16, 1
	s_and_saveexec_b64 s[16:17], vcc
	s_cbranch_execz .LBB328_179
; %bb.176:                              ;   in Loop: Header=BB328_131 Depth=1
	v_and_b32_e32 v26, 0x7f, v4
	v_cmp_ne_u32_e32 vcc, s30, v26
	v_mov_b32_e32 v16, 0x7f800001
	s_and_saveexec_b64 s[22:23], vcc
	s_cbranch_execz .LBB328_178
; %bb.177:                              ;   in Loop: Header=BB328_131 Depth=1
	v_and_b32_e32 v16, 7, v4
	v_ffbh_u32_e32 v28, v16
	v_min_u32_e32 v30, 32, v28
	v_subrev_u32_e32 v28, 28, v30
	v_lshlrev_b64 v[28:29], v28, v[4:5]
	v_lshrrev_b32_e32 v27, 3, v26
	v_sub_u32_e32 v4, 29, v30
	v_and_b32_e32 v28, 7, v28
	v_cmp_gt_u32_e32 vcc, 8, v26
	v_cndmask_b32_e32 v4, v27, v4, vcc
	v_cndmask_b32_e32 v16, v16, v28, vcc
	v_lshlrev_b32_e32 v26, 16, v2
	v_lshlrev_b32_e32 v16, 20, v16
	v_and_b32_e32 v26, 0x80000000, v26
	v_lshl_add_u32 v4, v4, 23, v21
	v_or3_b32 v16, v26, v4, v16
.LBB328_178:                            ;   in Loop: Header=BB328_131 Depth=1
	s_or_b64 exec, exec, s[22:23]
.LBB328_179:                            ;   in Loop: Header=BB328_131 Depth=1
	s_or_b64 exec, exec, s[16:17]
.LBB328_180:                            ;   in Loop: Header=BB328_131 Depth=1
	s_or_b64 exec, exec, s[12:13]
	v_mul_f32_e32 v4, s31, v16
	v_and_b32_e32 v16, 0x7f800000, v4
	v_cmp_ne_u32_e32 vcc, s26, v16
                                        ; implicit-def: $vgpr26
	s_and_saveexec_b64 s[12:13], vcc
	s_xor_b64 s[12:13], exec, s[12:13]
; %bb.181:                              ;   in Loop: Header=BB328_131 Depth=1
	v_bfe_u32 v16, v4, 16, 1
	v_add3_u32 v26, v4, v16, s28
                                        ; implicit-def: $vgpr4
; %bb.182:                              ;   in Loop: Header=BB328_131 Depth=1
	s_andn2_saveexec_b64 s[12:13], s[12:13]
; %bb.183:                              ;   in Loop: Header=BB328_131 Depth=1
	v_or_b32_e32 v16, 0x10000, v4
	v_cmp_eq_u32_sdwa vcc, v4, v17 src0_sel:WORD_0 src1_sel:DWORD
	v_cndmask_b32_e32 v26, v16, v4, vcc
; %bb.184:                              ;   in Loop: Header=BB328_131 Depth=1
	s_or_b64 exec, exec, s[12:13]
	v_lshrrev_b32_e32 v4, 16, v2
	v_cmp_ne_u16_sdwa s[16:17], v4, v17 src0_sel:BYTE_0 src1_sel:DWORD
	v_mov_b32_e32 v16, 0
	s_and_saveexec_b64 s[12:13], s[16:17]
	s_cbranch_execz .LBB328_190
; %bb.185:                              ;   in Loop: Header=BB328_131 Depth=1
	v_cmp_ne_u16_sdwa s[22:23], v4, s29 src0_sel:BYTE_0 src1_sel:DWORD
	v_bfrev_b32_e32 v16, 1
	s_and_saveexec_b64 s[16:17], s[22:23]
	s_cbranch_execz .LBB328_189
; %bb.186:                              ;   in Loop: Header=BB328_131 Depth=1
	v_bfe_u32 v27, v2, 16, 7
	v_cmp_ne_u32_e32 vcc, s30, v27
	v_mov_b32_e32 v16, 0x7f800001
	s_and_saveexec_b64 s[22:23], vcc
	s_cbranch_execz .LBB328_188
; %bb.187:                              ;   in Loop: Header=BB328_131 Depth=1
	v_and_b32_e32 v16, 7, v4
	v_ffbh_u32_e32 v28, v16
	v_min_u32_e32 v31, 32, v28
	v_subrev_u32_e32 v28, 28, v31
	v_lshlrev_b64 v[28:29], v28, v[4:5]
	v_lshrrev_b32_e32 v30, 3, v27
	v_sub_u32_e32 v29, 29, v31
	v_and_b32_e32 v28, 7, v28
	v_cmp_gt_u32_e32 vcc, 8, v27
	v_cndmask_b32_e32 v27, v30, v29, vcc
	v_cndmask_b32_e32 v16, v16, v28, vcc
	v_lshlrev_b32_e32 v4, 24, v4
	v_lshlrev_b32_e32 v16, 20, v16
	v_and_b32_e32 v4, 0x80000000, v4
	v_lshl_add_u32 v27, v27, 23, v21
	v_or3_b32 v16, v4, v27, v16
.LBB328_188:                            ;   in Loop: Header=BB328_131 Depth=1
	s_or_b64 exec, exec, s[22:23]
.LBB328_189:                            ;   in Loop: Header=BB328_131 Depth=1
	s_or_b64 exec, exec, s[16:17]
.LBB328_190:                            ;   in Loop: Header=BB328_131 Depth=1
	s_or_b64 exec, exec, s[12:13]
	v_mul_f32_e32 v4, s31, v16
	v_and_b32_e32 v16, 0x7f800000, v4
	v_cmp_ne_u32_e32 vcc, s26, v16
                                        ; implicit-def: $vgpr27
	s_and_saveexec_b64 s[12:13], vcc
	s_xor_b64 s[12:13], exec, s[12:13]
; %bb.191:                              ;   in Loop: Header=BB328_131 Depth=1
	v_bfe_u32 v16, v4, 16, 1
	v_add3_u32 v27, v4, v16, s28
                                        ; implicit-def: $vgpr4
; %bb.192:                              ;   in Loop: Header=BB328_131 Depth=1
	s_andn2_saveexec_b64 s[12:13], s[12:13]
; %bb.193:                              ;   in Loop: Header=BB328_131 Depth=1
	v_or_b32_e32 v16, 0x10000, v4
	v_cmp_eq_u32_sdwa vcc, v4, v17 src0_sel:WORD_0 src1_sel:DWORD
	v_cndmask_b32_e32 v27, v16, v4, vcc
; %bb.194:                              ;   in Loop: Header=BB328_131 Depth=1
	s_or_b64 exec, exec, s[12:13]
	v_cmp_lt_u32_e32 vcc, s9, v2
	v_mov_b32_e32 v16, 0
	s_and_saveexec_b64 s[12:13], vcc
	s_cbranch_execz .LBB328_200
; %bb.195:                              ;   in Loop: Header=BB328_131 Depth=1
	v_lshrrev_b32_e32 v4, 24, v2
	v_cmp_ne_u32_e32 vcc, s29, v4
	v_bfrev_b32_e32 v16, 1
	s_and_saveexec_b64 s[16:17], vcc
	s_cbranch_execz .LBB328_199
; %bb.196:                              ;   in Loop: Header=BB328_131 Depth=1
	v_bfe_u32 v28, v2, 24, 7
	v_cmp_ne_u32_e32 vcc, s30, v28
	v_mov_b32_e32 v16, 0x7f800001
	s_and_saveexec_b64 s[22:23], vcc
	s_cbranch_execz .LBB328_198
; %bb.197:                              ;   in Loop: Header=BB328_131 Depth=1
	v_and_b32_e32 v16, 7, v4
	v_ffbh_u32_e32 v30, v16
	v_min_u32_e32 v32, 32, v30
	v_subrev_u32_e32 v30, 28, v32
	v_lshlrev_b64 v[30:31], v30, v[4:5]
	v_lshrrev_b32_e32 v29, 3, v28
	v_sub_u32_e32 v31, 29, v32
	v_and_b32_e32 v30, 7, v30
	v_cmp_gt_u32_e32 vcc, 8, v28
	v_cndmask_b32_e32 v28, v29, v31, vcc
	v_cndmask_b32_e32 v16, v16, v30, vcc
	v_lshlrev_b32_e32 v4, 24, v4
	v_lshlrev_b32_e32 v16, 20, v16
	v_and_b32_e32 v4, 0x80000000, v4
	v_lshl_add_u32 v28, v28, 23, v21
	v_or3_b32 v16, v4, v28, v16
.LBB328_198:                            ;   in Loop: Header=BB328_131 Depth=1
	s_or_b64 exec, exec, s[22:23]
.LBB328_199:                            ;   in Loop: Header=BB328_131 Depth=1
	s_or_b64 exec, exec, s[16:17]
.LBB328_200:                            ;   in Loop: Header=BB328_131 Depth=1
	s_or_b64 exec, exec, s[12:13]
	v_mul_f32_e32 v4, s31, v16
	v_and_b32_e32 v16, 0x7f800000, v4
	v_cmp_ne_u32_e32 vcc, s26, v16
                                        ; implicit-def: $vgpr28
	s_and_saveexec_b64 s[12:13], vcc
	s_xor_b64 s[12:13], exec, s[12:13]
; %bb.201:                              ;   in Loop: Header=BB328_131 Depth=1
	v_bfe_u32 v16, v4, 16, 1
	v_add3_u32 v28, v4, v16, s28
                                        ; implicit-def: $vgpr4
; %bb.202:                              ;   in Loop: Header=BB328_131 Depth=1
	s_andn2_saveexec_b64 s[12:13], s[12:13]
; %bb.203:                              ;   in Loop: Header=BB328_131 Depth=1
	v_or_b32_e32 v16, 0x10000, v4
	v_cmp_eq_u32_sdwa vcc, v4, v17 src0_sel:WORD_0 src1_sel:DWORD
	v_cndmask_b32_e32 v28, v16, v4, vcc
; %bb.204:                              ;   in Loop: Header=BB328_131 Depth=1
	s_or_b64 exec, exec, s[12:13]
	v_mov_b32_e32 v16, v3
	v_cmp_ne_u16_sdwa s[16:17], v3, v17 src0_sel:BYTE_0 src1_sel:DWORD
	v_mov_b32_e32 v4, 0
	s_and_saveexec_b64 s[12:13], s[16:17]
	s_cbranch_execz .LBB328_210
; %bb.205:                              ;   in Loop: Header=BB328_131 Depth=1
	v_cmp_ne_u16_sdwa s[22:23], v3, s29 src0_sel:BYTE_0 src1_sel:DWORD
	v_bfrev_b32_e32 v4, 1
	s_and_saveexec_b64 s[16:17], s[22:23]
	s_cbranch_execz .LBB328_209
; %bb.206:                              ;   in Loop: Header=BB328_131 Depth=1
	v_and_b32_e32 v29, 0x7f, v3
	v_cmp_ne_u32_e32 vcc, s30, v29
	v_mov_b32_e32 v4, 0x7f800001
	s_and_saveexec_b64 s[22:23], vcc
	s_cbranch_execz .LBB328_208
; %bb.207:                              ;   in Loop: Header=BB328_131 Depth=1
	v_and_b32_e32 v4, 7, v3
	v_ffbh_u32_e32 v4, v4
	v_min_u32_e32 v4, 32, v4
	v_subrev_u32_e32 v31, 28, v4
	v_cmp_gt_u32_e32 vcc, 8, v29
	v_lshrrev_b32_e32 v30, 3, v29
	v_sub_u32_e32 v4, 29, v4
	v_cndmask_b32_e32 v29, 0, v31, vcc
	v_cndmask_b32_e32 v4, v30, v4, vcc
	v_lshlrev_b64 v[30:31], v29, v[16:17]
	v_lshlrev_b32_e32 v29, 20, v30
	v_lshlrev_b32_e32 v30, 24, v16
	v_and_b32_e32 v29, 0x700000, v29
	v_and_b32_e32 v30, 0x80000000, v30
	v_lshl_add_u32 v4, v4, 23, v21
	v_or3_b32 v4, v30, v4, v29
.LBB328_208:                            ;   in Loop: Header=BB328_131 Depth=1
	s_or_b64 exec, exec, s[22:23]
.LBB328_209:                            ;   in Loop: Header=BB328_131 Depth=1
	s_or_b64 exec, exec, s[16:17]
.LBB328_210:                            ;   in Loop: Header=BB328_131 Depth=1
	s_or_b64 exec, exec, s[12:13]
	v_mul_f32_e32 v4, s31, v4
	v_and_b32_e32 v29, 0x7f800000, v4
	v_cmp_ne_u32_e32 vcc, s26, v29
                                        ; implicit-def: $vgpr29
	s_and_saveexec_b64 s[12:13], vcc
	s_xor_b64 s[12:13], exec, s[12:13]
; %bb.211:                              ;   in Loop: Header=BB328_131 Depth=1
	v_bfe_u32 v29, v4, 16, 1
	v_add3_u32 v29, v4, v29, s28
                                        ; implicit-def: $vgpr4
; %bb.212:                              ;   in Loop: Header=BB328_131 Depth=1
	s_andn2_saveexec_b64 s[12:13], s[12:13]
; %bb.213:                              ;   in Loop: Header=BB328_131 Depth=1
	v_or_b32_e32 v29, 0x10000, v4
	v_cmp_eq_u32_sdwa vcc, v4, v17 src0_sel:WORD_0 src1_sel:DWORD
	v_cndmask_b32_e32 v29, v29, v4, vcc
; %bb.214:                              ;   in Loop: Header=BB328_131 Depth=1
	s_or_b64 exec, exec, s[12:13]
	v_lshrrev_b16_e32 v4, 8, v16
	v_cmp_ne_u16_e32 vcc, 0, v4
	v_mov_b32_e32 v30, 0
	s_and_saveexec_b64 s[12:13], vcc
	s_cbranch_execz .LBB328_220
; %bb.215:                              ;   in Loop: Header=BB328_131 Depth=1
	v_cmp_ne_u16_e32 vcc, s29, v4
	v_bfrev_b32_e32 v30, 1
	s_and_saveexec_b64 s[16:17], vcc
	s_cbranch_execz .LBB328_219
; %bb.216:                              ;   in Loop: Header=BB328_131 Depth=1
	v_and_b32_e32 v31, 0x7f, v4
	v_cmp_ne_u32_e32 vcc, s30, v31
	v_mov_b32_e32 v30, 0x7f800001
	s_and_saveexec_b64 s[22:23], vcc
	s_cbranch_execz .LBB328_218
; %bb.217:                              ;   in Loop: Header=BB328_131 Depth=1
	v_and_b32_e32 v30, 7, v4
	v_ffbh_u32_e32 v32, v30
	v_min_u32_e32 v35, 32, v32
	v_subrev_u32_e32 v32, 28, v35
	v_lshlrev_b64 v[32:33], v32, v[4:5]
	v_lshrrev_b32_e32 v34, 3, v31
	v_sub_u32_e32 v4, 29, v35
	v_and_b32_e32 v32, 7, v32
	v_cmp_gt_u32_e32 vcc, 8, v31
	v_cndmask_b32_e32 v4, v34, v4, vcc
	v_cndmask_b32_e32 v30, v30, v32, vcc
	v_lshlrev_b32_e32 v16, 16, v16
	v_lshlrev_b32_e32 v30, 20, v30
	v_and_b32_e32 v16, 0x80000000, v16
	v_lshl_add_u32 v4, v4, 23, v21
	v_or3_b32 v30, v16, v4, v30
.LBB328_218:                            ;   in Loop: Header=BB328_131 Depth=1
	s_or_b64 exec, exec, s[22:23]
.LBB328_219:                            ;   in Loop: Header=BB328_131 Depth=1
	s_or_b64 exec, exec, s[16:17]
.LBB328_220:                            ;   in Loop: Header=BB328_131 Depth=1
	s_or_b64 exec, exec, s[12:13]
	v_mul_f32_e32 v4, s31, v30
	v_and_b32_e32 v16, 0x7f800000, v4
	v_cmp_ne_u32_e32 vcc, s26, v16
                                        ; implicit-def: $vgpr16
	s_and_saveexec_b64 s[12:13], vcc
	s_xor_b64 s[12:13], exec, s[12:13]
; %bb.221:                              ;   in Loop: Header=BB328_131 Depth=1
	v_bfe_u32 v16, v4, 16, 1
	v_add3_u32 v16, v4, v16, s28
                                        ; implicit-def: $vgpr4
; %bb.222:                              ;   in Loop: Header=BB328_131 Depth=1
	s_andn2_saveexec_b64 s[12:13], s[12:13]
; %bb.223:                              ;   in Loop: Header=BB328_131 Depth=1
	v_or_b32_e32 v16, 0x10000, v4
	v_cmp_eq_u32_sdwa vcc, v4, v17 src0_sel:WORD_0 src1_sel:DWORD
	v_cndmask_b32_e32 v16, v16, v4, vcc
; %bb.224:                              ;   in Loop: Header=BB328_131 Depth=1
	s_or_b64 exec, exec, s[12:13]
	v_lshrrev_b32_e32 v4, 16, v3
	v_cmp_ne_u16_sdwa s[16:17], v4, v17 src0_sel:BYTE_0 src1_sel:DWORD
	v_mov_b32_e32 v30, 0
	s_and_saveexec_b64 s[12:13], s[16:17]
	s_cbranch_execz .LBB328_230
; %bb.225:                              ;   in Loop: Header=BB328_131 Depth=1
	v_cmp_ne_u16_sdwa s[22:23], v4, s29 src0_sel:BYTE_0 src1_sel:DWORD
	v_bfrev_b32_e32 v30, 1
	s_and_saveexec_b64 s[16:17], s[22:23]
	s_cbranch_execz .LBB328_229
; %bb.226:                              ;   in Loop: Header=BB328_131 Depth=1
	v_bfe_u32 v31, v3, 16, 7
	v_cmp_ne_u32_e32 vcc, s30, v31
	v_mov_b32_e32 v30, 0x7f800001
	s_and_saveexec_b64 s[22:23], vcc
	s_cbranch_execz .LBB328_228
; %bb.227:                              ;   in Loop: Header=BB328_131 Depth=1
	v_and_b32_e32 v30, 7, v4
	v_ffbh_u32_e32 v32, v30
	v_min_u32_e32 v35, 32, v32
	v_subrev_u32_e32 v32, 28, v35
	v_lshlrev_b64 v[32:33], v32, v[4:5]
	v_lshrrev_b32_e32 v34, 3, v31
	v_sub_u32_e32 v33, 29, v35
	v_and_b32_e32 v32, 7, v32
	v_cmp_gt_u32_e32 vcc, 8, v31
	v_cndmask_b32_e32 v31, v34, v33, vcc
	v_cndmask_b32_e32 v30, v30, v32, vcc
	v_lshlrev_b32_e32 v4, 24, v4
	v_lshlrev_b32_e32 v30, 20, v30
	v_and_b32_e32 v4, 0x80000000, v4
	v_lshl_add_u32 v31, v31, 23, v21
	v_or3_b32 v30, v4, v31, v30
.LBB328_228:                            ;   in Loop: Header=BB328_131 Depth=1
	s_or_b64 exec, exec, s[22:23]
.LBB328_229:                            ;   in Loop: Header=BB328_131 Depth=1
	s_or_b64 exec, exec, s[16:17]
.LBB328_230:                            ;   in Loop: Header=BB328_131 Depth=1
	s_or_b64 exec, exec, s[12:13]
	v_mul_f32_e32 v30, s31, v30
	v_and_b32_e32 v4, 0x7f800000, v30
	v_cmp_ne_u32_e32 vcc, s26, v4
                                        ; implicit-def: $vgpr4
	s_and_saveexec_b64 s[12:13], vcc
	s_xor_b64 s[12:13], exec, s[12:13]
; %bb.231:                              ;   in Loop: Header=BB328_131 Depth=1
	v_bfe_u32 v4, v30, 16, 1
	v_add3_u32 v4, v30, v4, s28
                                        ; implicit-def: $vgpr30
; %bb.232:                              ;   in Loop: Header=BB328_131 Depth=1
	s_andn2_saveexec_b64 s[12:13], s[12:13]
; %bb.233:                              ;   in Loop: Header=BB328_131 Depth=1
	v_or_b32_e32 v4, 0x10000, v30
	v_cmp_eq_u32_sdwa vcc, v30, v17 src0_sel:WORD_0 src1_sel:DWORD
	v_cndmask_b32_e32 v4, v4, v30, vcc
; %bb.234:                              ;   in Loop: Header=BB328_131 Depth=1
	s_or_b64 exec, exec, s[12:13]
	v_cmp_lt_u64_e32 vcc, s[8:9], v[2:3]
	v_mov_b32_e32 v30, 0
	s_and_saveexec_b64 s[12:13], vcc
	s_cbranch_execz .LBB328_240
; %bb.235:                              ;   in Loop: Header=BB328_131 Depth=1
	v_lshrrev_b32_e32 v2, 24, v3
	v_cmp_ne_u32_e32 vcc, s29, v2
	v_bfrev_b32_e32 v30, 1
	s_and_saveexec_b64 s[16:17], vcc
	s_cbranch_execz .LBB328_239
; %bb.236:                              ;   in Loop: Header=BB328_131 Depth=1
	v_bfe_u32 v3, v3, 24, 7
	v_cmp_ne_u32_e32 vcc, s30, v3
	v_mov_b32_e32 v30, 0x7f800001
	s_and_saveexec_b64 s[22:23], vcc
	s_cbranch_execz .LBB328_238
; %bb.237:                              ;   in Loop: Header=BB328_131 Depth=1
	v_and_b32_e32 v32, 7, v2
	v_ffbh_u32_e32 v30, v32
	v_min_u32_e32 v34, 32, v30
	v_subrev_u32_e32 v30, 28, v34
	v_lshlrev_b64 v[30:31], v30, v[2:3]
	v_lshrrev_b32_e32 v33, 3, v3
	v_sub_u32_e32 v31, 29, v34
	v_and_b32_e32 v30, 7, v30
	v_cmp_gt_u32_e32 vcc, 8, v3
	v_cndmask_b32_e32 v3, v33, v31, vcc
	v_cndmask_b32_e32 v30, v32, v30, vcc
	v_lshlrev_b32_e32 v2, 24, v2
	v_lshlrev_b32_e32 v30, 20, v30
	v_and_b32_e32 v2, 0x80000000, v2
	v_lshl_add_u32 v3, v3, 23, v21
	v_or3_b32 v30, v2, v3, v30
.LBB328_238:                            ;   in Loop: Header=BB328_131 Depth=1
	s_or_b64 exec, exec, s[22:23]
.LBB328_239:                            ;   in Loop: Header=BB328_131 Depth=1
	s_or_b64 exec, exec, s[16:17]
.LBB328_240:                            ;   in Loop: Header=BB328_131 Depth=1
	s_or_b64 exec, exec, s[12:13]
	v_mul_f32_e32 v3, s31, v30
	v_and_b32_e32 v2, 0x7f800000, v3
	v_cmp_ne_u32_e32 vcc, s26, v2
                                        ; implicit-def: $vgpr2
	s_and_saveexec_b64 s[12:13], vcc
	s_xor_b64 s[12:13], exec, s[12:13]
; %bb.241:                              ;   in Loop: Header=BB328_131 Depth=1
	v_bfe_u32 v2, v3, 16, 1
	v_add3_u32 v2, v3, v2, s28
                                        ; implicit-def: $vgpr3
; %bb.242:                              ;   in Loop: Header=BB328_131 Depth=1
	s_andn2_saveexec_b64 s[12:13], s[12:13]
; %bb.243:                              ;   in Loop: Header=BB328_131 Depth=1
	v_or_b32_e32 v2, 0x10000, v3
	v_cmp_eq_u32_sdwa vcc, v3, v17 src0_sel:WORD_0 src1_sel:DWORD
	v_cndmask_b32_e32 v2, v2, v3, vcc
; %bb.244:                              ;   in Loop: Header=BB328_131 Depth=1
	s_or_b64 exec, exec, s[12:13]
	v_lshrrev_b32_e32 v16, 16, v16
	v_lshrrev_b32_e32 v29, 16, v29
	;; [unrolled: 1-line block ×8, first 2 shown]
	v_cmp_eq_u32_e32 vcc, s55, v10
	s_and_saveexec_b64 s[12:13], vcc
	s_cbranch_execz .LBB328_246
; %bb.245:                              ;   in Loop: Header=BB328_131 Depth=1
	v_cmp_gt_i32_e32 vcc, s33, v1
	v_add_u32_e32 v5, 1, v1
	v_cndmask_b32_e32 v3, 0, v3, vcc
	v_cmp_gt_i32_e32 vcc, s33, v5
	v_add_u32_e32 v5, 2, v1
	v_cndmask_b32_e32 v26, 0, v26, vcc
	;; [unrolled: 3-line block ×7, first 2 shown]
	v_cmp_gt_i32_e32 vcc, s33, v5
	v_cndmask_b32_e32 v2, 0, v2, vcc
.LBB328_246:                            ;   in Loop: Header=BB328_131 Depth=1
	s_or_b64 exec, exec, s[12:13]
	v_and_b32_e32 v5, 0xffff0000, v25
	v_lshlrev_b32_e32 v3, 16, v3
	v_mul_f32_e32 v5, v5, v3
	v_and_b32_e32 v3, 0x7f800000, v5
	v_cmp_ne_u32_e32 vcc, s26, v3
                                        ; implicit-def: $vgpr3
	s_and_saveexec_b64 s[12:13], vcc
	s_xor_b64 s[12:13], exec, s[12:13]
; %bb.247:                              ;   in Loop: Header=BB328_131 Depth=1
	v_bfe_u32 v3, v5, 16, 1
	v_add3_u32 v3, v5, v3, s28
                                        ; implicit-def: $vgpr5
; %bb.248:                              ;   in Loop: Header=BB328_131 Depth=1
	s_andn2_saveexec_b64 s[12:13], s[12:13]
; %bb.249:                              ;   in Loop: Header=BB328_131 Depth=1
	v_or_b32_e32 v3, 0x10000, v5
	v_cmp_eq_u32_sdwa vcc, v5, v17 src0_sel:WORD_0 src1_sel:DWORD
	v_cndmask_b32_e32 v3, v3, v5, vcc
; %bb.250:                              ;   in Loop: Header=BB328_131 Depth=1
	s_or_b64 exec, exec, s[12:13]
	v_and_b32_e32 v5, 0xffff0000, v24
	v_lshlrev_b32_e32 v24, 16, v26
	v_mul_f32_e32 v24, v5, v24
	v_and_b32_e32 v5, 0x7f800000, v24
	v_cmp_ne_u32_e32 vcc, s26, v5
                                        ; implicit-def: $vgpr5
	s_and_saveexec_b64 s[12:13], vcc
	s_xor_b64 s[12:13], exec, s[12:13]
; %bb.251:                              ;   in Loop: Header=BB328_131 Depth=1
	v_bfe_u32 v5, v24, 16, 1
	v_add3_u32 v5, v24, v5, s28
                                        ; implicit-def: $vgpr24
; %bb.252:                              ;   in Loop: Header=BB328_131 Depth=1
	s_andn2_saveexec_b64 s[12:13], s[12:13]
; %bb.253:                              ;   in Loop: Header=BB328_131 Depth=1
	v_or_b32_e32 v5, 0x10000, v24
	v_cmp_eq_u32_sdwa vcc, v24, v17 src0_sel:WORD_0 src1_sel:DWORD
	v_cndmask_b32_e32 v5, v5, v24, vcc
; %bb.254:                              ;   in Loop: Header=BB328_131 Depth=1
	s_or_b64 exec, exec, s[12:13]
	v_and_b32_e32 v23, 0xffff0000, v23
	v_lshlrev_b32_e32 v24, 16, v27
	v_mul_f32_e32 v24, v23, v24
	v_and_b32_e32 v23, 0x7f800000, v24
	v_cmp_ne_u32_e32 vcc, s26, v23
                                        ; implicit-def: $vgpr23
	s_and_saveexec_b64 s[12:13], vcc
	s_xor_b64 s[12:13], exec, s[12:13]
; %bb.255:                              ;   in Loop: Header=BB328_131 Depth=1
	v_bfe_u32 v23, v24, 16, 1
	v_add3_u32 v23, v24, v23, s28
                                        ; implicit-def: $vgpr24
; %bb.256:                              ;   in Loop: Header=BB328_131 Depth=1
	s_andn2_saveexec_b64 s[12:13], s[12:13]
; %bb.257:                              ;   in Loop: Header=BB328_131 Depth=1
	v_or_b32_e32 v23, 0x10000, v24
	v_cmp_eq_u32_sdwa vcc, v24, v17 src0_sel:WORD_0 src1_sel:DWORD
	v_cndmask_b32_e32 v23, v23, v24, vcc
; %bb.258:                              ;   in Loop: Header=BB328_131 Depth=1
	s_or_b64 exec, exec, s[12:13]
	v_and_b32_e32 v22, 0xffff0000, v22
	v_lshlrev_b32_e32 v24, 16, v28
	v_mul_f32_e32 v24, v22, v24
	v_and_b32_e32 v22, 0x7f800000, v24
	v_cmp_ne_u32_e32 vcc, s26, v22
                                        ; implicit-def: $vgpr22
	s_and_saveexec_b64 s[12:13], vcc
	s_xor_b64 s[12:13], exec, s[12:13]
; %bb.259:                              ;   in Loop: Header=BB328_131 Depth=1
	v_bfe_u32 v22, v24, 16, 1
	v_add3_u32 v22, v24, v22, s28
                                        ; implicit-def: $vgpr24
; %bb.260:                              ;   in Loop: Header=BB328_131 Depth=1
	s_andn2_saveexec_b64 s[12:13], s[12:13]
; %bb.261:                              ;   in Loop: Header=BB328_131 Depth=1
	v_or_b32_e32 v22, 0x10000, v24
	v_cmp_eq_u32_sdwa vcc, v24, v17 src0_sel:WORD_0 src1_sel:DWORD
	v_cndmask_b32_e32 v22, v22, v24, vcc
; %bb.262:                              ;   in Loop: Header=BB328_131 Depth=1
	s_or_b64 exec, exec, s[12:13]
	v_and_b32_e32 v9, 0xffff0000, v9
	v_lshlrev_b32_e32 v24, 16, v29
	v_mul_f32_e32 v24, v9, v24
	v_and_b32_e32 v9, 0x7f800000, v24
	v_cmp_ne_u32_e32 vcc, s26, v9
                                        ; implicit-def: $vgpr9
	s_and_saveexec_b64 s[12:13], vcc
	s_xor_b64 s[12:13], exec, s[12:13]
; %bb.263:                              ;   in Loop: Header=BB328_131 Depth=1
	v_bfe_u32 v9, v24, 16, 1
	v_add3_u32 v9, v24, v9, s28
                                        ; implicit-def: $vgpr24
; %bb.264:                              ;   in Loop: Header=BB328_131 Depth=1
	s_andn2_saveexec_b64 s[12:13], s[12:13]
; %bb.265:                              ;   in Loop: Header=BB328_131 Depth=1
	v_or_b32_e32 v9, 0x10000, v24
	v_cmp_eq_u32_sdwa vcc, v24, v17 src0_sel:WORD_0 src1_sel:DWORD
	v_cndmask_b32_e32 v9, v9, v24, vcc
; %bb.266:                              ;   in Loop: Header=BB328_131 Depth=1
	s_or_b64 exec, exec, s[12:13]
	v_and_b32_e32 v8, 0xffff0000, v8
	v_lshlrev_b32_e32 v16, 16, v16
	v_mul_f32_e32 v16, v8, v16
	v_and_b32_e32 v8, 0x7f800000, v16
	v_cmp_ne_u32_e32 vcc, s26, v8
                                        ; implicit-def: $vgpr8
	s_and_saveexec_b64 s[12:13], vcc
	s_xor_b64 s[12:13], exec, s[12:13]
; %bb.267:                              ;   in Loop: Header=BB328_131 Depth=1
	v_bfe_u32 v8, v16, 16, 1
	v_add3_u32 v8, v16, v8, s28
                                        ; implicit-def: $vgpr16
; %bb.268:                              ;   in Loop: Header=BB328_131 Depth=1
	s_andn2_saveexec_b64 s[12:13], s[12:13]
; %bb.269:                              ;   in Loop: Header=BB328_131 Depth=1
	v_or_b32_e32 v8, 0x10000, v16
	v_cmp_eq_u32_sdwa vcc, v16, v17 src0_sel:WORD_0 src1_sel:DWORD
	v_cndmask_b32_e32 v8, v8, v16, vcc
; %bb.270:                              ;   in Loop: Header=BB328_131 Depth=1
	s_or_b64 exec, exec, s[12:13]
	v_and_b32_e32 v7, 0xffff0000, v7
	v_lshlrev_b32_e32 v4, 16, v4
	v_mul_f32_e32 v7, v7, v4
	v_and_b32_e32 v4, 0x7f800000, v7
	v_cmp_ne_u32_e32 vcc, s26, v4
                                        ; implicit-def: $vgpr4
	s_and_saveexec_b64 s[12:13], vcc
	s_xor_b64 s[12:13], exec, s[12:13]
; %bb.271:                              ;   in Loop: Header=BB328_131 Depth=1
	v_bfe_u32 v4, v7, 16, 1
	v_add3_u32 v4, v7, v4, s28
                                        ; implicit-def: $vgpr7
; %bb.272:                              ;   in Loop: Header=BB328_131 Depth=1
	s_andn2_saveexec_b64 s[12:13], s[12:13]
; %bb.273:                              ;   in Loop: Header=BB328_131 Depth=1
	v_or_b32_e32 v4, 0x10000, v7
	v_cmp_eq_u32_sdwa vcc, v7, v17 src0_sel:WORD_0 src1_sel:DWORD
	v_cndmask_b32_e32 v4, v4, v7, vcc
; %bb.274:                              ;   in Loop: Header=BB328_131 Depth=1
	s_or_b64 exec, exec, s[12:13]
	v_and_b32_e32 v6, 0xffff0000, v6
	v_lshlrev_b32_e32 v2, 16, v2
	v_mul_f32_e32 v2, v6, v2
	v_and_b32_e32 v6, 0x7f800000, v2
	v_cmp_ne_u32_e32 vcc, s26, v6
                                        ; implicit-def: $vgpr6
	s_and_saveexec_b64 s[12:13], vcc
	s_xor_b64 s[12:13], exec, s[12:13]
; %bb.275:                              ;   in Loop: Header=BB328_131 Depth=1
	v_bfe_u32 v6, v2, 16, 1
	v_add3_u32 v6, v2, v6, s28
                                        ; implicit-def: $vgpr2
; %bb.276:                              ;   in Loop: Header=BB328_131 Depth=1
	s_andn2_saveexec_b64 s[12:13], s[12:13]
	s_cbranch_execz .LBB328_129
; %bb.277:                              ;   in Loop: Header=BB328_131 Depth=1
	v_or_b32_e32 v6, 0x10000, v2
	v_cmp_eq_u32_sdwa vcc, v2, v17 src0_sel:WORD_0 src1_sel:DWORD
	v_cndmask_b32_e32 v6, v6, v2, vcc
	s_branch .LBB328_129
.LBB328_278:
	s_or_b64 exec, exec, s[10:11]
.LBB328_279:
	s_or_b64 exec, exec, s[6:7]
	v_and_b32_e32 v0, 0x3c0, v0
	v_cmp_eq_u32_e32 vcc, 64, v0
	s_barrier
	s_and_saveexec_b64 s[2:3], vcc
	s_cbranch_execz .LBB328_281
; %bb.280:
	v_mov_b32_e32 v0, 0x90
	v_lshl_add_u32 v0, v18, 2, v0
	ds_write_b32 v0, v19
.LBB328_281:
	s_or_b64 exec, exec, s[2:3]
	s_waitcnt lgkmcnt(0)
	s_barrier
	s_and_saveexec_b64 s[2:3], s[0:1]
	s_cbranch_execz .LBB328_283
; %bb.282:
	v_mov_b32_e32 v0, 0x90
	v_lshl_add_u32 v0, v18, 2, v0
	ds_read_b32 v0, v0
	s_waitcnt lgkmcnt(0)
	v_add_f32_e32 v19, v19, v0
.LBB328_283:
	s_or_b64 exec, exec, s[2:3]
	s_barrier
	s_and_saveexec_b64 s[2:3], s[0:1]
	s_cbranch_execz .LBB328_289
; %bb.284:
	s_mov_b32 s0, 0x7f800000
	v_and_b32_e32 v0, 0x7f800000, v19
	v_cmp_ne_u32_e32 vcc, s0, v0
                                        ; implicit-def: $vgpr0
	s_and_saveexec_b64 s[0:1], vcc
	s_xor_b64 s[0:1], exec, s[0:1]
; %bb.285:
	v_bfe_u32 v0, v19, 16, 1
	s_movk_i32 s2, 0x7fff
	v_add3_u32 v0, v19, v0, s2
                                        ; implicit-def: $vgpr19
; %bb.286:
	s_andn2_saveexec_b64 s[0:1], s[0:1]
; %bb.287:
	v_mov_b32_e32 v0, 0
	v_or_b32_e32 v1, 0x10000, v19
	v_cmp_eq_u32_sdwa vcc, v19, v0 src0_sel:WORD_0 src1_sel:DWORD
	v_cndmask_b32_e32 v0, v1, v19, vcc
; %bb.288:
	s_or_b64 exec, exec, s[0:1]
	s_lshl_b32 s0, s4, 6
	s_ashr_i32 s1, s0, 31
	s_lshl_b64 s[0:1], s[0:1], 1
	s_add_u32 s2, s34, s0
	s_mul_i32 s0, s15, s14
	s_addc_u32 s3, s35, s1
	s_ashr_i32 s1, s0, 31
	s_lshl_b64 s[0:1], s[0:1], 1
	s_add_u32 s2, s2, s0
	s_addc_u32 s3, s3, s1
	s_ashr_i32 s21, s20, 31
	s_lshl_b64 s[0:1], s[20:21], 1
	s_add_u32 s0, s2, s0
	s_addc_u32 s1, s3, s1
	v_lshlrev_b32_e32 v1, 1, v18
	global_store_short_d16_hi v1, v0, s[0:1]
.LBB328_289:
	s_endpgm
	.section	.rodata,"a",@progbits
	.p2align	6, 0x0
	.amdhsa_kernel _ZN4vllm25paged_attention_v2_kernelI14__hip_bfloat16hLi64ELi8ELi128ELNS_18Fp8KVCacheDataTypeE1ELb1ELi512EEEvPfS3_PT_PKS4_PKT0_SA_ifPKiSC_iPKfiiiSE_SE_iiiii
		.amdhsa_group_segment_fixed_size 144
		.amdhsa_private_segment_fixed_size 0
		.amdhsa_kernarg_size 400
		.amdhsa_user_sgpr_count 6
		.amdhsa_user_sgpr_private_segment_buffer 1
		.amdhsa_user_sgpr_dispatch_ptr 0
		.amdhsa_user_sgpr_queue_ptr 0
		.amdhsa_user_sgpr_kernarg_segment_ptr 1
		.amdhsa_user_sgpr_dispatch_id 0
		.amdhsa_user_sgpr_flat_scratch_init 0
		.amdhsa_user_sgpr_kernarg_preload_length 0
		.amdhsa_user_sgpr_kernarg_preload_offset 0
		.amdhsa_user_sgpr_private_segment_size 0
		.amdhsa_uses_dynamic_stack 0
		.amdhsa_system_sgpr_private_segment_wavefront_offset 0
		.amdhsa_system_sgpr_workgroup_id_x 1
		.amdhsa_system_sgpr_workgroup_id_y 1
		.amdhsa_system_sgpr_workgroup_id_z 1
		.amdhsa_system_sgpr_workgroup_info 0
		.amdhsa_system_vgpr_workitem_id 0
		.amdhsa_next_free_vgpr 43
		.amdhsa_next_free_sgpr 67
		.amdhsa_accum_offset 44
		.amdhsa_reserve_vcc 1
		.amdhsa_reserve_flat_scratch 0
		.amdhsa_float_round_mode_32 0
		.amdhsa_float_round_mode_16_64 0
		.amdhsa_float_denorm_mode_32 3
		.amdhsa_float_denorm_mode_16_64 3
		.amdhsa_dx10_clamp 1
		.amdhsa_ieee_mode 1
		.amdhsa_fp16_overflow 0
		.amdhsa_tg_split 0
		.amdhsa_exception_fp_ieee_invalid_op 0
		.amdhsa_exception_fp_denorm_src 0
		.amdhsa_exception_fp_ieee_div_zero 0
		.amdhsa_exception_fp_ieee_overflow 0
		.amdhsa_exception_fp_ieee_underflow 0
		.amdhsa_exception_fp_ieee_inexact 0
		.amdhsa_exception_int_div_zero 0
	.end_amdhsa_kernel
	.section	.text._ZN4vllm25paged_attention_v2_kernelI14__hip_bfloat16hLi64ELi8ELi128ELNS_18Fp8KVCacheDataTypeE1ELb1ELi512EEEvPfS3_PT_PKS4_PKT0_SA_ifPKiSC_iPKfiiiSE_SE_iiiii,"axG",@progbits,_ZN4vllm25paged_attention_v2_kernelI14__hip_bfloat16hLi64ELi8ELi128ELNS_18Fp8KVCacheDataTypeE1ELb1ELi512EEEvPfS3_PT_PKS4_PKT0_SA_ifPKiSC_iPKfiiiSE_SE_iiiii,comdat
.Lfunc_end328:
	.size	_ZN4vllm25paged_attention_v2_kernelI14__hip_bfloat16hLi64ELi8ELi128ELNS_18Fp8KVCacheDataTypeE1ELb1ELi512EEEvPfS3_PT_PKS4_PKT0_SA_ifPKiSC_iPKfiiiSE_SE_iiiii, .Lfunc_end328-_ZN4vllm25paged_attention_v2_kernelI14__hip_bfloat16hLi64ELi8ELi128ELNS_18Fp8KVCacheDataTypeE1ELb1ELi512EEEvPfS3_PT_PKS4_PKT0_SA_ifPKiSC_iPKfiiiSE_SE_iiiii
                                        ; -- End function
	.section	.AMDGPU.csdata,"",@progbits
; Kernel info:
; codeLenInByte = 9424
; NumSgprs: 71
; NumVgprs: 43
; NumAgprs: 0
; TotalNumVgprs: 43
; ScratchSize: 0
; MemoryBound: 0
; FloatMode: 240
; IeeeMode: 1
; LDSByteSize: 144 bytes/workgroup (compile time only)
; SGPRBlocks: 8
; VGPRBlocks: 5
; NumSGPRsForWavesPerEU: 71
; NumVGPRsForWavesPerEU: 43
; AccumOffset: 44
; Occupancy: 8
; WaveLimiterHint : 1
; COMPUTE_PGM_RSRC2:SCRATCH_EN: 0
; COMPUTE_PGM_RSRC2:USER_SGPR: 6
; COMPUTE_PGM_RSRC2:TRAP_HANDLER: 0
; COMPUTE_PGM_RSRC2:TGID_X_EN: 1
; COMPUTE_PGM_RSRC2:TGID_Y_EN: 1
; COMPUTE_PGM_RSRC2:TGID_Z_EN: 1
; COMPUTE_PGM_RSRC2:TIDIG_COMP_CNT: 0
; COMPUTE_PGM_RSRC3_GFX90A:ACCUM_OFFSET: 10
; COMPUTE_PGM_RSRC3_GFX90A:TG_SPLIT: 0
	.section	.text._ZN4vllm25paged_attention_v2_kernelI14__hip_bfloat16hLi80ELi8ELi128ELNS_18Fp8KVCacheDataTypeE1ELb1ELi512EEEvPfS3_PT_PKS4_PKT0_SA_ifPKiSC_iPKfiiiSE_SE_iiiii,"axG",@progbits,_ZN4vllm25paged_attention_v2_kernelI14__hip_bfloat16hLi80ELi8ELi128ELNS_18Fp8KVCacheDataTypeE1ELb1ELi512EEEvPfS3_PT_PKS4_PKT0_SA_ifPKiSC_iPKfiiiSE_SE_iiiii,comdat
	.protected	_ZN4vllm25paged_attention_v2_kernelI14__hip_bfloat16hLi80ELi8ELi128ELNS_18Fp8KVCacheDataTypeE1ELb1ELi512EEEvPfS3_PT_PKS4_PKT0_SA_ifPKiSC_iPKfiiiSE_SE_iiiii ; -- Begin function _ZN4vllm25paged_attention_v2_kernelI14__hip_bfloat16hLi80ELi8ELi128ELNS_18Fp8KVCacheDataTypeE1ELb1ELi512EEEvPfS3_PT_PKS4_PKT0_SA_ifPKiSC_iPKfiiiSE_SE_iiiii
	.globl	_ZN4vllm25paged_attention_v2_kernelI14__hip_bfloat16hLi80ELi8ELi128ELNS_18Fp8KVCacheDataTypeE1ELb1ELi512EEEvPfS3_PT_PKS4_PKT0_SA_ifPKiSC_iPKfiiiSE_SE_iiiii
	.p2align	8
	.type	_ZN4vllm25paged_attention_v2_kernelI14__hip_bfloat16hLi80ELi8ELi128ELNS_18Fp8KVCacheDataTypeE1ELb1ELi512EEEvPfS3_PT_PKS4_PKT0_SA_ifPKiSC_iPKfiiiSE_SE_iiiii,@function
_ZN4vllm25paged_attention_v2_kernelI14__hip_bfloat16hLi80ELi8ELi128ELNS_18Fp8KVCacheDataTypeE1ELb1ELi512EEEvPfS3_PT_PKS4_PKT0_SA_ifPKiSC_iPKfiiiSE_SE_iiiii: ; @_ZN4vllm25paged_attention_v2_kernelI14__hip_bfloat16hLi80ELi8ELi128ELNS_18Fp8KVCacheDataTypeE1ELb1ELi512EEEvPfS3_PT_PKS4_PKT0_SA_ifPKiSC_iPKfiiiSE_SE_iiiii
; %bb.0:
	s_load_dwordx2 s[0:1], s[4:5], 0x40
	s_mov_b32 s36, s7
	s_ashr_i32 s37, s7, 31
	s_lshl_b64 s[2:3], s[36:37], 2
	s_waitcnt lgkmcnt(0)
	s_add_u32 s0, s0, s2
	s_addc_u32 s1, s1, s3
	s_load_dword s33, s[0:1], 0x0
	s_lshl_b32 s57, s8, 9
	s_waitcnt lgkmcnt(0)
	s_cmp_ge_i32 s57, s33
	s_cbranch_scc1 .LBB329_433
; %bb.1:
	s_load_dword s9, s[4:5], 0x90
	s_load_dwordx2 s[44:45], s[4:5], 0x30
	s_waitcnt lgkmcnt(0)
	s_abs_i32 s2, s9
	s_abs_i32 s0, s44
	v_cvt_f32_u32_e32 v1, s0
	s_sub_i32 s3, 0, s0
	s_xor_b32 s1, s9, s44
	s_ashr_i32 s1, s1, 31
	v_rcp_iflag_f32_e32 v1, v1
	v_mul_f32_e32 v1, 0x4f7ffffe, v1
	v_cvt_u32_f32_e32 v1, v1
	v_readfirstlane_b32 s7, v1
	s_mul_i32 s3, s3, s7
	s_mul_hi_u32 s3, s7, s3
	s_add_i32 s7, s7, s3
	s_mul_hi_u32 s3, s2, s7
	s_mul_i32 s7, s3, s0
	s_sub_i32 s2, s2, s7
	s_add_i32 s10, s3, 1
	s_sub_i32 s7, s2, s0
	s_cmp_ge_u32 s2, s0
	s_cselect_b32 s3, s10, s3
	s_cselect_b32 s2, s7, s2
	s_add_i32 s7, s3, 1
	s_cmp_ge_u32 s2, s0
	s_cselect_b32 s0, s7, s3
	s_xor_b32 s0, s0, s1
	s_sub_i32 s2, s0, s1
	s_abs_i32 s10, s2
	v_cvt_f32_u32_e32 v1, s10
	s_load_dwordx2 s[0:1], s[4:5], 0x50
	s_sub_i32 s3, 0, s10
	s_abs_i32 s11, s6
	v_rcp_iflag_f32_e32 v1, v1
	s_mov_b32 s7, 0
	v_mul_f32_e32 v1, 0x4f7ffffe, v1
	v_cvt_u32_f32_e32 v1, v1
	v_readfirstlane_b32 s12, v1
	s_mul_i32 s3, s3, s12
	s_mul_hi_u32 s3, s12, s3
	s_add_i32 s12, s12, s3
	s_waitcnt lgkmcnt(0)
	s_cmp_eq_u64 s[0:1], 0
	s_mul_hi_u32 s12, s11, s12
	s_cbranch_scc1 .LBB329_3
; %bb.2:
	s_ashr_i32 s7, s6, 31
	s_lshl_b64 s[14:15], s[6:7], 2
	s_add_u32 s0, s0, s14
	s_addc_u32 s1, s1, s15
	s_load_dword s7, s[0:1], 0x0
.LBB329_3:
	s_load_dwordx4 s[20:23], s[4:5], 0x58
	s_movk_i32 s0, 0x50
	s_ashr_i32 s13, s6, 31
	s_ashr_i32 s16, s2, 31
	v_and_b32_e32 v2, 7, v0
	s_mul_i32 s14, s6, 0x50
	v_cmp_gt_u32_e64 s[0:1], s0, v0
	v_lshlrev_b32_e32 v1, 1, v0
	s_and_saveexec_b64 s[2:3], s[0:1]
	s_cbranch_execz .LBB329_5
; %bb.4:
	s_load_dwordx2 s[18:19], s[4:5], 0x18
	s_waitcnt lgkmcnt(0)
	s_mul_i32 s24, s36, s20
	s_ashr_i32 s25, s24, 31
	s_lshl_b64 s[24:25], s[24:25], 1
	v_lshrrev_b32_e32 v4, 2, v0
	s_add_u32 s17, s18, s24
	s_addc_u32 s20, s19, s25
	s_ashr_i32 s15, s14, 31
	s_lshl_b64 s[18:19], s[14:15], 1
	s_add_u32 s18, s17, s18
	s_addc_u32 s19, s20, s19
	global_load_ushort v3, v1, s[18:19]
	v_and_b32_e32 v4, 0xfe, v4
	v_mad_u32_u24 v4, v2, 20, v4
	s_waitcnt vmcnt(0)
	ds_write_b16 v4, v3
.LBB329_5:
	s_or_b64 exec, exec, s[2:3]
	s_mul_i32 s3, s12, s10
	s_sub_i32 s3, s11, s3
	s_xor_b32 s2, s13, s16
	s_add_i32 s11, s12, 1
	s_sub_i32 s13, s3, s10
	s_load_dwordx4 s[24:27], s[4:5], 0x78
	s_cmp_ge_u32 s3, s10
	s_cselect_b32 s11, s11, s12
	s_cselect_b32 s3, s13, s3
	s_load_dword s13, s[4:5], 0x88
	s_add_i32 s12, s11, 1
	s_cmp_ge_u32 s3, s10
	s_cselect_b32 s3, s12, s11
	s_waitcnt lgkmcnt(0)
	s_abs_i32 s37, s27
	v_cvt_f32_u32_e32 v3, s37
	s_xor_b32 s3, s3, s2
	s_sub_i32 s10, s3, s2
	s_sub_i32 s2, 0, s37
	v_rcp_iflag_f32_e32 v3, v3
	s_add_i32 s15, s33, -1
	s_abs_i32 s11, s15
	v_mul_f32_e32 v3, 0x4f7ffffe, v3
	v_cvt_u32_f32_e32 v3, v3
	s_barrier
	v_readfirstlane_b32 s54, v3
	s_mul_i32 s2, s2, s54
	s_mul_hi_u32 s2, s54, s2
	s_add_i32 s54, s54, s2
	s_cmp_lt_i32 s13, 0
	s_mul_hi_u32 s12, s11, s54
	s_cbranch_scc0 .LBB329_7
; %bb.6:
	s_mul_i32 s2, s24, s44
	s_add_i32 s2, s10, s2
	s_mul_i32 s2, s2, s13
	s_sub_i32 s44, 1, s2
	s_mov_b64 s[2:3], 0
	s_branch .LBB329_8
.LBB329_7:
	s_mov_b64 s[2:3], -1
                                        ; implicit-def: $sgpr44
.LBB329_8:
	s_load_dwordx2 s[38:39], s[4:5], 0x38
	s_ashr_i32 s20, s15, 31
	s_andn2_b64 vcc, exec, s[2:3]
	s_ashr_i32 s55, s27, 31
	s_cbranch_vccnz .LBB329_10
; %bb.9:
	s_mul_i32 s2, s9, s24
	s_add_i32 s2, s2, s6
	s_mul_i32 s2, s2, s13
	s_add_i32 s44, s2, 1
.LBB329_10:
	s_load_dwordx2 s[42:43], s[4:5], 0x28
	s_load_dword s2, s[4:5], 0x48
	s_load_dwordx4 s[28:31], s[4:5], 0x0
	s_load_dwordx2 s[34:35], s[4:5], 0x10
	s_load_dword s15, s[4:5], 0x98
	s_load_dwordx4 s[16:19], s[4:5], 0x68
	s_mul_i32 s3, s12, s37
	s_waitcnt lgkmcnt(0)
	s_mul_i32 s40, s36, s2
	s_sub_i32 s3, s11, s3
	s_ashr_i32 s41, s40, 31
	s_xor_b32 s2, s20, s55
	s_add_i32 s11, s12, 1
	s_sub_i32 s13, s3, s37
	s_cmp_ge_u32 s3, s37
	s_cselect_b32 s11, s11, s12
	s_cselect_b32 s3, s13, s3
	s_add_i32 s12, s11, 1
	s_cmp_ge_u32 s3, s37
	s_cselect_b32 s3, s12, s11
	s_xor_b32 s3, s3, s2
	s_sub_i32 s24, s3, s2
	s_add_i32 s2, s33, 7
	s_ashr_i32 s3, s2, 31
	s_lshr_b32 s3, s3, 29
	s_add_i32 s2, s2, s3
	s_lshl_b32 s58, s8, 6
	s_ashr_i32 s20, s2, 3
	s_add_i32 s2, s58, 64
	v_lshrrev_b32_e32 v23, 6, v0
	s_min_i32 s56, s2, s20
	v_or_b32_e32 v10, s58, v23
	v_cmp_gt_i32_e64 s[2:3], s56, v10
	v_mov_b32_e32 v22, 0xff7fffff
	s_mul_i32 s27, s10, s22
	v_ashrrev_i32_e32 v11, 31, v10
	v_lshl_add_u32 v19, v23, 3, s57
	v_mbcnt_lo_u32_b32 v3, -1, 0
	s_and_saveexec_b64 s[22:23], s[2:3]
	s_cbranch_execz .LBB329_120
; %bb.11:
	s_load_dwordx2 s[4:5], s[4:5], 0x20
	s_sub_i32 s59, s24, s25
	s_ashr_i32 s10, s27, 31
	v_bfe_u32 v17, v0, 3, 3
	v_lshlrev_b32_e32 v5, 4, v17
	s_waitcnt lgkmcnt(0)
	s_add_u32 s4, s4, s27
	s_addc_u32 s5, s5, s10
	s_abs_i32 s61, s26
	v_cvt_f32_u32_e32 v4, s61
	v_mov_b32_e32 v6, s5
	s_sub_i32 s10, 0, s61
	v_cmp_eq_u32_e32 vcc, 0, v2
	v_rcp_iflag_f32_e32 v7, v4
	v_add_co_u32_e64 v4, s[4:5], s4, v5
	v_addc_co_u32_e64 v5, s[4:5], 0, v6, s[4:5]
	v_mul_f32_e32 v6, 0x4f7ffffe, v7
	v_cvt_u32_f32_e32 v6, v6
	s_mov_b32 s60, s21
	v_mov_b32_e32 v18, 0
	v_mul_u32_u24_e32 v20, 20, v2
	v_mul_lo_u32 v7, s10, v6
	s_lshl_b64 s[10:11], s[40:41], 2
	v_mul_hi_u32 v7, v6, v7
	s_add_u32 s10, s38, s10
	v_add_u32_e32 v21, v6, v7
	v_lshlrev_b64 v[6:7], 2, v[10:11]
	s_addc_u32 s11, s39, s11
	v_mov_b32_e32 v8, s11
	v_add_co_u32_e64 v6, s[10:11], s10, v6
	v_addc_co_u32_e64 v7, s[10:11], v8, v7, s[10:11]
	v_lshlrev_b32_e32 v8, 2, v17
	v_lshl_or_b32 v8, v23, 5, v8
	v_add_u32_e32 v25, 0xb0, v8
	v_subrev_u32_e32 v8, s33, v17
	v_cmp_neq_f32_e64 s[4:5], s7, 0
	v_lshl_add_u32 v24, v23, 3, s57
	v_add_u32_e32 v26, 1, v8
	s_mov_b64 s[46:47], 0
	v_mov_b32_e32 v27, 0xff7fffff
	s_movk_i32 s62, 0x80
	s_movk_i32 s63, 0x7f
	s_mov_b32 s64, 0x7f800000
	s_movk_i32 s65, 0x7fff
	v_bfrev_b32_e32 v28, 60
	v_mbcnt_hi_u32_b32 v29, -1, v3
	v_mov_b32_e32 v22, 0xff7fffff
	v_mov_b32_e32 v30, v10
	s_branch .LBB329_14
.LBB329_12:                             ;   in Loop: Header=BB329_14 Depth=1
	s_or_b64 exec, exec, s[48:49]
.LBB329_13:                             ;   in Loop: Header=BB329_14 Depth=1
	s_or_b64 exec, exec, s[12:13]
	v_add_co_u32_e64 v6, s[10:11], 8, v6
	v_add_u32_e32 v30, 2, v30
	v_addc_co_u32_e64 v7, s[10:11], 0, v7, s[10:11]
	v_cmp_le_i32_e64 s[10:11], s56, v30
	v_add_u32_e32 v24, 16, v24
	s_or_b64 s[46:47], s[10:11], s[46:47]
	v_add_u32_e32 v25, 64, v25
	s_andn2_b64 exec, exec, s[46:47]
	s_cbranch_execz .LBB329_119
.LBB329_14:                             ; =>This Inner Loop Header: Depth=1
	s_waitcnt lgkmcnt(0)
	v_sub_u32_e32 v9, 0, v24
	v_max_i32_e32 v9, v24, v9
	v_mul_hi_u32 v12, v9, s54
	v_mul_lo_u32 v13, v12, s37
	v_sub_u32_e32 v9, v9, v13
	v_add_u32_e32 v13, 1, v12
	v_cmp_le_u32_e64 s[10:11], s37, v9
	v_cndmask_b32_e64 v12, v12, v13, s[10:11]
	v_subrev_u32_e32 v13, s37, v9
	v_cndmask_b32_e64 v9, v9, v13, s[10:11]
	v_ashrrev_i32_e32 v8, 31, v24
	v_add_u32_e32 v13, 1, v12
	v_cmp_le_u32_e64 s[10:11], s37, v9
	v_xor_b32_e32 v8, s55, v8
	v_cndmask_b32_e64 v9, v12, v13, s[10:11]
	v_xor_b32_e32 v9, v9, v8
	v_sub_u32_e32 v8, v9, v8
	v_add_u32_e32 v9, s44, v8
	v_sub_u32_e32 v13, 0, v9
	v_ashrrev_i32_e32 v12, 31, v9
	v_max_i32_e32 v9, v9, v13
	v_mul_hi_u32 v13, v9, v21
	v_mul_lo_u32 v13, v13, s61
	v_sub_u32_e32 v9, v9, v13
	v_subrev_u32_e32 v13, s61, v9
	v_cmp_le_u32_e64 s[10:11], s61, v9
	v_cndmask_b32_e64 v9, v9, v13, s[10:11]
	v_subrev_u32_e32 v13, s61, v9
	v_cmp_le_u32_e64 s[10:11], s61, v9
	v_cndmask_b32_e64 v9, v9, v13, s[10:11]
	v_xor_b32_e32 v9, v9, v12
	v_sub_u32_e32 v9, v9, v12
	v_cmp_ne_u32_e64 s[10:11], 0, v9
	v_cmp_ge_i32_e64 s[12:13], s59, v8
	s_and_b64 s[10:11], s[10:11], s[12:13]
	s_and_b64 s[48:49], vcc, s[10:11]
	s_and_saveexec_b64 s[12:13], s[48:49]
	s_cbranch_execz .LBB329_16
; %bb.15:                               ;   in Loop: Header=BB329_14 Depth=1
	ds_write_b32 v25, v27
.LBB329_16:                             ;   in Loop: Header=BB329_14 Depth=1
	s_or_b64 exec, exec, s[12:13]
	s_xor_b64 s[10:11], s[10:11], -1
	s_and_saveexec_b64 s[12:13], s[10:11]
	s_cbranch_execz .LBB329_13
; %bb.17:                               ;   in Loop: Header=BB329_14 Depth=1
	global_load_dword v8, v[6:7], off
	v_mov_b32_e32 v33, 0
	s_waitcnt vmcnt(0)
	v_mad_i64_i32 v[8:9], s[10:11], v8, s60, v[4:5]
	v_add_co_u32_e64 v14, s[10:11], v8, v2
	v_addc_co_u32_e64 v15, s[10:11], 0, v9, s[10:11]
	global_load_ubyte v32, v[14:15], off
	ds_read2_b32 v[12:13], v20 offset1:1
	ds_read2_b32 v[8:9], v20 offset0:2 offset1:3
	ds_read_b32 v31, v20 offset:16
	s_load_dword s66, s[16:17], 0x0
	s_waitcnt vmcnt(0)
	v_cmp_ne_u16_e64 s[10:11], 0, v32
	s_and_saveexec_b64 s[48:49], s[10:11]
	s_cbranch_execz .LBB329_23
; %bb.18:                               ;   in Loop: Header=BB329_14 Depth=1
	v_cmp_ne_u16_e64 s[10:11], s62, v32
	v_bfrev_b32_e32 v33, 1
	s_and_saveexec_b64 s[50:51], s[10:11]
	s_cbranch_execz .LBB329_22
; %bb.19:                               ;   in Loop: Header=BB329_14 Depth=1
	v_and_b32_e32 v16, 0xffff, v32
	v_and_b32_e32 v34, 0x7f, v16
	v_cmp_ne_u32_e64 s[10:11], s63, v34
	v_mov_b32_e32 v33, 0x7f800001
	s_and_saveexec_b64 s[52:53], s[10:11]
	s_cbranch_execz .LBB329_21
; %bb.20:                               ;   in Loop: Header=BB329_14 Depth=1
	v_and_b32_e32 v33, 7, v16
	v_ffbh_u32_e32 v36, v33
	v_min_u32_e32 v38, 32, v36
	v_subrev_u32_e32 v36, 28, v38
	v_lshlrev_b64 v[36:37], v36, v[16:17]
	v_lshrrev_b32_e32 v35, 3, v34
	v_sub_u32_e32 v16, 29, v38
	v_and_b32_e32 v36, 7, v36
	v_cmp_gt_u32_e64 s[10:11], 8, v34
	v_cndmask_b32_e64 v16, v35, v16, s[10:11]
	v_cndmask_b32_e64 v33, v33, v36, s[10:11]
	v_lshlrev_b32_e32 v32, 24, v32
	v_lshlrev_b32_e32 v33, 20, v33
	v_and_b32_e32 v32, 0x80000000, v32
	v_lshl_add_u32 v16, v16, 23, v28
	v_or3_b32 v33, v32, v16, v33
.LBB329_21:                             ;   in Loop: Header=BB329_14 Depth=1
	s_or_b64 exec, exec, s[52:53]
.LBB329_22:                             ;   in Loop: Header=BB329_14 Depth=1
	s_or_b64 exec, exec, s[50:51]
.LBB329_23:                             ;   in Loop: Header=BB329_14 Depth=1
	s_or_b64 exec, exec, s[48:49]
	s_waitcnt lgkmcnt(0)
	v_mul_f32_e32 v16, s66, v33
	v_and_b32_e32 v32, 0x7f800000, v16
	v_cmp_ne_u32_e64 s[10:11], s64, v32
                                        ; implicit-def: $vgpr32
	s_and_saveexec_b64 s[48:49], s[10:11]
	s_xor_b64 s[10:11], exec, s[48:49]
; %bb.24:                               ;   in Loop: Header=BB329_14 Depth=1
	v_bfe_u32 v32, v16, 16, 1
	v_add3_u32 v32, v16, v32, s65
                                        ; implicit-def: $vgpr16
; %bb.25:                               ;   in Loop: Header=BB329_14 Depth=1
	s_andn2_saveexec_b64 s[48:49], s[10:11]
; %bb.26:                               ;   in Loop: Header=BB329_14 Depth=1
	v_or_b32_e32 v32, 0x10000, v16
	v_cmp_eq_u32_sdwa s[10:11], v16, v18 src0_sel:WORD_0 src1_sel:DWORD
	v_cndmask_b32_e64 v32, v32, v16, s[10:11]
; %bb.27:                               ;   in Loop: Header=BB329_14 Depth=1
	s_or_b64 exec, exec, s[48:49]
	global_load_ubyte v33, v[14:15], off offset:8
	v_mov_b32_e32 v34, 0
	s_waitcnt vmcnt(0)
	v_cmp_ne_u16_e64 s[10:11], 0, v33
	s_and_saveexec_b64 s[48:49], s[10:11]
	s_cbranch_execz .LBB329_33
; %bb.28:                               ;   in Loop: Header=BB329_14 Depth=1
	v_cmp_ne_u16_e64 s[10:11], s62, v33
	v_bfrev_b32_e32 v34, 1
	s_and_saveexec_b64 s[50:51], s[10:11]
	s_cbranch_execz .LBB329_32
; %bb.29:                               ;   in Loop: Header=BB329_14 Depth=1
	v_and_b32_e32 v16, 0xffff, v33
	v_and_b32_e32 v35, 0x7f, v16
	v_cmp_ne_u32_e64 s[10:11], s63, v35
	v_mov_b32_e32 v34, 0x7f800001
	s_and_saveexec_b64 s[52:53], s[10:11]
	s_cbranch_execz .LBB329_31
; %bb.30:                               ;   in Loop: Header=BB329_14 Depth=1
	v_and_b32_e32 v34, 7, v16
	v_ffbh_u32_e32 v36, v34
	v_min_u32_e32 v39, 32, v36
	v_subrev_u32_e32 v36, 28, v39
	v_lshlrev_b64 v[36:37], v36, v[16:17]
	v_lshrrev_b32_e32 v38, 3, v35
	v_sub_u32_e32 v16, 29, v39
	v_and_b32_e32 v36, 7, v36
	v_cmp_gt_u32_e64 s[10:11], 8, v35
	v_cndmask_b32_e64 v16, v38, v16, s[10:11]
	v_cndmask_b32_e64 v34, v34, v36, s[10:11]
	v_lshlrev_b32_e32 v33, 24, v33
	v_lshlrev_b32_e32 v34, 20, v34
	v_and_b32_e32 v33, 0x80000000, v33
	v_lshl_add_u32 v16, v16, 23, v28
	v_or3_b32 v34, v33, v16, v34
.LBB329_31:                             ;   in Loop: Header=BB329_14 Depth=1
	s_or_b64 exec, exec, s[52:53]
.LBB329_32:                             ;   in Loop: Header=BB329_14 Depth=1
	s_or_b64 exec, exec, s[50:51]
.LBB329_33:                             ;   in Loop: Header=BB329_14 Depth=1
	s_or_b64 exec, exec, s[48:49]
	v_mul_f32_e32 v16, s66, v34
	v_and_b32_e32 v33, 0x7f800000, v16
	v_cmp_ne_u32_e64 s[10:11], s64, v33
                                        ; implicit-def: $vgpr33
	s_and_saveexec_b64 s[48:49], s[10:11]
	s_xor_b64 s[10:11], exec, s[48:49]
; %bb.34:                               ;   in Loop: Header=BB329_14 Depth=1
	v_bfe_u32 v33, v16, 16, 1
	v_add3_u32 v33, v16, v33, s65
                                        ; implicit-def: $vgpr16
; %bb.35:                               ;   in Loop: Header=BB329_14 Depth=1
	s_andn2_saveexec_b64 s[48:49], s[10:11]
; %bb.36:                               ;   in Loop: Header=BB329_14 Depth=1
	v_or_b32_e32 v33, 0x10000, v16
	v_cmp_eq_u32_sdwa s[10:11], v16, v18 src0_sel:WORD_0 src1_sel:DWORD
	v_cndmask_b32_e64 v33, v33, v16, s[10:11]
; %bb.37:                               ;   in Loop: Header=BB329_14 Depth=1
	s_or_b64 exec, exec, s[48:49]
	global_load_ubyte v34, v[14:15], off offset:128
	v_mov_b32_e32 v35, 0
	s_waitcnt vmcnt(0)
	v_cmp_ne_u16_e64 s[10:11], 0, v34
	s_and_saveexec_b64 s[48:49], s[10:11]
	s_cbranch_execz .LBB329_43
; %bb.38:                               ;   in Loop: Header=BB329_14 Depth=1
	v_cmp_ne_u16_e64 s[10:11], s62, v34
	v_bfrev_b32_e32 v35, 1
	s_and_saveexec_b64 s[50:51], s[10:11]
	s_cbranch_execz .LBB329_42
; %bb.39:                               ;   in Loop: Header=BB329_14 Depth=1
	v_and_b32_e32 v16, 0xffff, v34
	v_and_b32_e32 v36, 0x7f, v16
	v_cmp_ne_u32_e64 s[10:11], s63, v36
	v_mov_b32_e32 v35, 0x7f800001
	s_and_saveexec_b64 s[52:53], s[10:11]
	s_cbranch_execz .LBB329_41
; %bb.40:                               ;   in Loop: Header=BB329_14 Depth=1
	v_and_b32_e32 v35, 7, v16
	v_ffbh_u32_e32 v38, v35
	v_min_u32_e32 v40, 32, v38
	v_subrev_u32_e32 v38, 28, v40
	v_lshlrev_b64 v[38:39], v38, v[16:17]
	v_lshrrev_b32_e32 v37, 3, v36
	v_sub_u32_e32 v16, 29, v40
	v_and_b32_e32 v38, 7, v38
	v_cmp_gt_u32_e64 s[10:11], 8, v36
	v_cndmask_b32_e64 v16, v37, v16, s[10:11]
	v_cndmask_b32_e64 v35, v35, v38, s[10:11]
	v_lshlrev_b32_e32 v34, 24, v34
	v_lshlrev_b32_e32 v35, 20, v35
	v_and_b32_e32 v34, 0x80000000, v34
	v_lshl_add_u32 v16, v16, 23, v28
	v_or3_b32 v35, v34, v16, v35
.LBB329_41:                             ;   in Loop: Header=BB329_14 Depth=1
	s_or_b64 exec, exec, s[52:53]
.LBB329_42:                             ;   in Loop: Header=BB329_14 Depth=1
	s_or_b64 exec, exec, s[50:51]
.LBB329_43:                             ;   in Loop: Header=BB329_14 Depth=1
	s_or_b64 exec, exec, s[48:49]
	v_mul_f32_e32 v16, s66, v35
	v_and_b32_e32 v34, 0x7f800000, v16
	v_cmp_ne_u32_e64 s[10:11], s64, v34
                                        ; implicit-def: $vgpr34
	s_and_saveexec_b64 s[48:49], s[10:11]
	s_xor_b64 s[10:11], exec, s[48:49]
; %bb.44:                               ;   in Loop: Header=BB329_14 Depth=1
	v_bfe_u32 v34, v16, 16, 1
	v_add3_u32 v34, v16, v34, s65
                                        ; implicit-def: $vgpr16
; %bb.45:                               ;   in Loop: Header=BB329_14 Depth=1
	s_andn2_saveexec_b64 s[48:49], s[10:11]
; %bb.46:                               ;   in Loop: Header=BB329_14 Depth=1
	v_or_b32_e32 v34, 0x10000, v16
	v_cmp_eq_u32_sdwa s[10:11], v16, v18 src0_sel:WORD_0 src1_sel:DWORD
	v_cndmask_b32_e64 v34, v34, v16, s[10:11]
; %bb.47:                               ;   in Loop: Header=BB329_14 Depth=1
	s_or_b64 exec, exec, s[48:49]
	global_load_ubyte v35, v[14:15], off offset:136
	v_mov_b32_e32 v36, 0
	s_waitcnt vmcnt(0)
	v_cmp_ne_u16_e64 s[10:11], 0, v35
	s_and_saveexec_b64 s[48:49], s[10:11]
	s_cbranch_execz .LBB329_53
; %bb.48:                               ;   in Loop: Header=BB329_14 Depth=1
	v_cmp_ne_u16_e64 s[10:11], s62, v35
	v_bfrev_b32_e32 v36, 1
	s_and_saveexec_b64 s[50:51], s[10:11]
	s_cbranch_execz .LBB329_52
; %bb.49:                               ;   in Loop: Header=BB329_14 Depth=1
	v_and_b32_e32 v16, 0xffff, v35
	v_and_b32_e32 v37, 0x7f, v16
	v_cmp_ne_u32_e64 s[10:11], s63, v37
	v_mov_b32_e32 v36, 0x7f800001
	s_and_saveexec_b64 s[52:53], s[10:11]
	s_cbranch_execz .LBB329_51
; %bb.50:                               ;   in Loop: Header=BB329_14 Depth=1
	v_and_b32_e32 v36, 7, v16
	v_ffbh_u32_e32 v38, v36
	v_min_u32_e32 v41, 32, v38
	v_subrev_u32_e32 v38, 28, v41
	v_lshlrev_b64 v[38:39], v38, v[16:17]
	v_lshrrev_b32_e32 v40, 3, v37
	v_sub_u32_e32 v16, 29, v41
	v_and_b32_e32 v38, 7, v38
	v_cmp_gt_u32_e64 s[10:11], 8, v37
	v_cndmask_b32_e64 v16, v40, v16, s[10:11]
	v_cndmask_b32_e64 v36, v36, v38, s[10:11]
	v_lshlrev_b32_e32 v35, 24, v35
	v_lshlrev_b32_e32 v36, 20, v36
	v_and_b32_e32 v35, 0x80000000, v35
	v_lshl_add_u32 v16, v16, 23, v28
	v_or3_b32 v36, v35, v16, v36
.LBB329_51:                             ;   in Loop: Header=BB329_14 Depth=1
	s_or_b64 exec, exec, s[52:53]
.LBB329_52:                             ;   in Loop: Header=BB329_14 Depth=1
	s_or_b64 exec, exec, s[50:51]
.LBB329_53:                             ;   in Loop: Header=BB329_14 Depth=1
	s_or_b64 exec, exec, s[48:49]
	v_mul_f32_e32 v16, s66, v36
	v_and_b32_e32 v35, 0x7f800000, v16
	v_cmp_ne_u32_e64 s[10:11], s64, v35
                                        ; implicit-def: $vgpr35
	s_and_saveexec_b64 s[48:49], s[10:11]
	s_xor_b64 s[10:11], exec, s[48:49]
; %bb.54:                               ;   in Loop: Header=BB329_14 Depth=1
	v_bfe_u32 v35, v16, 16, 1
	v_add3_u32 v35, v16, v35, s65
                                        ; implicit-def: $vgpr16
; %bb.55:                               ;   in Loop: Header=BB329_14 Depth=1
	s_andn2_saveexec_b64 s[48:49], s[10:11]
; %bb.56:                               ;   in Loop: Header=BB329_14 Depth=1
	v_or_b32_e32 v35, 0x10000, v16
	v_cmp_eq_u32_sdwa s[10:11], v16, v18 src0_sel:WORD_0 src1_sel:DWORD
	v_cndmask_b32_e64 v35, v35, v16, s[10:11]
; %bb.57:                               ;   in Loop: Header=BB329_14 Depth=1
	s_or_b64 exec, exec, s[48:49]
	global_load_ubyte v36, v[14:15], off offset:256
	v_mov_b32_e32 v37, 0
	s_waitcnt vmcnt(0)
	v_cmp_ne_u16_e64 s[10:11], 0, v36
	s_and_saveexec_b64 s[48:49], s[10:11]
	s_cbranch_execz .LBB329_63
; %bb.58:                               ;   in Loop: Header=BB329_14 Depth=1
	v_cmp_ne_u16_e64 s[10:11], s62, v36
	v_bfrev_b32_e32 v37, 1
	s_and_saveexec_b64 s[50:51], s[10:11]
	s_cbranch_execz .LBB329_62
; %bb.59:                               ;   in Loop: Header=BB329_14 Depth=1
	v_and_b32_e32 v16, 0xffff, v36
	v_and_b32_e32 v38, 0x7f, v16
	v_cmp_ne_u32_e64 s[10:11], s63, v38
	v_mov_b32_e32 v37, 0x7f800001
	s_and_saveexec_b64 s[52:53], s[10:11]
	s_cbranch_execz .LBB329_61
; %bb.60:                               ;   in Loop: Header=BB329_14 Depth=1
	v_and_b32_e32 v37, 7, v16
	v_ffbh_u32_e32 v40, v37
	v_min_u32_e32 v42, 32, v40
	v_subrev_u32_e32 v40, 28, v42
	v_lshlrev_b64 v[40:41], v40, v[16:17]
	v_lshrrev_b32_e32 v39, 3, v38
	v_sub_u32_e32 v16, 29, v42
	v_and_b32_e32 v40, 7, v40
	v_cmp_gt_u32_e64 s[10:11], 8, v38
	v_cndmask_b32_e64 v16, v39, v16, s[10:11]
	v_cndmask_b32_e64 v37, v37, v40, s[10:11]
	v_lshlrev_b32_e32 v36, 24, v36
	v_lshlrev_b32_e32 v37, 20, v37
	v_and_b32_e32 v36, 0x80000000, v36
	v_lshl_add_u32 v16, v16, 23, v28
	v_or3_b32 v37, v36, v16, v37
.LBB329_61:                             ;   in Loop: Header=BB329_14 Depth=1
	s_or_b64 exec, exec, s[52:53]
.LBB329_62:                             ;   in Loop: Header=BB329_14 Depth=1
	s_or_b64 exec, exec, s[50:51]
.LBB329_63:                             ;   in Loop: Header=BB329_14 Depth=1
	s_or_b64 exec, exec, s[48:49]
	v_mul_f32_e32 v16, s66, v37
	v_and_b32_e32 v36, 0x7f800000, v16
	v_cmp_ne_u32_e64 s[10:11], s64, v36
                                        ; implicit-def: $vgpr36
	s_and_saveexec_b64 s[48:49], s[10:11]
	s_xor_b64 s[10:11], exec, s[48:49]
; %bb.64:                               ;   in Loop: Header=BB329_14 Depth=1
	v_bfe_u32 v36, v16, 16, 1
	v_add3_u32 v36, v16, v36, s65
                                        ; implicit-def: $vgpr16
; %bb.65:                               ;   in Loop: Header=BB329_14 Depth=1
	s_andn2_saveexec_b64 s[48:49], s[10:11]
; %bb.66:                               ;   in Loop: Header=BB329_14 Depth=1
	v_or_b32_e32 v36, 0x10000, v16
	v_cmp_eq_u32_sdwa s[10:11], v16, v18 src0_sel:WORD_0 src1_sel:DWORD
	v_cndmask_b32_e64 v36, v36, v16, s[10:11]
; %bb.67:                               ;   in Loop: Header=BB329_14 Depth=1
	s_or_b64 exec, exec, s[48:49]
	global_load_ubyte v37, v[14:15], off offset:264
	v_mov_b32_e32 v38, 0
	s_waitcnt vmcnt(0)
	v_cmp_ne_u16_e64 s[10:11], 0, v37
	s_and_saveexec_b64 s[48:49], s[10:11]
	s_cbranch_execz .LBB329_73
; %bb.68:                               ;   in Loop: Header=BB329_14 Depth=1
	v_cmp_ne_u16_e64 s[10:11], s62, v37
	v_bfrev_b32_e32 v38, 1
	s_and_saveexec_b64 s[50:51], s[10:11]
	s_cbranch_execz .LBB329_72
; %bb.69:                               ;   in Loop: Header=BB329_14 Depth=1
	v_and_b32_e32 v16, 0xffff, v37
	v_and_b32_e32 v39, 0x7f, v16
	v_cmp_ne_u32_e64 s[10:11], s63, v39
	v_mov_b32_e32 v38, 0x7f800001
	s_and_saveexec_b64 s[52:53], s[10:11]
	s_cbranch_execz .LBB329_71
; %bb.70:                               ;   in Loop: Header=BB329_14 Depth=1
	v_and_b32_e32 v38, 7, v16
	v_ffbh_u32_e32 v40, v38
	v_min_u32_e32 v43, 32, v40
	v_subrev_u32_e32 v40, 28, v43
	v_lshlrev_b64 v[40:41], v40, v[16:17]
	v_lshrrev_b32_e32 v42, 3, v39
	v_sub_u32_e32 v16, 29, v43
	v_and_b32_e32 v40, 7, v40
	v_cmp_gt_u32_e64 s[10:11], 8, v39
	v_cndmask_b32_e64 v16, v42, v16, s[10:11]
	v_cndmask_b32_e64 v38, v38, v40, s[10:11]
	v_lshlrev_b32_e32 v37, 24, v37
	v_lshlrev_b32_e32 v38, 20, v38
	v_and_b32_e32 v37, 0x80000000, v37
	v_lshl_add_u32 v16, v16, 23, v28
	v_or3_b32 v38, v37, v16, v38
.LBB329_71:                             ;   in Loop: Header=BB329_14 Depth=1
	s_or_b64 exec, exec, s[52:53]
.LBB329_72:                             ;   in Loop: Header=BB329_14 Depth=1
	s_or_b64 exec, exec, s[50:51]
.LBB329_73:                             ;   in Loop: Header=BB329_14 Depth=1
	s_or_b64 exec, exec, s[48:49]
	v_mul_f32_e32 v16, s66, v38
	v_and_b32_e32 v37, 0x7f800000, v16
	v_cmp_ne_u32_e64 s[10:11], s64, v37
                                        ; implicit-def: $vgpr37
	s_and_saveexec_b64 s[48:49], s[10:11]
	s_xor_b64 s[10:11], exec, s[48:49]
; %bb.74:                               ;   in Loop: Header=BB329_14 Depth=1
	v_bfe_u32 v37, v16, 16, 1
	v_add3_u32 v37, v16, v37, s65
                                        ; implicit-def: $vgpr16
; %bb.75:                               ;   in Loop: Header=BB329_14 Depth=1
	s_andn2_saveexec_b64 s[48:49], s[10:11]
; %bb.76:                               ;   in Loop: Header=BB329_14 Depth=1
	v_or_b32_e32 v37, 0x10000, v16
	v_cmp_eq_u32_sdwa s[10:11], v16, v18 src0_sel:WORD_0 src1_sel:DWORD
	v_cndmask_b32_e64 v37, v37, v16, s[10:11]
; %bb.77:                               ;   in Loop: Header=BB329_14 Depth=1
	s_or_b64 exec, exec, s[48:49]
	global_load_ubyte v38, v[14:15], off offset:384
	v_mov_b32_e32 v39, 0
	s_waitcnt vmcnt(0)
	v_cmp_ne_u16_e64 s[10:11], 0, v38
	s_and_saveexec_b64 s[48:49], s[10:11]
	s_cbranch_execz .LBB329_83
; %bb.78:                               ;   in Loop: Header=BB329_14 Depth=1
	v_cmp_ne_u16_e64 s[10:11], s62, v38
	v_bfrev_b32_e32 v39, 1
	s_and_saveexec_b64 s[50:51], s[10:11]
	s_cbranch_execz .LBB329_82
; %bb.79:                               ;   in Loop: Header=BB329_14 Depth=1
	v_and_b32_e32 v16, 0xffff, v38
	v_and_b32_e32 v40, 0x7f, v16
	v_cmp_ne_u32_e64 s[10:11], s63, v40
	v_mov_b32_e32 v39, 0x7f800001
	s_and_saveexec_b64 s[52:53], s[10:11]
	s_cbranch_execz .LBB329_81
; %bb.80:                               ;   in Loop: Header=BB329_14 Depth=1
	v_and_b32_e32 v39, 7, v16
	v_ffbh_u32_e32 v42, v39
	v_min_u32_e32 v44, 32, v42
	v_subrev_u32_e32 v42, 28, v44
	v_lshlrev_b64 v[42:43], v42, v[16:17]
	v_lshrrev_b32_e32 v41, 3, v40
	v_sub_u32_e32 v16, 29, v44
	v_and_b32_e32 v42, 7, v42
	v_cmp_gt_u32_e64 s[10:11], 8, v40
	v_cndmask_b32_e64 v16, v41, v16, s[10:11]
	v_cndmask_b32_e64 v39, v39, v42, s[10:11]
	v_lshlrev_b32_e32 v38, 24, v38
	v_lshlrev_b32_e32 v39, 20, v39
	v_and_b32_e32 v38, 0x80000000, v38
	v_lshl_add_u32 v16, v16, 23, v28
	v_or3_b32 v39, v38, v16, v39
.LBB329_81:                             ;   in Loop: Header=BB329_14 Depth=1
	s_or_b64 exec, exec, s[52:53]
.LBB329_82:                             ;   in Loop: Header=BB329_14 Depth=1
	s_or_b64 exec, exec, s[50:51]
.LBB329_83:                             ;   in Loop: Header=BB329_14 Depth=1
	s_or_b64 exec, exec, s[48:49]
	v_mul_f32_e32 v16, s66, v39
	v_and_b32_e32 v38, 0x7f800000, v16
	v_cmp_ne_u32_e64 s[10:11], s64, v38
                                        ; implicit-def: $vgpr38
	s_and_saveexec_b64 s[48:49], s[10:11]
	s_xor_b64 s[10:11], exec, s[48:49]
; %bb.84:                               ;   in Loop: Header=BB329_14 Depth=1
	v_bfe_u32 v38, v16, 16, 1
	v_add3_u32 v38, v16, v38, s65
                                        ; implicit-def: $vgpr16
; %bb.85:                               ;   in Loop: Header=BB329_14 Depth=1
	s_andn2_saveexec_b64 s[48:49], s[10:11]
; %bb.86:                               ;   in Loop: Header=BB329_14 Depth=1
	v_or_b32_e32 v38, 0x10000, v16
	v_cmp_eq_u32_sdwa s[10:11], v16, v18 src0_sel:WORD_0 src1_sel:DWORD
	v_cndmask_b32_e64 v38, v38, v16, s[10:11]
; %bb.87:                               ;   in Loop: Header=BB329_14 Depth=1
	s_or_b64 exec, exec, s[48:49]
	global_load_ubyte v39, v[14:15], off offset:392
	v_mov_b32_e32 v40, 0
	s_waitcnt vmcnt(0)
	v_cmp_ne_u16_e64 s[10:11], 0, v39
	s_and_saveexec_b64 s[48:49], s[10:11]
	s_cbranch_execz .LBB329_93
; %bb.88:                               ;   in Loop: Header=BB329_14 Depth=1
	v_cmp_ne_u16_e64 s[10:11], s62, v39
	v_bfrev_b32_e32 v40, 1
	s_and_saveexec_b64 s[50:51], s[10:11]
	s_cbranch_execz .LBB329_92
; %bb.89:                               ;   in Loop: Header=BB329_14 Depth=1
	v_and_b32_e32 v16, 0xffff, v39
	v_and_b32_e32 v41, 0x7f, v16
	v_cmp_ne_u32_e64 s[10:11], s63, v41
	v_mov_b32_e32 v40, 0x7f800001
	s_and_saveexec_b64 s[52:53], s[10:11]
	s_cbranch_execz .LBB329_91
; %bb.90:                               ;   in Loop: Header=BB329_14 Depth=1
	v_and_b32_e32 v40, 7, v16
	v_ffbh_u32_e32 v42, v40
	v_min_u32_e32 v45, 32, v42
	v_subrev_u32_e32 v42, 28, v45
	v_lshlrev_b64 v[42:43], v42, v[16:17]
	v_lshrrev_b32_e32 v44, 3, v41
	v_sub_u32_e32 v16, 29, v45
	v_and_b32_e32 v42, 7, v42
	v_cmp_gt_u32_e64 s[10:11], 8, v41
	v_cndmask_b32_e64 v16, v44, v16, s[10:11]
	v_cndmask_b32_e64 v40, v40, v42, s[10:11]
	v_lshlrev_b32_e32 v39, 24, v39
	v_lshlrev_b32_e32 v40, 20, v40
	v_and_b32_e32 v39, 0x80000000, v39
	v_lshl_add_u32 v16, v16, 23, v28
	v_or3_b32 v40, v39, v16, v40
.LBB329_91:                             ;   in Loop: Header=BB329_14 Depth=1
	s_or_b64 exec, exec, s[52:53]
.LBB329_92:                             ;   in Loop: Header=BB329_14 Depth=1
	s_or_b64 exec, exec, s[50:51]
.LBB329_93:                             ;   in Loop: Header=BB329_14 Depth=1
	s_or_b64 exec, exec, s[48:49]
	v_mul_f32_e32 v16, s66, v40
	v_and_b32_e32 v39, 0x7f800000, v16
	v_cmp_ne_u32_e64 s[10:11], s64, v39
                                        ; implicit-def: $vgpr39
	s_and_saveexec_b64 s[48:49], s[10:11]
	s_xor_b64 s[10:11], exec, s[48:49]
; %bb.94:                               ;   in Loop: Header=BB329_14 Depth=1
	v_bfe_u32 v39, v16, 16, 1
	v_add3_u32 v39, v16, v39, s65
                                        ; implicit-def: $vgpr16
; %bb.95:                               ;   in Loop: Header=BB329_14 Depth=1
	s_andn2_saveexec_b64 s[48:49], s[10:11]
; %bb.96:                               ;   in Loop: Header=BB329_14 Depth=1
	v_or_b32_e32 v39, 0x10000, v16
	v_cmp_eq_u32_sdwa s[10:11], v16, v18 src0_sel:WORD_0 src1_sel:DWORD
	v_cndmask_b32_e64 v39, v39, v16, s[10:11]
; %bb.97:                               ;   in Loop: Header=BB329_14 Depth=1
	s_or_b64 exec, exec, s[48:49]
	global_load_ubyte v40, v[14:15], off offset:512
	v_mov_b32_e32 v41, 0
	s_waitcnt vmcnt(0)
	v_cmp_ne_u16_e64 s[10:11], 0, v40
	s_and_saveexec_b64 s[48:49], s[10:11]
	s_cbranch_execz .LBB329_103
; %bb.98:                               ;   in Loop: Header=BB329_14 Depth=1
	v_cmp_ne_u16_e64 s[10:11], s62, v40
	v_bfrev_b32_e32 v41, 1
	s_and_saveexec_b64 s[50:51], s[10:11]
	s_cbranch_execz .LBB329_102
; %bb.99:                               ;   in Loop: Header=BB329_14 Depth=1
	v_and_b32_e32 v16, 0xffff, v40
	v_and_b32_e32 v42, 0x7f, v16
	v_cmp_ne_u32_e64 s[10:11], s63, v42
	v_mov_b32_e32 v41, 0x7f800001
	s_and_saveexec_b64 s[52:53], s[10:11]
	s_cbranch_execz .LBB329_101
; %bb.100:                              ;   in Loop: Header=BB329_14 Depth=1
	v_and_b32_e32 v41, 7, v16
	v_ffbh_u32_e32 v44, v41
	v_min_u32_e32 v46, 32, v44
	v_subrev_u32_e32 v44, 28, v46
	v_lshlrev_b64 v[44:45], v44, v[16:17]
	v_lshrrev_b32_e32 v43, 3, v42
	v_sub_u32_e32 v16, 29, v46
	v_and_b32_e32 v44, 7, v44
	v_cmp_gt_u32_e64 s[10:11], 8, v42
	v_cndmask_b32_e64 v16, v43, v16, s[10:11]
	v_cndmask_b32_e64 v41, v41, v44, s[10:11]
	v_lshlrev_b32_e32 v40, 24, v40
	v_lshlrev_b32_e32 v41, 20, v41
	v_and_b32_e32 v40, 0x80000000, v40
	v_lshl_add_u32 v16, v16, 23, v28
	v_or3_b32 v41, v40, v16, v41
.LBB329_101:                            ;   in Loop: Header=BB329_14 Depth=1
	s_or_b64 exec, exec, s[52:53]
.LBB329_102:                            ;   in Loop: Header=BB329_14 Depth=1
	s_or_b64 exec, exec, s[50:51]
.LBB329_103:                            ;   in Loop: Header=BB329_14 Depth=1
	s_or_b64 exec, exec, s[48:49]
	v_mul_f32_e32 v40, s66, v41
	v_and_b32_e32 v16, 0x7f800000, v40
	v_cmp_ne_u32_e64 s[10:11], s64, v16
                                        ; implicit-def: $vgpr16
	s_and_saveexec_b64 s[48:49], s[10:11]
	s_xor_b64 s[10:11], exec, s[48:49]
; %bb.104:                              ;   in Loop: Header=BB329_14 Depth=1
	v_bfe_u32 v16, v40, 16, 1
	v_add3_u32 v16, v40, v16, s65
                                        ; implicit-def: $vgpr40
; %bb.105:                              ;   in Loop: Header=BB329_14 Depth=1
	s_andn2_saveexec_b64 s[48:49], s[10:11]
; %bb.106:                              ;   in Loop: Header=BB329_14 Depth=1
	v_or_b32_e32 v16, 0x10000, v40
	v_cmp_eq_u32_sdwa s[10:11], v40, v18 src0_sel:WORD_0 src1_sel:DWORD
	v_cndmask_b32_e64 v16, v16, v40, s[10:11]
; %bb.107:                              ;   in Loop: Header=BB329_14 Depth=1
	s_or_b64 exec, exec, s[48:49]
	global_load_ubyte v15, v[14:15], off offset:520
	v_mov_b32_e32 v40, 0
	s_waitcnt vmcnt(0)
	v_cmp_ne_u16_e64 s[10:11], 0, v15
	s_and_saveexec_b64 s[48:49], s[10:11]
	s_cbranch_execz .LBB329_113
; %bb.108:                              ;   in Loop: Header=BB329_14 Depth=1
	v_cmp_ne_u16_e64 s[10:11], s62, v15
	v_bfrev_b32_e32 v40, 1
	s_and_saveexec_b64 s[50:51], s[10:11]
	s_cbranch_execz .LBB329_112
; %bb.109:                              ;   in Loop: Header=BB329_14 Depth=1
	v_and_b32_e32 v14, 0xffff, v15
	v_and_b32_e32 v41, 0x7f, v14
	v_cmp_ne_u32_e64 s[10:11], s63, v41
	v_mov_b32_e32 v40, 0x7f800001
	s_and_saveexec_b64 s[52:53], s[10:11]
	s_cbranch_execz .LBB329_111
; %bb.110:                              ;   in Loop: Header=BB329_14 Depth=1
	v_and_b32_e32 v40, 7, v14
	v_ffbh_u32_e32 v42, v40
	v_min_u32_e32 v45, 32, v42
	v_subrev_u32_e32 v42, 28, v45
	v_lshlrev_b64 v[42:43], v42, v[14:15]
	v_lshrrev_b32_e32 v44, 3, v41
	v_sub_u32_e32 v14, 29, v45
	v_and_b32_e32 v42, 7, v42
	v_cmp_gt_u32_e64 s[10:11], 8, v41
	v_cndmask_b32_e64 v14, v44, v14, s[10:11]
	v_cndmask_b32_e64 v40, v40, v42, s[10:11]
	v_lshlrev_b32_e32 v15, 24, v15
	v_lshlrev_b32_e32 v40, 20, v40
	v_and_b32_e32 v15, 0x80000000, v15
	v_lshl_add_u32 v14, v14, 23, v28
	v_or3_b32 v40, v15, v14, v40
.LBB329_111:                            ;   in Loop: Header=BB329_14 Depth=1
	s_or_b64 exec, exec, s[52:53]
.LBB329_112:                            ;   in Loop: Header=BB329_14 Depth=1
	s_or_b64 exec, exec, s[50:51]
.LBB329_113:                            ;   in Loop: Header=BB329_14 Depth=1
	s_or_b64 exec, exec, s[48:49]
	v_mul_f32_e32 v15, s66, v40
	v_and_b32_e32 v14, 0x7f800000, v15
	v_cmp_ne_u32_e64 s[10:11], s64, v14
                                        ; implicit-def: $vgpr14
	s_and_saveexec_b64 s[48:49], s[10:11]
	s_xor_b64 s[10:11], exec, s[48:49]
; %bb.114:                              ;   in Loop: Header=BB329_14 Depth=1
	v_bfe_u32 v14, v15, 16, 1
	v_add3_u32 v14, v15, v14, s65
                                        ; implicit-def: $vgpr15
; %bb.115:                              ;   in Loop: Header=BB329_14 Depth=1
	s_andn2_saveexec_b64 s[48:49], s[10:11]
; %bb.116:                              ;   in Loop: Header=BB329_14 Depth=1
	v_or_b32_e32 v14, 0x10000, v15
	v_cmp_eq_u32_sdwa s[10:11], v15, v18 src0_sel:WORD_0 src1_sel:DWORD
	v_cndmask_b32_e64 v14, v14, v15, s[10:11]
; %bb.117:                              ;   in Loop: Header=BB329_14 Depth=1
	s_or_b64 exec, exec, s[48:49]
	v_and_b32_e32 v15, 0xffff0000, v16
	v_and_b32_e32 v16, 0xffff0000, v39
	;; [unrolled: 1-line block ×3, first 2 shown]
	v_lshlrev_b32_e32 v39, 16, v12
	v_and_b32_e32 v12, 0xffff0000, v12
	v_and_b32_e32 v32, 0xffff0000, v32
	v_mul_f32_e32 v12, v12, v33
	v_and_b32_e32 v34, 0xffff0000, v34
	v_lshlrev_b32_e32 v40, 16, v13
	v_fmac_f32_e32 v12, v39, v32
	v_and_b32_e32 v35, 0xffff0000, v35
	v_and_b32_e32 v13, 0xffff0000, v13
	v_fmac_f32_e32 v12, v40, v34
	v_and_b32_e32 v36, 0xffff0000, v36
	v_lshlrev_b32_e32 v41, 16, v8
	v_fmac_f32_e32 v12, v13, v35
	v_and_b32_e32 v37, 0xffff0000, v37
	v_and_b32_e32 v8, 0xffff0000, v8
	v_fmac_f32_e32 v12, v41, v36
	v_and_b32_e32 v38, 0xffff0000, v38
	v_lshlrev_b32_e32 v42, 16, v9
	v_and_b32_e32 v44, 64, v29
	v_fmac_f32_e32 v12, v8, v37
	v_and_b32_e32 v9, 0xffff0000, v9
	v_add_u32_e32 v44, 64, v44
	v_xor_b32_e32 v45, 4, v29
	v_fmac_f32_e32 v12, v42, v38
	v_lshlrev_b32_e32 v43, 16, v31
	v_cmp_lt_i32_e64 s[10:11], v45, v44
	v_fmac_f32_e32 v12, v9, v16
	v_and_b32_e32 v31, 0xffff0000, v31
	v_cndmask_b32_e64 v45, v29, v45, s[10:11]
	v_and_b32_e32 v14, 0xffff0000, v14
	v_fmac_f32_e32 v12, v43, v15
	v_lshlrev_b32_e32 v45, 2, v45
	v_fmac_f32_e32 v12, v31, v14
	ds_bpermute_b32 v8, v45, v12
	v_xor_b32_e32 v9, 2, v29
	v_cmp_lt_i32_e64 s[10:11], v9, v44
	v_cndmask_b32_e64 v9, v29, v9, s[10:11]
	v_lshlrev_b32_e32 v9, 2, v9
	s_waitcnt lgkmcnt(0)
	v_add_f32_e32 v8, v12, v8
	ds_bpermute_b32 v9, v9, v8
	v_xor_b32_e32 v12, 1, v29
	v_cmp_lt_i32_e64 s[10:11], v12, v44
	v_cndmask_b32_e64 v12, v29, v12, s[10:11]
	v_lshlrev_b32_e32 v12, 2, v12
	s_waitcnt lgkmcnt(0)
	v_add_f32_e32 v8, v8, v9
	ds_bpermute_b32 v9, v12, v8
	s_and_saveexec_b64 s[48:49], vcc
	s_cbranch_execz .LBB329_12
; %bb.118:                              ;   in Loop: Header=BB329_14 Depth=1
	v_add_u32_e32 v12, v26, v24
	v_cvt_f32_i32_e32 v12, v12
	s_waitcnt lgkmcnt(0)
	v_add_f32_e32 v8, v8, v9
	v_add_u32_e32 v13, v17, v24
	v_cmp_gt_i32_e64 s[10:11], s33, v13
	v_mul_f32_e32 v9, s7, v12
	v_cndmask_b32_e64 v9, 0, v9, s[4:5]
	v_fmac_f32_e32 v9, s45, v8
	v_cndmask_b32_e64 v8, 0, v9, s[10:11]
	ds_write_b32 v25, v8
	v_max_f32_e32 v8, v22, v22
	v_max_f32_e32 v8, v8, v9
	v_cndmask_b32_e64 v22, v22, v8, s[10:11]
	s_branch .LBB329_12
.LBB329_119:
	s_or_b64 exec, exec, s[46:47]
.LBB329_120:
	s_or_b64 exec, exec, s[22:23]
	v_mbcnt_hi_u32_b32 v2, -1, v3
	v_and_b32_e32 v3, 64, v2
	v_add_u32_e32 v3, 64, v3
	v_xor_b32_e32 v4, 32, v2
	v_cmp_lt_i32_e32 vcc, v4, v3
	v_cndmask_b32_e32 v4, v2, v4, vcc
	v_lshlrev_b32_e32 v6, 2, v4
	ds_bpermute_b32 v4, v6, v22
	v_xor_b32_e32 v7, 16, v2
	v_max_f32_e32 v5, v22, v22
	v_cmp_lt_i32_e32 vcc, v7, v3
	v_and_b32_e32 v15, 63, v0
	s_waitcnt lgkmcnt(0)
	v_max_f32_e32 v4, v4, v4
	v_max_f32_e32 v4, v5, v4
	v_cndmask_b32_e32 v5, v2, v7, vcc
	v_lshlrev_b32_e32 v8, 2, v5
	ds_bpermute_b32 v5, v8, v4
	v_xor_b32_e32 v7, 8, v2
	v_cmp_lt_i32_e32 vcc, v7, v3
	s_waitcnt lgkmcnt(0)
	v_max_f32_e32 v5, v5, v5
	v_max_f32_e32 v4, v4, v5
	v_cndmask_b32_e32 v5, v2, v7, vcc
	v_lshlrev_b32_e32 v9, 2, v5
	ds_bpermute_b32 v7, v9, v4
	v_cmp_eq_u32_e32 vcc, 0, v15
	v_lshlrev_b32_e32 v5, 2, v23
	s_and_saveexec_b64 s[4:5], vcc
	s_cbranch_execz .LBB329_122
; %bb.121:
	s_waitcnt lgkmcnt(0)
	v_max_f32_e32 v7, v7, v7
	v_max_f32_e32 v4, v4, v4
	;; [unrolled: 1-line block ×3, first 2 shown]
	ds_write_b32 v5, v4 offset:160
.LBB329_122:
	s_or_b64 exec, exec, s[4:5]
	v_cmp_gt_u32_e64 s[4:5], 2, v15
	v_mov_b32_e32 v4, 0xff7fffff
	s_waitcnt lgkmcnt(0)
	v_lshlrev_b32_e32 v7, 2, v15
	s_barrier
	s_and_saveexec_b64 s[10:11], s[4:5]
	s_cbranch_execz .LBB329_124
; %bb.123:
	ds_read_b32 v4, v7 offset:160
.LBB329_124:
	s_or_b64 exec, exec, s[10:11]
	v_xor_b32_e32 v12, 1, v2
	v_cmp_lt_i32_e64 s[10:11], v12, v3
	v_cndmask_b32_e64 v12, v2, v12, s[10:11]
	v_lshlrev_b32_e32 v12, 2, v12
	s_waitcnt lgkmcnt(0)
	ds_bpermute_b32 v13, v12, v4
	v_max_f32_e32 v4, v4, v4
	s_sub_i32 s7, s56, s58
	s_lshl_b32 s7, s7, 3
	s_add_i32 s7, s7, s57
	s_waitcnt lgkmcnt(0)
	v_max_f32_e32 v13, v13, v13
	v_max_f32_e32 v4, v4, v13
	v_lshlrev_b32_e32 v13, 2, v2
	v_and_b32_e32 v13, 0x100, v13
	ds_bpermute_b32 v4, v13, v4
	s_min_i32 s45, s7, s33
	s_sub_i32 s7, s45, s57
	v_cmp_gt_i32_e64 s[10:11], s7, v0
	v_mov_b32_e32 v14, 0
	s_and_saveexec_b64 s[16:17], s[10:11]
	s_cbranch_execz .LBB329_128
; %bb.125:
	v_mov_b32_e32 v14, 0xb0
	v_lshl_add_u32 v16, v0, 2, v14
	s_mov_b64 s[22:23], 0
	v_mov_b32_e32 v14, 0
	v_mov_b32_e32 v17, v0
.LBB329_126:                            ; =>This Inner Loop Header: Depth=1
	ds_read_b32 v18, v16
	v_add_u32_e32 v17, 0x80, v17
	v_cmp_le_i32_e64 s[12:13], s7, v17
	s_or_b64 s[22:23], s[12:13], s[22:23]
	s_waitcnt lgkmcnt(0)
	v_sub_f32_e32 v18, v18, v4
	v_mul_f32_e32 v18, 0x3fb8aa3b, v18
	v_exp_f32_e32 v18, v18
	ds_write_b32 v16, v18
	v_add_f32_e32 v14, v14, v18
	v_add_u32_e32 v16, 0x200, v16
	s_andn2_b64 exec, exec, s[22:23]
	s_cbranch_execnz .LBB329_126
; %bb.127:
	s_or_b64 exec, exec, s[22:23]
.LBB329_128:
	s_or_b64 exec, exec, s[16:17]
	ds_bpermute_b32 v6, v6, v14
	s_waitcnt lgkmcnt(0)
	v_add_f32_e32 v6, v14, v6
	ds_bpermute_b32 v8, v8, v6
	s_waitcnt lgkmcnt(0)
	v_add_f32_e32 v6, v6, v8
	ds_bpermute_b32 v8, v9, v6
	v_xor_b32_e32 v9, 4, v2
	v_cmp_lt_i32_e64 s[12:13], v9, v3
	v_cndmask_b32_e64 v9, v2, v9, s[12:13]
	v_lshlrev_b32_e32 v9, 2, v9
	s_waitcnt lgkmcnt(0)
	v_add_f32_e32 v6, v6, v8
	ds_bpermute_b32 v8, v9, v6
	v_xor_b32_e32 v9, 2, v2
	v_cmp_lt_i32_e64 s[12:13], v9, v3
	v_cndmask_b32_e64 v2, v2, v9, s[12:13]
	v_lshlrev_b32_e32 v2, 2, v2
	s_waitcnt lgkmcnt(0)
	v_add_f32_e32 v3, v6, v8
	ds_bpermute_b32 v2, v2, v3
	s_waitcnt lgkmcnt(0)
	v_add_f32_e32 v2, v3, v2
	ds_bpermute_b32 v3, v12, v2
	s_waitcnt lgkmcnt(0)
	v_add_f32_e32 v2, v2, v3
	s_and_saveexec_b64 s[12:13], vcc
	s_cbranch_execz .LBB329_130
; %bb.129:
	ds_write_b32 v5, v2 offset:168
.LBB329_130:
	s_or_b64 exec, exec, s[12:13]
	s_waitcnt lgkmcnt(0)
	s_barrier
	s_and_saveexec_b64 s[12:13], s[4:5]
	s_cbranch_execz .LBB329_132
; %bb.131:
	ds_read_b32 v2, v7 offset:168
.LBB329_132:
	s_or_b64 exec, exec, s[12:13]
	s_waitcnt lgkmcnt(0)
	ds_bpermute_b32 v3, v12, v2
	s_waitcnt lgkmcnt(0)
	v_add_f32_e32 v2, v2, v3
	ds_bpermute_b32 v5, v13, v2
	s_and_saveexec_b64 s[4:5], s[10:11]
	s_cbranch_execz .LBB329_145
; %bb.133:
	s_waitcnt lgkmcnt(0)
	v_add_f32_e32 v2, 0x358637bd, v5
	v_div_scale_f32 v3, s[10:11], v2, v2, 1.0
	v_rcp_f32_e32 v6, v3
	v_div_scale_f32 v7, vcc, 1.0, v2, 1.0
	s_movk_i32 s10, 0x7f
	v_fma_f32 v8, -v3, v6, 1.0
	v_fmac_f32_e32 v6, v8, v6
	v_mul_f32_e32 v8, v7, v6
	v_fma_f32 v9, -v3, v8, v7
	v_fmac_f32_e32 v8, v9, v6
	v_fma_f32 v3, -v3, v8, v7
	v_div_fmas_f32 v3, v3, v6, v8
	v_div_fixup_f32 v2, v3, v2, 1.0
	v_xad_u32 v3, v0, -1, s45
	v_subrev_u32_e32 v6, s57, v3
	v_cmp_lt_u32_e32 vcc, s10, v6
	s_mov_b64 s[12:13], -1
	v_mov_b32_e32 v3, v0
	s_and_saveexec_b64 s[10:11], vcc
	s_cbranch_execz .LBB329_142
; %bb.134:
	v_lshrrev_b32_e32 v6, 7, v6
	v_add_u32_e32 v8, -1, v6
	v_lshrrev_b32_e32 v7, 1, v8
	v_mov_b32_e32 v3, v2
	v_add_u32_e32 v7, 1, v7
	v_cmp_lt_u32_e32 vcc, 13, v8
	v_mov_b32_e32 v12, 0
	s_and_saveexec_b64 s[12:13], vcc
	s_cbranch_execz .LBB329_138
; %bb.135:
	v_mov_b32_e32 v9, 0xb0
	v_and_b32_e32 v8, -8, v7
	v_lshl_add_u32 v9, v0, 2, v9
	s_mov_b32 s22, 0
	s_mov_b64 s[16:17], 0
.LBB329_136:                            ; =>This Inner Loop Header: Depth=1
	ds_read2st64_b32 v[12:13], v9 offset1:2
	ds_read2st64_b32 v[16:17], v9 offset0:4 offset1:6
	ds_read2st64_b32 v[20:21], v9 offset0:8 offset1:10
	;; [unrolled: 1-line block ×3, first 2 shown]
	v_add_u32_e32 v8, -8, v8
	s_waitcnt lgkmcnt(3)
	v_pk_mul_f32 v[12:13], v[2:3], v[12:13]
	s_waitcnt lgkmcnt(2)
	v_pk_mul_f32 v[16:17], v[2:3], v[16:17]
	ds_write2st64_b32 v9, v12, v13 offset1:2
	ds_write2st64_b32 v9, v16, v17 offset0:4 offset1:6
	ds_read2st64_b32 v[16:17], v9 offset0:16 offset1:18
	s_waitcnt lgkmcnt(4)
	v_pk_mul_f32 v[12:13], v[2:3], v[20:21]
	ds_write2st64_b32 v9, v12, v13 offset0:8 offset1:10
	s_waitcnt lgkmcnt(4)
	v_pk_mul_f32 v[12:13], v[2:3], v[24:25]
	ds_write2st64_b32 v9, v12, v13 offset0:12 offset1:14
	ds_read2st64_b32 v[12:13], v9 offset0:20 offset1:22
	s_waitcnt lgkmcnt(3)
	v_pk_mul_f32 v[16:17], v[2:3], v[16:17]
	ds_read2st64_b32 v[20:21], v9 offset0:24 offset1:26
	ds_write2st64_b32 v9, v16, v17 offset0:16 offset1:18
	ds_read2st64_b32 v[16:17], v9 offset0:28 offset1:30
	s_waitcnt lgkmcnt(3)
	v_pk_mul_f32 v[12:13], v[2:3], v[12:13]
	ds_write2st64_b32 v9, v12, v13 offset0:20 offset1:22
	s_waitcnt lgkmcnt(3)
	v_pk_mul_f32 v[12:13], v[2:3], v[20:21]
	ds_write2st64_b32 v9, v12, v13 offset0:24 offset1:26
	s_waitcnt lgkmcnt(2)
	v_pk_mul_f32 v[12:13], v[2:3], v[16:17]
	s_add_i32 s22, s22, 16
	v_cmp_eq_u32_e32 vcc, 0, v8
	ds_write2st64_b32 v9, v12, v13 offset0:28 offset1:30
	v_add_u32_e32 v9, 0x2000, v9
	s_or_b64 s[16:17], vcc, s[16:17]
	v_mov_b32_e32 v12, s22
	s_andn2_b64 exec, exec, s[16:17]
	s_cbranch_execnz .LBB329_136
; %bb.137:
	s_or_b64 exec, exec, s[16:17]
.LBB329_138:
	s_or_b64 exec, exec, s[12:13]
	v_and_b32_e32 v7, 7, v7
	v_cmp_ne_u32_e32 vcc, 0, v7
	s_and_saveexec_b64 s[12:13], vcc
	s_cbranch_execz .LBB329_141
; %bb.139:
	v_lshlrev_b32_e32 v8, 9, v12
	v_lshlrev_b32_e32 v9, 2, v0
	s_movk_i32 s16, 0xb0
	v_add3_u32 v8, v8, v9, s16
	s_mov_b64 s[16:17], 0
.LBB329_140:                            ; =>This Inner Loop Header: Depth=1
	ds_read2st64_b32 v[12:13], v8 offset1:2
	v_add_u32_e32 v7, -1, v7
	v_cmp_eq_u32_e32 vcc, 0, v7
	s_or_b64 s[16:17], vcc, s[16:17]
	s_waitcnt lgkmcnt(0)
	v_pk_mul_f32 v[12:13], v[2:3], v[12:13]
	ds_write2st64_b32 v8, v12, v13 offset1:2
	v_add_u32_e32 v8, 0x400, v8
	s_andn2_b64 exec, exec, s[16:17]
	s_cbranch_execnz .LBB329_140
.LBB329_141:
	s_or_b64 exec, exec, s[12:13]
	v_add_u32_e32 v6, 1, v6
	v_and_b32_e32 v7, 0x3fffffe, v6
	v_cmp_ne_u32_e32 vcc, v6, v7
	v_lshl_add_u32 v3, v7, 7, v0
	s_orn2_b64 s[12:13], vcc, exec
.LBB329_142:
	s_or_b64 exec, exec, s[10:11]
	s_and_b64 exec, exec, s[12:13]
	s_cbranch_execz .LBB329_145
; %bb.143:
	v_mov_b32_e32 v6, 0xb0
	v_lshl_add_u32 v6, v3, 2, v6
	s_mov_b64 s[10:11], 0
.LBB329_144:                            ; =>This Inner Loop Header: Depth=1
	ds_read_b32 v7, v6
	v_add_u32_e32 v3, 0x80, v3
	v_cmp_le_i32_e32 vcc, s7, v3
	s_or_b64 s[10:11], vcc, s[10:11]
	s_waitcnt lgkmcnt(0)
	v_mul_f32_e32 v7, v2, v7
	ds_write_b32 v6, v7
	v_add_u32_e32 v6, 0x200, v6
	s_andn2_b64 exec, exec, s[10:11]
	s_cbranch_execnz .LBB329_144
.LBB329_145:
	s_or_b64 exec, exec, s[4:5]
	s_mul_i32 s4, s15, s36
	v_cmp_eq_u32_e32 vcc, 0, v0
	s_mul_i32 s10, s4, s9
	s_waitcnt lgkmcnt(0)
	s_barrier
	s_and_saveexec_b64 s[4:5], vcc
	s_cbranch_execz .LBB329_147
; %bb.146:
	s_ashr_i32 s11, s10, 31
	s_lshl_b64 s[12:13], s[10:11], 2
	s_add_u32 s9, s30, s12
	s_mul_i32 s6, s15, s6
	s_addc_u32 s11, s31, s13
	s_ashr_i32 s7, s6, 31
	s_lshl_b64 s[6:7], s[6:7], 2
	s_add_u32 s22, s9, s6
	s_addc_u32 s11, s11, s7
	s_ashr_i32 s9, s8, 31
	s_lshl_b64 s[16:17], s[8:9], 2
	s_add_u32 s22, s22, s16
	s_addc_u32 s23, s11, s17
	s_add_u32 s9, s28, s12
	s_addc_u32 s11, s29, s13
	;; [unrolled: 2-line block ×3, first 2 shown]
	s_add_u32 s6, s6, s16
	v_mov_b32_e32 v2, 0
	s_addc_u32 s7, s7, s17
	global_store_dword v2, v4, s[22:23]
	global_store_dword v2, v5, s[6:7]
.LBB329_147:
	s_or_b64 exec, exec, s[4:5]
	v_mov_b32_e32 v13, 0
	v_mov_b32_e32 v12, v13
	s_and_saveexec_b64 s[6:7], s[2:3]
	s_cbranch_execz .LBB329_415
; %bb.148:
	s_sub_i32 s9, s24, s25
	s_ashr_i32 s2, s27, 31
	s_add_u32 s12, s42, s27
	s_addc_u32 s13, s43, s2
	s_abs_i32 s36, s26
	v_cvt_f32_u32_e32 v2, s36
	v_or_b32_e32 v3, 64, v15
	s_movk_i32 s2, 0x50
	v_cmp_gt_u32_e32 vcc, s2, v3
	v_rcp_iflag_f32_e32 v2, v2
	s_sub_i32 s2, 0, s36
	s_add_i32 s42, s20, -1
	v_lshlrev_b32_e32 v18, 3, v3
	v_mul_f32_e32 v2, 0x4f7ffffe, v2
	v_cvt_u32_f32_e32 v2, v2
	s_mov_b32 s16, -1
	v_mov_b32_e32 v17, 0
	s_mov_b32 s11, s21
	v_mul_lo_u32 v3, s2, v2
	s_lshl_b64 s[2:3], s[40:41], 2
	v_mul_hi_u32 v3, v2, v3
	s_add_u32 s2, s38, s2
	v_add_u32_e32 v22, v2, v3
	v_lshlrev_b64 v[2:3], 2, v[10:11]
	s_addc_u32 s3, s39, s3
	v_mov_b32_e32 v4, s3
	v_add_co_u32_e64 v20, s[2:3], s2, v2
	v_mov_b32_e32 v2, 0xb0
	s_mov_b32 s17, 0xffffff
	v_lshlrev_b32_e32 v14, 3, v15
	v_addc_co_u32_e64 v21, s[2:3], v4, v3, s[2:3]
	v_lshl_add_u32 v11, v23, 5, v2
	s_mov_b64 s[20:21], 0
	s_mov_b32 s38, 0x7f800000
	s_movk_i32 s39, 0x7fff
	s_movk_i32 s40, 0x80
	;; [unrolled: 1-line block ×3, first 2 shown]
	v_bfrev_b32_e32 v23, 60
	v_mov_b32_e32 v12, v17
	v_mov_b32_e32 v13, v17
	s_branch .LBB329_152
.LBB329_149:                            ;   in Loop: Header=BB329_152 Depth=1
	s_or_b64 exec, exec, s[4:5]
	v_and_b32_e32 v26, 0xffff0000, v9
	v_and_b32_e32 v9, 0xffff0000, v8
	;; [unrolled: 1-line block ×5, first 2 shown]
	v_pk_add_f32 v[2:3], v[6:7], v[8:9]
	v_and_b32_e32 v25, 0xffff0000, v24
	v_and_b32_e32 v24, 0xffff0000, v16
	;; [unrolled: 1-line block ×3, first 2 shown]
	v_mov_b32_e32 v6, v3
	v_pk_add_f32 v[2:3], v[2:3], v[6:7]
	v_pk_add_f32 v[6:7], v[26:27], v[24:25]
	;; [unrolled: 1-line block ×3, first 2 shown]
	v_mov_b32_e32 v6, v7
	v_pk_add_f32 v[2:3], v[2:3], v[6:7]
	v_mov_b32_e32 v3, v2
	v_pk_add_f32 v[12:13], v[12:13], v[2:3]
.LBB329_150:                            ;   in Loop: Header=BB329_152 Depth=1
	s_or_b64 exec, exec, s[24:25]
	v_mov_b32_e32 v12, v4
.LBB329_151:                            ;   in Loop: Header=BB329_152 Depth=1
	s_or_b64 exec, exec, s[22:23]
	v_add_co_u32_e64 v20, s[2:3], 8, v20
	v_add_u32_e32 v10, 2, v10
	v_addc_co_u32_e64 v21, s[2:3], 0, v21, s[2:3]
	v_cmp_le_i32_e64 s[2:3], s56, v10
	v_add_u32_e32 v19, 16, v19
	s_or_b64 s[20:21], s[2:3], s[20:21]
	v_add_u32_e32 v11, 64, v11
	s_andn2_b64 exec, exec, s[20:21]
	s_cbranch_execz .LBB329_414
.LBB329_152:                            ; =>This Inner Loop Header: Depth=1
	v_sub_u32_e32 v3, 0, v19
	v_max_i32_e32 v3, v19, v3
	v_mul_hi_u32 v4, v3, s54
	v_mul_lo_u32 v5, v4, s37
	v_sub_u32_e32 v3, v3, v5
	v_add_u32_e32 v5, 1, v4
	v_cmp_le_u32_e64 s[2:3], s37, v3
	v_cndmask_b32_e64 v4, v4, v5, s[2:3]
	v_subrev_u32_e32 v5, s37, v3
	v_cndmask_b32_e64 v3, v3, v5, s[2:3]
	v_ashrrev_i32_e32 v2, 31, v19
	v_add_u32_e32 v5, 1, v4
	v_cmp_le_u32_e64 s[2:3], s37, v3
	v_xor_b32_e32 v2, s55, v2
	v_cndmask_b32_e64 v3, v4, v5, s[2:3]
	v_xor_b32_e32 v3, v3, v2
	v_sub_u32_e32 v2, v3, v2
	v_add_u32_e32 v3, s44, v2
	v_sub_u32_e32 v5, 0, v3
	v_ashrrev_i32_e32 v4, 31, v3
	v_max_i32_e32 v3, v3, v5
	v_mul_hi_u32 v5, v3, v22
	v_mul_lo_u32 v5, v5, s36
	v_sub_u32_e32 v3, v3, v5
	v_subrev_u32_e32 v5, s36, v3
	v_cmp_le_u32_e64 s[2:3], s36, v3
	v_cndmask_b32_e64 v3, v3, v5, s[2:3]
	v_subrev_u32_e32 v5, s36, v3
	v_cmp_le_u32_e64 s[2:3], s36, v3
	v_cndmask_b32_e64 v3, v3, v5, s[2:3]
	v_xor_b32_e32 v3, v3, v4
	v_sub_u32_e32 v3, v3, v4
	v_cmp_eq_u32_e64 s[2:3], 0, v3
	v_cmp_lt_i32_e64 s[4:5], s9, v2
	s_or_b64 s[2:3], s[2:3], s[4:5]
	s_and_saveexec_b64 s[22:23], s[2:3]
	s_cbranch_execz .LBB329_151
; %bb.153:                              ;   in Loop: Header=BB329_152 Depth=1
	global_load_dword v16, v[20:21], off
	ds_read2_b64 v[6:9], v11 offset1:1
	ds_read2_b64 v[2:5], v11 offset0:2 offset1:3
                                        ; implicit-def: $vgpr31
	s_waitcnt lgkmcnt(1)
	v_and_b32_e32 v24, 0x7f800000, v6
	v_cmp_ne_u32_e64 s[2:3], s38, v24
	s_and_saveexec_b64 s[4:5], s[2:3]
	s_xor_b64 s[2:3], exec, s[4:5]
; %bb.154:                              ;   in Loop: Header=BB329_152 Depth=1
	v_bfe_u32 v24, v6, 16, 1
	v_add3_u32 v31, v6, v24, s39
; %bb.155:                              ;   in Loop: Header=BB329_152 Depth=1
	s_andn2_saveexec_b64 s[4:5], s[2:3]
; %bb.156:                              ;   in Loop: Header=BB329_152 Depth=1
	v_or_b32_e32 v24, 0x10000, v6
	v_cmp_eq_u32_sdwa s[2:3], v6, v17 src0_sel:WORD_0 src1_sel:DWORD
	v_cndmask_b32_e64 v31, v24, v6, s[2:3]
; %bb.157:                              ;   in Loop: Header=BB329_152 Depth=1
	s_or_b64 exec, exec, s[4:5]
	v_and_b32_e32 v6, 0x7f800000, v7
	v_cmp_ne_u32_e64 s[2:3], s38, v6
                                        ; implicit-def: $vgpr30
	s_and_saveexec_b64 s[4:5], s[2:3]
	s_xor_b64 s[2:3], exec, s[4:5]
; %bb.158:                              ;   in Loop: Header=BB329_152 Depth=1
	v_bfe_u32 v6, v7, 16, 1
	v_add3_u32 v30, v7, v6, s39
; %bb.159:                              ;   in Loop: Header=BB329_152 Depth=1
	s_andn2_saveexec_b64 s[4:5], s[2:3]
; %bb.160:                              ;   in Loop: Header=BB329_152 Depth=1
	v_or_b32_e32 v6, 0x10000, v7
	v_cmp_eq_u32_sdwa s[2:3], v7, v17 src0_sel:WORD_0 src1_sel:DWORD
	v_cndmask_b32_e64 v30, v6, v7, s[2:3]
; %bb.161:                              ;   in Loop: Header=BB329_152 Depth=1
	s_or_b64 exec, exec, s[4:5]
	v_and_b32_e32 v6, 0x7f800000, v8
	v_cmp_ne_u32_e64 s[2:3], s38, v6
                                        ; implicit-def: $vgpr29
	s_and_saveexec_b64 s[4:5], s[2:3]
	s_xor_b64 s[2:3], exec, s[4:5]
; %bb.162:                              ;   in Loop: Header=BB329_152 Depth=1
	v_bfe_u32 v6, v8, 16, 1
	v_add3_u32 v29, v8, v6, s39
; %bb.163:                              ;   in Loop: Header=BB329_152 Depth=1
	s_andn2_saveexec_b64 s[4:5], s[2:3]
; %bb.164:                              ;   in Loop: Header=BB329_152 Depth=1
	v_or_b32_e32 v6, 0x10000, v8
	v_cmp_eq_u32_sdwa s[2:3], v8, v17 src0_sel:WORD_0 src1_sel:DWORD
	v_cndmask_b32_e64 v29, v6, v8, s[2:3]
; %bb.165:                              ;   in Loop: Header=BB329_152 Depth=1
	s_or_b64 exec, exec, s[4:5]
	v_and_b32_e32 v6, 0x7f800000, v9
	v_cmp_ne_u32_e64 s[2:3], s38, v6
                                        ; implicit-def: $vgpr24
	s_and_saveexec_b64 s[4:5], s[2:3]
	s_xor_b64 s[2:3], exec, s[4:5]
; %bb.166:                              ;   in Loop: Header=BB329_152 Depth=1
	v_bfe_u32 v6, v9, 16, 1
	v_add3_u32 v24, v9, v6, s39
                                        ; implicit-def: $vgpr6_vgpr7_vgpr8_vgpr9
; %bb.167:                              ;   in Loop: Header=BB329_152 Depth=1
	s_andn2_saveexec_b64 s[4:5], s[2:3]
; %bb.168:                              ;   in Loop: Header=BB329_152 Depth=1
	v_or_b32_e32 v6, 0x10000, v9
	v_cmp_eq_u32_sdwa s[2:3], v9, v17 src0_sel:WORD_0 src1_sel:DWORD
	v_cndmask_b32_e64 v24, v6, v9, s[2:3]
; %bb.169:                              ;   in Loop: Header=BB329_152 Depth=1
	s_or_b64 exec, exec, s[4:5]
	s_waitcnt lgkmcnt(0)
	v_and_b32_e32 v6, 0x7f800000, v2
	v_cmp_ne_u32_e64 s[2:3], s38, v6
                                        ; implicit-def: $vgpr25
	s_and_saveexec_b64 s[4:5], s[2:3]
	s_xor_b64 s[2:3], exec, s[4:5]
; %bb.170:                              ;   in Loop: Header=BB329_152 Depth=1
	v_bfe_u32 v6, v2, 16, 1
	v_add3_u32 v25, v2, v6, s39
; %bb.171:                              ;   in Loop: Header=BB329_152 Depth=1
	s_andn2_saveexec_b64 s[4:5], s[2:3]
; %bb.172:                              ;   in Loop: Header=BB329_152 Depth=1
	v_or_b32_e32 v6, 0x10000, v2
	v_cmp_eq_u32_sdwa s[2:3], v2, v17 src0_sel:WORD_0 src1_sel:DWORD
	v_cndmask_b32_e64 v25, v6, v2, s[2:3]
; %bb.173:                              ;   in Loop: Header=BB329_152 Depth=1
	s_or_b64 exec, exec, s[4:5]
	v_and_b32_e32 v2, 0x7f800000, v3
	v_cmp_ne_u32_e64 s[2:3], s38, v2
                                        ; implicit-def: $vgpr26
	s_and_saveexec_b64 s[4:5], s[2:3]
	s_xor_b64 s[2:3], exec, s[4:5]
; %bb.174:                              ;   in Loop: Header=BB329_152 Depth=1
	v_bfe_u32 v2, v3, 16, 1
	v_add3_u32 v26, v3, v2, s39
; %bb.175:                              ;   in Loop: Header=BB329_152 Depth=1
	s_andn2_saveexec_b64 s[4:5], s[2:3]
; %bb.176:                              ;   in Loop: Header=BB329_152 Depth=1
	v_or_b32_e32 v2, 0x10000, v3
	v_cmp_eq_u32_sdwa s[2:3], v3, v17 src0_sel:WORD_0 src1_sel:DWORD
	v_cndmask_b32_e64 v26, v2, v3, s[2:3]
; %bb.177:                              ;   in Loop: Header=BB329_152 Depth=1
	s_or_b64 exec, exec, s[4:5]
	v_and_b32_e32 v2, 0x7f800000, v4
	v_cmp_ne_u32_e64 s[2:3], s38, v2
                                        ; implicit-def: $vgpr27
	s_and_saveexec_b64 s[4:5], s[2:3]
	s_xor_b64 s[2:3], exec, s[4:5]
; %bb.178:                              ;   in Loop: Header=BB329_152 Depth=1
	v_bfe_u32 v2, v4, 16, 1
	v_add3_u32 v27, v4, v2, s39
; %bb.179:                              ;   in Loop: Header=BB329_152 Depth=1
	s_andn2_saveexec_b64 s[4:5], s[2:3]
; %bb.180:                              ;   in Loop: Header=BB329_152 Depth=1
	v_or_b32_e32 v2, 0x10000, v4
	v_cmp_eq_u32_sdwa s[2:3], v4, v17 src0_sel:WORD_0 src1_sel:DWORD
	v_cndmask_b32_e64 v27, v2, v4, s[2:3]
; %bb.181:                              ;   in Loop: Header=BB329_152 Depth=1
	s_or_b64 exec, exec, s[4:5]
	v_and_b32_e32 v2, 0x7f800000, v5
	v_cmp_ne_u32_e64 s[2:3], s38, v2
                                        ; implicit-def: $vgpr28
	s_and_saveexec_b64 s[4:5], s[2:3]
	s_xor_b64 s[2:3], exec, s[4:5]
; %bb.182:                              ;   in Loop: Header=BB329_152 Depth=1
	v_bfe_u32 v2, v5, 16, 1
	v_add3_u32 v28, v5, v2, s39
                                        ; implicit-def: $vgpr2_vgpr3_vgpr4_vgpr5
; %bb.183:                              ;   in Loop: Header=BB329_152 Depth=1
	s_andn2_saveexec_b64 s[4:5], s[2:3]
; %bb.184:                              ;   in Loop: Header=BB329_152 Depth=1
	v_or_b32_e32 v2, 0x10000, v5
	v_cmp_eq_u32_sdwa s[2:3], v5, v17 src0_sel:WORD_0 src1_sel:DWORD
	v_cndmask_b32_e64 v28, v2, v5, s[2:3]
; %bb.185:                              ;   in Loop: Header=BB329_152 Depth=1
	s_or_b64 exec, exec, s[4:5]
	v_pk_mov_b32 v[2:3], s[12:13], s[12:13] op_sel:[0,1]
	s_waitcnt vmcnt(0)
	v_mad_i64_i32 v[2:3], s[2:3], v16, s11, v[2:3]
	v_add_co_u32_e64 v4, s[2:3], v2, v14
	v_addc_co_u32_e64 v5, s[2:3], 0, v3, s[2:3]
	global_load_dwordx2 v[4:5], v[4:5], off
	s_load_dword s43, s[18:19], 0x0
	v_mov_b32_e32 v6, 0
	s_waitcnt vmcnt(0)
	v_cmp_ne_u16_sdwa s[2:3], v4, v17 src0_sel:BYTE_0 src1_sel:DWORD
	s_and_saveexec_b64 s[4:5], s[2:3]
	s_cbranch_execz .LBB329_191
; %bb.186:                              ;   in Loop: Header=BB329_152 Depth=1
	v_cmp_ne_u16_sdwa s[2:3], v4, s40 src0_sel:BYTE_0 src1_sel:DWORD
	v_bfrev_b32_e32 v6, 1
	s_and_saveexec_b64 s[24:25], s[2:3]
	s_cbranch_execz .LBB329_190
; %bb.187:                              ;   in Loop: Header=BB329_152 Depth=1
	v_and_b32_e32 v7, 0x7f, v4
	v_cmp_ne_u32_e64 s[2:3], s41, v7
	v_mov_b32_e32 v6, 0x7f800001
	s_and_saveexec_b64 s[26:27], s[2:3]
	s_cbranch_execz .LBB329_189
; %bb.188:                              ;   in Loop: Header=BB329_152 Depth=1
	v_and_b32_e32 v6, 7, v4
	v_ffbh_u32_e32 v6, v6
	v_min_u32_e32 v6, 32, v6
	v_lshrrev_b32_e32 v8, 3, v7
	v_subrev_u32_e32 v9, 28, v6
	v_sub_u32_e32 v6, 29, v6
	v_cmp_gt_u32_e64 s[2:3], 8, v7
	v_cndmask_b32_e64 v8, v8, v6, s[2:3]
	v_cndmask_b32_e64 v6, 0, v9, s[2:3]
	v_lshlrev_b64 v[6:7], v6, v[4:5]
	v_lshlrev_b32_e32 v6, 20, v6
	v_lshlrev_b32_e32 v7, 24, v4
	v_and_b32_e32 v6, 0x700000, v6
	v_and_b32_e32 v7, 0x80000000, v7
	v_lshl_add_u32 v8, v8, 23, v23
	v_or3_b32 v6, v7, v8, v6
.LBB329_189:                            ;   in Loop: Header=BB329_152 Depth=1
	s_or_b64 exec, exec, s[26:27]
.LBB329_190:                            ;   in Loop: Header=BB329_152 Depth=1
	s_or_b64 exec, exec, s[24:25]
.LBB329_191:                            ;   in Loop: Header=BB329_152 Depth=1
	s_or_b64 exec, exec, s[4:5]
	s_waitcnt lgkmcnt(0)
	v_mul_f32_e32 v6, s43, v6
	v_and_b32_e32 v7, 0x7f800000, v6
	v_cmp_ne_u32_e64 s[2:3], s38, v7
                                        ; implicit-def: $vgpr7
	s_and_saveexec_b64 s[4:5], s[2:3]
	s_xor_b64 s[2:3], exec, s[4:5]
; %bb.192:                              ;   in Loop: Header=BB329_152 Depth=1
	v_bfe_u32 v7, v6, 16, 1
	v_add3_u32 v7, v6, v7, s39
                                        ; implicit-def: $vgpr6
; %bb.193:                              ;   in Loop: Header=BB329_152 Depth=1
	s_andn2_saveexec_b64 s[4:5], s[2:3]
; %bb.194:                              ;   in Loop: Header=BB329_152 Depth=1
	v_or_b32_e32 v7, 0x10000, v6
	v_cmp_eq_u32_sdwa s[2:3], v6, v17 src0_sel:WORD_0 src1_sel:DWORD
	v_cndmask_b32_e64 v7, v7, v6, s[2:3]
; %bb.195:                              ;   in Loop: Header=BB329_152 Depth=1
	s_or_b64 exec, exec, s[4:5]
	v_lshrrev_b16_e32 v6, 8, v4
	v_cmp_ne_u16_e64 s[2:3], 0, v6
	v_mov_b32_e32 v8, 0
	s_and_saveexec_b64 s[4:5], s[2:3]
	s_cbranch_execz .LBB329_201
; %bb.196:                              ;   in Loop: Header=BB329_152 Depth=1
	v_cmp_ne_u16_e64 s[2:3], s40, v6
	v_bfrev_b32_e32 v8, 1
	s_and_saveexec_b64 s[24:25], s[2:3]
	s_cbranch_execz .LBB329_200
; %bb.197:                              ;   in Loop: Header=BB329_152 Depth=1
	v_and_b32_e32 v9, 0x7f, v6
	v_cmp_ne_u32_e64 s[2:3], s41, v9
	v_mov_b32_e32 v8, 0x7f800001
	s_and_saveexec_b64 s[26:27], s[2:3]
	s_cbranch_execz .LBB329_199
; %bb.198:                              ;   in Loop: Header=BB329_152 Depth=1
	v_and_b32_e32 v8, 7, v6
	v_ffbh_u32_e32 v32, v8
	v_min_u32_e32 v34, 32, v32
	v_subrev_u32_e32 v32, 28, v34
	v_lshlrev_b64 v[32:33], v32, v[6:7]
	v_lshrrev_b32_e32 v16, 3, v9
	v_sub_u32_e32 v6, 29, v34
	v_and_b32_e32 v32, 7, v32
	v_cmp_gt_u32_e64 s[2:3], 8, v9
	v_cndmask_b32_e64 v6, v16, v6, s[2:3]
	v_cndmask_b32_e64 v8, v8, v32, s[2:3]
	v_lshlrev_b32_e32 v9, 16, v4
	v_lshlrev_b32_e32 v8, 20, v8
	v_and_b32_e32 v9, 0x80000000, v9
	v_lshl_add_u32 v6, v6, 23, v23
	v_or3_b32 v8, v9, v6, v8
.LBB329_199:                            ;   in Loop: Header=BB329_152 Depth=1
	s_or_b64 exec, exec, s[26:27]
.LBB329_200:                            ;   in Loop: Header=BB329_152 Depth=1
	s_or_b64 exec, exec, s[24:25]
.LBB329_201:                            ;   in Loop: Header=BB329_152 Depth=1
	s_or_b64 exec, exec, s[4:5]
	v_mul_f32_e32 v6, s43, v8
	v_and_b32_e32 v8, 0x7f800000, v6
	v_cmp_ne_u32_e64 s[2:3], s38, v8
                                        ; implicit-def: $vgpr8
	s_and_saveexec_b64 s[4:5], s[2:3]
	s_xor_b64 s[2:3], exec, s[4:5]
; %bb.202:                              ;   in Loop: Header=BB329_152 Depth=1
	v_bfe_u32 v8, v6, 16, 1
	v_add3_u32 v8, v6, v8, s39
                                        ; implicit-def: $vgpr6
; %bb.203:                              ;   in Loop: Header=BB329_152 Depth=1
	s_andn2_saveexec_b64 s[4:5], s[2:3]
; %bb.204:                              ;   in Loop: Header=BB329_152 Depth=1
	v_or_b32_e32 v8, 0x10000, v6
	v_cmp_eq_u32_sdwa s[2:3], v6, v17 src0_sel:WORD_0 src1_sel:DWORD
	v_cndmask_b32_e64 v8, v8, v6, s[2:3]
; %bb.205:                              ;   in Loop: Header=BB329_152 Depth=1
	s_or_b64 exec, exec, s[4:5]
	v_lshrrev_b32_e32 v6, 16, v4
	v_cmp_ne_u16_sdwa s[2:3], v6, v17 src0_sel:BYTE_0 src1_sel:DWORD
	v_mov_b32_e32 v9, 0
	s_and_saveexec_b64 s[4:5], s[2:3]
	s_cbranch_execz .LBB329_211
; %bb.206:                              ;   in Loop: Header=BB329_152 Depth=1
	v_cmp_ne_u16_sdwa s[2:3], v6, s40 src0_sel:BYTE_0 src1_sel:DWORD
	v_bfrev_b32_e32 v9, 1
	s_and_saveexec_b64 s[24:25], s[2:3]
	s_cbranch_execz .LBB329_210
; %bb.207:                              ;   in Loop: Header=BB329_152 Depth=1
	v_bfe_u32 v16, v4, 16, 7
	v_cmp_ne_u32_e64 s[2:3], s41, v16
	v_mov_b32_e32 v9, 0x7f800001
	s_and_saveexec_b64 s[26:27], s[2:3]
	s_cbranch_execz .LBB329_209
; %bb.208:                              ;   in Loop: Header=BB329_152 Depth=1
	v_and_b32_e32 v9, 7, v6
	v_ffbh_u32_e32 v32, v9
	v_min_u32_e32 v35, 32, v32
	v_subrev_u32_e32 v32, 28, v35
	v_lshlrev_b64 v[32:33], v32, v[6:7]
	v_lshrrev_b32_e32 v34, 3, v16
	v_sub_u32_e32 v33, 29, v35
	v_and_b32_e32 v32, 7, v32
	v_cmp_gt_u32_e64 s[2:3], 8, v16
	v_cndmask_b32_e64 v16, v34, v33, s[2:3]
	v_cndmask_b32_e64 v9, v9, v32, s[2:3]
	v_lshlrev_b32_e32 v6, 24, v6
	v_lshlrev_b32_e32 v9, 20, v9
	v_and_b32_e32 v6, 0x80000000, v6
	v_lshl_add_u32 v16, v16, 23, v23
	v_or3_b32 v9, v6, v16, v9
.LBB329_209:                            ;   in Loop: Header=BB329_152 Depth=1
	s_or_b64 exec, exec, s[26:27]
.LBB329_210:                            ;   in Loop: Header=BB329_152 Depth=1
	s_or_b64 exec, exec, s[24:25]
.LBB329_211:                            ;   in Loop: Header=BB329_152 Depth=1
	s_or_b64 exec, exec, s[4:5]
	v_mul_f32_e32 v6, s43, v9
	v_and_b32_e32 v9, 0x7f800000, v6
	v_cmp_ne_u32_e64 s[2:3], s38, v9
                                        ; implicit-def: $vgpr9
	s_and_saveexec_b64 s[4:5], s[2:3]
	s_xor_b64 s[2:3], exec, s[4:5]
; %bb.212:                              ;   in Loop: Header=BB329_152 Depth=1
	v_bfe_u32 v9, v6, 16, 1
	v_add3_u32 v9, v6, v9, s39
                                        ; implicit-def: $vgpr6
; %bb.213:                              ;   in Loop: Header=BB329_152 Depth=1
	s_andn2_saveexec_b64 s[4:5], s[2:3]
; %bb.214:                              ;   in Loop: Header=BB329_152 Depth=1
	v_or_b32_e32 v9, 0x10000, v6
	v_cmp_eq_u32_sdwa s[2:3], v6, v17 src0_sel:WORD_0 src1_sel:DWORD
	v_cndmask_b32_e64 v9, v9, v6, s[2:3]
; %bb.215:                              ;   in Loop: Header=BB329_152 Depth=1
	s_or_b64 exec, exec, s[4:5]
	v_cmp_lt_u32_e64 s[2:3], s17, v4
	v_mov_b32_e32 v16, 0
	s_and_saveexec_b64 s[4:5], s[2:3]
	s_cbranch_execz .LBB329_221
; %bb.216:                              ;   in Loop: Header=BB329_152 Depth=1
	v_lshrrev_b32_e32 v6, 24, v4
	v_cmp_ne_u32_e64 s[2:3], s40, v6
	v_bfrev_b32_e32 v16, 1
	s_and_saveexec_b64 s[24:25], s[2:3]
	s_cbranch_execz .LBB329_220
; %bb.217:                              ;   in Loop: Header=BB329_152 Depth=1
	v_bfe_u32 v32, v4, 24, 7
	v_cmp_ne_u32_e64 s[2:3], s41, v32
	v_mov_b32_e32 v16, 0x7f800001
	s_and_saveexec_b64 s[26:27], s[2:3]
	s_cbranch_execz .LBB329_219
; %bb.218:                              ;   in Loop: Header=BB329_152 Depth=1
	v_and_b32_e32 v16, 7, v6
	v_ffbh_u32_e32 v34, v16
	v_min_u32_e32 v36, 32, v34
	v_subrev_u32_e32 v34, 28, v36
	v_lshlrev_b64 v[34:35], v34, v[6:7]
	v_lshrrev_b32_e32 v33, 3, v32
	v_sub_u32_e32 v35, 29, v36
	v_and_b32_e32 v34, 7, v34
	v_cmp_gt_u32_e64 s[2:3], 8, v32
	v_cndmask_b32_e64 v32, v33, v35, s[2:3]
	v_cndmask_b32_e64 v16, v16, v34, s[2:3]
	v_lshlrev_b32_e32 v6, 24, v6
	v_lshlrev_b32_e32 v16, 20, v16
	v_and_b32_e32 v6, 0x80000000, v6
	v_lshl_add_u32 v32, v32, 23, v23
	v_or3_b32 v16, v6, v32, v16
.LBB329_219:                            ;   in Loop: Header=BB329_152 Depth=1
	s_or_b64 exec, exec, s[26:27]
.LBB329_220:                            ;   in Loop: Header=BB329_152 Depth=1
	s_or_b64 exec, exec, s[24:25]
.LBB329_221:                            ;   in Loop: Header=BB329_152 Depth=1
	s_or_b64 exec, exec, s[4:5]
	v_mul_f32_e32 v6, s43, v16
	v_and_b32_e32 v16, 0x7f800000, v6
	v_cmp_ne_u32_e64 s[2:3], s38, v16
                                        ; implicit-def: $vgpr32
	s_and_saveexec_b64 s[4:5], s[2:3]
	s_xor_b64 s[2:3], exec, s[4:5]
; %bb.222:                              ;   in Loop: Header=BB329_152 Depth=1
	v_bfe_u32 v16, v6, 16, 1
	v_add3_u32 v32, v6, v16, s39
                                        ; implicit-def: $vgpr6
; %bb.223:                              ;   in Loop: Header=BB329_152 Depth=1
	s_andn2_saveexec_b64 s[4:5], s[2:3]
; %bb.224:                              ;   in Loop: Header=BB329_152 Depth=1
	v_or_b32_e32 v16, 0x10000, v6
	v_cmp_eq_u32_sdwa s[2:3], v6, v17 src0_sel:WORD_0 src1_sel:DWORD
	v_cndmask_b32_e64 v32, v16, v6, s[2:3]
; %bb.225:                              ;   in Loop: Header=BB329_152 Depth=1
	s_or_b64 exec, exec, s[4:5]
	v_mov_b32_e32 v16, v5
	v_cmp_ne_u16_sdwa s[2:3], v5, v17 src0_sel:BYTE_0 src1_sel:DWORD
	v_mov_b32_e32 v6, 0
	s_and_saveexec_b64 s[4:5], s[2:3]
	s_cbranch_execz .LBB329_231
; %bb.226:                              ;   in Loop: Header=BB329_152 Depth=1
	v_cmp_ne_u16_sdwa s[2:3], v5, s40 src0_sel:BYTE_0 src1_sel:DWORD
	v_bfrev_b32_e32 v6, 1
	s_and_saveexec_b64 s[24:25], s[2:3]
	s_cbranch_execz .LBB329_230
; %bb.227:                              ;   in Loop: Header=BB329_152 Depth=1
	v_and_b32_e32 v33, 0x7f, v5
	v_cmp_ne_u32_e64 s[2:3], s41, v33
	v_mov_b32_e32 v6, 0x7f800001
	s_and_saveexec_b64 s[26:27], s[2:3]
	s_cbranch_execz .LBB329_229
; %bb.228:                              ;   in Loop: Header=BB329_152 Depth=1
	v_and_b32_e32 v6, 7, v5
	v_ffbh_u32_e32 v6, v6
	v_min_u32_e32 v6, 32, v6
	v_subrev_u32_e32 v35, 28, v6
	v_cmp_gt_u32_e64 s[2:3], 8, v33
	v_lshrrev_b32_e32 v34, 3, v33
	v_sub_u32_e32 v6, 29, v6
	v_cndmask_b32_e64 v33, 0, v35, s[2:3]
	v_cndmask_b32_e64 v6, v34, v6, s[2:3]
	v_lshlrev_b64 v[34:35], v33, v[16:17]
	v_lshlrev_b32_e32 v33, 20, v34
	v_lshlrev_b32_e32 v34, 24, v16
	v_and_b32_e32 v33, 0x700000, v33
	v_and_b32_e32 v34, 0x80000000, v34
	v_lshl_add_u32 v6, v6, 23, v23
	v_or3_b32 v6, v34, v6, v33
.LBB329_229:                            ;   in Loop: Header=BB329_152 Depth=1
	s_or_b64 exec, exec, s[26:27]
.LBB329_230:                            ;   in Loop: Header=BB329_152 Depth=1
	s_or_b64 exec, exec, s[24:25]
.LBB329_231:                            ;   in Loop: Header=BB329_152 Depth=1
	s_or_b64 exec, exec, s[4:5]
	v_mul_f32_e32 v6, s43, v6
	v_and_b32_e32 v33, 0x7f800000, v6
	v_cmp_ne_u32_e64 s[2:3], s38, v33
                                        ; implicit-def: $vgpr33
	s_and_saveexec_b64 s[4:5], s[2:3]
	s_xor_b64 s[2:3], exec, s[4:5]
; %bb.232:                              ;   in Loop: Header=BB329_152 Depth=1
	v_bfe_u32 v33, v6, 16, 1
	v_add3_u32 v33, v6, v33, s39
                                        ; implicit-def: $vgpr6
; %bb.233:                              ;   in Loop: Header=BB329_152 Depth=1
	s_andn2_saveexec_b64 s[4:5], s[2:3]
; %bb.234:                              ;   in Loop: Header=BB329_152 Depth=1
	v_or_b32_e32 v33, 0x10000, v6
	v_cmp_eq_u32_sdwa s[2:3], v6, v17 src0_sel:WORD_0 src1_sel:DWORD
	v_cndmask_b32_e64 v33, v33, v6, s[2:3]
; %bb.235:                              ;   in Loop: Header=BB329_152 Depth=1
	s_or_b64 exec, exec, s[4:5]
	v_lshrrev_b16_e32 v6, 8, v16
	v_cmp_ne_u16_e64 s[2:3], 0, v6
	v_mov_b32_e32 v34, 0
	s_and_saveexec_b64 s[4:5], s[2:3]
	s_cbranch_execz .LBB329_241
; %bb.236:                              ;   in Loop: Header=BB329_152 Depth=1
	v_cmp_ne_u16_e64 s[2:3], s40, v6
	v_bfrev_b32_e32 v34, 1
	s_and_saveexec_b64 s[24:25], s[2:3]
	s_cbranch_execz .LBB329_240
; %bb.237:                              ;   in Loop: Header=BB329_152 Depth=1
	v_and_b32_e32 v35, 0x7f, v6
	v_cmp_ne_u32_e64 s[2:3], s41, v35
	v_mov_b32_e32 v34, 0x7f800001
	s_and_saveexec_b64 s[26:27], s[2:3]
	s_cbranch_execz .LBB329_239
; %bb.238:                              ;   in Loop: Header=BB329_152 Depth=1
	v_and_b32_e32 v34, 7, v6
	v_ffbh_u32_e32 v36, v34
	v_min_u32_e32 v39, 32, v36
	v_subrev_u32_e32 v36, 28, v39
	v_lshlrev_b64 v[36:37], v36, v[6:7]
	v_lshrrev_b32_e32 v38, 3, v35
	v_sub_u32_e32 v6, 29, v39
	v_and_b32_e32 v36, 7, v36
	v_cmp_gt_u32_e64 s[2:3], 8, v35
	v_cndmask_b32_e64 v6, v38, v6, s[2:3]
	v_cndmask_b32_e64 v34, v34, v36, s[2:3]
	v_lshlrev_b32_e32 v16, 16, v16
	v_lshlrev_b32_e32 v34, 20, v34
	v_and_b32_e32 v16, 0x80000000, v16
	v_lshl_add_u32 v6, v6, 23, v23
	v_or3_b32 v34, v16, v6, v34
.LBB329_239:                            ;   in Loop: Header=BB329_152 Depth=1
	s_or_b64 exec, exec, s[26:27]
.LBB329_240:                            ;   in Loop: Header=BB329_152 Depth=1
	s_or_b64 exec, exec, s[24:25]
.LBB329_241:                            ;   in Loop: Header=BB329_152 Depth=1
	s_or_b64 exec, exec, s[4:5]
	v_mul_f32_e32 v6, s43, v34
	v_and_b32_e32 v16, 0x7f800000, v6
	v_cmp_ne_u32_e64 s[2:3], s38, v16
                                        ; implicit-def: $vgpr16
	s_and_saveexec_b64 s[4:5], s[2:3]
	s_xor_b64 s[2:3], exec, s[4:5]
; %bb.242:                              ;   in Loop: Header=BB329_152 Depth=1
	v_bfe_u32 v16, v6, 16, 1
	v_add3_u32 v16, v6, v16, s39
                                        ; implicit-def: $vgpr6
; %bb.243:                              ;   in Loop: Header=BB329_152 Depth=1
	s_andn2_saveexec_b64 s[4:5], s[2:3]
; %bb.244:                              ;   in Loop: Header=BB329_152 Depth=1
	v_or_b32_e32 v16, 0x10000, v6
	v_cmp_eq_u32_sdwa s[2:3], v6, v17 src0_sel:WORD_0 src1_sel:DWORD
	v_cndmask_b32_e64 v16, v16, v6, s[2:3]
; %bb.245:                              ;   in Loop: Header=BB329_152 Depth=1
	s_or_b64 exec, exec, s[4:5]
	v_lshrrev_b32_e32 v6, 16, v5
	v_cmp_ne_u16_sdwa s[2:3], v6, v17 src0_sel:BYTE_0 src1_sel:DWORD
	v_mov_b32_e32 v34, 0
	s_and_saveexec_b64 s[4:5], s[2:3]
	s_cbranch_execz .LBB329_251
; %bb.246:                              ;   in Loop: Header=BB329_152 Depth=1
	v_cmp_ne_u16_sdwa s[2:3], v6, s40 src0_sel:BYTE_0 src1_sel:DWORD
	v_bfrev_b32_e32 v34, 1
	s_and_saveexec_b64 s[24:25], s[2:3]
	s_cbranch_execz .LBB329_250
; %bb.247:                              ;   in Loop: Header=BB329_152 Depth=1
	v_bfe_u32 v35, v5, 16, 7
	v_cmp_ne_u32_e64 s[2:3], s41, v35
	v_mov_b32_e32 v34, 0x7f800001
	s_and_saveexec_b64 s[26:27], s[2:3]
	s_cbranch_execz .LBB329_249
; %bb.248:                              ;   in Loop: Header=BB329_152 Depth=1
	v_and_b32_e32 v34, 7, v6
	v_ffbh_u32_e32 v36, v34
	v_min_u32_e32 v39, 32, v36
	v_subrev_u32_e32 v36, 28, v39
	v_lshlrev_b64 v[36:37], v36, v[6:7]
	v_lshrrev_b32_e32 v38, 3, v35
	v_sub_u32_e32 v37, 29, v39
	v_and_b32_e32 v36, 7, v36
	v_cmp_gt_u32_e64 s[2:3], 8, v35
	v_cndmask_b32_e64 v35, v38, v37, s[2:3]
	v_cndmask_b32_e64 v34, v34, v36, s[2:3]
	v_lshlrev_b32_e32 v6, 24, v6
	v_lshlrev_b32_e32 v34, 20, v34
	v_and_b32_e32 v6, 0x80000000, v6
	v_lshl_add_u32 v35, v35, 23, v23
	v_or3_b32 v34, v6, v35, v34
.LBB329_249:                            ;   in Loop: Header=BB329_152 Depth=1
	s_or_b64 exec, exec, s[26:27]
.LBB329_250:                            ;   in Loop: Header=BB329_152 Depth=1
	s_or_b64 exec, exec, s[24:25]
.LBB329_251:                            ;   in Loop: Header=BB329_152 Depth=1
	s_or_b64 exec, exec, s[4:5]
	v_mul_f32_e32 v34, s43, v34
	v_and_b32_e32 v6, 0x7f800000, v34
	v_cmp_ne_u32_e64 s[2:3], s38, v6
                                        ; implicit-def: $vgpr6
	s_and_saveexec_b64 s[4:5], s[2:3]
	s_xor_b64 s[2:3], exec, s[4:5]
; %bb.252:                              ;   in Loop: Header=BB329_152 Depth=1
	v_bfe_u32 v6, v34, 16, 1
	v_add3_u32 v6, v34, v6, s39
                                        ; implicit-def: $vgpr34
; %bb.253:                              ;   in Loop: Header=BB329_152 Depth=1
	s_andn2_saveexec_b64 s[4:5], s[2:3]
; %bb.254:                              ;   in Loop: Header=BB329_152 Depth=1
	v_or_b32_e32 v6, 0x10000, v34
	v_cmp_eq_u32_sdwa s[2:3], v34, v17 src0_sel:WORD_0 src1_sel:DWORD
	v_cndmask_b32_e64 v6, v6, v34, s[2:3]
; %bb.255:                              ;   in Loop: Header=BB329_152 Depth=1
	s_or_b64 exec, exec, s[4:5]
	v_cmp_lt_u64_e64 s[2:3], s[16:17], v[4:5]
	v_mov_b32_e32 v34, 0
	s_and_saveexec_b64 s[4:5], s[2:3]
	s_cbranch_execz .LBB329_261
; %bb.256:                              ;   in Loop: Header=BB329_152 Depth=1
	v_lshrrev_b32_e32 v4, 24, v5
	v_cmp_ne_u32_e64 s[2:3], s40, v4
	v_bfrev_b32_e32 v34, 1
	s_and_saveexec_b64 s[24:25], s[2:3]
	s_cbranch_execz .LBB329_260
; %bb.257:                              ;   in Loop: Header=BB329_152 Depth=1
	v_bfe_u32 v5, v5, 24, 7
	v_cmp_ne_u32_e64 s[2:3], s41, v5
	v_mov_b32_e32 v34, 0x7f800001
	s_and_saveexec_b64 s[26:27], s[2:3]
	s_cbranch_execz .LBB329_259
; %bb.258:                              ;   in Loop: Header=BB329_152 Depth=1
	v_and_b32_e32 v36, 7, v4
	v_ffbh_u32_e32 v34, v36
	v_min_u32_e32 v38, 32, v34
	v_subrev_u32_e32 v34, 28, v38
	v_lshlrev_b64 v[34:35], v34, v[4:5]
	v_lshrrev_b32_e32 v37, 3, v5
	v_sub_u32_e32 v35, 29, v38
	v_and_b32_e32 v34, 7, v34
	v_cmp_gt_u32_e64 s[2:3], 8, v5
	v_cndmask_b32_e64 v5, v37, v35, s[2:3]
	v_cndmask_b32_e64 v34, v36, v34, s[2:3]
	v_lshlrev_b32_e32 v4, 24, v4
	v_lshlrev_b32_e32 v34, 20, v34
	v_and_b32_e32 v4, 0x80000000, v4
	v_lshl_add_u32 v5, v5, 23, v23
	v_or3_b32 v34, v4, v5, v34
.LBB329_259:                            ;   in Loop: Header=BB329_152 Depth=1
	s_or_b64 exec, exec, s[26:27]
.LBB329_260:                            ;   in Loop: Header=BB329_152 Depth=1
	s_or_b64 exec, exec, s[24:25]
.LBB329_261:                            ;   in Loop: Header=BB329_152 Depth=1
	s_or_b64 exec, exec, s[4:5]
	v_mul_f32_e32 v5, s43, v34
	v_and_b32_e32 v4, 0x7f800000, v5
	v_cmp_ne_u32_e64 s[2:3], s38, v4
                                        ; implicit-def: $vgpr4
	s_and_saveexec_b64 s[4:5], s[2:3]
	s_xor_b64 s[2:3], exec, s[4:5]
; %bb.262:                              ;   in Loop: Header=BB329_152 Depth=1
	v_bfe_u32 v4, v5, 16, 1
	v_add3_u32 v4, v5, v4, s39
                                        ; implicit-def: $vgpr5
; %bb.263:                              ;   in Loop: Header=BB329_152 Depth=1
	s_andn2_saveexec_b64 s[4:5], s[2:3]
; %bb.264:                              ;   in Loop: Header=BB329_152 Depth=1
	v_or_b32_e32 v4, 0x10000, v5
	v_cmp_eq_u32_sdwa s[2:3], v5, v17 src0_sel:WORD_0 src1_sel:DWORD
	v_cndmask_b32_e64 v4, v4, v5, s[2:3]
; %bb.265:                              ;   in Loop: Header=BB329_152 Depth=1
	s_or_b64 exec, exec, s[4:5]
	v_cmp_eq_u32_e64 s[2:3], s42, v10
	v_lshrrev_b32_e32 v34, 16, v16
	v_lshrrev_b32_e32 v33, 16, v33
	;; [unrolled: 1-line block ×8, first 2 shown]
	s_and_saveexec_b64 s[24:25], s[2:3]
	s_cbranch_execz .LBB329_267
; %bb.266:                              ;   in Loop: Header=BB329_152 Depth=1
	v_cmp_gt_i32_e64 s[4:5], s33, v19
	v_add_u32_e32 v7, 1, v19
	v_cndmask_b32_e64 v5, 0, v5, s[4:5]
	v_cmp_gt_i32_e64 s[4:5], s33, v7
	v_add_u32_e32 v7, 2, v19
	v_cndmask_b32_e64 v9, 0, v9, s[4:5]
	;; [unrolled: 3-line block ×7, first 2 shown]
	v_cmp_gt_i32_e64 s[4:5], s33, v7
	v_cndmask_b32_e64 v4, 0, v4, s[4:5]
.LBB329_267:                            ;   in Loop: Header=BB329_152 Depth=1
	s_or_b64 exec, exec, s[24:25]
	v_and_b32_e32 v7, 0xffff0000, v31
	v_lshlrev_b32_e32 v5, 16, v5
	v_mul_f32_e32 v8, v7, v5
	v_and_b32_e32 v5, 0x7f800000, v8
	v_cmp_ne_u32_e64 s[4:5], s38, v5
                                        ; implicit-def: $vgpr5
	s_and_saveexec_b64 s[24:25], s[4:5]
	s_xor_b64 s[4:5], exec, s[24:25]
; %bb.268:                              ;   in Loop: Header=BB329_152 Depth=1
	v_bfe_u32 v5, v8, 16, 1
	v_add3_u32 v5, v8, v5, s39
                                        ; implicit-def: $vgpr8
; %bb.269:                              ;   in Loop: Header=BB329_152 Depth=1
	s_andn2_saveexec_b64 s[24:25], s[4:5]
; %bb.270:                              ;   in Loop: Header=BB329_152 Depth=1
	v_or_b32_e32 v5, 0x10000, v8
	v_cmp_eq_u32_sdwa s[4:5], v8, v17 src0_sel:WORD_0 src1_sel:DWORD
	v_cndmask_b32_e64 v5, v5, v8, s[4:5]
; %bb.271:                              ;   in Loop: Header=BB329_152 Depth=1
	s_or_b64 exec, exec, s[24:25]
	v_and_b32_e32 v8, 0xffff0000, v30
	v_lshlrev_b32_e32 v9, 16, v9
	v_mul_f32_e32 v9, v8, v9
	v_and_b32_e32 v16, 0x7f800000, v9
	v_cmp_ne_u32_e64 s[4:5], s38, v16
                                        ; implicit-def: $vgpr16
	s_and_saveexec_b64 s[24:25], s[4:5]
	s_xor_b64 s[4:5], exec, s[24:25]
; %bb.272:                              ;   in Loop: Header=BB329_152 Depth=1
	v_bfe_u32 v16, v9, 16, 1
	v_add3_u32 v16, v9, v16, s39
                                        ; implicit-def: $vgpr9
; %bb.273:                              ;   in Loop: Header=BB329_152 Depth=1
	s_andn2_saveexec_b64 s[24:25], s[4:5]
; %bb.274:                              ;   in Loop: Header=BB329_152 Depth=1
	v_or_b32_e32 v16, 0x10000, v9
	v_cmp_eq_u32_sdwa s[4:5], v9, v17 src0_sel:WORD_0 src1_sel:DWORD
	v_cndmask_b32_e64 v16, v16, v9, s[4:5]
; %bb.275:                              ;   in Loop: Header=BB329_152 Depth=1
	s_or_b64 exec, exec, s[24:25]
	v_and_b32_e32 v9, 0xffff0000, v29
	v_lshlrev_b32_e32 v29, 16, v35
	v_mul_f32_e32 v30, v9, v29
	v_and_b32_e32 v29, 0x7f800000, v30
	v_cmp_ne_u32_e64 s[4:5], s38, v29
                                        ; implicit-def: $vgpr29
	s_and_saveexec_b64 s[24:25], s[4:5]
	s_xor_b64 s[4:5], exec, s[24:25]
; %bb.276:                              ;   in Loop: Header=BB329_152 Depth=1
	v_bfe_u32 v29, v30, 16, 1
	v_add3_u32 v29, v30, v29, s39
                                        ; implicit-def: $vgpr30
; %bb.277:                              ;   in Loop: Header=BB329_152 Depth=1
	s_andn2_saveexec_b64 s[24:25], s[4:5]
; %bb.278:                              ;   in Loop: Header=BB329_152 Depth=1
	v_or_b32_e32 v29, 0x10000, v30
	v_cmp_eq_u32_sdwa s[4:5], v30, v17 src0_sel:WORD_0 src1_sel:DWORD
	v_cndmask_b32_e64 v29, v29, v30, s[4:5]
; %bb.279:                              ;   in Loop: Header=BB329_152 Depth=1
	s_or_b64 exec, exec, s[24:25]
	v_and_b32_e32 v24, 0xffff0000, v24
	v_lshlrev_b32_e32 v30, 16, v32
	v_mul_f32_e32 v31, v24, v30
	v_and_b32_e32 v30, 0x7f800000, v31
	v_cmp_ne_u32_e64 s[4:5], s38, v30
                                        ; implicit-def: $vgpr30
	s_and_saveexec_b64 s[24:25], s[4:5]
	s_xor_b64 s[4:5], exec, s[24:25]
; %bb.280:                              ;   in Loop: Header=BB329_152 Depth=1
	v_bfe_u32 v30, v31, 16, 1
	v_add3_u32 v30, v31, v30, s39
                                        ; implicit-def: $vgpr31
; %bb.281:                              ;   in Loop: Header=BB329_152 Depth=1
	s_andn2_saveexec_b64 s[24:25], s[4:5]
; %bb.282:                              ;   in Loop: Header=BB329_152 Depth=1
	v_or_b32_e32 v30, 0x10000, v31
	v_cmp_eq_u32_sdwa s[4:5], v31, v17 src0_sel:WORD_0 src1_sel:DWORD
	v_cndmask_b32_e64 v30, v30, v31, s[4:5]
; %bb.283:                              ;   in Loop: Header=BB329_152 Depth=1
	s_or_b64 exec, exec, s[24:25]
	v_and_b32_e32 v25, 0xffff0000, v25
	v_lshlrev_b32_e32 v31, 16, v33
	v_mul_f32_e32 v32, v25, v31
	v_and_b32_e32 v31, 0x7f800000, v32
	v_cmp_ne_u32_e64 s[4:5], s38, v31
                                        ; implicit-def: $vgpr31
	s_and_saveexec_b64 s[24:25], s[4:5]
	s_xor_b64 s[4:5], exec, s[24:25]
; %bb.284:                              ;   in Loop: Header=BB329_152 Depth=1
	v_bfe_u32 v31, v32, 16, 1
	v_add3_u32 v31, v32, v31, s39
                                        ; implicit-def: $vgpr32
; %bb.285:                              ;   in Loop: Header=BB329_152 Depth=1
	s_andn2_saveexec_b64 s[24:25], s[4:5]
; %bb.286:                              ;   in Loop: Header=BB329_152 Depth=1
	v_or_b32_e32 v31, 0x10000, v32
	v_cmp_eq_u32_sdwa s[4:5], v32, v17 src0_sel:WORD_0 src1_sel:DWORD
	v_cndmask_b32_e64 v31, v31, v32, s[4:5]
; %bb.287:                              ;   in Loop: Header=BB329_152 Depth=1
	s_or_b64 exec, exec, s[24:25]
	v_and_b32_e32 v26, 0xffff0000, v26
	v_lshlrev_b32_e32 v32, 16, v34
	v_mul_f32_e32 v33, v26, v32
	v_and_b32_e32 v32, 0x7f800000, v33
	v_cmp_ne_u32_e64 s[4:5], s38, v32
                                        ; implicit-def: $vgpr32
	s_and_saveexec_b64 s[24:25], s[4:5]
	s_xor_b64 s[4:5], exec, s[24:25]
; %bb.288:                              ;   in Loop: Header=BB329_152 Depth=1
	v_bfe_u32 v32, v33, 16, 1
	v_add3_u32 v32, v33, v32, s39
                                        ; implicit-def: $vgpr33
; %bb.289:                              ;   in Loop: Header=BB329_152 Depth=1
	s_andn2_saveexec_b64 s[24:25], s[4:5]
; %bb.290:                              ;   in Loop: Header=BB329_152 Depth=1
	v_or_b32_e32 v32, 0x10000, v33
	v_cmp_eq_u32_sdwa s[4:5], v33, v17 src0_sel:WORD_0 src1_sel:DWORD
	v_cndmask_b32_e64 v32, v32, v33, s[4:5]
; %bb.291:                              ;   in Loop: Header=BB329_152 Depth=1
	s_or_b64 exec, exec, s[24:25]
	v_and_b32_e32 v27, 0xffff0000, v27
	v_lshlrev_b32_e32 v6, 16, v6
	v_mul_f32_e32 v33, v27, v6
	v_and_b32_e32 v6, 0x7f800000, v33
	v_cmp_ne_u32_e64 s[4:5], s38, v6
                                        ; implicit-def: $vgpr6
	s_and_saveexec_b64 s[24:25], s[4:5]
	s_xor_b64 s[4:5], exec, s[24:25]
; %bb.292:                              ;   in Loop: Header=BB329_152 Depth=1
	v_bfe_u32 v6, v33, 16, 1
	v_add3_u32 v6, v33, v6, s39
                                        ; implicit-def: $vgpr33
; %bb.293:                              ;   in Loop: Header=BB329_152 Depth=1
	s_andn2_saveexec_b64 s[24:25], s[4:5]
; %bb.294:                              ;   in Loop: Header=BB329_152 Depth=1
	v_or_b32_e32 v6, 0x10000, v33
	v_cmp_eq_u32_sdwa s[4:5], v33, v17 src0_sel:WORD_0 src1_sel:DWORD
	v_cndmask_b32_e64 v6, v6, v33, s[4:5]
; %bb.295:                              ;   in Loop: Header=BB329_152 Depth=1
	s_or_b64 exec, exec, s[24:25]
	v_and_b32_e32 v28, 0xffff0000, v28
	v_lshlrev_b32_e32 v4, 16, v4
	v_mul_f32_e32 v4, v28, v4
	v_and_b32_e32 v33, 0x7f800000, v4
	v_cmp_ne_u32_e64 s[4:5], s38, v33
                                        ; implicit-def: $vgpr33
	s_and_saveexec_b64 s[24:25], s[4:5]
	s_xor_b64 s[4:5], exec, s[24:25]
; %bb.296:                              ;   in Loop: Header=BB329_152 Depth=1
	v_bfe_u32 v33, v4, 16, 1
	v_add3_u32 v33, v4, v33, s39
                                        ; implicit-def: $vgpr4
; %bb.297:                              ;   in Loop: Header=BB329_152 Depth=1
	s_andn2_saveexec_b64 s[24:25], s[4:5]
; %bb.298:                              ;   in Loop: Header=BB329_152 Depth=1
	v_or_b32_e32 v33, 0x10000, v4
	v_cmp_eq_u32_sdwa s[4:5], v4, v17 src0_sel:WORD_0 src1_sel:DWORD
	v_cndmask_b32_e64 v33, v33, v4, s[4:5]
; %bb.299:                              ;   in Loop: Header=BB329_152 Depth=1
	s_or_b64 exec, exec, s[24:25]
	v_and_b32_e32 v34, 0xffff0000, v31
	v_and_b32_e32 v31, 0xffff0000, v30
	;; [unrolled: 1-line block ×5, first 2 shown]
	v_pk_add_f32 v[4:5], v[36:37], v[30:31]
	v_and_b32_e32 v33, 0xffff0000, v33
	v_and_b32_e32 v32, 0xffff0000, v32
	;; [unrolled: 1-line block ×3, first 2 shown]
	v_mov_b32_e32 v6, v5
	v_pk_add_f32 v[4:5], v[4:5], v[6:7]
	v_pk_add_f32 v[30:31], v[34:35], v[32:33]
	;; [unrolled: 1-line block ×3, first 2 shown]
	v_mov_b32_e32 v6, v31
	v_pk_add_f32 v[4:5], v[4:5], v[6:7]
	v_pk_add_f32 v[4:5], v[12:13], v[4:5]
	s_and_saveexec_b64 s[24:25], vcc
	s_cbranch_execz .LBB329_150
; %bb.300:                              ;   in Loop: Header=BB329_152 Depth=1
	v_add_co_u32_e64 v2, s[4:5], v2, v18
	v_addc_co_u32_e64 v3, s[4:5], 0, v3, s[4:5]
	global_load_dwordx2 v[2:3], v[2:3], off
	v_mov_b32_e32 v5, 0
	s_waitcnt vmcnt(0)
	v_cmp_ne_u16_sdwa s[4:5], v2, v17 src0_sel:BYTE_0 src1_sel:DWORD
	s_and_saveexec_b64 s[26:27], s[4:5]
	s_cbranch_execz .LBB329_306
; %bb.301:                              ;   in Loop: Header=BB329_152 Depth=1
	v_cmp_ne_u16_sdwa s[4:5], v2, s40 src0_sel:BYTE_0 src1_sel:DWORD
	v_bfrev_b32_e32 v5, 1
	s_and_saveexec_b64 s[28:29], s[4:5]
	s_cbranch_execz .LBB329_305
; %bb.302:                              ;   in Loop: Header=BB329_152 Depth=1
	v_and_b32_e32 v6, 0x7f, v2
	v_cmp_ne_u32_e64 s[4:5], s41, v6
	v_mov_b32_e32 v5, 0x7f800001
	s_and_saveexec_b64 s[30:31], s[4:5]
	s_cbranch_execz .LBB329_304
; %bb.303:                              ;   in Loop: Header=BB329_152 Depth=1
	v_and_b32_e32 v5, 7, v2
	v_ffbh_u32_e32 v5, v5
	v_min_u32_e32 v5, 32, v5
	v_subrev_u32_e32 v29, 28, v5
	v_cmp_gt_u32_e64 s[4:5], 8, v6
	v_lshrrev_b32_e32 v16, 3, v6
	v_cndmask_b32_e64 v6, 0, v29, s[4:5]
	v_sub_u32_e32 v5, 29, v5
	v_lshlrev_b64 v[30:31], v6, v[2:3]
	v_cndmask_b32_e64 v5, v16, v5, s[4:5]
	v_lshlrev_b32_e32 v6, 20, v30
	v_lshlrev_b32_e32 v16, 24, v2
	v_and_b32_e32 v6, 0x700000, v6
	v_and_b32_e32 v16, 0x80000000, v16
	v_lshl_add_u32 v5, v5, 23, v23
	v_or3_b32 v5, v16, v5, v6
.LBB329_304:                            ;   in Loop: Header=BB329_152 Depth=1
	s_or_b64 exec, exec, s[30:31]
.LBB329_305:                            ;   in Loop: Header=BB329_152 Depth=1
	s_or_b64 exec, exec, s[28:29]
.LBB329_306:                            ;   in Loop: Header=BB329_152 Depth=1
	s_or_b64 exec, exec, s[26:27]
	v_mul_f32_e32 v6, s43, v5
	v_and_b32_e32 v5, 0x7f800000, v6
	v_cmp_ne_u32_e64 s[4:5], s38, v5
                                        ; implicit-def: $vgpr5
	s_and_saveexec_b64 s[26:27], s[4:5]
	s_xor_b64 s[4:5], exec, s[26:27]
; %bb.307:                              ;   in Loop: Header=BB329_152 Depth=1
	v_bfe_u32 v5, v6, 16, 1
	v_add3_u32 v5, v6, v5, s39
                                        ; implicit-def: $vgpr6
; %bb.308:                              ;   in Loop: Header=BB329_152 Depth=1
	s_andn2_saveexec_b64 s[26:27], s[4:5]
; %bb.309:                              ;   in Loop: Header=BB329_152 Depth=1
	v_or_b32_e32 v5, 0x10000, v6
	v_cmp_eq_u32_sdwa s[4:5], v6, v17 src0_sel:WORD_0 src1_sel:DWORD
	v_cndmask_b32_e64 v5, v5, v6, s[4:5]
; %bb.310:                              ;   in Loop: Header=BB329_152 Depth=1
	s_or_b64 exec, exec, s[26:27]
	v_lshrrev_b16_e32 v6, 8, v2
	v_cmp_ne_u16_e64 s[4:5], 0, v6
	v_mov_b32_e32 v16, 0
	s_and_saveexec_b64 s[26:27], s[4:5]
	s_cbranch_execz .LBB329_316
; %bb.311:                              ;   in Loop: Header=BB329_152 Depth=1
	v_cmp_ne_u16_e64 s[4:5], s40, v6
	v_bfrev_b32_e32 v16, 1
	s_and_saveexec_b64 s[28:29], s[4:5]
	s_cbranch_execz .LBB329_315
; %bb.312:                              ;   in Loop: Header=BB329_152 Depth=1
	v_and_b32_e32 v29, 0x7f, v6
	v_cmp_ne_u32_e64 s[4:5], s41, v29
	v_mov_b32_e32 v16, 0x7f800001
	s_and_saveexec_b64 s[30:31], s[4:5]
	s_cbranch_execz .LBB329_314
; %bb.313:                              ;   in Loop: Header=BB329_152 Depth=1
	v_and_b32_e32 v16, 7, v6
	v_ffbh_u32_e32 v30, v16
	v_min_u32_e32 v33, 32, v30
	v_subrev_u32_e32 v30, 28, v33
	v_lshlrev_b64 v[30:31], v30, v[6:7]
	v_lshrrev_b32_e32 v32, 3, v29
	v_sub_u32_e32 v6, 29, v33
	v_and_b32_e32 v30, 7, v30
	v_cmp_gt_u32_e64 s[4:5], 8, v29
	v_cndmask_b32_e64 v6, v32, v6, s[4:5]
	v_cndmask_b32_e64 v16, v16, v30, s[4:5]
	v_lshlrev_b32_e32 v29, 16, v2
	v_lshlrev_b32_e32 v16, 20, v16
	v_and_b32_e32 v29, 0x80000000, v29
	v_lshl_add_u32 v6, v6, 23, v23
	v_or3_b32 v16, v29, v6, v16
.LBB329_314:                            ;   in Loop: Header=BB329_152 Depth=1
	s_or_b64 exec, exec, s[30:31]
.LBB329_315:                            ;   in Loop: Header=BB329_152 Depth=1
	s_or_b64 exec, exec, s[28:29]
.LBB329_316:                            ;   in Loop: Header=BB329_152 Depth=1
	s_or_b64 exec, exec, s[26:27]
	v_mul_f32_e32 v6, s43, v16
	v_and_b32_e32 v16, 0x7f800000, v6
	v_cmp_ne_u32_e64 s[4:5], s38, v16
                                        ; implicit-def: $vgpr29
	s_and_saveexec_b64 s[26:27], s[4:5]
	s_xor_b64 s[4:5], exec, s[26:27]
; %bb.317:                              ;   in Loop: Header=BB329_152 Depth=1
	v_bfe_u32 v16, v6, 16, 1
	v_add3_u32 v29, v6, v16, s39
                                        ; implicit-def: $vgpr6
; %bb.318:                              ;   in Loop: Header=BB329_152 Depth=1
	s_andn2_saveexec_b64 s[26:27], s[4:5]
; %bb.319:                              ;   in Loop: Header=BB329_152 Depth=1
	v_or_b32_e32 v16, 0x10000, v6
	v_cmp_eq_u32_sdwa s[4:5], v6, v17 src0_sel:WORD_0 src1_sel:DWORD
	v_cndmask_b32_e64 v29, v16, v6, s[4:5]
; %bb.320:                              ;   in Loop: Header=BB329_152 Depth=1
	s_or_b64 exec, exec, s[26:27]
	v_lshrrev_b32_e32 v6, 16, v2
	v_cmp_ne_u16_sdwa s[4:5], v6, v17 src0_sel:BYTE_0 src1_sel:DWORD
	v_mov_b32_e32 v16, 0
	s_and_saveexec_b64 s[26:27], s[4:5]
	s_cbranch_execz .LBB329_326
; %bb.321:                              ;   in Loop: Header=BB329_152 Depth=1
	v_cmp_ne_u16_sdwa s[4:5], v6, s40 src0_sel:BYTE_0 src1_sel:DWORD
	v_bfrev_b32_e32 v16, 1
	s_and_saveexec_b64 s[28:29], s[4:5]
	s_cbranch_execz .LBB329_325
; %bb.322:                              ;   in Loop: Header=BB329_152 Depth=1
	v_bfe_u32 v30, v2, 16, 7
	v_cmp_ne_u32_e64 s[4:5], s41, v30
	v_mov_b32_e32 v16, 0x7f800001
	s_and_saveexec_b64 s[30:31], s[4:5]
	s_cbranch_execz .LBB329_324
; %bb.323:                              ;   in Loop: Header=BB329_152 Depth=1
	v_and_b32_e32 v16, 7, v6
	v_ffbh_u32_e32 v32, v16
	v_min_u32_e32 v34, 32, v32
	v_subrev_u32_e32 v32, 28, v34
	v_lshlrev_b64 v[32:33], v32, v[6:7]
	v_lshrrev_b32_e32 v31, 3, v30
	v_sub_u32_e32 v33, 29, v34
	v_and_b32_e32 v32, 7, v32
	v_cmp_gt_u32_e64 s[4:5], 8, v30
	v_cndmask_b32_e64 v30, v31, v33, s[4:5]
	v_cndmask_b32_e64 v16, v16, v32, s[4:5]
	v_lshlrev_b32_e32 v6, 24, v6
	v_lshlrev_b32_e32 v16, 20, v16
	v_and_b32_e32 v6, 0x80000000, v6
	v_lshl_add_u32 v30, v30, 23, v23
	v_or3_b32 v16, v6, v30, v16
.LBB329_324:                            ;   in Loop: Header=BB329_152 Depth=1
	s_or_b64 exec, exec, s[30:31]
.LBB329_325:                            ;   in Loop: Header=BB329_152 Depth=1
	s_or_b64 exec, exec, s[28:29]
.LBB329_326:                            ;   in Loop: Header=BB329_152 Depth=1
	s_or_b64 exec, exec, s[26:27]
	v_mul_f32_e32 v6, s43, v16
	v_and_b32_e32 v16, 0x7f800000, v6
	v_cmp_ne_u32_e64 s[4:5], s38, v16
                                        ; implicit-def: $vgpr30
	s_and_saveexec_b64 s[26:27], s[4:5]
	s_xor_b64 s[4:5], exec, s[26:27]
; %bb.327:                              ;   in Loop: Header=BB329_152 Depth=1
	v_bfe_u32 v16, v6, 16, 1
	v_add3_u32 v30, v6, v16, s39
                                        ; implicit-def: $vgpr6
; %bb.328:                              ;   in Loop: Header=BB329_152 Depth=1
	s_andn2_saveexec_b64 s[26:27], s[4:5]
; %bb.329:                              ;   in Loop: Header=BB329_152 Depth=1
	v_or_b32_e32 v16, 0x10000, v6
	v_cmp_eq_u32_sdwa s[4:5], v6, v17 src0_sel:WORD_0 src1_sel:DWORD
	v_cndmask_b32_e64 v30, v16, v6, s[4:5]
; %bb.330:                              ;   in Loop: Header=BB329_152 Depth=1
	s_or_b64 exec, exec, s[26:27]
	v_cmp_lt_u32_e64 s[4:5], s17, v2
	v_mov_b32_e32 v16, 0
	s_and_saveexec_b64 s[26:27], s[4:5]
	s_cbranch_execz .LBB329_336
; %bb.331:                              ;   in Loop: Header=BB329_152 Depth=1
	v_lshrrev_b32_e32 v6, 24, v2
	v_cmp_ne_u32_e64 s[4:5], s40, v6
	v_bfrev_b32_e32 v16, 1
	s_and_saveexec_b64 s[28:29], s[4:5]
	s_cbranch_execz .LBB329_335
; %bb.332:                              ;   in Loop: Header=BB329_152 Depth=1
	v_bfe_u32 v31, v2, 24, 7
	v_cmp_ne_u32_e64 s[4:5], s41, v31
	v_mov_b32_e32 v16, 0x7f800001
	s_and_saveexec_b64 s[30:31], s[4:5]
	s_cbranch_execz .LBB329_334
; %bb.333:                              ;   in Loop: Header=BB329_152 Depth=1
	v_and_b32_e32 v16, 7, v6
	v_ffbh_u32_e32 v32, v16
	v_min_u32_e32 v35, 32, v32
	v_subrev_u32_e32 v32, 28, v35
	v_lshlrev_b64 v[32:33], v32, v[6:7]
	v_lshrrev_b32_e32 v34, 3, v31
	v_sub_u32_e32 v33, 29, v35
	v_and_b32_e32 v32, 7, v32
	v_cmp_gt_u32_e64 s[4:5], 8, v31
	v_cndmask_b32_e64 v31, v34, v33, s[4:5]
	v_cndmask_b32_e64 v16, v16, v32, s[4:5]
	v_lshlrev_b32_e32 v6, 24, v6
	v_lshlrev_b32_e32 v16, 20, v16
	v_and_b32_e32 v6, 0x80000000, v6
	v_lshl_add_u32 v31, v31, 23, v23
	v_or3_b32 v16, v6, v31, v16
.LBB329_334:                            ;   in Loop: Header=BB329_152 Depth=1
	s_or_b64 exec, exec, s[30:31]
.LBB329_335:                            ;   in Loop: Header=BB329_152 Depth=1
	s_or_b64 exec, exec, s[28:29]
.LBB329_336:                            ;   in Loop: Header=BB329_152 Depth=1
	s_or_b64 exec, exec, s[26:27]
	v_mul_f32_e32 v6, s43, v16
	v_and_b32_e32 v16, 0x7f800000, v6
	v_cmp_ne_u32_e64 s[4:5], s38, v16
                                        ; implicit-def: $vgpr31
	s_and_saveexec_b64 s[26:27], s[4:5]
	s_xor_b64 s[4:5], exec, s[26:27]
; %bb.337:                              ;   in Loop: Header=BB329_152 Depth=1
	v_bfe_u32 v16, v6, 16, 1
	v_add3_u32 v31, v6, v16, s39
                                        ; implicit-def: $vgpr6
; %bb.338:                              ;   in Loop: Header=BB329_152 Depth=1
	s_andn2_saveexec_b64 s[26:27], s[4:5]
; %bb.339:                              ;   in Loop: Header=BB329_152 Depth=1
	v_or_b32_e32 v16, 0x10000, v6
	v_cmp_eq_u32_sdwa s[4:5], v6, v17 src0_sel:WORD_0 src1_sel:DWORD
	v_cndmask_b32_e64 v31, v16, v6, s[4:5]
; %bb.340:                              ;   in Loop: Header=BB329_152 Depth=1
	s_or_b64 exec, exec, s[26:27]
	v_mov_b32_e32 v16, v3
	v_cmp_ne_u16_sdwa s[4:5], v3, v17 src0_sel:BYTE_0 src1_sel:DWORD
	v_mov_b32_e32 v6, 0
	s_and_saveexec_b64 s[26:27], s[4:5]
	s_cbranch_execz .LBB329_346
; %bb.341:                              ;   in Loop: Header=BB329_152 Depth=1
	v_cmp_ne_u16_sdwa s[4:5], v3, s40 src0_sel:BYTE_0 src1_sel:DWORD
	v_bfrev_b32_e32 v6, 1
	s_and_saveexec_b64 s[28:29], s[4:5]
	s_cbranch_execz .LBB329_345
; %bb.342:                              ;   in Loop: Header=BB329_152 Depth=1
	v_and_b32_e32 v32, 0x7f, v3
	v_cmp_ne_u32_e64 s[4:5], s41, v32
	v_mov_b32_e32 v6, 0x7f800001
	s_and_saveexec_b64 s[30:31], s[4:5]
	s_cbranch_execz .LBB329_344
; %bb.343:                              ;   in Loop: Header=BB329_152 Depth=1
	v_and_b32_e32 v6, 7, v3
	v_ffbh_u32_e32 v6, v6
	v_min_u32_e32 v6, 32, v6
	v_subrev_u32_e32 v34, 28, v6
	v_cmp_gt_u32_e64 s[4:5], 8, v32
	v_lshrrev_b32_e32 v33, 3, v32
	v_sub_u32_e32 v6, 29, v6
	v_cndmask_b32_e64 v32, 0, v34, s[4:5]
	v_cndmask_b32_e64 v6, v33, v6, s[4:5]
	v_lshlrev_b64 v[32:33], v32, v[16:17]
	v_lshlrev_b32_e32 v32, 20, v32
	v_lshlrev_b32_e32 v33, 24, v16
	v_and_b32_e32 v32, 0x700000, v32
	v_and_b32_e32 v33, 0x80000000, v33
	v_lshl_add_u32 v6, v6, 23, v23
	v_or3_b32 v6, v33, v6, v32
.LBB329_344:                            ;   in Loop: Header=BB329_152 Depth=1
	s_or_b64 exec, exec, s[30:31]
.LBB329_345:                            ;   in Loop: Header=BB329_152 Depth=1
	s_or_b64 exec, exec, s[28:29]
.LBB329_346:                            ;   in Loop: Header=BB329_152 Depth=1
	s_or_b64 exec, exec, s[26:27]
	v_mul_f32_e32 v6, s43, v6
	v_and_b32_e32 v32, 0x7f800000, v6
	v_cmp_ne_u32_e64 s[4:5], s38, v32
                                        ; implicit-def: $vgpr32
	s_and_saveexec_b64 s[26:27], s[4:5]
	s_xor_b64 s[4:5], exec, s[26:27]
; %bb.347:                              ;   in Loop: Header=BB329_152 Depth=1
	v_bfe_u32 v32, v6, 16, 1
	v_add3_u32 v32, v6, v32, s39
                                        ; implicit-def: $vgpr6
; %bb.348:                              ;   in Loop: Header=BB329_152 Depth=1
	s_andn2_saveexec_b64 s[26:27], s[4:5]
; %bb.349:                              ;   in Loop: Header=BB329_152 Depth=1
	v_or_b32_e32 v32, 0x10000, v6
	v_cmp_eq_u32_sdwa s[4:5], v6, v17 src0_sel:WORD_0 src1_sel:DWORD
	v_cndmask_b32_e64 v32, v32, v6, s[4:5]
; %bb.350:                              ;   in Loop: Header=BB329_152 Depth=1
	s_or_b64 exec, exec, s[26:27]
	v_lshrrev_b16_e32 v6, 8, v16
	v_cmp_ne_u16_e64 s[4:5], 0, v6
	v_mov_b32_e32 v33, 0
	s_and_saveexec_b64 s[26:27], s[4:5]
	s_cbranch_execz .LBB329_356
; %bb.351:                              ;   in Loop: Header=BB329_152 Depth=1
	v_cmp_ne_u16_e64 s[4:5], s40, v6
	v_bfrev_b32_e32 v33, 1
	s_and_saveexec_b64 s[28:29], s[4:5]
	s_cbranch_execz .LBB329_355
; %bb.352:                              ;   in Loop: Header=BB329_152 Depth=1
	v_and_b32_e32 v34, 0x7f, v6
	v_cmp_ne_u32_e64 s[4:5], s41, v34
	v_mov_b32_e32 v33, 0x7f800001
	s_and_saveexec_b64 s[30:31], s[4:5]
	s_cbranch_execz .LBB329_354
; %bb.353:                              ;   in Loop: Header=BB329_152 Depth=1
	v_and_b32_e32 v33, 7, v6
	v_ffbh_u32_e32 v36, v33
	v_min_u32_e32 v38, 32, v36
	v_subrev_u32_e32 v36, 28, v38
	v_lshlrev_b64 v[36:37], v36, v[6:7]
	v_lshrrev_b32_e32 v35, 3, v34
	v_sub_u32_e32 v6, 29, v38
	v_and_b32_e32 v36, 7, v36
	v_cmp_gt_u32_e64 s[4:5], 8, v34
	v_cndmask_b32_e64 v6, v35, v6, s[4:5]
	v_cndmask_b32_e64 v33, v33, v36, s[4:5]
	v_lshlrev_b32_e32 v16, 16, v16
	v_lshlrev_b32_e32 v33, 20, v33
	v_and_b32_e32 v16, 0x80000000, v16
	v_lshl_add_u32 v6, v6, 23, v23
	v_or3_b32 v33, v16, v6, v33
.LBB329_354:                            ;   in Loop: Header=BB329_152 Depth=1
	s_or_b64 exec, exec, s[30:31]
.LBB329_355:                            ;   in Loop: Header=BB329_152 Depth=1
	s_or_b64 exec, exec, s[28:29]
.LBB329_356:                            ;   in Loop: Header=BB329_152 Depth=1
	s_or_b64 exec, exec, s[26:27]
	v_mul_f32_e32 v6, s43, v33
	v_and_b32_e32 v16, 0x7f800000, v6
	v_cmp_ne_u32_e64 s[4:5], s38, v16
                                        ; implicit-def: $vgpr16
	s_and_saveexec_b64 s[26:27], s[4:5]
	s_xor_b64 s[4:5], exec, s[26:27]
; %bb.357:                              ;   in Loop: Header=BB329_152 Depth=1
	v_bfe_u32 v16, v6, 16, 1
	v_add3_u32 v16, v6, v16, s39
                                        ; implicit-def: $vgpr6
; %bb.358:                              ;   in Loop: Header=BB329_152 Depth=1
	s_andn2_saveexec_b64 s[26:27], s[4:5]
; %bb.359:                              ;   in Loop: Header=BB329_152 Depth=1
	v_or_b32_e32 v16, 0x10000, v6
	v_cmp_eq_u32_sdwa s[4:5], v6, v17 src0_sel:WORD_0 src1_sel:DWORD
	v_cndmask_b32_e64 v16, v16, v6, s[4:5]
; %bb.360:                              ;   in Loop: Header=BB329_152 Depth=1
	s_or_b64 exec, exec, s[26:27]
	v_lshrrev_b32_e32 v6, 16, v3
	v_cmp_ne_u16_sdwa s[4:5], v6, v17 src0_sel:BYTE_0 src1_sel:DWORD
	v_mov_b32_e32 v33, 0
	s_and_saveexec_b64 s[26:27], s[4:5]
	s_cbranch_execz .LBB329_366
; %bb.361:                              ;   in Loop: Header=BB329_152 Depth=1
	v_cmp_ne_u16_sdwa s[4:5], v6, s40 src0_sel:BYTE_0 src1_sel:DWORD
	v_bfrev_b32_e32 v33, 1
	s_and_saveexec_b64 s[28:29], s[4:5]
	s_cbranch_execz .LBB329_365
; %bb.362:                              ;   in Loop: Header=BB329_152 Depth=1
	v_bfe_u32 v34, v3, 16, 7
	v_cmp_ne_u32_e64 s[4:5], s41, v34
	v_mov_b32_e32 v33, 0x7f800001
	s_and_saveexec_b64 s[30:31], s[4:5]
	s_cbranch_execz .LBB329_364
; %bb.363:                              ;   in Loop: Header=BB329_152 Depth=1
	v_and_b32_e32 v33, 7, v6
	v_ffbh_u32_e32 v36, v33
	v_min_u32_e32 v38, 32, v36
	v_subrev_u32_e32 v36, 28, v38
	v_lshlrev_b64 v[36:37], v36, v[6:7]
	v_lshrrev_b32_e32 v35, 3, v34
	v_sub_u32_e32 v37, 29, v38
	v_and_b32_e32 v36, 7, v36
	v_cmp_gt_u32_e64 s[4:5], 8, v34
	v_cndmask_b32_e64 v34, v35, v37, s[4:5]
	v_cndmask_b32_e64 v33, v33, v36, s[4:5]
	v_lshlrev_b32_e32 v6, 24, v6
	v_lshlrev_b32_e32 v33, 20, v33
	v_and_b32_e32 v6, 0x80000000, v6
	v_lshl_add_u32 v34, v34, 23, v23
	v_or3_b32 v33, v6, v34, v33
.LBB329_364:                            ;   in Loop: Header=BB329_152 Depth=1
	s_or_b64 exec, exec, s[30:31]
.LBB329_365:                            ;   in Loop: Header=BB329_152 Depth=1
	s_or_b64 exec, exec, s[28:29]
.LBB329_366:                            ;   in Loop: Header=BB329_152 Depth=1
	s_or_b64 exec, exec, s[26:27]
	v_mul_f32_e32 v33, s43, v33
	v_and_b32_e32 v6, 0x7f800000, v33
	v_cmp_ne_u32_e64 s[4:5], s38, v6
                                        ; implicit-def: $vgpr6
	s_and_saveexec_b64 s[26:27], s[4:5]
	s_xor_b64 s[4:5], exec, s[26:27]
; %bb.367:                              ;   in Loop: Header=BB329_152 Depth=1
	v_bfe_u32 v6, v33, 16, 1
	v_add3_u32 v6, v33, v6, s39
                                        ; implicit-def: $vgpr33
; %bb.368:                              ;   in Loop: Header=BB329_152 Depth=1
	s_andn2_saveexec_b64 s[26:27], s[4:5]
; %bb.369:                              ;   in Loop: Header=BB329_152 Depth=1
	v_or_b32_e32 v6, 0x10000, v33
	v_cmp_eq_u32_sdwa s[4:5], v33, v17 src0_sel:WORD_0 src1_sel:DWORD
	v_cndmask_b32_e64 v6, v6, v33, s[4:5]
; %bb.370:                              ;   in Loop: Header=BB329_152 Depth=1
	s_or_b64 exec, exec, s[26:27]
	v_cmp_lt_u64_e64 s[4:5], s[16:17], v[2:3]
	v_mov_b32_e32 v33, 0
	s_and_saveexec_b64 s[26:27], s[4:5]
	s_cbranch_execz .LBB329_376
; %bb.371:                              ;   in Loop: Header=BB329_152 Depth=1
	v_lshrrev_b32_e32 v2, 24, v3
	v_cmp_ne_u32_e64 s[4:5], s40, v2
	v_bfrev_b32_e32 v33, 1
	s_and_saveexec_b64 s[28:29], s[4:5]
	s_cbranch_execz .LBB329_375
; %bb.372:                              ;   in Loop: Header=BB329_152 Depth=1
	v_bfe_u32 v3, v3, 24, 7
	v_cmp_ne_u32_e64 s[4:5], s41, v3
	v_mov_b32_e32 v33, 0x7f800001
	s_and_saveexec_b64 s[30:31], s[4:5]
	s_cbranch_execz .LBB329_374
; %bb.373:                              ;   in Loop: Header=BB329_152 Depth=1
	v_and_b32_e32 v33, 7, v2
	v_ffbh_u32_e32 v34, v33
	v_min_u32_e32 v37, 32, v34
	v_subrev_u32_e32 v34, 28, v37
	v_lshlrev_b64 v[34:35], v34, v[2:3]
	v_lshrrev_b32_e32 v36, 3, v3
	v_sub_u32_e32 v35, 29, v37
	v_and_b32_e32 v34, 7, v34
	v_cmp_gt_u32_e64 s[4:5], 8, v3
	v_cndmask_b32_e64 v3, v36, v35, s[4:5]
	v_cndmask_b32_e64 v33, v33, v34, s[4:5]
	v_lshlrev_b32_e32 v2, 24, v2
	v_lshlrev_b32_e32 v33, 20, v33
	v_and_b32_e32 v2, 0x80000000, v2
	v_lshl_add_u32 v3, v3, 23, v23
	v_or3_b32 v33, v2, v3, v33
.LBB329_374:                            ;   in Loop: Header=BB329_152 Depth=1
	s_or_b64 exec, exec, s[30:31]
.LBB329_375:                            ;   in Loop: Header=BB329_152 Depth=1
	s_or_b64 exec, exec, s[28:29]
.LBB329_376:                            ;   in Loop: Header=BB329_152 Depth=1
	s_or_b64 exec, exec, s[26:27]
	v_mul_f32_e32 v3, s43, v33
	v_and_b32_e32 v2, 0x7f800000, v3
	v_cmp_ne_u32_e64 s[4:5], s38, v2
                                        ; implicit-def: $vgpr2
	s_and_saveexec_b64 s[26:27], s[4:5]
	s_xor_b64 s[4:5], exec, s[26:27]
; %bb.377:                              ;   in Loop: Header=BB329_152 Depth=1
	v_bfe_u32 v2, v3, 16, 1
	v_add3_u32 v2, v3, v2, s39
                                        ; implicit-def: $vgpr3
; %bb.378:                              ;   in Loop: Header=BB329_152 Depth=1
	s_andn2_saveexec_b64 s[26:27], s[4:5]
; %bb.379:                              ;   in Loop: Header=BB329_152 Depth=1
	v_or_b32_e32 v2, 0x10000, v3
	v_cmp_eq_u32_sdwa s[4:5], v3, v17 src0_sel:WORD_0 src1_sel:DWORD
	v_cndmask_b32_e64 v2, v2, v3, s[4:5]
; %bb.380:                              ;   in Loop: Header=BB329_152 Depth=1
	s_or_b64 exec, exec, s[26:27]
	v_lshrrev_b32_e32 v16, 16, v16
	v_lshrrev_b32_e32 v32, 16, v32
	;; [unrolled: 1-line block ×8, first 2 shown]
	s_and_saveexec_b64 s[4:5], s[2:3]
	s_cbranch_execz .LBB329_382
; %bb.381:                              ;   in Loop: Header=BB329_152 Depth=1
	v_cmp_gt_i32_e64 s[2:3], s33, v19
	v_add_u32_e32 v6, 1, v19
	v_cndmask_b32_e64 v3, 0, v3, s[2:3]
	v_cmp_gt_i32_e64 s[2:3], s33, v6
	v_add_u32_e32 v6, 2, v19
	v_cndmask_b32_e64 v29, 0, v29, s[2:3]
	;; [unrolled: 3-line block ×7, first 2 shown]
	v_cmp_gt_i32_e64 s[2:3], s33, v6
	v_cndmask_b32_e64 v2, 0, v2, s[2:3]
.LBB329_382:                            ;   in Loop: Header=BB329_152 Depth=1
	s_or_b64 exec, exec, s[4:5]
	v_lshlrev_b32_e32 v3, 16, v3
	v_mul_f32_e32 v6, v7, v3
	v_and_b32_e32 v3, 0x7f800000, v6
	v_cmp_ne_u32_e64 s[2:3], s38, v3
                                        ; implicit-def: $vgpr3
	s_and_saveexec_b64 s[4:5], s[2:3]
	s_xor_b64 s[2:3], exec, s[4:5]
; %bb.383:                              ;   in Loop: Header=BB329_152 Depth=1
	v_bfe_u32 v3, v6, 16, 1
	v_add3_u32 v3, v6, v3, s39
                                        ; implicit-def: $vgpr6
; %bb.384:                              ;   in Loop: Header=BB329_152 Depth=1
	s_andn2_saveexec_b64 s[4:5], s[2:3]
; %bb.385:                              ;   in Loop: Header=BB329_152 Depth=1
	v_or_b32_e32 v3, 0x10000, v6
	v_cmp_eq_u32_sdwa s[2:3], v6, v17 src0_sel:WORD_0 src1_sel:DWORD
	v_cndmask_b32_e64 v3, v3, v6, s[2:3]
; %bb.386:                              ;   in Loop: Header=BB329_152 Depth=1
	s_or_b64 exec, exec, s[4:5]
	v_lshlrev_b32_e32 v6, 16, v29
	v_mul_f32_e32 v7, v8, v6
	v_and_b32_e32 v6, 0x7f800000, v7
	v_cmp_ne_u32_e64 s[2:3], s38, v6
                                        ; implicit-def: $vgpr6
	s_and_saveexec_b64 s[4:5], s[2:3]
	s_xor_b64 s[2:3], exec, s[4:5]
; %bb.387:                              ;   in Loop: Header=BB329_152 Depth=1
	v_bfe_u32 v6, v7, 16, 1
	v_add3_u32 v6, v7, v6, s39
                                        ; implicit-def: $vgpr7
; %bb.388:                              ;   in Loop: Header=BB329_152 Depth=1
	s_andn2_saveexec_b64 s[4:5], s[2:3]
; %bb.389:                              ;   in Loop: Header=BB329_152 Depth=1
	v_or_b32_e32 v6, 0x10000, v7
	v_cmp_eq_u32_sdwa s[2:3], v7, v17 src0_sel:WORD_0 src1_sel:DWORD
	v_cndmask_b32_e64 v6, v6, v7, s[2:3]
; %bb.390:                              ;   in Loop: Header=BB329_152 Depth=1
	s_or_b64 exec, exec, s[4:5]
	v_lshlrev_b32_e32 v7, 16, v30
	v_mul_f32_e32 v8, v9, v7
	v_and_b32_e32 v7, 0x7f800000, v8
	v_cmp_ne_u32_e64 s[2:3], s38, v7
                                        ; implicit-def: $vgpr7
	s_and_saveexec_b64 s[4:5], s[2:3]
	s_xor_b64 s[2:3], exec, s[4:5]
; %bb.391:                              ;   in Loop: Header=BB329_152 Depth=1
	v_bfe_u32 v7, v8, 16, 1
	v_add3_u32 v7, v8, v7, s39
                                        ; implicit-def: $vgpr8
; %bb.392:                              ;   in Loop: Header=BB329_152 Depth=1
	s_andn2_saveexec_b64 s[4:5], s[2:3]
; %bb.393:                              ;   in Loop: Header=BB329_152 Depth=1
	v_or_b32_e32 v7, 0x10000, v8
	v_cmp_eq_u32_sdwa s[2:3], v8, v17 src0_sel:WORD_0 src1_sel:DWORD
	v_cndmask_b32_e64 v7, v7, v8, s[2:3]
; %bb.394:                              ;   in Loop: Header=BB329_152 Depth=1
	s_or_b64 exec, exec, s[4:5]
	v_lshlrev_b32_e32 v8, 16, v31
	v_mul_f32_e32 v9, v24, v8
	v_and_b32_e32 v8, 0x7f800000, v9
	v_cmp_ne_u32_e64 s[2:3], s38, v8
                                        ; implicit-def: $vgpr8
	s_and_saveexec_b64 s[4:5], s[2:3]
	s_xor_b64 s[2:3], exec, s[4:5]
; %bb.395:                              ;   in Loop: Header=BB329_152 Depth=1
	v_bfe_u32 v8, v9, 16, 1
	v_add3_u32 v8, v9, v8, s39
                                        ; implicit-def: $vgpr9
; %bb.396:                              ;   in Loop: Header=BB329_152 Depth=1
	s_andn2_saveexec_b64 s[4:5], s[2:3]
; %bb.397:                              ;   in Loop: Header=BB329_152 Depth=1
	v_or_b32_e32 v8, 0x10000, v9
	v_cmp_eq_u32_sdwa s[2:3], v9, v17 src0_sel:WORD_0 src1_sel:DWORD
	v_cndmask_b32_e64 v8, v8, v9, s[2:3]
; %bb.398:                              ;   in Loop: Header=BB329_152 Depth=1
	s_or_b64 exec, exec, s[4:5]
	v_lshlrev_b32_e32 v9, 16, v32
	v_mul_f32_e32 v24, v25, v9
	v_and_b32_e32 v9, 0x7f800000, v24
	v_cmp_ne_u32_e64 s[2:3], s38, v9
                                        ; implicit-def: $vgpr9
	s_and_saveexec_b64 s[4:5], s[2:3]
	s_xor_b64 s[2:3], exec, s[4:5]
; %bb.399:                              ;   in Loop: Header=BB329_152 Depth=1
	v_bfe_u32 v9, v24, 16, 1
	v_add3_u32 v9, v24, v9, s39
                                        ; implicit-def: $vgpr24
; %bb.400:                              ;   in Loop: Header=BB329_152 Depth=1
	s_andn2_saveexec_b64 s[4:5], s[2:3]
; %bb.401:                              ;   in Loop: Header=BB329_152 Depth=1
	v_or_b32_e32 v9, 0x10000, v24
	v_cmp_eq_u32_sdwa s[2:3], v24, v17 src0_sel:WORD_0 src1_sel:DWORD
	v_cndmask_b32_e64 v9, v9, v24, s[2:3]
; %bb.402:                              ;   in Loop: Header=BB329_152 Depth=1
	s_or_b64 exec, exec, s[4:5]
	v_lshlrev_b32_e32 v16, 16, v16
	v_mul_f32_e32 v24, v26, v16
	v_and_b32_e32 v16, 0x7f800000, v24
	v_cmp_ne_u32_e64 s[2:3], s38, v16
                                        ; implicit-def: $vgpr16
	s_and_saveexec_b64 s[4:5], s[2:3]
	s_xor_b64 s[2:3], exec, s[4:5]
; %bb.403:                              ;   in Loop: Header=BB329_152 Depth=1
	v_bfe_u32 v16, v24, 16, 1
	v_add3_u32 v16, v24, v16, s39
                                        ; implicit-def: $vgpr24
; %bb.404:                              ;   in Loop: Header=BB329_152 Depth=1
	s_andn2_saveexec_b64 s[4:5], s[2:3]
; %bb.405:                              ;   in Loop: Header=BB329_152 Depth=1
	v_or_b32_e32 v16, 0x10000, v24
	v_cmp_eq_u32_sdwa s[2:3], v24, v17 src0_sel:WORD_0 src1_sel:DWORD
	v_cndmask_b32_e64 v16, v16, v24, s[2:3]
; %bb.406:                              ;   in Loop: Header=BB329_152 Depth=1
	s_or_b64 exec, exec, s[4:5]
	v_lshlrev_b32_e32 v5, 16, v5
	v_mul_f32_e32 v24, v27, v5
	v_and_b32_e32 v5, 0x7f800000, v24
	v_cmp_ne_u32_e64 s[2:3], s38, v5
                                        ; implicit-def: $vgpr5
	s_and_saveexec_b64 s[4:5], s[2:3]
	s_xor_b64 s[2:3], exec, s[4:5]
; %bb.407:                              ;   in Loop: Header=BB329_152 Depth=1
	v_bfe_u32 v5, v24, 16, 1
	v_add3_u32 v5, v24, v5, s39
                                        ; implicit-def: $vgpr24
; %bb.408:                              ;   in Loop: Header=BB329_152 Depth=1
	s_andn2_saveexec_b64 s[4:5], s[2:3]
; %bb.409:                              ;   in Loop: Header=BB329_152 Depth=1
	v_or_b32_e32 v5, 0x10000, v24
	v_cmp_eq_u32_sdwa s[2:3], v24, v17 src0_sel:WORD_0 src1_sel:DWORD
	v_cndmask_b32_e64 v5, v5, v24, s[2:3]
; %bb.410:                              ;   in Loop: Header=BB329_152 Depth=1
	s_or_b64 exec, exec, s[4:5]
	v_lshlrev_b32_e32 v2, 16, v2
	v_mul_f32_e32 v2, v28, v2
	v_and_b32_e32 v24, 0x7f800000, v2
	v_cmp_ne_u32_e64 s[2:3], s38, v24
                                        ; implicit-def: $vgpr24
	s_and_saveexec_b64 s[4:5], s[2:3]
	s_xor_b64 s[2:3], exec, s[4:5]
; %bb.411:                              ;   in Loop: Header=BB329_152 Depth=1
	v_bfe_u32 v24, v2, 16, 1
	v_add3_u32 v24, v2, v24, s39
                                        ; implicit-def: $vgpr2
; %bb.412:                              ;   in Loop: Header=BB329_152 Depth=1
	s_andn2_saveexec_b64 s[4:5], s[2:3]
	s_cbranch_execz .LBB329_149
; %bb.413:                              ;   in Loop: Header=BB329_152 Depth=1
	v_or_b32_e32 v24, 0x10000, v2
	v_cmp_eq_u32_sdwa s[2:3], v2, v17 src0_sel:WORD_0 src1_sel:DWORD
	v_cndmask_b32_e64 v24, v24, v2, s[2:3]
	s_branch .LBB329_149
.LBB329_414:
	s_or_b64 exec, exec, s[20:21]
.LBB329_415:
	s_or_b64 exec, exec, s[6:7]
	v_and_b32_e32 v2, 0x3c0, v0
	v_cmp_eq_u32_e32 vcc, 64, v2
	s_barrier
	s_and_saveexec_b64 s[2:3], vcc
	s_cbranch_execz .LBB329_418
; %bb.416:
	v_mov_b32_e32 v2, 0xb0
	v_lshl_add_u32 v3, v15, 2, v2
	ds_write_b32 v3, v12
	s_and_b64 exec, exec, s[0:1]
	s_cbranch_execz .LBB329_418
; %bb.417:
	v_lshl_add_u32 v2, v0, 2, v2
	ds_write_b32 v2, v13
.LBB329_418:
	s_or_b64 exec, exec, s[2:3]
	v_cmp_gt_u32_e32 vcc, 64, v0
	v_or_b32_e32 v2, 64, v0
	s_waitcnt lgkmcnt(0)
	s_barrier
	s_and_saveexec_b64 s[2:3], vcc
	s_cbranch_execz .LBB329_422
; %bb.419:
	v_mov_b32_e32 v3, 0xb0
	v_lshl_add_u32 v3, v0, 2, v3
	ds_read_b32 v0, v3
	s_movk_i32 s0, 0x50
	v_cmp_gt_u32_e64 s[0:1], s0, v2
	s_and_saveexec_b64 s[4:5], s[0:1]
	s_cbranch_execz .LBB329_421
; %bb.420:
	ds_read_b32 v3, v3 offset:256
	s_waitcnt lgkmcnt(0)
	v_add_f32_e32 v13, v13, v3
.LBB329_421:
	s_or_b64 exec, exec, s[4:5]
	s_waitcnt lgkmcnt(0)
	v_add_f32_e32 v12, v12, v0
.LBB329_422:
	s_or_b64 exec, exec, s[2:3]
	s_barrier
	s_and_saveexec_b64 s[0:1], vcc
	s_cbranch_execz .LBB329_433
; %bb.423:
	s_mov_b32 s0, 0x7f800000
	v_and_b32_e32 v0, 0x7f800000, v12
	v_cmp_ne_u32_e32 vcc, s0, v0
                                        ; implicit-def: $vgpr0
	s_and_saveexec_b64 s[0:1], vcc
	s_xor_b64 s[0:1], exec, s[0:1]
; %bb.424:
	v_bfe_u32 v0, v12, 16, 1
	s_movk_i32 s2, 0x7fff
	v_add3_u32 v0, v12, v0, s2
; %bb.425:
	s_andn2_saveexec_b64 s[0:1], s[0:1]
; %bb.426:
	v_mov_b32_e32 v0, 0
	v_or_b32_e32 v3, 0x10000, v12
	v_cmp_eq_u32_sdwa vcc, v12, v0 src0_sel:WORD_0 src1_sel:DWORD
	v_cndmask_b32_e32 v0, v3, v12, vcc
; %bb.427:
	s_or_b64 exec, exec, s[0:1]
	s_mul_i32 s0, s10, 0x50
	s_ashr_i32 s1, s0, 31
	s_lshl_b64 s[0:1], s[0:1], 1
	s_add_u32 s3, s34, s0
	s_mul_i32 s0, s15, s14
	s_addc_u32 s4, s35, s1
	s_ashr_i32 s1, s0, 31
	s_lshl_b64 s[0:1], s[0:1], 1
	s_add_u32 s3, s3, s0
	s_mul_i32 s0, s8, 0x50
	s_addc_u32 s4, s4, s1
	s_ashr_i32 s1, s0, 31
	s_lshl_b64 s[0:1], s[0:1], 1
	s_movk_i32 s2, 0x50
	s_add_u32 s0, s3, s0
	s_addc_u32 s1, s4, s1
	v_cmp_gt_u32_e32 vcc, s2, v2
	global_store_short_d16_hi v1, v0, s[0:1]
	s_and_b64 exec, exec, vcc
	s_cbranch_execz .LBB329_433
; %bb.428:
	v_mov_b32_e32 v2, s1
	v_add_co_u32_e32 v0, vcc, s0, v1
	v_addc_co_u32_e32 v1, vcc, 0, v2, vcc
	s_mov_b32 s0, 0x7f800000
	v_and_b32_e32 v2, 0x7f800000, v13
	v_cmp_ne_u32_e32 vcc, s0, v2
                                        ; implicit-def: $vgpr2
	s_and_saveexec_b64 s[0:1], vcc
	s_xor_b64 s[0:1], exec, s[0:1]
; %bb.429:
	v_bfe_u32 v2, v13, 16, 1
	s_movk_i32 s2, 0x7fff
	v_add3_u32 v2, v13, v2, s2
                                        ; implicit-def: $vgpr13
; %bb.430:
	s_andn2_saveexec_b64 s[0:1], s[0:1]
; %bb.431:
	v_mov_b32_e32 v2, 0
	v_or_b32_e32 v3, 0x10000, v13
	v_cmp_eq_u32_sdwa vcc, v13, v2 src0_sel:WORD_0 src1_sel:DWORD
	v_cndmask_b32_e32 v2, v3, v13, vcc
; %bb.432:
	s_or_b64 exec, exec, s[0:1]
	global_store_short_d16_hi v[0:1], v2, off offset:128
.LBB329_433:
	s_endpgm
	.section	.rodata,"a",@progbits
	.p2align	6, 0x0
	.amdhsa_kernel _ZN4vllm25paged_attention_v2_kernelI14__hip_bfloat16hLi80ELi8ELi128ELNS_18Fp8KVCacheDataTypeE1ELb1ELi512EEEvPfS3_PT_PKS4_PKT0_SA_ifPKiSC_iPKfiiiSE_SE_iiiii
		.amdhsa_group_segment_fixed_size 176
		.amdhsa_private_segment_fixed_size 0
		.amdhsa_kernarg_size 400
		.amdhsa_user_sgpr_count 6
		.amdhsa_user_sgpr_private_segment_buffer 1
		.amdhsa_user_sgpr_dispatch_ptr 0
		.amdhsa_user_sgpr_queue_ptr 0
		.amdhsa_user_sgpr_kernarg_segment_ptr 1
		.amdhsa_user_sgpr_dispatch_id 0
		.amdhsa_user_sgpr_flat_scratch_init 0
		.amdhsa_user_sgpr_kernarg_preload_length 0
		.amdhsa_user_sgpr_kernarg_preload_offset 0
		.amdhsa_user_sgpr_private_segment_size 0
		.amdhsa_uses_dynamic_stack 0
		.amdhsa_system_sgpr_private_segment_wavefront_offset 0
		.amdhsa_system_sgpr_workgroup_id_x 1
		.amdhsa_system_sgpr_workgroup_id_y 1
		.amdhsa_system_sgpr_workgroup_id_z 1
		.amdhsa_system_sgpr_workgroup_info 0
		.amdhsa_system_vgpr_workitem_id 0
		.amdhsa_next_free_vgpr 47
		.amdhsa_next_free_sgpr 67
		.amdhsa_accum_offset 48
		.amdhsa_reserve_vcc 1
		.amdhsa_reserve_flat_scratch 0
		.amdhsa_float_round_mode_32 0
		.amdhsa_float_round_mode_16_64 0
		.amdhsa_float_denorm_mode_32 3
		.amdhsa_float_denorm_mode_16_64 3
		.amdhsa_dx10_clamp 1
		.amdhsa_ieee_mode 1
		.amdhsa_fp16_overflow 0
		.amdhsa_tg_split 0
		.amdhsa_exception_fp_ieee_invalid_op 0
		.amdhsa_exception_fp_denorm_src 0
		.amdhsa_exception_fp_ieee_div_zero 0
		.amdhsa_exception_fp_ieee_overflow 0
		.amdhsa_exception_fp_ieee_underflow 0
		.amdhsa_exception_fp_ieee_inexact 0
		.amdhsa_exception_int_div_zero 0
	.end_amdhsa_kernel
	.section	.text._ZN4vllm25paged_attention_v2_kernelI14__hip_bfloat16hLi80ELi8ELi128ELNS_18Fp8KVCacheDataTypeE1ELb1ELi512EEEvPfS3_PT_PKS4_PKT0_SA_ifPKiSC_iPKfiiiSE_SE_iiiii,"axG",@progbits,_ZN4vllm25paged_attention_v2_kernelI14__hip_bfloat16hLi80ELi8ELi128ELNS_18Fp8KVCacheDataTypeE1ELb1ELi512EEEvPfS3_PT_PKS4_PKT0_SA_ifPKiSC_iPKfiiiSE_SE_iiiii,comdat
.Lfunc_end329:
	.size	_ZN4vllm25paged_attention_v2_kernelI14__hip_bfloat16hLi80ELi8ELi128ELNS_18Fp8KVCacheDataTypeE1ELb1ELi512EEEvPfS3_PT_PKS4_PKT0_SA_ifPKiSC_iPKfiiiSE_SE_iiiii, .Lfunc_end329-_ZN4vllm25paged_attention_v2_kernelI14__hip_bfloat16hLi80ELi8ELi128ELNS_18Fp8KVCacheDataTypeE1ELb1ELi512EEEvPfS3_PT_PKS4_PKT0_SA_ifPKiSC_iPKfiiiSE_SE_iiiii
                                        ; -- End function
	.section	.AMDGPU.csdata,"",@progbits
; Kernel info:
; codeLenInByte = 13824
; NumSgprs: 71
; NumVgprs: 47
; NumAgprs: 0
; TotalNumVgprs: 47
; ScratchSize: 0
; MemoryBound: 0
; FloatMode: 240
; IeeeMode: 1
; LDSByteSize: 176 bytes/workgroup (compile time only)
; SGPRBlocks: 8
; VGPRBlocks: 5
; NumSGPRsForWavesPerEU: 71
; NumVGPRsForWavesPerEU: 47
; AccumOffset: 48
; Occupancy: 8
; WaveLimiterHint : 1
; COMPUTE_PGM_RSRC2:SCRATCH_EN: 0
; COMPUTE_PGM_RSRC2:USER_SGPR: 6
; COMPUTE_PGM_RSRC2:TRAP_HANDLER: 0
; COMPUTE_PGM_RSRC2:TGID_X_EN: 1
; COMPUTE_PGM_RSRC2:TGID_Y_EN: 1
; COMPUTE_PGM_RSRC2:TGID_Z_EN: 1
; COMPUTE_PGM_RSRC2:TIDIG_COMP_CNT: 0
; COMPUTE_PGM_RSRC3_GFX90A:ACCUM_OFFSET: 11
; COMPUTE_PGM_RSRC3_GFX90A:TG_SPLIT: 0
	.section	.text._ZN4vllm25paged_attention_v2_kernelI14__hip_bfloat16hLi96ELi8ELi128ELNS_18Fp8KVCacheDataTypeE1ELb1ELi512EEEvPfS3_PT_PKS4_PKT0_SA_ifPKiSC_iPKfiiiSE_SE_iiiii,"axG",@progbits,_ZN4vllm25paged_attention_v2_kernelI14__hip_bfloat16hLi96ELi8ELi128ELNS_18Fp8KVCacheDataTypeE1ELb1ELi512EEEvPfS3_PT_PKS4_PKT0_SA_ifPKiSC_iPKfiiiSE_SE_iiiii,comdat
	.protected	_ZN4vllm25paged_attention_v2_kernelI14__hip_bfloat16hLi96ELi8ELi128ELNS_18Fp8KVCacheDataTypeE1ELb1ELi512EEEvPfS3_PT_PKS4_PKT0_SA_ifPKiSC_iPKfiiiSE_SE_iiiii ; -- Begin function _ZN4vllm25paged_attention_v2_kernelI14__hip_bfloat16hLi96ELi8ELi128ELNS_18Fp8KVCacheDataTypeE1ELb1ELi512EEEvPfS3_PT_PKS4_PKT0_SA_ifPKiSC_iPKfiiiSE_SE_iiiii
	.globl	_ZN4vllm25paged_attention_v2_kernelI14__hip_bfloat16hLi96ELi8ELi128ELNS_18Fp8KVCacheDataTypeE1ELb1ELi512EEEvPfS3_PT_PKS4_PKT0_SA_ifPKiSC_iPKfiiiSE_SE_iiiii
	.p2align	8
	.type	_ZN4vllm25paged_attention_v2_kernelI14__hip_bfloat16hLi96ELi8ELi128ELNS_18Fp8KVCacheDataTypeE1ELb1ELi512EEEvPfS3_PT_PKS4_PKT0_SA_ifPKiSC_iPKfiiiSE_SE_iiiii,@function
_ZN4vllm25paged_attention_v2_kernelI14__hip_bfloat16hLi96ELi8ELi128ELNS_18Fp8KVCacheDataTypeE1ELb1ELi512EEEvPfS3_PT_PKS4_PKT0_SA_ifPKiSC_iPKfiiiSE_SE_iiiii: ; @_ZN4vllm25paged_attention_v2_kernelI14__hip_bfloat16hLi96ELi8ELi128ELNS_18Fp8KVCacheDataTypeE1ELb1ELi512EEEvPfS3_PT_PKS4_PKT0_SA_ifPKiSC_iPKfiiiSE_SE_iiiii
; %bb.0:
	s_load_dwordx2 s[0:1], s[4:5], 0x40
	s_mov_b32 s36, s7
	s_ashr_i32 s37, s7, 31
	s_lshl_b64 s[2:3], s[36:37], 2
	s_waitcnt lgkmcnt(0)
	s_add_u32 s0, s0, s2
	s_addc_u32 s1, s1, s3
	s_load_dword s33, s[0:1], 0x0
	s_lshl_b32 s57, s8, 9
	s_waitcnt lgkmcnt(0)
	s_cmp_ge_i32 s57, s33
	s_cbranch_scc1 .LBB330_453
; %bb.1:
	s_load_dword s9, s[4:5], 0x90
	s_load_dwordx2 s[44:45], s[4:5], 0x30
	s_waitcnt lgkmcnt(0)
	s_abs_i32 s2, s9
	s_abs_i32 s0, s44
	v_cvt_f32_u32_e32 v1, s0
	s_sub_i32 s3, 0, s0
	s_xor_b32 s1, s9, s44
	s_ashr_i32 s1, s1, 31
	v_rcp_iflag_f32_e32 v1, v1
	v_mul_f32_e32 v1, 0x4f7ffffe, v1
	v_cvt_u32_f32_e32 v1, v1
	v_readfirstlane_b32 s7, v1
	s_mul_i32 s3, s3, s7
	s_mul_hi_u32 s3, s7, s3
	s_add_i32 s7, s7, s3
	s_mul_hi_u32 s3, s2, s7
	s_mul_i32 s7, s3, s0
	s_sub_i32 s2, s2, s7
	s_add_i32 s10, s3, 1
	s_sub_i32 s7, s2, s0
	s_cmp_ge_u32 s2, s0
	s_cselect_b32 s3, s10, s3
	s_cselect_b32 s2, s7, s2
	s_add_i32 s7, s3, 1
	s_cmp_ge_u32 s2, s0
	s_cselect_b32 s0, s7, s3
	s_xor_b32 s0, s0, s1
	s_sub_i32 s2, s0, s1
	s_abs_i32 s10, s2
	v_cvt_f32_u32_e32 v1, s10
	s_load_dwordx2 s[0:1], s[4:5], 0x50
	s_sub_i32 s3, 0, s10
	s_abs_i32 s11, s6
	v_rcp_iflag_f32_e32 v1, v1
	s_mov_b32 s7, 0
	v_mul_f32_e32 v1, 0x4f7ffffe, v1
	v_cvt_u32_f32_e32 v1, v1
	v_readfirstlane_b32 s12, v1
	s_mul_i32 s3, s3, s12
	s_mul_hi_u32 s3, s12, s3
	s_add_i32 s12, s12, s3
	s_waitcnt lgkmcnt(0)
	s_cmp_eq_u64 s[0:1], 0
	s_mul_hi_u32 s12, s11, s12
	s_cbranch_scc1 .LBB330_3
; %bb.2:
	s_ashr_i32 s7, s6, 31
	s_lshl_b64 s[14:15], s[6:7], 2
	s_add_u32 s0, s0, s14
	s_addc_u32 s1, s1, s15
	s_load_dword s7, s[0:1], 0x0
.LBB330_3:
	s_load_dwordx4 s[20:23], s[4:5], 0x58
	s_movk_i32 s0, 0x60
	s_ashr_i32 s13, s6, 31
	s_ashr_i32 s16, s2, 31
	v_and_b32_e32 v6, 7, v0
	s_mul_i32 s14, s6, 0x60
	v_cmp_gt_u32_e64 s[0:1], s0, v0
	v_lshlrev_b32_e32 v1, 1, v0
	s_and_saveexec_b64 s[2:3], s[0:1]
	s_cbranch_execz .LBB330_5
; %bb.4:
	s_load_dwordx2 s[18:19], s[4:5], 0x18
	s_waitcnt lgkmcnt(0)
	s_mul_i32 s24, s36, s20
	s_ashr_i32 s25, s24, 31
	s_lshl_b64 s[24:25], s[24:25], 1
	v_lshrrev_b32_e32 v3, 2, v0
	s_add_u32 s17, s18, s24
	s_addc_u32 s20, s19, s25
	s_ashr_i32 s15, s14, 31
	s_lshl_b64 s[18:19], s[14:15], 1
	s_add_u32 s18, s17, s18
	s_addc_u32 s19, s20, s19
	global_load_ushort v2, v1, s[18:19]
	v_and_b32_e32 v3, 0xfe, v3
	v_mad_u32_u24 v3, v6, 24, v3
	s_waitcnt vmcnt(0)
	ds_write_b16 v3, v2
.LBB330_5:
	s_or_b64 exec, exec, s[2:3]
	s_mul_i32 s3, s12, s10
	s_sub_i32 s3, s11, s3
	s_xor_b32 s2, s13, s16
	s_add_i32 s11, s12, 1
	s_sub_i32 s13, s3, s10
	s_load_dwordx4 s[24:27], s[4:5], 0x78
	s_cmp_ge_u32 s3, s10
	s_cselect_b32 s11, s11, s12
	s_cselect_b32 s3, s13, s3
	s_load_dword s13, s[4:5], 0x88
	s_add_i32 s12, s11, 1
	s_cmp_ge_u32 s3, s10
	s_cselect_b32 s3, s12, s11
	s_waitcnt lgkmcnt(0)
	s_abs_i32 s37, s27
	v_cvt_f32_u32_e32 v2, s37
	s_xor_b32 s3, s3, s2
	s_sub_i32 s10, s3, s2
	s_sub_i32 s2, 0, s37
	v_rcp_iflag_f32_e32 v2, v2
	s_add_i32 s15, s33, -1
	s_abs_i32 s11, s15
	v_mul_f32_e32 v2, 0x4f7ffffe, v2
	v_cvt_u32_f32_e32 v2, v2
	s_barrier
	v_readfirstlane_b32 s54, v2
	s_mul_i32 s2, s2, s54
	s_mul_hi_u32 s2, s54, s2
	s_add_i32 s54, s54, s2
	s_cmp_lt_i32 s13, 0
	s_mul_hi_u32 s12, s11, s54
	s_cbranch_scc0 .LBB330_7
; %bb.6:
	s_mul_i32 s2, s24, s44
	s_add_i32 s2, s10, s2
	s_mul_i32 s2, s2, s13
	s_sub_i32 s44, 1, s2
	s_mov_b64 s[2:3], 0
	s_branch .LBB330_8
.LBB330_7:
	s_mov_b64 s[2:3], -1
                                        ; implicit-def: $sgpr44
.LBB330_8:
	s_load_dwordx2 s[38:39], s[4:5], 0x38
	s_ashr_i32 s20, s15, 31
	s_andn2_b64 vcc, exec, s[2:3]
	s_ashr_i32 s55, s27, 31
	s_cbranch_vccnz .LBB330_10
; %bb.9:
	s_mul_i32 s2, s9, s24
	s_add_i32 s2, s2, s6
	s_mul_i32 s2, s2, s13
	s_add_i32 s44, s2, 1
.LBB330_10:
	s_load_dwordx2 s[42:43], s[4:5], 0x28
	s_load_dword s2, s[4:5], 0x48
	s_load_dwordx4 s[28:31], s[4:5], 0x0
	s_load_dwordx2 s[34:35], s[4:5], 0x10
	s_load_dword s15, s[4:5], 0x98
	s_load_dwordx4 s[16:19], s[4:5], 0x68
	s_mul_i32 s3, s12, s37
	s_waitcnt lgkmcnt(0)
	s_mul_i32 s40, s36, s2
	s_sub_i32 s3, s11, s3
	s_ashr_i32 s41, s40, 31
	s_xor_b32 s2, s20, s55
	s_add_i32 s11, s12, 1
	s_sub_i32 s13, s3, s37
	s_cmp_ge_u32 s3, s37
	s_cselect_b32 s11, s11, s12
	s_cselect_b32 s3, s13, s3
	s_add_i32 s12, s11, 1
	s_cmp_ge_u32 s3, s37
	s_cselect_b32 s3, s12, s11
	s_xor_b32 s3, s3, s2
	s_sub_i32 s24, s3, s2
	s_add_i32 s2, s33, 7
	s_ashr_i32 s3, s2, 31
	s_lshr_b32 s3, s3, 29
	s_add_i32 s2, s2, s3
	s_lshl_b32 s58, s8, 6
	s_ashr_i32 s20, s2, 3
	s_add_i32 s2, s58, 64
	v_lshrrev_b32_e32 v7, 6, v0
	s_min_i32 s56, s2, s20
	v_or_b32_e32 v10, s58, v7
	v_cmp_gt_i32_e64 s[2:3], s56, v10
	v_mov_b32_e32 v25, 0xff7fffff
	s_mul_i32 s27, s10, s22
	v_ashrrev_i32_e32 v11, 31, v10
	v_lshl_add_u32 v19, v7, 3, s57
	v_mbcnt_lo_u32_b32 v20, -1, 0
	s_and_saveexec_b64 s[22:23], s[2:3]
	s_cbranch_execz .LBB330_140
; %bb.11:
	s_load_dwordx2 s[4:5], s[4:5], 0x20
	s_sub_i32 s59, s24, s25
	s_ashr_i32 s10, s27, 31
	v_bfe_u32 v21, v0, 3, 3
	v_lshlrev_b32_e32 v3, 4, v21
	s_waitcnt lgkmcnt(0)
	s_add_u32 s4, s4, s27
	s_addc_u32 s5, s5, s10
	s_abs_i32 s61, s26
	v_cvt_f32_u32_e32 v2, s61
	s_sub_i32 s10, 0, s61
	v_mov_b32_e32 v4, s5
	v_add_co_u32_e64 v8, s[4:5], s4, v3
	v_rcp_iflag_f32_e32 v2, v2
	v_addc_co_u32_e64 v9, s[4:5], 0, v4, s[4:5]
	v_cmp_eq_u32_e32 vcc, 0, v6
	v_mul_f32_e32 v2, 0x4f7ffffe, v2
	v_cvt_u32_f32_e32 v2, v2
	s_mov_b32 s60, s21
	v_mov_b32_e32 v22, 0
	v_mul_u32_u24_e32 v23, 24, v6
	v_mul_lo_u32 v3, s10, v2
	s_lshl_b64 s[10:11], s[40:41], 2
	v_mul_hi_u32 v3, v2, v3
	s_add_u32 s10, s38, s10
	v_add_u32_e32 v24, v2, v3
	v_lshlrev_b64 v[2:3], 2, v[10:11]
	s_addc_u32 s11, s39, s11
	v_mov_b32_e32 v4, s11
	v_add_co_u32_e64 v12, s[10:11], s10, v2
	v_lshlrev_b32_e32 v2, 2, v21
	v_lshl_or_b32 v2, v7, 5, v2
	v_add_u32_e32 v27, 0xd0, v2
	v_subrev_u32_e32 v2, s33, v21
	v_cmp_neq_f32_e64 s[4:5], s7, 0
	v_addc_co_u32_e64 v13, s[10:11], v4, v3, s[10:11]
	v_lshl_add_u32 v26, v7, 3, s57
	v_add_u32_e32 v28, 1, v2
	s_mov_b64 s[46:47], 0
	v_mov_b32_e32 v29, 0xff7fffff
	s_movk_i32 s62, 0x80
	s_movk_i32 s63, 0x7f
	s_mov_b32 s64, 0x7f800000
	s_movk_i32 s65, 0x7fff
	v_bfrev_b32_e32 v30, 60
	v_mbcnt_hi_u32_b32 v31, -1, v20
	v_mov_b32_e32 v25, 0xff7fffff
	v_mov_b32_e32 v32, v10
	s_branch .LBB330_14
.LBB330_12:                             ;   in Loop: Header=BB330_14 Depth=1
	s_or_b64 exec, exec, s[48:49]
.LBB330_13:                             ;   in Loop: Header=BB330_14 Depth=1
	s_or_b64 exec, exec, s[12:13]
	v_add_co_u32_e64 v12, s[10:11], 8, v12
	v_add_u32_e32 v32, 2, v32
	v_addc_co_u32_e64 v13, s[10:11], 0, v13, s[10:11]
	v_cmp_le_i32_e64 s[10:11], s56, v32
	v_add_u32_e32 v26, 16, v26
	s_or_b64 s[46:47], s[10:11], s[46:47]
	v_add_u32_e32 v27, 64, v27
	s_andn2_b64 exec, exec, s[46:47]
	s_cbranch_execz .LBB330_139
.LBB330_14:                             ; =>This Inner Loop Header: Depth=1
	s_waitcnt lgkmcnt(0)
	v_sub_u32_e32 v3, 0, v26
	v_max_i32_e32 v3, v26, v3
	v_mul_hi_u32 v4, v3, s54
	v_mul_lo_u32 v5, v4, s37
	v_sub_u32_e32 v3, v3, v5
	v_add_u32_e32 v5, 1, v4
	v_cmp_le_u32_e64 s[10:11], s37, v3
	v_cndmask_b32_e64 v4, v4, v5, s[10:11]
	v_subrev_u32_e32 v5, s37, v3
	v_cndmask_b32_e64 v3, v3, v5, s[10:11]
	v_ashrrev_i32_e32 v2, 31, v26
	v_add_u32_e32 v5, 1, v4
	v_cmp_le_u32_e64 s[10:11], s37, v3
	v_xor_b32_e32 v2, s55, v2
	v_cndmask_b32_e64 v3, v4, v5, s[10:11]
	v_xor_b32_e32 v3, v3, v2
	v_sub_u32_e32 v2, v3, v2
	v_add_u32_e32 v3, s44, v2
	v_sub_u32_e32 v5, 0, v3
	v_ashrrev_i32_e32 v4, 31, v3
	v_max_i32_e32 v3, v3, v5
	v_mul_hi_u32 v5, v3, v24
	v_mul_lo_u32 v5, v5, s61
	v_sub_u32_e32 v3, v3, v5
	v_subrev_u32_e32 v5, s61, v3
	v_cmp_le_u32_e64 s[10:11], s61, v3
	v_cndmask_b32_e64 v3, v3, v5, s[10:11]
	v_subrev_u32_e32 v5, s61, v3
	v_cmp_le_u32_e64 s[10:11], s61, v3
	v_cndmask_b32_e64 v3, v3, v5, s[10:11]
	v_xor_b32_e32 v3, v3, v4
	v_sub_u32_e32 v3, v3, v4
	v_cmp_ne_u32_e64 s[10:11], 0, v3
	v_cmp_ge_i32_e64 s[12:13], s59, v2
	s_and_b64 s[10:11], s[10:11], s[12:13]
	s_and_b64 s[48:49], vcc, s[10:11]
	s_and_saveexec_b64 s[12:13], s[48:49]
	s_cbranch_execz .LBB330_16
; %bb.15:                               ;   in Loop: Header=BB330_14 Depth=1
	ds_write_b32 v27, v29
.LBB330_16:                             ;   in Loop: Header=BB330_14 Depth=1
	s_or_b64 exec, exec, s[12:13]
	s_xor_b64 s[10:11], s[10:11], -1
	s_and_saveexec_b64 s[12:13], s[10:11]
	s_cbranch_execz .LBB330_13
; %bb.17:                               ;   in Loop: Header=BB330_14 Depth=1
	global_load_dword v2, v[12:13], off
	v_mov_b32_e32 v34, 0
	s_waitcnt vmcnt(0)
	v_mad_i64_i32 v[2:3], s[10:11], v2, s60, v[8:9]
	v_add_co_u32_e64 v16, s[10:11], v2, v6
	v_addc_co_u32_e64 v17, s[10:11], 0, v3, s[10:11]
	global_load_ubyte v33, v[16:17], off
	ds_read2_b64 v[2:5], v23 offset1:1
	ds_read_b64 v[14:15], v23 offset:16
	s_load_dword s66, s[16:17], 0x0
	s_waitcnt vmcnt(0)
	v_cmp_ne_u16_e64 s[10:11], 0, v33
	s_and_saveexec_b64 s[48:49], s[10:11]
	s_cbranch_execz .LBB330_23
; %bb.18:                               ;   in Loop: Header=BB330_14 Depth=1
	v_cmp_ne_u16_e64 s[10:11], s62, v33
	v_bfrev_b32_e32 v34, 1
	s_and_saveexec_b64 s[50:51], s[10:11]
	s_cbranch_execz .LBB330_22
; %bb.19:                               ;   in Loop: Header=BB330_14 Depth=1
	v_and_b32_e32 v18, 0xffff, v33
	v_and_b32_e32 v35, 0x7f, v18
	v_cmp_ne_u32_e64 s[10:11], s63, v35
	v_mov_b32_e32 v34, 0x7f800001
	s_and_saveexec_b64 s[52:53], s[10:11]
	s_cbranch_execz .LBB330_21
; %bb.20:                               ;   in Loop: Header=BB330_14 Depth=1
	v_and_b32_e32 v34, 7, v18
	v_ffbh_u32_e32 v36, v34
	v_min_u32_e32 v39, 32, v36
	v_subrev_u32_e32 v36, 28, v39
	v_lshlrev_b64 v[36:37], v36, v[18:19]
	v_lshrrev_b32_e32 v38, 3, v35
	v_sub_u32_e32 v18, 29, v39
	v_and_b32_e32 v36, 7, v36
	v_cmp_gt_u32_e64 s[10:11], 8, v35
	v_cndmask_b32_e64 v18, v38, v18, s[10:11]
	v_cndmask_b32_e64 v34, v34, v36, s[10:11]
	v_lshlrev_b32_e32 v33, 24, v33
	v_lshlrev_b32_e32 v34, 20, v34
	v_and_b32_e32 v33, 0x80000000, v33
	v_lshl_add_u32 v18, v18, 23, v30
	v_or3_b32 v34, v33, v18, v34
.LBB330_21:                             ;   in Loop: Header=BB330_14 Depth=1
	s_or_b64 exec, exec, s[52:53]
.LBB330_22:                             ;   in Loop: Header=BB330_14 Depth=1
	s_or_b64 exec, exec, s[50:51]
.LBB330_23:                             ;   in Loop: Header=BB330_14 Depth=1
	s_or_b64 exec, exec, s[48:49]
	s_waitcnt lgkmcnt(0)
	v_mul_f32_e32 v18, s66, v34
	v_and_b32_e32 v33, 0x7f800000, v18
	v_cmp_ne_u32_e64 s[10:11], s64, v33
                                        ; implicit-def: $vgpr33
	s_and_saveexec_b64 s[48:49], s[10:11]
	s_xor_b64 s[10:11], exec, s[48:49]
; %bb.24:                               ;   in Loop: Header=BB330_14 Depth=1
	v_bfe_u32 v33, v18, 16, 1
	v_add3_u32 v33, v18, v33, s65
                                        ; implicit-def: $vgpr18
; %bb.25:                               ;   in Loop: Header=BB330_14 Depth=1
	s_andn2_saveexec_b64 s[48:49], s[10:11]
; %bb.26:                               ;   in Loop: Header=BB330_14 Depth=1
	v_or_b32_e32 v33, 0x10000, v18
	v_cmp_eq_u32_sdwa s[10:11], v18, v22 src0_sel:WORD_0 src1_sel:DWORD
	v_cndmask_b32_e64 v33, v33, v18, s[10:11]
; %bb.27:                               ;   in Loop: Header=BB330_14 Depth=1
	s_or_b64 exec, exec, s[48:49]
	global_load_ubyte v34, v[16:17], off offset:8
	v_mov_b32_e32 v35, 0
	s_waitcnt vmcnt(0)
	v_cmp_ne_u16_e64 s[10:11], 0, v34
	s_and_saveexec_b64 s[48:49], s[10:11]
	s_cbranch_execz .LBB330_33
; %bb.28:                               ;   in Loop: Header=BB330_14 Depth=1
	v_cmp_ne_u16_e64 s[10:11], s62, v34
	v_bfrev_b32_e32 v35, 1
	s_and_saveexec_b64 s[50:51], s[10:11]
	s_cbranch_execz .LBB330_32
; %bb.29:                               ;   in Loop: Header=BB330_14 Depth=1
	v_and_b32_e32 v18, 0xffff, v34
	v_and_b32_e32 v36, 0x7f, v18
	v_cmp_ne_u32_e64 s[10:11], s63, v36
	v_mov_b32_e32 v35, 0x7f800001
	s_and_saveexec_b64 s[52:53], s[10:11]
	s_cbranch_execz .LBB330_31
; %bb.30:                               ;   in Loop: Header=BB330_14 Depth=1
	v_and_b32_e32 v35, 7, v18
	v_ffbh_u32_e32 v38, v35
	v_min_u32_e32 v40, 32, v38
	v_subrev_u32_e32 v38, 28, v40
	v_lshlrev_b64 v[38:39], v38, v[18:19]
	v_lshrrev_b32_e32 v37, 3, v36
	v_sub_u32_e32 v18, 29, v40
	v_and_b32_e32 v38, 7, v38
	v_cmp_gt_u32_e64 s[10:11], 8, v36
	v_cndmask_b32_e64 v18, v37, v18, s[10:11]
	v_cndmask_b32_e64 v35, v35, v38, s[10:11]
	v_lshlrev_b32_e32 v34, 24, v34
	v_lshlrev_b32_e32 v35, 20, v35
	v_and_b32_e32 v34, 0x80000000, v34
	v_lshl_add_u32 v18, v18, 23, v30
	v_or3_b32 v35, v34, v18, v35
.LBB330_31:                             ;   in Loop: Header=BB330_14 Depth=1
	s_or_b64 exec, exec, s[52:53]
.LBB330_32:                             ;   in Loop: Header=BB330_14 Depth=1
	s_or_b64 exec, exec, s[50:51]
.LBB330_33:                             ;   in Loop: Header=BB330_14 Depth=1
	s_or_b64 exec, exec, s[48:49]
	v_mul_f32_e32 v18, s66, v35
	v_and_b32_e32 v34, 0x7f800000, v18
	v_cmp_ne_u32_e64 s[10:11], s64, v34
                                        ; implicit-def: $vgpr34
	s_and_saveexec_b64 s[48:49], s[10:11]
	s_xor_b64 s[10:11], exec, s[48:49]
; %bb.34:                               ;   in Loop: Header=BB330_14 Depth=1
	v_bfe_u32 v34, v18, 16, 1
	v_add3_u32 v34, v18, v34, s65
                                        ; implicit-def: $vgpr18
; %bb.35:                               ;   in Loop: Header=BB330_14 Depth=1
	s_andn2_saveexec_b64 s[48:49], s[10:11]
; %bb.36:                               ;   in Loop: Header=BB330_14 Depth=1
	v_or_b32_e32 v34, 0x10000, v18
	v_cmp_eq_u32_sdwa s[10:11], v18, v22 src0_sel:WORD_0 src1_sel:DWORD
	v_cndmask_b32_e64 v34, v34, v18, s[10:11]
; %bb.37:                               ;   in Loop: Header=BB330_14 Depth=1
	s_or_b64 exec, exec, s[48:49]
	global_load_ubyte v35, v[16:17], off offset:128
	v_mov_b32_e32 v36, 0
	s_waitcnt vmcnt(0)
	v_cmp_ne_u16_e64 s[10:11], 0, v35
	s_and_saveexec_b64 s[48:49], s[10:11]
	s_cbranch_execz .LBB330_43
; %bb.38:                               ;   in Loop: Header=BB330_14 Depth=1
	v_cmp_ne_u16_e64 s[10:11], s62, v35
	v_bfrev_b32_e32 v36, 1
	s_and_saveexec_b64 s[50:51], s[10:11]
	s_cbranch_execz .LBB330_42
; %bb.39:                               ;   in Loop: Header=BB330_14 Depth=1
	v_and_b32_e32 v18, 0xffff, v35
	v_and_b32_e32 v37, 0x7f, v18
	v_cmp_ne_u32_e64 s[10:11], s63, v37
	v_mov_b32_e32 v36, 0x7f800001
	s_and_saveexec_b64 s[52:53], s[10:11]
	s_cbranch_execz .LBB330_41
; %bb.40:                               ;   in Loop: Header=BB330_14 Depth=1
	v_and_b32_e32 v36, 7, v18
	v_ffbh_u32_e32 v38, v36
	v_min_u32_e32 v41, 32, v38
	v_subrev_u32_e32 v38, 28, v41
	v_lshlrev_b64 v[38:39], v38, v[18:19]
	v_lshrrev_b32_e32 v40, 3, v37
	v_sub_u32_e32 v18, 29, v41
	v_and_b32_e32 v38, 7, v38
	v_cmp_gt_u32_e64 s[10:11], 8, v37
	v_cndmask_b32_e64 v18, v40, v18, s[10:11]
	v_cndmask_b32_e64 v36, v36, v38, s[10:11]
	v_lshlrev_b32_e32 v35, 24, v35
	v_lshlrev_b32_e32 v36, 20, v36
	v_and_b32_e32 v35, 0x80000000, v35
	v_lshl_add_u32 v18, v18, 23, v30
	v_or3_b32 v36, v35, v18, v36
.LBB330_41:                             ;   in Loop: Header=BB330_14 Depth=1
	s_or_b64 exec, exec, s[52:53]
.LBB330_42:                             ;   in Loop: Header=BB330_14 Depth=1
	s_or_b64 exec, exec, s[50:51]
.LBB330_43:                             ;   in Loop: Header=BB330_14 Depth=1
	s_or_b64 exec, exec, s[48:49]
	v_mul_f32_e32 v18, s66, v36
	v_and_b32_e32 v35, 0x7f800000, v18
	v_cmp_ne_u32_e64 s[10:11], s64, v35
                                        ; implicit-def: $vgpr35
	s_and_saveexec_b64 s[48:49], s[10:11]
	s_xor_b64 s[10:11], exec, s[48:49]
; %bb.44:                               ;   in Loop: Header=BB330_14 Depth=1
	v_bfe_u32 v35, v18, 16, 1
	v_add3_u32 v35, v18, v35, s65
                                        ; implicit-def: $vgpr18
; %bb.45:                               ;   in Loop: Header=BB330_14 Depth=1
	s_andn2_saveexec_b64 s[48:49], s[10:11]
; %bb.46:                               ;   in Loop: Header=BB330_14 Depth=1
	v_or_b32_e32 v35, 0x10000, v18
	v_cmp_eq_u32_sdwa s[10:11], v18, v22 src0_sel:WORD_0 src1_sel:DWORD
	v_cndmask_b32_e64 v35, v35, v18, s[10:11]
; %bb.47:                               ;   in Loop: Header=BB330_14 Depth=1
	s_or_b64 exec, exec, s[48:49]
	global_load_ubyte v36, v[16:17], off offset:136
	v_mov_b32_e32 v37, 0
	s_waitcnt vmcnt(0)
	v_cmp_ne_u16_e64 s[10:11], 0, v36
	s_and_saveexec_b64 s[48:49], s[10:11]
	s_cbranch_execz .LBB330_53
; %bb.48:                               ;   in Loop: Header=BB330_14 Depth=1
	v_cmp_ne_u16_e64 s[10:11], s62, v36
	v_bfrev_b32_e32 v37, 1
	s_and_saveexec_b64 s[50:51], s[10:11]
	s_cbranch_execz .LBB330_52
; %bb.49:                               ;   in Loop: Header=BB330_14 Depth=1
	v_and_b32_e32 v18, 0xffff, v36
	v_and_b32_e32 v38, 0x7f, v18
	v_cmp_ne_u32_e64 s[10:11], s63, v38
	v_mov_b32_e32 v37, 0x7f800001
	s_and_saveexec_b64 s[52:53], s[10:11]
	s_cbranch_execz .LBB330_51
; %bb.50:                               ;   in Loop: Header=BB330_14 Depth=1
	v_and_b32_e32 v37, 7, v18
	v_ffbh_u32_e32 v40, v37
	v_min_u32_e32 v42, 32, v40
	v_subrev_u32_e32 v40, 28, v42
	v_lshlrev_b64 v[40:41], v40, v[18:19]
	v_lshrrev_b32_e32 v39, 3, v38
	v_sub_u32_e32 v18, 29, v42
	v_and_b32_e32 v40, 7, v40
	v_cmp_gt_u32_e64 s[10:11], 8, v38
	v_cndmask_b32_e64 v18, v39, v18, s[10:11]
	v_cndmask_b32_e64 v37, v37, v40, s[10:11]
	v_lshlrev_b32_e32 v36, 24, v36
	v_lshlrev_b32_e32 v37, 20, v37
	v_and_b32_e32 v36, 0x80000000, v36
	v_lshl_add_u32 v18, v18, 23, v30
	v_or3_b32 v37, v36, v18, v37
.LBB330_51:                             ;   in Loop: Header=BB330_14 Depth=1
	s_or_b64 exec, exec, s[52:53]
.LBB330_52:                             ;   in Loop: Header=BB330_14 Depth=1
	s_or_b64 exec, exec, s[50:51]
.LBB330_53:                             ;   in Loop: Header=BB330_14 Depth=1
	s_or_b64 exec, exec, s[48:49]
	v_mul_f32_e32 v18, s66, v37
	v_and_b32_e32 v36, 0x7f800000, v18
	v_cmp_ne_u32_e64 s[10:11], s64, v36
                                        ; implicit-def: $vgpr36
	s_and_saveexec_b64 s[48:49], s[10:11]
	s_xor_b64 s[10:11], exec, s[48:49]
; %bb.54:                               ;   in Loop: Header=BB330_14 Depth=1
	v_bfe_u32 v36, v18, 16, 1
	v_add3_u32 v36, v18, v36, s65
                                        ; implicit-def: $vgpr18
; %bb.55:                               ;   in Loop: Header=BB330_14 Depth=1
	s_andn2_saveexec_b64 s[48:49], s[10:11]
; %bb.56:                               ;   in Loop: Header=BB330_14 Depth=1
	v_or_b32_e32 v36, 0x10000, v18
	v_cmp_eq_u32_sdwa s[10:11], v18, v22 src0_sel:WORD_0 src1_sel:DWORD
	v_cndmask_b32_e64 v36, v36, v18, s[10:11]
; %bb.57:                               ;   in Loop: Header=BB330_14 Depth=1
	s_or_b64 exec, exec, s[48:49]
	global_load_ubyte v37, v[16:17], off offset:256
	v_mov_b32_e32 v38, 0
	s_waitcnt vmcnt(0)
	v_cmp_ne_u16_e64 s[10:11], 0, v37
	s_and_saveexec_b64 s[48:49], s[10:11]
	s_cbranch_execz .LBB330_63
; %bb.58:                               ;   in Loop: Header=BB330_14 Depth=1
	v_cmp_ne_u16_e64 s[10:11], s62, v37
	v_bfrev_b32_e32 v38, 1
	s_and_saveexec_b64 s[50:51], s[10:11]
	s_cbranch_execz .LBB330_62
; %bb.59:                               ;   in Loop: Header=BB330_14 Depth=1
	v_and_b32_e32 v18, 0xffff, v37
	v_and_b32_e32 v39, 0x7f, v18
	v_cmp_ne_u32_e64 s[10:11], s63, v39
	v_mov_b32_e32 v38, 0x7f800001
	s_and_saveexec_b64 s[52:53], s[10:11]
	s_cbranch_execz .LBB330_61
; %bb.60:                               ;   in Loop: Header=BB330_14 Depth=1
	v_and_b32_e32 v38, 7, v18
	v_ffbh_u32_e32 v40, v38
	v_min_u32_e32 v43, 32, v40
	v_subrev_u32_e32 v40, 28, v43
	v_lshlrev_b64 v[40:41], v40, v[18:19]
	v_lshrrev_b32_e32 v42, 3, v39
	v_sub_u32_e32 v18, 29, v43
	v_and_b32_e32 v40, 7, v40
	v_cmp_gt_u32_e64 s[10:11], 8, v39
	v_cndmask_b32_e64 v18, v42, v18, s[10:11]
	v_cndmask_b32_e64 v38, v38, v40, s[10:11]
	v_lshlrev_b32_e32 v37, 24, v37
	v_lshlrev_b32_e32 v38, 20, v38
	v_and_b32_e32 v37, 0x80000000, v37
	v_lshl_add_u32 v18, v18, 23, v30
	v_or3_b32 v38, v37, v18, v38
.LBB330_61:                             ;   in Loop: Header=BB330_14 Depth=1
	s_or_b64 exec, exec, s[52:53]
.LBB330_62:                             ;   in Loop: Header=BB330_14 Depth=1
	s_or_b64 exec, exec, s[50:51]
.LBB330_63:                             ;   in Loop: Header=BB330_14 Depth=1
	s_or_b64 exec, exec, s[48:49]
	v_mul_f32_e32 v18, s66, v38
	v_and_b32_e32 v37, 0x7f800000, v18
	v_cmp_ne_u32_e64 s[10:11], s64, v37
                                        ; implicit-def: $vgpr37
	s_and_saveexec_b64 s[48:49], s[10:11]
	s_xor_b64 s[10:11], exec, s[48:49]
; %bb.64:                               ;   in Loop: Header=BB330_14 Depth=1
	v_bfe_u32 v37, v18, 16, 1
	v_add3_u32 v37, v18, v37, s65
                                        ; implicit-def: $vgpr18
; %bb.65:                               ;   in Loop: Header=BB330_14 Depth=1
	s_andn2_saveexec_b64 s[48:49], s[10:11]
; %bb.66:                               ;   in Loop: Header=BB330_14 Depth=1
	v_or_b32_e32 v37, 0x10000, v18
	v_cmp_eq_u32_sdwa s[10:11], v18, v22 src0_sel:WORD_0 src1_sel:DWORD
	v_cndmask_b32_e64 v37, v37, v18, s[10:11]
; %bb.67:                               ;   in Loop: Header=BB330_14 Depth=1
	s_or_b64 exec, exec, s[48:49]
	global_load_ubyte v38, v[16:17], off offset:264
	v_mov_b32_e32 v39, 0
	s_waitcnt vmcnt(0)
	v_cmp_ne_u16_e64 s[10:11], 0, v38
	s_and_saveexec_b64 s[48:49], s[10:11]
	s_cbranch_execz .LBB330_73
; %bb.68:                               ;   in Loop: Header=BB330_14 Depth=1
	v_cmp_ne_u16_e64 s[10:11], s62, v38
	v_bfrev_b32_e32 v39, 1
	s_and_saveexec_b64 s[50:51], s[10:11]
	s_cbranch_execz .LBB330_72
; %bb.69:                               ;   in Loop: Header=BB330_14 Depth=1
	v_and_b32_e32 v18, 0xffff, v38
	v_and_b32_e32 v40, 0x7f, v18
	v_cmp_ne_u32_e64 s[10:11], s63, v40
	v_mov_b32_e32 v39, 0x7f800001
	s_and_saveexec_b64 s[52:53], s[10:11]
	s_cbranch_execz .LBB330_71
; %bb.70:                               ;   in Loop: Header=BB330_14 Depth=1
	v_and_b32_e32 v39, 7, v18
	v_ffbh_u32_e32 v42, v39
	v_min_u32_e32 v44, 32, v42
	v_subrev_u32_e32 v42, 28, v44
	v_lshlrev_b64 v[42:43], v42, v[18:19]
	v_lshrrev_b32_e32 v41, 3, v40
	v_sub_u32_e32 v18, 29, v44
	v_and_b32_e32 v42, 7, v42
	v_cmp_gt_u32_e64 s[10:11], 8, v40
	v_cndmask_b32_e64 v18, v41, v18, s[10:11]
	v_cndmask_b32_e64 v39, v39, v42, s[10:11]
	v_lshlrev_b32_e32 v38, 24, v38
	v_lshlrev_b32_e32 v39, 20, v39
	v_and_b32_e32 v38, 0x80000000, v38
	v_lshl_add_u32 v18, v18, 23, v30
	v_or3_b32 v39, v38, v18, v39
.LBB330_71:                             ;   in Loop: Header=BB330_14 Depth=1
	s_or_b64 exec, exec, s[52:53]
.LBB330_72:                             ;   in Loop: Header=BB330_14 Depth=1
	s_or_b64 exec, exec, s[50:51]
.LBB330_73:                             ;   in Loop: Header=BB330_14 Depth=1
	s_or_b64 exec, exec, s[48:49]
	v_mul_f32_e32 v18, s66, v39
	v_and_b32_e32 v38, 0x7f800000, v18
	v_cmp_ne_u32_e64 s[10:11], s64, v38
                                        ; implicit-def: $vgpr38
	s_and_saveexec_b64 s[48:49], s[10:11]
	s_xor_b64 s[10:11], exec, s[48:49]
; %bb.74:                               ;   in Loop: Header=BB330_14 Depth=1
	v_bfe_u32 v38, v18, 16, 1
	v_add3_u32 v38, v18, v38, s65
                                        ; implicit-def: $vgpr18
; %bb.75:                               ;   in Loop: Header=BB330_14 Depth=1
	s_andn2_saveexec_b64 s[48:49], s[10:11]
; %bb.76:                               ;   in Loop: Header=BB330_14 Depth=1
	v_or_b32_e32 v38, 0x10000, v18
	v_cmp_eq_u32_sdwa s[10:11], v18, v22 src0_sel:WORD_0 src1_sel:DWORD
	v_cndmask_b32_e64 v38, v38, v18, s[10:11]
; %bb.77:                               ;   in Loop: Header=BB330_14 Depth=1
	s_or_b64 exec, exec, s[48:49]
	global_load_ubyte v39, v[16:17], off offset:384
	v_mov_b32_e32 v40, 0
	s_waitcnt vmcnt(0)
	v_cmp_ne_u16_e64 s[10:11], 0, v39
	s_and_saveexec_b64 s[48:49], s[10:11]
	s_cbranch_execz .LBB330_83
; %bb.78:                               ;   in Loop: Header=BB330_14 Depth=1
	v_cmp_ne_u16_e64 s[10:11], s62, v39
	v_bfrev_b32_e32 v40, 1
	s_and_saveexec_b64 s[50:51], s[10:11]
	s_cbranch_execz .LBB330_82
; %bb.79:                               ;   in Loop: Header=BB330_14 Depth=1
	v_and_b32_e32 v18, 0xffff, v39
	v_and_b32_e32 v41, 0x7f, v18
	v_cmp_ne_u32_e64 s[10:11], s63, v41
	v_mov_b32_e32 v40, 0x7f800001
	s_and_saveexec_b64 s[52:53], s[10:11]
	s_cbranch_execz .LBB330_81
; %bb.80:                               ;   in Loop: Header=BB330_14 Depth=1
	v_and_b32_e32 v40, 7, v18
	v_ffbh_u32_e32 v42, v40
	v_min_u32_e32 v45, 32, v42
	v_subrev_u32_e32 v42, 28, v45
	v_lshlrev_b64 v[42:43], v42, v[18:19]
	v_lshrrev_b32_e32 v44, 3, v41
	v_sub_u32_e32 v18, 29, v45
	v_and_b32_e32 v42, 7, v42
	v_cmp_gt_u32_e64 s[10:11], 8, v41
	v_cndmask_b32_e64 v18, v44, v18, s[10:11]
	v_cndmask_b32_e64 v40, v40, v42, s[10:11]
	v_lshlrev_b32_e32 v39, 24, v39
	v_lshlrev_b32_e32 v40, 20, v40
	v_and_b32_e32 v39, 0x80000000, v39
	v_lshl_add_u32 v18, v18, 23, v30
	v_or3_b32 v40, v39, v18, v40
.LBB330_81:                             ;   in Loop: Header=BB330_14 Depth=1
	s_or_b64 exec, exec, s[52:53]
.LBB330_82:                             ;   in Loop: Header=BB330_14 Depth=1
	s_or_b64 exec, exec, s[50:51]
.LBB330_83:                             ;   in Loop: Header=BB330_14 Depth=1
	s_or_b64 exec, exec, s[48:49]
	v_mul_f32_e32 v18, s66, v40
	v_and_b32_e32 v39, 0x7f800000, v18
	v_cmp_ne_u32_e64 s[10:11], s64, v39
                                        ; implicit-def: $vgpr39
	s_and_saveexec_b64 s[48:49], s[10:11]
	s_xor_b64 s[10:11], exec, s[48:49]
; %bb.84:                               ;   in Loop: Header=BB330_14 Depth=1
	v_bfe_u32 v39, v18, 16, 1
	v_add3_u32 v39, v18, v39, s65
                                        ; implicit-def: $vgpr18
; %bb.85:                               ;   in Loop: Header=BB330_14 Depth=1
	s_andn2_saveexec_b64 s[48:49], s[10:11]
; %bb.86:                               ;   in Loop: Header=BB330_14 Depth=1
	v_or_b32_e32 v39, 0x10000, v18
	v_cmp_eq_u32_sdwa s[10:11], v18, v22 src0_sel:WORD_0 src1_sel:DWORD
	v_cndmask_b32_e64 v39, v39, v18, s[10:11]
; %bb.87:                               ;   in Loop: Header=BB330_14 Depth=1
	s_or_b64 exec, exec, s[48:49]
	global_load_ubyte v40, v[16:17], off offset:392
	v_mov_b32_e32 v41, 0
	s_waitcnt vmcnt(0)
	v_cmp_ne_u16_e64 s[10:11], 0, v40
	s_and_saveexec_b64 s[48:49], s[10:11]
	s_cbranch_execz .LBB330_93
; %bb.88:                               ;   in Loop: Header=BB330_14 Depth=1
	v_cmp_ne_u16_e64 s[10:11], s62, v40
	v_bfrev_b32_e32 v41, 1
	s_and_saveexec_b64 s[50:51], s[10:11]
	s_cbranch_execz .LBB330_92
; %bb.89:                               ;   in Loop: Header=BB330_14 Depth=1
	v_and_b32_e32 v18, 0xffff, v40
	v_and_b32_e32 v42, 0x7f, v18
	v_cmp_ne_u32_e64 s[10:11], s63, v42
	v_mov_b32_e32 v41, 0x7f800001
	s_and_saveexec_b64 s[52:53], s[10:11]
	s_cbranch_execz .LBB330_91
; %bb.90:                               ;   in Loop: Header=BB330_14 Depth=1
	v_and_b32_e32 v41, 7, v18
	v_ffbh_u32_e32 v44, v41
	v_min_u32_e32 v46, 32, v44
	v_subrev_u32_e32 v44, 28, v46
	v_lshlrev_b64 v[44:45], v44, v[18:19]
	v_lshrrev_b32_e32 v43, 3, v42
	v_sub_u32_e32 v18, 29, v46
	v_and_b32_e32 v44, 7, v44
	v_cmp_gt_u32_e64 s[10:11], 8, v42
	v_cndmask_b32_e64 v18, v43, v18, s[10:11]
	v_cndmask_b32_e64 v41, v41, v44, s[10:11]
	v_lshlrev_b32_e32 v40, 24, v40
	v_lshlrev_b32_e32 v41, 20, v41
	v_and_b32_e32 v40, 0x80000000, v40
	v_lshl_add_u32 v18, v18, 23, v30
	v_or3_b32 v41, v40, v18, v41
.LBB330_91:                             ;   in Loop: Header=BB330_14 Depth=1
	s_or_b64 exec, exec, s[52:53]
.LBB330_92:                             ;   in Loop: Header=BB330_14 Depth=1
	s_or_b64 exec, exec, s[50:51]
.LBB330_93:                             ;   in Loop: Header=BB330_14 Depth=1
	s_or_b64 exec, exec, s[48:49]
	v_mul_f32_e32 v18, s66, v41
	v_and_b32_e32 v40, 0x7f800000, v18
	v_cmp_ne_u32_e64 s[10:11], s64, v40
                                        ; implicit-def: $vgpr40
	s_and_saveexec_b64 s[48:49], s[10:11]
	s_xor_b64 s[10:11], exec, s[48:49]
; %bb.94:                               ;   in Loop: Header=BB330_14 Depth=1
	v_bfe_u32 v40, v18, 16, 1
	v_add3_u32 v40, v18, v40, s65
                                        ; implicit-def: $vgpr18
; %bb.95:                               ;   in Loop: Header=BB330_14 Depth=1
	s_andn2_saveexec_b64 s[48:49], s[10:11]
; %bb.96:                               ;   in Loop: Header=BB330_14 Depth=1
	v_or_b32_e32 v40, 0x10000, v18
	v_cmp_eq_u32_sdwa s[10:11], v18, v22 src0_sel:WORD_0 src1_sel:DWORD
	v_cndmask_b32_e64 v40, v40, v18, s[10:11]
; %bb.97:                               ;   in Loop: Header=BB330_14 Depth=1
	s_or_b64 exec, exec, s[48:49]
	global_load_ubyte v41, v[16:17], off offset:512
	v_mov_b32_e32 v42, 0
	s_waitcnt vmcnt(0)
	v_cmp_ne_u16_e64 s[10:11], 0, v41
	s_and_saveexec_b64 s[48:49], s[10:11]
	s_cbranch_execz .LBB330_103
; %bb.98:                               ;   in Loop: Header=BB330_14 Depth=1
	v_cmp_ne_u16_e64 s[10:11], s62, v41
	v_bfrev_b32_e32 v42, 1
	s_and_saveexec_b64 s[50:51], s[10:11]
	s_cbranch_execz .LBB330_102
; %bb.99:                               ;   in Loop: Header=BB330_14 Depth=1
	v_and_b32_e32 v18, 0xffff, v41
	v_and_b32_e32 v43, 0x7f, v18
	v_cmp_ne_u32_e64 s[10:11], s63, v43
	v_mov_b32_e32 v42, 0x7f800001
	s_and_saveexec_b64 s[52:53], s[10:11]
	s_cbranch_execz .LBB330_101
; %bb.100:                              ;   in Loop: Header=BB330_14 Depth=1
	v_and_b32_e32 v42, 7, v18
	v_ffbh_u32_e32 v44, v42
	v_min_u32_e32 v47, 32, v44
	v_subrev_u32_e32 v44, 28, v47
	v_lshlrev_b64 v[44:45], v44, v[18:19]
	v_lshrrev_b32_e32 v46, 3, v43
	v_sub_u32_e32 v18, 29, v47
	v_and_b32_e32 v44, 7, v44
	v_cmp_gt_u32_e64 s[10:11], 8, v43
	v_cndmask_b32_e64 v18, v46, v18, s[10:11]
	v_cndmask_b32_e64 v42, v42, v44, s[10:11]
	v_lshlrev_b32_e32 v41, 24, v41
	v_lshlrev_b32_e32 v42, 20, v42
	v_and_b32_e32 v41, 0x80000000, v41
	v_lshl_add_u32 v18, v18, 23, v30
	v_or3_b32 v42, v41, v18, v42
.LBB330_101:                            ;   in Loop: Header=BB330_14 Depth=1
	s_or_b64 exec, exec, s[52:53]
.LBB330_102:                            ;   in Loop: Header=BB330_14 Depth=1
	s_or_b64 exec, exec, s[50:51]
.LBB330_103:                            ;   in Loop: Header=BB330_14 Depth=1
	s_or_b64 exec, exec, s[48:49]
	v_mul_f32_e32 v18, s66, v42
	v_and_b32_e32 v41, 0x7f800000, v18
	v_cmp_ne_u32_e64 s[10:11], s64, v41
                                        ; implicit-def: $vgpr41
	s_and_saveexec_b64 s[48:49], s[10:11]
	s_xor_b64 s[10:11], exec, s[48:49]
; %bb.104:                              ;   in Loop: Header=BB330_14 Depth=1
	v_bfe_u32 v41, v18, 16, 1
	v_add3_u32 v41, v18, v41, s65
                                        ; implicit-def: $vgpr18
; %bb.105:                              ;   in Loop: Header=BB330_14 Depth=1
	s_andn2_saveexec_b64 s[48:49], s[10:11]
; %bb.106:                              ;   in Loop: Header=BB330_14 Depth=1
	v_or_b32_e32 v41, 0x10000, v18
	v_cmp_eq_u32_sdwa s[10:11], v18, v22 src0_sel:WORD_0 src1_sel:DWORD
	v_cndmask_b32_e64 v41, v41, v18, s[10:11]
; %bb.107:                              ;   in Loop: Header=BB330_14 Depth=1
	s_or_b64 exec, exec, s[48:49]
	global_load_ubyte v42, v[16:17], off offset:520
	v_mov_b32_e32 v43, 0
	s_waitcnt vmcnt(0)
	v_cmp_ne_u16_e64 s[10:11], 0, v42
	s_and_saveexec_b64 s[48:49], s[10:11]
	s_cbranch_execz .LBB330_113
; %bb.108:                              ;   in Loop: Header=BB330_14 Depth=1
	v_cmp_ne_u16_e64 s[10:11], s62, v42
	v_bfrev_b32_e32 v43, 1
	s_and_saveexec_b64 s[50:51], s[10:11]
	s_cbranch_execz .LBB330_112
; %bb.109:                              ;   in Loop: Header=BB330_14 Depth=1
	v_and_b32_e32 v18, 0xffff, v42
	v_and_b32_e32 v44, 0x7f, v18
	v_cmp_ne_u32_e64 s[10:11], s63, v44
	v_mov_b32_e32 v43, 0x7f800001
	s_and_saveexec_b64 s[52:53], s[10:11]
	s_cbranch_execz .LBB330_111
; %bb.110:                              ;   in Loop: Header=BB330_14 Depth=1
	v_and_b32_e32 v43, 7, v18
	v_ffbh_u32_e32 v46, v43
	v_min_u32_e32 v48, 32, v46
	v_subrev_u32_e32 v46, 28, v48
	v_lshlrev_b64 v[46:47], v46, v[18:19]
	v_lshrrev_b32_e32 v45, 3, v44
	v_sub_u32_e32 v18, 29, v48
	v_and_b32_e32 v46, 7, v46
	v_cmp_gt_u32_e64 s[10:11], 8, v44
	v_cndmask_b32_e64 v18, v45, v18, s[10:11]
	v_cndmask_b32_e64 v43, v43, v46, s[10:11]
	v_lshlrev_b32_e32 v42, 24, v42
	v_lshlrev_b32_e32 v43, 20, v43
	v_and_b32_e32 v42, 0x80000000, v42
	v_lshl_add_u32 v18, v18, 23, v30
	v_or3_b32 v43, v42, v18, v43
.LBB330_111:                            ;   in Loop: Header=BB330_14 Depth=1
	s_or_b64 exec, exec, s[52:53]
.LBB330_112:                            ;   in Loop: Header=BB330_14 Depth=1
	s_or_b64 exec, exec, s[50:51]
.LBB330_113:                            ;   in Loop: Header=BB330_14 Depth=1
	s_or_b64 exec, exec, s[48:49]
	v_mul_f32_e32 v18, s66, v43
	v_and_b32_e32 v42, 0x7f800000, v18
	v_cmp_ne_u32_e64 s[10:11], s64, v42
                                        ; implicit-def: $vgpr42
	s_and_saveexec_b64 s[48:49], s[10:11]
	s_xor_b64 s[10:11], exec, s[48:49]
; %bb.114:                              ;   in Loop: Header=BB330_14 Depth=1
	v_bfe_u32 v42, v18, 16, 1
	v_add3_u32 v42, v18, v42, s65
                                        ; implicit-def: $vgpr18
; %bb.115:                              ;   in Loop: Header=BB330_14 Depth=1
	s_andn2_saveexec_b64 s[48:49], s[10:11]
; %bb.116:                              ;   in Loop: Header=BB330_14 Depth=1
	v_or_b32_e32 v42, 0x10000, v18
	v_cmp_eq_u32_sdwa s[10:11], v18, v22 src0_sel:WORD_0 src1_sel:DWORD
	v_cndmask_b32_e64 v42, v42, v18, s[10:11]
; %bb.117:                              ;   in Loop: Header=BB330_14 Depth=1
	s_or_b64 exec, exec, s[48:49]
	global_load_ubyte v43, v[16:17], off offset:640
	v_mov_b32_e32 v44, 0
	s_waitcnt vmcnt(0)
	v_cmp_ne_u16_e64 s[10:11], 0, v43
	s_and_saveexec_b64 s[48:49], s[10:11]
	s_cbranch_execz .LBB330_123
; %bb.118:                              ;   in Loop: Header=BB330_14 Depth=1
	v_cmp_ne_u16_e64 s[10:11], s62, v43
	v_bfrev_b32_e32 v44, 1
	s_and_saveexec_b64 s[50:51], s[10:11]
	s_cbranch_execz .LBB330_122
; %bb.119:                              ;   in Loop: Header=BB330_14 Depth=1
	v_and_b32_e32 v18, 0xffff, v43
	v_and_b32_e32 v45, 0x7f, v18
	v_cmp_ne_u32_e64 s[10:11], s63, v45
	v_mov_b32_e32 v44, 0x7f800001
	s_and_saveexec_b64 s[52:53], s[10:11]
	s_cbranch_execz .LBB330_121
; %bb.120:                              ;   in Loop: Header=BB330_14 Depth=1
	v_and_b32_e32 v44, 7, v18
	v_ffbh_u32_e32 v46, v44
	v_min_u32_e32 v49, 32, v46
	v_subrev_u32_e32 v46, 28, v49
	v_lshlrev_b64 v[46:47], v46, v[18:19]
	v_lshrrev_b32_e32 v48, 3, v45
	v_sub_u32_e32 v18, 29, v49
	v_and_b32_e32 v46, 7, v46
	v_cmp_gt_u32_e64 s[10:11], 8, v45
	v_cndmask_b32_e64 v18, v48, v18, s[10:11]
	v_cndmask_b32_e64 v44, v44, v46, s[10:11]
	v_lshlrev_b32_e32 v43, 24, v43
	v_lshlrev_b32_e32 v44, 20, v44
	v_and_b32_e32 v43, 0x80000000, v43
	v_lshl_add_u32 v18, v18, 23, v30
	v_or3_b32 v44, v43, v18, v44
.LBB330_121:                            ;   in Loop: Header=BB330_14 Depth=1
	s_or_b64 exec, exec, s[52:53]
.LBB330_122:                            ;   in Loop: Header=BB330_14 Depth=1
	s_or_b64 exec, exec, s[50:51]
.LBB330_123:                            ;   in Loop: Header=BB330_14 Depth=1
	s_or_b64 exec, exec, s[48:49]
	v_mul_f32_e32 v43, s66, v44
	v_and_b32_e32 v18, 0x7f800000, v43
	v_cmp_ne_u32_e64 s[10:11], s64, v18
                                        ; implicit-def: $vgpr18
	s_and_saveexec_b64 s[48:49], s[10:11]
	s_xor_b64 s[10:11], exec, s[48:49]
; %bb.124:                              ;   in Loop: Header=BB330_14 Depth=1
	v_bfe_u32 v18, v43, 16, 1
	v_add3_u32 v18, v43, v18, s65
                                        ; implicit-def: $vgpr43
; %bb.125:                              ;   in Loop: Header=BB330_14 Depth=1
	s_andn2_saveexec_b64 s[48:49], s[10:11]
; %bb.126:                              ;   in Loop: Header=BB330_14 Depth=1
	v_or_b32_e32 v18, 0x10000, v43
	v_cmp_eq_u32_sdwa s[10:11], v43, v22 src0_sel:WORD_0 src1_sel:DWORD
	v_cndmask_b32_e64 v18, v18, v43, s[10:11]
; %bb.127:                              ;   in Loop: Header=BB330_14 Depth=1
	s_or_b64 exec, exec, s[48:49]
	global_load_ubyte v17, v[16:17], off offset:648
	v_mov_b32_e32 v43, 0
	s_waitcnt vmcnt(0)
	v_cmp_ne_u16_e64 s[10:11], 0, v17
	s_and_saveexec_b64 s[48:49], s[10:11]
	s_cbranch_execz .LBB330_133
; %bb.128:                              ;   in Loop: Header=BB330_14 Depth=1
	v_cmp_ne_u16_e64 s[10:11], s62, v17
	v_bfrev_b32_e32 v43, 1
	s_and_saveexec_b64 s[50:51], s[10:11]
	s_cbranch_execz .LBB330_132
; %bb.129:                              ;   in Loop: Header=BB330_14 Depth=1
	v_and_b32_e32 v16, 0xffff, v17
	v_and_b32_e32 v44, 0x7f, v16
	v_cmp_ne_u32_e64 s[10:11], s63, v44
	v_mov_b32_e32 v43, 0x7f800001
	s_and_saveexec_b64 s[52:53], s[10:11]
	s_cbranch_execz .LBB330_131
; %bb.130:                              ;   in Loop: Header=BB330_14 Depth=1
	v_and_b32_e32 v43, 7, v16
	v_ffbh_u32_e32 v46, v43
	v_min_u32_e32 v48, 32, v46
	v_subrev_u32_e32 v46, 28, v48
	v_lshlrev_b64 v[46:47], v46, v[16:17]
	v_lshrrev_b32_e32 v45, 3, v44
	v_sub_u32_e32 v16, 29, v48
	v_and_b32_e32 v46, 7, v46
	v_cmp_gt_u32_e64 s[10:11], 8, v44
	v_cndmask_b32_e64 v16, v45, v16, s[10:11]
	v_cndmask_b32_e64 v43, v43, v46, s[10:11]
	v_lshlrev_b32_e32 v17, 24, v17
	v_lshlrev_b32_e32 v43, 20, v43
	v_and_b32_e32 v17, 0x80000000, v17
	v_lshl_add_u32 v16, v16, 23, v30
	v_or3_b32 v43, v17, v16, v43
.LBB330_131:                            ;   in Loop: Header=BB330_14 Depth=1
	s_or_b64 exec, exec, s[52:53]
.LBB330_132:                            ;   in Loop: Header=BB330_14 Depth=1
	s_or_b64 exec, exec, s[50:51]
.LBB330_133:                            ;   in Loop: Header=BB330_14 Depth=1
	s_or_b64 exec, exec, s[48:49]
	v_mul_f32_e32 v17, s66, v43
	v_and_b32_e32 v16, 0x7f800000, v17
	v_cmp_ne_u32_e64 s[10:11], s64, v16
                                        ; implicit-def: $vgpr16
	s_and_saveexec_b64 s[48:49], s[10:11]
	s_xor_b64 s[10:11], exec, s[48:49]
; %bb.134:                              ;   in Loop: Header=BB330_14 Depth=1
	v_bfe_u32 v16, v17, 16, 1
	v_add3_u32 v16, v17, v16, s65
                                        ; implicit-def: $vgpr17
; %bb.135:                              ;   in Loop: Header=BB330_14 Depth=1
	s_andn2_saveexec_b64 s[48:49], s[10:11]
; %bb.136:                              ;   in Loop: Header=BB330_14 Depth=1
	v_or_b32_e32 v16, 0x10000, v17
	v_cmp_eq_u32_sdwa s[10:11], v17, v22 src0_sel:WORD_0 src1_sel:DWORD
	v_cndmask_b32_e64 v16, v16, v17, s[10:11]
; %bb.137:                              ;   in Loop: Header=BB330_14 Depth=1
	s_or_b64 exec, exec, s[48:49]
	v_and_b32_e32 v17, 0xffff0000, v18
	v_and_b32_e32 v18, 0xffff0000, v42
	;; [unrolled: 1-line block ×3, first 2 shown]
	v_lshlrev_b32_e32 v42, 16, v2
	v_and_b32_e32 v2, 0xffff0000, v2
	v_and_b32_e32 v33, 0xffff0000, v33
	v_mul_f32_e32 v2, v2, v34
	v_and_b32_e32 v35, 0xffff0000, v35
	v_lshlrev_b32_e32 v43, 16, v3
	v_fmac_f32_e32 v2, v42, v33
	v_and_b32_e32 v36, 0xffff0000, v36
	v_and_b32_e32 v3, 0xffff0000, v3
	v_fmac_f32_e32 v2, v43, v35
	v_and_b32_e32 v37, 0xffff0000, v37
	v_lshlrev_b32_e32 v44, 16, v4
	v_fmac_f32_e32 v2, v3, v36
	v_and_b32_e32 v38, 0xffff0000, v38
	v_and_b32_e32 v4, 0xffff0000, v4
	v_fmac_f32_e32 v2, v44, v37
	;; [unrolled: 6-line block ×3, first 2 shown]
	v_and_b32_e32 v41, 0xffff0000, v41
	v_lshlrev_b32_e32 v46, 16, v14
	v_and_b32_e32 v48, 64, v31
	v_fmac_f32_e32 v2, v5, v40
	v_and_b32_e32 v14, 0xffff0000, v14
	v_add_u32_e32 v48, 64, v48
	v_xor_b32_e32 v49, 4, v31
	v_fmac_f32_e32 v2, v46, v41
	v_lshlrev_b32_e32 v47, 16, v15
	v_cmp_lt_i32_e64 s[10:11], v49, v48
	v_fmac_f32_e32 v2, v14, v18
	v_and_b32_e32 v15, 0xffff0000, v15
	v_cndmask_b32_e64 v49, v31, v49, s[10:11]
	v_and_b32_e32 v16, 0xffff0000, v16
	v_fmac_f32_e32 v2, v47, v17
	v_lshlrev_b32_e32 v49, 2, v49
	v_fmac_f32_e32 v2, v15, v16
	ds_bpermute_b32 v3, v49, v2
	v_xor_b32_e32 v4, 2, v31
	v_cmp_lt_i32_e64 s[10:11], v4, v48
	v_cndmask_b32_e64 v4, v31, v4, s[10:11]
	v_lshlrev_b32_e32 v4, 2, v4
	s_waitcnt lgkmcnt(0)
	v_add_f32_e32 v2, v2, v3
	ds_bpermute_b32 v3, v4, v2
	v_xor_b32_e32 v4, 1, v31
	v_cmp_lt_i32_e64 s[10:11], v4, v48
	v_cndmask_b32_e64 v4, v31, v4, s[10:11]
	v_lshlrev_b32_e32 v4, 2, v4
	s_waitcnt lgkmcnt(0)
	v_add_f32_e32 v2, v2, v3
	ds_bpermute_b32 v3, v4, v2
	s_and_saveexec_b64 s[48:49], vcc
	s_cbranch_execz .LBB330_12
; %bb.138:                              ;   in Loop: Header=BB330_14 Depth=1
	v_add_u32_e32 v4, v28, v26
	v_cvt_f32_i32_e32 v4, v4
	s_waitcnt lgkmcnt(0)
	v_add_f32_e32 v2, v2, v3
	v_add_u32_e32 v5, v21, v26
	v_cmp_gt_i32_e64 s[10:11], s33, v5
	v_mul_f32_e32 v3, s7, v4
	v_cndmask_b32_e64 v3, 0, v3, s[4:5]
	v_fmac_f32_e32 v3, s45, v2
	v_cndmask_b32_e64 v2, 0, v3, s[10:11]
	ds_write_b32 v27, v2
	v_max_f32_e32 v2, v25, v25
	v_max_f32_e32 v2, v2, v3
	v_cndmask_b32_e64 v25, v25, v2, s[10:11]
	s_branch .LBB330_12
.LBB330_139:
	s_or_b64 exec, exec, s[46:47]
.LBB330_140:
	s_or_b64 exec, exec, s[22:23]
	v_mbcnt_hi_u32_b32 v2, -1, v20
	s_waitcnt lgkmcnt(0)
	v_and_b32_e32 v3, 64, v2
	v_add_u32_e32 v3, 64, v3
	v_xor_b32_e32 v4, 32, v2
	v_cmp_lt_i32_e32 vcc, v4, v3
	v_cndmask_b32_e32 v4, v2, v4, vcc
	v_lshlrev_b32_e32 v6, 2, v4
	ds_bpermute_b32 v4, v6, v25
	v_xor_b32_e32 v8, 16, v2
	v_max_f32_e32 v5, v25, v25
	v_cmp_lt_i32_e32 vcc, v8, v3
	v_and_b32_e32 v15, 63, v0
	s_waitcnt lgkmcnt(0)
	v_max_f32_e32 v4, v4, v4
	v_max_f32_e32 v4, v5, v4
	v_cndmask_b32_e32 v5, v2, v8, vcc
	v_lshlrev_b32_e32 v9, 2, v5
	ds_bpermute_b32 v5, v9, v4
	v_xor_b32_e32 v8, 8, v2
	v_cmp_lt_i32_e32 vcc, v8, v3
	s_waitcnt lgkmcnt(0)
	v_max_f32_e32 v5, v5, v5
	v_max_f32_e32 v4, v4, v5
	v_cndmask_b32_e32 v5, v2, v8, vcc
	v_lshlrev_b32_e32 v12, 2, v5
	ds_bpermute_b32 v8, v12, v4
	v_cmp_eq_u32_e32 vcc, 0, v15
	v_lshlrev_b32_e32 v5, 2, v7
	s_and_saveexec_b64 s[4:5], vcc
	s_cbranch_execz .LBB330_142
; %bb.141:
	s_waitcnt lgkmcnt(0)
	v_max_f32_e32 v8, v8, v8
	v_max_f32_e32 v4, v4, v4
	;; [unrolled: 1-line block ×3, first 2 shown]
	ds_write_b32 v5, v4 offset:192
.LBB330_142:
	s_or_b64 exec, exec, s[4:5]
	v_cmp_gt_u32_e64 s[4:5], 2, v15
	v_mov_b32_e32 v4, 0xff7fffff
	s_waitcnt lgkmcnt(0)
	v_lshlrev_b32_e32 v8, 2, v15
	s_barrier
	s_and_saveexec_b64 s[10:11], s[4:5]
	s_cbranch_execz .LBB330_144
; %bb.143:
	ds_read_b32 v4, v8 offset:192
.LBB330_144:
	s_or_b64 exec, exec, s[10:11]
	v_xor_b32_e32 v13, 1, v2
	v_cmp_lt_i32_e64 s[10:11], v13, v3
	v_cndmask_b32_e64 v13, v2, v13, s[10:11]
	v_lshlrev_b32_e32 v13, 2, v13
	s_waitcnt lgkmcnt(0)
	ds_bpermute_b32 v14, v13, v4
	v_max_f32_e32 v4, v4, v4
	s_sub_i32 s7, s56, s58
	s_lshl_b32 s7, s7, 3
	s_add_i32 s7, s7, s57
	s_waitcnt lgkmcnt(0)
	v_max_f32_e32 v14, v14, v14
	v_max_f32_e32 v4, v4, v14
	v_lshlrev_b32_e32 v14, 2, v2
	v_and_b32_e32 v14, 0x100, v14
	ds_bpermute_b32 v4, v14, v4
	s_min_i32 s45, s7, s33
	s_sub_i32 s7, s45, s57
	v_cmp_gt_i32_e64 s[10:11], s7, v0
	v_mov_b32_e32 v16, 0
	s_and_saveexec_b64 s[16:17], s[10:11]
	s_cbranch_execz .LBB330_148
; %bb.145:
	v_mov_b32_e32 v16, 0xd0
	v_lshl_add_u32 v17, v0, 2, v16
	s_mov_b64 s[22:23], 0
	v_mov_b32_e32 v16, 0
	v_mov_b32_e32 v18, v0
.LBB330_146:                            ; =>This Inner Loop Header: Depth=1
	ds_read_b32 v20, v17
	v_add_u32_e32 v18, 0x80, v18
	v_cmp_le_i32_e64 s[12:13], s7, v18
	s_or_b64 s[22:23], s[12:13], s[22:23]
	s_waitcnt lgkmcnt(0)
	v_sub_f32_e32 v20, v20, v4
	v_mul_f32_e32 v20, 0x3fb8aa3b, v20
	v_exp_f32_e32 v20, v20
	ds_write_b32 v17, v20
	v_add_f32_e32 v16, v16, v20
	v_add_u32_e32 v17, 0x200, v17
	s_andn2_b64 exec, exec, s[22:23]
	s_cbranch_execnz .LBB330_146
; %bb.147:
	s_or_b64 exec, exec, s[22:23]
.LBB330_148:
	s_or_b64 exec, exec, s[16:17]
	ds_bpermute_b32 v6, v6, v16
	s_waitcnt lgkmcnt(0)
	v_add_f32_e32 v6, v16, v6
	ds_bpermute_b32 v9, v9, v6
	s_waitcnt lgkmcnt(0)
	v_add_f32_e32 v6, v6, v9
	ds_bpermute_b32 v9, v12, v6
	v_xor_b32_e32 v12, 4, v2
	v_cmp_lt_i32_e64 s[12:13], v12, v3
	v_cndmask_b32_e64 v12, v2, v12, s[12:13]
	v_lshlrev_b32_e32 v12, 2, v12
	s_waitcnt lgkmcnt(0)
	v_add_f32_e32 v6, v6, v9
	ds_bpermute_b32 v9, v12, v6
	v_xor_b32_e32 v12, 2, v2
	v_cmp_lt_i32_e64 s[12:13], v12, v3
	v_cndmask_b32_e64 v2, v2, v12, s[12:13]
	v_lshlrev_b32_e32 v2, 2, v2
	s_waitcnt lgkmcnt(0)
	v_add_f32_e32 v3, v6, v9
	ds_bpermute_b32 v2, v2, v3
	s_waitcnt lgkmcnt(0)
	v_add_f32_e32 v2, v3, v2
	ds_bpermute_b32 v3, v13, v2
	s_waitcnt lgkmcnt(0)
	v_add_f32_e32 v2, v2, v3
	s_and_saveexec_b64 s[12:13], vcc
	s_cbranch_execz .LBB330_150
; %bb.149:
	ds_write_b32 v5, v2 offset:200
.LBB330_150:
	s_or_b64 exec, exec, s[12:13]
	s_waitcnt lgkmcnt(0)
	s_barrier
	s_and_saveexec_b64 s[12:13], s[4:5]
	s_cbranch_execz .LBB330_152
; %bb.151:
	ds_read_b32 v2, v8 offset:200
.LBB330_152:
	s_or_b64 exec, exec, s[12:13]
	s_waitcnt lgkmcnt(0)
	ds_bpermute_b32 v3, v13, v2
	s_waitcnt lgkmcnt(0)
	v_add_f32_e32 v2, v2, v3
	ds_bpermute_b32 v5, v14, v2
	s_and_saveexec_b64 s[4:5], s[10:11]
	s_cbranch_execz .LBB330_165
; %bb.153:
	s_waitcnt lgkmcnt(0)
	v_add_f32_e32 v2, 0x358637bd, v5
	v_div_scale_f32 v3, s[10:11], v2, v2, 1.0
	v_rcp_f32_e32 v6, v3
	v_div_scale_f32 v8, vcc, 1.0, v2, 1.0
	s_movk_i32 s10, 0x7f
	v_fma_f32 v9, -v3, v6, 1.0
	v_fmac_f32_e32 v6, v9, v6
	v_mul_f32_e32 v9, v8, v6
	v_fma_f32 v12, -v3, v9, v8
	v_fmac_f32_e32 v9, v12, v6
	v_fma_f32 v3, -v3, v9, v8
	v_div_fmas_f32 v3, v3, v6, v9
	v_div_fixup_f32 v2, v3, v2, 1.0
	v_xad_u32 v3, v0, -1, s45
	v_subrev_u32_e32 v6, s57, v3
	v_cmp_lt_u32_e32 vcc, s10, v6
	s_mov_b64 s[12:13], -1
	v_mov_b32_e32 v3, v0
	s_and_saveexec_b64 s[10:11], vcc
	s_cbranch_execz .LBB330_162
; %bb.154:
	v_lshrrev_b32_e32 v6, 7, v6
	v_add_u32_e32 v9, -1, v6
	v_lshrrev_b32_e32 v8, 1, v9
	v_mov_b32_e32 v3, v2
	v_add_u32_e32 v8, 1, v8
	v_cmp_lt_u32_e32 vcc, 13, v9
	v_mov_b32_e32 v13, 0
	s_and_saveexec_b64 s[12:13], vcc
	s_cbranch_execz .LBB330_158
; %bb.155:
	v_mov_b32_e32 v12, 0xd0
	v_and_b32_e32 v9, -8, v8
	v_lshl_add_u32 v12, v0, 2, v12
	s_mov_b32 s22, 0
	s_mov_b64 s[16:17], 0
.LBB330_156:                            ; =>This Inner Loop Header: Depth=1
	ds_read2st64_b32 v[16:17], v12 offset1:2
	ds_read2st64_b32 v[20:21], v12 offset0:4 offset1:6
	ds_read2st64_b32 v[22:23], v12 offset0:8 offset1:10
	;; [unrolled: 1-line block ×3, first 2 shown]
	v_add_u32_e32 v9, -8, v9
	s_waitcnt lgkmcnt(3)
	v_pk_mul_f32 v[16:17], v[2:3], v[16:17]
	s_waitcnt lgkmcnt(2)
	v_pk_mul_f32 v[20:21], v[2:3], v[20:21]
	ds_write2st64_b32 v12, v16, v17 offset1:2
	ds_write2st64_b32 v12, v20, v21 offset0:4 offset1:6
	ds_read2st64_b32 v[20:21], v12 offset0:16 offset1:18
	s_waitcnt lgkmcnt(4)
	v_pk_mul_f32 v[16:17], v[2:3], v[22:23]
	ds_write2st64_b32 v12, v16, v17 offset0:8 offset1:10
	s_waitcnt lgkmcnt(4)
	v_pk_mul_f32 v[16:17], v[2:3], v[24:25]
	ds_write2st64_b32 v12, v16, v17 offset0:12 offset1:14
	ds_read2st64_b32 v[16:17], v12 offset0:20 offset1:22
	s_waitcnt lgkmcnt(3)
	v_pk_mul_f32 v[20:21], v[2:3], v[20:21]
	ds_read2st64_b32 v[22:23], v12 offset0:24 offset1:26
	ds_write2st64_b32 v12, v20, v21 offset0:16 offset1:18
	ds_read2st64_b32 v[20:21], v12 offset0:28 offset1:30
	s_waitcnt lgkmcnt(3)
	v_pk_mul_f32 v[16:17], v[2:3], v[16:17]
	ds_write2st64_b32 v12, v16, v17 offset0:20 offset1:22
	s_waitcnt lgkmcnt(3)
	v_pk_mul_f32 v[16:17], v[2:3], v[22:23]
	ds_write2st64_b32 v12, v16, v17 offset0:24 offset1:26
	s_waitcnt lgkmcnt(2)
	v_pk_mul_f32 v[16:17], v[2:3], v[20:21]
	s_add_i32 s22, s22, 16
	v_cmp_eq_u32_e32 vcc, 0, v9
	ds_write2st64_b32 v12, v16, v17 offset0:28 offset1:30
	v_add_u32_e32 v12, 0x2000, v12
	s_or_b64 s[16:17], vcc, s[16:17]
	v_mov_b32_e32 v13, s22
	s_andn2_b64 exec, exec, s[16:17]
	s_cbranch_execnz .LBB330_156
; %bb.157:
	s_or_b64 exec, exec, s[16:17]
.LBB330_158:
	s_or_b64 exec, exec, s[12:13]
	v_and_b32_e32 v8, 7, v8
	v_cmp_ne_u32_e32 vcc, 0, v8
	s_and_saveexec_b64 s[12:13], vcc
	s_cbranch_execz .LBB330_161
; %bb.159:
	v_lshlrev_b32_e32 v9, 9, v13
	v_lshlrev_b32_e32 v12, 2, v0
	s_movk_i32 s16, 0xd0
	v_add3_u32 v9, v9, v12, s16
	s_mov_b64 s[16:17], 0
.LBB330_160:                            ; =>This Inner Loop Header: Depth=1
	ds_read2st64_b32 v[12:13], v9 offset1:2
	v_add_u32_e32 v8, -1, v8
	v_cmp_eq_u32_e32 vcc, 0, v8
	s_or_b64 s[16:17], vcc, s[16:17]
	s_waitcnt lgkmcnt(0)
	v_pk_mul_f32 v[12:13], v[2:3], v[12:13]
	ds_write2st64_b32 v9, v12, v13 offset1:2
	v_add_u32_e32 v9, 0x400, v9
	s_andn2_b64 exec, exec, s[16:17]
	s_cbranch_execnz .LBB330_160
.LBB330_161:
	s_or_b64 exec, exec, s[12:13]
	v_add_u32_e32 v6, 1, v6
	v_and_b32_e32 v8, 0x3fffffe, v6
	v_cmp_ne_u32_e32 vcc, v6, v8
	v_lshl_add_u32 v3, v8, 7, v0
	s_orn2_b64 s[12:13], vcc, exec
.LBB330_162:
	s_or_b64 exec, exec, s[10:11]
	s_and_b64 exec, exec, s[12:13]
	s_cbranch_execz .LBB330_165
; %bb.163:
	v_mov_b32_e32 v6, 0xd0
	v_lshl_add_u32 v6, v3, 2, v6
	s_mov_b64 s[10:11], 0
.LBB330_164:                            ; =>This Inner Loop Header: Depth=1
	ds_read_b32 v8, v6
	v_add_u32_e32 v3, 0x80, v3
	v_cmp_le_i32_e32 vcc, s7, v3
	s_or_b64 s[10:11], vcc, s[10:11]
	s_waitcnt lgkmcnt(0)
	v_mul_f32_e32 v8, v2, v8
	ds_write_b32 v6, v8
	v_add_u32_e32 v6, 0x200, v6
	s_andn2_b64 exec, exec, s[10:11]
	s_cbranch_execnz .LBB330_164
.LBB330_165:
	s_or_b64 exec, exec, s[4:5]
	s_mul_i32 s4, s15, s36
	v_cmp_eq_u32_e32 vcc, 0, v0
	s_mul_i32 s10, s4, s9
	s_waitcnt lgkmcnt(0)
	s_barrier
	s_and_saveexec_b64 s[4:5], vcc
	s_cbranch_execz .LBB330_167
; %bb.166:
	s_ashr_i32 s11, s10, 31
	s_lshl_b64 s[12:13], s[10:11], 2
	s_add_u32 s9, s30, s12
	s_mul_i32 s6, s15, s6
	s_addc_u32 s11, s31, s13
	s_ashr_i32 s7, s6, 31
	s_lshl_b64 s[6:7], s[6:7], 2
	s_add_u32 s22, s9, s6
	s_addc_u32 s11, s11, s7
	s_ashr_i32 s9, s8, 31
	s_lshl_b64 s[16:17], s[8:9], 2
	s_add_u32 s22, s22, s16
	s_addc_u32 s23, s11, s17
	s_add_u32 s9, s28, s12
	s_addc_u32 s11, s29, s13
	;; [unrolled: 2-line block ×3, first 2 shown]
	s_add_u32 s6, s6, s16
	v_mov_b32_e32 v2, 0
	s_addc_u32 s7, s7, s17
	global_store_dword v2, v4, s[22:23]
	global_store_dword v2, v5, s[6:7]
.LBB330_167:
	s_or_b64 exec, exec, s[4:5]
	v_mov_b32_e32 v13, 0
	v_mov_b32_e32 v12, v13
	s_and_saveexec_b64 s[6:7], s[2:3]
	s_cbranch_execz .LBB330_435
; %bb.168:
	s_sub_i32 s9, s24, s25
	s_ashr_i32 s2, s27, 31
	s_add_u32 s12, s42, s27
	s_addc_u32 s13, s43, s2
	s_abs_i32 s36, s26
	v_cvt_f32_u32_e32 v2, s36
	v_or_b32_e32 v3, 64, v15
	s_movk_i32 s2, 0x60
	v_cmp_gt_u32_e32 vcc, s2, v3
	v_rcp_iflag_f32_e32 v2, v2
	s_sub_i32 s2, 0, s36
	s_add_i32 s42, s20, -1
	v_lshlrev_b32_e32 v18, 3, v3
	v_mul_f32_e32 v2, 0x4f7ffffe, v2
	v_cvt_u32_f32_e32 v2, v2
	s_mov_b32 s16, -1
	v_mov_b32_e32 v17, 0
	s_mov_b32 s11, s21
	v_mul_lo_u32 v3, s2, v2
	s_lshl_b64 s[2:3], s[40:41], 2
	v_mul_hi_u32 v3, v2, v3
	s_add_u32 s2, s38, s2
	v_add_u32_e32 v22, v2, v3
	v_lshlrev_b64 v[2:3], 2, v[10:11]
	s_addc_u32 s3, s39, s3
	v_mov_b32_e32 v4, s3
	v_add_co_u32_e64 v20, s[2:3], s2, v2
	v_mov_b32_e32 v2, 0xd0
	s_mov_b32 s17, 0xffffff
	v_lshlrev_b32_e32 v14, 3, v15
	v_addc_co_u32_e64 v21, s[2:3], v4, v3, s[2:3]
	v_lshl_add_u32 v11, v7, 5, v2
	s_mov_b64 s[20:21], 0
	s_mov_b32 s38, 0x7f800000
	s_movk_i32 s39, 0x7fff
	s_movk_i32 s40, 0x80
	;; [unrolled: 1-line block ×3, first 2 shown]
	v_bfrev_b32_e32 v23, 60
	v_mov_b32_e32 v12, v17
	v_mov_b32_e32 v13, v17
	s_branch .LBB330_172
.LBB330_169:                            ;   in Loop: Header=BB330_172 Depth=1
	s_or_b64 exec, exec, s[4:5]
	v_and_b32_e32 v26, 0xffff0000, v9
	v_and_b32_e32 v9, 0xffff0000, v8
	;; [unrolled: 1-line block ×5, first 2 shown]
	v_pk_add_f32 v[2:3], v[6:7], v[8:9]
	v_and_b32_e32 v25, 0xffff0000, v24
	v_and_b32_e32 v24, 0xffff0000, v16
	v_and_b32_e32 v27, 0xffff0000, v5
	v_mov_b32_e32 v6, v3
	v_pk_add_f32 v[2:3], v[2:3], v[6:7]
	v_pk_add_f32 v[6:7], v[26:27], v[24:25]
	;; [unrolled: 1-line block ×3, first 2 shown]
	v_mov_b32_e32 v6, v7
	v_pk_add_f32 v[2:3], v[2:3], v[6:7]
	v_mov_b32_e32 v3, v2
	v_pk_add_f32 v[12:13], v[12:13], v[2:3]
.LBB330_170:                            ;   in Loop: Header=BB330_172 Depth=1
	s_or_b64 exec, exec, s[24:25]
	v_mov_b32_e32 v12, v4
.LBB330_171:                            ;   in Loop: Header=BB330_172 Depth=1
	s_or_b64 exec, exec, s[22:23]
	v_add_co_u32_e64 v20, s[2:3], 8, v20
	v_add_u32_e32 v10, 2, v10
	v_addc_co_u32_e64 v21, s[2:3], 0, v21, s[2:3]
	v_cmp_le_i32_e64 s[2:3], s56, v10
	v_add_u32_e32 v19, 16, v19
	s_or_b64 s[20:21], s[2:3], s[20:21]
	v_add_u32_e32 v11, 64, v11
	s_andn2_b64 exec, exec, s[20:21]
	s_cbranch_execz .LBB330_434
.LBB330_172:                            ; =>This Inner Loop Header: Depth=1
	v_sub_u32_e32 v3, 0, v19
	v_max_i32_e32 v3, v19, v3
	v_mul_hi_u32 v4, v3, s54
	v_mul_lo_u32 v5, v4, s37
	v_sub_u32_e32 v3, v3, v5
	v_add_u32_e32 v5, 1, v4
	v_cmp_le_u32_e64 s[2:3], s37, v3
	v_cndmask_b32_e64 v4, v4, v5, s[2:3]
	v_subrev_u32_e32 v5, s37, v3
	v_cndmask_b32_e64 v3, v3, v5, s[2:3]
	v_ashrrev_i32_e32 v2, 31, v19
	v_add_u32_e32 v5, 1, v4
	v_cmp_le_u32_e64 s[2:3], s37, v3
	v_xor_b32_e32 v2, s55, v2
	v_cndmask_b32_e64 v3, v4, v5, s[2:3]
	v_xor_b32_e32 v3, v3, v2
	v_sub_u32_e32 v2, v3, v2
	v_add_u32_e32 v3, s44, v2
	v_sub_u32_e32 v5, 0, v3
	v_ashrrev_i32_e32 v4, 31, v3
	v_max_i32_e32 v3, v3, v5
	v_mul_hi_u32 v5, v3, v22
	v_mul_lo_u32 v5, v5, s36
	v_sub_u32_e32 v3, v3, v5
	v_subrev_u32_e32 v5, s36, v3
	v_cmp_le_u32_e64 s[2:3], s36, v3
	v_cndmask_b32_e64 v3, v3, v5, s[2:3]
	v_subrev_u32_e32 v5, s36, v3
	v_cmp_le_u32_e64 s[2:3], s36, v3
	v_cndmask_b32_e64 v3, v3, v5, s[2:3]
	v_xor_b32_e32 v3, v3, v4
	v_sub_u32_e32 v3, v3, v4
	v_cmp_eq_u32_e64 s[2:3], 0, v3
	v_cmp_lt_i32_e64 s[4:5], s9, v2
	s_or_b64 s[2:3], s[2:3], s[4:5]
	s_and_saveexec_b64 s[22:23], s[2:3]
	s_cbranch_execz .LBB330_171
; %bb.173:                              ;   in Loop: Header=BB330_172 Depth=1
	global_load_dword v16, v[20:21], off
	ds_read2_b64 v[6:9], v11 offset1:1
	ds_read2_b64 v[2:5], v11 offset0:2 offset1:3
                                        ; implicit-def: $vgpr31
	s_waitcnt lgkmcnt(1)
	v_and_b32_e32 v24, 0x7f800000, v6
	v_cmp_ne_u32_e64 s[2:3], s38, v24
	s_and_saveexec_b64 s[4:5], s[2:3]
	s_xor_b64 s[2:3], exec, s[4:5]
; %bb.174:                              ;   in Loop: Header=BB330_172 Depth=1
	v_bfe_u32 v24, v6, 16, 1
	v_add3_u32 v31, v6, v24, s39
; %bb.175:                              ;   in Loop: Header=BB330_172 Depth=1
	s_andn2_saveexec_b64 s[4:5], s[2:3]
; %bb.176:                              ;   in Loop: Header=BB330_172 Depth=1
	v_or_b32_e32 v24, 0x10000, v6
	v_cmp_eq_u32_sdwa s[2:3], v6, v17 src0_sel:WORD_0 src1_sel:DWORD
	v_cndmask_b32_e64 v31, v24, v6, s[2:3]
; %bb.177:                              ;   in Loop: Header=BB330_172 Depth=1
	s_or_b64 exec, exec, s[4:5]
	v_and_b32_e32 v6, 0x7f800000, v7
	v_cmp_ne_u32_e64 s[2:3], s38, v6
                                        ; implicit-def: $vgpr30
	s_and_saveexec_b64 s[4:5], s[2:3]
	s_xor_b64 s[2:3], exec, s[4:5]
; %bb.178:                              ;   in Loop: Header=BB330_172 Depth=1
	v_bfe_u32 v6, v7, 16, 1
	v_add3_u32 v30, v7, v6, s39
; %bb.179:                              ;   in Loop: Header=BB330_172 Depth=1
	s_andn2_saveexec_b64 s[4:5], s[2:3]
; %bb.180:                              ;   in Loop: Header=BB330_172 Depth=1
	v_or_b32_e32 v6, 0x10000, v7
	v_cmp_eq_u32_sdwa s[2:3], v7, v17 src0_sel:WORD_0 src1_sel:DWORD
	v_cndmask_b32_e64 v30, v6, v7, s[2:3]
; %bb.181:                              ;   in Loop: Header=BB330_172 Depth=1
	s_or_b64 exec, exec, s[4:5]
	v_and_b32_e32 v6, 0x7f800000, v8
	v_cmp_ne_u32_e64 s[2:3], s38, v6
                                        ; implicit-def: $vgpr29
	s_and_saveexec_b64 s[4:5], s[2:3]
	s_xor_b64 s[2:3], exec, s[4:5]
; %bb.182:                              ;   in Loop: Header=BB330_172 Depth=1
	v_bfe_u32 v6, v8, 16, 1
	v_add3_u32 v29, v8, v6, s39
; %bb.183:                              ;   in Loop: Header=BB330_172 Depth=1
	s_andn2_saveexec_b64 s[4:5], s[2:3]
; %bb.184:                              ;   in Loop: Header=BB330_172 Depth=1
	v_or_b32_e32 v6, 0x10000, v8
	v_cmp_eq_u32_sdwa s[2:3], v8, v17 src0_sel:WORD_0 src1_sel:DWORD
	v_cndmask_b32_e64 v29, v6, v8, s[2:3]
; %bb.185:                              ;   in Loop: Header=BB330_172 Depth=1
	s_or_b64 exec, exec, s[4:5]
	v_and_b32_e32 v6, 0x7f800000, v9
	v_cmp_ne_u32_e64 s[2:3], s38, v6
                                        ; implicit-def: $vgpr24
	s_and_saveexec_b64 s[4:5], s[2:3]
	s_xor_b64 s[2:3], exec, s[4:5]
; %bb.186:                              ;   in Loop: Header=BB330_172 Depth=1
	v_bfe_u32 v6, v9, 16, 1
	v_add3_u32 v24, v9, v6, s39
                                        ; implicit-def: $vgpr6_vgpr7_vgpr8_vgpr9
; %bb.187:                              ;   in Loop: Header=BB330_172 Depth=1
	s_andn2_saveexec_b64 s[4:5], s[2:3]
; %bb.188:                              ;   in Loop: Header=BB330_172 Depth=1
	v_or_b32_e32 v6, 0x10000, v9
	v_cmp_eq_u32_sdwa s[2:3], v9, v17 src0_sel:WORD_0 src1_sel:DWORD
	v_cndmask_b32_e64 v24, v6, v9, s[2:3]
; %bb.189:                              ;   in Loop: Header=BB330_172 Depth=1
	s_or_b64 exec, exec, s[4:5]
	s_waitcnt lgkmcnt(0)
	v_and_b32_e32 v6, 0x7f800000, v2
	v_cmp_ne_u32_e64 s[2:3], s38, v6
                                        ; implicit-def: $vgpr25
	s_and_saveexec_b64 s[4:5], s[2:3]
	s_xor_b64 s[2:3], exec, s[4:5]
; %bb.190:                              ;   in Loop: Header=BB330_172 Depth=1
	v_bfe_u32 v6, v2, 16, 1
	v_add3_u32 v25, v2, v6, s39
; %bb.191:                              ;   in Loop: Header=BB330_172 Depth=1
	s_andn2_saveexec_b64 s[4:5], s[2:3]
; %bb.192:                              ;   in Loop: Header=BB330_172 Depth=1
	v_or_b32_e32 v6, 0x10000, v2
	v_cmp_eq_u32_sdwa s[2:3], v2, v17 src0_sel:WORD_0 src1_sel:DWORD
	v_cndmask_b32_e64 v25, v6, v2, s[2:3]
; %bb.193:                              ;   in Loop: Header=BB330_172 Depth=1
	s_or_b64 exec, exec, s[4:5]
	v_and_b32_e32 v2, 0x7f800000, v3
	v_cmp_ne_u32_e64 s[2:3], s38, v2
                                        ; implicit-def: $vgpr26
	s_and_saveexec_b64 s[4:5], s[2:3]
	s_xor_b64 s[2:3], exec, s[4:5]
; %bb.194:                              ;   in Loop: Header=BB330_172 Depth=1
	v_bfe_u32 v2, v3, 16, 1
	v_add3_u32 v26, v3, v2, s39
; %bb.195:                              ;   in Loop: Header=BB330_172 Depth=1
	s_andn2_saveexec_b64 s[4:5], s[2:3]
; %bb.196:                              ;   in Loop: Header=BB330_172 Depth=1
	v_or_b32_e32 v2, 0x10000, v3
	v_cmp_eq_u32_sdwa s[2:3], v3, v17 src0_sel:WORD_0 src1_sel:DWORD
	v_cndmask_b32_e64 v26, v2, v3, s[2:3]
; %bb.197:                              ;   in Loop: Header=BB330_172 Depth=1
	s_or_b64 exec, exec, s[4:5]
	v_and_b32_e32 v2, 0x7f800000, v4
	v_cmp_ne_u32_e64 s[2:3], s38, v2
                                        ; implicit-def: $vgpr27
	s_and_saveexec_b64 s[4:5], s[2:3]
	s_xor_b64 s[2:3], exec, s[4:5]
; %bb.198:                              ;   in Loop: Header=BB330_172 Depth=1
	v_bfe_u32 v2, v4, 16, 1
	v_add3_u32 v27, v4, v2, s39
; %bb.199:                              ;   in Loop: Header=BB330_172 Depth=1
	s_andn2_saveexec_b64 s[4:5], s[2:3]
; %bb.200:                              ;   in Loop: Header=BB330_172 Depth=1
	v_or_b32_e32 v2, 0x10000, v4
	v_cmp_eq_u32_sdwa s[2:3], v4, v17 src0_sel:WORD_0 src1_sel:DWORD
	v_cndmask_b32_e64 v27, v2, v4, s[2:3]
; %bb.201:                              ;   in Loop: Header=BB330_172 Depth=1
	s_or_b64 exec, exec, s[4:5]
	v_and_b32_e32 v2, 0x7f800000, v5
	v_cmp_ne_u32_e64 s[2:3], s38, v2
                                        ; implicit-def: $vgpr28
	s_and_saveexec_b64 s[4:5], s[2:3]
	s_xor_b64 s[2:3], exec, s[4:5]
; %bb.202:                              ;   in Loop: Header=BB330_172 Depth=1
	v_bfe_u32 v2, v5, 16, 1
	v_add3_u32 v28, v5, v2, s39
                                        ; implicit-def: $vgpr2_vgpr3_vgpr4_vgpr5
; %bb.203:                              ;   in Loop: Header=BB330_172 Depth=1
	s_andn2_saveexec_b64 s[4:5], s[2:3]
; %bb.204:                              ;   in Loop: Header=BB330_172 Depth=1
	v_or_b32_e32 v2, 0x10000, v5
	v_cmp_eq_u32_sdwa s[2:3], v5, v17 src0_sel:WORD_0 src1_sel:DWORD
	v_cndmask_b32_e64 v28, v2, v5, s[2:3]
; %bb.205:                              ;   in Loop: Header=BB330_172 Depth=1
	s_or_b64 exec, exec, s[4:5]
	v_pk_mov_b32 v[2:3], s[12:13], s[12:13] op_sel:[0,1]
	s_waitcnt vmcnt(0)
	v_mad_i64_i32 v[2:3], s[2:3], v16, s11, v[2:3]
	v_add_co_u32_e64 v4, s[2:3], v2, v14
	v_addc_co_u32_e64 v5, s[2:3], 0, v3, s[2:3]
	global_load_dwordx2 v[4:5], v[4:5], off
	s_load_dword s43, s[18:19], 0x0
	v_mov_b32_e32 v6, 0
	s_waitcnt vmcnt(0)
	v_cmp_ne_u16_sdwa s[2:3], v4, v17 src0_sel:BYTE_0 src1_sel:DWORD
	s_and_saveexec_b64 s[4:5], s[2:3]
	s_cbranch_execz .LBB330_211
; %bb.206:                              ;   in Loop: Header=BB330_172 Depth=1
	v_cmp_ne_u16_sdwa s[2:3], v4, s40 src0_sel:BYTE_0 src1_sel:DWORD
	v_bfrev_b32_e32 v6, 1
	s_and_saveexec_b64 s[24:25], s[2:3]
	s_cbranch_execz .LBB330_210
; %bb.207:                              ;   in Loop: Header=BB330_172 Depth=1
	v_and_b32_e32 v7, 0x7f, v4
	v_cmp_ne_u32_e64 s[2:3], s41, v7
	v_mov_b32_e32 v6, 0x7f800001
	s_and_saveexec_b64 s[26:27], s[2:3]
	s_cbranch_execz .LBB330_209
; %bb.208:                              ;   in Loop: Header=BB330_172 Depth=1
	v_and_b32_e32 v6, 7, v4
	v_ffbh_u32_e32 v6, v6
	v_min_u32_e32 v6, 32, v6
	v_lshrrev_b32_e32 v8, 3, v7
	v_subrev_u32_e32 v9, 28, v6
	v_sub_u32_e32 v6, 29, v6
	v_cmp_gt_u32_e64 s[2:3], 8, v7
	v_cndmask_b32_e64 v8, v8, v6, s[2:3]
	v_cndmask_b32_e64 v6, 0, v9, s[2:3]
	v_lshlrev_b64 v[6:7], v6, v[4:5]
	v_lshlrev_b32_e32 v6, 20, v6
	v_lshlrev_b32_e32 v7, 24, v4
	v_and_b32_e32 v6, 0x700000, v6
	v_and_b32_e32 v7, 0x80000000, v7
	v_lshl_add_u32 v8, v8, 23, v23
	v_or3_b32 v6, v7, v8, v6
.LBB330_209:                            ;   in Loop: Header=BB330_172 Depth=1
	s_or_b64 exec, exec, s[26:27]
.LBB330_210:                            ;   in Loop: Header=BB330_172 Depth=1
	s_or_b64 exec, exec, s[24:25]
.LBB330_211:                            ;   in Loop: Header=BB330_172 Depth=1
	s_or_b64 exec, exec, s[4:5]
	s_waitcnt lgkmcnt(0)
	v_mul_f32_e32 v6, s43, v6
	v_and_b32_e32 v7, 0x7f800000, v6
	v_cmp_ne_u32_e64 s[2:3], s38, v7
                                        ; implicit-def: $vgpr7
	s_and_saveexec_b64 s[4:5], s[2:3]
	s_xor_b64 s[2:3], exec, s[4:5]
; %bb.212:                              ;   in Loop: Header=BB330_172 Depth=1
	v_bfe_u32 v7, v6, 16, 1
	v_add3_u32 v7, v6, v7, s39
                                        ; implicit-def: $vgpr6
; %bb.213:                              ;   in Loop: Header=BB330_172 Depth=1
	s_andn2_saveexec_b64 s[4:5], s[2:3]
; %bb.214:                              ;   in Loop: Header=BB330_172 Depth=1
	v_or_b32_e32 v7, 0x10000, v6
	v_cmp_eq_u32_sdwa s[2:3], v6, v17 src0_sel:WORD_0 src1_sel:DWORD
	v_cndmask_b32_e64 v7, v7, v6, s[2:3]
; %bb.215:                              ;   in Loop: Header=BB330_172 Depth=1
	s_or_b64 exec, exec, s[4:5]
	v_lshrrev_b16_e32 v6, 8, v4
	v_cmp_ne_u16_e64 s[2:3], 0, v6
	v_mov_b32_e32 v8, 0
	s_and_saveexec_b64 s[4:5], s[2:3]
	s_cbranch_execz .LBB330_221
; %bb.216:                              ;   in Loop: Header=BB330_172 Depth=1
	v_cmp_ne_u16_e64 s[2:3], s40, v6
	v_bfrev_b32_e32 v8, 1
	s_and_saveexec_b64 s[24:25], s[2:3]
	s_cbranch_execz .LBB330_220
; %bb.217:                              ;   in Loop: Header=BB330_172 Depth=1
	v_and_b32_e32 v9, 0x7f, v6
	v_cmp_ne_u32_e64 s[2:3], s41, v9
	v_mov_b32_e32 v8, 0x7f800001
	s_and_saveexec_b64 s[26:27], s[2:3]
	s_cbranch_execz .LBB330_219
; %bb.218:                              ;   in Loop: Header=BB330_172 Depth=1
	v_and_b32_e32 v8, 7, v6
	v_ffbh_u32_e32 v32, v8
	v_min_u32_e32 v34, 32, v32
	v_subrev_u32_e32 v32, 28, v34
	v_lshlrev_b64 v[32:33], v32, v[6:7]
	v_lshrrev_b32_e32 v16, 3, v9
	v_sub_u32_e32 v6, 29, v34
	v_and_b32_e32 v32, 7, v32
	v_cmp_gt_u32_e64 s[2:3], 8, v9
	v_cndmask_b32_e64 v6, v16, v6, s[2:3]
	v_cndmask_b32_e64 v8, v8, v32, s[2:3]
	v_lshlrev_b32_e32 v9, 16, v4
	v_lshlrev_b32_e32 v8, 20, v8
	v_and_b32_e32 v9, 0x80000000, v9
	v_lshl_add_u32 v6, v6, 23, v23
	v_or3_b32 v8, v9, v6, v8
.LBB330_219:                            ;   in Loop: Header=BB330_172 Depth=1
	s_or_b64 exec, exec, s[26:27]
.LBB330_220:                            ;   in Loop: Header=BB330_172 Depth=1
	s_or_b64 exec, exec, s[24:25]
.LBB330_221:                            ;   in Loop: Header=BB330_172 Depth=1
	s_or_b64 exec, exec, s[4:5]
	v_mul_f32_e32 v6, s43, v8
	v_and_b32_e32 v8, 0x7f800000, v6
	v_cmp_ne_u32_e64 s[2:3], s38, v8
                                        ; implicit-def: $vgpr8
	s_and_saveexec_b64 s[4:5], s[2:3]
	s_xor_b64 s[2:3], exec, s[4:5]
; %bb.222:                              ;   in Loop: Header=BB330_172 Depth=1
	v_bfe_u32 v8, v6, 16, 1
	v_add3_u32 v8, v6, v8, s39
                                        ; implicit-def: $vgpr6
; %bb.223:                              ;   in Loop: Header=BB330_172 Depth=1
	s_andn2_saveexec_b64 s[4:5], s[2:3]
; %bb.224:                              ;   in Loop: Header=BB330_172 Depth=1
	v_or_b32_e32 v8, 0x10000, v6
	v_cmp_eq_u32_sdwa s[2:3], v6, v17 src0_sel:WORD_0 src1_sel:DWORD
	v_cndmask_b32_e64 v8, v8, v6, s[2:3]
; %bb.225:                              ;   in Loop: Header=BB330_172 Depth=1
	s_or_b64 exec, exec, s[4:5]
	v_lshrrev_b32_e32 v6, 16, v4
	v_cmp_ne_u16_sdwa s[2:3], v6, v17 src0_sel:BYTE_0 src1_sel:DWORD
	v_mov_b32_e32 v9, 0
	s_and_saveexec_b64 s[4:5], s[2:3]
	s_cbranch_execz .LBB330_231
; %bb.226:                              ;   in Loop: Header=BB330_172 Depth=1
	v_cmp_ne_u16_sdwa s[2:3], v6, s40 src0_sel:BYTE_0 src1_sel:DWORD
	v_bfrev_b32_e32 v9, 1
	s_and_saveexec_b64 s[24:25], s[2:3]
	s_cbranch_execz .LBB330_230
; %bb.227:                              ;   in Loop: Header=BB330_172 Depth=1
	v_bfe_u32 v16, v4, 16, 7
	v_cmp_ne_u32_e64 s[2:3], s41, v16
	v_mov_b32_e32 v9, 0x7f800001
	s_and_saveexec_b64 s[26:27], s[2:3]
	s_cbranch_execz .LBB330_229
; %bb.228:                              ;   in Loop: Header=BB330_172 Depth=1
	v_and_b32_e32 v9, 7, v6
	v_ffbh_u32_e32 v32, v9
	v_min_u32_e32 v35, 32, v32
	v_subrev_u32_e32 v32, 28, v35
	v_lshlrev_b64 v[32:33], v32, v[6:7]
	v_lshrrev_b32_e32 v34, 3, v16
	v_sub_u32_e32 v33, 29, v35
	v_and_b32_e32 v32, 7, v32
	v_cmp_gt_u32_e64 s[2:3], 8, v16
	v_cndmask_b32_e64 v16, v34, v33, s[2:3]
	v_cndmask_b32_e64 v9, v9, v32, s[2:3]
	v_lshlrev_b32_e32 v6, 24, v6
	v_lshlrev_b32_e32 v9, 20, v9
	v_and_b32_e32 v6, 0x80000000, v6
	v_lshl_add_u32 v16, v16, 23, v23
	v_or3_b32 v9, v6, v16, v9
.LBB330_229:                            ;   in Loop: Header=BB330_172 Depth=1
	s_or_b64 exec, exec, s[26:27]
.LBB330_230:                            ;   in Loop: Header=BB330_172 Depth=1
	s_or_b64 exec, exec, s[24:25]
.LBB330_231:                            ;   in Loop: Header=BB330_172 Depth=1
	s_or_b64 exec, exec, s[4:5]
	v_mul_f32_e32 v6, s43, v9
	v_and_b32_e32 v9, 0x7f800000, v6
	v_cmp_ne_u32_e64 s[2:3], s38, v9
                                        ; implicit-def: $vgpr9
	s_and_saveexec_b64 s[4:5], s[2:3]
	s_xor_b64 s[2:3], exec, s[4:5]
; %bb.232:                              ;   in Loop: Header=BB330_172 Depth=1
	v_bfe_u32 v9, v6, 16, 1
	v_add3_u32 v9, v6, v9, s39
                                        ; implicit-def: $vgpr6
; %bb.233:                              ;   in Loop: Header=BB330_172 Depth=1
	s_andn2_saveexec_b64 s[4:5], s[2:3]
; %bb.234:                              ;   in Loop: Header=BB330_172 Depth=1
	v_or_b32_e32 v9, 0x10000, v6
	v_cmp_eq_u32_sdwa s[2:3], v6, v17 src0_sel:WORD_0 src1_sel:DWORD
	v_cndmask_b32_e64 v9, v9, v6, s[2:3]
; %bb.235:                              ;   in Loop: Header=BB330_172 Depth=1
	s_or_b64 exec, exec, s[4:5]
	v_cmp_lt_u32_e64 s[2:3], s17, v4
	v_mov_b32_e32 v16, 0
	s_and_saveexec_b64 s[4:5], s[2:3]
	s_cbranch_execz .LBB330_241
; %bb.236:                              ;   in Loop: Header=BB330_172 Depth=1
	v_lshrrev_b32_e32 v6, 24, v4
	v_cmp_ne_u32_e64 s[2:3], s40, v6
	v_bfrev_b32_e32 v16, 1
	s_and_saveexec_b64 s[24:25], s[2:3]
	s_cbranch_execz .LBB330_240
; %bb.237:                              ;   in Loop: Header=BB330_172 Depth=1
	v_bfe_u32 v32, v4, 24, 7
	v_cmp_ne_u32_e64 s[2:3], s41, v32
	v_mov_b32_e32 v16, 0x7f800001
	s_and_saveexec_b64 s[26:27], s[2:3]
	s_cbranch_execz .LBB330_239
; %bb.238:                              ;   in Loop: Header=BB330_172 Depth=1
	v_and_b32_e32 v16, 7, v6
	v_ffbh_u32_e32 v34, v16
	v_min_u32_e32 v36, 32, v34
	v_subrev_u32_e32 v34, 28, v36
	v_lshlrev_b64 v[34:35], v34, v[6:7]
	v_lshrrev_b32_e32 v33, 3, v32
	v_sub_u32_e32 v35, 29, v36
	v_and_b32_e32 v34, 7, v34
	v_cmp_gt_u32_e64 s[2:3], 8, v32
	v_cndmask_b32_e64 v32, v33, v35, s[2:3]
	v_cndmask_b32_e64 v16, v16, v34, s[2:3]
	v_lshlrev_b32_e32 v6, 24, v6
	v_lshlrev_b32_e32 v16, 20, v16
	v_and_b32_e32 v6, 0x80000000, v6
	v_lshl_add_u32 v32, v32, 23, v23
	v_or3_b32 v16, v6, v32, v16
.LBB330_239:                            ;   in Loop: Header=BB330_172 Depth=1
	s_or_b64 exec, exec, s[26:27]
.LBB330_240:                            ;   in Loop: Header=BB330_172 Depth=1
	s_or_b64 exec, exec, s[24:25]
.LBB330_241:                            ;   in Loop: Header=BB330_172 Depth=1
	s_or_b64 exec, exec, s[4:5]
	v_mul_f32_e32 v6, s43, v16
	v_and_b32_e32 v16, 0x7f800000, v6
	v_cmp_ne_u32_e64 s[2:3], s38, v16
                                        ; implicit-def: $vgpr32
	s_and_saveexec_b64 s[4:5], s[2:3]
	s_xor_b64 s[2:3], exec, s[4:5]
; %bb.242:                              ;   in Loop: Header=BB330_172 Depth=1
	v_bfe_u32 v16, v6, 16, 1
	v_add3_u32 v32, v6, v16, s39
                                        ; implicit-def: $vgpr6
; %bb.243:                              ;   in Loop: Header=BB330_172 Depth=1
	s_andn2_saveexec_b64 s[4:5], s[2:3]
; %bb.244:                              ;   in Loop: Header=BB330_172 Depth=1
	v_or_b32_e32 v16, 0x10000, v6
	v_cmp_eq_u32_sdwa s[2:3], v6, v17 src0_sel:WORD_0 src1_sel:DWORD
	v_cndmask_b32_e64 v32, v16, v6, s[2:3]
; %bb.245:                              ;   in Loop: Header=BB330_172 Depth=1
	s_or_b64 exec, exec, s[4:5]
	v_mov_b32_e32 v16, v5
	v_cmp_ne_u16_sdwa s[2:3], v5, v17 src0_sel:BYTE_0 src1_sel:DWORD
	v_mov_b32_e32 v6, 0
	s_and_saveexec_b64 s[4:5], s[2:3]
	s_cbranch_execz .LBB330_251
; %bb.246:                              ;   in Loop: Header=BB330_172 Depth=1
	v_cmp_ne_u16_sdwa s[2:3], v5, s40 src0_sel:BYTE_0 src1_sel:DWORD
	v_bfrev_b32_e32 v6, 1
	s_and_saveexec_b64 s[24:25], s[2:3]
	s_cbranch_execz .LBB330_250
; %bb.247:                              ;   in Loop: Header=BB330_172 Depth=1
	v_and_b32_e32 v33, 0x7f, v5
	v_cmp_ne_u32_e64 s[2:3], s41, v33
	v_mov_b32_e32 v6, 0x7f800001
	s_and_saveexec_b64 s[26:27], s[2:3]
	s_cbranch_execz .LBB330_249
; %bb.248:                              ;   in Loop: Header=BB330_172 Depth=1
	v_and_b32_e32 v6, 7, v5
	v_ffbh_u32_e32 v6, v6
	v_min_u32_e32 v6, 32, v6
	v_subrev_u32_e32 v35, 28, v6
	v_cmp_gt_u32_e64 s[2:3], 8, v33
	v_lshrrev_b32_e32 v34, 3, v33
	v_sub_u32_e32 v6, 29, v6
	v_cndmask_b32_e64 v33, 0, v35, s[2:3]
	v_cndmask_b32_e64 v6, v34, v6, s[2:3]
	v_lshlrev_b64 v[34:35], v33, v[16:17]
	v_lshlrev_b32_e32 v33, 20, v34
	v_lshlrev_b32_e32 v34, 24, v16
	v_and_b32_e32 v33, 0x700000, v33
	v_and_b32_e32 v34, 0x80000000, v34
	v_lshl_add_u32 v6, v6, 23, v23
	v_or3_b32 v6, v34, v6, v33
.LBB330_249:                            ;   in Loop: Header=BB330_172 Depth=1
	s_or_b64 exec, exec, s[26:27]
.LBB330_250:                            ;   in Loop: Header=BB330_172 Depth=1
	s_or_b64 exec, exec, s[24:25]
.LBB330_251:                            ;   in Loop: Header=BB330_172 Depth=1
	s_or_b64 exec, exec, s[4:5]
	v_mul_f32_e32 v6, s43, v6
	v_and_b32_e32 v33, 0x7f800000, v6
	v_cmp_ne_u32_e64 s[2:3], s38, v33
                                        ; implicit-def: $vgpr33
	s_and_saveexec_b64 s[4:5], s[2:3]
	s_xor_b64 s[2:3], exec, s[4:5]
; %bb.252:                              ;   in Loop: Header=BB330_172 Depth=1
	v_bfe_u32 v33, v6, 16, 1
	v_add3_u32 v33, v6, v33, s39
                                        ; implicit-def: $vgpr6
; %bb.253:                              ;   in Loop: Header=BB330_172 Depth=1
	s_andn2_saveexec_b64 s[4:5], s[2:3]
; %bb.254:                              ;   in Loop: Header=BB330_172 Depth=1
	v_or_b32_e32 v33, 0x10000, v6
	v_cmp_eq_u32_sdwa s[2:3], v6, v17 src0_sel:WORD_0 src1_sel:DWORD
	v_cndmask_b32_e64 v33, v33, v6, s[2:3]
; %bb.255:                              ;   in Loop: Header=BB330_172 Depth=1
	s_or_b64 exec, exec, s[4:5]
	v_lshrrev_b16_e32 v6, 8, v16
	v_cmp_ne_u16_e64 s[2:3], 0, v6
	v_mov_b32_e32 v34, 0
	s_and_saveexec_b64 s[4:5], s[2:3]
	s_cbranch_execz .LBB330_261
; %bb.256:                              ;   in Loop: Header=BB330_172 Depth=1
	v_cmp_ne_u16_e64 s[2:3], s40, v6
	v_bfrev_b32_e32 v34, 1
	s_and_saveexec_b64 s[24:25], s[2:3]
	s_cbranch_execz .LBB330_260
; %bb.257:                              ;   in Loop: Header=BB330_172 Depth=1
	v_and_b32_e32 v35, 0x7f, v6
	v_cmp_ne_u32_e64 s[2:3], s41, v35
	v_mov_b32_e32 v34, 0x7f800001
	s_and_saveexec_b64 s[26:27], s[2:3]
	s_cbranch_execz .LBB330_259
; %bb.258:                              ;   in Loop: Header=BB330_172 Depth=1
	v_and_b32_e32 v34, 7, v6
	v_ffbh_u32_e32 v36, v34
	v_min_u32_e32 v39, 32, v36
	v_subrev_u32_e32 v36, 28, v39
	v_lshlrev_b64 v[36:37], v36, v[6:7]
	v_lshrrev_b32_e32 v38, 3, v35
	v_sub_u32_e32 v6, 29, v39
	v_and_b32_e32 v36, 7, v36
	v_cmp_gt_u32_e64 s[2:3], 8, v35
	v_cndmask_b32_e64 v6, v38, v6, s[2:3]
	v_cndmask_b32_e64 v34, v34, v36, s[2:3]
	v_lshlrev_b32_e32 v16, 16, v16
	v_lshlrev_b32_e32 v34, 20, v34
	v_and_b32_e32 v16, 0x80000000, v16
	v_lshl_add_u32 v6, v6, 23, v23
	v_or3_b32 v34, v16, v6, v34
.LBB330_259:                            ;   in Loop: Header=BB330_172 Depth=1
	s_or_b64 exec, exec, s[26:27]
.LBB330_260:                            ;   in Loop: Header=BB330_172 Depth=1
	s_or_b64 exec, exec, s[24:25]
.LBB330_261:                            ;   in Loop: Header=BB330_172 Depth=1
	s_or_b64 exec, exec, s[4:5]
	v_mul_f32_e32 v6, s43, v34
	v_and_b32_e32 v16, 0x7f800000, v6
	v_cmp_ne_u32_e64 s[2:3], s38, v16
                                        ; implicit-def: $vgpr16
	s_and_saveexec_b64 s[4:5], s[2:3]
	s_xor_b64 s[2:3], exec, s[4:5]
; %bb.262:                              ;   in Loop: Header=BB330_172 Depth=1
	v_bfe_u32 v16, v6, 16, 1
	v_add3_u32 v16, v6, v16, s39
                                        ; implicit-def: $vgpr6
; %bb.263:                              ;   in Loop: Header=BB330_172 Depth=1
	s_andn2_saveexec_b64 s[4:5], s[2:3]
; %bb.264:                              ;   in Loop: Header=BB330_172 Depth=1
	v_or_b32_e32 v16, 0x10000, v6
	v_cmp_eq_u32_sdwa s[2:3], v6, v17 src0_sel:WORD_0 src1_sel:DWORD
	v_cndmask_b32_e64 v16, v16, v6, s[2:3]
; %bb.265:                              ;   in Loop: Header=BB330_172 Depth=1
	s_or_b64 exec, exec, s[4:5]
	v_lshrrev_b32_e32 v6, 16, v5
	v_cmp_ne_u16_sdwa s[2:3], v6, v17 src0_sel:BYTE_0 src1_sel:DWORD
	v_mov_b32_e32 v34, 0
	s_and_saveexec_b64 s[4:5], s[2:3]
	s_cbranch_execz .LBB330_271
; %bb.266:                              ;   in Loop: Header=BB330_172 Depth=1
	v_cmp_ne_u16_sdwa s[2:3], v6, s40 src0_sel:BYTE_0 src1_sel:DWORD
	v_bfrev_b32_e32 v34, 1
	s_and_saveexec_b64 s[24:25], s[2:3]
	s_cbranch_execz .LBB330_270
; %bb.267:                              ;   in Loop: Header=BB330_172 Depth=1
	v_bfe_u32 v35, v5, 16, 7
	v_cmp_ne_u32_e64 s[2:3], s41, v35
	v_mov_b32_e32 v34, 0x7f800001
	s_and_saveexec_b64 s[26:27], s[2:3]
	s_cbranch_execz .LBB330_269
; %bb.268:                              ;   in Loop: Header=BB330_172 Depth=1
	v_and_b32_e32 v34, 7, v6
	v_ffbh_u32_e32 v36, v34
	v_min_u32_e32 v39, 32, v36
	v_subrev_u32_e32 v36, 28, v39
	v_lshlrev_b64 v[36:37], v36, v[6:7]
	v_lshrrev_b32_e32 v38, 3, v35
	v_sub_u32_e32 v37, 29, v39
	v_and_b32_e32 v36, 7, v36
	v_cmp_gt_u32_e64 s[2:3], 8, v35
	v_cndmask_b32_e64 v35, v38, v37, s[2:3]
	v_cndmask_b32_e64 v34, v34, v36, s[2:3]
	v_lshlrev_b32_e32 v6, 24, v6
	v_lshlrev_b32_e32 v34, 20, v34
	v_and_b32_e32 v6, 0x80000000, v6
	v_lshl_add_u32 v35, v35, 23, v23
	v_or3_b32 v34, v6, v35, v34
.LBB330_269:                            ;   in Loop: Header=BB330_172 Depth=1
	s_or_b64 exec, exec, s[26:27]
.LBB330_270:                            ;   in Loop: Header=BB330_172 Depth=1
	s_or_b64 exec, exec, s[24:25]
.LBB330_271:                            ;   in Loop: Header=BB330_172 Depth=1
	s_or_b64 exec, exec, s[4:5]
	v_mul_f32_e32 v34, s43, v34
	v_and_b32_e32 v6, 0x7f800000, v34
	v_cmp_ne_u32_e64 s[2:3], s38, v6
                                        ; implicit-def: $vgpr6
	s_and_saveexec_b64 s[4:5], s[2:3]
	s_xor_b64 s[2:3], exec, s[4:5]
; %bb.272:                              ;   in Loop: Header=BB330_172 Depth=1
	v_bfe_u32 v6, v34, 16, 1
	v_add3_u32 v6, v34, v6, s39
                                        ; implicit-def: $vgpr34
; %bb.273:                              ;   in Loop: Header=BB330_172 Depth=1
	s_andn2_saveexec_b64 s[4:5], s[2:3]
; %bb.274:                              ;   in Loop: Header=BB330_172 Depth=1
	v_or_b32_e32 v6, 0x10000, v34
	v_cmp_eq_u32_sdwa s[2:3], v34, v17 src0_sel:WORD_0 src1_sel:DWORD
	v_cndmask_b32_e64 v6, v6, v34, s[2:3]
; %bb.275:                              ;   in Loop: Header=BB330_172 Depth=1
	s_or_b64 exec, exec, s[4:5]
	v_cmp_lt_u64_e64 s[2:3], s[16:17], v[4:5]
	v_mov_b32_e32 v34, 0
	s_and_saveexec_b64 s[4:5], s[2:3]
	s_cbranch_execz .LBB330_281
; %bb.276:                              ;   in Loop: Header=BB330_172 Depth=1
	v_lshrrev_b32_e32 v4, 24, v5
	v_cmp_ne_u32_e64 s[2:3], s40, v4
	v_bfrev_b32_e32 v34, 1
	s_and_saveexec_b64 s[24:25], s[2:3]
	s_cbranch_execz .LBB330_280
; %bb.277:                              ;   in Loop: Header=BB330_172 Depth=1
	v_bfe_u32 v5, v5, 24, 7
	v_cmp_ne_u32_e64 s[2:3], s41, v5
	v_mov_b32_e32 v34, 0x7f800001
	s_and_saveexec_b64 s[26:27], s[2:3]
	s_cbranch_execz .LBB330_279
; %bb.278:                              ;   in Loop: Header=BB330_172 Depth=1
	v_and_b32_e32 v36, 7, v4
	v_ffbh_u32_e32 v34, v36
	v_min_u32_e32 v38, 32, v34
	v_subrev_u32_e32 v34, 28, v38
	v_lshlrev_b64 v[34:35], v34, v[4:5]
	v_lshrrev_b32_e32 v37, 3, v5
	v_sub_u32_e32 v35, 29, v38
	v_and_b32_e32 v34, 7, v34
	v_cmp_gt_u32_e64 s[2:3], 8, v5
	v_cndmask_b32_e64 v5, v37, v35, s[2:3]
	v_cndmask_b32_e64 v34, v36, v34, s[2:3]
	v_lshlrev_b32_e32 v4, 24, v4
	v_lshlrev_b32_e32 v34, 20, v34
	v_and_b32_e32 v4, 0x80000000, v4
	v_lshl_add_u32 v5, v5, 23, v23
	v_or3_b32 v34, v4, v5, v34
.LBB330_279:                            ;   in Loop: Header=BB330_172 Depth=1
	s_or_b64 exec, exec, s[26:27]
.LBB330_280:                            ;   in Loop: Header=BB330_172 Depth=1
	s_or_b64 exec, exec, s[24:25]
.LBB330_281:                            ;   in Loop: Header=BB330_172 Depth=1
	s_or_b64 exec, exec, s[4:5]
	v_mul_f32_e32 v5, s43, v34
	v_and_b32_e32 v4, 0x7f800000, v5
	v_cmp_ne_u32_e64 s[2:3], s38, v4
                                        ; implicit-def: $vgpr4
	s_and_saveexec_b64 s[4:5], s[2:3]
	s_xor_b64 s[2:3], exec, s[4:5]
; %bb.282:                              ;   in Loop: Header=BB330_172 Depth=1
	v_bfe_u32 v4, v5, 16, 1
	v_add3_u32 v4, v5, v4, s39
                                        ; implicit-def: $vgpr5
; %bb.283:                              ;   in Loop: Header=BB330_172 Depth=1
	s_andn2_saveexec_b64 s[4:5], s[2:3]
; %bb.284:                              ;   in Loop: Header=BB330_172 Depth=1
	v_or_b32_e32 v4, 0x10000, v5
	v_cmp_eq_u32_sdwa s[2:3], v5, v17 src0_sel:WORD_0 src1_sel:DWORD
	v_cndmask_b32_e64 v4, v4, v5, s[2:3]
; %bb.285:                              ;   in Loop: Header=BB330_172 Depth=1
	s_or_b64 exec, exec, s[4:5]
	v_cmp_eq_u32_e64 s[2:3], s42, v10
	v_lshrrev_b32_e32 v34, 16, v16
	v_lshrrev_b32_e32 v33, 16, v33
	;; [unrolled: 1-line block ×8, first 2 shown]
	s_and_saveexec_b64 s[24:25], s[2:3]
	s_cbranch_execz .LBB330_287
; %bb.286:                              ;   in Loop: Header=BB330_172 Depth=1
	v_cmp_gt_i32_e64 s[4:5], s33, v19
	v_add_u32_e32 v7, 1, v19
	v_cndmask_b32_e64 v5, 0, v5, s[4:5]
	v_cmp_gt_i32_e64 s[4:5], s33, v7
	v_add_u32_e32 v7, 2, v19
	v_cndmask_b32_e64 v9, 0, v9, s[4:5]
	;; [unrolled: 3-line block ×7, first 2 shown]
	v_cmp_gt_i32_e64 s[4:5], s33, v7
	v_cndmask_b32_e64 v4, 0, v4, s[4:5]
.LBB330_287:                            ;   in Loop: Header=BB330_172 Depth=1
	s_or_b64 exec, exec, s[24:25]
	v_and_b32_e32 v7, 0xffff0000, v31
	v_lshlrev_b32_e32 v5, 16, v5
	v_mul_f32_e32 v8, v7, v5
	v_and_b32_e32 v5, 0x7f800000, v8
	v_cmp_ne_u32_e64 s[4:5], s38, v5
                                        ; implicit-def: $vgpr5
	s_and_saveexec_b64 s[24:25], s[4:5]
	s_xor_b64 s[4:5], exec, s[24:25]
; %bb.288:                              ;   in Loop: Header=BB330_172 Depth=1
	v_bfe_u32 v5, v8, 16, 1
	v_add3_u32 v5, v8, v5, s39
                                        ; implicit-def: $vgpr8
; %bb.289:                              ;   in Loop: Header=BB330_172 Depth=1
	s_andn2_saveexec_b64 s[24:25], s[4:5]
; %bb.290:                              ;   in Loop: Header=BB330_172 Depth=1
	v_or_b32_e32 v5, 0x10000, v8
	v_cmp_eq_u32_sdwa s[4:5], v8, v17 src0_sel:WORD_0 src1_sel:DWORD
	v_cndmask_b32_e64 v5, v5, v8, s[4:5]
; %bb.291:                              ;   in Loop: Header=BB330_172 Depth=1
	s_or_b64 exec, exec, s[24:25]
	v_and_b32_e32 v8, 0xffff0000, v30
	v_lshlrev_b32_e32 v9, 16, v9
	v_mul_f32_e32 v9, v8, v9
	v_and_b32_e32 v16, 0x7f800000, v9
	v_cmp_ne_u32_e64 s[4:5], s38, v16
                                        ; implicit-def: $vgpr16
	s_and_saveexec_b64 s[24:25], s[4:5]
	s_xor_b64 s[4:5], exec, s[24:25]
; %bb.292:                              ;   in Loop: Header=BB330_172 Depth=1
	v_bfe_u32 v16, v9, 16, 1
	v_add3_u32 v16, v9, v16, s39
                                        ; implicit-def: $vgpr9
; %bb.293:                              ;   in Loop: Header=BB330_172 Depth=1
	s_andn2_saveexec_b64 s[24:25], s[4:5]
; %bb.294:                              ;   in Loop: Header=BB330_172 Depth=1
	v_or_b32_e32 v16, 0x10000, v9
	v_cmp_eq_u32_sdwa s[4:5], v9, v17 src0_sel:WORD_0 src1_sel:DWORD
	v_cndmask_b32_e64 v16, v16, v9, s[4:5]
; %bb.295:                              ;   in Loop: Header=BB330_172 Depth=1
	s_or_b64 exec, exec, s[24:25]
	v_and_b32_e32 v9, 0xffff0000, v29
	v_lshlrev_b32_e32 v29, 16, v35
	v_mul_f32_e32 v30, v9, v29
	v_and_b32_e32 v29, 0x7f800000, v30
	v_cmp_ne_u32_e64 s[4:5], s38, v29
                                        ; implicit-def: $vgpr29
	s_and_saveexec_b64 s[24:25], s[4:5]
	s_xor_b64 s[4:5], exec, s[24:25]
; %bb.296:                              ;   in Loop: Header=BB330_172 Depth=1
	v_bfe_u32 v29, v30, 16, 1
	v_add3_u32 v29, v30, v29, s39
                                        ; implicit-def: $vgpr30
; %bb.297:                              ;   in Loop: Header=BB330_172 Depth=1
	s_andn2_saveexec_b64 s[24:25], s[4:5]
; %bb.298:                              ;   in Loop: Header=BB330_172 Depth=1
	v_or_b32_e32 v29, 0x10000, v30
	v_cmp_eq_u32_sdwa s[4:5], v30, v17 src0_sel:WORD_0 src1_sel:DWORD
	v_cndmask_b32_e64 v29, v29, v30, s[4:5]
; %bb.299:                              ;   in Loop: Header=BB330_172 Depth=1
	s_or_b64 exec, exec, s[24:25]
	v_and_b32_e32 v24, 0xffff0000, v24
	v_lshlrev_b32_e32 v30, 16, v32
	v_mul_f32_e32 v31, v24, v30
	v_and_b32_e32 v30, 0x7f800000, v31
	v_cmp_ne_u32_e64 s[4:5], s38, v30
                                        ; implicit-def: $vgpr30
	s_and_saveexec_b64 s[24:25], s[4:5]
	s_xor_b64 s[4:5], exec, s[24:25]
; %bb.300:                              ;   in Loop: Header=BB330_172 Depth=1
	v_bfe_u32 v30, v31, 16, 1
	v_add3_u32 v30, v31, v30, s39
                                        ; implicit-def: $vgpr31
; %bb.301:                              ;   in Loop: Header=BB330_172 Depth=1
	s_andn2_saveexec_b64 s[24:25], s[4:5]
; %bb.302:                              ;   in Loop: Header=BB330_172 Depth=1
	v_or_b32_e32 v30, 0x10000, v31
	v_cmp_eq_u32_sdwa s[4:5], v31, v17 src0_sel:WORD_0 src1_sel:DWORD
	v_cndmask_b32_e64 v30, v30, v31, s[4:5]
; %bb.303:                              ;   in Loop: Header=BB330_172 Depth=1
	s_or_b64 exec, exec, s[24:25]
	v_and_b32_e32 v25, 0xffff0000, v25
	v_lshlrev_b32_e32 v31, 16, v33
	v_mul_f32_e32 v32, v25, v31
	v_and_b32_e32 v31, 0x7f800000, v32
	v_cmp_ne_u32_e64 s[4:5], s38, v31
                                        ; implicit-def: $vgpr31
	s_and_saveexec_b64 s[24:25], s[4:5]
	s_xor_b64 s[4:5], exec, s[24:25]
; %bb.304:                              ;   in Loop: Header=BB330_172 Depth=1
	v_bfe_u32 v31, v32, 16, 1
	v_add3_u32 v31, v32, v31, s39
                                        ; implicit-def: $vgpr32
; %bb.305:                              ;   in Loop: Header=BB330_172 Depth=1
	s_andn2_saveexec_b64 s[24:25], s[4:5]
; %bb.306:                              ;   in Loop: Header=BB330_172 Depth=1
	v_or_b32_e32 v31, 0x10000, v32
	v_cmp_eq_u32_sdwa s[4:5], v32, v17 src0_sel:WORD_0 src1_sel:DWORD
	v_cndmask_b32_e64 v31, v31, v32, s[4:5]
; %bb.307:                              ;   in Loop: Header=BB330_172 Depth=1
	s_or_b64 exec, exec, s[24:25]
	v_and_b32_e32 v26, 0xffff0000, v26
	v_lshlrev_b32_e32 v32, 16, v34
	v_mul_f32_e32 v33, v26, v32
	v_and_b32_e32 v32, 0x7f800000, v33
	v_cmp_ne_u32_e64 s[4:5], s38, v32
                                        ; implicit-def: $vgpr32
	s_and_saveexec_b64 s[24:25], s[4:5]
	s_xor_b64 s[4:5], exec, s[24:25]
; %bb.308:                              ;   in Loop: Header=BB330_172 Depth=1
	v_bfe_u32 v32, v33, 16, 1
	v_add3_u32 v32, v33, v32, s39
                                        ; implicit-def: $vgpr33
; %bb.309:                              ;   in Loop: Header=BB330_172 Depth=1
	s_andn2_saveexec_b64 s[24:25], s[4:5]
; %bb.310:                              ;   in Loop: Header=BB330_172 Depth=1
	v_or_b32_e32 v32, 0x10000, v33
	v_cmp_eq_u32_sdwa s[4:5], v33, v17 src0_sel:WORD_0 src1_sel:DWORD
	v_cndmask_b32_e64 v32, v32, v33, s[4:5]
; %bb.311:                              ;   in Loop: Header=BB330_172 Depth=1
	s_or_b64 exec, exec, s[24:25]
	v_and_b32_e32 v27, 0xffff0000, v27
	v_lshlrev_b32_e32 v6, 16, v6
	v_mul_f32_e32 v33, v27, v6
	v_and_b32_e32 v6, 0x7f800000, v33
	v_cmp_ne_u32_e64 s[4:5], s38, v6
                                        ; implicit-def: $vgpr6
	s_and_saveexec_b64 s[24:25], s[4:5]
	s_xor_b64 s[4:5], exec, s[24:25]
; %bb.312:                              ;   in Loop: Header=BB330_172 Depth=1
	v_bfe_u32 v6, v33, 16, 1
	v_add3_u32 v6, v33, v6, s39
                                        ; implicit-def: $vgpr33
; %bb.313:                              ;   in Loop: Header=BB330_172 Depth=1
	s_andn2_saveexec_b64 s[24:25], s[4:5]
; %bb.314:                              ;   in Loop: Header=BB330_172 Depth=1
	v_or_b32_e32 v6, 0x10000, v33
	v_cmp_eq_u32_sdwa s[4:5], v33, v17 src0_sel:WORD_0 src1_sel:DWORD
	v_cndmask_b32_e64 v6, v6, v33, s[4:5]
; %bb.315:                              ;   in Loop: Header=BB330_172 Depth=1
	s_or_b64 exec, exec, s[24:25]
	v_and_b32_e32 v28, 0xffff0000, v28
	v_lshlrev_b32_e32 v4, 16, v4
	v_mul_f32_e32 v4, v28, v4
	v_and_b32_e32 v33, 0x7f800000, v4
	v_cmp_ne_u32_e64 s[4:5], s38, v33
                                        ; implicit-def: $vgpr33
	s_and_saveexec_b64 s[24:25], s[4:5]
	s_xor_b64 s[4:5], exec, s[24:25]
; %bb.316:                              ;   in Loop: Header=BB330_172 Depth=1
	v_bfe_u32 v33, v4, 16, 1
	v_add3_u32 v33, v4, v33, s39
                                        ; implicit-def: $vgpr4
; %bb.317:                              ;   in Loop: Header=BB330_172 Depth=1
	s_andn2_saveexec_b64 s[24:25], s[4:5]
; %bb.318:                              ;   in Loop: Header=BB330_172 Depth=1
	v_or_b32_e32 v33, 0x10000, v4
	v_cmp_eq_u32_sdwa s[4:5], v4, v17 src0_sel:WORD_0 src1_sel:DWORD
	v_cndmask_b32_e64 v33, v33, v4, s[4:5]
; %bb.319:                              ;   in Loop: Header=BB330_172 Depth=1
	s_or_b64 exec, exec, s[24:25]
	v_and_b32_e32 v34, 0xffff0000, v31
	v_and_b32_e32 v31, 0xffff0000, v30
	;; [unrolled: 1-line block ×5, first 2 shown]
	v_pk_add_f32 v[4:5], v[36:37], v[30:31]
	v_and_b32_e32 v33, 0xffff0000, v33
	v_and_b32_e32 v32, 0xffff0000, v32
	;; [unrolled: 1-line block ×3, first 2 shown]
	v_mov_b32_e32 v6, v5
	v_pk_add_f32 v[4:5], v[4:5], v[6:7]
	v_pk_add_f32 v[30:31], v[34:35], v[32:33]
	;; [unrolled: 1-line block ×3, first 2 shown]
	v_mov_b32_e32 v6, v31
	v_pk_add_f32 v[4:5], v[4:5], v[6:7]
	v_pk_add_f32 v[4:5], v[12:13], v[4:5]
	s_and_saveexec_b64 s[24:25], vcc
	s_cbranch_execz .LBB330_170
; %bb.320:                              ;   in Loop: Header=BB330_172 Depth=1
	v_add_co_u32_e64 v2, s[4:5], v2, v18
	v_addc_co_u32_e64 v3, s[4:5], 0, v3, s[4:5]
	global_load_dwordx2 v[2:3], v[2:3], off
	v_mov_b32_e32 v5, 0
	s_waitcnt vmcnt(0)
	v_cmp_ne_u16_sdwa s[4:5], v2, v17 src0_sel:BYTE_0 src1_sel:DWORD
	s_and_saveexec_b64 s[26:27], s[4:5]
	s_cbranch_execz .LBB330_326
; %bb.321:                              ;   in Loop: Header=BB330_172 Depth=1
	v_cmp_ne_u16_sdwa s[4:5], v2, s40 src0_sel:BYTE_0 src1_sel:DWORD
	v_bfrev_b32_e32 v5, 1
	s_and_saveexec_b64 s[28:29], s[4:5]
	s_cbranch_execz .LBB330_325
; %bb.322:                              ;   in Loop: Header=BB330_172 Depth=1
	v_and_b32_e32 v6, 0x7f, v2
	v_cmp_ne_u32_e64 s[4:5], s41, v6
	v_mov_b32_e32 v5, 0x7f800001
	s_and_saveexec_b64 s[30:31], s[4:5]
	s_cbranch_execz .LBB330_324
; %bb.323:                              ;   in Loop: Header=BB330_172 Depth=1
	v_and_b32_e32 v5, 7, v2
	v_ffbh_u32_e32 v5, v5
	v_min_u32_e32 v5, 32, v5
	v_subrev_u32_e32 v29, 28, v5
	v_cmp_gt_u32_e64 s[4:5], 8, v6
	v_lshrrev_b32_e32 v16, 3, v6
	v_cndmask_b32_e64 v6, 0, v29, s[4:5]
	v_sub_u32_e32 v5, 29, v5
	v_lshlrev_b64 v[30:31], v6, v[2:3]
	v_cndmask_b32_e64 v5, v16, v5, s[4:5]
	v_lshlrev_b32_e32 v6, 20, v30
	v_lshlrev_b32_e32 v16, 24, v2
	v_and_b32_e32 v6, 0x700000, v6
	v_and_b32_e32 v16, 0x80000000, v16
	v_lshl_add_u32 v5, v5, 23, v23
	v_or3_b32 v5, v16, v5, v6
.LBB330_324:                            ;   in Loop: Header=BB330_172 Depth=1
	s_or_b64 exec, exec, s[30:31]
.LBB330_325:                            ;   in Loop: Header=BB330_172 Depth=1
	s_or_b64 exec, exec, s[28:29]
.LBB330_326:                            ;   in Loop: Header=BB330_172 Depth=1
	s_or_b64 exec, exec, s[26:27]
	v_mul_f32_e32 v6, s43, v5
	v_and_b32_e32 v5, 0x7f800000, v6
	v_cmp_ne_u32_e64 s[4:5], s38, v5
                                        ; implicit-def: $vgpr5
	s_and_saveexec_b64 s[26:27], s[4:5]
	s_xor_b64 s[4:5], exec, s[26:27]
; %bb.327:                              ;   in Loop: Header=BB330_172 Depth=1
	v_bfe_u32 v5, v6, 16, 1
	v_add3_u32 v5, v6, v5, s39
                                        ; implicit-def: $vgpr6
; %bb.328:                              ;   in Loop: Header=BB330_172 Depth=1
	s_andn2_saveexec_b64 s[26:27], s[4:5]
; %bb.329:                              ;   in Loop: Header=BB330_172 Depth=1
	v_or_b32_e32 v5, 0x10000, v6
	v_cmp_eq_u32_sdwa s[4:5], v6, v17 src0_sel:WORD_0 src1_sel:DWORD
	v_cndmask_b32_e64 v5, v5, v6, s[4:5]
; %bb.330:                              ;   in Loop: Header=BB330_172 Depth=1
	s_or_b64 exec, exec, s[26:27]
	v_lshrrev_b16_e32 v6, 8, v2
	v_cmp_ne_u16_e64 s[4:5], 0, v6
	v_mov_b32_e32 v16, 0
	s_and_saveexec_b64 s[26:27], s[4:5]
	s_cbranch_execz .LBB330_336
; %bb.331:                              ;   in Loop: Header=BB330_172 Depth=1
	v_cmp_ne_u16_e64 s[4:5], s40, v6
	v_bfrev_b32_e32 v16, 1
	s_and_saveexec_b64 s[28:29], s[4:5]
	s_cbranch_execz .LBB330_335
; %bb.332:                              ;   in Loop: Header=BB330_172 Depth=1
	v_and_b32_e32 v29, 0x7f, v6
	v_cmp_ne_u32_e64 s[4:5], s41, v29
	v_mov_b32_e32 v16, 0x7f800001
	s_and_saveexec_b64 s[30:31], s[4:5]
	s_cbranch_execz .LBB330_334
; %bb.333:                              ;   in Loop: Header=BB330_172 Depth=1
	v_and_b32_e32 v16, 7, v6
	v_ffbh_u32_e32 v30, v16
	v_min_u32_e32 v33, 32, v30
	v_subrev_u32_e32 v30, 28, v33
	v_lshlrev_b64 v[30:31], v30, v[6:7]
	v_lshrrev_b32_e32 v32, 3, v29
	v_sub_u32_e32 v6, 29, v33
	v_and_b32_e32 v30, 7, v30
	v_cmp_gt_u32_e64 s[4:5], 8, v29
	v_cndmask_b32_e64 v6, v32, v6, s[4:5]
	v_cndmask_b32_e64 v16, v16, v30, s[4:5]
	v_lshlrev_b32_e32 v29, 16, v2
	v_lshlrev_b32_e32 v16, 20, v16
	v_and_b32_e32 v29, 0x80000000, v29
	v_lshl_add_u32 v6, v6, 23, v23
	v_or3_b32 v16, v29, v6, v16
.LBB330_334:                            ;   in Loop: Header=BB330_172 Depth=1
	s_or_b64 exec, exec, s[30:31]
.LBB330_335:                            ;   in Loop: Header=BB330_172 Depth=1
	s_or_b64 exec, exec, s[28:29]
.LBB330_336:                            ;   in Loop: Header=BB330_172 Depth=1
	s_or_b64 exec, exec, s[26:27]
	v_mul_f32_e32 v6, s43, v16
	v_and_b32_e32 v16, 0x7f800000, v6
	v_cmp_ne_u32_e64 s[4:5], s38, v16
                                        ; implicit-def: $vgpr29
	s_and_saveexec_b64 s[26:27], s[4:5]
	s_xor_b64 s[4:5], exec, s[26:27]
; %bb.337:                              ;   in Loop: Header=BB330_172 Depth=1
	v_bfe_u32 v16, v6, 16, 1
	v_add3_u32 v29, v6, v16, s39
                                        ; implicit-def: $vgpr6
; %bb.338:                              ;   in Loop: Header=BB330_172 Depth=1
	s_andn2_saveexec_b64 s[26:27], s[4:5]
; %bb.339:                              ;   in Loop: Header=BB330_172 Depth=1
	v_or_b32_e32 v16, 0x10000, v6
	v_cmp_eq_u32_sdwa s[4:5], v6, v17 src0_sel:WORD_0 src1_sel:DWORD
	v_cndmask_b32_e64 v29, v16, v6, s[4:5]
; %bb.340:                              ;   in Loop: Header=BB330_172 Depth=1
	s_or_b64 exec, exec, s[26:27]
	v_lshrrev_b32_e32 v6, 16, v2
	v_cmp_ne_u16_sdwa s[4:5], v6, v17 src0_sel:BYTE_0 src1_sel:DWORD
	v_mov_b32_e32 v16, 0
	s_and_saveexec_b64 s[26:27], s[4:5]
	s_cbranch_execz .LBB330_346
; %bb.341:                              ;   in Loop: Header=BB330_172 Depth=1
	v_cmp_ne_u16_sdwa s[4:5], v6, s40 src0_sel:BYTE_0 src1_sel:DWORD
	v_bfrev_b32_e32 v16, 1
	s_and_saveexec_b64 s[28:29], s[4:5]
	s_cbranch_execz .LBB330_345
; %bb.342:                              ;   in Loop: Header=BB330_172 Depth=1
	v_bfe_u32 v30, v2, 16, 7
	v_cmp_ne_u32_e64 s[4:5], s41, v30
	v_mov_b32_e32 v16, 0x7f800001
	s_and_saveexec_b64 s[30:31], s[4:5]
	s_cbranch_execz .LBB330_344
; %bb.343:                              ;   in Loop: Header=BB330_172 Depth=1
	v_and_b32_e32 v16, 7, v6
	v_ffbh_u32_e32 v32, v16
	v_min_u32_e32 v34, 32, v32
	v_subrev_u32_e32 v32, 28, v34
	v_lshlrev_b64 v[32:33], v32, v[6:7]
	v_lshrrev_b32_e32 v31, 3, v30
	v_sub_u32_e32 v33, 29, v34
	v_and_b32_e32 v32, 7, v32
	v_cmp_gt_u32_e64 s[4:5], 8, v30
	v_cndmask_b32_e64 v30, v31, v33, s[4:5]
	v_cndmask_b32_e64 v16, v16, v32, s[4:5]
	v_lshlrev_b32_e32 v6, 24, v6
	v_lshlrev_b32_e32 v16, 20, v16
	v_and_b32_e32 v6, 0x80000000, v6
	v_lshl_add_u32 v30, v30, 23, v23
	v_or3_b32 v16, v6, v30, v16
.LBB330_344:                            ;   in Loop: Header=BB330_172 Depth=1
	s_or_b64 exec, exec, s[30:31]
.LBB330_345:                            ;   in Loop: Header=BB330_172 Depth=1
	s_or_b64 exec, exec, s[28:29]
.LBB330_346:                            ;   in Loop: Header=BB330_172 Depth=1
	s_or_b64 exec, exec, s[26:27]
	v_mul_f32_e32 v6, s43, v16
	v_and_b32_e32 v16, 0x7f800000, v6
	v_cmp_ne_u32_e64 s[4:5], s38, v16
                                        ; implicit-def: $vgpr30
	s_and_saveexec_b64 s[26:27], s[4:5]
	s_xor_b64 s[4:5], exec, s[26:27]
; %bb.347:                              ;   in Loop: Header=BB330_172 Depth=1
	v_bfe_u32 v16, v6, 16, 1
	v_add3_u32 v30, v6, v16, s39
                                        ; implicit-def: $vgpr6
; %bb.348:                              ;   in Loop: Header=BB330_172 Depth=1
	s_andn2_saveexec_b64 s[26:27], s[4:5]
; %bb.349:                              ;   in Loop: Header=BB330_172 Depth=1
	v_or_b32_e32 v16, 0x10000, v6
	v_cmp_eq_u32_sdwa s[4:5], v6, v17 src0_sel:WORD_0 src1_sel:DWORD
	v_cndmask_b32_e64 v30, v16, v6, s[4:5]
; %bb.350:                              ;   in Loop: Header=BB330_172 Depth=1
	s_or_b64 exec, exec, s[26:27]
	v_cmp_lt_u32_e64 s[4:5], s17, v2
	v_mov_b32_e32 v16, 0
	s_and_saveexec_b64 s[26:27], s[4:5]
	s_cbranch_execz .LBB330_356
; %bb.351:                              ;   in Loop: Header=BB330_172 Depth=1
	v_lshrrev_b32_e32 v6, 24, v2
	v_cmp_ne_u32_e64 s[4:5], s40, v6
	v_bfrev_b32_e32 v16, 1
	s_and_saveexec_b64 s[28:29], s[4:5]
	s_cbranch_execz .LBB330_355
; %bb.352:                              ;   in Loop: Header=BB330_172 Depth=1
	v_bfe_u32 v31, v2, 24, 7
	v_cmp_ne_u32_e64 s[4:5], s41, v31
	v_mov_b32_e32 v16, 0x7f800001
	s_and_saveexec_b64 s[30:31], s[4:5]
	s_cbranch_execz .LBB330_354
; %bb.353:                              ;   in Loop: Header=BB330_172 Depth=1
	v_and_b32_e32 v16, 7, v6
	v_ffbh_u32_e32 v32, v16
	v_min_u32_e32 v35, 32, v32
	v_subrev_u32_e32 v32, 28, v35
	v_lshlrev_b64 v[32:33], v32, v[6:7]
	v_lshrrev_b32_e32 v34, 3, v31
	v_sub_u32_e32 v33, 29, v35
	v_and_b32_e32 v32, 7, v32
	v_cmp_gt_u32_e64 s[4:5], 8, v31
	v_cndmask_b32_e64 v31, v34, v33, s[4:5]
	v_cndmask_b32_e64 v16, v16, v32, s[4:5]
	v_lshlrev_b32_e32 v6, 24, v6
	v_lshlrev_b32_e32 v16, 20, v16
	v_and_b32_e32 v6, 0x80000000, v6
	v_lshl_add_u32 v31, v31, 23, v23
	v_or3_b32 v16, v6, v31, v16
.LBB330_354:                            ;   in Loop: Header=BB330_172 Depth=1
	s_or_b64 exec, exec, s[30:31]
.LBB330_355:                            ;   in Loop: Header=BB330_172 Depth=1
	s_or_b64 exec, exec, s[28:29]
.LBB330_356:                            ;   in Loop: Header=BB330_172 Depth=1
	s_or_b64 exec, exec, s[26:27]
	v_mul_f32_e32 v6, s43, v16
	v_and_b32_e32 v16, 0x7f800000, v6
	v_cmp_ne_u32_e64 s[4:5], s38, v16
                                        ; implicit-def: $vgpr31
	s_and_saveexec_b64 s[26:27], s[4:5]
	s_xor_b64 s[4:5], exec, s[26:27]
; %bb.357:                              ;   in Loop: Header=BB330_172 Depth=1
	v_bfe_u32 v16, v6, 16, 1
	v_add3_u32 v31, v6, v16, s39
                                        ; implicit-def: $vgpr6
; %bb.358:                              ;   in Loop: Header=BB330_172 Depth=1
	s_andn2_saveexec_b64 s[26:27], s[4:5]
; %bb.359:                              ;   in Loop: Header=BB330_172 Depth=1
	v_or_b32_e32 v16, 0x10000, v6
	v_cmp_eq_u32_sdwa s[4:5], v6, v17 src0_sel:WORD_0 src1_sel:DWORD
	v_cndmask_b32_e64 v31, v16, v6, s[4:5]
; %bb.360:                              ;   in Loop: Header=BB330_172 Depth=1
	s_or_b64 exec, exec, s[26:27]
	v_mov_b32_e32 v16, v3
	v_cmp_ne_u16_sdwa s[4:5], v3, v17 src0_sel:BYTE_0 src1_sel:DWORD
	v_mov_b32_e32 v6, 0
	s_and_saveexec_b64 s[26:27], s[4:5]
	s_cbranch_execz .LBB330_366
; %bb.361:                              ;   in Loop: Header=BB330_172 Depth=1
	v_cmp_ne_u16_sdwa s[4:5], v3, s40 src0_sel:BYTE_0 src1_sel:DWORD
	v_bfrev_b32_e32 v6, 1
	s_and_saveexec_b64 s[28:29], s[4:5]
	s_cbranch_execz .LBB330_365
; %bb.362:                              ;   in Loop: Header=BB330_172 Depth=1
	v_and_b32_e32 v32, 0x7f, v3
	v_cmp_ne_u32_e64 s[4:5], s41, v32
	v_mov_b32_e32 v6, 0x7f800001
	s_and_saveexec_b64 s[30:31], s[4:5]
	s_cbranch_execz .LBB330_364
; %bb.363:                              ;   in Loop: Header=BB330_172 Depth=1
	v_and_b32_e32 v6, 7, v3
	v_ffbh_u32_e32 v6, v6
	v_min_u32_e32 v6, 32, v6
	v_subrev_u32_e32 v34, 28, v6
	v_cmp_gt_u32_e64 s[4:5], 8, v32
	v_lshrrev_b32_e32 v33, 3, v32
	v_sub_u32_e32 v6, 29, v6
	v_cndmask_b32_e64 v32, 0, v34, s[4:5]
	v_cndmask_b32_e64 v6, v33, v6, s[4:5]
	v_lshlrev_b64 v[32:33], v32, v[16:17]
	v_lshlrev_b32_e32 v32, 20, v32
	v_lshlrev_b32_e32 v33, 24, v16
	v_and_b32_e32 v32, 0x700000, v32
	v_and_b32_e32 v33, 0x80000000, v33
	v_lshl_add_u32 v6, v6, 23, v23
	v_or3_b32 v6, v33, v6, v32
.LBB330_364:                            ;   in Loop: Header=BB330_172 Depth=1
	s_or_b64 exec, exec, s[30:31]
.LBB330_365:                            ;   in Loop: Header=BB330_172 Depth=1
	s_or_b64 exec, exec, s[28:29]
.LBB330_366:                            ;   in Loop: Header=BB330_172 Depth=1
	s_or_b64 exec, exec, s[26:27]
	v_mul_f32_e32 v6, s43, v6
	v_and_b32_e32 v32, 0x7f800000, v6
	v_cmp_ne_u32_e64 s[4:5], s38, v32
                                        ; implicit-def: $vgpr32
	s_and_saveexec_b64 s[26:27], s[4:5]
	s_xor_b64 s[4:5], exec, s[26:27]
; %bb.367:                              ;   in Loop: Header=BB330_172 Depth=1
	v_bfe_u32 v32, v6, 16, 1
	v_add3_u32 v32, v6, v32, s39
                                        ; implicit-def: $vgpr6
; %bb.368:                              ;   in Loop: Header=BB330_172 Depth=1
	s_andn2_saveexec_b64 s[26:27], s[4:5]
; %bb.369:                              ;   in Loop: Header=BB330_172 Depth=1
	v_or_b32_e32 v32, 0x10000, v6
	v_cmp_eq_u32_sdwa s[4:5], v6, v17 src0_sel:WORD_0 src1_sel:DWORD
	v_cndmask_b32_e64 v32, v32, v6, s[4:5]
; %bb.370:                              ;   in Loop: Header=BB330_172 Depth=1
	s_or_b64 exec, exec, s[26:27]
	v_lshrrev_b16_e32 v6, 8, v16
	v_cmp_ne_u16_e64 s[4:5], 0, v6
	v_mov_b32_e32 v33, 0
	s_and_saveexec_b64 s[26:27], s[4:5]
	s_cbranch_execz .LBB330_376
; %bb.371:                              ;   in Loop: Header=BB330_172 Depth=1
	v_cmp_ne_u16_e64 s[4:5], s40, v6
	v_bfrev_b32_e32 v33, 1
	s_and_saveexec_b64 s[28:29], s[4:5]
	s_cbranch_execz .LBB330_375
; %bb.372:                              ;   in Loop: Header=BB330_172 Depth=1
	v_and_b32_e32 v34, 0x7f, v6
	v_cmp_ne_u32_e64 s[4:5], s41, v34
	v_mov_b32_e32 v33, 0x7f800001
	s_and_saveexec_b64 s[30:31], s[4:5]
	s_cbranch_execz .LBB330_374
; %bb.373:                              ;   in Loop: Header=BB330_172 Depth=1
	v_and_b32_e32 v33, 7, v6
	v_ffbh_u32_e32 v36, v33
	v_min_u32_e32 v38, 32, v36
	v_subrev_u32_e32 v36, 28, v38
	v_lshlrev_b64 v[36:37], v36, v[6:7]
	v_lshrrev_b32_e32 v35, 3, v34
	v_sub_u32_e32 v6, 29, v38
	v_and_b32_e32 v36, 7, v36
	v_cmp_gt_u32_e64 s[4:5], 8, v34
	v_cndmask_b32_e64 v6, v35, v6, s[4:5]
	v_cndmask_b32_e64 v33, v33, v36, s[4:5]
	v_lshlrev_b32_e32 v16, 16, v16
	v_lshlrev_b32_e32 v33, 20, v33
	v_and_b32_e32 v16, 0x80000000, v16
	v_lshl_add_u32 v6, v6, 23, v23
	v_or3_b32 v33, v16, v6, v33
.LBB330_374:                            ;   in Loop: Header=BB330_172 Depth=1
	s_or_b64 exec, exec, s[30:31]
.LBB330_375:                            ;   in Loop: Header=BB330_172 Depth=1
	s_or_b64 exec, exec, s[28:29]
.LBB330_376:                            ;   in Loop: Header=BB330_172 Depth=1
	s_or_b64 exec, exec, s[26:27]
	v_mul_f32_e32 v6, s43, v33
	v_and_b32_e32 v16, 0x7f800000, v6
	v_cmp_ne_u32_e64 s[4:5], s38, v16
                                        ; implicit-def: $vgpr16
	s_and_saveexec_b64 s[26:27], s[4:5]
	s_xor_b64 s[4:5], exec, s[26:27]
; %bb.377:                              ;   in Loop: Header=BB330_172 Depth=1
	v_bfe_u32 v16, v6, 16, 1
	v_add3_u32 v16, v6, v16, s39
                                        ; implicit-def: $vgpr6
; %bb.378:                              ;   in Loop: Header=BB330_172 Depth=1
	s_andn2_saveexec_b64 s[26:27], s[4:5]
; %bb.379:                              ;   in Loop: Header=BB330_172 Depth=1
	v_or_b32_e32 v16, 0x10000, v6
	v_cmp_eq_u32_sdwa s[4:5], v6, v17 src0_sel:WORD_0 src1_sel:DWORD
	v_cndmask_b32_e64 v16, v16, v6, s[4:5]
; %bb.380:                              ;   in Loop: Header=BB330_172 Depth=1
	s_or_b64 exec, exec, s[26:27]
	v_lshrrev_b32_e32 v6, 16, v3
	v_cmp_ne_u16_sdwa s[4:5], v6, v17 src0_sel:BYTE_0 src1_sel:DWORD
	v_mov_b32_e32 v33, 0
	s_and_saveexec_b64 s[26:27], s[4:5]
	s_cbranch_execz .LBB330_386
; %bb.381:                              ;   in Loop: Header=BB330_172 Depth=1
	v_cmp_ne_u16_sdwa s[4:5], v6, s40 src0_sel:BYTE_0 src1_sel:DWORD
	v_bfrev_b32_e32 v33, 1
	s_and_saveexec_b64 s[28:29], s[4:5]
	s_cbranch_execz .LBB330_385
; %bb.382:                              ;   in Loop: Header=BB330_172 Depth=1
	v_bfe_u32 v34, v3, 16, 7
	v_cmp_ne_u32_e64 s[4:5], s41, v34
	v_mov_b32_e32 v33, 0x7f800001
	s_and_saveexec_b64 s[30:31], s[4:5]
	s_cbranch_execz .LBB330_384
; %bb.383:                              ;   in Loop: Header=BB330_172 Depth=1
	v_and_b32_e32 v33, 7, v6
	v_ffbh_u32_e32 v36, v33
	v_min_u32_e32 v38, 32, v36
	v_subrev_u32_e32 v36, 28, v38
	v_lshlrev_b64 v[36:37], v36, v[6:7]
	v_lshrrev_b32_e32 v35, 3, v34
	v_sub_u32_e32 v37, 29, v38
	v_and_b32_e32 v36, 7, v36
	v_cmp_gt_u32_e64 s[4:5], 8, v34
	v_cndmask_b32_e64 v34, v35, v37, s[4:5]
	v_cndmask_b32_e64 v33, v33, v36, s[4:5]
	v_lshlrev_b32_e32 v6, 24, v6
	v_lshlrev_b32_e32 v33, 20, v33
	v_and_b32_e32 v6, 0x80000000, v6
	v_lshl_add_u32 v34, v34, 23, v23
	v_or3_b32 v33, v6, v34, v33
.LBB330_384:                            ;   in Loop: Header=BB330_172 Depth=1
	s_or_b64 exec, exec, s[30:31]
.LBB330_385:                            ;   in Loop: Header=BB330_172 Depth=1
	s_or_b64 exec, exec, s[28:29]
.LBB330_386:                            ;   in Loop: Header=BB330_172 Depth=1
	s_or_b64 exec, exec, s[26:27]
	v_mul_f32_e32 v33, s43, v33
	v_and_b32_e32 v6, 0x7f800000, v33
	v_cmp_ne_u32_e64 s[4:5], s38, v6
                                        ; implicit-def: $vgpr6
	s_and_saveexec_b64 s[26:27], s[4:5]
	s_xor_b64 s[4:5], exec, s[26:27]
; %bb.387:                              ;   in Loop: Header=BB330_172 Depth=1
	v_bfe_u32 v6, v33, 16, 1
	v_add3_u32 v6, v33, v6, s39
                                        ; implicit-def: $vgpr33
; %bb.388:                              ;   in Loop: Header=BB330_172 Depth=1
	s_andn2_saveexec_b64 s[26:27], s[4:5]
; %bb.389:                              ;   in Loop: Header=BB330_172 Depth=1
	v_or_b32_e32 v6, 0x10000, v33
	v_cmp_eq_u32_sdwa s[4:5], v33, v17 src0_sel:WORD_0 src1_sel:DWORD
	v_cndmask_b32_e64 v6, v6, v33, s[4:5]
; %bb.390:                              ;   in Loop: Header=BB330_172 Depth=1
	s_or_b64 exec, exec, s[26:27]
	v_cmp_lt_u64_e64 s[4:5], s[16:17], v[2:3]
	v_mov_b32_e32 v33, 0
	s_and_saveexec_b64 s[26:27], s[4:5]
	s_cbranch_execz .LBB330_396
; %bb.391:                              ;   in Loop: Header=BB330_172 Depth=1
	v_lshrrev_b32_e32 v2, 24, v3
	v_cmp_ne_u32_e64 s[4:5], s40, v2
	v_bfrev_b32_e32 v33, 1
	s_and_saveexec_b64 s[28:29], s[4:5]
	s_cbranch_execz .LBB330_395
; %bb.392:                              ;   in Loop: Header=BB330_172 Depth=1
	v_bfe_u32 v3, v3, 24, 7
	v_cmp_ne_u32_e64 s[4:5], s41, v3
	v_mov_b32_e32 v33, 0x7f800001
	s_and_saveexec_b64 s[30:31], s[4:5]
	s_cbranch_execz .LBB330_394
; %bb.393:                              ;   in Loop: Header=BB330_172 Depth=1
	v_and_b32_e32 v33, 7, v2
	v_ffbh_u32_e32 v34, v33
	v_min_u32_e32 v37, 32, v34
	v_subrev_u32_e32 v34, 28, v37
	v_lshlrev_b64 v[34:35], v34, v[2:3]
	v_lshrrev_b32_e32 v36, 3, v3
	v_sub_u32_e32 v35, 29, v37
	v_and_b32_e32 v34, 7, v34
	v_cmp_gt_u32_e64 s[4:5], 8, v3
	v_cndmask_b32_e64 v3, v36, v35, s[4:5]
	v_cndmask_b32_e64 v33, v33, v34, s[4:5]
	v_lshlrev_b32_e32 v2, 24, v2
	v_lshlrev_b32_e32 v33, 20, v33
	v_and_b32_e32 v2, 0x80000000, v2
	v_lshl_add_u32 v3, v3, 23, v23
	v_or3_b32 v33, v2, v3, v33
.LBB330_394:                            ;   in Loop: Header=BB330_172 Depth=1
	s_or_b64 exec, exec, s[30:31]
.LBB330_395:                            ;   in Loop: Header=BB330_172 Depth=1
	s_or_b64 exec, exec, s[28:29]
.LBB330_396:                            ;   in Loop: Header=BB330_172 Depth=1
	s_or_b64 exec, exec, s[26:27]
	v_mul_f32_e32 v3, s43, v33
	v_and_b32_e32 v2, 0x7f800000, v3
	v_cmp_ne_u32_e64 s[4:5], s38, v2
                                        ; implicit-def: $vgpr2
	s_and_saveexec_b64 s[26:27], s[4:5]
	s_xor_b64 s[4:5], exec, s[26:27]
; %bb.397:                              ;   in Loop: Header=BB330_172 Depth=1
	v_bfe_u32 v2, v3, 16, 1
	v_add3_u32 v2, v3, v2, s39
                                        ; implicit-def: $vgpr3
; %bb.398:                              ;   in Loop: Header=BB330_172 Depth=1
	s_andn2_saveexec_b64 s[26:27], s[4:5]
; %bb.399:                              ;   in Loop: Header=BB330_172 Depth=1
	v_or_b32_e32 v2, 0x10000, v3
	v_cmp_eq_u32_sdwa s[4:5], v3, v17 src0_sel:WORD_0 src1_sel:DWORD
	v_cndmask_b32_e64 v2, v2, v3, s[4:5]
; %bb.400:                              ;   in Loop: Header=BB330_172 Depth=1
	s_or_b64 exec, exec, s[26:27]
	v_lshrrev_b32_e32 v16, 16, v16
	v_lshrrev_b32_e32 v32, 16, v32
	;; [unrolled: 1-line block ×8, first 2 shown]
	s_and_saveexec_b64 s[4:5], s[2:3]
	s_cbranch_execz .LBB330_402
; %bb.401:                              ;   in Loop: Header=BB330_172 Depth=1
	v_cmp_gt_i32_e64 s[2:3], s33, v19
	v_add_u32_e32 v6, 1, v19
	v_cndmask_b32_e64 v3, 0, v3, s[2:3]
	v_cmp_gt_i32_e64 s[2:3], s33, v6
	v_add_u32_e32 v6, 2, v19
	v_cndmask_b32_e64 v29, 0, v29, s[2:3]
	;; [unrolled: 3-line block ×7, first 2 shown]
	v_cmp_gt_i32_e64 s[2:3], s33, v6
	v_cndmask_b32_e64 v2, 0, v2, s[2:3]
.LBB330_402:                            ;   in Loop: Header=BB330_172 Depth=1
	s_or_b64 exec, exec, s[4:5]
	v_lshlrev_b32_e32 v3, 16, v3
	v_mul_f32_e32 v6, v7, v3
	v_and_b32_e32 v3, 0x7f800000, v6
	v_cmp_ne_u32_e64 s[2:3], s38, v3
                                        ; implicit-def: $vgpr3
	s_and_saveexec_b64 s[4:5], s[2:3]
	s_xor_b64 s[2:3], exec, s[4:5]
; %bb.403:                              ;   in Loop: Header=BB330_172 Depth=1
	v_bfe_u32 v3, v6, 16, 1
	v_add3_u32 v3, v6, v3, s39
                                        ; implicit-def: $vgpr6
; %bb.404:                              ;   in Loop: Header=BB330_172 Depth=1
	s_andn2_saveexec_b64 s[4:5], s[2:3]
; %bb.405:                              ;   in Loop: Header=BB330_172 Depth=1
	v_or_b32_e32 v3, 0x10000, v6
	v_cmp_eq_u32_sdwa s[2:3], v6, v17 src0_sel:WORD_0 src1_sel:DWORD
	v_cndmask_b32_e64 v3, v3, v6, s[2:3]
; %bb.406:                              ;   in Loop: Header=BB330_172 Depth=1
	s_or_b64 exec, exec, s[4:5]
	v_lshlrev_b32_e32 v6, 16, v29
	v_mul_f32_e32 v7, v8, v6
	v_and_b32_e32 v6, 0x7f800000, v7
	v_cmp_ne_u32_e64 s[2:3], s38, v6
                                        ; implicit-def: $vgpr6
	s_and_saveexec_b64 s[4:5], s[2:3]
	s_xor_b64 s[2:3], exec, s[4:5]
; %bb.407:                              ;   in Loop: Header=BB330_172 Depth=1
	v_bfe_u32 v6, v7, 16, 1
	v_add3_u32 v6, v7, v6, s39
                                        ; implicit-def: $vgpr7
; %bb.408:                              ;   in Loop: Header=BB330_172 Depth=1
	s_andn2_saveexec_b64 s[4:5], s[2:3]
; %bb.409:                              ;   in Loop: Header=BB330_172 Depth=1
	v_or_b32_e32 v6, 0x10000, v7
	v_cmp_eq_u32_sdwa s[2:3], v7, v17 src0_sel:WORD_0 src1_sel:DWORD
	v_cndmask_b32_e64 v6, v6, v7, s[2:3]
; %bb.410:                              ;   in Loop: Header=BB330_172 Depth=1
	s_or_b64 exec, exec, s[4:5]
	v_lshlrev_b32_e32 v7, 16, v30
	v_mul_f32_e32 v8, v9, v7
	v_and_b32_e32 v7, 0x7f800000, v8
	v_cmp_ne_u32_e64 s[2:3], s38, v7
                                        ; implicit-def: $vgpr7
	s_and_saveexec_b64 s[4:5], s[2:3]
	s_xor_b64 s[2:3], exec, s[4:5]
; %bb.411:                              ;   in Loop: Header=BB330_172 Depth=1
	v_bfe_u32 v7, v8, 16, 1
	v_add3_u32 v7, v8, v7, s39
                                        ; implicit-def: $vgpr8
; %bb.412:                              ;   in Loop: Header=BB330_172 Depth=1
	s_andn2_saveexec_b64 s[4:5], s[2:3]
; %bb.413:                              ;   in Loop: Header=BB330_172 Depth=1
	v_or_b32_e32 v7, 0x10000, v8
	v_cmp_eq_u32_sdwa s[2:3], v8, v17 src0_sel:WORD_0 src1_sel:DWORD
	v_cndmask_b32_e64 v7, v7, v8, s[2:3]
; %bb.414:                              ;   in Loop: Header=BB330_172 Depth=1
	s_or_b64 exec, exec, s[4:5]
	v_lshlrev_b32_e32 v8, 16, v31
	v_mul_f32_e32 v9, v24, v8
	v_and_b32_e32 v8, 0x7f800000, v9
	v_cmp_ne_u32_e64 s[2:3], s38, v8
                                        ; implicit-def: $vgpr8
	s_and_saveexec_b64 s[4:5], s[2:3]
	s_xor_b64 s[2:3], exec, s[4:5]
; %bb.415:                              ;   in Loop: Header=BB330_172 Depth=1
	v_bfe_u32 v8, v9, 16, 1
	v_add3_u32 v8, v9, v8, s39
                                        ; implicit-def: $vgpr9
; %bb.416:                              ;   in Loop: Header=BB330_172 Depth=1
	s_andn2_saveexec_b64 s[4:5], s[2:3]
; %bb.417:                              ;   in Loop: Header=BB330_172 Depth=1
	v_or_b32_e32 v8, 0x10000, v9
	v_cmp_eq_u32_sdwa s[2:3], v9, v17 src0_sel:WORD_0 src1_sel:DWORD
	v_cndmask_b32_e64 v8, v8, v9, s[2:3]
; %bb.418:                              ;   in Loop: Header=BB330_172 Depth=1
	s_or_b64 exec, exec, s[4:5]
	v_lshlrev_b32_e32 v9, 16, v32
	v_mul_f32_e32 v24, v25, v9
	v_and_b32_e32 v9, 0x7f800000, v24
	v_cmp_ne_u32_e64 s[2:3], s38, v9
                                        ; implicit-def: $vgpr9
	s_and_saveexec_b64 s[4:5], s[2:3]
	s_xor_b64 s[2:3], exec, s[4:5]
; %bb.419:                              ;   in Loop: Header=BB330_172 Depth=1
	v_bfe_u32 v9, v24, 16, 1
	v_add3_u32 v9, v24, v9, s39
                                        ; implicit-def: $vgpr24
; %bb.420:                              ;   in Loop: Header=BB330_172 Depth=1
	s_andn2_saveexec_b64 s[4:5], s[2:3]
; %bb.421:                              ;   in Loop: Header=BB330_172 Depth=1
	v_or_b32_e32 v9, 0x10000, v24
	v_cmp_eq_u32_sdwa s[2:3], v24, v17 src0_sel:WORD_0 src1_sel:DWORD
	v_cndmask_b32_e64 v9, v9, v24, s[2:3]
; %bb.422:                              ;   in Loop: Header=BB330_172 Depth=1
	s_or_b64 exec, exec, s[4:5]
	v_lshlrev_b32_e32 v16, 16, v16
	v_mul_f32_e32 v24, v26, v16
	v_and_b32_e32 v16, 0x7f800000, v24
	v_cmp_ne_u32_e64 s[2:3], s38, v16
                                        ; implicit-def: $vgpr16
	s_and_saveexec_b64 s[4:5], s[2:3]
	s_xor_b64 s[2:3], exec, s[4:5]
; %bb.423:                              ;   in Loop: Header=BB330_172 Depth=1
	v_bfe_u32 v16, v24, 16, 1
	v_add3_u32 v16, v24, v16, s39
                                        ; implicit-def: $vgpr24
; %bb.424:                              ;   in Loop: Header=BB330_172 Depth=1
	s_andn2_saveexec_b64 s[4:5], s[2:3]
; %bb.425:                              ;   in Loop: Header=BB330_172 Depth=1
	v_or_b32_e32 v16, 0x10000, v24
	v_cmp_eq_u32_sdwa s[2:3], v24, v17 src0_sel:WORD_0 src1_sel:DWORD
	v_cndmask_b32_e64 v16, v16, v24, s[2:3]
; %bb.426:                              ;   in Loop: Header=BB330_172 Depth=1
	s_or_b64 exec, exec, s[4:5]
	v_lshlrev_b32_e32 v5, 16, v5
	v_mul_f32_e32 v24, v27, v5
	v_and_b32_e32 v5, 0x7f800000, v24
	v_cmp_ne_u32_e64 s[2:3], s38, v5
                                        ; implicit-def: $vgpr5
	s_and_saveexec_b64 s[4:5], s[2:3]
	s_xor_b64 s[2:3], exec, s[4:5]
; %bb.427:                              ;   in Loop: Header=BB330_172 Depth=1
	v_bfe_u32 v5, v24, 16, 1
	v_add3_u32 v5, v24, v5, s39
                                        ; implicit-def: $vgpr24
; %bb.428:                              ;   in Loop: Header=BB330_172 Depth=1
	s_andn2_saveexec_b64 s[4:5], s[2:3]
; %bb.429:                              ;   in Loop: Header=BB330_172 Depth=1
	v_or_b32_e32 v5, 0x10000, v24
	v_cmp_eq_u32_sdwa s[2:3], v24, v17 src0_sel:WORD_0 src1_sel:DWORD
	v_cndmask_b32_e64 v5, v5, v24, s[2:3]
; %bb.430:                              ;   in Loop: Header=BB330_172 Depth=1
	s_or_b64 exec, exec, s[4:5]
	v_lshlrev_b32_e32 v2, 16, v2
	v_mul_f32_e32 v2, v28, v2
	v_and_b32_e32 v24, 0x7f800000, v2
	v_cmp_ne_u32_e64 s[2:3], s38, v24
                                        ; implicit-def: $vgpr24
	s_and_saveexec_b64 s[4:5], s[2:3]
	s_xor_b64 s[2:3], exec, s[4:5]
; %bb.431:                              ;   in Loop: Header=BB330_172 Depth=1
	v_bfe_u32 v24, v2, 16, 1
	v_add3_u32 v24, v2, v24, s39
                                        ; implicit-def: $vgpr2
; %bb.432:                              ;   in Loop: Header=BB330_172 Depth=1
	s_andn2_saveexec_b64 s[4:5], s[2:3]
	s_cbranch_execz .LBB330_169
; %bb.433:                              ;   in Loop: Header=BB330_172 Depth=1
	v_or_b32_e32 v24, 0x10000, v2
	v_cmp_eq_u32_sdwa s[2:3], v2, v17 src0_sel:WORD_0 src1_sel:DWORD
	v_cndmask_b32_e64 v24, v24, v2, s[2:3]
	s_branch .LBB330_169
.LBB330_434:
	s_or_b64 exec, exec, s[20:21]
.LBB330_435:
	s_or_b64 exec, exec, s[6:7]
	v_and_b32_e32 v2, 0x3c0, v0
	v_cmp_eq_u32_e32 vcc, 64, v2
	s_barrier
	s_and_saveexec_b64 s[2:3], vcc
	s_cbranch_execz .LBB330_438
; %bb.436:
	v_mov_b32_e32 v2, 0xd0
	v_lshl_add_u32 v3, v15, 2, v2
	ds_write_b32 v3, v12
	s_and_b64 exec, exec, s[0:1]
	s_cbranch_execz .LBB330_438
; %bb.437:
	v_lshl_add_u32 v2, v0, 2, v2
	ds_write_b32 v2, v13
.LBB330_438:
	s_or_b64 exec, exec, s[2:3]
	v_cmp_gt_u32_e32 vcc, 64, v0
	v_or_b32_e32 v2, 64, v0
	s_waitcnt lgkmcnt(0)
	s_barrier
	s_and_saveexec_b64 s[2:3], vcc
	s_cbranch_execz .LBB330_442
; %bb.439:
	v_mov_b32_e32 v3, 0xd0
	v_lshl_add_u32 v3, v0, 2, v3
	ds_read_b32 v0, v3
	s_movk_i32 s0, 0x60
	v_cmp_gt_u32_e64 s[0:1], s0, v2
	s_and_saveexec_b64 s[4:5], s[0:1]
	s_cbranch_execz .LBB330_441
; %bb.440:
	ds_read_b32 v3, v3 offset:256
	s_waitcnt lgkmcnt(0)
	v_add_f32_e32 v13, v13, v3
.LBB330_441:
	s_or_b64 exec, exec, s[4:5]
	s_waitcnt lgkmcnt(0)
	v_add_f32_e32 v12, v12, v0
.LBB330_442:
	s_or_b64 exec, exec, s[2:3]
	s_barrier
	s_and_saveexec_b64 s[0:1], vcc
	s_cbranch_execz .LBB330_453
; %bb.443:
	s_mov_b32 s0, 0x7f800000
	v_and_b32_e32 v0, 0x7f800000, v12
	v_cmp_ne_u32_e32 vcc, s0, v0
                                        ; implicit-def: $vgpr0
	s_and_saveexec_b64 s[0:1], vcc
	s_xor_b64 s[0:1], exec, s[0:1]
; %bb.444:
	v_bfe_u32 v0, v12, 16, 1
	s_movk_i32 s2, 0x7fff
	v_add3_u32 v0, v12, v0, s2
; %bb.445:
	s_andn2_saveexec_b64 s[0:1], s[0:1]
; %bb.446:
	v_mov_b32_e32 v0, 0
	v_or_b32_e32 v3, 0x10000, v12
	v_cmp_eq_u32_sdwa vcc, v12, v0 src0_sel:WORD_0 src1_sel:DWORD
	v_cndmask_b32_e32 v0, v3, v12, vcc
; %bb.447:
	s_or_b64 exec, exec, s[0:1]
	s_mul_i32 s0, s10, 0x60
	s_ashr_i32 s1, s0, 31
	s_lshl_b64 s[0:1], s[0:1], 1
	s_add_u32 s3, s34, s0
	s_mul_i32 s0, s15, s14
	s_addc_u32 s4, s35, s1
	s_ashr_i32 s1, s0, 31
	s_lshl_b64 s[0:1], s[0:1], 1
	s_add_u32 s3, s3, s0
	s_mul_i32 s0, s8, 0x60
	s_addc_u32 s4, s4, s1
	s_ashr_i32 s1, s0, 31
	s_lshl_b64 s[0:1], s[0:1], 1
	s_movk_i32 s2, 0x60
	s_add_u32 s0, s3, s0
	s_addc_u32 s1, s4, s1
	v_cmp_gt_u32_e32 vcc, s2, v2
	global_store_short_d16_hi v1, v0, s[0:1]
	s_and_b64 exec, exec, vcc
	s_cbranch_execz .LBB330_453
; %bb.448:
	v_mov_b32_e32 v2, s1
	v_add_co_u32_e32 v0, vcc, s0, v1
	v_addc_co_u32_e32 v1, vcc, 0, v2, vcc
	s_mov_b32 s0, 0x7f800000
	v_and_b32_e32 v2, 0x7f800000, v13
	v_cmp_ne_u32_e32 vcc, s0, v2
                                        ; implicit-def: $vgpr2
	s_and_saveexec_b64 s[0:1], vcc
	s_xor_b64 s[0:1], exec, s[0:1]
; %bb.449:
	v_bfe_u32 v2, v13, 16, 1
	s_movk_i32 s2, 0x7fff
	v_add3_u32 v2, v13, v2, s2
                                        ; implicit-def: $vgpr13
; %bb.450:
	s_andn2_saveexec_b64 s[0:1], s[0:1]
; %bb.451:
	v_mov_b32_e32 v2, 0
	v_or_b32_e32 v3, 0x10000, v13
	v_cmp_eq_u32_sdwa vcc, v13, v2 src0_sel:WORD_0 src1_sel:DWORD
	v_cndmask_b32_e32 v2, v3, v13, vcc
; %bb.452:
	s_or_b64 exec, exec, s[0:1]
	global_store_short_d16_hi v[0:1], v2, off offset:128
.LBB330_453:
	s_endpgm
	.section	.rodata,"a",@progbits
	.p2align	6, 0x0
	.amdhsa_kernel _ZN4vllm25paged_attention_v2_kernelI14__hip_bfloat16hLi96ELi8ELi128ELNS_18Fp8KVCacheDataTypeE1ELb1ELi512EEEvPfS3_PT_PKS4_PKT0_SA_ifPKiSC_iPKfiiiSE_SE_iiiii
		.amdhsa_group_segment_fixed_size 208
		.amdhsa_private_segment_fixed_size 0
		.amdhsa_kernarg_size 400
		.amdhsa_user_sgpr_count 6
		.amdhsa_user_sgpr_private_segment_buffer 1
		.amdhsa_user_sgpr_dispatch_ptr 0
		.amdhsa_user_sgpr_queue_ptr 0
		.amdhsa_user_sgpr_kernarg_segment_ptr 1
		.amdhsa_user_sgpr_dispatch_id 0
		.amdhsa_user_sgpr_flat_scratch_init 0
		.amdhsa_user_sgpr_kernarg_preload_length 0
		.amdhsa_user_sgpr_kernarg_preload_offset 0
		.amdhsa_user_sgpr_private_segment_size 0
		.amdhsa_uses_dynamic_stack 0
		.amdhsa_system_sgpr_private_segment_wavefront_offset 0
		.amdhsa_system_sgpr_workgroup_id_x 1
		.amdhsa_system_sgpr_workgroup_id_y 1
		.amdhsa_system_sgpr_workgroup_id_z 1
		.amdhsa_system_sgpr_workgroup_info 0
		.amdhsa_system_vgpr_workitem_id 0
		.amdhsa_next_free_vgpr 50
		.amdhsa_next_free_sgpr 67
		.amdhsa_accum_offset 52
		.amdhsa_reserve_vcc 1
		.amdhsa_reserve_flat_scratch 0
		.amdhsa_float_round_mode_32 0
		.amdhsa_float_round_mode_16_64 0
		.amdhsa_float_denorm_mode_32 3
		.amdhsa_float_denorm_mode_16_64 3
		.amdhsa_dx10_clamp 1
		.amdhsa_ieee_mode 1
		.amdhsa_fp16_overflow 0
		.amdhsa_tg_split 0
		.amdhsa_exception_fp_ieee_invalid_op 0
		.amdhsa_exception_fp_denorm_src 0
		.amdhsa_exception_fp_ieee_div_zero 0
		.amdhsa_exception_fp_ieee_overflow 0
		.amdhsa_exception_fp_ieee_underflow 0
		.amdhsa_exception_fp_ieee_inexact 0
		.amdhsa_exception_int_div_zero 0
	.end_amdhsa_kernel
	.section	.text._ZN4vllm25paged_attention_v2_kernelI14__hip_bfloat16hLi96ELi8ELi128ELNS_18Fp8KVCacheDataTypeE1ELb1ELi512EEEvPfS3_PT_PKS4_PKT0_SA_ifPKiSC_iPKfiiiSE_SE_iiiii,"axG",@progbits,_ZN4vllm25paged_attention_v2_kernelI14__hip_bfloat16hLi96ELi8ELi128ELNS_18Fp8KVCacheDataTypeE1ELb1ELi512EEEvPfS3_PT_PKS4_PKT0_SA_ifPKiSC_iPKfiiiSE_SE_iiiii,comdat
.Lfunc_end330:
	.size	_ZN4vllm25paged_attention_v2_kernelI14__hip_bfloat16hLi96ELi8ELi128ELNS_18Fp8KVCacheDataTypeE1ELb1ELi512EEEvPfS3_PT_PKS4_PKT0_SA_ifPKiSC_iPKfiiiSE_SE_iiiii, .Lfunc_end330-_ZN4vllm25paged_attention_v2_kernelI14__hip_bfloat16hLi96ELi8ELi128ELNS_18Fp8KVCacheDataTypeE1ELb1ELi512EEEvPfS3_PT_PKS4_PKT0_SA_ifPKiSC_iPKfiiiSE_SE_iiiii
                                        ; -- End function
	.section	.AMDGPU.csdata,"",@progbits
; Kernel info:
; codeLenInByte = 14400
; NumSgprs: 71
; NumVgprs: 50
; NumAgprs: 0
; TotalNumVgprs: 50
; ScratchSize: 0
; MemoryBound: 0
; FloatMode: 240
; IeeeMode: 1
; LDSByteSize: 208 bytes/workgroup (compile time only)
; SGPRBlocks: 8
; VGPRBlocks: 6
; NumSGPRsForWavesPerEU: 71
; NumVGPRsForWavesPerEU: 50
; AccumOffset: 52
; Occupancy: 8
; WaveLimiterHint : 1
; COMPUTE_PGM_RSRC2:SCRATCH_EN: 0
; COMPUTE_PGM_RSRC2:USER_SGPR: 6
; COMPUTE_PGM_RSRC2:TRAP_HANDLER: 0
; COMPUTE_PGM_RSRC2:TGID_X_EN: 1
; COMPUTE_PGM_RSRC2:TGID_Y_EN: 1
; COMPUTE_PGM_RSRC2:TGID_Z_EN: 1
; COMPUTE_PGM_RSRC2:TIDIG_COMP_CNT: 0
; COMPUTE_PGM_RSRC3_GFX90A:ACCUM_OFFSET: 12
; COMPUTE_PGM_RSRC3_GFX90A:TG_SPLIT: 0
	.section	.text._ZN4vllm25paged_attention_v2_kernelI14__hip_bfloat16hLi112ELi8ELi128ELNS_18Fp8KVCacheDataTypeE1ELb1ELi512EEEvPfS3_PT_PKS4_PKT0_SA_ifPKiSC_iPKfiiiSE_SE_iiiii,"axG",@progbits,_ZN4vllm25paged_attention_v2_kernelI14__hip_bfloat16hLi112ELi8ELi128ELNS_18Fp8KVCacheDataTypeE1ELb1ELi512EEEvPfS3_PT_PKS4_PKT0_SA_ifPKiSC_iPKfiiiSE_SE_iiiii,comdat
	.protected	_ZN4vllm25paged_attention_v2_kernelI14__hip_bfloat16hLi112ELi8ELi128ELNS_18Fp8KVCacheDataTypeE1ELb1ELi512EEEvPfS3_PT_PKS4_PKT0_SA_ifPKiSC_iPKfiiiSE_SE_iiiii ; -- Begin function _ZN4vllm25paged_attention_v2_kernelI14__hip_bfloat16hLi112ELi8ELi128ELNS_18Fp8KVCacheDataTypeE1ELb1ELi512EEEvPfS3_PT_PKS4_PKT0_SA_ifPKiSC_iPKfiiiSE_SE_iiiii
	.globl	_ZN4vllm25paged_attention_v2_kernelI14__hip_bfloat16hLi112ELi8ELi128ELNS_18Fp8KVCacheDataTypeE1ELb1ELi512EEEvPfS3_PT_PKS4_PKT0_SA_ifPKiSC_iPKfiiiSE_SE_iiiii
	.p2align	8
	.type	_ZN4vllm25paged_attention_v2_kernelI14__hip_bfloat16hLi112ELi8ELi128ELNS_18Fp8KVCacheDataTypeE1ELb1ELi512EEEvPfS3_PT_PKS4_PKT0_SA_ifPKiSC_iPKfiiiSE_SE_iiiii,@function
_ZN4vllm25paged_attention_v2_kernelI14__hip_bfloat16hLi112ELi8ELi128ELNS_18Fp8KVCacheDataTypeE1ELb1ELi512EEEvPfS3_PT_PKS4_PKT0_SA_ifPKiSC_iPKfiiiSE_SE_iiiii: ; @_ZN4vllm25paged_attention_v2_kernelI14__hip_bfloat16hLi112ELi8ELi128ELNS_18Fp8KVCacheDataTypeE1ELb1ELi512EEEvPfS3_PT_PKS4_PKT0_SA_ifPKiSC_iPKfiiiSE_SE_iiiii
; %bb.0:
	s_load_dwordx2 s[0:1], s[4:5], 0x40
	s_mov_b32 s36, s7
	s_ashr_i32 s37, s7, 31
	s_lshl_b64 s[2:3], s[36:37], 2
	s_waitcnt lgkmcnt(0)
	s_add_u32 s0, s0, s2
	s_addc_u32 s1, s1, s3
	s_load_dword s33, s[0:1], 0x0
	s_lshl_b32 s57, s8, 9
	s_waitcnt lgkmcnt(0)
	s_cmp_ge_i32 s57, s33
	s_cbranch_scc1 .LBB331_473
; %bb.1:
	s_load_dword s9, s[4:5], 0x90
	s_load_dwordx2 s[44:45], s[4:5], 0x30
	s_waitcnt lgkmcnt(0)
	s_abs_i32 s2, s9
	s_abs_i32 s0, s44
	v_cvt_f32_u32_e32 v1, s0
	s_sub_i32 s3, 0, s0
	s_xor_b32 s1, s9, s44
	s_ashr_i32 s1, s1, 31
	v_rcp_iflag_f32_e32 v1, v1
	v_mul_f32_e32 v1, 0x4f7ffffe, v1
	v_cvt_u32_f32_e32 v1, v1
	v_readfirstlane_b32 s7, v1
	s_mul_i32 s3, s3, s7
	s_mul_hi_u32 s3, s7, s3
	s_add_i32 s7, s7, s3
	s_mul_hi_u32 s3, s2, s7
	s_mul_i32 s7, s3, s0
	s_sub_i32 s2, s2, s7
	s_add_i32 s10, s3, 1
	s_sub_i32 s7, s2, s0
	s_cmp_ge_u32 s2, s0
	s_cselect_b32 s3, s10, s3
	s_cselect_b32 s2, s7, s2
	s_add_i32 s7, s3, 1
	s_cmp_ge_u32 s2, s0
	s_cselect_b32 s0, s7, s3
	s_xor_b32 s0, s0, s1
	s_sub_i32 s2, s0, s1
	s_abs_i32 s10, s2
	v_cvt_f32_u32_e32 v1, s10
	s_load_dwordx2 s[0:1], s[4:5], 0x50
	s_sub_i32 s3, 0, s10
	s_abs_i32 s11, s6
	v_rcp_iflag_f32_e32 v1, v1
	s_mov_b32 s7, 0
	v_mul_f32_e32 v1, 0x4f7ffffe, v1
	v_cvt_u32_f32_e32 v1, v1
	v_readfirstlane_b32 s12, v1
	s_mul_i32 s3, s3, s12
	s_mul_hi_u32 s3, s12, s3
	s_add_i32 s12, s12, s3
	s_waitcnt lgkmcnt(0)
	s_cmp_eq_u64 s[0:1], 0
	s_mul_hi_u32 s12, s11, s12
	s_cbranch_scc1 .LBB331_3
; %bb.2:
	s_ashr_i32 s7, s6, 31
	s_lshl_b64 s[14:15], s[6:7], 2
	s_add_u32 s0, s0, s14
	s_addc_u32 s1, s1, s15
	s_load_dword s7, s[0:1], 0x0
.LBB331_3:
	s_load_dwordx4 s[20:23], s[4:5], 0x58
	s_movk_i32 s0, 0x70
	s_ashr_i32 s13, s6, 31
	s_ashr_i32 s16, s2, 31
	v_and_b32_e32 v2, 7, v0
	s_mul_i32 s14, s6, 0x70
	v_cmp_gt_u32_e64 s[0:1], s0, v0
	v_lshlrev_b32_e32 v1, 1, v0
	s_and_saveexec_b64 s[2:3], s[0:1]
	s_cbranch_execz .LBB331_5
; %bb.4:
	s_load_dwordx2 s[18:19], s[4:5], 0x18
	s_waitcnt lgkmcnt(0)
	s_mul_i32 s24, s36, s20
	s_ashr_i32 s25, s24, 31
	s_lshl_b64 s[24:25], s[24:25], 1
	v_lshrrev_b32_e32 v4, 2, v0
	s_add_u32 s17, s18, s24
	s_addc_u32 s20, s19, s25
	s_ashr_i32 s15, s14, 31
	s_lshl_b64 s[18:19], s[14:15], 1
	s_add_u32 s18, s17, s18
	s_addc_u32 s19, s20, s19
	global_load_ushort v3, v1, s[18:19]
	v_and_b32_e32 v4, 0xfe, v4
	v_mad_u32_u24 v4, v2, 28, v4
	s_waitcnt vmcnt(0)
	ds_write_b16 v4, v3
.LBB331_5:
	s_or_b64 exec, exec, s[2:3]
	s_mul_i32 s3, s12, s10
	s_sub_i32 s3, s11, s3
	s_xor_b32 s2, s13, s16
	s_add_i32 s11, s12, 1
	s_sub_i32 s13, s3, s10
	s_load_dwordx4 s[24:27], s[4:5], 0x78
	s_cmp_ge_u32 s3, s10
	s_cselect_b32 s11, s11, s12
	s_cselect_b32 s3, s13, s3
	s_load_dword s13, s[4:5], 0x88
	s_add_i32 s12, s11, 1
	s_cmp_ge_u32 s3, s10
	s_cselect_b32 s3, s12, s11
	s_waitcnt lgkmcnt(0)
	s_abs_i32 s37, s27
	v_cvt_f32_u32_e32 v3, s37
	s_xor_b32 s3, s3, s2
	s_sub_i32 s10, s3, s2
	s_sub_i32 s2, 0, s37
	v_rcp_iflag_f32_e32 v3, v3
	s_add_i32 s15, s33, -1
	s_abs_i32 s11, s15
	v_mul_f32_e32 v3, 0x4f7ffffe, v3
	v_cvt_u32_f32_e32 v3, v3
	s_barrier
	v_readfirstlane_b32 s54, v3
	s_mul_i32 s2, s2, s54
	s_mul_hi_u32 s2, s54, s2
	s_add_i32 s54, s54, s2
	s_cmp_lt_i32 s13, 0
	s_mul_hi_u32 s12, s11, s54
	s_cbranch_scc0 .LBB331_7
; %bb.6:
	s_mul_i32 s2, s24, s44
	s_add_i32 s2, s10, s2
	s_mul_i32 s2, s2, s13
	s_sub_i32 s44, 1, s2
	s_mov_b64 s[2:3], 0
	s_branch .LBB331_8
.LBB331_7:
	s_mov_b64 s[2:3], -1
                                        ; implicit-def: $sgpr44
.LBB331_8:
	s_load_dwordx2 s[38:39], s[4:5], 0x38
	s_ashr_i32 s20, s15, 31
	s_andn2_b64 vcc, exec, s[2:3]
	s_ashr_i32 s55, s27, 31
	s_cbranch_vccnz .LBB331_10
; %bb.9:
	s_mul_i32 s2, s9, s24
	s_add_i32 s2, s2, s6
	s_mul_i32 s2, s2, s13
	s_add_i32 s44, s2, 1
.LBB331_10:
	s_load_dwordx2 s[42:43], s[4:5], 0x28
	s_load_dword s2, s[4:5], 0x48
	s_load_dwordx4 s[28:31], s[4:5], 0x0
	s_load_dwordx2 s[34:35], s[4:5], 0x10
	s_load_dword s15, s[4:5], 0x98
	s_load_dwordx4 s[16:19], s[4:5], 0x68
	s_mul_i32 s3, s12, s37
	s_waitcnt lgkmcnt(0)
	s_mul_i32 s40, s36, s2
	s_sub_i32 s3, s11, s3
	s_ashr_i32 s41, s40, 31
	s_xor_b32 s2, s20, s55
	s_add_i32 s11, s12, 1
	s_sub_i32 s13, s3, s37
	s_cmp_ge_u32 s3, s37
	s_cselect_b32 s11, s11, s12
	s_cselect_b32 s3, s13, s3
	s_add_i32 s12, s11, 1
	s_cmp_ge_u32 s3, s37
	s_cselect_b32 s3, s12, s11
	s_xor_b32 s3, s3, s2
	s_sub_i32 s24, s3, s2
	s_add_i32 s2, s33, 7
	s_ashr_i32 s3, s2, 31
	s_lshr_b32 s3, s3, 29
	s_add_i32 s2, s2, s3
	s_lshl_b32 s58, s8, 6
	s_ashr_i32 s20, s2, 3
	s_add_i32 s2, s58, 64
	v_lshrrev_b32_e32 v23, 6, v0
	s_min_i32 s56, s2, s20
	v_or_b32_e32 v10, s58, v23
	v_cmp_gt_i32_e64 s[2:3], s56, v10
	v_mov_b32_e32 v25, 0xff7fffff
	s_mul_i32 s27, s10, s22
	v_ashrrev_i32_e32 v11, 31, v10
	v_lshl_add_u32 v19, v23, 3, s57
	v_mbcnt_lo_u32_b32 v3, -1, 0
	s_and_saveexec_b64 s[22:23], s[2:3]
	s_cbranch_execz .LBB331_160
; %bb.11:
	s_load_dwordx2 s[4:5], s[4:5], 0x20
	s_sub_i32 s59, s24, s25
	s_ashr_i32 s10, s27, 31
	v_bfe_u32 v20, v0, 3, 3
	v_lshlrev_b32_e32 v5, 4, v20
	s_waitcnt lgkmcnt(0)
	s_add_u32 s4, s4, s27
	s_addc_u32 s5, s5, s10
	s_abs_i32 s61, s26
	v_cvt_f32_u32_e32 v4, s61
	v_mov_b32_e32 v6, s5
	s_sub_i32 s10, 0, s61
	v_cmp_eq_u32_e32 vcc, 0, v2
	v_rcp_iflag_f32_e32 v7, v4
	v_add_co_u32_e64 v4, s[4:5], s4, v5
	v_addc_co_u32_e64 v5, s[4:5], 0, v6, s[4:5]
	v_mul_f32_e32 v6, 0x4f7ffffe, v7
	v_cvt_u32_f32_e32 v6, v6
	s_mov_b32 s60, s21
	v_mov_b32_e32 v21, 0
	v_mul_u32_u24_e32 v22, 28, v2
	v_mul_lo_u32 v7, s10, v6
	s_lshl_b64 s[10:11], s[40:41], 2
	v_mul_hi_u32 v7, v6, v7
	s_add_u32 s10, s38, s10
	v_add_u32_e32 v24, v6, v7
	v_lshlrev_b64 v[6:7], 2, v[10:11]
	s_addc_u32 s11, s39, s11
	v_mov_b32_e32 v8, s11
	v_add_co_u32_e64 v6, s[10:11], s10, v6
	v_addc_co_u32_e64 v7, s[10:11], v8, v7, s[10:11]
	v_lshlrev_b32_e32 v8, 2, v20
	v_lshl_or_b32 v8, v23, 5, v8
	v_add_u32_e32 v27, 0xf0, v8
	v_subrev_u32_e32 v8, s33, v20
	v_cmp_neq_f32_e64 s[4:5], s7, 0
	v_lshl_add_u32 v26, v23, 3, s57
	v_add_u32_e32 v28, 1, v8
	s_mov_b64 s[46:47], 0
	v_mov_b32_e32 v29, 0xff7fffff
	s_movk_i32 s62, 0x80
	s_movk_i32 s63, 0x7f
	s_mov_b32 s64, 0x7f800000
	s_movk_i32 s65, 0x7fff
	v_bfrev_b32_e32 v30, 60
	v_mbcnt_hi_u32_b32 v31, -1, v3
	v_mov_b32_e32 v25, 0xff7fffff
	v_mov_b32_e32 v32, v10
	s_branch .LBB331_14
.LBB331_12:                             ;   in Loop: Header=BB331_14 Depth=1
	s_or_b64 exec, exec, s[48:49]
.LBB331_13:                             ;   in Loop: Header=BB331_14 Depth=1
	s_or_b64 exec, exec, s[12:13]
	v_add_co_u32_e64 v6, s[10:11], 8, v6
	v_add_u32_e32 v32, 2, v32
	v_addc_co_u32_e64 v7, s[10:11], 0, v7, s[10:11]
	v_cmp_le_i32_e64 s[10:11], s56, v32
	v_add_u32_e32 v26, 16, v26
	s_or_b64 s[46:47], s[10:11], s[46:47]
	v_add_u32_e32 v27, 64, v27
	s_andn2_b64 exec, exec, s[46:47]
	s_cbranch_execz .LBB331_159
.LBB331_14:                             ; =>This Inner Loop Header: Depth=1
	s_waitcnt lgkmcnt(0)
	v_sub_u32_e32 v9, 0, v26
	v_max_i32_e32 v9, v26, v9
	v_mul_hi_u32 v12, v9, s54
	v_mul_lo_u32 v13, v12, s37
	v_sub_u32_e32 v9, v9, v13
	v_add_u32_e32 v13, 1, v12
	v_cmp_le_u32_e64 s[10:11], s37, v9
	v_cndmask_b32_e64 v12, v12, v13, s[10:11]
	v_subrev_u32_e32 v13, s37, v9
	v_cndmask_b32_e64 v9, v9, v13, s[10:11]
	v_ashrrev_i32_e32 v8, 31, v26
	v_add_u32_e32 v13, 1, v12
	v_cmp_le_u32_e64 s[10:11], s37, v9
	v_xor_b32_e32 v8, s55, v8
	v_cndmask_b32_e64 v9, v12, v13, s[10:11]
	v_xor_b32_e32 v9, v9, v8
	v_sub_u32_e32 v8, v9, v8
	v_add_u32_e32 v9, s44, v8
	v_sub_u32_e32 v13, 0, v9
	v_ashrrev_i32_e32 v12, 31, v9
	v_max_i32_e32 v9, v9, v13
	v_mul_hi_u32 v13, v9, v24
	v_mul_lo_u32 v13, v13, s61
	v_sub_u32_e32 v9, v9, v13
	v_subrev_u32_e32 v13, s61, v9
	v_cmp_le_u32_e64 s[10:11], s61, v9
	v_cndmask_b32_e64 v9, v9, v13, s[10:11]
	v_subrev_u32_e32 v13, s61, v9
	v_cmp_le_u32_e64 s[10:11], s61, v9
	v_cndmask_b32_e64 v9, v9, v13, s[10:11]
	v_xor_b32_e32 v9, v9, v12
	v_sub_u32_e32 v9, v9, v12
	v_cmp_ne_u32_e64 s[10:11], 0, v9
	v_cmp_ge_i32_e64 s[12:13], s59, v8
	s_and_b64 s[10:11], s[10:11], s[12:13]
	s_and_b64 s[48:49], vcc, s[10:11]
	s_and_saveexec_b64 s[12:13], s[48:49]
	s_cbranch_execz .LBB331_16
; %bb.15:                               ;   in Loop: Header=BB331_14 Depth=1
	ds_write_b32 v27, v29
.LBB331_16:                             ;   in Loop: Header=BB331_14 Depth=1
	s_or_b64 exec, exec, s[12:13]
	s_xor_b64 s[10:11], s[10:11], -1
	s_and_saveexec_b64 s[12:13], s[10:11]
	s_cbranch_execz .LBB331_13
; %bb.17:                               ;   in Loop: Header=BB331_14 Depth=1
	global_load_dword v8, v[6:7], off
	v_mov_b32_e32 v35, 0
	s_waitcnt vmcnt(0)
	v_mad_i64_i32 v[8:9], s[10:11], v8, s60, v[4:5]
	v_add_co_u32_e64 v16, s[10:11], v8, v2
	v_addc_co_u32_e64 v17, s[10:11], 0, v9, s[10:11]
	global_load_ubyte v34, v[16:17], off
	ds_read2_b32 v[14:15], v22 offset1:1
	ds_read2_b32 v[12:13], v22 offset0:2 offset1:3
	ds_read2_b32 v[8:9], v22 offset0:4 offset1:5
	ds_read_b32 v33, v22 offset:24
	s_load_dword s66, s[16:17], 0x0
	s_waitcnt vmcnt(0)
	v_cmp_ne_u16_e64 s[10:11], 0, v34
	s_and_saveexec_b64 s[48:49], s[10:11]
	s_cbranch_execz .LBB331_23
; %bb.18:                               ;   in Loop: Header=BB331_14 Depth=1
	v_cmp_ne_u16_e64 s[10:11], s62, v34
	v_bfrev_b32_e32 v35, 1
	s_and_saveexec_b64 s[50:51], s[10:11]
	s_cbranch_execz .LBB331_22
; %bb.19:                               ;   in Loop: Header=BB331_14 Depth=1
	v_and_b32_e32 v18, 0xffff, v34
	v_and_b32_e32 v36, 0x7f, v18
	v_cmp_ne_u32_e64 s[10:11], s63, v36
	v_mov_b32_e32 v35, 0x7f800001
	s_and_saveexec_b64 s[52:53], s[10:11]
	s_cbranch_execz .LBB331_21
; %bb.20:                               ;   in Loop: Header=BB331_14 Depth=1
	v_and_b32_e32 v35, 7, v18
	v_ffbh_u32_e32 v38, v35
	v_min_u32_e32 v40, 32, v38
	v_subrev_u32_e32 v38, 28, v40
	v_lshlrev_b64 v[38:39], v38, v[18:19]
	v_lshrrev_b32_e32 v37, 3, v36
	v_sub_u32_e32 v18, 29, v40
	v_and_b32_e32 v38, 7, v38
	v_cmp_gt_u32_e64 s[10:11], 8, v36
	v_cndmask_b32_e64 v18, v37, v18, s[10:11]
	v_cndmask_b32_e64 v35, v35, v38, s[10:11]
	v_lshlrev_b32_e32 v34, 24, v34
	v_lshlrev_b32_e32 v35, 20, v35
	v_and_b32_e32 v34, 0x80000000, v34
	v_lshl_add_u32 v18, v18, 23, v30
	v_or3_b32 v35, v34, v18, v35
.LBB331_21:                             ;   in Loop: Header=BB331_14 Depth=1
	s_or_b64 exec, exec, s[52:53]
.LBB331_22:                             ;   in Loop: Header=BB331_14 Depth=1
	s_or_b64 exec, exec, s[50:51]
.LBB331_23:                             ;   in Loop: Header=BB331_14 Depth=1
	s_or_b64 exec, exec, s[48:49]
	s_waitcnt lgkmcnt(0)
	v_mul_f32_e32 v18, s66, v35
	v_and_b32_e32 v34, 0x7f800000, v18
	v_cmp_ne_u32_e64 s[10:11], s64, v34
                                        ; implicit-def: $vgpr34
	s_and_saveexec_b64 s[48:49], s[10:11]
	s_xor_b64 s[10:11], exec, s[48:49]
; %bb.24:                               ;   in Loop: Header=BB331_14 Depth=1
	v_bfe_u32 v34, v18, 16, 1
	v_add3_u32 v34, v18, v34, s65
                                        ; implicit-def: $vgpr18
; %bb.25:                               ;   in Loop: Header=BB331_14 Depth=1
	s_andn2_saveexec_b64 s[48:49], s[10:11]
; %bb.26:                               ;   in Loop: Header=BB331_14 Depth=1
	v_or_b32_e32 v34, 0x10000, v18
	v_cmp_eq_u32_sdwa s[10:11], v18, v21 src0_sel:WORD_0 src1_sel:DWORD
	v_cndmask_b32_e64 v34, v34, v18, s[10:11]
; %bb.27:                               ;   in Loop: Header=BB331_14 Depth=1
	s_or_b64 exec, exec, s[48:49]
	global_load_ubyte v35, v[16:17], off offset:8
	v_mov_b32_e32 v36, 0
	s_waitcnt vmcnt(0)
	v_cmp_ne_u16_e64 s[10:11], 0, v35
	s_and_saveexec_b64 s[48:49], s[10:11]
	s_cbranch_execz .LBB331_33
; %bb.28:                               ;   in Loop: Header=BB331_14 Depth=1
	v_cmp_ne_u16_e64 s[10:11], s62, v35
	v_bfrev_b32_e32 v36, 1
	s_and_saveexec_b64 s[50:51], s[10:11]
	s_cbranch_execz .LBB331_32
; %bb.29:                               ;   in Loop: Header=BB331_14 Depth=1
	v_and_b32_e32 v18, 0xffff, v35
	v_and_b32_e32 v37, 0x7f, v18
	v_cmp_ne_u32_e64 s[10:11], s63, v37
	v_mov_b32_e32 v36, 0x7f800001
	s_and_saveexec_b64 s[52:53], s[10:11]
	s_cbranch_execz .LBB331_31
; %bb.30:                               ;   in Loop: Header=BB331_14 Depth=1
	v_and_b32_e32 v36, 7, v18
	v_ffbh_u32_e32 v38, v36
	v_min_u32_e32 v41, 32, v38
	v_subrev_u32_e32 v38, 28, v41
	v_lshlrev_b64 v[38:39], v38, v[18:19]
	v_lshrrev_b32_e32 v40, 3, v37
	v_sub_u32_e32 v18, 29, v41
	v_and_b32_e32 v38, 7, v38
	v_cmp_gt_u32_e64 s[10:11], 8, v37
	v_cndmask_b32_e64 v18, v40, v18, s[10:11]
	v_cndmask_b32_e64 v36, v36, v38, s[10:11]
	v_lshlrev_b32_e32 v35, 24, v35
	v_lshlrev_b32_e32 v36, 20, v36
	v_and_b32_e32 v35, 0x80000000, v35
	v_lshl_add_u32 v18, v18, 23, v30
	v_or3_b32 v36, v35, v18, v36
.LBB331_31:                             ;   in Loop: Header=BB331_14 Depth=1
	s_or_b64 exec, exec, s[52:53]
.LBB331_32:                             ;   in Loop: Header=BB331_14 Depth=1
	s_or_b64 exec, exec, s[50:51]
.LBB331_33:                             ;   in Loop: Header=BB331_14 Depth=1
	s_or_b64 exec, exec, s[48:49]
	v_mul_f32_e32 v18, s66, v36
	v_and_b32_e32 v35, 0x7f800000, v18
	v_cmp_ne_u32_e64 s[10:11], s64, v35
                                        ; implicit-def: $vgpr35
	s_and_saveexec_b64 s[48:49], s[10:11]
	s_xor_b64 s[10:11], exec, s[48:49]
; %bb.34:                               ;   in Loop: Header=BB331_14 Depth=1
	v_bfe_u32 v35, v18, 16, 1
	v_add3_u32 v35, v18, v35, s65
                                        ; implicit-def: $vgpr18
; %bb.35:                               ;   in Loop: Header=BB331_14 Depth=1
	s_andn2_saveexec_b64 s[48:49], s[10:11]
; %bb.36:                               ;   in Loop: Header=BB331_14 Depth=1
	v_or_b32_e32 v35, 0x10000, v18
	v_cmp_eq_u32_sdwa s[10:11], v18, v21 src0_sel:WORD_0 src1_sel:DWORD
	v_cndmask_b32_e64 v35, v35, v18, s[10:11]
; %bb.37:                               ;   in Loop: Header=BB331_14 Depth=1
	s_or_b64 exec, exec, s[48:49]
	global_load_ubyte v36, v[16:17], off offset:128
	v_mov_b32_e32 v37, 0
	s_waitcnt vmcnt(0)
	v_cmp_ne_u16_e64 s[10:11], 0, v36
	s_and_saveexec_b64 s[48:49], s[10:11]
	s_cbranch_execz .LBB331_43
; %bb.38:                               ;   in Loop: Header=BB331_14 Depth=1
	v_cmp_ne_u16_e64 s[10:11], s62, v36
	v_bfrev_b32_e32 v37, 1
	s_and_saveexec_b64 s[50:51], s[10:11]
	s_cbranch_execz .LBB331_42
; %bb.39:                               ;   in Loop: Header=BB331_14 Depth=1
	v_and_b32_e32 v18, 0xffff, v36
	v_and_b32_e32 v38, 0x7f, v18
	v_cmp_ne_u32_e64 s[10:11], s63, v38
	v_mov_b32_e32 v37, 0x7f800001
	s_and_saveexec_b64 s[52:53], s[10:11]
	s_cbranch_execz .LBB331_41
; %bb.40:                               ;   in Loop: Header=BB331_14 Depth=1
	v_and_b32_e32 v37, 7, v18
	v_ffbh_u32_e32 v40, v37
	v_min_u32_e32 v42, 32, v40
	v_subrev_u32_e32 v40, 28, v42
	v_lshlrev_b64 v[40:41], v40, v[18:19]
	v_lshrrev_b32_e32 v39, 3, v38
	v_sub_u32_e32 v18, 29, v42
	v_and_b32_e32 v40, 7, v40
	v_cmp_gt_u32_e64 s[10:11], 8, v38
	v_cndmask_b32_e64 v18, v39, v18, s[10:11]
	v_cndmask_b32_e64 v37, v37, v40, s[10:11]
	v_lshlrev_b32_e32 v36, 24, v36
	v_lshlrev_b32_e32 v37, 20, v37
	v_and_b32_e32 v36, 0x80000000, v36
	v_lshl_add_u32 v18, v18, 23, v30
	v_or3_b32 v37, v36, v18, v37
.LBB331_41:                             ;   in Loop: Header=BB331_14 Depth=1
	s_or_b64 exec, exec, s[52:53]
.LBB331_42:                             ;   in Loop: Header=BB331_14 Depth=1
	s_or_b64 exec, exec, s[50:51]
.LBB331_43:                             ;   in Loop: Header=BB331_14 Depth=1
	s_or_b64 exec, exec, s[48:49]
	v_mul_f32_e32 v18, s66, v37
	v_and_b32_e32 v36, 0x7f800000, v18
	v_cmp_ne_u32_e64 s[10:11], s64, v36
                                        ; implicit-def: $vgpr36
	s_and_saveexec_b64 s[48:49], s[10:11]
	s_xor_b64 s[10:11], exec, s[48:49]
; %bb.44:                               ;   in Loop: Header=BB331_14 Depth=1
	v_bfe_u32 v36, v18, 16, 1
	v_add3_u32 v36, v18, v36, s65
                                        ; implicit-def: $vgpr18
; %bb.45:                               ;   in Loop: Header=BB331_14 Depth=1
	s_andn2_saveexec_b64 s[48:49], s[10:11]
; %bb.46:                               ;   in Loop: Header=BB331_14 Depth=1
	v_or_b32_e32 v36, 0x10000, v18
	v_cmp_eq_u32_sdwa s[10:11], v18, v21 src0_sel:WORD_0 src1_sel:DWORD
	v_cndmask_b32_e64 v36, v36, v18, s[10:11]
; %bb.47:                               ;   in Loop: Header=BB331_14 Depth=1
	s_or_b64 exec, exec, s[48:49]
	global_load_ubyte v37, v[16:17], off offset:136
	v_mov_b32_e32 v38, 0
	s_waitcnt vmcnt(0)
	v_cmp_ne_u16_e64 s[10:11], 0, v37
	s_and_saveexec_b64 s[48:49], s[10:11]
	s_cbranch_execz .LBB331_53
; %bb.48:                               ;   in Loop: Header=BB331_14 Depth=1
	v_cmp_ne_u16_e64 s[10:11], s62, v37
	v_bfrev_b32_e32 v38, 1
	s_and_saveexec_b64 s[50:51], s[10:11]
	s_cbranch_execz .LBB331_52
; %bb.49:                               ;   in Loop: Header=BB331_14 Depth=1
	v_and_b32_e32 v18, 0xffff, v37
	v_and_b32_e32 v39, 0x7f, v18
	v_cmp_ne_u32_e64 s[10:11], s63, v39
	v_mov_b32_e32 v38, 0x7f800001
	s_and_saveexec_b64 s[52:53], s[10:11]
	s_cbranch_execz .LBB331_51
; %bb.50:                               ;   in Loop: Header=BB331_14 Depth=1
	v_and_b32_e32 v38, 7, v18
	v_ffbh_u32_e32 v40, v38
	v_min_u32_e32 v43, 32, v40
	v_subrev_u32_e32 v40, 28, v43
	v_lshlrev_b64 v[40:41], v40, v[18:19]
	v_lshrrev_b32_e32 v42, 3, v39
	v_sub_u32_e32 v18, 29, v43
	v_and_b32_e32 v40, 7, v40
	v_cmp_gt_u32_e64 s[10:11], 8, v39
	v_cndmask_b32_e64 v18, v42, v18, s[10:11]
	v_cndmask_b32_e64 v38, v38, v40, s[10:11]
	v_lshlrev_b32_e32 v37, 24, v37
	v_lshlrev_b32_e32 v38, 20, v38
	v_and_b32_e32 v37, 0x80000000, v37
	v_lshl_add_u32 v18, v18, 23, v30
	v_or3_b32 v38, v37, v18, v38
.LBB331_51:                             ;   in Loop: Header=BB331_14 Depth=1
	s_or_b64 exec, exec, s[52:53]
.LBB331_52:                             ;   in Loop: Header=BB331_14 Depth=1
	s_or_b64 exec, exec, s[50:51]
.LBB331_53:                             ;   in Loop: Header=BB331_14 Depth=1
	s_or_b64 exec, exec, s[48:49]
	v_mul_f32_e32 v18, s66, v38
	v_and_b32_e32 v37, 0x7f800000, v18
	v_cmp_ne_u32_e64 s[10:11], s64, v37
                                        ; implicit-def: $vgpr37
	s_and_saveexec_b64 s[48:49], s[10:11]
	s_xor_b64 s[10:11], exec, s[48:49]
; %bb.54:                               ;   in Loop: Header=BB331_14 Depth=1
	v_bfe_u32 v37, v18, 16, 1
	v_add3_u32 v37, v18, v37, s65
                                        ; implicit-def: $vgpr18
; %bb.55:                               ;   in Loop: Header=BB331_14 Depth=1
	s_andn2_saveexec_b64 s[48:49], s[10:11]
; %bb.56:                               ;   in Loop: Header=BB331_14 Depth=1
	v_or_b32_e32 v37, 0x10000, v18
	v_cmp_eq_u32_sdwa s[10:11], v18, v21 src0_sel:WORD_0 src1_sel:DWORD
	v_cndmask_b32_e64 v37, v37, v18, s[10:11]
; %bb.57:                               ;   in Loop: Header=BB331_14 Depth=1
	s_or_b64 exec, exec, s[48:49]
	global_load_ubyte v38, v[16:17], off offset:256
	v_mov_b32_e32 v39, 0
	s_waitcnt vmcnt(0)
	v_cmp_ne_u16_e64 s[10:11], 0, v38
	s_and_saveexec_b64 s[48:49], s[10:11]
	s_cbranch_execz .LBB331_63
; %bb.58:                               ;   in Loop: Header=BB331_14 Depth=1
	v_cmp_ne_u16_e64 s[10:11], s62, v38
	v_bfrev_b32_e32 v39, 1
	s_and_saveexec_b64 s[50:51], s[10:11]
	s_cbranch_execz .LBB331_62
; %bb.59:                               ;   in Loop: Header=BB331_14 Depth=1
	v_and_b32_e32 v18, 0xffff, v38
	v_and_b32_e32 v40, 0x7f, v18
	v_cmp_ne_u32_e64 s[10:11], s63, v40
	v_mov_b32_e32 v39, 0x7f800001
	s_and_saveexec_b64 s[52:53], s[10:11]
	s_cbranch_execz .LBB331_61
; %bb.60:                               ;   in Loop: Header=BB331_14 Depth=1
	v_and_b32_e32 v39, 7, v18
	v_ffbh_u32_e32 v42, v39
	v_min_u32_e32 v44, 32, v42
	v_subrev_u32_e32 v42, 28, v44
	v_lshlrev_b64 v[42:43], v42, v[18:19]
	v_lshrrev_b32_e32 v41, 3, v40
	v_sub_u32_e32 v18, 29, v44
	v_and_b32_e32 v42, 7, v42
	v_cmp_gt_u32_e64 s[10:11], 8, v40
	v_cndmask_b32_e64 v18, v41, v18, s[10:11]
	v_cndmask_b32_e64 v39, v39, v42, s[10:11]
	v_lshlrev_b32_e32 v38, 24, v38
	v_lshlrev_b32_e32 v39, 20, v39
	v_and_b32_e32 v38, 0x80000000, v38
	v_lshl_add_u32 v18, v18, 23, v30
	v_or3_b32 v39, v38, v18, v39
.LBB331_61:                             ;   in Loop: Header=BB331_14 Depth=1
	s_or_b64 exec, exec, s[52:53]
.LBB331_62:                             ;   in Loop: Header=BB331_14 Depth=1
	s_or_b64 exec, exec, s[50:51]
.LBB331_63:                             ;   in Loop: Header=BB331_14 Depth=1
	s_or_b64 exec, exec, s[48:49]
	v_mul_f32_e32 v18, s66, v39
	v_and_b32_e32 v38, 0x7f800000, v18
	v_cmp_ne_u32_e64 s[10:11], s64, v38
                                        ; implicit-def: $vgpr38
	s_and_saveexec_b64 s[48:49], s[10:11]
	s_xor_b64 s[10:11], exec, s[48:49]
; %bb.64:                               ;   in Loop: Header=BB331_14 Depth=1
	v_bfe_u32 v38, v18, 16, 1
	v_add3_u32 v38, v18, v38, s65
                                        ; implicit-def: $vgpr18
; %bb.65:                               ;   in Loop: Header=BB331_14 Depth=1
	s_andn2_saveexec_b64 s[48:49], s[10:11]
; %bb.66:                               ;   in Loop: Header=BB331_14 Depth=1
	v_or_b32_e32 v38, 0x10000, v18
	v_cmp_eq_u32_sdwa s[10:11], v18, v21 src0_sel:WORD_0 src1_sel:DWORD
	v_cndmask_b32_e64 v38, v38, v18, s[10:11]
; %bb.67:                               ;   in Loop: Header=BB331_14 Depth=1
	s_or_b64 exec, exec, s[48:49]
	global_load_ubyte v39, v[16:17], off offset:264
	v_mov_b32_e32 v40, 0
	s_waitcnt vmcnt(0)
	v_cmp_ne_u16_e64 s[10:11], 0, v39
	s_and_saveexec_b64 s[48:49], s[10:11]
	s_cbranch_execz .LBB331_73
; %bb.68:                               ;   in Loop: Header=BB331_14 Depth=1
	v_cmp_ne_u16_e64 s[10:11], s62, v39
	v_bfrev_b32_e32 v40, 1
	s_and_saveexec_b64 s[50:51], s[10:11]
	s_cbranch_execz .LBB331_72
; %bb.69:                               ;   in Loop: Header=BB331_14 Depth=1
	v_and_b32_e32 v18, 0xffff, v39
	v_and_b32_e32 v41, 0x7f, v18
	v_cmp_ne_u32_e64 s[10:11], s63, v41
	v_mov_b32_e32 v40, 0x7f800001
	s_and_saveexec_b64 s[52:53], s[10:11]
	s_cbranch_execz .LBB331_71
; %bb.70:                               ;   in Loop: Header=BB331_14 Depth=1
	v_and_b32_e32 v40, 7, v18
	v_ffbh_u32_e32 v42, v40
	v_min_u32_e32 v45, 32, v42
	v_subrev_u32_e32 v42, 28, v45
	v_lshlrev_b64 v[42:43], v42, v[18:19]
	v_lshrrev_b32_e32 v44, 3, v41
	v_sub_u32_e32 v18, 29, v45
	v_and_b32_e32 v42, 7, v42
	v_cmp_gt_u32_e64 s[10:11], 8, v41
	v_cndmask_b32_e64 v18, v44, v18, s[10:11]
	v_cndmask_b32_e64 v40, v40, v42, s[10:11]
	v_lshlrev_b32_e32 v39, 24, v39
	v_lshlrev_b32_e32 v40, 20, v40
	v_and_b32_e32 v39, 0x80000000, v39
	v_lshl_add_u32 v18, v18, 23, v30
	v_or3_b32 v40, v39, v18, v40
.LBB331_71:                             ;   in Loop: Header=BB331_14 Depth=1
	s_or_b64 exec, exec, s[52:53]
.LBB331_72:                             ;   in Loop: Header=BB331_14 Depth=1
	s_or_b64 exec, exec, s[50:51]
.LBB331_73:                             ;   in Loop: Header=BB331_14 Depth=1
	s_or_b64 exec, exec, s[48:49]
	v_mul_f32_e32 v18, s66, v40
	v_and_b32_e32 v39, 0x7f800000, v18
	v_cmp_ne_u32_e64 s[10:11], s64, v39
                                        ; implicit-def: $vgpr39
	s_and_saveexec_b64 s[48:49], s[10:11]
	s_xor_b64 s[10:11], exec, s[48:49]
; %bb.74:                               ;   in Loop: Header=BB331_14 Depth=1
	v_bfe_u32 v39, v18, 16, 1
	v_add3_u32 v39, v18, v39, s65
                                        ; implicit-def: $vgpr18
; %bb.75:                               ;   in Loop: Header=BB331_14 Depth=1
	s_andn2_saveexec_b64 s[48:49], s[10:11]
; %bb.76:                               ;   in Loop: Header=BB331_14 Depth=1
	v_or_b32_e32 v39, 0x10000, v18
	v_cmp_eq_u32_sdwa s[10:11], v18, v21 src0_sel:WORD_0 src1_sel:DWORD
	v_cndmask_b32_e64 v39, v39, v18, s[10:11]
; %bb.77:                               ;   in Loop: Header=BB331_14 Depth=1
	s_or_b64 exec, exec, s[48:49]
	global_load_ubyte v40, v[16:17], off offset:384
	v_mov_b32_e32 v41, 0
	s_waitcnt vmcnt(0)
	v_cmp_ne_u16_e64 s[10:11], 0, v40
	s_and_saveexec_b64 s[48:49], s[10:11]
	s_cbranch_execz .LBB331_83
; %bb.78:                               ;   in Loop: Header=BB331_14 Depth=1
	v_cmp_ne_u16_e64 s[10:11], s62, v40
	v_bfrev_b32_e32 v41, 1
	s_and_saveexec_b64 s[50:51], s[10:11]
	s_cbranch_execz .LBB331_82
; %bb.79:                               ;   in Loop: Header=BB331_14 Depth=1
	v_and_b32_e32 v18, 0xffff, v40
	v_and_b32_e32 v42, 0x7f, v18
	v_cmp_ne_u32_e64 s[10:11], s63, v42
	v_mov_b32_e32 v41, 0x7f800001
	s_and_saveexec_b64 s[52:53], s[10:11]
	s_cbranch_execz .LBB331_81
; %bb.80:                               ;   in Loop: Header=BB331_14 Depth=1
	v_and_b32_e32 v41, 7, v18
	v_ffbh_u32_e32 v44, v41
	v_min_u32_e32 v46, 32, v44
	v_subrev_u32_e32 v44, 28, v46
	v_lshlrev_b64 v[44:45], v44, v[18:19]
	v_lshrrev_b32_e32 v43, 3, v42
	v_sub_u32_e32 v18, 29, v46
	v_and_b32_e32 v44, 7, v44
	v_cmp_gt_u32_e64 s[10:11], 8, v42
	v_cndmask_b32_e64 v18, v43, v18, s[10:11]
	v_cndmask_b32_e64 v41, v41, v44, s[10:11]
	v_lshlrev_b32_e32 v40, 24, v40
	v_lshlrev_b32_e32 v41, 20, v41
	v_and_b32_e32 v40, 0x80000000, v40
	v_lshl_add_u32 v18, v18, 23, v30
	v_or3_b32 v41, v40, v18, v41
.LBB331_81:                             ;   in Loop: Header=BB331_14 Depth=1
	s_or_b64 exec, exec, s[52:53]
.LBB331_82:                             ;   in Loop: Header=BB331_14 Depth=1
	s_or_b64 exec, exec, s[50:51]
.LBB331_83:                             ;   in Loop: Header=BB331_14 Depth=1
	s_or_b64 exec, exec, s[48:49]
	v_mul_f32_e32 v18, s66, v41
	v_and_b32_e32 v40, 0x7f800000, v18
	v_cmp_ne_u32_e64 s[10:11], s64, v40
                                        ; implicit-def: $vgpr40
	s_and_saveexec_b64 s[48:49], s[10:11]
	s_xor_b64 s[10:11], exec, s[48:49]
; %bb.84:                               ;   in Loop: Header=BB331_14 Depth=1
	v_bfe_u32 v40, v18, 16, 1
	v_add3_u32 v40, v18, v40, s65
                                        ; implicit-def: $vgpr18
; %bb.85:                               ;   in Loop: Header=BB331_14 Depth=1
	s_andn2_saveexec_b64 s[48:49], s[10:11]
; %bb.86:                               ;   in Loop: Header=BB331_14 Depth=1
	v_or_b32_e32 v40, 0x10000, v18
	v_cmp_eq_u32_sdwa s[10:11], v18, v21 src0_sel:WORD_0 src1_sel:DWORD
	v_cndmask_b32_e64 v40, v40, v18, s[10:11]
; %bb.87:                               ;   in Loop: Header=BB331_14 Depth=1
	s_or_b64 exec, exec, s[48:49]
	global_load_ubyte v41, v[16:17], off offset:392
	v_mov_b32_e32 v42, 0
	s_waitcnt vmcnt(0)
	v_cmp_ne_u16_e64 s[10:11], 0, v41
	s_and_saveexec_b64 s[48:49], s[10:11]
	s_cbranch_execz .LBB331_93
; %bb.88:                               ;   in Loop: Header=BB331_14 Depth=1
	v_cmp_ne_u16_e64 s[10:11], s62, v41
	v_bfrev_b32_e32 v42, 1
	s_and_saveexec_b64 s[50:51], s[10:11]
	s_cbranch_execz .LBB331_92
; %bb.89:                               ;   in Loop: Header=BB331_14 Depth=1
	v_and_b32_e32 v18, 0xffff, v41
	v_and_b32_e32 v43, 0x7f, v18
	v_cmp_ne_u32_e64 s[10:11], s63, v43
	v_mov_b32_e32 v42, 0x7f800001
	s_and_saveexec_b64 s[52:53], s[10:11]
	s_cbranch_execz .LBB331_91
; %bb.90:                               ;   in Loop: Header=BB331_14 Depth=1
	v_and_b32_e32 v42, 7, v18
	v_ffbh_u32_e32 v44, v42
	v_min_u32_e32 v47, 32, v44
	v_subrev_u32_e32 v44, 28, v47
	v_lshlrev_b64 v[44:45], v44, v[18:19]
	v_lshrrev_b32_e32 v46, 3, v43
	v_sub_u32_e32 v18, 29, v47
	v_and_b32_e32 v44, 7, v44
	v_cmp_gt_u32_e64 s[10:11], 8, v43
	v_cndmask_b32_e64 v18, v46, v18, s[10:11]
	v_cndmask_b32_e64 v42, v42, v44, s[10:11]
	v_lshlrev_b32_e32 v41, 24, v41
	v_lshlrev_b32_e32 v42, 20, v42
	v_and_b32_e32 v41, 0x80000000, v41
	v_lshl_add_u32 v18, v18, 23, v30
	v_or3_b32 v42, v41, v18, v42
.LBB331_91:                             ;   in Loop: Header=BB331_14 Depth=1
	s_or_b64 exec, exec, s[52:53]
.LBB331_92:                             ;   in Loop: Header=BB331_14 Depth=1
	s_or_b64 exec, exec, s[50:51]
.LBB331_93:                             ;   in Loop: Header=BB331_14 Depth=1
	s_or_b64 exec, exec, s[48:49]
	v_mul_f32_e32 v18, s66, v42
	v_and_b32_e32 v41, 0x7f800000, v18
	v_cmp_ne_u32_e64 s[10:11], s64, v41
                                        ; implicit-def: $vgpr41
	s_and_saveexec_b64 s[48:49], s[10:11]
	s_xor_b64 s[10:11], exec, s[48:49]
; %bb.94:                               ;   in Loop: Header=BB331_14 Depth=1
	v_bfe_u32 v41, v18, 16, 1
	v_add3_u32 v41, v18, v41, s65
                                        ; implicit-def: $vgpr18
; %bb.95:                               ;   in Loop: Header=BB331_14 Depth=1
	s_andn2_saveexec_b64 s[48:49], s[10:11]
; %bb.96:                               ;   in Loop: Header=BB331_14 Depth=1
	v_or_b32_e32 v41, 0x10000, v18
	v_cmp_eq_u32_sdwa s[10:11], v18, v21 src0_sel:WORD_0 src1_sel:DWORD
	v_cndmask_b32_e64 v41, v41, v18, s[10:11]
; %bb.97:                               ;   in Loop: Header=BB331_14 Depth=1
	s_or_b64 exec, exec, s[48:49]
	global_load_ubyte v42, v[16:17], off offset:512
	v_mov_b32_e32 v43, 0
	s_waitcnt vmcnt(0)
	v_cmp_ne_u16_e64 s[10:11], 0, v42
	s_and_saveexec_b64 s[48:49], s[10:11]
	s_cbranch_execz .LBB331_103
; %bb.98:                               ;   in Loop: Header=BB331_14 Depth=1
	v_cmp_ne_u16_e64 s[10:11], s62, v42
	v_bfrev_b32_e32 v43, 1
	s_and_saveexec_b64 s[50:51], s[10:11]
	s_cbranch_execz .LBB331_102
; %bb.99:                               ;   in Loop: Header=BB331_14 Depth=1
	v_and_b32_e32 v18, 0xffff, v42
	v_and_b32_e32 v44, 0x7f, v18
	v_cmp_ne_u32_e64 s[10:11], s63, v44
	v_mov_b32_e32 v43, 0x7f800001
	s_and_saveexec_b64 s[52:53], s[10:11]
	s_cbranch_execz .LBB331_101
; %bb.100:                              ;   in Loop: Header=BB331_14 Depth=1
	v_and_b32_e32 v43, 7, v18
	v_ffbh_u32_e32 v46, v43
	v_min_u32_e32 v48, 32, v46
	v_subrev_u32_e32 v46, 28, v48
	v_lshlrev_b64 v[46:47], v46, v[18:19]
	v_lshrrev_b32_e32 v45, 3, v44
	v_sub_u32_e32 v18, 29, v48
	v_and_b32_e32 v46, 7, v46
	v_cmp_gt_u32_e64 s[10:11], 8, v44
	v_cndmask_b32_e64 v18, v45, v18, s[10:11]
	v_cndmask_b32_e64 v43, v43, v46, s[10:11]
	v_lshlrev_b32_e32 v42, 24, v42
	v_lshlrev_b32_e32 v43, 20, v43
	v_and_b32_e32 v42, 0x80000000, v42
	v_lshl_add_u32 v18, v18, 23, v30
	v_or3_b32 v43, v42, v18, v43
.LBB331_101:                            ;   in Loop: Header=BB331_14 Depth=1
	s_or_b64 exec, exec, s[52:53]
.LBB331_102:                            ;   in Loop: Header=BB331_14 Depth=1
	s_or_b64 exec, exec, s[50:51]
.LBB331_103:                            ;   in Loop: Header=BB331_14 Depth=1
	s_or_b64 exec, exec, s[48:49]
	v_mul_f32_e32 v18, s66, v43
	v_and_b32_e32 v42, 0x7f800000, v18
	v_cmp_ne_u32_e64 s[10:11], s64, v42
                                        ; implicit-def: $vgpr42
	s_and_saveexec_b64 s[48:49], s[10:11]
	s_xor_b64 s[10:11], exec, s[48:49]
; %bb.104:                              ;   in Loop: Header=BB331_14 Depth=1
	v_bfe_u32 v42, v18, 16, 1
	v_add3_u32 v42, v18, v42, s65
                                        ; implicit-def: $vgpr18
; %bb.105:                              ;   in Loop: Header=BB331_14 Depth=1
	s_andn2_saveexec_b64 s[48:49], s[10:11]
; %bb.106:                              ;   in Loop: Header=BB331_14 Depth=1
	v_or_b32_e32 v42, 0x10000, v18
	v_cmp_eq_u32_sdwa s[10:11], v18, v21 src0_sel:WORD_0 src1_sel:DWORD
	v_cndmask_b32_e64 v42, v42, v18, s[10:11]
; %bb.107:                              ;   in Loop: Header=BB331_14 Depth=1
	s_or_b64 exec, exec, s[48:49]
	global_load_ubyte v43, v[16:17], off offset:520
	v_mov_b32_e32 v44, 0
	s_waitcnt vmcnt(0)
	v_cmp_ne_u16_e64 s[10:11], 0, v43
	s_and_saveexec_b64 s[48:49], s[10:11]
	s_cbranch_execz .LBB331_113
; %bb.108:                              ;   in Loop: Header=BB331_14 Depth=1
	v_cmp_ne_u16_e64 s[10:11], s62, v43
	v_bfrev_b32_e32 v44, 1
	s_and_saveexec_b64 s[50:51], s[10:11]
	s_cbranch_execz .LBB331_112
; %bb.109:                              ;   in Loop: Header=BB331_14 Depth=1
	v_and_b32_e32 v18, 0xffff, v43
	v_and_b32_e32 v45, 0x7f, v18
	v_cmp_ne_u32_e64 s[10:11], s63, v45
	v_mov_b32_e32 v44, 0x7f800001
	s_and_saveexec_b64 s[52:53], s[10:11]
	s_cbranch_execz .LBB331_111
; %bb.110:                              ;   in Loop: Header=BB331_14 Depth=1
	v_and_b32_e32 v44, 7, v18
	v_ffbh_u32_e32 v46, v44
	v_min_u32_e32 v49, 32, v46
	v_subrev_u32_e32 v46, 28, v49
	v_lshlrev_b64 v[46:47], v46, v[18:19]
	v_lshrrev_b32_e32 v48, 3, v45
	v_sub_u32_e32 v18, 29, v49
	v_and_b32_e32 v46, 7, v46
	v_cmp_gt_u32_e64 s[10:11], 8, v45
	v_cndmask_b32_e64 v18, v48, v18, s[10:11]
	v_cndmask_b32_e64 v44, v44, v46, s[10:11]
	v_lshlrev_b32_e32 v43, 24, v43
	v_lshlrev_b32_e32 v44, 20, v44
	v_and_b32_e32 v43, 0x80000000, v43
	v_lshl_add_u32 v18, v18, 23, v30
	v_or3_b32 v44, v43, v18, v44
.LBB331_111:                            ;   in Loop: Header=BB331_14 Depth=1
	s_or_b64 exec, exec, s[52:53]
.LBB331_112:                            ;   in Loop: Header=BB331_14 Depth=1
	s_or_b64 exec, exec, s[50:51]
.LBB331_113:                            ;   in Loop: Header=BB331_14 Depth=1
	s_or_b64 exec, exec, s[48:49]
	v_mul_f32_e32 v18, s66, v44
	v_and_b32_e32 v43, 0x7f800000, v18
	v_cmp_ne_u32_e64 s[10:11], s64, v43
                                        ; implicit-def: $vgpr43
	s_and_saveexec_b64 s[48:49], s[10:11]
	s_xor_b64 s[10:11], exec, s[48:49]
; %bb.114:                              ;   in Loop: Header=BB331_14 Depth=1
	v_bfe_u32 v43, v18, 16, 1
	v_add3_u32 v43, v18, v43, s65
                                        ; implicit-def: $vgpr18
; %bb.115:                              ;   in Loop: Header=BB331_14 Depth=1
	s_andn2_saveexec_b64 s[48:49], s[10:11]
; %bb.116:                              ;   in Loop: Header=BB331_14 Depth=1
	v_or_b32_e32 v43, 0x10000, v18
	v_cmp_eq_u32_sdwa s[10:11], v18, v21 src0_sel:WORD_0 src1_sel:DWORD
	v_cndmask_b32_e64 v43, v43, v18, s[10:11]
; %bb.117:                              ;   in Loop: Header=BB331_14 Depth=1
	s_or_b64 exec, exec, s[48:49]
	global_load_ubyte v44, v[16:17], off offset:640
	v_mov_b32_e32 v45, 0
	s_waitcnt vmcnt(0)
	v_cmp_ne_u16_e64 s[10:11], 0, v44
	s_and_saveexec_b64 s[48:49], s[10:11]
	s_cbranch_execz .LBB331_123
; %bb.118:                              ;   in Loop: Header=BB331_14 Depth=1
	v_cmp_ne_u16_e64 s[10:11], s62, v44
	v_bfrev_b32_e32 v45, 1
	s_and_saveexec_b64 s[50:51], s[10:11]
	s_cbranch_execz .LBB331_122
; %bb.119:                              ;   in Loop: Header=BB331_14 Depth=1
	v_and_b32_e32 v18, 0xffff, v44
	v_and_b32_e32 v46, 0x7f, v18
	v_cmp_ne_u32_e64 s[10:11], s63, v46
	v_mov_b32_e32 v45, 0x7f800001
	s_and_saveexec_b64 s[52:53], s[10:11]
	s_cbranch_execz .LBB331_121
; %bb.120:                              ;   in Loop: Header=BB331_14 Depth=1
	v_and_b32_e32 v45, 7, v18
	v_ffbh_u32_e32 v48, v45
	v_min_u32_e32 v50, 32, v48
	v_subrev_u32_e32 v48, 28, v50
	v_lshlrev_b64 v[48:49], v48, v[18:19]
	v_lshrrev_b32_e32 v47, 3, v46
	v_sub_u32_e32 v18, 29, v50
	v_and_b32_e32 v48, 7, v48
	v_cmp_gt_u32_e64 s[10:11], 8, v46
	v_cndmask_b32_e64 v18, v47, v18, s[10:11]
	v_cndmask_b32_e64 v45, v45, v48, s[10:11]
	v_lshlrev_b32_e32 v44, 24, v44
	v_lshlrev_b32_e32 v45, 20, v45
	v_and_b32_e32 v44, 0x80000000, v44
	v_lshl_add_u32 v18, v18, 23, v30
	v_or3_b32 v45, v44, v18, v45
.LBB331_121:                            ;   in Loop: Header=BB331_14 Depth=1
	s_or_b64 exec, exec, s[52:53]
.LBB331_122:                            ;   in Loop: Header=BB331_14 Depth=1
	s_or_b64 exec, exec, s[50:51]
.LBB331_123:                            ;   in Loop: Header=BB331_14 Depth=1
	s_or_b64 exec, exec, s[48:49]
	v_mul_f32_e32 v18, s66, v45
	v_and_b32_e32 v44, 0x7f800000, v18
	v_cmp_ne_u32_e64 s[10:11], s64, v44
                                        ; implicit-def: $vgpr44
	s_and_saveexec_b64 s[48:49], s[10:11]
	s_xor_b64 s[10:11], exec, s[48:49]
; %bb.124:                              ;   in Loop: Header=BB331_14 Depth=1
	v_bfe_u32 v44, v18, 16, 1
	v_add3_u32 v44, v18, v44, s65
                                        ; implicit-def: $vgpr18
; %bb.125:                              ;   in Loop: Header=BB331_14 Depth=1
	s_andn2_saveexec_b64 s[48:49], s[10:11]
; %bb.126:                              ;   in Loop: Header=BB331_14 Depth=1
	v_or_b32_e32 v44, 0x10000, v18
	v_cmp_eq_u32_sdwa s[10:11], v18, v21 src0_sel:WORD_0 src1_sel:DWORD
	v_cndmask_b32_e64 v44, v44, v18, s[10:11]
; %bb.127:                              ;   in Loop: Header=BB331_14 Depth=1
	s_or_b64 exec, exec, s[48:49]
	global_load_ubyte v45, v[16:17], off offset:648
	v_mov_b32_e32 v46, 0
	s_waitcnt vmcnt(0)
	v_cmp_ne_u16_e64 s[10:11], 0, v45
	s_and_saveexec_b64 s[48:49], s[10:11]
	s_cbranch_execz .LBB331_133
; %bb.128:                              ;   in Loop: Header=BB331_14 Depth=1
	v_cmp_ne_u16_e64 s[10:11], s62, v45
	v_bfrev_b32_e32 v46, 1
	s_and_saveexec_b64 s[50:51], s[10:11]
	s_cbranch_execz .LBB331_132
; %bb.129:                              ;   in Loop: Header=BB331_14 Depth=1
	v_and_b32_e32 v18, 0xffff, v45
	v_and_b32_e32 v47, 0x7f, v18
	v_cmp_ne_u32_e64 s[10:11], s63, v47
	v_mov_b32_e32 v46, 0x7f800001
	s_and_saveexec_b64 s[52:53], s[10:11]
	s_cbranch_execz .LBB331_131
; %bb.130:                              ;   in Loop: Header=BB331_14 Depth=1
	v_and_b32_e32 v46, 7, v18
	v_ffbh_u32_e32 v48, v46
	v_min_u32_e32 v51, 32, v48
	v_subrev_u32_e32 v48, 28, v51
	v_lshlrev_b64 v[48:49], v48, v[18:19]
	v_lshrrev_b32_e32 v50, 3, v47
	v_sub_u32_e32 v18, 29, v51
	v_and_b32_e32 v48, 7, v48
	v_cmp_gt_u32_e64 s[10:11], 8, v47
	v_cndmask_b32_e64 v18, v50, v18, s[10:11]
	v_cndmask_b32_e64 v46, v46, v48, s[10:11]
	v_lshlrev_b32_e32 v45, 24, v45
	v_lshlrev_b32_e32 v46, 20, v46
	v_and_b32_e32 v45, 0x80000000, v45
	v_lshl_add_u32 v18, v18, 23, v30
	v_or3_b32 v46, v45, v18, v46
.LBB331_131:                            ;   in Loop: Header=BB331_14 Depth=1
	s_or_b64 exec, exec, s[52:53]
.LBB331_132:                            ;   in Loop: Header=BB331_14 Depth=1
	s_or_b64 exec, exec, s[50:51]
.LBB331_133:                            ;   in Loop: Header=BB331_14 Depth=1
	s_or_b64 exec, exec, s[48:49]
	v_mul_f32_e32 v18, s66, v46
	v_and_b32_e32 v45, 0x7f800000, v18
	v_cmp_ne_u32_e64 s[10:11], s64, v45
                                        ; implicit-def: $vgpr45
	s_and_saveexec_b64 s[48:49], s[10:11]
	s_xor_b64 s[10:11], exec, s[48:49]
; %bb.134:                              ;   in Loop: Header=BB331_14 Depth=1
	v_bfe_u32 v45, v18, 16, 1
	v_add3_u32 v45, v18, v45, s65
                                        ; implicit-def: $vgpr18
; %bb.135:                              ;   in Loop: Header=BB331_14 Depth=1
	s_andn2_saveexec_b64 s[48:49], s[10:11]
; %bb.136:                              ;   in Loop: Header=BB331_14 Depth=1
	v_or_b32_e32 v45, 0x10000, v18
	v_cmp_eq_u32_sdwa s[10:11], v18, v21 src0_sel:WORD_0 src1_sel:DWORD
	v_cndmask_b32_e64 v45, v45, v18, s[10:11]
; %bb.137:                              ;   in Loop: Header=BB331_14 Depth=1
	s_or_b64 exec, exec, s[48:49]
	global_load_ubyte v46, v[16:17], off offset:768
	v_mov_b32_e32 v47, 0
	s_waitcnt vmcnt(0)
	v_cmp_ne_u16_e64 s[10:11], 0, v46
	s_and_saveexec_b64 s[48:49], s[10:11]
	s_cbranch_execz .LBB331_143
; %bb.138:                              ;   in Loop: Header=BB331_14 Depth=1
	v_cmp_ne_u16_e64 s[10:11], s62, v46
	v_bfrev_b32_e32 v47, 1
	s_and_saveexec_b64 s[50:51], s[10:11]
	s_cbranch_execz .LBB331_142
; %bb.139:                              ;   in Loop: Header=BB331_14 Depth=1
	v_and_b32_e32 v18, 0xffff, v46
	v_and_b32_e32 v48, 0x7f, v18
	v_cmp_ne_u32_e64 s[10:11], s63, v48
	v_mov_b32_e32 v47, 0x7f800001
	s_and_saveexec_b64 s[52:53], s[10:11]
	s_cbranch_execz .LBB331_141
; %bb.140:                              ;   in Loop: Header=BB331_14 Depth=1
	v_and_b32_e32 v47, 7, v18
	v_ffbh_u32_e32 v50, v47
	v_min_u32_e32 v52, 32, v50
	v_subrev_u32_e32 v50, 28, v52
	v_lshlrev_b64 v[50:51], v50, v[18:19]
	v_lshrrev_b32_e32 v49, 3, v48
	v_sub_u32_e32 v18, 29, v52
	v_and_b32_e32 v50, 7, v50
	v_cmp_gt_u32_e64 s[10:11], 8, v48
	v_cndmask_b32_e64 v18, v49, v18, s[10:11]
	v_cndmask_b32_e64 v47, v47, v50, s[10:11]
	v_lshlrev_b32_e32 v46, 24, v46
	v_lshlrev_b32_e32 v47, 20, v47
	v_and_b32_e32 v46, 0x80000000, v46
	v_lshl_add_u32 v18, v18, 23, v30
	v_or3_b32 v47, v46, v18, v47
.LBB331_141:                            ;   in Loop: Header=BB331_14 Depth=1
	s_or_b64 exec, exec, s[52:53]
.LBB331_142:                            ;   in Loop: Header=BB331_14 Depth=1
	s_or_b64 exec, exec, s[50:51]
.LBB331_143:                            ;   in Loop: Header=BB331_14 Depth=1
	s_or_b64 exec, exec, s[48:49]
	v_mul_f32_e32 v46, s66, v47
	v_and_b32_e32 v18, 0x7f800000, v46
	v_cmp_ne_u32_e64 s[10:11], s64, v18
                                        ; implicit-def: $vgpr18
	s_and_saveexec_b64 s[48:49], s[10:11]
	s_xor_b64 s[10:11], exec, s[48:49]
; %bb.144:                              ;   in Loop: Header=BB331_14 Depth=1
	v_bfe_u32 v18, v46, 16, 1
	v_add3_u32 v18, v46, v18, s65
                                        ; implicit-def: $vgpr46
; %bb.145:                              ;   in Loop: Header=BB331_14 Depth=1
	s_andn2_saveexec_b64 s[48:49], s[10:11]
; %bb.146:                              ;   in Loop: Header=BB331_14 Depth=1
	v_or_b32_e32 v18, 0x10000, v46
	v_cmp_eq_u32_sdwa s[10:11], v46, v21 src0_sel:WORD_0 src1_sel:DWORD
	v_cndmask_b32_e64 v18, v18, v46, s[10:11]
; %bb.147:                              ;   in Loop: Header=BB331_14 Depth=1
	s_or_b64 exec, exec, s[48:49]
	global_load_ubyte v17, v[16:17], off offset:776
	v_mov_b32_e32 v46, 0
	s_waitcnt vmcnt(0)
	v_cmp_ne_u16_e64 s[10:11], 0, v17
	s_and_saveexec_b64 s[48:49], s[10:11]
	s_cbranch_execz .LBB331_153
; %bb.148:                              ;   in Loop: Header=BB331_14 Depth=1
	v_cmp_ne_u16_e64 s[10:11], s62, v17
	v_bfrev_b32_e32 v46, 1
	s_and_saveexec_b64 s[50:51], s[10:11]
	s_cbranch_execz .LBB331_152
; %bb.149:                              ;   in Loop: Header=BB331_14 Depth=1
	v_and_b32_e32 v16, 0xffff, v17
	v_and_b32_e32 v47, 0x7f, v16
	v_cmp_ne_u32_e64 s[10:11], s63, v47
	v_mov_b32_e32 v46, 0x7f800001
	s_and_saveexec_b64 s[52:53], s[10:11]
	s_cbranch_execz .LBB331_151
; %bb.150:                              ;   in Loop: Header=BB331_14 Depth=1
	v_and_b32_e32 v46, 7, v16
	v_ffbh_u32_e32 v48, v46
	v_min_u32_e32 v51, 32, v48
	v_subrev_u32_e32 v48, 28, v51
	v_lshlrev_b64 v[48:49], v48, v[16:17]
	v_lshrrev_b32_e32 v50, 3, v47
	v_sub_u32_e32 v16, 29, v51
	v_and_b32_e32 v48, 7, v48
	v_cmp_gt_u32_e64 s[10:11], 8, v47
	v_cndmask_b32_e64 v16, v50, v16, s[10:11]
	v_cndmask_b32_e64 v46, v46, v48, s[10:11]
	v_lshlrev_b32_e32 v17, 24, v17
	v_lshlrev_b32_e32 v46, 20, v46
	v_and_b32_e32 v17, 0x80000000, v17
	v_lshl_add_u32 v16, v16, 23, v30
	v_or3_b32 v46, v17, v16, v46
.LBB331_151:                            ;   in Loop: Header=BB331_14 Depth=1
	s_or_b64 exec, exec, s[52:53]
.LBB331_152:                            ;   in Loop: Header=BB331_14 Depth=1
	s_or_b64 exec, exec, s[50:51]
.LBB331_153:                            ;   in Loop: Header=BB331_14 Depth=1
	s_or_b64 exec, exec, s[48:49]
	v_mul_f32_e32 v17, s66, v46
	v_and_b32_e32 v16, 0x7f800000, v17
	v_cmp_ne_u32_e64 s[10:11], s64, v16
                                        ; implicit-def: $vgpr16
	s_and_saveexec_b64 s[48:49], s[10:11]
	s_xor_b64 s[10:11], exec, s[48:49]
; %bb.154:                              ;   in Loop: Header=BB331_14 Depth=1
	v_bfe_u32 v16, v17, 16, 1
	v_add3_u32 v16, v17, v16, s65
                                        ; implicit-def: $vgpr17
; %bb.155:                              ;   in Loop: Header=BB331_14 Depth=1
	s_andn2_saveexec_b64 s[48:49], s[10:11]
; %bb.156:                              ;   in Loop: Header=BB331_14 Depth=1
	v_or_b32_e32 v16, 0x10000, v17
	v_cmp_eq_u32_sdwa s[10:11], v17, v21 src0_sel:WORD_0 src1_sel:DWORD
	v_cndmask_b32_e64 v16, v16, v17, s[10:11]
; %bb.157:                              ;   in Loop: Header=BB331_14 Depth=1
	s_or_b64 exec, exec, s[48:49]
	v_and_b32_e32 v17, 0xffff0000, v18
	v_and_b32_e32 v18, 0xffff0000, v45
	;; [unrolled: 1-line block ×3, first 2 shown]
	v_lshlrev_b32_e32 v45, 16, v14
	v_and_b32_e32 v14, 0xffff0000, v14
	v_and_b32_e32 v34, 0xffff0000, v34
	v_mul_f32_e32 v14, v14, v35
	v_and_b32_e32 v36, 0xffff0000, v36
	v_lshlrev_b32_e32 v46, 16, v15
	v_fmac_f32_e32 v14, v45, v34
	v_and_b32_e32 v37, 0xffff0000, v37
	v_and_b32_e32 v15, 0xffff0000, v15
	v_fmac_f32_e32 v14, v46, v36
	v_and_b32_e32 v38, 0xffff0000, v38
	v_lshlrev_b32_e32 v47, 16, v12
	v_fmac_f32_e32 v14, v15, v37
	v_and_b32_e32 v39, 0xffff0000, v39
	v_and_b32_e32 v12, 0xffff0000, v12
	v_fmac_f32_e32 v14, v47, v38
	;; [unrolled: 6-line block ×4, first 2 shown]
	v_and_b32_e32 v44, 0xffff0000, v44
	v_lshlrev_b32_e32 v50, 16, v9
	v_and_b32_e32 v52, 64, v31
	v_fmac_f32_e32 v14, v8, v43
	v_and_b32_e32 v9, 0xffff0000, v9
	v_add_u32_e32 v52, 64, v52
	v_xor_b32_e32 v53, 4, v31
	v_fmac_f32_e32 v14, v50, v44
	v_lshlrev_b32_e32 v51, 16, v33
	v_cmp_lt_i32_e64 s[10:11], v53, v52
	v_fmac_f32_e32 v14, v9, v18
	v_and_b32_e32 v33, 0xffff0000, v33
	v_cndmask_b32_e64 v53, v31, v53, s[10:11]
	v_and_b32_e32 v16, 0xffff0000, v16
	v_fmac_f32_e32 v14, v51, v17
	v_lshlrev_b32_e32 v53, 2, v53
	v_fmac_f32_e32 v14, v33, v16
	ds_bpermute_b32 v8, v53, v14
	v_xor_b32_e32 v9, 2, v31
	v_cmp_lt_i32_e64 s[10:11], v9, v52
	v_cndmask_b32_e64 v9, v31, v9, s[10:11]
	v_lshlrev_b32_e32 v9, 2, v9
	s_waitcnt lgkmcnt(0)
	v_add_f32_e32 v8, v14, v8
	ds_bpermute_b32 v9, v9, v8
	v_xor_b32_e32 v12, 1, v31
	v_cmp_lt_i32_e64 s[10:11], v12, v52
	v_cndmask_b32_e64 v12, v31, v12, s[10:11]
	v_lshlrev_b32_e32 v12, 2, v12
	s_waitcnt lgkmcnt(0)
	v_add_f32_e32 v8, v8, v9
	ds_bpermute_b32 v9, v12, v8
	s_and_saveexec_b64 s[48:49], vcc
	s_cbranch_execz .LBB331_12
; %bb.158:                              ;   in Loop: Header=BB331_14 Depth=1
	v_add_u32_e32 v12, v28, v26
	v_cvt_f32_i32_e32 v12, v12
	s_waitcnt lgkmcnt(0)
	v_add_f32_e32 v8, v8, v9
	v_add_u32_e32 v13, v20, v26
	v_cmp_gt_i32_e64 s[10:11], s33, v13
	v_mul_f32_e32 v9, s7, v12
	v_cndmask_b32_e64 v9, 0, v9, s[4:5]
	v_fmac_f32_e32 v9, s45, v8
	v_cndmask_b32_e64 v8, 0, v9, s[10:11]
	ds_write_b32 v27, v8
	v_max_f32_e32 v8, v25, v25
	v_max_f32_e32 v8, v8, v9
	v_cndmask_b32_e64 v25, v25, v8, s[10:11]
	s_branch .LBB331_12
.LBB331_159:
	s_or_b64 exec, exec, s[46:47]
.LBB331_160:
	s_or_b64 exec, exec, s[22:23]
	v_mbcnt_hi_u32_b32 v2, -1, v3
	v_and_b32_e32 v3, 64, v2
	v_add_u32_e32 v3, 64, v3
	v_xor_b32_e32 v4, 32, v2
	v_cmp_lt_i32_e32 vcc, v4, v3
	v_cndmask_b32_e32 v4, v2, v4, vcc
	v_lshlrev_b32_e32 v6, 2, v4
	ds_bpermute_b32 v4, v6, v25
	v_xor_b32_e32 v7, 16, v2
	v_max_f32_e32 v5, v25, v25
	v_cmp_lt_i32_e32 vcc, v7, v3
	v_and_b32_e32 v15, 63, v0
	s_waitcnt lgkmcnt(0)
	v_max_f32_e32 v4, v4, v4
	v_max_f32_e32 v4, v5, v4
	v_cndmask_b32_e32 v5, v2, v7, vcc
	v_lshlrev_b32_e32 v8, 2, v5
	ds_bpermute_b32 v5, v8, v4
	v_xor_b32_e32 v7, 8, v2
	v_cmp_lt_i32_e32 vcc, v7, v3
	s_waitcnt lgkmcnt(0)
	v_max_f32_e32 v5, v5, v5
	v_max_f32_e32 v4, v4, v5
	v_cndmask_b32_e32 v5, v2, v7, vcc
	v_lshlrev_b32_e32 v9, 2, v5
	ds_bpermute_b32 v7, v9, v4
	v_cmp_eq_u32_e32 vcc, 0, v15
	v_lshlrev_b32_e32 v5, 2, v23
	s_and_saveexec_b64 s[4:5], vcc
	s_cbranch_execz .LBB331_162
; %bb.161:
	s_waitcnt lgkmcnt(0)
	v_max_f32_e32 v7, v7, v7
	v_max_f32_e32 v4, v4, v4
	v_max_f32_e32 v4, v4, v7
	ds_write_b32 v5, v4 offset:224
.LBB331_162:
	s_or_b64 exec, exec, s[4:5]
	v_cmp_gt_u32_e64 s[4:5], 2, v15
	v_mov_b32_e32 v4, 0xff7fffff
	s_waitcnt lgkmcnt(0)
	v_lshlrev_b32_e32 v7, 2, v15
	s_barrier
	s_and_saveexec_b64 s[10:11], s[4:5]
	s_cbranch_execz .LBB331_164
; %bb.163:
	ds_read_b32 v4, v7 offset:224
.LBB331_164:
	s_or_b64 exec, exec, s[10:11]
	v_xor_b32_e32 v12, 1, v2
	v_cmp_lt_i32_e64 s[10:11], v12, v3
	v_cndmask_b32_e64 v12, v2, v12, s[10:11]
	v_lshlrev_b32_e32 v12, 2, v12
	s_waitcnt lgkmcnt(0)
	ds_bpermute_b32 v13, v12, v4
	v_max_f32_e32 v4, v4, v4
	s_sub_i32 s7, s56, s58
	s_lshl_b32 s7, s7, 3
	s_add_i32 s7, s7, s57
	s_waitcnt lgkmcnt(0)
	v_max_f32_e32 v13, v13, v13
	v_max_f32_e32 v4, v4, v13
	v_lshlrev_b32_e32 v13, 2, v2
	v_and_b32_e32 v13, 0x100, v13
	ds_bpermute_b32 v4, v13, v4
	s_min_i32 s45, s7, s33
	s_sub_i32 s7, s45, s57
	v_cmp_gt_i32_e64 s[10:11], s7, v0
	v_mov_b32_e32 v14, 0
	s_and_saveexec_b64 s[16:17], s[10:11]
	s_cbranch_execz .LBB331_168
; %bb.165:
	v_mov_b32_e32 v14, 0xf0
	v_lshl_add_u32 v16, v0, 2, v14
	s_mov_b64 s[22:23], 0
	v_mov_b32_e32 v14, 0
	v_mov_b32_e32 v17, v0
.LBB331_166:                            ; =>This Inner Loop Header: Depth=1
	ds_read_b32 v18, v16
	v_add_u32_e32 v17, 0x80, v17
	v_cmp_le_i32_e64 s[12:13], s7, v17
	s_or_b64 s[22:23], s[12:13], s[22:23]
	s_waitcnt lgkmcnt(0)
	v_sub_f32_e32 v18, v18, v4
	v_mul_f32_e32 v18, 0x3fb8aa3b, v18
	v_exp_f32_e32 v18, v18
	ds_write_b32 v16, v18
	v_add_f32_e32 v14, v14, v18
	v_add_u32_e32 v16, 0x200, v16
	s_andn2_b64 exec, exec, s[22:23]
	s_cbranch_execnz .LBB331_166
; %bb.167:
	s_or_b64 exec, exec, s[22:23]
.LBB331_168:
	s_or_b64 exec, exec, s[16:17]
	ds_bpermute_b32 v6, v6, v14
	s_waitcnt lgkmcnt(0)
	v_add_f32_e32 v6, v14, v6
	ds_bpermute_b32 v8, v8, v6
	s_waitcnt lgkmcnt(0)
	v_add_f32_e32 v6, v6, v8
	ds_bpermute_b32 v8, v9, v6
	v_xor_b32_e32 v9, 4, v2
	v_cmp_lt_i32_e64 s[12:13], v9, v3
	v_cndmask_b32_e64 v9, v2, v9, s[12:13]
	v_lshlrev_b32_e32 v9, 2, v9
	s_waitcnt lgkmcnt(0)
	v_add_f32_e32 v6, v6, v8
	ds_bpermute_b32 v8, v9, v6
	v_xor_b32_e32 v9, 2, v2
	v_cmp_lt_i32_e64 s[12:13], v9, v3
	v_cndmask_b32_e64 v2, v2, v9, s[12:13]
	v_lshlrev_b32_e32 v2, 2, v2
	s_waitcnt lgkmcnt(0)
	v_add_f32_e32 v3, v6, v8
	ds_bpermute_b32 v2, v2, v3
	s_waitcnt lgkmcnt(0)
	v_add_f32_e32 v2, v3, v2
	ds_bpermute_b32 v3, v12, v2
	s_waitcnt lgkmcnt(0)
	v_add_f32_e32 v2, v2, v3
	s_and_saveexec_b64 s[12:13], vcc
	s_cbranch_execz .LBB331_170
; %bb.169:
	ds_write_b32 v5, v2 offset:232
.LBB331_170:
	s_or_b64 exec, exec, s[12:13]
	s_waitcnt lgkmcnt(0)
	s_barrier
	s_and_saveexec_b64 s[12:13], s[4:5]
	s_cbranch_execz .LBB331_172
; %bb.171:
	ds_read_b32 v2, v7 offset:232
.LBB331_172:
	s_or_b64 exec, exec, s[12:13]
	s_waitcnt lgkmcnt(0)
	ds_bpermute_b32 v3, v12, v2
	s_waitcnt lgkmcnt(0)
	v_add_f32_e32 v2, v2, v3
	ds_bpermute_b32 v5, v13, v2
	s_and_saveexec_b64 s[4:5], s[10:11]
	s_cbranch_execz .LBB331_185
; %bb.173:
	s_waitcnt lgkmcnt(0)
	v_add_f32_e32 v2, 0x358637bd, v5
	v_div_scale_f32 v3, s[10:11], v2, v2, 1.0
	v_rcp_f32_e32 v6, v3
	v_div_scale_f32 v7, vcc, 1.0, v2, 1.0
	s_movk_i32 s10, 0x7f
	v_fma_f32 v8, -v3, v6, 1.0
	v_fmac_f32_e32 v6, v8, v6
	v_mul_f32_e32 v8, v7, v6
	v_fma_f32 v9, -v3, v8, v7
	v_fmac_f32_e32 v8, v9, v6
	v_fma_f32 v3, -v3, v8, v7
	v_div_fmas_f32 v3, v3, v6, v8
	v_div_fixup_f32 v2, v3, v2, 1.0
	v_xad_u32 v3, v0, -1, s45
	v_subrev_u32_e32 v6, s57, v3
	v_cmp_lt_u32_e32 vcc, s10, v6
	s_mov_b64 s[12:13], -1
	v_mov_b32_e32 v3, v0
	s_and_saveexec_b64 s[10:11], vcc
	s_cbranch_execz .LBB331_182
; %bb.174:
	v_lshrrev_b32_e32 v6, 7, v6
	v_add_u32_e32 v8, -1, v6
	v_lshrrev_b32_e32 v7, 1, v8
	v_mov_b32_e32 v3, v2
	v_add_u32_e32 v7, 1, v7
	v_cmp_lt_u32_e32 vcc, 13, v8
	v_mov_b32_e32 v12, 0
	s_and_saveexec_b64 s[12:13], vcc
	s_cbranch_execz .LBB331_178
; %bb.175:
	v_mov_b32_e32 v9, 0xf0
	v_and_b32_e32 v8, -8, v7
	v_lshl_add_u32 v9, v0, 2, v9
	s_mov_b32 s22, 0
	s_mov_b64 s[16:17], 0
.LBB331_176:                            ; =>This Inner Loop Header: Depth=1
	ds_read2st64_b32 v[12:13], v9 offset1:2
	ds_read2st64_b32 v[16:17], v9 offset0:4 offset1:6
	ds_read2st64_b32 v[20:21], v9 offset0:8 offset1:10
	;; [unrolled: 1-line block ×3, first 2 shown]
	v_add_u32_e32 v8, -8, v8
	s_waitcnt lgkmcnt(3)
	v_pk_mul_f32 v[12:13], v[2:3], v[12:13]
	s_waitcnt lgkmcnt(2)
	v_pk_mul_f32 v[16:17], v[2:3], v[16:17]
	ds_write2st64_b32 v9, v12, v13 offset1:2
	ds_write2st64_b32 v9, v16, v17 offset0:4 offset1:6
	ds_read2st64_b32 v[16:17], v9 offset0:16 offset1:18
	s_waitcnt lgkmcnt(4)
	v_pk_mul_f32 v[12:13], v[2:3], v[20:21]
	ds_write2st64_b32 v9, v12, v13 offset0:8 offset1:10
	s_waitcnt lgkmcnt(4)
	v_pk_mul_f32 v[12:13], v[2:3], v[24:25]
	ds_write2st64_b32 v9, v12, v13 offset0:12 offset1:14
	ds_read2st64_b32 v[12:13], v9 offset0:20 offset1:22
	s_waitcnt lgkmcnt(3)
	v_pk_mul_f32 v[16:17], v[2:3], v[16:17]
	ds_read2st64_b32 v[20:21], v9 offset0:24 offset1:26
	ds_write2st64_b32 v9, v16, v17 offset0:16 offset1:18
	ds_read2st64_b32 v[16:17], v9 offset0:28 offset1:30
	s_waitcnt lgkmcnt(3)
	v_pk_mul_f32 v[12:13], v[2:3], v[12:13]
	ds_write2st64_b32 v9, v12, v13 offset0:20 offset1:22
	s_waitcnt lgkmcnt(3)
	v_pk_mul_f32 v[12:13], v[2:3], v[20:21]
	ds_write2st64_b32 v9, v12, v13 offset0:24 offset1:26
	s_waitcnt lgkmcnt(2)
	v_pk_mul_f32 v[12:13], v[2:3], v[16:17]
	s_add_i32 s22, s22, 16
	v_cmp_eq_u32_e32 vcc, 0, v8
	ds_write2st64_b32 v9, v12, v13 offset0:28 offset1:30
	v_add_u32_e32 v9, 0x2000, v9
	s_or_b64 s[16:17], vcc, s[16:17]
	v_mov_b32_e32 v12, s22
	s_andn2_b64 exec, exec, s[16:17]
	s_cbranch_execnz .LBB331_176
; %bb.177:
	s_or_b64 exec, exec, s[16:17]
.LBB331_178:
	s_or_b64 exec, exec, s[12:13]
	v_and_b32_e32 v7, 7, v7
	v_cmp_ne_u32_e32 vcc, 0, v7
	s_and_saveexec_b64 s[12:13], vcc
	s_cbranch_execz .LBB331_181
; %bb.179:
	v_lshlrev_b32_e32 v8, 9, v12
	v_lshlrev_b32_e32 v9, 2, v0
	s_movk_i32 s16, 0xf0
	v_add3_u32 v8, v8, v9, s16
	s_mov_b64 s[16:17], 0
.LBB331_180:                            ; =>This Inner Loop Header: Depth=1
	ds_read2st64_b32 v[12:13], v8 offset1:2
	v_add_u32_e32 v7, -1, v7
	v_cmp_eq_u32_e32 vcc, 0, v7
	s_or_b64 s[16:17], vcc, s[16:17]
	s_waitcnt lgkmcnt(0)
	v_pk_mul_f32 v[12:13], v[2:3], v[12:13]
	ds_write2st64_b32 v8, v12, v13 offset1:2
	v_add_u32_e32 v8, 0x400, v8
	s_andn2_b64 exec, exec, s[16:17]
	s_cbranch_execnz .LBB331_180
.LBB331_181:
	s_or_b64 exec, exec, s[12:13]
	v_add_u32_e32 v6, 1, v6
	v_and_b32_e32 v7, 0x3fffffe, v6
	v_cmp_ne_u32_e32 vcc, v6, v7
	v_lshl_add_u32 v3, v7, 7, v0
	s_orn2_b64 s[12:13], vcc, exec
.LBB331_182:
	s_or_b64 exec, exec, s[10:11]
	s_and_b64 exec, exec, s[12:13]
	s_cbranch_execz .LBB331_185
; %bb.183:
	v_mov_b32_e32 v6, 0xf0
	v_lshl_add_u32 v6, v3, 2, v6
	s_mov_b64 s[10:11], 0
.LBB331_184:                            ; =>This Inner Loop Header: Depth=1
	ds_read_b32 v7, v6
	v_add_u32_e32 v3, 0x80, v3
	v_cmp_le_i32_e32 vcc, s7, v3
	s_or_b64 s[10:11], vcc, s[10:11]
	s_waitcnt lgkmcnt(0)
	v_mul_f32_e32 v7, v2, v7
	ds_write_b32 v6, v7
	v_add_u32_e32 v6, 0x200, v6
	s_andn2_b64 exec, exec, s[10:11]
	s_cbranch_execnz .LBB331_184
.LBB331_185:
	s_or_b64 exec, exec, s[4:5]
	s_mul_i32 s4, s15, s36
	v_cmp_eq_u32_e32 vcc, 0, v0
	s_mul_i32 s10, s4, s9
	s_waitcnt lgkmcnt(0)
	s_barrier
	s_and_saveexec_b64 s[4:5], vcc
	s_cbranch_execz .LBB331_187
; %bb.186:
	s_ashr_i32 s11, s10, 31
	s_lshl_b64 s[12:13], s[10:11], 2
	s_add_u32 s9, s30, s12
	s_mul_i32 s6, s15, s6
	s_addc_u32 s11, s31, s13
	s_ashr_i32 s7, s6, 31
	s_lshl_b64 s[6:7], s[6:7], 2
	s_add_u32 s22, s9, s6
	s_addc_u32 s11, s11, s7
	s_ashr_i32 s9, s8, 31
	s_lshl_b64 s[16:17], s[8:9], 2
	s_add_u32 s22, s22, s16
	s_addc_u32 s23, s11, s17
	s_add_u32 s9, s28, s12
	s_addc_u32 s11, s29, s13
	;; [unrolled: 2-line block ×3, first 2 shown]
	s_add_u32 s6, s6, s16
	v_mov_b32_e32 v2, 0
	s_addc_u32 s7, s7, s17
	global_store_dword v2, v4, s[22:23]
	global_store_dword v2, v5, s[6:7]
.LBB331_187:
	s_or_b64 exec, exec, s[4:5]
	v_mov_b32_e32 v13, 0
	v_mov_b32_e32 v12, v13
	s_and_saveexec_b64 s[6:7], s[2:3]
	s_cbranch_execz .LBB331_455
; %bb.188:
	s_sub_i32 s9, s24, s25
	s_ashr_i32 s2, s27, 31
	s_add_u32 s12, s42, s27
	s_addc_u32 s13, s43, s2
	s_abs_i32 s36, s26
	v_cvt_f32_u32_e32 v2, s36
	v_or_b32_e32 v3, 64, v15
	s_movk_i32 s2, 0x70
	v_cmp_gt_u32_e32 vcc, s2, v3
	v_rcp_iflag_f32_e32 v2, v2
	s_sub_i32 s2, 0, s36
	s_add_i32 s42, s20, -1
	v_lshlrev_b32_e32 v18, 3, v3
	v_mul_f32_e32 v2, 0x4f7ffffe, v2
	v_cvt_u32_f32_e32 v2, v2
	s_mov_b32 s16, -1
	v_mov_b32_e32 v17, 0
	s_mov_b32 s11, s21
	v_mul_lo_u32 v3, s2, v2
	s_lshl_b64 s[2:3], s[40:41], 2
	v_mul_hi_u32 v3, v2, v3
	s_add_u32 s2, s38, s2
	v_add_u32_e32 v22, v2, v3
	v_lshlrev_b64 v[2:3], 2, v[10:11]
	s_addc_u32 s3, s39, s3
	v_mov_b32_e32 v4, s3
	v_add_co_u32_e64 v20, s[2:3], s2, v2
	v_mov_b32_e32 v2, 0xf0
	s_mov_b32 s17, 0xffffff
	v_lshlrev_b32_e32 v14, 3, v15
	v_addc_co_u32_e64 v21, s[2:3], v4, v3, s[2:3]
	v_lshl_add_u32 v11, v23, 5, v2
	s_mov_b64 s[20:21], 0
	s_mov_b32 s38, 0x7f800000
	s_movk_i32 s39, 0x7fff
	s_movk_i32 s40, 0x80
	;; [unrolled: 1-line block ×3, first 2 shown]
	v_bfrev_b32_e32 v23, 60
	v_mov_b32_e32 v12, v17
	v_mov_b32_e32 v13, v17
	s_branch .LBB331_192
.LBB331_189:                            ;   in Loop: Header=BB331_192 Depth=1
	s_or_b64 exec, exec, s[4:5]
	v_and_b32_e32 v26, 0xffff0000, v9
	v_and_b32_e32 v9, 0xffff0000, v8
	;; [unrolled: 1-line block ×5, first 2 shown]
	v_pk_add_f32 v[2:3], v[6:7], v[8:9]
	v_and_b32_e32 v25, 0xffff0000, v24
	v_and_b32_e32 v24, 0xffff0000, v16
	;; [unrolled: 1-line block ×3, first 2 shown]
	v_mov_b32_e32 v6, v3
	v_pk_add_f32 v[2:3], v[2:3], v[6:7]
	v_pk_add_f32 v[6:7], v[26:27], v[24:25]
	;; [unrolled: 1-line block ×3, first 2 shown]
	v_mov_b32_e32 v6, v7
	v_pk_add_f32 v[2:3], v[2:3], v[6:7]
	v_mov_b32_e32 v3, v2
	v_pk_add_f32 v[12:13], v[12:13], v[2:3]
.LBB331_190:                            ;   in Loop: Header=BB331_192 Depth=1
	s_or_b64 exec, exec, s[24:25]
	v_mov_b32_e32 v12, v4
.LBB331_191:                            ;   in Loop: Header=BB331_192 Depth=1
	s_or_b64 exec, exec, s[22:23]
	v_add_co_u32_e64 v20, s[2:3], 8, v20
	v_add_u32_e32 v10, 2, v10
	v_addc_co_u32_e64 v21, s[2:3], 0, v21, s[2:3]
	v_cmp_le_i32_e64 s[2:3], s56, v10
	v_add_u32_e32 v19, 16, v19
	s_or_b64 s[20:21], s[2:3], s[20:21]
	v_add_u32_e32 v11, 64, v11
	s_andn2_b64 exec, exec, s[20:21]
	s_cbranch_execz .LBB331_454
.LBB331_192:                            ; =>This Inner Loop Header: Depth=1
	v_sub_u32_e32 v3, 0, v19
	v_max_i32_e32 v3, v19, v3
	v_mul_hi_u32 v4, v3, s54
	v_mul_lo_u32 v5, v4, s37
	v_sub_u32_e32 v3, v3, v5
	v_add_u32_e32 v5, 1, v4
	v_cmp_le_u32_e64 s[2:3], s37, v3
	v_cndmask_b32_e64 v4, v4, v5, s[2:3]
	v_subrev_u32_e32 v5, s37, v3
	v_cndmask_b32_e64 v3, v3, v5, s[2:3]
	v_ashrrev_i32_e32 v2, 31, v19
	v_add_u32_e32 v5, 1, v4
	v_cmp_le_u32_e64 s[2:3], s37, v3
	v_xor_b32_e32 v2, s55, v2
	v_cndmask_b32_e64 v3, v4, v5, s[2:3]
	v_xor_b32_e32 v3, v3, v2
	v_sub_u32_e32 v2, v3, v2
	v_add_u32_e32 v3, s44, v2
	v_sub_u32_e32 v5, 0, v3
	v_ashrrev_i32_e32 v4, 31, v3
	v_max_i32_e32 v3, v3, v5
	v_mul_hi_u32 v5, v3, v22
	v_mul_lo_u32 v5, v5, s36
	v_sub_u32_e32 v3, v3, v5
	v_subrev_u32_e32 v5, s36, v3
	v_cmp_le_u32_e64 s[2:3], s36, v3
	v_cndmask_b32_e64 v3, v3, v5, s[2:3]
	v_subrev_u32_e32 v5, s36, v3
	v_cmp_le_u32_e64 s[2:3], s36, v3
	v_cndmask_b32_e64 v3, v3, v5, s[2:3]
	v_xor_b32_e32 v3, v3, v4
	v_sub_u32_e32 v3, v3, v4
	v_cmp_eq_u32_e64 s[2:3], 0, v3
	v_cmp_lt_i32_e64 s[4:5], s9, v2
	s_or_b64 s[2:3], s[2:3], s[4:5]
	s_and_saveexec_b64 s[22:23], s[2:3]
	s_cbranch_execz .LBB331_191
; %bb.193:                              ;   in Loop: Header=BB331_192 Depth=1
	global_load_dword v16, v[20:21], off
	ds_read2_b64 v[6:9], v11 offset1:1
	ds_read2_b64 v[2:5], v11 offset0:2 offset1:3
                                        ; implicit-def: $vgpr31
	s_waitcnt lgkmcnt(1)
	v_and_b32_e32 v24, 0x7f800000, v6
	v_cmp_ne_u32_e64 s[2:3], s38, v24
	s_and_saveexec_b64 s[4:5], s[2:3]
	s_xor_b64 s[2:3], exec, s[4:5]
; %bb.194:                              ;   in Loop: Header=BB331_192 Depth=1
	v_bfe_u32 v24, v6, 16, 1
	v_add3_u32 v31, v6, v24, s39
; %bb.195:                              ;   in Loop: Header=BB331_192 Depth=1
	s_andn2_saveexec_b64 s[4:5], s[2:3]
; %bb.196:                              ;   in Loop: Header=BB331_192 Depth=1
	v_or_b32_e32 v24, 0x10000, v6
	v_cmp_eq_u32_sdwa s[2:3], v6, v17 src0_sel:WORD_0 src1_sel:DWORD
	v_cndmask_b32_e64 v31, v24, v6, s[2:3]
; %bb.197:                              ;   in Loop: Header=BB331_192 Depth=1
	s_or_b64 exec, exec, s[4:5]
	v_and_b32_e32 v6, 0x7f800000, v7
	v_cmp_ne_u32_e64 s[2:3], s38, v6
                                        ; implicit-def: $vgpr30
	s_and_saveexec_b64 s[4:5], s[2:3]
	s_xor_b64 s[2:3], exec, s[4:5]
; %bb.198:                              ;   in Loop: Header=BB331_192 Depth=1
	v_bfe_u32 v6, v7, 16, 1
	v_add3_u32 v30, v7, v6, s39
; %bb.199:                              ;   in Loop: Header=BB331_192 Depth=1
	s_andn2_saveexec_b64 s[4:5], s[2:3]
; %bb.200:                              ;   in Loop: Header=BB331_192 Depth=1
	v_or_b32_e32 v6, 0x10000, v7
	v_cmp_eq_u32_sdwa s[2:3], v7, v17 src0_sel:WORD_0 src1_sel:DWORD
	v_cndmask_b32_e64 v30, v6, v7, s[2:3]
; %bb.201:                              ;   in Loop: Header=BB331_192 Depth=1
	s_or_b64 exec, exec, s[4:5]
	v_and_b32_e32 v6, 0x7f800000, v8
	v_cmp_ne_u32_e64 s[2:3], s38, v6
                                        ; implicit-def: $vgpr29
	s_and_saveexec_b64 s[4:5], s[2:3]
	s_xor_b64 s[2:3], exec, s[4:5]
; %bb.202:                              ;   in Loop: Header=BB331_192 Depth=1
	v_bfe_u32 v6, v8, 16, 1
	v_add3_u32 v29, v8, v6, s39
; %bb.203:                              ;   in Loop: Header=BB331_192 Depth=1
	s_andn2_saveexec_b64 s[4:5], s[2:3]
; %bb.204:                              ;   in Loop: Header=BB331_192 Depth=1
	v_or_b32_e32 v6, 0x10000, v8
	v_cmp_eq_u32_sdwa s[2:3], v8, v17 src0_sel:WORD_0 src1_sel:DWORD
	v_cndmask_b32_e64 v29, v6, v8, s[2:3]
; %bb.205:                              ;   in Loop: Header=BB331_192 Depth=1
	s_or_b64 exec, exec, s[4:5]
	v_and_b32_e32 v6, 0x7f800000, v9
	v_cmp_ne_u32_e64 s[2:3], s38, v6
                                        ; implicit-def: $vgpr24
	s_and_saveexec_b64 s[4:5], s[2:3]
	s_xor_b64 s[2:3], exec, s[4:5]
; %bb.206:                              ;   in Loop: Header=BB331_192 Depth=1
	v_bfe_u32 v6, v9, 16, 1
	v_add3_u32 v24, v9, v6, s39
                                        ; implicit-def: $vgpr6_vgpr7_vgpr8_vgpr9
; %bb.207:                              ;   in Loop: Header=BB331_192 Depth=1
	s_andn2_saveexec_b64 s[4:5], s[2:3]
; %bb.208:                              ;   in Loop: Header=BB331_192 Depth=1
	v_or_b32_e32 v6, 0x10000, v9
	v_cmp_eq_u32_sdwa s[2:3], v9, v17 src0_sel:WORD_0 src1_sel:DWORD
	v_cndmask_b32_e64 v24, v6, v9, s[2:3]
; %bb.209:                              ;   in Loop: Header=BB331_192 Depth=1
	s_or_b64 exec, exec, s[4:5]
	s_waitcnt lgkmcnt(0)
	v_and_b32_e32 v6, 0x7f800000, v2
	v_cmp_ne_u32_e64 s[2:3], s38, v6
                                        ; implicit-def: $vgpr25
	s_and_saveexec_b64 s[4:5], s[2:3]
	s_xor_b64 s[2:3], exec, s[4:5]
; %bb.210:                              ;   in Loop: Header=BB331_192 Depth=1
	v_bfe_u32 v6, v2, 16, 1
	v_add3_u32 v25, v2, v6, s39
; %bb.211:                              ;   in Loop: Header=BB331_192 Depth=1
	s_andn2_saveexec_b64 s[4:5], s[2:3]
; %bb.212:                              ;   in Loop: Header=BB331_192 Depth=1
	v_or_b32_e32 v6, 0x10000, v2
	v_cmp_eq_u32_sdwa s[2:3], v2, v17 src0_sel:WORD_0 src1_sel:DWORD
	v_cndmask_b32_e64 v25, v6, v2, s[2:3]
; %bb.213:                              ;   in Loop: Header=BB331_192 Depth=1
	s_or_b64 exec, exec, s[4:5]
	v_and_b32_e32 v2, 0x7f800000, v3
	v_cmp_ne_u32_e64 s[2:3], s38, v2
                                        ; implicit-def: $vgpr26
	s_and_saveexec_b64 s[4:5], s[2:3]
	s_xor_b64 s[2:3], exec, s[4:5]
; %bb.214:                              ;   in Loop: Header=BB331_192 Depth=1
	v_bfe_u32 v2, v3, 16, 1
	v_add3_u32 v26, v3, v2, s39
; %bb.215:                              ;   in Loop: Header=BB331_192 Depth=1
	s_andn2_saveexec_b64 s[4:5], s[2:3]
; %bb.216:                              ;   in Loop: Header=BB331_192 Depth=1
	v_or_b32_e32 v2, 0x10000, v3
	v_cmp_eq_u32_sdwa s[2:3], v3, v17 src0_sel:WORD_0 src1_sel:DWORD
	v_cndmask_b32_e64 v26, v2, v3, s[2:3]
; %bb.217:                              ;   in Loop: Header=BB331_192 Depth=1
	s_or_b64 exec, exec, s[4:5]
	v_and_b32_e32 v2, 0x7f800000, v4
	v_cmp_ne_u32_e64 s[2:3], s38, v2
                                        ; implicit-def: $vgpr27
	s_and_saveexec_b64 s[4:5], s[2:3]
	s_xor_b64 s[2:3], exec, s[4:5]
; %bb.218:                              ;   in Loop: Header=BB331_192 Depth=1
	v_bfe_u32 v2, v4, 16, 1
	v_add3_u32 v27, v4, v2, s39
; %bb.219:                              ;   in Loop: Header=BB331_192 Depth=1
	s_andn2_saveexec_b64 s[4:5], s[2:3]
; %bb.220:                              ;   in Loop: Header=BB331_192 Depth=1
	v_or_b32_e32 v2, 0x10000, v4
	v_cmp_eq_u32_sdwa s[2:3], v4, v17 src0_sel:WORD_0 src1_sel:DWORD
	v_cndmask_b32_e64 v27, v2, v4, s[2:3]
; %bb.221:                              ;   in Loop: Header=BB331_192 Depth=1
	s_or_b64 exec, exec, s[4:5]
	v_and_b32_e32 v2, 0x7f800000, v5
	v_cmp_ne_u32_e64 s[2:3], s38, v2
                                        ; implicit-def: $vgpr28
	s_and_saveexec_b64 s[4:5], s[2:3]
	s_xor_b64 s[2:3], exec, s[4:5]
; %bb.222:                              ;   in Loop: Header=BB331_192 Depth=1
	v_bfe_u32 v2, v5, 16, 1
	v_add3_u32 v28, v5, v2, s39
                                        ; implicit-def: $vgpr2_vgpr3_vgpr4_vgpr5
; %bb.223:                              ;   in Loop: Header=BB331_192 Depth=1
	s_andn2_saveexec_b64 s[4:5], s[2:3]
; %bb.224:                              ;   in Loop: Header=BB331_192 Depth=1
	v_or_b32_e32 v2, 0x10000, v5
	v_cmp_eq_u32_sdwa s[2:3], v5, v17 src0_sel:WORD_0 src1_sel:DWORD
	v_cndmask_b32_e64 v28, v2, v5, s[2:3]
; %bb.225:                              ;   in Loop: Header=BB331_192 Depth=1
	s_or_b64 exec, exec, s[4:5]
	v_pk_mov_b32 v[2:3], s[12:13], s[12:13] op_sel:[0,1]
	s_waitcnt vmcnt(0)
	v_mad_i64_i32 v[2:3], s[2:3], v16, s11, v[2:3]
	v_add_co_u32_e64 v4, s[2:3], v2, v14
	v_addc_co_u32_e64 v5, s[2:3], 0, v3, s[2:3]
	global_load_dwordx2 v[4:5], v[4:5], off
	s_load_dword s43, s[18:19], 0x0
	v_mov_b32_e32 v6, 0
	s_waitcnt vmcnt(0)
	v_cmp_ne_u16_sdwa s[2:3], v4, v17 src0_sel:BYTE_0 src1_sel:DWORD
	s_and_saveexec_b64 s[4:5], s[2:3]
	s_cbranch_execz .LBB331_231
; %bb.226:                              ;   in Loop: Header=BB331_192 Depth=1
	v_cmp_ne_u16_sdwa s[2:3], v4, s40 src0_sel:BYTE_0 src1_sel:DWORD
	v_bfrev_b32_e32 v6, 1
	s_and_saveexec_b64 s[24:25], s[2:3]
	s_cbranch_execz .LBB331_230
; %bb.227:                              ;   in Loop: Header=BB331_192 Depth=1
	v_and_b32_e32 v7, 0x7f, v4
	v_cmp_ne_u32_e64 s[2:3], s41, v7
	v_mov_b32_e32 v6, 0x7f800001
	s_and_saveexec_b64 s[26:27], s[2:3]
	s_cbranch_execz .LBB331_229
; %bb.228:                              ;   in Loop: Header=BB331_192 Depth=1
	v_and_b32_e32 v6, 7, v4
	v_ffbh_u32_e32 v6, v6
	v_min_u32_e32 v6, 32, v6
	v_lshrrev_b32_e32 v8, 3, v7
	v_subrev_u32_e32 v9, 28, v6
	v_sub_u32_e32 v6, 29, v6
	v_cmp_gt_u32_e64 s[2:3], 8, v7
	v_cndmask_b32_e64 v8, v8, v6, s[2:3]
	v_cndmask_b32_e64 v6, 0, v9, s[2:3]
	v_lshlrev_b64 v[6:7], v6, v[4:5]
	v_lshlrev_b32_e32 v6, 20, v6
	v_lshlrev_b32_e32 v7, 24, v4
	v_and_b32_e32 v6, 0x700000, v6
	v_and_b32_e32 v7, 0x80000000, v7
	v_lshl_add_u32 v8, v8, 23, v23
	v_or3_b32 v6, v7, v8, v6
.LBB331_229:                            ;   in Loop: Header=BB331_192 Depth=1
	s_or_b64 exec, exec, s[26:27]
.LBB331_230:                            ;   in Loop: Header=BB331_192 Depth=1
	s_or_b64 exec, exec, s[24:25]
.LBB331_231:                            ;   in Loop: Header=BB331_192 Depth=1
	s_or_b64 exec, exec, s[4:5]
	s_waitcnt lgkmcnt(0)
	v_mul_f32_e32 v6, s43, v6
	v_and_b32_e32 v7, 0x7f800000, v6
	v_cmp_ne_u32_e64 s[2:3], s38, v7
                                        ; implicit-def: $vgpr7
	s_and_saveexec_b64 s[4:5], s[2:3]
	s_xor_b64 s[2:3], exec, s[4:5]
; %bb.232:                              ;   in Loop: Header=BB331_192 Depth=1
	v_bfe_u32 v7, v6, 16, 1
	v_add3_u32 v7, v6, v7, s39
                                        ; implicit-def: $vgpr6
; %bb.233:                              ;   in Loop: Header=BB331_192 Depth=1
	s_andn2_saveexec_b64 s[4:5], s[2:3]
; %bb.234:                              ;   in Loop: Header=BB331_192 Depth=1
	v_or_b32_e32 v7, 0x10000, v6
	v_cmp_eq_u32_sdwa s[2:3], v6, v17 src0_sel:WORD_0 src1_sel:DWORD
	v_cndmask_b32_e64 v7, v7, v6, s[2:3]
; %bb.235:                              ;   in Loop: Header=BB331_192 Depth=1
	s_or_b64 exec, exec, s[4:5]
	v_lshrrev_b16_e32 v6, 8, v4
	v_cmp_ne_u16_e64 s[2:3], 0, v6
	v_mov_b32_e32 v8, 0
	s_and_saveexec_b64 s[4:5], s[2:3]
	s_cbranch_execz .LBB331_241
; %bb.236:                              ;   in Loop: Header=BB331_192 Depth=1
	v_cmp_ne_u16_e64 s[2:3], s40, v6
	v_bfrev_b32_e32 v8, 1
	s_and_saveexec_b64 s[24:25], s[2:3]
	s_cbranch_execz .LBB331_240
; %bb.237:                              ;   in Loop: Header=BB331_192 Depth=1
	v_and_b32_e32 v9, 0x7f, v6
	v_cmp_ne_u32_e64 s[2:3], s41, v9
	v_mov_b32_e32 v8, 0x7f800001
	s_and_saveexec_b64 s[26:27], s[2:3]
	s_cbranch_execz .LBB331_239
; %bb.238:                              ;   in Loop: Header=BB331_192 Depth=1
	v_and_b32_e32 v8, 7, v6
	v_ffbh_u32_e32 v32, v8
	v_min_u32_e32 v34, 32, v32
	v_subrev_u32_e32 v32, 28, v34
	v_lshlrev_b64 v[32:33], v32, v[6:7]
	v_lshrrev_b32_e32 v16, 3, v9
	v_sub_u32_e32 v6, 29, v34
	v_and_b32_e32 v32, 7, v32
	v_cmp_gt_u32_e64 s[2:3], 8, v9
	v_cndmask_b32_e64 v6, v16, v6, s[2:3]
	v_cndmask_b32_e64 v8, v8, v32, s[2:3]
	v_lshlrev_b32_e32 v9, 16, v4
	v_lshlrev_b32_e32 v8, 20, v8
	v_and_b32_e32 v9, 0x80000000, v9
	v_lshl_add_u32 v6, v6, 23, v23
	v_or3_b32 v8, v9, v6, v8
.LBB331_239:                            ;   in Loop: Header=BB331_192 Depth=1
	s_or_b64 exec, exec, s[26:27]
.LBB331_240:                            ;   in Loop: Header=BB331_192 Depth=1
	s_or_b64 exec, exec, s[24:25]
.LBB331_241:                            ;   in Loop: Header=BB331_192 Depth=1
	s_or_b64 exec, exec, s[4:5]
	v_mul_f32_e32 v6, s43, v8
	v_and_b32_e32 v8, 0x7f800000, v6
	v_cmp_ne_u32_e64 s[2:3], s38, v8
                                        ; implicit-def: $vgpr8
	s_and_saveexec_b64 s[4:5], s[2:3]
	s_xor_b64 s[2:3], exec, s[4:5]
; %bb.242:                              ;   in Loop: Header=BB331_192 Depth=1
	v_bfe_u32 v8, v6, 16, 1
	v_add3_u32 v8, v6, v8, s39
                                        ; implicit-def: $vgpr6
; %bb.243:                              ;   in Loop: Header=BB331_192 Depth=1
	s_andn2_saveexec_b64 s[4:5], s[2:3]
; %bb.244:                              ;   in Loop: Header=BB331_192 Depth=1
	v_or_b32_e32 v8, 0x10000, v6
	v_cmp_eq_u32_sdwa s[2:3], v6, v17 src0_sel:WORD_0 src1_sel:DWORD
	v_cndmask_b32_e64 v8, v8, v6, s[2:3]
; %bb.245:                              ;   in Loop: Header=BB331_192 Depth=1
	s_or_b64 exec, exec, s[4:5]
	v_lshrrev_b32_e32 v6, 16, v4
	v_cmp_ne_u16_sdwa s[2:3], v6, v17 src0_sel:BYTE_0 src1_sel:DWORD
	v_mov_b32_e32 v9, 0
	s_and_saveexec_b64 s[4:5], s[2:3]
	s_cbranch_execz .LBB331_251
; %bb.246:                              ;   in Loop: Header=BB331_192 Depth=1
	v_cmp_ne_u16_sdwa s[2:3], v6, s40 src0_sel:BYTE_0 src1_sel:DWORD
	v_bfrev_b32_e32 v9, 1
	s_and_saveexec_b64 s[24:25], s[2:3]
	s_cbranch_execz .LBB331_250
; %bb.247:                              ;   in Loop: Header=BB331_192 Depth=1
	v_bfe_u32 v16, v4, 16, 7
	v_cmp_ne_u32_e64 s[2:3], s41, v16
	v_mov_b32_e32 v9, 0x7f800001
	s_and_saveexec_b64 s[26:27], s[2:3]
	s_cbranch_execz .LBB331_249
; %bb.248:                              ;   in Loop: Header=BB331_192 Depth=1
	v_and_b32_e32 v9, 7, v6
	v_ffbh_u32_e32 v32, v9
	v_min_u32_e32 v35, 32, v32
	v_subrev_u32_e32 v32, 28, v35
	v_lshlrev_b64 v[32:33], v32, v[6:7]
	v_lshrrev_b32_e32 v34, 3, v16
	v_sub_u32_e32 v33, 29, v35
	v_and_b32_e32 v32, 7, v32
	v_cmp_gt_u32_e64 s[2:3], 8, v16
	v_cndmask_b32_e64 v16, v34, v33, s[2:3]
	v_cndmask_b32_e64 v9, v9, v32, s[2:3]
	v_lshlrev_b32_e32 v6, 24, v6
	v_lshlrev_b32_e32 v9, 20, v9
	v_and_b32_e32 v6, 0x80000000, v6
	v_lshl_add_u32 v16, v16, 23, v23
	v_or3_b32 v9, v6, v16, v9
.LBB331_249:                            ;   in Loop: Header=BB331_192 Depth=1
	s_or_b64 exec, exec, s[26:27]
.LBB331_250:                            ;   in Loop: Header=BB331_192 Depth=1
	s_or_b64 exec, exec, s[24:25]
.LBB331_251:                            ;   in Loop: Header=BB331_192 Depth=1
	s_or_b64 exec, exec, s[4:5]
	v_mul_f32_e32 v6, s43, v9
	v_and_b32_e32 v9, 0x7f800000, v6
	v_cmp_ne_u32_e64 s[2:3], s38, v9
                                        ; implicit-def: $vgpr9
	s_and_saveexec_b64 s[4:5], s[2:3]
	s_xor_b64 s[2:3], exec, s[4:5]
; %bb.252:                              ;   in Loop: Header=BB331_192 Depth=1
	v_bfe_u32 v9, v6, 16, 1
	v_add3_u32 v9, v6, v9, s39
                                        ; implicit-def: $vgpr6
; %bb.253:                              ;   in Loop: Header=BB331_192 Depth=1
	s_andn2_saveexec_b64 s[4:5], s[2:3]
; %bb.254:                              ;   in Loop: Header=BB331_192 Depth=1
	v_or_b32_e32 v9, 0x10000, v6
	v_cmp_eq_u32_sdwa s[2:3], v6, v17 src0_sel:WORD_0 src1_sel:DWORD
	v_cndmask_b32_e64 v9, v9, v6, s[2:3]
; %bb.255:                              ;   in Loop: Header=BB331_192 Depth=1
	s_or_b64 exec, exec, s[4:5]
	v_cmp_lt_u32_e64 s[2:3], s17, v4
	v_mov_b32_e32 v16, 0
	s_and_saveexec_b64 s[4:5], s[2:3]
	s_cbranch_execz .LBB331_261
; %bb.256:                              ;   in Loop: Header=BB331_192 Depth=1
	v_lshrrev_b32_e32 v6, 24, v4
	v_cmp_ne_u32_e64 s[2:3], s40, v6
	v_bfrev_b32_e32 v16, 1
	s_and_saveexec_b64 s[24:25], s[2:3]
	s_cbranch_execz .LBB331_260
; %bb.257:                              ;   in Loop: Header=BB331_192 Depth=1
	v_bfe_u32 v32, v4, 24, 7
	v_cmp_ne_u32_e64 s[2:3], s41, v32
	v_mov_b32_e32 v16, 0x7f800001
	s_and_saveexec_b64 s[26:27], s[2:3]
	s_cbranch_execz .LBB331_259
; %bb.258:                              ;   in Loop: Header=BB331_192 Depth=1
	v_and_b32_e32 v16, 7, v6
	v_ffbh_u32_e32 v34, v16
	v_min_u32_e32 v36, 32, v34
	v_subrev_u32_e32 v34, 28, v36
	v_lshlrev_b64 v[34:35], v34, v[6:7]
	v_lshrrev_b32_e32 v33, 3, v32
	v_sub_u32_e32 v35, 29, v36
	v_and_b32_e32 v34, 7, v34
	v_cmp_gt_u32_e64 s[2:3], 8, v32
	v_cndmask_b32_e64 v32, v33, v35, s[2:3]
	v_cndmask_b32_e64 v16, v16, v34, s[2:3]
	v_lshlrev_b32_e32 v6, 24, v6
	v_lshlrev_b32_e32 v16, 20, v16
	v_and_b32_e32 v6, 0x80000000, v6
	v_lshl_add_u32 v32, v32, 23, v23
	v_or3_b32 v16, v6, v32, v16
.LBB331_259:                            ;   in Loop: Header=BB331_192 Depth=1
	s_or_b64 exec, exec, s[26:27]
.LBB331_260:                            ;   in Loop: Header=BB331_192 Depth=1
	s_or_b64 exec, exec, s[24:25]
.LBB331_261:                            ;   in Loop: Header=BB331_192 Depth=1
	s_or_b64 exec, exec, s[4:5]
	v_mul_f32_e32 v6, s43, v16
	v_and_b32_e32 v16, 0x7f800000, v6
	v_cmp_ne_u32_e64 s[2:3], s38, v16
                                        ; implicit-def: $vgpr32
	s_and_saveexec_b64 s[4:5], s[2:3]
	s_xor_b64 s[2:3], exec, s[4:5]
; %bb.262:                              ;   in Loop: Header=BB331_192 Depth=1
	v_bfe_u32 v16, v6, 16, 1
	v_add3_u32 v32, v6, v16, s39
                                        ; implicit-def: $vgpr6
; %bb.263:                              ;   in Loop: Header=BB331_192 Depth=1
	s_andn2_saveexec_b64 s[4:5], s[2:3]
; %bb.264:                              ;   in Loop: Header=BB331_192 Depth=1
	v_or_b32_e32 v16, 0x10000, v6
	v_cmp_eq_u32_sdwa s[2:3], v6, v17 src0_sel:WORD_0 src1_sel:DWORD
	v_cndmask_b32_e64 v32, v16, v6, s[2:3]
; %bb.265:                              ;   in Loop: Header=BB331_192 Depth=1
	s_or_b64 exec, exec, s[4:5]
	v_mov_b32_e32 v16, v5
	v_cmp_ne_u16_sdwa s[2:3], v5, v17 src0_sel:BYTE_0 src1_sel:DWORD
	v_mov_b32_e32 v6, 0
	s_and_saveexec_b64 s[4:5], s[2:3]
	s_cbranch_execz .LBB331_271
; %bb.266:                              ;   in Loop: Header=BB331_192 Depth=1
	v_cmp_ne_u16_sdwa s[2:3], v5, s40 src0_sel:BYTE_0 src1_sel:DWORD
	v_bfrev_b32_e32 v6, 1
	s_and_saveexec_b64 s[24:25], s[2:3]
	s_cbranch_execz .LBB331_270
; %bb.267:                              ;   in Loop: Header=BB331_192 Depth=1
	v_and_b32_e32 v33, 0x7f, v5
	v_cmp_ne_u32_e64 s[2:3], s41, v33
	v_mov_b32_e32 v6, 0x7f800001
	s_and_saveexec_b64 s[26:27], s[2:3]
	s_cbranch_execz .LBB331_269
; %bb.268:                              ;   in Loop: Header=BB331_192 Depth=1
	v_and_b32_e32 v6, 7, v5
	v_ffbh_u32_e32 v6, v6
	v_min_u32_e32 v6, 32, v6
	v_subrev_u32_e32 v35, 28, v6
	v_cmp_gt_u32_e64 s[2:3], 8, v33
	v_lshrrev_b32_e32 v34, 3, v33
	v_sub_u32_e32 v6, 29, v6
	v_cndmask_b32_e64 v33, 0, v35, s[2:3]
	v_cndmask_b32_e64 v6, v34, v6, s[2:3]
	v_lshlrev_b64 v[34:35], v33, v[16:17]
	v_lshlrev_b32_e32 v33, 20, v34
	v_lshlrev_b32_e32 v34, 24, v16
	v_and_b32_e32 v33, 0x700000, v33
	v_and_b32_e32 v34, 0x80000000, v34
	v_lshl_add_u32 v6, v6, 23, v23
	v_or3_b32 v6, v34, v6, v33
.LBB331_269:                            ;   in Loop: Header=BB331_192 Depth=1
	s_or_b64 exec, exec, s[26:27]
.LBB331_270:                            ;   in Loop: Header=BB331_192 Depth=1
	s_or_b64 exec, exec, s[24:25]
.LBB331_271:                            ;   in Loop: Header=BB331_192 Depth=1
	s_or_b64 exec, exec, s[4:5]
	v_mul_f32_e32 v6, s43, v6
	v_and_b32_e32 v33, 0x7f800000, v6
	v_cmp_ne_u32_e64 s[2:3], s38, v33
                                        ; implicit-def: $vgpr33
	s_and_saveexec_b64 s[4:5], s[2:3]
	s_xor_b64 s[2:3], exec, s[4:5]
; %bb.272:                              ;   in Loop: Header=BB331_192 Depth=1
	v_bfe_u32 v33, v6, 16, 1
	v_add3_u32 v33, v6, v33, s39
                                        ; implicit-def: $vgpr6
; %bb.273:                              ;   in Loop: Header=BB331_192 Depth=1
	s_andn2_saveexec_b64 s[4:5], s[2:3]
; %bb.274:                              ;   in Loop: Header=BB331_192 Depth=1
	v_or_b32_e32 v33, 0x10000, v6
	v_cmp_eq_u32_sdwa s[2:3], v6, v17 src0_sel:WORD_0 src1_sel:DWORD
	v_cndmask_b32_e64 v33, v33, v6, s[2:3]
; %bb.275:                              ;   in Loop: Header=BB331_192 Depth=1
	s_or_b64 exec, exec, s[4:5]
	v_lshrrev_b16_e32 v6, 8, v16
	v_cmp_ne_u16_e64 s[2:3], 0, v6
	v_mov_b32_e32 v34, 0
	s_and_saveexec_b64 s[4:5], s[2:3]
	s_cbranch_execz .LBB331_281
; %bb.276:                              ;   in Loop: Header=BB331_192 Depth=1
	v_cmp_ne_u16_e64 s[2:3], s40, v6
	v_bfrev_b32_e32 v34, 1
	s_and_saveexec_b64 s[24:25], s[2:3]
	s_cbranch_execz .LBB331_280
; %bb.277:                              ;   in Loop: Header=BB331_192 Depth=1
	v_and_b32_e32 v35, 0x7f, v6
	v_cmp_ne_u32_e64 s[2:3], s41, v35
	v_mov_b32_e32 v34, 0x7f800001
	s_and_saveexec_b64 s[26:27], s[2:3]
	s_cbranch_execz .LBB331_279
; %bb.278:                              ;   in Loop: Header=BB331_192 Depth=1
	v_and_b32_e32 v34, 7, v6
	v_ffbh_u32_e32 v36, v34
	v_min_u32_e32 v39, 32, v36
	v_subrev_u32_e32 v36, 28, v39
	v_lshlrev_b64 v[36:37], v36, v[6:7]
	v_lshrrev_b32_e32 v38, 3, v35
	v_sub_u32_e32 v6, 29, v39
	v_and_b32_e32 v36, 7, v36
	v_cmp_gt_u32_e64 s[2:3], 8, v35
	v_cndmask_b32_e64 v6, v38, v6, s[2:3]
	v_cndmask_b32_e64 v34, v34, v36, s[2:3]
	v_lshlrev_b32_e32 v16, 16, v16
	v_lshlrev_b32_e32 v34, 20, v34
	v_and_b32_e32 v16, 0x80000000, v16
	v_lshl_add_u32 v6, v6, 23, v23
	v_or3_b32 v34, v16, v6, v34
.LBB331_279:                            ;   in Loop: Header=BB331_192 Depth=1
	s_or_b64 exec, exec, s[26:27]
.LBB331_280:                            ;   in Loop: Header=BB331_192 Depth=1
	s_or_b64 exec, exec, s[24:25]
.LBB331_281:                            ;   in Loop: Header=BB331_192 Depth=1
	s_or_b64 exec, exec, s[4:5]
	v_mul_f32_e32 v6, s43, v34
	v_and_b32_e32 v16, 0x7f800000, v6
	v_cmp_ne_u32_e64 s[2:3], s38, v16
                                        ; implicit-def: $vgpr16
	s_and_saveexec_b64 s[4:5], s[2:3]
	s_xor_b64 s[2:3], exec, s[4:5]
; %bb.282:                              ;   in Loop: Header=BB331_192 Depth=1
	v_bfe_u32 v16, v6, 16, 1
	v_add3_u32 v16, v6, v16, s39
                                        ; implicit-def: $vgpr6
; %bb.283:                              ;   in Loop: Header=BB331_192 Depth=1
	s_andn2_saveexec_b64 s[4:5], s[2:3]
; %bb.284:                              ;   in Loop: Header=BB331_192 Depth=1
	v_or_b32_e32 v16, 0x10000, v6
	v_cmp_eq_u32_sdwa s[2:3], v6, v17 src0_sel:WORD_0 src1_sel:DWORD
	v_cndmask_b32_e64 v16, v16, v6, s[2:3]
; %bb.285:                              ;   in Loop: Header=BB331_192 Depth=1
	s_or_b64 exec, exec, s[4:5]
	v_lshrrev_b32_e32 v6, 16, v5
	v_cmp_ne_u16_sdwa s[2:3], v6, v17 src0_sel:BYTE_0 src1_sel:DWORD
	v_mov_b32_e32 v34, 0
	s_and_saveexec_b64 s[4:5], s[2:3]
	s_cbranch_execz .LBB331_291
; %bb.286:                              ;   in Loop: Header=BB331_192 Depth=1
	v_cmp_ne_u16_sdwa s[2:3], v6, s40 src0_sel:BYTE_0 src1_sel:DWORD
	v_bfrev_b32_e32 v34, 1
	s_and_saveexec_b64 s[24:25], s[2:3]
	s_cbranch_execz .LBB331_290
; %bb.287:                              ;   in Loop: Header=BB331_192 Depth=1
	v_bfe_u32 v35, v5, 16, 7
	v_cmp_ne_u32_e64 s[2:3], s41, v35
	v_mov_b32_e32 v34, 0x7f800001
	s_and_saveexec_b64 s[26:27], s[2:3]
	s_cbranch_execz .LBB331_289
; %bb.288:                              ;   in Loop: Header=BB331_192 Depth=1
	v_and_b32_e32 v34, 7, v6
	v_ffbh_u32_e32 v36, v34
	v_min_u32_e32 v39, 32, v36
	v_subrev_u32_e32 v36, 28, v39
	v_lshlrev_b64 v[36:37], v36, v[6:7]
	v_lshrrev_b32_e32 v38, 3, v35
	v_sub_u32_e32 v37, 29, v39
	v_and_b32_e32 v36, 7, v36
	v_cmp_gt_u32_e64 s[2:3], 8, v35
	v_cndmask_b32_e64 v35, v38, v37, s[2:3]
	v_cndmask_b32_e64 v34, v34, v36, s[2:3]
	v_lshlrev_b32_e32 v6, 24, v6
	v_lshlrev_b32_e32 v34, 20, v34
	v_and_b32_e32 v6, 0x80000000, v6
	v_lshl_add_u32 v35, v35, 23, v23
	v_or3_b32 v34, v6, v35, v34
.LBB331_289:                            ;   in Loop: Header=BB331_192 Depth=1
	s_or_b64 exec, exec, s[26:27]
.LBB331_290:                            ;   in Loop: Header=BB331_192 Depth=1
	s_or_b64 exec, exec, s[24:25]
.LBB331_291:                            ;   in Loop: Header=BB331_192 Depth=1
	s_or_b64 exec, exec, s[4:5]
	v_mul_f32_e32 v34, s43, v34
	v_and_b32_e32 v6, 0x7f800000, v34
	v_cmp_ne_u32_e64 s[2:3], s38, v6
                                        ; implicit-def: $vgpr6
	s_and_saveexec_b64 s[4:5], s[2:3]
	s_xor_b64 s[2:3], exec, s[4:5]
; %bb.292:                              ;   in Loop: Header=BB331_192 Depth=1
	v_bfe_u32 v6, v34, 16, 1
	v_add3_u32 v6, v34, v6, s39
                                        ; implicit-def: $vgpr34
; %bb.293:                              ;   in Loop: Header=BB331_192 Depth=1
	s_andn2_saveexec_b64 s[4:5], s[2:3]
; %bb.294:                              ;   in Loop: Header=BB331_192 Depth=1
	v_or_b32_e32 v6, 0x10000, v34
	v_cmp_eq_u32_sdwa s[2:3], v34, v17 src0_sel:WORD_0 src1_sel:DWORD
	v_cndmask_b32_e64 v6, v6, v34, s[2:3]
; %bb.295:                              ;   in Loop: Header=BB331_192 Depth=1
	s_or_b64 exec, exec, s[4:5]
	v_cmp_lt_u64_e64 s[2:3], s[16:17], v[4:5]
	v_mov_b32_e32 v34, 0
	s_and_saveexec_b64 s[4:5], s[2:3]
	s_cbranch_execz .LBB331_301
; %bb.296:                              ;   in Loop: Header=BB331_192 Depth=1
	v_lshrrev_b32_e32 v4, 24, v5
	v_cmp_ne_u32_e64 s[2:3], s40, v4
	v_bfrev_b32_e32 v34, 1
	s_and_saveexec_b64 s[24:25], s[2:3]
	s_cbranch_execz .LBB331_300
; %bb.297:                              ;   in Loop: Header=BB331_192 Depth=1
	v_bfe_u32 v5, v5, 24, 7
	v_cmp_ne_u32_e64 s[2:3], s41, v5
	v_mov_b32_e32 v34, 0x7f800001
	s_and_saveexec_b64 s[26:27], s[2:3]
	s_cbranch_execz .LBB331_299
; %bb.298:                              ;   in Loop: Header=BB331_192 Depth=1
	v_and_b32_e32 v36, 7, v4
	v_ffbh_u32_e32 v34, v36
	v_min_u32_e32 v38, 32, v34
	v_subrev_u32_e32 v34, 28, v38
	v_lshlrev_b64 v[34:35], v34, v[4:5]
	v_lshrrev_b32_e32 v37, 3, v5
	v_sub_u32_e32 v35, 29, v38
	v_and_b32_e32 v34, 7, v34
	v_cmp_gt_u32_e64 s[2:3], 8, v5
	v_cndmask_b32_e64 v5, v37, v35, s[2:3]
	v_cndmask_b32_e64 v34, v36, v34, s[2:3]
	v_lshlrev_b32_e32 v4, 24, v4
	v_lshlrev_b32_e32 v34, 20, v34
	v_and_b32_e32 v4, 0x80000000, v4
	v_lshl_add_u32 v5, v5, 23, v23
	v_or3_b32 v34, v4, v5, v34
.LBB331_299:                            ;   in Loop: Header=BB331_192 Depth=1
	s_or_b64 exec, exec, s[26:27]
.LBB331_300:                            ;   in Loop: Header=BB331_192 Depth=1
	s_or_b64 exec, exec, s[24:25]
.LBB331_301:                            ;   in Loop: Header=BB331_192 Depth=1
	s_or_b64 exec, exec, s[4:5]
	v_mul_f32_e32 v5, s43, v34
	v_and_b32_e32 v4, 0x7f800000, v5
	v_cmp_ne_u32_e64 s[2:3], s38, v4
                                        ; implicit-def: $vgpr4
	s_and_saveexec_b64 s[4:5], s[2:3]
	s_xor_b64 s[2:3], exec, s[4:5]
; %bb.302:                              ;   in Loop: Header=BB331_192 Depth=1
	v_bfe_u32 v4, v5, 16, 1
	v_add3_u32 v4, v5, v4, s39
                                        ; implicit-def: $vgpr5
; %bb.303:                              ;   in Loop: Header=BB331_192 Depth=1
	s_andn2_saveexec_b64 s[4:5], s[2:3]
; %bb.304:                              ;   in Loop: Header=BB331_192 Depth=1
	v_or_b32_e32 v4, 0x10000, v5
	v_cmp_eq_u32_sdwa s[2:3], v5, v17 src0_sel:WORD_0 src1_sel:DWORD
	v_cndmask_b32_e64 v4, v4, v5, s[2:3]
; %bb.305:                              ;   in Loop: Header=BB331_192 Depth=1
	s_or_b64 exec, exec, s[4:5]
	v_cmp_eq_u32_e64 s[2:3], s42, v10
	v_lshrrev_b32_e32 v34, 16, v16
	v_lshrrev_b32_e32 v33, 16, v33
	;; [unrolled: 1-line block ×8, first 2 shown]
	s_and_saveexec_b64 s[24:25], s[2:3]
	s_cbranch_execz .LBB331_307
; %bb.306:                              ;   in Loop: Header=BB331_192 Depth=1
	v_cmp_gt_i32_e64 s[4:5], s33, v19
	v_add_u32_e32 v7, 1, v19
	v_cndmask_b32_e64 v5, 0, v5, s[4:5]
	v_cmp_gt_i32_e64 s[4:5], s33, v7
	v_add_u32_e32 v7, 2, v19
	v_cndmask_b32_e64 v9, 0, v9, s[4:5]
	v_cmp_gt_i32_e64 s[4:5], s33, v7
	v_add_u32_e32 v7, 3, v19
	v_cndmask_b32_e64 v35, 0, v35, s[4:5]
	v_cmp_gt_i32_e64 s[4:5], s33, v7
	v_add_u32_e32 v7, 4, v19
	v_cndmask_b32_e64 v32, 0, v32, s[4:5]
	v_cmp_gt_i32_e64 s[4:5], s33, v7
	v_add_u32_e32 v7, 5, v19
	v_cndmask_b32_e64 v33, 0, v33, s[4:5]
	v_cmp_gt_i32_e64 s[4:5], s33, v7
	v_add_u32_e32 v7, 6, v19
	v_cndmask_b32_e64 v34, 0, v34, s[4:5]
	v_cmp_gt_i32_e64 s[4:5], s33, v7
	v_add_u32_e32 v7, 7, v19
	v_cndmask_b32_e64 v6, 0, v6, s[4:5]
	v_cmp_gt_i32_e64 s[4:5], s33, v7
	v_cndmask_b32_e64 v4, 0, v4, s[4:5]
.LBB331_307:                            ;   in Loop: Header=BB331_192 Depth=1
	s_or_b64 exec, exec, s[24:25]
	v_and_b32_e32 v7, 0xffff0000, v31
	v_lshlrev_b32_e32 v5, 16, v5
	v_mul_f32_e32 v8, v7, v5
	v_and_b32_e32 v5, 0x7f800000, v8
	v_cmp_ne_u32_e64 s[4:5], s38, v5
                                        ; implicit-def: $vgpr5
	s_and_saveexec_b64 s[24:25], s[4:5]
	s_xor_b64 s[4:5], exec, s[24:25]
; %bb.308:                              ;   in Loop: Header=BB331_192 Depth=1
	v_bfe_u32 v5, v8, 16, 1
	v_add3_u32 v5, v8, v5, s39
                                        ; implicit-def: $vgpr8
; %bb.309:                              ;   in Loop: Header=BB331_192 Depth=1
	s_andn2_saveexec_b64 s[24:25], s[4:5]
; %bb.310:                              ;   in Loop: Header=BB331_192 Depth=1
	v_or_b32_e32 v5, 0x10000, v8
	v_cmp_eq_u32_sdwa s[4:5], v8, v17 src0_sel:WORD_0 src1_sel:DWORD
	v_cndmask_b32_e64 v5, v5, v8, s[4:5]
; %bb.311:                              ;   in Loop: Header=BB331_192 Depth=1
	s_or_b64 exec, exec, s[24:25]
	v_and_b32_e32 v8, 0xffff0000, v30
	v_lshlrev_b32_e32 v9, 16, v9
	v_mul_f32_e32 v9, v8, v9
	v_and_b32_e32 v16, 0x7f800000, v9
	v_cmp_ne_u32_e64 s[4:5], s38, v16
                                        ; implicit-def: $vgpr16
	s_and_saveexec_b64 s[24:25], s[4:5]
	s_xor_b64 s[4:5], exec, s[24:25]
; %bb.312:                              ;   in Loop: Header=BB331_192 Depth=1
	v_bfe_u32 v16, v9, 16, 1
	v_add3_u32 v16, v9, v16, s39
                                        ; implicit-def: $vgpr9
; %bb.313:                              ;   in Loop: Header=BB331_192 Depth=1
	s_andn2_saveexec_b64 s[24:25], s[4:5]
; %bb.314:                              ;   in Loop: Header=BB331_192 Depth=1
	v_or_b32_e32 v16, 0x10000, v9
	v_cmp_eq_u32_sdwa s[4:5], v9, v17 src0_sel:WORD_0 src1_sel:DWORD
	v_cndmask_b32_e64 v16, v16, v9, s[4:5]
; %bb.315:                              ;   in Loop: Header=BB331_192 Depth=1
	s_or_b64 exec, exec, s[24:25]
	v_and_b32_e32 v9, 0xffff0000, v29
	v_lshlrev_b32_e32 v29, 16, v35
	v_mul_f32_e32 v30, v9, v29
	v_and_b32_e32 v29, 0x7f800000, v30
	v_cmp_ne_u32_e64 s[4:5], s38, v29
                                        ; implicit-def: $vgpr29
	s_and_saveexec_b64 s[24:25], s[4:5]
	s_xor_b64 s[4:5], exec, s[24:25]
; %bb.316:                              ;   in Loop: Header=BB331_192 Depth=1
	v_bfe_u32 v29, v30, 16, 1
	v_add3_u32 v29, v30, v29, s39
                                        ; implicit-def: $vgpr30
; %bb.317:                              ;   in Loop: Header=BB331_192 Depth=1
	s_andn2_saveexec_b64 s[24:25], s[4:5]
; %bb.318:                              ;   in Loop: Header=BB331_192 Depth=1
	v_or_b32_e32 v29, 0x10000, v30
	v_cmp_eq_u32_sdwa s[4:5], v30, v17 src0_sel:WORD_0 src1_sel:DWORD
	v_cndmask_b32_e64 v29, v29, v30, s[4:5]
; %bb.319:                              ;   in Loop: Header=BB331_192 Depth=1
	s_or_b64 exec, exec, s[24:25]
	v_and_b32_e32 v24, 0xffff0000, v24
	v_lshlrev_b32_e32 v30, 16, v32
	v_mul_f32_e32 v31, v24, v30
	v_and_b32_e32 v30, 0x7f800000, v31
	v_cmp_ne_u32_e64 s[4:5], s38, v30
                                        ; implicit-def: $vgpr30
	s_and_saveexec_b64 s[24:25], s[4:5]
	s_xor_b64 s[4:5], exec, s[24:25]
; %bb.320:                              ;   in Loop: Header=BB331_192 Depth=1
	v_bfe_u32 v30, v31, 16, 1
	v_add3_u32 v30, v31, v30, s39
                                        ; implicit-def: $vgpr31
; %bb.321:                              ;   in Loop: Header=BB331_192 Depth=1
	s_andn2_saveexec_b64 s[24:25], s[4:5]
; %bb.322:                              ;   in Loop: Header=BB331_192 Depth=1
	v_or_b32_e32 v30, 0x10000, v31
	v_cmp_eq_u32_sdwa s[4:5], v31, v17 src0_sel:WORD_0 src1_sel:DWORD
	v_cndmask_b32_e64 v30, v30, v31, s[4:5]
; %bb.323:                              ;   in Loop: Header=BB331_192 Depth=1
	s_or_b64 exec, exec, s[24:25]
	v_and_b32_e32 v25, 0xffff0000, v25
	v_lshlrev_b32_e32 v31, 16, v33
	v_mul_f32_e32 v32, v25, v31
	v_and_b32_e32 v31, 0x7f800000, v32
	v_cmp_ne_u32_e64 s[4:5], s38, v31
                                        ; implicit-def: $vgpr31
	s_and_saveexec_b64 s[24:25], s[4:5]
	s_xor_b64 s[4:5], exec, s[24:25]
; %bb.324:                              ;   in Loop: Header=BB331_192 Depth=1
	v_bfe_u32 v31, v32, 16, 1
	v_add3_u32 v31, v32, v31, s39
                                        ; implicit-def: $vgpr32
; %bb.325:                              ;   in Loop: Header=BB331_192 Depth=1
	s_andn2_saveexec_b64 s[24:25], s[4:5]
; %bb.326:                              ;   in Loop: Header=BB331_192 Depth=1
	v_or_b32_e32 v31, 0x10000, v32
	v_cmp_eq_u32_sdwa s[4:5], v32, v17 src0_sel:WORD_0 src1_sel:DWORD
	v_cndmask_b32_e64 v31, v31, v32, s[4:5]
; %bb.327:                              ;   in Loop: Header=BB331_192 Depth=1
	s_or_b64 exec, exec, s[24:25]
	v_and_b32_e32 v26, 0xffff0000, v26
	v_lshlrev_b32_e32 v32, 16, v34
	v_mul_f32_e32 v33, v26, v32
	v_and_b32_e32 v32, 0x7f800000, v33
	v_cmp_ne_u32_e64 s[4:5], s38, v32
                                        ; implicit-def: $vgpr32
	s_and_saveexec_b64 s[24:25], s[4:5]
	s_xor_b64 s[4:5], exec, s[24:25]
; %bb.328:                              ;   in Loop: Header=BB331_192 Depth=1
	v_bfe_u32 v32, v33, 16, 1
	v_add3_u32 v32, v33, v32, s39
                                        ; implicit-def: $vgpr33
; %bb.329:                              ;   in Loop: Header=BB331_192 Depth=1
	s_andn2_saveexec_b64 s[24:25], s[4:5]
; %bb.330:                              ;   in Loop: Header=BB331_192 Depth=1
	v_or_b32_e32 v32, 0x10000, v33
	v_cmp_eq_u32_sdwa s[4:5], v33, v17 src0_sel:WORD_0 src1_sel:DWORD
	v_cndmask_b32_e64 v32, v32, v33, s[4:5]
; %bb.331:                              ;   in Loop: Header=BB331_192 Depth=1
	s_or_b64 exec, exec, s[24:25]
	v_and_b32_e32 v27, 0xffff0000, v27
	v_lshlrev_b32_e32 v6, 16, v6
	v_mul_f32_e32 v33, v27, v6
	v_and_b32_e32 v6, 0x7f800000, v33
	v_cmp_ne_u32_e64 s[4:5], s38, v6
                                        ; implicit-def: $vgpr6
	s_and_saveexec_b64 s[24:25], s[4:5]
	s_xor_b64 s[4:5], exec, s[24:25]
; %bb.332:                              ;   in Loop: Header=BB331_192 Depth=1
	v_bfe_u32 v6, v33, 16, 1
	v_add3_u32 v6, v33, v6, s39
                                        ; implicit-def: $vgpr33
; %bb.333:                              ;   in Loop: Header=BB331_192 Depth=1
	s_andn2_saveexec_b64 s[24:25], s[4:5]
; %bb.334:                              ;   in Loop: Header=BB331_192 Depth=1
	v_or_b32_e32 v6, 0x10000, v33
	v_cmp_eq_u32_sdwa s[4:5], v33, v17 src0_sel:WORD_0 src1_sel:DWORD
	v_cndmask_b32_e64 v6, v6, v33, s[4:5]
; %bb.335:                              ;   in Loop: Header=BB331_192 Depth=1
	s_or_b64 exec, exec, s[24:25]
	v_and_b32_e32 v28, 0xffff0000, v28
	v_lshlrev_b32_e32 v4, 16, v4
	v_mul_f32_e32 v4, v28, v4
	v_and_b32_e32 v33, 0x7f800000, v4
	v_cmp_ne_u32_e64 s[4:5], s38, v33
                                        ; implicit-def: $vgpr33
	s_and_saveexec_b64 s[24:25], s[4:5]
	s_xor_b64 s[4:5], exec, s[24:25]
; %bb.336:                              ;   in Loop: Header=BB331_192 Depth=1
	v_bfe_u32 v33, v4, 16, 1
	v_add3_u32 v33, v4, v33, s39
                                        ; implicit-def: $vgpr4
; %bb.337:                              ;   in Loop: Header=BB331_192 Depth=1
	s_andn2_saveexec_b64 s[24:25], s[4:5]
; %bb.338:                              ;   in Loop: Header=BB331_192 Depth=1
	v_or_b32_e32 v33, 0x10000, v4
	v_cmp_eq_u32_sdwa s[4:5], v4, v17 src0_sel:WORD_0 src1_sel:DWORD
	v_cndmask_b32_e64 v33, v33, v4, s[4:5]
; %bb.339:                              ;   in Loop: Header=BB331_192 Depth=1
	s_or_b64 exec, exec, s[24:25]
	v_and_b32_e32 v34, 0xffff0000, v31
	v_and_b32_e32 v31, 0xffff0000, v30
	;; [unrolled: 1-line block ×5, first 2 shown]
	v_pk_add_f32 v[4:5], v[36:37], v[30:31]
	v_and_b32_e32 v33, 0xffff0000, v33
	v_and_b32_e32 v32, 0xffff0000, v32
	;; [unrolled: 1-line block ×3, first 2 shown]
	v_mov_b32_e32 v6, v5
	v_pk_add_f32 v[4:5], v[4:5], v[6:7]
	v_pk_add_f32 v[30:31], v[34:35], v[32:33]
	;; [unrolled: 1-line block ×3, first 2 shown]
	v_mov_b32_e32 v6, v31
	v_pk_add_f32 v[4:5], v[4:5], v[6:7]
	v_pk_add_f32 v[4:5], v[12:13], v[4:5]
	s_and_saveexec_b64 s[24:25], vcc
	s_cbranch_execz .LBB331_190
; %bb.340:                              ;   in Loop: Header=BB331_192 Depth=1
	v_add_co_u32_e64 v2, s[4:5], v2, v18
	v_addc_co_u32_e64 v3, s[4:5], 0, v3, s[4:5]
	global_load_dwordx2 v[2:3], v[2:3], off
	v_mov_b32_e32 v5, 0
	s_waitcnt vmcnt(0)
	v_cmp_ne_u16_sdwa s[4:5], v2, v17 src0_sel:BYTE_0 src1_sel:DWORD
	s_and_saveexec_b64 s[26:27], s[4:5]
	s_cbranch_execz .LBB331_346
; %bb.341:                              ;   in Loop: Header=BB331_192 Depth=1
	v_cmp_ne_u16_sdwa s[4:5], v2, s40 src0_sel:BYTE_0 src1_sel:DWORD
	v_bfrev_b32_e32 v5, 1
	s_and_saveexec_b64 s[28:29], s[4:5]
	s_cbranch_execz .LBB331_345
; %bb.342:                              ;   in Loop: Header=BB331_192 Depth=1
	v_and_b32_e32 v6, 0x7f, v2
	v_cmp_ne_u32_e64 s[4:5], s41, v6
	v_mov_b32_e32 v5, 0x7f800001
	s_and_saveexec_b64 s[30:31], s[4:5]
	s_cbranch_execz .LBB331_344
; %bb.343:                              ;   in Loop: Header=BB331_192 Depth=1
	v_and_b32_e32 v5, 7, v2
	v_ffbh_u32_e32 v5, v5
	v_min_u32_e32 v5, 32, v5
	v_subrev_u32_e32 v29, 28, v5
	v_cmp_gt_u32_e64 s[4:5], 8, v6
	v_lshrrev_b32_e32 v16, 3, v6
	v_cndmask_b32_e64 v6, 0, v29, s[4:5]
	v_sub_u32_e32 v5, 29, v5
	v_lshlrev_b64 v[30:31], v6, v[2:3]
	v_cndmask_b32_e64 v5, v16, v5, s[4:5]
	v_lshlrev_b32_e32 v6, 20, v30
	v_lshlrev_b32_e32 v16, 24, v2
	v_and_b32_e32 v6, 0x700000, v6
	v_and_b32_e32 v16, 0x80000000, v16
	v_lshl_add_u32 v5, v5, 23, v23
	v_or3_b32 v5, v16, v5, v6
.LBB331_344:                            ;   in Loop: Header=BB331_192 Depth=1
	s_or_b64 exec, exec, s[30:31]
.LBB331_345:                            ;   in Loop: Header=BB331_192 Depth=1
	s_or_b64 exec, exec, s[28:29]
.LBB331_346:                            ;   in Loop: Header=BB331_192 Depth=1
	s_or_b64 exec, exec, s[26:27]
	v_mul_f32_e32 v6, s43, v5
	v_and_b32_e32 v5, 0x7f800000, v6
	v_cmp_ne_u32_e64 s[4:5], s38, v5
                                        ; implicit-def: $vgpr5
	s_and_saveexec_b64 s[26:27], s[4:5]
	s_xor_b64 s[4:5], exec, s[26:27]
; %bb.347:                              ;   in Loop: Header=BB331_192 Depth=1
	v_bfe_u32 v5, v6, 16, 1
	v_add3_u32 v5, v6, v5, s39
                                        ; implicit-def: $vgpr6
; %bb.348:                              ;   in Loop: Header=BB331_192 Depth=1
	s_andn2_saveexec_b64 s[26:27], s[4:5]
; %bb.349:                              ;   in Loop: Header=BB331_192 Depth=1
	v_or_b32_e32 v5, 0x10000, v6
	v_cmp_eq_u32_sdwa s[4:5], v6, v17 src0_sel:WORD_0 src1_sel:DWORD
	v_cndmask_b32_e64 v5, v5, v6, s[4:5]
; %bb.350:                              ;   in Loop: Header=BB331_192 Depth=1
	s_or_b64 exec, exec, s[26:27]
	v_lshrrev_b16_e32 v6, 8, v2
	v_cmp_ne_u16_e64 s[4:5], 0, v6
	v_mov_b32_e32 v16, 0
	s_and_saveexec_b64 s[26:27], s[4:5]
	s_cbranch_execz .LBB331_356
; %bb.351:                              ;   in Loop: Header=BB331_192 Depth=1
	v_cmp_ne_u16_e64 s[4:5], s40, v6
	v_bfrev_b32_e32 v16, 1
	s_and_saveexec_b64 s[28:29], s[4:5]
	s_cbranch_execz .LBB331_355
; %bb.352:                              ;   in Loop: Header=BB331_192 Depth=1
	v_and_b32_e32 v29, 0x7f, v6
	v_cmp_ne_u32_e64 s[4:5], s41, v29
	v_mov_b32_e32 v16, 0x7f800001
	s_and_saveexec_b64 s[30:31], s[4:5]
	s_cbranch_execz .LBB331_354
; %bb.353:                              ;   in Loop: Header=BB331_192 Depth=1
	v_and_b32_e32 v16, 7, v6
	v_ffbh_u32_e32 v30, v16
	v_min_u32_e32 v33, 32, v30
	v_subrev_u32_e32 v30, 28, v33
	v_lshlrev_b64 v[30:31], v30, v[6:7]
	v_lshrrev_b32_e32 v32, 3, v29
	v_sub_u32_e32 v6, 29, v33
	v_and_b32_e32 v30, 7, v30
	v_cmp_gt_u32_e64 s[4:5], 8, v29
	v_cndmask_b32_e64 v6, v32, v6, s[4:5]
	v_cndmask_b32_e64 v16, v16, v30, s[4:5]
	v_lshlrev_b32_e32 v29, 16, v2
	v_lshlrev_b32_e32 v16, 20, v16
	v_and_b32_e32 v29, 0x80000000, v29
	v_lshl_add_u32 v6, v6, 23, v23
	v_or3_b32 v16, v29, v6, v16
.LBB331_354:                            ;   in Loop: Header=BB331_192 Depth=1
	s_or_b64 exec, exec, s[30:31]
.LBB331_355:                            ;   in Loop: Header=BB331_192 Depth=1
	s_or_b64 exec, exec, s[28:29]
.LBB331_356:                            ;   in Loop: Header=BB331_192 Depth=1
	s_or_b64 exec, exec, s[26:27]
	v_mul_f32_e32 v6, s43, v16
	v_and_b32_e32 v16, 0x7f800000, v6
	v_cmp_ne_u32_e64 s[4:5], s38, v16
                                        ; implicit-def: $vgpr29
	s_and_saveexec_b64 s[26:27], s[4:5]
	s_xor_b64 s[4:5], exec, s[26:27]
; %bb.357:                              ;   in Loop: Header=BB331_192 Depth=1
	v_bfe_u32 v16, v6, 16, 1
	v_add3_u32 v29, v6, v16, s39
                                        ; implicit-def: $vgpr6
; %bb.358:                              ;   in Loop: Header=BB331_192 Depth=1
	s_andn2_saveexec_b64 s[26:27], s[4:5]
; %bb.359:                              ;   in Loop: Header=BB331_192 Depth=1
	v_or_b32_e32 v16, 0x10000, v6
	v_cmp_eq_u32_sdwa s[4:5], v6, v17 src0_sel:WORD_0 src1_sel:DWORD
	v_cndmask_b32_e64 v29, v16, v6, s[4:5]
; %bb.360:                              ;   in Loop: Header=BB331_192 Depth=1
	s_or_b64 exec, exec, s[26:27]
	v_lshrrev_b32_e32 v6, 16, v2
	v_cmp_ne_u16_sdwa s[4:5], v6, v17 src0_sel:BYTE_0 src1_sel:DWORD
	v_mov_b32_e32 v16, 0
	s_and_saveexec_b64 s[26:27], s[4:5]
	s_cbranch_execz .LBB331_366
; %bb.361:                              ;   in Loop: Header=BB331_192 Depth=1
	v_cmp_ne_u16_sdwa s[4:5], v6, s40 src0_sel:BYTE_0 src1_sel:DWORD
	v_bfrev_b32_e32 v16, 1
	s_and_saveexec_b64 s[28:29], s[4:5]
	s_cbranch_execz .LBB331_365
; %bb.362:                              ;   in Loop: Header=BB331_192 Depth=1
	v_bfe_u32 v30, v2, 16, 7
	v_cmp_ne_u32_e64 s[4:5], s41, v30
	v_mov_b32_e32 v16, 0x7f800001
	s_and_saveexec_b64 s[30:31], s[4:5]
	s_cbranch_execz .LBB331_364
; %bb.363:                              ;   in Loop: Header=BB331_192 Depth=1
	v_and_b32_e32 v16, 7, v6
	v_ffbh_u32_e32 v32, v16
	v_min_u32_e32 v34, 32, v32
	v_subrev_u32_e32 v32, 28, v34
	v_lshlrev_b64 v[32:33], v32, v[6:7]
	v_lshrrev_b32_e32 v31, 3, v30
	v_sub_u32_e32 v33, 29, v34
	v_and_b32_e32 v32, 7, v32
	v_cmp_gt_u32_e64 s[4:5], 8, v30
	v_cndmask_b32_e64 v30, v31, v33, s[4:5]
	v_cndmask_b32_e64 v16, v16, v32, s[4:5]
	v_lshlrev_b32_e32 v6, 24, v6
	v_lshlrev_b32_e32 v16, 20, v16
	v_and_b32_e32 v6, 0x80000000, v6
	v_lshl_add_u32 v30, v30, 23, v23
	v_or3_b32 v16, v6, v30, v16
.LBB331_364:                            ;   in Loop: Header=BB331_192 Depth=1
	s_or_b64 exec, exec, s[30:31]
.LBB331_365:                            ;   in Loop: Header=BB331_192 Depth=1
	s_or_b64 exec, exec, s[28:29]
.LBB331_366:                            ;   in Loop: Header=BB331_192 Depth=1
	s_or_b64 exec, exec, s[26:27]
	v_mul_f32_e32 v6, s43, v16
	v_and_b32_e32 v16, 0x7f800000, v6
	v_cmp_ne_u32_e64 s[4:5], s38, v16
                                        ; implicit-def: $vgpr30
	s_and_saveexec_b64 s[26:27], s[4:5]
	s_xor_b64 s[4:5], exec, s[26:27]
; %bb.367:                              ;   in Loop: Header=BB331_192 Depth=1
	v_bfe_u32 v16, v6, 16, 1
	v_add3_u32 v30, v6, v16, s39
                                        ; implicit-def: $vgpr6
; %bb.368:                              ;   in Loop: Header=BB331_192 Depth=1
	s_andn2_saveexec_b64 s[26:27], s[4:5]
; %bb.369:                              ;   in Loop: Header=BB331_192 Depth=1
	v_or_b32_e32 v16, 0x10000, v6
	v_cmp_eq_u32_sdwa s[4:5], v6, v17 src0_sel:WORD_0 src1_sel:DWORD
	v_cndmask_b32_e64 v30, v16, v6, s[4:5]
; %bb.370:                              ;   in Loop: Header=BB331_192 Depth=1
	s_or_b64 exec, exec, s[26:27]
	v_cmp_lt_u32_e64 s[4:5], s17, v2
	v_mov_b32_e32 v16, 0
	s_and_saveexec_b64 s[26:27], s[4:5]
	s_cbranch_execz .LBB331_376
; %bb.371:                              ;   in Loop: Header=BB331_192 Depth=1
	v_lshrrev_b32_e32 v6, 24, v2
	v_cmp_ne_u32_e64 s[4:5], s40, v6
	v_bfrev_b32_e32 v16, 1
	s_and_saveexec_b64 s[28:29], s[4:5]
	s_cbranch_execz .LBB331_375
; %bb.372:                              ;   in Loop: Header=BB331_192 Depth=1
	v_bfe_u32 v31, v2, 24, 7
	v_cmp_ne_u32_e64 s[4:5], s41, v31
	v_mov_b32_e32 v16, 0x7f800001
	s_and_saveexec_b64 s[30:31], s[4:5]
	s_cbranch_execz .LBB331_374
; %bb.373:                              ;   in Loop: Header=BB331_192 Depth=1
	v_and_b32_e32 v16, 7, v6
	v_ffbh_u32_e32 v32, v16
	v_min_u32_e32 v35, 32, v32
	v_subrev_u32_e32 v32, 28, v35
	v_lshlrev_b64 v[32:33], v32, v[6:7]
	v_lshrrev_b32_e32 v34, 3, v31
	v_sub_u32_e32 v33, 29, v35
	v_and_b32_e32 v32, 7, v32
	v_cmp_gt_u32_e64 s[4:5], 8, v31
	v_cndmask_b32_e64 v31, v34, v33, s[4:5]
	v_cndmask_b32_e64 v16, v16, v32, s[4:5]
	v_lshlrev_b32_e32 v6, 24, v6
	v_lshlrev_b32_e32 v16, 20, v16
	v_and_b32_e32 v6, 0x80000000, v6
	v_lshl_add_u32 v31, v31, 23, v23
	v_or3_b32 v16, v6, v31, v16
.LBB331_374:                            ;   in Loop: Header=BB331_192 Depth=1
	s_or_b64 exec, exec, s[30:31]
.LBB331_375:                            ;   in Loop: Header=BB331_192 Depth=1
	s_or_b64 exec, exec, s[28:29]
.LBB331_376:                            ;   in Loop: Header=BB331_192 Depth=1
	s_or_b64 exec, exec, s[26:27]
	v_mul_f32_e32 v6, s43, v16
	v_and_b32_e32 v16, 0x7f800000, v6
	v_cmp_ne_u32_e64 s[4:5], s38, v16
                                        ; implicit-def: $vgpr31
	s_and_saveexec_b64 s[26:27], s[4:5]
	s_xor_b64 s[4:5], exec, s[26:27]
; %bb.377:                              ;   in Loop: Header=BB331_192 Depth=1
	v_bfe_u32 v16, v6, 16, 1
	v_add3_u32 v31, v6, v16, s39
                                        ; implicit-def: $vgpr6
; %bb.378:                              ;   in Loop: Header=BB331_192 Depth=1
	s_andn2_saveexec_b64 s[26:27], s[4:5]
; %bb.379:                              ;   in Loop: Header=BB331_192 Depth=1
	v_or_b32_e32 v16, 0x10000, v6
	v_cmp_eq_u32_sdwa s[4:5], v6, v17 src0_sel:WORD_0 src1_sel:DWORD
	v_cndmask_b32_e64 v31, v16, v6, s[4:5]
; %bb.380:                              ;   in Loop: Header=BB331_192 Depth=1
	s_or_b64 exec, exec, s[26:27]
	v_mov_b32_e32 v16, v3
	v_cmp_ne_u16_sdwa s[4:5], v3, v17 src0_sel:BYTE_0 src1_sel:DWORD
	v_mov_b32_e32 v6, 0
	s_and_saveexec_b64 s[26:27], s[4:5]
	s_cbranch_execz .LBB331_386
; %bb.381:                              ;   in Loop: Header=BB331_192 Depth=1
	v_cmp_ne_u16_sdwa s[4:5], v3, s40 src0_sel:BYTE_0 src1_sel:DWORD
	v_bfrev_b32_e32 v6, 1
	s_and_saveexec_b64 s[28:29], s[4:5]
	s_cbranch_execz .LBB331_385
; %bb.382:                              ;   in Loop: Header=BB331_192 Depth=1
	v_and_b32_e32 v32, 0x7f, v3
	v_cmp_ne_u32_e64 s[4:5], s41, v32
	v_mov_b32_e32 v6, 0x7f800001
	s_and_saveexec_b64 s[30:31], s[4:5]
	s_cbranch_execz .LBB331_384
; %bb.383:                              ;   in Loop: Header=BB331_192 Depth=1
	v_and_b32_e32 v6, 7, v3
	v_ffbh_u32_e32 v6, v6
	v_min_u32_e32 v6, 32, v6
	v_subrev_u32_e32 v34, 28, v6
	v_cmp_gt_u32_e64 s[4:5], 8, v32
	v_lshrrev_b32_e32 v33, 3, v32
	v_sub_u32_e32 v6, 29, v6
	v_cndmask_b32_e64 v32, 0, v34, s[4:5]
	v_cndmask_b32_e64 v6, v33, v6, s[4:5]
	v_lshlrev_b64 v[32:33], v32, v[16:17]
	v_lshlrev_b32_e32 v32, 20, v32
	v_lshlrev_b32_e32 v33, 24, v16
	v_and_b32_e32 v32, 0x700000, v32
	v_and_b32_e32 v33, 0x80000000, v33
	v_lshl_add_u32 v6, v6, 23, v23
	v_or3_b32 v6, v33, v6, v32
.LBB331_384:                            ;   in Loop: Header=BB331_192 Depth=1
	s_or_b64 exec, exec, s[30:31]
.LBB331_385:                            ;   in Loop: Header=BB331_192 Depth=1
	s_or_b64 exec, exec, s[28:29]
.LBB331_386:                            ;   in Loop: Header=BB331_192 Depth=1
	s_or_b64 exec, exec, s[26:27]
	v_mul_f32_e32 v6, s43, v6
	v_and_b32_e32 v32, 0x7f800000, v6
	v_cmp_ne_u32_e64 s[4:5], s38, v32
                                        ; implicit-def: $vgpr32
	s_and_saveexec_b64 s[26:27], s[4:5]
	s_xor_b64 s[4:5], exec, s[26:27]
; %bb.387:                              ;   in Loop: Header=BB331_192 Depth=1
	v_bfe_u32 v32, v6, 16, 1
	v_add3_u32 v32, v6, v32, s39
                                        ; implicit-def: $vgpr6
; %bb.388:                              ;   in Loop: Header=BB331_192 Depth=1
	s_andn2_saveexec_b64 s[26:27], s[4:5]
; %bb.389:                              ;   in Loop: Header=BB331_192 Depth=1
	v_or_b32_e32 v32, 0x10000, v6
	v_cmp_eq_u32_sdwa s[4:5], v6, v17 src0_sel:WORD_0 src1_sel:DWORD
	v_cndmask_b32_e64 v32, v32, v6, s[4:5]
; %bb.390:                              ;   in Loop: Header=BB331_192 Depth=1
	s_or_b64 exec, exec, s[26:27]
	v_lshrrev_b16_e32 v6, 8, v16
	v_cmp_ne_u16_e64 s[4:5], 0, v6
	v_mov_b32_e32 v33, 0
	s_and_saveexec_b64 s[26:27], s[4:5]
	s_cbranch_execz .LBB331_396
; %bb.391:                              ;   in Loop: Header=BB331_192 Depth=1
	v_cmp_ne_u16_e64 s[4:5], s40, v6
	v_bfrev_b32_e32 v33, 1
	s_and_saveexec_b64 s[28:29], s[4:5]
	s_cbranch_execz .LBB331_395
; %bb.392:                              ;   in Loop: Header=BB331_192 Depth=1
	v_and_b32_e32 v34, 0x7f, v6
	v_cmp_ne_u32_e64 s[4:5], s41, v34
	v_mov_b32_e32 v33, 0x7f800001
	s_and_saveexec_b64 s[30:31], s[4:5]
	s_cbranch_execz .LBB331_394
; %bb.393:                              ;   in Loop: Header=BB331_192 Depth=1
	v_and_b32_e32 v33, 7, v6
	v_ffbh_u32_e32 v36, v33
	v_min_u32_e32 v38, 32, v36
	v_subrev_u32_e32 v36, 28, v38
	v_lshlrev_b64 v[36:37], v36, v[6:7]
	v_lshrrev_b32_e32 v35, 3, v34
	v_sub_u32_e32 v6, 29, v38
	v_and_b32_e32 v36, 7, v36
	v_cmp_gt_u32_e64 s[4:5], 8, v34
	v_cndmask_b32_e64 v6, v35, v6, s[4:5]
	v_cndmask_b32_e64 v33, v33, v36, s[4:5]
	v_lshlrev_b32_e32 v16, 16, v16
	v_lshlrev_b32_e32 v33, 20, v33
	v_and_b32_e32 v16, 0x80000000, v16
	v_lshl_add_u32 v6, v6, 23, v23
	v_or3_b32 v33, v16, v6, v33
.LBB331_394:                            ;   in Loop: Header=BB331_192 Depth=1
	s_or_b64 exec, exec, s[30:31]
.LBB331_395:                            ;   in Loop: Header=BB331_192 Depth=1
	s_or_b64 exec, exec, s[28:29]
.LBB331_396:                            ;   in Loop: Header=BB331_192 Depth=1
	s_or_b64 exec, exec, s[26:27]
	v_mul_f32_e32 v6, s43, v33
	v_and_b32_e32 v16, 0x7f800000, v6
	v_cmp_ne_u32_e64 s[4:5], s38, v16
                                        ; implicit-def: $vgpr16
	s_and_saveexec_b64 s[26:27], s[4:5]
	s_xor_b64 s[4:5], exec, s[26:27]
; %bb.397:                              ;   in Loop: Header=BB331_192 Depth=1
	v_bfe_u32 v16, v6, 16, 1
	v_add3_u32 v16, v6, v16, s39
                                        ; implicit-def: $vgpr6
; %bb.398:                              ;   in Loop: Header=BB331_192 Depth=1
	s_andn2_saveexec_b64 s[26:27], s[4:5]
; %bb.399:                              ;   in Loop: Header=BB331_192 Depth=1
	v_or_b32_e32 v16, 0x10000, v6
	v_cmp_eq_u32_sdwa s[4:5], v6, v17 src0_sel:WORD_0 src1_sel:DWORD
	v_cndmask_b32_e64 v16, v16, v6, s[4:5]
; %bb.400:                              ;   in Loop: Header=BB331_192 Depth=1
	s_or_b64 exec, exec, s[26:27]
	v_lshrrev_b32_e32 v6, 16, v3
	v_cmp_ne_u16_sdwa s[4:5], v6, v17 src0_sel:BYTE_0 src1_sel:DWORD
	v_mov_b32_e32 v33, 0
	s_and_saveexec_b64 s[26:27], s[4:5]
	s_cbranch_execz .LBB331_406
; %bb.401:                              ;   in Loop: Header=BB331_192 Depth=1
	v_cmp_ne_u16_sdwa s[4:5], v6, s40 src0_sel:BYTE_0 src1_sel:DWORD
	v_bfrev_b32_e32 v33, 1
	s_and_saveexec_b64 s[28:29], s[4:5]
	s_cbranch_execz .LBB331_405
; %bb.402:                              ;   in Loop: Header=BB331_192 Depth=1
	v_bfe_u32 v34, v3, 16, 7
	v_cmp_ne_u32_e64 s[4:5], s41, v34
	v_mov_b32_e32 v33, 0x7f800001
	s_and_saveexec_b64 s[30:31], s[4:5]
	s_cbranch_execz .LBB331_404
; %bb.403:                              ;   in Loop: Header=BB331_192 Depth=1
	v_and_b32_e32 v33, 7, v6
	v_ffbh_u32_e32 v36, v33
	v_min_u32_e32 v38, 32, v36
	v_subrev_u32_e32 v36, 28, v38
	v_lshlrev_b64 v[36:37], v36, v[6:7]
	v_lshrrev_b32_e32 v35, 3, v34
	v_sub_u32_e32 v37, 29, v38
	v_and_b32_e32 v36, 7, v36
	v_cmp_gt_u32_e64 s[4:5], 8, v34
	v_cndmask_b32_e64 v34, v35, v37, s[4:5]
	v_cndmask_b32_e64 v33, v33, v36, s[4:5]
	v_lshlrev_b32_e32 v6, 24, v6
	v_lshlrev_b32_e32 v33, 20, v33
	v_and_b32_e32 v6, 0x80000000, v6
	v_lshl_add_u32 v34, v34, 23, v23
	v_or3_b32 v33, v6, v34, v33
.LBB331_404:                            ;   in Loop: Header=BB331_192 Depth=1
	s_or_b64 exec, exec, s[30:31]
.LBB331_405:                            ;   in Loop: Header=BB331_192 Depth=1
	s_or_b64 exec, exec, s[28:29]
.LBB331_406:                            ;   in Loop: Header=BB331_192 Depth=1
	s_or_b64 exec, exec, s[26:27]
	v_mul_f32_e32 v33, s43, v33
	v_and_b32_e32 v6, 0x7f800000, v33
	v_cmp_ne_u32_e64 s[4:5], s38, v6
                                        ; implicit-def: $vgpr6
	s_and_saveexec_b64 s[26:27], s[4:5]
	s_xor_b64 s[4:5], exec, s[26:27]
; %bb.407:                              ;   in Loop: Header=BB331_192 Depth=1
	v_bfe_u32 v6, v33, 16, 1
	v_add3_u32 v6, v33, v6, s39
                                        ; implicit-def: $vgpr33
; %bb.408:                              ;   in Loop: Header=BB331_192 Depth=1
	s_andn2_saveexec_b64 s[26:27], s[4:5]
; %bb.409:                              ;   in Loop: Header=BB331_192 Depth=1
	v_or_b32_e32 v6, 0x10000, v33
	v_cmp_eq_u32_sdwa s[4:5], v33, v17 src0_sel:WORD_0 src1_sel:DWORD
	v_cndmask_b32_e64 v6, v6, v33, s[4:5]
; %bb.410:                              ;   in Loop: Header=BB331_192 Depth=1
	s_or_b64 exec, exec, s[26:27]
	v_cmp_lt_u64_e64 s[4:5], s[16:17], v[2:3]
	v_mov_b32_e32 v33, 0
	s_and_saveexec_b64 s[26:27], s[4:5]
	s_cbranch_execz .LBB331_416
; %bb.411:                              ;   in Loop: Header=BB331_192 Depth=1
	v_lshrrev_b32_e32 v2, 24, v3
	v_cmp_ne_u32_e64 s[4:5], s40, v2
	v_bfrev_b32_e32 v33, 1
	s_and_saveexec_b64 s[28:29], s[4:5]
	s_cbranch_execz .LBB331_415
; %bb.412:                              ;   in Loop: Header=BB331_192 Depth=1
	v_bfe_u32 v3, v3, 24, 7
	v_cmp_ne_u32_e64 s[4:5], s41, v3
	v_mov_b32_e32 v33, 0x7f800001
	s_and_saveexec_b64 s[30:31], s[4:5]
	s_cbranch_execz .LBB331_414
; %bb.413:                              ;   in Loop: Header=BB331_192 Depth=1
	v_and_b32_e32 v33, 7, v2
	v_ffbh_u32_e32 v34, v33
	v_min_u32_e32 v37, 32, v34
	v_subrev_u32_e32 v34, 28, v37
	v_lshlrev_b64 v[34:35], v34, v[2:3]
	v_lshrrev_b32_e32 v36, 3, v3
	v_sub_u32_e32 v35, 29, v37
	v_and_b32_e32 v34, 7, v34
	v_cmp_gt_u32_e64 s[4:5], 8, v3
	v_cndmask_b32_e64 v3, v36, v35, s[4:5]
	v_cndmask_b32_e64 v33, v33, v34, s[4:5]
	v_lshlrev_b32_e32 v2, 24, v2
	v_lshlrev_b32_e32 v33, 20, v33
	v_and_b32_e32 v2, 0x80000000, v2
	v_lshl_add_u32 v3, v3, 23, v23
	v_or3_b32 v33, v2, v3, v33
.LBB331_414:                            ;   in Loop: Header=BB331_192 Depth=1
	s_or_b64 exec, exec, s[30:31]
.LBB331_415:                            ;   in Loop: Header=BB331_192 Depth=1
	s_or_b64 exec, exec, s[28:29]
.LBB331_416:                            ;   in Loop: Header=BB331_192 Depth=1
	s_or_b64 exec, exec, s[26:27]
	v_mul_f32_e32 v3, s43, v33
	v_and_b32_e32 v2, 0x7f800000, v3
	v_cmp_ne_u32_e64 s[4:5], s38, v2
                                        ; implicit-def: $vgpr2
	s_and_saveexec_b64 s[26:27], s[4:5]
	s_xor_b64 s[4:5], exec, s[26:27]
; %bb.417:                              ;   in Loop: Header=BB331_192 Depth=1
	v_bfe_u32 v2, v3, 16, 1
	v_add3_u32 v2, v3, v2, s39
                                        ; implicit-def: $vgpr3
; %bb.418:                              ;   in Loop: Header=BB331_192 Depth=1
	s_andn2_saveexec_b64 s[26:27], s[4:5]
; %bb.419:                              ;   in Loop: Header=BB331_192 Depth=1
	v_or_b32_e32 v2, 0x10000, v3
	v_cmp_eq_u32_sdwa s[4:5], v3, v17 src0_sel:WORD_0 src1_sel:DWORD
	v_cndmask_b32_e64 v2, v2, v3, s[4:5]
; %bb.420:                              ;   in Loop: Header=BB331_192 Depth=1
	s_or_b64 exec, exec, s[26:27]
	v_lshrrev_b32_e32 v16, 16, v16
	v_lshrrev_b32_e32 v32, 16, v32
	;; [unrolled: 1-line block ×8, first 2 shown]
	s_and_saveexec_b64 s[4:5], s[2:3]
	s_cbranch_execz .LBB331_422
; %bb.421:                              ;   in Loop: Header=BB331_192 Depth=1
	v_cmp_gt_i32_e64 s[2:3], s33, v19
	v_add_u32_e32 v6, 1, v19
	v_cndmask_b32_e64 v3, 0, v3, s[2:3]
	v_cmp_gt_i32_e64 s[2:3], s33, v6
	v_add_u32_e32 v6, 2, v19
	v_cndmask_b32_e64 v29, 0, v29, s[2:3]
	;; [unrolled: 3-line block ×7, first 2 shown]
	v_cmp_gt_i32_e64 s[2:3], s33, v6
	v_cndmask_b32_e64 v2, 0, v2, s[2:3]
.LBB331_422:                            ;   in Loop: Header=BB331_192 Depth=1
	s_or_b64 exec, exec, s[4:5]
	v_lshlrev_b32_e32 v3, 16, v3
	v_mul_f32_e32 v6, v7, v3
	v_and_b32_e32 v3, 0x7f800000, v6
	v_cmp_ne_u32_e64 s[2:3], s38, v3
                                        ; implicit-def: $vgpr3
	s_and_saveexec_b64 s[4:5], s[2:3]
	s_xor_b64 s[2:3], exec, s[4:5]
; %bb.423:                              ;   in Loop: Header=BB331_192 Depth=1
	v_bfe_u32 v3, v6, 16, 1
	v_add3_u32 v3, v6, v3, s39
                                        ; implicit-def: $vgpr6
; %bb.424:                              ;   in Loop: Header=BB331_192 Depth=1
	s_andn2_saveexec_b64 s[4:5], s[2:3]
; %bb.425:                              ;   in Loop: Header=BB331_192 Depth=1
	v_or_b32_e32 v3, 0x10000, v6
	v_cmp_eq_u32_sdwa s[2:3], v6, v17 src0_sel:WORD_0 src1_sel:DWORD
	v_cndmask_b32_e64 v3, v3, v6, s[2:3]
; %bb.426:                              ;   in Loop: Header=BB331_192 Depth=1
	s_or_b64 exec, exec, s[4:5]
	v_lshlrev_b32_e32 v6, 16, v29
	v_mul_f32_e32 v7, v8, v6
	v_and_b32_e32 v6, 0x7f800000, v7
	v_cmp_ne_u32_e64 s[2:3], s38, v6
                                        ; implicit-def: $vgpr6
	s_and_saveexec_b64 s[4:5], s[2:3]
	s_xor_b64 s[2:3], exec, s[4:5]
; %bb.427:                              ;   in Loop: Header=BB331_192 Depth=1
	v_bfe_u32 v6, v7, 16, 1
	v_add3_u32 v6, v7, v6, s39
                                        ; implicit-def: $vgpr7
; %bb.428:                              ;   in Loop: Header=BB331_192 Depth=1
	s_andn2_saveexec_b64 s[4:5], s[2:3]
; %bb.429:                              ;   in Loop: Header=BB331_192 Depth=1
	v_or_b32_e32 v6, 0x10000, v7
	v_cmp_eq_u32_sdwa s[2:3], v7, v17 src0_sel:WORD_0 src1_sel:DWORD
	v_cndmask_b32_e64 v6, v6, v7, s[2:3]
; %bb.430:                              ;   in Loop: Header=BB331_192 Depth=1
	s_or_b64 exec, exec, s[4:5]
	v_lshlrev_b32_e32 v7, 16, v30
	v_mul_f32_e32 v8, v9, v7
	v_and_b32_e32 v7, 0x7f800000, v8
	v_cmp_ne_u32_e64 s[2:3], s38, v7
                                        ; implicit-def: $vgpr7
	s_and_saveexec_b64 s[4:5], s[2:3]
	s_xor_b64 s[2:3], exec, s[4:5]
; %bb.431:                              ;   in Loop: Header=BB331_192 Depth=1
	v_bfe_u32 v7, v8, 16, 1
	v_add3_u32 v7, v8, v7, s39
                                        ; implicit-def: $vgpr8
; %bb.432:                              ;   in Loop: Header=BB331_192 Depth=1
	s_andn2_saveexec_b64 s[4:5], s[2:3]
; %bb.433:                              ;   in Loop: Header=BB331_192 Depth=1
	v_or_b32_e32 v7, 0x10000, v8
	v_cmp_eq_u32_sdwa s[2:3], v8, v17 src0_sel:WORD_0 src1_sel:DWORD
	v_cndmask_b32_e64 v7, v7, v8, s[2:3]
; %bb.434:                              ;   in Loop: Header=BB331_192 Depth=1
	s_or_b64 exec, exec, s[4:5]
	v_lshlrev_b32_e32 v8, 16, v31
	v_mul_f32_e32 v9, v24, v8
	v_and_b32_e32 v8, 0x7f800000, v9
	v_cmp_ne_u32_e64 s[2:3], s38, v8
                                        ; implicit-def: $vgpr8
	s_and_saveexec_b64 s[4:5], s[2:3]
	s_xor_b64 s[2:3], exec, s[4:5]
; %bb.435:                              ;   in Loop: Header=BB331_192 Depth=1
	v_bfe_u32 v8, v9, 16, 1
	v_add3_u32 v8, v9, v8, s39
                                        ; implicit-def: $vgpr9
; %bb.436:                              ;   in Loop: Header=BB331_192 Depth=1
	s_andn2_saveexec_b64 s[4:5], s[2:3]
; %bb.437:                              ;   in Loop: Header=BB331_192 Depth=1
	v_or_b32_e32 v8, 0x10000, v9
	v_cmp_eq_u32_sdwa s[2:3], v9, v17 src0_sel:WORD_0 src1_sel:DWORD
	v_cndmask_b32_e64 v8, v8, v9, s[2:3]
; %bb.438:                              ;   in Loop: Header=BB331_192 Depth=1
	s_or_b64 exec, exec, s[4:5]
	v_lshlrev_b32_e32 v9, 16, v32
	v_mul_f32_e32 v24, v25, v9
	v_and_b32_e32 v9, 0x7f800000, v24
	v_cmp_ne_u32_e64 s[2:3], s38, v9
                                        ; implicit-def: $vgpr9
	s_and_saveexec_b64 s[4:5], s[2:3]
	s_xor_b64 s[2:3], exec, s[4:5]
; %bb.439:                              ;   in Loop: Header=BB331_192 Depth=1
	v_bfe_u32 v9, v24, 16, 1
	v_add3_u32 v9, v24, v9, s39
                                        ; implicit-def: $vgpr24
; %bb.440:                              ;   in Loop: Header=BB331_192 Depth=1
	s_andn2_saveexec_b64 s[4:5], s[2:3]
; %bb.441:                              ;   in Loop: Header=BB331_192 Depth=1
	v_or_b32_e32 v9, 0x10000, v24
	v_cmp_eq_u32_sdwa s[2:3], v24, v17 src0_sel:WORD_0 src1_sel:DWORD
	v_cndmask_b32_e64 v9, v9, v24, s[2:3]
; %bb.442:                              ;   in Loop: Header=BB331_192 Depth=1
	s_or_b64 exec, exec, s[4:5]
	v_lshlrev_b32_e32 v16, 16, v16
	v_mul_f32_e32 v24, v26, v16
	v_and_b32_e32 v16, 0x7f800000, v24
	v_cmp_ne_u32_e64 s[2:3], s38, v16
                                        ; implicit-def: $vgpr16
	s_and_saveexec_b64 s[4:5], s[2:3]
	s_xor_b64 s[2:3], exec, s[4:5]
; %bb.443:                              ;   in Loop: Header=BB331_192 Depth=1
	v_bfe_u32 v16, v24, 16, 1
	v_add3_u32 v16, v24, v16, s39
                                        ; implicit-def: $vgpr24
; %bb.444:                              ;   in Loop: Header=BB331_192 Depth=1
	s_andn2_saveexec_b64 s[4:5], s[2:3]
; %bb.445:                              ;   in Loop: Header=BB331_192 Depth=1
	v_or_b32_e32 v16, 0x10000, v24
	v_cmp_eq_u32_sdwa s[2:3], v24, v17 src0_sel:WORD_0 src1_sel:DWORD
	v_cndmask_b32_e64 v16, v16, v24, s[2:3]
; %bb.446:                              ;   in Loop: Header=BB331_192 Depth=1
	s_or_b64 exec, exec, s[4:5]
	v_lshlrev_b32_e32 v5, 16, v5
	v_mul_f32_e32 v24, v27, v5
	v_and_b32_e32 v5, 0x7f800000, v24
	v_cmp_ne_u32_e64 s[2:3], s38, v5
                                        ; implicit-def: $vgpr5
	s_and_saveexec_b64 s[4:5], s[2:3]
	s_xor_b64 s[2:3], exec, s[4:5]
; %bb.447:                              ;   in Loop: Header=BB331_192 Depth=1
	v_bfe_u32 v5, v24, 16, 1
	v_add3_u32 v5, v24, v5, s39
                                        ; implicit-def: $vgpr24
; %bb.448:                              ;   in Loop: Header=BB331_192 Depth=1
	s_andn2_saveexec_b64 s[4:5], s[2:3]
; %bb.449:                              ;   in Loop: Header=BB331_192 Depth=1
	v_or_b32_e32 v5, 0x10000, v24
	v_cmp_eq_u32_sdwa s[2:3], v24, v17 src0_sel:WORD_0 src1_sel:DWORD
	v_cndmask_b32_e64 v5, v5, v24, s[2:3]
; %bb.450:                              ;   in Loop: Header=BB331_192 Depth=1
	s_or_b64 exec, exec, s[4:5]
	v_lshlrev_b32_e32 v2, 16, v2
	v_mul_f32_e32 v2, v28, v2
	v_and_b32_e32 v24, 0x7f800000, v2
	v_cmp_ne_u32_e64 s[2:3], s38, v24
                                        ; implicit-def: $vgpr24
	s_and_saveexec_b64 s[4:5], s[2:3]
	s_xor_b64 s[2:3], exec, s[4:5]
; %bb.451:                              ;   in Loop: Header=BB331_192 Depth=1
	v_bfe_u32 v24, v2, 16, 1
	v_add3_u32 v24, v2, v24, s39
                                        ; implicit-def: $vgpr2
; %bb.452:                              ;   in Loop: Header=BB331_192 Depth=1
	s_andn2_saveexec_b64 s[4:5], s[2:3]
	s_cbranch_execz .LBB331_189
; %bb.453:                              ;   in Loop: Header=BB331_192 Depth=1
	v_or_b32_e32 v24, 0x10000, v2
	v_cmp_eq_u32_sdwa s[2:3], v2, v17 src0_sel:WORD_0 src1_sel:DWORD
	v_cndmask_b32_e64 v24, v24, v2, s[2:3]
	s_branch .LBB331_189
.LBB331_454:
	s_or_b64 exec, exec, s[20:21]
.LBB331_455:
	s_or_b64 exec, exec, s[6:7]
	v_and_b32_e32 v2, 0x3c0, v0
	v_cmp_eq_u32_e32 vcc, 64, v2
	s_barrier
	s_and_saveexec_b64 s[2:3], vcc
	s_cbranch_execz .LBB331_458
; %bb.456:
	v_mov_b32_e32 v2, 0xf0
	v_lshl_add_u32 v3, v15, 2, v2
	ds_write_b32 v3, v12
	s_and_b64 exec, exec, s[0:1]
	s_cbranch_execz .LBB331_458
; %bb.457:
	v_lshl_add_u32 v2, v0, 2, v2
	ds_write_b32 v2, v13
.LBB331_458:
	s_or_b64 exec, exec, s[2:3]
	v_cmp_gt_u32_e32 vcc, 64, v0
	v_or_b32_e32 v2, 64, v0
	s_waitcnt lgkmcnt(0)
	s_barrier
	s_and_saveexec_b64 s[2:3], vcc
	s_cbranch_execz .LBB331_462
; %bb.459:
	v_mov_b32_e32 v3, 0xf0
	v_lshl_add_u32 v3, v0, 2, v3
	ds_read_b32 v0, v3
	s_movk_i32 s0, 0x70
	v_cmp_gt_u32_e64 s[0:1], s0, v2
	s_and_saveexec_b64 s[4:5], s[0:1]
	s_cbranch_execz .LBB331_461
; %bb.460:
	ds_read_b32 v3, v3 offset:256
	s_waitcnt lgkmcnt(0)
	v_add_f32_e32 v13, v13, v3
.LBB331_461:
	s_or_b64 exec, exec, s[4:5]
	s_waitcnt lgkmcnt(0)
	v_add_f32_e32 v12, v12, v0
.LBB331_462:
	s_or_b64 exec, exec, s[2:3]
	s_barrier
	s_and_saveexec_b64 s[0:1], vcc
	s_cbranch_execz .LBB331_473
; %bb.463:
	s_mov_b32 s0, 0x7f800000
	v_and_b32_e32 v0, 0x7f800000, v12
	v_cmp_ne_u32_e32 vcc, s0, v0
                                        ; implicit-def: $vgpr0
	s_and_saveexec_b64 s[0:1], vcc
	s_xor_b64 s[0:1], exec, s[0:1]
; %bb.464:
	v_bfe_u32 v0, v12, 16, 1
	s_movk_i32 s2, 0x7fff
	v_add3_u32 v0, v12, v0, s2
; %bb.465:
	s_andn2_saveexec_b64 s[0:1], s[0:1]
; %bb.466:
	v_mov_b32_e32 v0, 0
	v_or_b32_e32 v3, 0x10000, v12
	v_cmp_eq_u32_sdwa vcc, v12, v0 src0_sel:WORD_0 src1_sel:DWORD
	v_cndmask_b32_e32 v0, v3, v12, vcc
; %bb.467:
	s_or_b64 exec, exec, s[0:1]
	s_mul_i32 s0, s10, 0x70
	s_ashr_i32 s1, s0, 31
	s_lshl_b64 s[0:1], s[0:1], 1
	s_add_u32 s3, s34, s0
	s_mul_i32 s0, s15, s14
	s_addc_u32 s4, s35, s1
	s_ashr_i32 s1, s0, 31
	s_lshl_b64 s[0:1], s[0:1], 1
	s_add_u32 s3, s3, s0
	s_mul_i32 s0, s8, 0x70
	s_addc_u32 s4, s4, s1
	s_ashr_i32 s1, s0, 31
	s_lshl_b64 s[0:1], s[0:1], 1
	s_movk_i32 s2, 0x70
	s_add_u32 s0, s3, s0
	s_addc_u32 s1, s4, s1
	v_cmp_gt_u32_e32 vcc, s2, v2
	global_store_short_d16_hi v1, v0, s[0:1]
	s_and_b64 exec, exec, vcc
	s_cbranch_execz .LBB331_473
; %bb.468:
	v_mov_b32_e32 v2, s1
	v_add_co_u32_e32 v0, vcc, s0, v1
	v_addc_co_u32_e32 v1, vcc, 0, v2, vcc
	s_mov_b32 s0, 0x7f800000
	v_and_b32_e32 v2, 0x7f800000, v13
	v_cmp_ne_u32_e32 vcc, s0, v2
                                        ; implicit-def: $vgpr2
	s_and_saveexec_b64 s[0:1], vcc
	s_xor_b64 s[0:1], exec, s[0:1]
; %bb.469:
	v_bfe_u32 v2, v13, 16, 1
	s_movk_i32 s2, 0x7fff
	v_add3_u32 v2, v13, v2, s2
                                        ; implicit-def: $vgpr13
; %bb.470:
	s_andn2_saveexec_b64 s[0:1], s[0:1]
; %bb.471:
	v_mov_b32_e32 v2, 0
	v_or_b32_e32 v3, 0x10000, v13
	v_cmp_eq_u32_sdwa vcc, v13, v2 src0_sel:WORD_0 src1_sel:DWORD
	v_cndmask_b32_e32 v2, v3, v13, vcc
; %bb.472:
	s_or_b64 exec, exec, s[0:1]
	global_store_short_d16_hi v[0:1], v2, off offset:128
.LBB331_473:
	s_endpgm
	.section	.rodata,"a",@progbits
	.p2align	6, 0x0
	.amdhsa_kernel _ZN4vllm25paged_attention_v2_kernelI14__hip_bfloat16hLi112ELi8ELi128ELNS_18Fp8KVCacheDataTypeE1ELb1ELi512EEEvPfS3_PT_PKS4_PKT0_SA_ifPKiSC_iPKfiiiSE_SE_iiiii
		.amdhsa_group_segment_fixed_size 240
		.amdhsa_private_segment_fixed_size 0
		.amdhsa_kernarg_size 400
		.amdhsa_user_sgpr_count 6
		.amdhsa_user_sgpr_private_segment_buffer 1
		.amdhsa_user_sgpr_dispatch_ptr 0
		.amdhsa_user_sgpr_queue_ptr 0
		.amdhsa_user_sgpr_kernarg_segment_ptr 1
		.amdhsa_user_sgpr_dispatch_id 0
		.amdhsa_user_sgpr_flat_scratch_init 0
		.amdhsa_user_sgpr_kernarg_preload_length 0
		.amdhsa_user_sgpr_kernarg_preload_offset 0
		.amdhsa_user_sgpr_private_segment_size 0
		.amdhsa_uses_dynamic_stack 0
		.amdhsa_system_sgpr_private_segment_wavefront_offset 0
		.amdhsa_system_sgpr_workgroup_id_x 1
		.amdhsa_system_sgpr_workgroup_id_y 1
		.amdhsa_system_sgpr_workgroup_id_z 1
		.amdhsa_system_sgpr_workgroup_info 0
		.amdhsa_system_vgpr_workitem_id 0
		.amdhsa_next_free_vgpr 54
		.amdhsa_next_free_sgpr 67
		.amdhsa_accum_offset 56
		.amdhsa_reserve_vcc 1
		.amdhsa_reserve_flat_scratch 0
		.amdhsa_float_round_mode_32 0
		.amdhsa_float_round_mode_16_64 0
		.amdhsa_float_denorm_mode_32 3
		.amdhsa_float_denorm_mode_16_64 3
		.amdhsa_dx10_clamp 1
		.amdhsa_ieee_mode 1
		.amdhsa_fp16_overflow 0
		.amdhsa_tg_split 0
		.amdhsa_exception_fp_ieee_invalid_op 0
		.amdhsa_exception_fp_denorm_src 0
		.amdhsa_exception_fp_ieee_div_zero 0
		.amdhsa_exception_fp_ieee_overflow 0
		.amdhsa_exception_fp_ieee_underflow 0
		.amdhsa_exception_fp_ieee_inexact 0
		.amdhsa_exception_int_div_zero 0
	.end_amdhsa_kernel
	.section	.text._ZN4vllm25paged_attention_v2_kernelI14__hip_bfloat16hLi112ELi8ELi128ELNS_18Fp8KVCacheDataTypeE1ELb1ELi512EEEvPfS3_PT_PKS4_PKT0_SA_ifPKiSC_iPKfiiiSE_SE_iiiii,"axG",@progbits,_ZN4vllm25paged_attention_v2_kernelI14__hip_bfloat16hLi112ELi8ELi128ELNS_18Fp8KVCacheDataTypeE1ELb1ELi512EEEvPfS3_PT_PKS4_PKT0_SA_ifPKiSC_iPKfiiiSE_SE_iiiii,comdat
.Lfunc_end331:
	.size	_ZN4vllm25paged_attention_v2_kernelI14__hip_bfloat16hLi112ELi8ELi128ELNS_18Fp8KVCacheDataTypeE1ELb1ELi512EEEvPfS3_PT_PKS4_PKT0_SA_ifPKiSC_iPKfiiiSE_SE_iiiii, .Lfunc_end331-_ZN4vllm25paged_attention_v2_kernelI14__hip_bfloat16hLi112ELi8ELi128ELNS_18Fp8KVCacheDataTypeE1ELb1ELi512EEEvPfS3_PT_PKS4_PKT0_SA_ifPKiSC_iPKfiiiSE_SE_iiiii
                                        ; -- End function
	.section	.AMDGPU.csdata,"",@progbits
; Kernel info:
; codeLenInByte = 14992
; NumSgprs: 71
; NumVgprs: 54
; NumAgprs: 0
; TotalNumVgprs: 54
; ScratchSize: 0
; MemoryBound: 0
; FloatMode: 240
; IeeeMode: 1
; LDSByteSize: 240 bytes/workgroup (compile time only)
; SGPRBlocks: 8
; VGPRBlocks: 6
; NumSGPRsForWavesPerEU: 71
; NumVGPRsForWavesPerEU: 54
; AccumOffset: 56
; Occupancy: 8
; WaveLimiterHint : 1
; COMPUTE_PGM_RSRC2:SCRATCH_EN: 0
; COMPUTE_PGM_RSRC2:USER_SGPR: 6
; COMPUTE_PGM_RSRC2:TRAP_HANDLER: 0
; COMPUTE_PGM_RSRC2:TGID_X_EN: 1
; COMPUTE_PGM_RSRC2:TGID_Y_EN: 1
; COMPUTE_PGM_RSRC2:TGID_Z_EN: 1
; COMPUTE_PGM_RSRC2:TIDIG_COMP_CNT: 0
; COMPUTE_PGM_RSRC3_GFX90A:ACCUM_OFFSET: 13
; COMPUTE_PGM_RSRC3_GFX90A:TG_SPLIT: 0
	.section	.text._ZN4vllm25paged_attention_v2_kernelI14__hip_bfloat16hLi120ELi8ELi128ELNS_18Fp8KVCacheDataTypeE1ELb1ELi512EEEvPfS3_PT_PKS4_PKT0_SA_ifPKiSC_iPKfiiiSE_SE_iiiii,"axG",@progbits,_ZN4vllm25paged_attention_v2_kernelI14__hip_bfloat16hLi120ELi8ELi128ELNS_18Fp8KVCacheDataTypeE1ELb1ELi512EEEvPfS3_PT_PKS4_PKT0_SA_ifPKiSC_iPKfiiiSE_SE_iiiii,comdat
	.protected	_ZN4vllm25paged_attention_v2_kernelI14__hip_bfloat16hLi120ELi8ELi128ELNS_18Fp8KVCacheDataTypeE1ELb1ELi512EEEvPfS3_PT_PKS4_PKT0_SA_ifPKiSC_iPKfiiiSE_SE_iiiii ; -- Begin function _ZN4vllm25paged_attention_v2_kernelI14__hip_bfloat16hLi120ELi8ELi128ELNS_18Fp8KVCacheDataTypeE1ELb1ELi512EEEvPfS3_PT_PKS4_PKT0_SA_ifPKiSC_iPKfiiiSE_SE_iiiii
	.globl	_ZN4vllm25paged_attention_v2_kernelI14__hip_bfloat16hLi120ELi8ELi128ELNS_18Fp8KVCacheDataTypeE1ELb1ELi512EEEvPfS3_PT_PKS4_PKT0_SA_ifPKiSC_iPKfiiiSE_SE_iiiii
	.p2align	8
	.type	_ZN4vllm25paged_attention_v2_kernelI14__hip_bfloat16hLi120ELi8ELi128ELNS_18Fp8KVCacheDataTypeE1ELb1ELi512EEEvPfS3_PT_PKS4_PKT0_SA_ifPKiSC_iPKfiiiSE_SE_iiiii,@function
_ZN4vllm25paged_attention_v2_kernelI14__hip_bfloat16hLi120ELi8ELi128ELNS_18Fp8KVCacheDataTypeE1ELb1ELi512EEEvPfS3_PT_PKS4_PKT0_SA_ifPKiSC_iPKfiiiSE_SE_iiiii: ; @_ZN4vllm25paged_attention_v2_kernelI14__hip_bfloat16hLi120ELi8ELi128ELNS_18Fp8KVCacheDataTypeE1ELb1ELi512EEEvPfS3_PT_PKS4_PKT0_SA_ifPKiSC_iPKfiiiSE_SE_iiiii
; %bb.0:
	s_load_dwordx2 s[0:1], s[4:5], 0x40
	s_mov_b32 s36, s7
	s_ashr_i32 s37, s7, 31
	s_lshl_b64 s[2:3], s[36:37], 2
	s_waitcnt lgkmcnt(0)
	s_add_u32 s0, s0, s2
	s_addc_u32 s1, s1, s3
	s_load_dword s33, s[0:1], 0x0
	s_lshl_b32 s57, s8, 9
	s_waitcnt lgkmcnt(0)
	s_cmp_ge_i32 s57, s33
	s_cbranch_scc1 .LBB332_483
; %bb.1:
	s_load_dword s9, s[4:5], 0x90
	s_load_dwordx2 s[44:45], s[4:5], 0x30
	s_waitcnt lgkmcnt(0)
	s_abs_i32 s2, s9
	s_abs_i32 s0, s44
	v_cvt_f32_u32_e32 v1, s0
	s_sub_i32 s3, 0, s0
	s_xor_b32 s1, s9, s44
	s_ashr_i32 s1, s1, 31
	v_rcp_iflag_f32_e32 v1, v1
	v_mul_f32_e32 v1, 0x4f7ffffe, v1
	v_cvt_u32_f32_e32 v1, v1
	v_readfirstlane_b32 s7, v1
	s_mul_i32 s3, s3, s7
	s_mul_hi_u32 s3, s7, s3
	s_add_i32 s7, s7, s3
	s_mul_hi_u32 s3, s2, s7
	s_mul_i32 s7, s3, s0
	s_sub_i32 s2, s2, s7
	s_add_i32 s10, s3, 1
	s_sub_i32 s7, s2, s0
	s_cmp_ge_u32 s2, s0
	s_cselect_b32 s3, s10, s3
	s_cselect_b32 s2, s7, s2
	s_add_i32 s7, s3, 1
	s_cmp_ge_u32 s2, s0
	s_cselect_b32 s0, s7, s3
	s_xor_b32 s0, s0, s1
	s_sub_i32 s2, s0, s1
	s_abs_i32 s10, s2
	v_cvt_f32_u32_e32 v1, s10
	s_load_dwordx2 s[0:1], s[4:5], 0x50
	s_sub_i32 s3, 0, s10
	s_abs_i32 s11, s6
	v_rcp_iflag_f32_e32 v1, v1
	s_mov_b32 s7, 0
	v_mul_f32_e32 v1, 0x4f7ffffe, v1
	v_cvt_u32_f32_e32 v1, v1
	v_readfirstlane_b32 s12, v1
	s_mul_i32 s3, s3, s12
	s_mul_hi_u32 s3, s12, s3
	s_add_i32 s12, s12, s3
	s_waitcnt lgkmcnt(0)
	s_cmp_eq_u64 s[0:1], 0
	s_mul_hi_u32 s12, s11, s12
	s_cbranch_scc1 .LBB332_3
; %bb.2:
	s_ashr_i32 s7, s6, 31
	s_lshl_b64 s[14:15], s[6:7], 2
	s_add_u32 s0, s0, s14
	s_addc_u32 s1, s1, s15
	s_load_dword s7, s[0:1], 0x0
.LBB332_3:
	s_load_dwordx4 s[20:23], s[4:5], 0x58
	s_movk_i32 s0, 0x78
	s_ashr_i32 s13, s6, 31
	s_ashr_i32 s16, s2, 31
	v_and_b32_e32 v12, 7, v0
	s_mul_i32 s14, s6, 0x78
	v_cmp_gt_u32_e64 s[0:1], s0, v0
	v_lshlrev_b32_e32 v1, 1, v0
	s_and_saveexec_b64 s[2:3], s[0:1]
	s_cbranch_execz .LBB332_5
; %bb.4:
	s_load_dwordx2 s[18:19], s[4:5], 0x18
	s_waitcnt lgkmcnt(0)
	s_mul_i32 s24, s36, s20
	s_ashr_i32 s25, s24, 31
	s_lshl_b64 s[24:25], s[24:25], 1
	v_lshrrev_b32_e32 v3, 2, v0
	s_add_u32 s17, s18, s24
	s_addc_u32 s20, s19, s25
	s_ashr_i32 s15, s14, 31
	s_lshl_b64 s[18:19], s[14:15], 1
	s_add_u32 s18, s17, s18
	s_addc_u32 s19, s20, s19
	global_load_ushort v2, v1, s[18:19]
	v_and_b32_e32 v3, 0xfe, v3
	v_mad_u32_u24 v3, v12, 30, v3
	s_waitcnt vmcnt(0)
	ds_write_b16 v3, v2
.LBB332_5:
	s_or_b64 exec, exec, s[2:3]
	s_mul_i32 s3, s12, s10
	s_sub_i32 s3, s11, s3
	s_xor_b32 s2, s13, s16
	s_add_i32 s11, s12, 1
	s_sub_i32 s13, s3, s10
	s_load_dwordx4 s[24:27], s[4:5], 0x78
	s_cmp_ge_u32 s3, s10
	s_cselect_b32 s11, s11, s12
	s_cselect_b32 s3, s13, s3
	s_load_dword s13, s[4:5], 0x88
	s_add_i32 s12, s11, 1
	s_cmp_ge_u32 s3, s10
	s_cselect_b32 s3, s12, s11
	s_waitcnt lgkmcnt(0)
	s_abs_i32 s37, s27
	v_cvt_f32_u32_e32 v2, s37
	s_xor_b32 s3, s3, s2
	s_sub_i32 s10, s3, s2
	s_sub_i32 s2, 0, s37
	v_rcp_iflag_f32_e32 v2, v2
	s_add_i32 s15, s33, -1
	s_abs_i32 s11, s15
	v_mul_f32_e32 v2, 0x4f7ffffe, v2
	v_cvt_u32_f32_e32 v2, v2
	s_barrier
	v_readfirstlane_b32 s54, v2
	s_mul_i32 s2, s2, s54
	s_mul_hi_u32 s2, s54, s2
	s_add_i32 s54, s54, s2
	s_cmp_lt_i32 s13, 0
	s_mul_hi_u32 s12, s11, s54
	s_cbranch_scc0 .LBB332_7
; %bb.6:
	s_mul_i32 s2, s24, s44
	s_add_i32 s2, s10, s2
	s_mul_i32 s2, s2, s13
	s_sub_i32 s44, 1, s2
	s_mov_b64 s[2:3], 0
	s_branch .LBB332_8
.LBB332_7:
	s_mov_b64 s[2:3], -1
                                        ; implicit-def: $sgpr44
.LBB332_8:
	s_load_dwordx2 s[38:39], s[4:5], 0x38
	s_ashr_i32 s20, s15, 31
	s_andn2_b64 vcc, exec, s[2:3]
	s_ashr_i32 s55, s27, 31
	s_cbranch_vccnz .LBB332_10
; %bb.9:
	s_mul_i32 s2, s9, s24
	s_add_i32 s2, s2, s6
	s_mul_i32 s2, s2, s13
	s_add_i32 s44, s2, 1
.LBB332_10:
	s_load_dwordx2 s[42:43], s[4:5], 0x28
	s_load_dword s2, s[4:5], 0x48
	s_load_dwordx4 s[28:31], s[4:5], 0x0
	s_load_dwordx2 s[34:35], s[4:5], 0x10
	s_load_dword s15, s[4:5], 0x98
	s_load_dwordx4 s[16:19], s[4:5], 0x68
	s_mul_i32 s3, s12, s37
	s_waitcnt lgkmcnt(0)
	s_mul_i32 s40, s36, s2
	s_sub_i32 s3, s11, s3
	s_ashr_i32 s41, s40, 31
	s_xor_b32 s2, s20, s55
	s_add_i32 s11, s12, 1
	s_sub_i32 s13, s3, s37
	s_cmp_ge_u32 s3, s37
	s_cselect_b32 s11, s11, s12
	s_cselect_b32 s3, s13, s3
	s_add_i32 s12, s11, 1
	s_cmp_ge_u32 s3, s37
	s_cselect_b32 s3, s12, s11
	s_xor_b32 s3, s3, s2
	s_sub_i32 s24, s3, s2
	s_add_i32 s2, s33, 7
	s_ashr_i32 s3, s2, 31
	s_lshr_b32 s3, s3, 29
	s_add_i32 s2, s2, s3
	s_lshl_b32 s58, s8, 6
	s_ashr_i32 s20, s2, 3
	s_add_i32 s2, s58, 64
	v_lshrrev_b32_e32 v9, 6, v0
	s_min_i32 s56, s2, s20
	v_or_b32_e32 v10, s58, v9
	v_cmp_gt_i32_e64 s[2:3], s56, v10
	v_mov_b32_e32 v26, 0xff7fffff
	s_mul_i32 s27, s10, s22
	v_ashrrev_i32_e32 v11, 31, v10
	v_lshl_add_u32 v22, v9, 3, s57
	v_mbcnt_lo_u32_b32 v13, -1, 0
	s_and_saveexec_b64 s[22:23], s[2:3]
	s_cbranch_execz .LBB332_170
; %bb.11:
	s_load_dwordx2 s[4:5], s[4:5], 0x20
	s_sub_i32 s59, s24, s25
	s_ashr_i32 s10, s27, 31
	v_bfe_u32 v21, v0, 3, 3
	v_lshlrev_b32_e32 v3, 4, v21
	s_waitcnt lgkmcnt(0)
	s_add_u32 s4, s4, s27
	s_addc_u32 s5, s5, s10
	s_abs_i32 s61, s26
	v_cvt_f32_u32_e32 v2, s61
	s_sub_i32 s10, 0, s61
	v_mov_b32_e32 v4, s5
	v_add_co_u32_e64 v14, s[4:5], s4, v3
	v_rcp_iflag_f32_e32 v2, v2
	v_addc_co_u32_e64 v15, s[4:5], 0, v4, s[4:5]
	v_cmp_eq_u32_e32 vcc, 0, v12
	v_mul_f32_e32 v2, 0x4f7ffffe, v2
	v_cvt_u32_f32_e32 v2, v2
	s_mov_b32 s60, s21
	v_mov_b32_e32 v23, 0
	v_mul_u32_u24_e32 v24, 30, v12
	v_mul_lo_u32 v3, s10, v2
	s_lshl_b64 s[10:11], s[40:41], 2
	v_mul_hi_u32 v3, v2, v3
	s_add_u32 s10, s38, s10
	v_add_u32_e32 v25, v2, v3
	v_lshlrev_b64 v[2:3], 2, v[10:11]
	s_addc_u32 s11, s39, s11
	v_mov_b32_e32 v4, s11
	v_add_co_u32_e64 v16, s[10:11], s10, v2
	v_lshlrev_b32_e32 v2, 2, v21
	v_lshl_or_b32 v2, v9, 5, v2
	v_add_u32_e32 v28, 0x100, v2
	v_subrev_u32_e32 v2, s33, v21
	v_cmp_neq_f32_e64 s[4:5], s7, 0
	v_addc_co_u32_e64 v17, s[10:11], v4, v3, s[10:11]
	v_lshl_add_u32 v27, v9, 3, s57
	v_add_u32_e32 v29, 1, v2
	s_mov_b64 s[46:47], 0
	v_mov_b32_e32 v30, 0xff7fffff
	s_movk_i32 s62, 0x80
	s_movk_i32 s63, 0x7f
	s_mov_b32 s64, 0x7f800000
	s_movk_i32 s65, 0x7fff
	v_bfrev_b32_e32 v31, 60
	v_mbcnt_hi_u32_b32 v32, -1, v13
	v_mov_b32_e32 v26, 0xff7fffff
	v_mov_b32_e32 v33, v10
	s_branch .LBB332_14
.LBB332_12:                             ;   in Loop: Header=BB332_14 Depth=1
	s_or_b64 exec, exec, s[48:49]
.LBB332_13:                             ;   in Loop: Header=BB332_14 Depth=1
	s_or_b64 exec, exec, s[12:13]
	v_add_co_u32_e64 v16, s[10:11], 8, v16
	v_add_u32_e32 v33, 2, v33
	v_addc_co_u32_e64 v17, s[10:11], 0, v17, s[10:11]
	v_cmp_le_i32_e64 s[10:11], s56, v33
	v_add_u32_e32 v27, 16, v27
	s_or_b64 s[46:47], s[10:11], s[46:47]
	v_add_u32_e32 v28, 64, v28
	s_andn2_b64 exec, exec, s[46:47]
	s_cbranch_execz .LBB332_169
.LBB332_14:                             ; =>This Inner Loop Header: Depth=1
	s_waitcnt lgkmcnt(0)
	v_sub_u32_e32 v3, 0, v27
	v_max_i32_e32 v3, v27, v3
	v_mul_hi_u32 v4, v3, s54
	v_mul_lo_u32 v5, v4, s37
	v_sub_u32_e32 v3, v3, v5
	v_add_u32_e32 v5, 1, v4
	v_cmp_le_u32_e64 s[10:11], s37, v3
	v_cndmask_b32_e64 v4, v4, v5, s[10:11]
	v_subrev_u32_e32 v5, s37, v3
	v_cndmask_b32_e64 v3, v3, v5, s[10:11]
	v_ashrrev_i32_e32 v2, 31, v27
	v_add_u32_e32 v5, 1, v4
	v_cmp_le_u32_e64 s[10:11], s37, v3
	v_xor_b32_e32 v2, s55, v2
	v_cndmask_b32_e64 v3, v4, v5, s[10:11]
	v_xor_b32_e32 v3, v3, v2
	v_sub_u32_e32 v2, v3, v2
	v_add_u32_e32 v3, s44, v2
	v_sub_u32_e32 v5, 0, v3
	v_ashrrev_i32_e32 v4, 31, v3
	v_max_i32_e32 v3, v3, v5
	v_mul_hi_u32 v5, v3, v25
	v_mul_lo_u32 v5, v5, s61
	v_sub_u32_e32 v3, v3, v5
	v_subrev_u32_e32 v5, s61, v3
	v_cmp_le_u32_e64 s[10:11], s61, v3
	v_cndmask_b32_e64 v3, v3, v5, s[10:11]
	v_subrev_u32_e32 v5, s61, v3
	v_cmp_le_u32_e64 s[10:11], s61, v3
	v_cndmask_b32_e64 v3, v3, v5, s[10:11]
	v_xor_b32_e32 v3, v3, v4
	v_sub_u32_e32 v3, v3, v4
	v_cmp_ne_u32_e64 s[10:11], 0, v3
	v_cmp_ge_i32_e64 s[12:13], s59, v2
	s_and_b64 s[10:11], s[10:11], s[12:13]
	s_and_b64 s[48:49], vcc, s[10:11]
	s_and_saveexec_b64 s[12:13], s[48:49]
	s_cbranch_execz .LBB332_16
; %bb.15:                               ;   in Loop: Header=BB332_14 Depth=1
	ds_write_b32 v28, v30
.LBB332_16:                             ;   in Loop: Header=BB332_14 Depth=1
	s_or_b64 exec, exec, s[12:13]
	s_xor_b64 s[10:11], s[10:11], -1
	s_and_saveexec_b64 s[12:13], s[10:11]
	s_cbranch_execz .LBB332_13
; %bb.17:                               ;   in Loop: Header=BB332_14 Depth=1
	global_load_dword v2, v[16:17], off
	v_mov_b32_e32 v36, 0
	s_waitcnt vmcnt(0)
	v_mad_i64_i32 v[2:3], s[10:11], v2, s60, v[14:15]
	v_add_co_u32_e64 v18, s[10:11], v2, v12
	v_addc_co_u32_e64 v19, s[10:11], 0, v3, s[10:11]
	global_load_ubyte v35, v[18:19], off
	ds_read_b128 v[2:5], v24
	ds_read_b96 v[6:8], v24 offset:16
	ds_read_u16 v34, v24 offset:28
	s_load_dword s66, s[16:17], 0x0
	s_waitcnt vmcnt(0)
	v_cmp_ne_u16_e64 s[10:11], 0, v35
	s_and_saveexec_b64 s[48:49], s[10:11]
	s_cbranch_execz .LBB332_23
; %bb.18:                               ;   in Loop: Header=BB332_14 Depth=1
	v_cmp_ne_u16_e64 s[10:11], s62, v35
	v_bfrev_b32_e32 v36, 1
	s_and_saveexec_b64 s[50:51], s[10:11]
	s_cbranch_execz .LBB332_22
; %bb.19:                               ;   in Loop: Header=BB332_14 Depth=1
	v_and_b32_e32 v20, 0xffff, v35
	v_and_b32_e32 v37, 0x7f, v20
	v_cmp_ne_u32_e64 s[10:11], s63, v37
	v_mov_b32_e32 v36, 0x7f800001
	s_and_saveexec_b64 s[52:53], s[10:11]
	s_cbranch_execz .LBB332_21
; %bb.20:                               ;   in Loop: Header=BB332_14 Depth=1
	v_and_b32_e32 v36, 7, v20
	v_ffbh_u32_e32 v38, v36
	v_min_u32_e32 v41, 32, v38
	v_subrev_u32_e32 v38, 28, v41
	v_lshlrev_b64 v[38:39], v38, v[20:21]
	v_lshrrev_b32_e32 v40, 3, v37
	v_sub_u32_e32 v20, 29, v41
	v_and_b32_e32 v38, 7, v38
	v_cmp_gt_u32_e64 s[10:11], 8, v37
	v_cndmask_b32_e64 v20, v40, v20, s[10:11]
	v_cndmask_b32_e64 v36, v36, v38, s[10:11]
	v_lshlrev_b32_e32 v35, 24, v35
	v_lshlrev_b32_e32 v36, 20, v36
	v_and_b32_e32 v35, 0x80000000, v35
	v_lshl_add_u32 v20, v20, 23, v31
	v_or3_b32 v36, v35, v20, v36
.LBB332_21:                             ;   in Loop: Header=BB332_14 Depth=1
	s_or_b64 exec, exec, s[52:53]
.LBB332_22:                             ;   in Loop: Header=BB332_14 Depth=1
	s_or_b64 exec, exec, s[50:51]
.LBB332_23:                             ;   in Loop: Header=BB332_14 Depth=1
	s_or_b64 exec, exec, s[48:49]
	s_waitcnt lgkmcnt(0)
	v_mul_f32_e32 v20, s66, v36
	v_and_b32_e32 v35, 0x7f800000, v20
	v_cmp_ne_u32_e64 s[10:11], s64, v35
                                        ; implicit-def: $vgpr35
	s_and_saveexec_b64 s[48:49], s[10:11]
	s_xor_b64 s[10:11], exec, s[48:49]
; %bb.24:                               ;   in Loop: Header=BB332_14 Depth=1
	v_bfe_u32 v35, v20, 16, 1
	v_add3_u32 v35, v20, v35, s65
                                        ; implicit-def: $vgpr20
; %bb.25:                               ;   in Loop: Header=BB332_14 Depth=1
	s_andn2_saveexec_b64 s[48:49], s[10:11]
; %bb.26:                               ;   in Loop: Header=BB332_14 Depth=1
	v_or_b32_e32 v35, 0x10000, v20
	v_cmp_eq_u32_sdwa s[10:11], v20, v23 src0_sel:WORD_0 src1_sel:DWORD
	v_cndmask_b32_e64 v35, v35, v20, s[10:11]
; %bb.27:                               ;   in Loop: Header=BB332_14 Depth=1
	s_or_b64 exec, exec, s[48:49]
	global_load_ubyte v36, v[18:19], off offset:8
	v_mov_b32_e32 v37, 0
	s_waitcnt vmcnt(0)
	v_cmp_ne_u16_e64 s[10:11], 0, v36
	s_and_saveexec_b64 s[48:49], s[10:11]
	s_cbranch_execz .LBB332_33
; %bb.28:                               ;   in Loop: Header=BB332_14 Depth=1
	v_cmp_ne_u16_e64 s[10:11], s62, v36
	v_bfrev_b32_e32 v37, 1
	s_and_saveexec_b64 s[50:51], s[10:11]
	s_cbranch_execz .LBB332_32
; %bb.29:                               ;   in Loop: Header=BB332_14 Depth=1
	v_and_b32_e32 v20, 0xffff, v36
	v_and_b32_e32 v38, 0x7f, v20
	v_cmp_ne_u32_e64 s[10:11], s63, v38
	v_mov_b32_e32 v37, 0x7f800001
	s_and_saveexec_b64 s[52:53], s[10:11]
	s_cbranch_execz .LBB332_31
; %bb.30:                               ;   in Loop: Header=BB332_14 Depth=1
	v_and_b32_e32 v37, 7, v20
	v_ffbh_u32_e32 v40, v37
	v_min_u32_e32 v42, 32, v40
	v_subrev_u32_e32 v40, 28, v42
	v_lshlrev_b64 v[40:41], v40, v[20:21]
	v_lshrrev_b32_e32 v39, 3, v38
	v_sub_u32_e32 v20, 29, v42
	v_and_b32_e32 v40, 7, v40
	v_cmp_gt_u32_e64 s[10:11], 8, v38
	v_cndmask_b32_e64 v20, v39, v20, s[10:11]
	v_cndmask_b32_e64 v37, v37, v40, s[10:11]
	v_lshlrev_b32_e32 v36, 24, v36
	v_lshlrev_b32_e32 v37, 20, v37
	v_and_b32_e32 v36, 0x80000000, v36
	v_lshl_add_u32 v20, v20, 23, v31
	v_or3_b32 v37, v36, v20, v37
.LBB332_31:                             ;   in Loop: Header=BB332_14 Depth=1
	s_or_b64 exec, exec, s[52:53]
.LBB332_32:                             ;   in Loop: Header=BB332_14 Depth=1
	s_or_b64 exec, exec, s[50:51]
.LBB332_33:                             ;   in Loop: Header=BB332_14 Depth=1
	s_or_b64 exec, exec, s[48:49]
	v_mul_f32_e32 v20, s66, v37
	v_and_b32_e32 v36, 0x7f800000, v20
	v_cmp_ne_u32_e64 s[10:11], s64, v36
                                        ; implicit-def: $vgpr36
	s_and_saveexec_b64 s[48:49], s[10:11]
	s_xor_b64 s[10:11], exec, s[48:49]
; %bb.34:                               ;   in Loop: Header=BB332_14 Depth=1
	v_bfe_u32 v36, v20, 16, 1
	v_add3_u32 v36, v20, v36, s65
                                        ; implicit-def: $vgpr20
; %bb.35:                               ;   in Loop: Header=BB332_14 Depth=1
	s_andn2_saveexec_b64 s[48:49], s[10:11]
; %bb.36:                               ;   in Loop: Header=BB332_14 Depth=1
	v_or_b32_e32 v36, 0x10000, v20
	v_cmp_eq_u32_sdwa s[10:11], v20, v23 src0_sel:WORD_0 src1_sel:DWORD
	v_cndmask_b32_e64 v36, v36, v20, s[10:11]
; %bb.37:                               ;   in Loop: Header=BB332_14 Depth=1
	s_or_b64 exec, exec, s[48:49]
	global_load_ubyte v37, v[18:19], off offset:128
	v_mov_b32_e32 v38, 0
	s_waitcnt vmcnt(0)
	v_cmp_ne_u16_e64 s[10:11], 0, v37
	s_and_saveexec_b64 s[48:49], s[10:11]
	s_cbranch_execz .LBB332_43
; %bb.38:                               ;   in Loop: Header=BB332_14 Depth=1
	v_cmp_ne_u16_e64 s[10:11], s62, v37
	v_bfrev_b32_e32 v38, 1
	s_and_saveexec_b64 s[50:51], s[10:11]
	s_cbranch_execz .LBB332_42
; %bb.39:                               ;   in Loop: Header=BB332_14 Depth=1
	v_and_b32_e32 v20, 0xffff, v37
	v_and_b32_e32 v39, 0x7f, v20
	v_cmp_ne_u32_e64 s[10:11], s63, v39
	v_mov_b32_e32 v38, 0x7f800001
	s_and_saveexec_b64 s[52:53], s[10:11]
	s_cbranch_execz .LBB332_41
; %bb.40:                               ;   in Loop: Header=BB332_14 Depth=1
	v_and_b32_e32 v38, 7, v20
	v_ffbh_u32_e32 v40, v38
	v_min_u32_e32 v43, 32, v40
	v_subrev_u32_e32 v40, 28, v43
	v_lshlrev_b64 v[40:41], v40, v[20:21]
	v_lshrrev_b32_e32 v42, 3, v39
	v_sub_u32_e32 v20, 29, v43
	v_and_b32_e32 v40, 7, v40
	v_cmp_gt_u32_e64 s[10:11], 8, v39
	v_cndmask_b32_e64 v20, v42, v20, s[10:11]
	v_cndmask_b32_e64 v38, v38, v40, s[10:11]
	v_lshlrev_b32_e32 v37, 24, v37
	v_lshlrev_b32_e32 v38, 20, v38
	v_and_b32_e32 v37, 0x80000000, v37
	v_lshl_add_u32 v20, v20, 23, v31
	v_or3_b32 v38, v37, v20, v38
.LBB332_41:                             ;   in Loop: Header=BB332_14 Depth=1
	s_or_b64 exec, exec, s[52:53]
.LBB332_42:                             ;   in Loop: Header=BB332_14 Depth=1
	s_or_b64 exec, exec, s[50:51]
.LBB332_43:                             ;   in Loop: Header=BB332_14 Depth=1
	s_or_b64 exec, exec, s[48:49]
	v_mul_f32_e32 v20, s66, v38
	v_and_b32_e32 v37, 0x7f800000, v20
	v_cmp_ne_u32_e64 s[10:11], s64, v37
                                        ; implicit-def: $vgpr37
	s_and_saveexec_b64 s[48:49], s[10:11]
	s_xor_b64 s[10:11], exec, s[48:49]
; %bb.44:                               ;   in Loop: Header=BB332_14 Depth=1
	v_bfe_u32 v37, v20, 16, 1
	v_add3_u32 v37, v20, v37, s65
                                        ; implicit-def: $vgpr20
; %bb.45:                               ;   in Loop: Header=BB332_14 Depth=1
	s_andn2_saveexec_b64 s[48:49], s[10:11]
; %bb.46:                               ;   in Loop: Header=BB332_14 Depth=1
	v_or_b32_e32 v37, 0x10000, v20
	v_cmp_eq_u32_sdwa s[10:11], v20, v23 src0_sel:WORD_0 src1_sel:DWORD
	v_cndmask_b32_e64 v37, v37, v20, s[10:11]
; %bb.47:                               ;   in Loop: Header=BB332_14 Depth=1
	s_or_b64 exec, exec, s[48:49]
	global_load_ubyte v38, v[18:19], off offset:136
	v_mov_b32_e32 v39, 0
	s_waitcnt vmcnt(0)
	v_cmp_ne_u16_e64 s[10:11], 0, v38
	s_and_saveexec_b64 s[48:49], s[10:11]
	s_cbranch_execz .LBB332_53
; %bb.48:                               ;   in Loop: Header=BB332_14 Depth=1
	v_cmp_ne_u16_e64 s[10:11], s62, v38
	v_bfrev_b32_e32 v39, 1
	s_and_saveexec_b64 s[50:51], s[10:11]
	s_cbranch_execz .LBB332_52
; %bb.49:                               ;   in Loop: Header=BB332_14 Depth=1
	v_and_b32_e32 v20, 0xffff, v38
	v_and_b32_e32 v40, 0x7f, v20
	v_cmp_ne_u32_e64 s[10:11], s63, v40
	v_mov_b32_e32 v39, 0x7f800001
	s_and_saveexec_b64 s[52:53], s[10:11]
	s_cbranch_execz .LBB332_51
; %bb.50:                               ;   in Loop: Header=BB332_14 Depth=1
	v_and_b32_e32 v39, 7, v20
	v_ffbh_u32_e32 v42, v39
	v_min_u32_e32 v44, 32, v42
	v_subrev_u32_e32 v42, 28, v44
	v_lshlrev_b64 v[42:43], v42, v[20:21]
	v_lshrrev_b32_e32 v41, 3, v40
	v_sub_u32_e32 v20, 29, v44
	v_and_b32_e32 v42, 7, v42
	v_cmp_gt_u32_e64 s[10:11], 8, v40
	v_cndmask_b32_e64 v20, v41, v20, s[10:11]
	v_cndmask_b32_e64 v39, v39, v42, s[10:11]
	v_lshlrev_b32_e32 v38, 24, v38
	v_lshlrev_b32_e32 v39, 20, v39
	v_and_b32_e32 v38, 0x80000000, v38
	v_lshl_add_u32 v20, v20, 23, v31
	v_or3_b32 v39, v38, v20, v39
.LBB332_51:                             ;   in Loop: Header=BB332_14 Depth=1
	s_or_b64 exec, exec, s[52:53]
.LBB332_52:                             ;   in Loop: Header=BB332_14 Depth=1
	s_or_b64 exec, exec, s[50:51]
.LBB332_53:                             ;   in Loop: Header=BB332_14 Depth=1
	s_or_b64 exec, exec, s[48:49]
	v_mul_f32_e32 v20, s66, v39
	v_and_b32_e32 v38, 0x7f800000, v20
	v_cmp_ne_u32_e64 s[10:11], s64, v38
                                        ; implicit-def: $vgpr38
	s_and_saveexec_b64 s[48:49], s[10:11]
	s_xor_b64 s[10:11], exec, s[48:49]
; %bb.54:                               ;   in Loop: Header=BB332_14 Depth=1
	v_bfe_u32 v38, v20, 16, 1
	v_add3_u32 v38, v20, v38, s65
                                        ; implicit-def: $vgpr20
; %bb.55:                               ;   in Loop: Header=BB332_14 Depth=1
	s_andn2_saveexec_b64 s[48:49], s[10:11]
; %bb.56:                               ;   in Loop: Header=BB332_14 Depth=1
	v_or_b32_e32 v38, 0x10000, v20
	v_cmp_eq_u32_sdwa s[10:11], v20, v23 src0_sel:WORD_0 src1_sel:DWORD
	v_cndmask_b32_e64 v38, v38, v20, s[10:11]
; %bb.57:                               ;   in Loop: Header=BB332_14 Depth=1
	s_or_b64 exec, exec, s[48:49]
	global_load_ubyte v39, v[18:19], off offset:256
	v_mov_b32_e32 v40, 0
	s_waitcnt vmcnt(0)
	v_cmp_ne_u16_e64 s[10:11], 0, v39
	s_and_saveexec_b64 s[48:49], s[10:11]
	s_cbranch_execz .LBB332_63
; %bb.58:                               ;   in Loop: Header=BB332_14 Depth=1
	v_cmp_ne_u16_e64 s[10:11], s62, v39
	v_bfrev_b32_e32 v40, 1
	s_and_saveexec_b64 s[50:51], s[10:11]
	s_cbranch_execz .LBB332_62
; %bb.59:                               ;   in Loop: Header=BB332_14 Depth=1
	v_and_b32_e32 v20, 0xffff, v39
	v_and_b32_e32 v41, 0x7f, v20
	v_cmp_ne_u32_e64 s[10:11], s63, v41
	v_mov_b32_e32 v40, 0x7f800001
	s_and_saveexec_b64 s[52:53], s[10:11]
	s_cbranch_execz .LBB332_61
; %bb.60:                               ;   in Loop: Header=BB332_14 Depth=1
	v_and_b32_e32 v40, 7, v20
	v_ffbh_u32_e32 v42, v40
	v_min_u32_e32 v45, 32, v42
	v_subrev_u32_e32 v42, 28, v45
	v_lshlrev_b64 v[42:43], v42, v[20:21]
	v_lshrrev_b32_e32 v44, 3, v41
	v_sub_u32_e32 v20, 29, v45
	v_and_b32_e32 v42, 7, v42
	v_cmp_gt_u32_e64 s[10:11], 8, v41
	v_cndmask_b32_e64 v20, v44, v20, s[10:11]
	v_cndmask_b32_e64 v40, v40, v42, s[10:11]
	v_lshlrev_b32_e32 v39, 24, v39
	v_lshlrev_b32_e32 v40, 20, v40
	v_and_b32_e32 v39, 0x80000000, v39
	v_lshl_add_u32 v20, v20, 23, v31
	v_or3_b32 v40, v39, v20, v40
.LBB332_61:                             ;   in Loop: Header=BB332_14 Depth=1
	s_or_b64 exec, exec, s[52:53]
.LBB332_62:                             ;   in Loop: Header=BB332_14 Depth=1
	s_or_b64 exec, exec, s[50:51]
.LBB332_63:                             ;   in Loop: Header=BB332_14 Depth=1
	s_or_b64 exec, exec, s[48:49]
	v_mul_f32_e32 v20, s66, v40
	v_and_b32_e32 v39, 0x7f800000, v20
	v_cmp_ne_u32_e64 s[10:11], s64, v39
                                        ; implicit-def: $vgpr39
	s_and_saveexec_b64 s[48:49], s[10:11]
	s_xor_b64 s[10:11], exec, s[48:49]
; %bb.64:                               ;   in Loop: Header=BB332_14 Depth=1
	v_bfe_u32 v39, v20, 16, 1
	v_add3_u32 v39, v20, v39, s65
                                        ; implicit-def: $vgpr20
; %bb.65:                               ;   in Loop: Header=BB332_14 Depth=1
	s_andn2_saveexec_b64 s[48:49], s[10:11]
; %bb.66:                               ;   in Loop: Header=BB332_14 Depth=1
	v_or_b32_e32 v39, 0x10000, v20
	v_cmp_eq_u32_sdwa s[10:11], v20, v23 src0_sel:WORD_0 src1_sel:DWORD
	v_cndmask_b32_e64 v39, v39, v20, s[10:11]
; %bb.67:                               ;   in Loop: Header=BB332_14 Depth=1
	s_or_b64 exec, exec, s[48:49]
	global_load_ubyte v40, v[18:19], off offset:264
	v_mov_b32_e32 v41, 0
	s_waitcnt vmcnt(0)
	v_cmp_ne_u16_e64 s[10:11], 0, v40
	s_and_saveexec_b64 s[48:49], s[10:11]
	s_cbranch_execz .LBB332_73
; %bb.68:                               ;   in Loop: Header=BB332_14 Depth=1
	v_cmp_ne_u16_e64 s[10:11], s62, v40
	v_bfrev_b32_e32 v41, 1
	s_and_saveexec_b64 s[50:51], s[10:11]
	s_cbranch_execz .LBB332_72
; %bb.69:                               ;   in Loop: Header=BB332_14 Depth=1
	v_and_b32_e32 v20, 0xffff, v40
	v_and_b32_e32 v42, 0x7f, v20
	v_cmp_ne_u32_e64 s[10:11], s63, v42
	v_mov_b32_e32 v41, 0x7f800001
	s_and_saveexec_b64 s[52:53], s[10:11]
	s_cbranch_execz .LBB332_71
; %bb.70:                               ;   in Loop: Header=BB332_14 Depth=1
	v_and_b32_e32 v41, 7, v20
	v_ffbh_u32_e32 v44, v41
	v_min_u32_e32 v46, 32, v44
	v_subrev_u32_e32 v44, 28, v46
	v_lshlrev_b64 v[44:45], v44, v[20:21]
	v_lshrrev_b32_e32 v43, 3, v42
	v_sub_u32_e32 v20, 29, v46
	v_and_b32_e32 v44, 7, v44
	v_cmp_gt_u32_e64 s[10:11], 8, v42
	v_cndmask_b32_e64 v20, v43, v20, s[10:11]
	v_cndmask_b32_e64 v41, v41, v44, s[10:11]
	v_lshlrev_b32_e32 v40, 24, v40
	v_lshlrev_b32_e32 v41, 20, v41
	v_and_b32_e32 v40, 0x80000000, v40
	v_lshl_add_u32 v20, v20, 23, v31
	v_or3_b32 v41, v40, v20, v41
.LBB332_71:                             ;   in Loop: Header=BB332_14 Depth=1
	s_or_b64 exec, exec, s[52:53]
.LBB332_72:                             ;   in Loop: Header=BB332_14 Depth=1
	s_or_b64 exec, exec, s[50:51]
.LBB332_73:                             ;   in Loop: Header=BB332_14 Depth=1
	s_or_b64 exec, exec, s[48:49]
	v_mul_f32_e32 v20, s66, v41
	v_and_b32_e32 v40, 0x7f800000, v20
	v_cmp_ne_u32_e64 s[10:11], s64, v40
                                        ; implicit-def: $vgpr40
	s_and_saveexec_b64 s[48:49], s[10:11]
	s_xor_b64 s[10:11], exec, s[48:49]
; %bb.74:                               ;   in Loop: Header=BB332_14 Depth=1
	v_bfe_u32 v40, v20, 16, 1
	v_add3_u32 v40, v20, v40, s65
                                        ; implicit-def: $vgpr20
; %bb.75:                               ;   in Loop: Header=BB332_14 Depth=1
	s_andn2_saveexec_b64 s[48:49], s[10:11]
; %bb.76:                               ;   in Loop: Header=BB332_14 Depth=1
	v_or_b32_e32 v40, 0x10000, v20
	v_cmp_eq_u32_sdwa s[10:11], v20, v23 src0_sel:WORD_0 src1_sel:DWORD
	v_cndmask_b32_e64 v40, v40, v20, s[10:11]
; %bb.77:                               ;   in Loop: Header=BB332_14 Depth=1
	s_or_b64 exec, exec, s[48:49]
	global_load_ubyte v41, v[18:19], off offset:384
	v_mov_b32_e32 v42, 0
	s_waitcnt vmcnt(0)
	v_cmp_ne_u16_e64 s[10:11], 0, v41
	s_and_saveexec_b64 s[48:49], s[10:11]
	s_cbranch_execz .LBB332_83
; %bb.78:                               ;   in Loop: Header=BB332_14 Depth=1
	v_cmp_ne_u16_e64 s[10:11], s62, v41
	v_bfrev_b32_e32 v42, 1
	s_and_saveexec_b64 s[50:51], s[10:11]
	s_cbranch_execz .LBB332_82
; %bb.79:                               ;   in Loop: Header=BB332_14 Depth=1
	v_and_b32_e32 v20, 0xffff, v41
	v_and_b32_e32 v43, 0x7f, v20
	v_cmp_ne_u32_e64 s[10:11], s63, v43
	v_mov_b32_e32 v42, 0x7f800001
	s_and_saveexec_b64 s[52:53], s[10:11]
	s_cbranch_execz .LBB332_81
; %bb.80:                               ;   in Loop: Header=BB332_14 Depth=1
	v_and_b32_e32 v42, 7, v20
	v_ffbh_u32_e32 v44, v42
	v_min_u32_e32 v47, 32, v44
	v_subrev_u32_e32 v44, 28, v47
	v_lshlrev_b64 v[44:45], v44, v[20:21]
	v_lshrrev_b32_e32 v46, 3, v43
	v_sub_u32_e32 v20, 29, v47
	v_and_b32_e32 v44, 7, v44
	v_cmp_gt_u32_e64 s[10:11], 8, v43
	v_cndmask_b32_e64 v20, v46, v20, s[10:11]
	v_cndmask_b32_e64 v42, v42, v44, s[10:11]
	v_lshlrev_b32_e32 v41, 24, v41
	v_lshlrev_b32_e32 v42, 20, v42
	v_and_b32_e32 v41, 0x80000000, v41
	v_lshl_add_u32 v20, v20, 23, v31
	v_or3_b32 v42, v41, v20, v42
.LBB332_81:                             ;   in Loop: Header=BB332_14 Depth=1
	s_or_b64 exec, exec, s[52:53]
.LBB332_82:                             ;   in Loop: Header=BB332_14 Depth=1
	s_or_b64 exec, exec, s[50:51]
.LBB332_83:                             ;   in Loop: Header=BB332_14 Depth=1
	s_or_b64 exec, exec, s[48:49]
	v_mul_f32_e32 v20, s66, v42
	v_and_b32_e32 v41, 0x7f800000, v20
	v_cmp_ne_u32_e64 s[10:11], s64, v41
                                        ; implicit-def: $vgpr41
	s_and_saveexec_b64 s[48:49], s[10:11]
	s_xor_b64 s[10:11], exec, s[48:49]
; %bb.84:                               ;   in Loop: Header=BB332_14 Depth=1
	v_bfe_u32 v41, v20, 16, 1
	v_add3_u32 v41, v20, v41, s65
                                        ; implicit-def: $vgpr20
; %bb.85:                               ;   in Loop: Header=BB332_14 Depth=1
	s_andn2_saveexec_b64 s[48:49], s[10:11]
; %bb.86:                               ;   in Loop: Header=BB332_14 Depth=1
	v_or_b32_e32 v41, 0x10000, v20
	v_cmp_eq_u32_sdwa s[10:11], v20, v23 src0_sel:WORD_0 src1_sel:DWORD
	v_cndmask_b32_e64 v41, v41, v20, s[10:11]
; %bb.87:                               ;   in Loop: Header=BB332_14 Depth=1
	s_or_b64 exec, exec, s[48:49]
	global_load_ubyte v42, v[18:19], off offset:392
	v_mov_b32_e32 v43, 0
	s_waitcnt vmcnt(0)
	v_cmp_ne_u16_e64 s[10:11], 0, v42
	s_and_saveexec_b64 s[48:49], s[10:11]
	s_cbranch_execz .LBB332_93
; %bb.88:                               ;   in Loop: Header=BB332_14 Depth=1
	v_cmp_ne_u16_e64 s[10:11], s62, v42
	v_bfrev_b32_e32 v43, 1
	s_and_saveexec_b64 s[50:51], s[10:11]
	s_cbranch_execz .LBB332_92
; %bb.89:                               ;   in Loop: Header=BB332_14 Depth=1
	v_and_b32_e32 v20, 0xffff, v42
	v_and_b32_e32 v44, 0x7f, v20
	v_cmp_ne_u32_e64 s[10:11], s63, v44
	v_mov_b32_e32 v43, 0x7f800001
	s_and_saveexec_b64 s[52:53], s[10:11]
	s_cbranch_execz .LBB332_91
; %bb.90:                               ;   in Loop: Header=BB332_14 Depth=1
	v_and_b32_e32 v43, 7, v20
	v_ffbh_u32_e32 v46, v43
	v_min_u32_e32 v48, 32, v46
	v_subrev_u32_e32 v46, 28, v48
	v_lshlrev_b64 v[46:47], v46, v[20:21]
	v_lshrrev_b32_e32 v45, 3, v44
	v_sub_u32_e32 v20, 29, v48
	v_and_b32_e32 v46, 7, v46
	v_cmp_gt_u32_e64 s[10:11], 8, v44
	v_cndmask_b32_e64 v20, v45, v20, s[10:11]
	v_cndmask_b32_e64 v43, v43, v46, s[10:11]
	v_lshlrev_b32_e32 v42, 24, v42
	v_lshlrev_b32_e32 v43, 20, v43
	v_and_b32_e32 v42, 0x80000000, v42
	v_lshl_add_u32 v20, v20, 23, v31
	v_or3_b32 v43, v42, v20, v43
.LBB332_91:                             ;   in Loop: Header=BB332_14 Depth=1
	s_or_b64 exec, exec, s[52:53]
.LBB332_92:                             ;   in Loop: Header=BB332_14 Depth=1
	s_or_b64 exec, exec, s[50:51]
.LBB332_93:                             ;   in Loop: Header=BB332_14 Depth=1
	s_or_b64 exec, exec, s[48:49]
	v_mul_f32_e32 v20, s66, v43
	v_and_b32_e32 v42, 0x7f800000, v20
	v_cmp_ne_u32_e64 s[10:11], s64, v42
                                        ; implicit-def: $vgpr42
	s_and_saveexec_b64 s[48:49], s[10:11]
	s_xor_b64 s[10:11], exec, s[48:49]
; %bb.94:                               ;   in Loop: Header=BB332_14 Depth=1
	v_bfe_u32 v42, v20, 16, 1
	v_add3_u32 v42, v20, v42, s65
                                        ; implicit-def: $vgpr20
; %bb.95:                               ;   in Loop: Header=BB332_14 Depth=1
	s_andn2_saveexec_b64 s[48:49], s[10:11]
; %bb.96:                               ;   in Loop: Header=BB332_14 Depth=1
	v_or_b32_e32 v42, 0x10000, v20
	v_cmp_eq_u32_sdwa s[10:11], v20, v23 src0_sel:WORD_0 src1_sel:DWORD
	v_cndmask_b32_e64 v42, v42, v20, s[10:11]
; %bb.97:                               ;   in Loop: Header=BB332_14 Depth=1
	s_or_b64 exec, exec, s[48:49]
	global_load_ubyte v43, v[18:19], off offset:512
	v_mov_b32_e32 v44, 0
	s_waitcnt vmcnt(0)
	v_cmp_ne_u16_e64 s[10:11], 0, v43
	s_and_saveexec_b64 s[48:49], s[10:11]
	s_cbranch_execz .LBB332_103
; %bb.98:                               ;   in Loop: Header=BB332_14 Depth=1
	v_cmp_ne_u16_e64 s[10:11], s62, v43
	v_bfrev_b32_e32 v44, 1
	s_and_saveexec_b64 s[50:51], s[10:11]
	s_cbranch_execz .LBB332_102
; %bb.99:                               ;   in Loop: Header=BB332_14 Depth=1
	v_and_b32_e32 v20, 0xffff, v43
	v_and_b32_e32 v45, 0x7f, v20
	v_cmp_ne_u32_e64 s[10:11], s63, v45
	v_mov_b32_e32 v44, 0x7f800001
	s_and_saveexec_b64 s[52:53], s[10:11]
	s_cbranch_execz .LBB332_101
; %bb.100:                              ;   in Loop: Header=BB332_14 Depth=1
	v_and_b32_e32 v44, 7, v20
	v_ffbh_u32_e32 v46, v44
	v_min_u32_e32 v49, 32, v46
	v_subrev_u32_e32 v46, 28, v49
	v_lshlrev_b64 v[46:47], v46, v[20:21]
	v_lshrrev_b32_e32 v48, 3, v45
	v_sub_u32_e32 v20, 29, v49
	v_and_b32_e32 v46, 7, v46
	v_cmp_gt_u32_e64 s[10:11], 8, v45
	v_cndmask_b32_e64 v20, v48, v20, s[10:11]
	v_cndmask_b32_e64 v44, v44, v46, s[10:11]
	v_lshlrev_b32_e32 v43, 24, v43
	v_lshlrev_b32_e32 v44, 20, v44
	v_and_b32_e32 v43, 0x80000000, v43
	v_lshl_add_u32 v20, v20, 23, v31
	v_or3_b32 v44, v43, v20, v44
.LBB332_101:                            ;   in Loop: Header=BB332_14 Depth=1
	s_or_b64 exec, exec, s[52:53]
.LBB332_102:                            ;   in Loop: Header=BB332_14 Depth=1
	s_or_b64 exec, exec, s[50:51]
.LBB332_103:                            ;   in Loop: Header=BB332_14 Depth=1
	s_or_b64 exec, exec, s[48:49]
	v_mul_f32_e32 v20, s66, v44
	v_and_b32_e32 v43, 0x7f800000, v20
	v_cmp_ne_u32_e64 s[10:11], s64, v43
                                        ; implicit-def: $vgpr43
	s_and_saveexec_b64 s[48:49], s[10:11]
	s_xor_b64 s[10:11], exec, s[48:49]
; %bb.104:                              ;   in Loop: Header=BB332_14 Depth=1
	v_bfe_u32 v43, v20, 16, 1
	v_add3_u32 v43, v20, v43, s65
                                        ; implicit-def: $vgpr20
; %bb.105:                              ;   in Loop: Header=BB332_14 Depth=1
	s_andn2_saveexec_b64 s[48:49], s[10:11]
; %bb.106:                              ;   in Loop: Header=BB332_14 Depth=1
	v_or_b32_e32 v43, 0x10000, v20
	v_cmp_eq_u32_sdwa s[10:11], v20, v23 src0_sel:WORD_0 src1_sel:DWORD
	v_cndmask_b32_e64 v43, v43, v20, s[10:11]
; %bb.107:                              ;   in Loop: Header=BB332_14 Depth=1
	s_or_b64 exec, exec, s[48:49]
	global_load_ubyte v44, v[18:19], off offset:520
	v_mov_b32_e32 v45, 0
	s_waitcnt vmcnt(0)
	v_cmp_ne_u16_e64 s[10:11], 0, v44
	s_and_saveexec_b64 s[48:49], s[10:11]
	s_cbranch_execz .LBB332_113
; %bb.108:                              ;   in Loop: Header=BB332_14 Depth=1
	v_cmp_ne_u16_e64 s[10:11], s62, v44
	v_bfrev_b32_e32 v45, 1
	s_and_saveexec_b64 s[50:51], s[10:11]
	s_cbranch_execz .LBB332_112
; %bb.109:                              ;   in Loop: Header=BB332_14 Depth=1
	v_and_b32_e32 v20, 0xffff, v44
	v_and_b32_e32 v46, 0x7f, v20
	v_cmp_ne_u32_e64 s[10:11], s63, v46
	v_mov_b32_e32 v45, 0x7f800001
	s_and_saveexec_b64 s[52:53], s[10:11]
	s_cbranch_execz .LBB332_111
; %bb.110:                              ;   in Loop: Header=BB332_14 Depth=1
	v_and_b32_e32 v45, 7, v20
	v_ffbh_u32_e32 v48, v45
	v_min_u32_e32 v50, 32, v48
	v_subrev_u32_e32 v48, 28, v50
	v_lshlrev_b64 v[48:49], v48, v[20:21]
	v_lshrrev_b32_e32 v47, 3, v46
	v_sub_u32_e32 v20, 29, v50
	v_and_b32_e32 v48, 7, v48
	v_cmp_gt_u32_e64 s[10:11], 8, v46
	v_cndmask_b32_e64 v20, v47, v20, s[10:11]
	v_cndmask_b32_e64 v45, v45, v48, s[10:11]
	v_lshlrev_b32_e32 v44, 24, v44
	v_lshlrev_b32_e32 v45, 20, v45
	v_and_b32_e32 v44, 0x80000000, v44
	v_lshl_add_u32 v20, v20, 23, v31
	v_or3_b32 v45, v44, v20, v45
.LBB332_111:                            ;   in Loop: Header=BB332_14 Depth=1
	s_or_b64 exec, exec, s[52:53]
.LBB332_112:                            ;   in Loop: Header=BB332_14 Depth=1
	s_or_b64 exec, exec, s[50:51]
.LBB332_113:                            ;   in Loop: Header=BB332_14 Depth=1
	s_or_b64 exec, exec, s[48:49]
	v_mul_f32_e32 v20, s66, v45
	v_and_b32_e32 v44, 0x7f800000, v20
	v_cmp_ne_u32_e64 s[10:11], s64, v44
                                        ; implicit-def: $vgpr44
	s_and_saveexec_b64 s[48:49], s[10:11]
	s_xor_b64 s[10:11], exec, s[48:49]
; %bb.114:                              ;   in Loop: Header=BB332_14 Depth=1
	v_bfe_u32 v44, v20, 16, 1
	v_add3_u32 v44, v20, v44, s65
                                        ; implicit-def: $vgpr20
; %bb.115:                              ;   in Loop: Header=BB332_14 Depth=1
	s_andn2_saveexec_b64 s[48:49], s[10:11]
; %bb.116:                              ;   in Loop: Header=BB332_14 Depth=1
	v_or_b32_e32 v44, 0x10000, v20
	v_cmp_eq_u32_sdwa s[10:11], v20, v23 src0_sel:WORD_0 src1_sel:DWORD
	v_cndmask_b32_e64 v44, v44, v20, s[10:11]
; %bb.117:                              ;   in Loop: Header=BB332_14 Depth=1
	s_or_b64 exec, exec, s[48:49]
	global_load_ubyte v45, v[18:19], off offset:640
	v_mov_b32_e32 v46, 0
	s_waitcnt vmcnt(0)
	v_cmp_ne_u16_e64 s[10:11], 0, v45
	s_and_saveexec_b64 s[48:49], s[10:11]
	s_cbranch_execz .LBB332_123
; %bb.118:                              ;   in Loop: Header=BB332_14 Depth=1
	v_cmp_ne_u16_e64 s[10:11], s62, v45
	v_bfrev_b32_e32 v46, 1
	s_and_saveexec_b64 s[50:51], s[10:11]
	s_cbranch_execz .LBB332_122
; %bb.119:                              ;   in Loop: Header=BB332_14 Depth=1
	v_and_b32_e32 v20, 0xffff, v45
	v_and_b32_e32 v47, 0x7f, v20
	v_cmp_ne_u32_e64 s[10:11], s63, v47
	v_mov_b32_e32 v46, 0x7f800001
	s_and_saveexec_b64 s[52:53], s[10:11]
	s_cbranch_execz .LBB332_121
; %bb.120:                              ;   in Loop: Header=BB332_14 Depth=1
	v_and_b32_e32 v46, 7, v20
	v_ffbh_u32_e32 v48, v46
	v_min_u32_e32 v51, 32, v48
	v_subrev_u32_e32 v48, 28, v51
	v_lshlrev_b64 v[48:49], v48, v[20:21]
	v_lshrrev_b32_e32 v50, 3, v47
	v_sub_u32_e32 v20, 29, v51
	v_and_b32_e32 v48, 7, v48
	v_cmp_gt_u32_e64 s[10:11], 8, v47
	v_cndmask_b32_e64 v20, v50, v20, s[10:11]
	v_cndmask_b32_e64 v46, v46, v48, s[10:11]
	v_lshlrev_b32_e32 v45, 24, v45
	v_lshlrev_b32_e32 v46, 20, v46
	v_and_b32_e32 v45, 0x80000000, v45
	v_lshl_add_u32 v20, v20, 23, v31
	v_or3_b32 v46, v45, v20, v46
.LBB332_121:                            ;   in Loop: Header=BB332_14 Depth=1
	s_or_b64 exec, exec, s[52:53]
.LBB332_122:                            ;   in Loop: Header=BB332_14 Depth=1
	s_or_b64 exec, exec, s[50:51]
.LBB332_123:                            ;   in Loop: Header=BB332_14 Depth=1
	s_or_b64 exec, exec, s[48:49]
	v_mul_f32_e32 v20, s66, v46
	v_and_b32_e32 v45, 0x7f800000, v20
	v_cmp_ne_u32_e64 s[10:11], s64, v45
                                        ; implicit-def: $vgpr45
	s_and_saveexec_b64 s[48:49], s[10:11]
	s_xor_b64 s[10:11], exec, s[48:49]
; %bb.124:                              ;   in Loop: Header=BB332_14 Depth=1
	v_bfe_u32 v45, v20, 16, 1
	v_add3_u32 v45, v20, v45, s65
                                        ; implicit-def: $vgpr20
; %bb.125:                              ;   in Loop: Header=BB332_14 Depth=1
	s_andn2_saveexec_b64 s[48:49], s[10:11]
; %bb.126:                              ;   in Loop: Header=BB332_14 Depth=1
	v_or_b32_e32 v45, 0x10000, v20
	v_cmp_eq_u32_sdwa s[10:11], v20, v23 src0_sel:WORD_0 src1_sel:DWORD
	v_cndmask_b32_e64 v45, v45, v20, s[10:11]
; %bb.127:                              ;   in Loop: Header=BB332_14 Depth=1
	s_or_b64 exec, exec, s[48:49]
	global_load_ubyte v46, v[18:19], off offset:648
	v_mov_b32_e32 v47, 0
	s_waitcnt vmcnt(0)
	v_cmp_ne_u16_e64 s[10:11], 0, v46
	s_and_saveexec_b64 s[48:49], s[10:11]
	s_cbranch_execz .LBB332_133
; %bb.128:                              ;   in Loop: Header=BB332_14 Depth=1
	v_cmp_ne_u16_e64 s[10:11], s62, v46
	v_bfrev_b32_e32 v47, 1
	s_and_saveexec_b64 s[50:51], s[10:11]
	s_cbranch_execz .LBB332_132
; %bb.129:                              ;   in Loop: Header=BB332_14 Depth=1
	v_and_b32_e32 v20, 0xffff, v46
	v_and_b32_e32 v48, 0x7f, v20
	v_cmp_ne_u32_e64 s[10:11], s63, v48
	v_mov_b32_e32 v47, 0x7f800001
	s_and_saveexec_b64 s[52:53], s[10:11]
	s_cbranch_execz .LBB332_131
; %bb.130:                              ;   in Loop: Header=BB332_14 Depth=1
	v_and_b32_e32 v47, 7, v20
	v_ffbh_u32_e32 v50, v47
	v_min_u32_e32 v52, 32, v50
	v_subrev_u32_e32 v50, 28, v52
	v_lshlrev_b64 v[50:51], v50, v[20:21]
	v_lshrrev_b32_e32 v49, 3, v48
	v_sub_u32_e32 v20, 29, v52
	v_and_b32_e32 v50, 7, v50
	v_cmp_gt_u32_e64 s[10:11], 8, v48
	v_cndmask_b32_e64 v20, v49, v20, s[10:11]
	v_cndmask_b32_e64 v47, v47, v50, s[10:11]
	v_lshlrev_b32_e32 v46, 24, v46
	v_lshlrev_b32_e32 v47, 20, v47
	v_and_b32_e32 v46, 0x80000000, v46
	v_lshl_add_u32 v20, v20, 23, v31
	v_or3_b32 v47, v46, v20, v47
.LBB332_131:                            ;   in Loop: Header=BB332_14 Depth=1
	s_or_b64 exec, exec, s[52:53]
.LBB332_132:                            ;   in Loop: Header=BB332_14 Depth=1
	s_or_b64 exec, exec, s[50:51]
.LBB332_133:                            ;   in Loop: Header=BB332_14 Depth=1
	s_or_b64 exec, exec, s[48:49]
	v_mul_f32_e32 v20, s66, v47
	v_and_b32_e32 v46, 0x7f800000, v20
	v_cmp_ne_u32_e64 s[10:11], s64, v46
                                        ; implicit-def: $vgpr46
	s_and_saveexec_b64 s[48:49], s[10:11]
	s_xor_b64 s[10:11], exec, s[48:49]
; %bb.134:                              ;   in Loop: Header=BB332_14 Depth=1
	v_bfe_u32 v46, v20, 16, 1
	v_add3_u32 v46, v20, v46, s65
                                        ; implicit-def: $vgpr20
; %bb.135:                              ;   in Loop: Header=BB332_14 Depth=1
	s_andn2_saveexec_b64 s[48:49], s[10:11]
; %bb.136:                              ;   in Loop: Header=BB332_14 Depth=1
	v_or_b32_e32 v46, 0x10000, v20
	v_cmp_eq_u32_sdwa s[10:11], v20, v23 src0_sel:WORD_0 src1_sel:DWORD
	v_cndmask_b32_e64 v46, v46, v20, s[10:11]
; %bb.137:                              ;   in Loop: Header=BB332_14 Depth=1
	s_or_b64 exec, exec, s[48:49]
	global_load_ubyte v47, v[18:19], off offset:768
	v_mov_b32_e32 v48, 0
	s_waitcnt vmcnt(0)
	v_cmp_ne_u16_e64 s[10:11], 0, v47
	s_and_saveexec_b64 s[48:49], s[10:11]
	s_cbranch_execz .LBB332_143
; %bb.138:                              ;   in Loop: Header=BB332_14 Depth=1
	v_cmp_ne_u16_e64 s[10:11], s62, v47
	v_bfrev_b32_e32 v48, 1
	s_and_saveexec_b64 s[50:51], s[10:11]
	s_cbranch_execz .LBB332_142
; %bb.139:                              ;   in Loop: Header=BB332_14 Depth=1
	v_and_b32_e32 v20, 0xffff, v47
	v_and_b32_e32 v49, 0x7f, v20
	v_cmp_ne_u32_e64 s[10:11], s63, v49
	v_mov_b32_e32 v48, 0x7f800001
	s_and_saveexec_b64 s[52:53], s[10:11]
	s_cbranch_execz .LBB332_141
; %bb.140:                              ;   in Loop: Header=BB332_14 Depth=1
	v_and_b32_e32 v48, 7, v20
	v_ffbh_u32_e32 v50, v48
	v_min_u32_e32 v53, 32, v50
	v_subrev_u32_e32 v50, 28, v53
	v_lshlrev_b64 v[50:51], v50, v[20:21]
	v_lshrrev_b32_e32 v52, 3, v49
	v_sub_u32_e32 v20, 29, v53
	v_and_b32_e32 v50, 7, v50
	v_cmp_gt_u32_e64 s[10:11], 8, v49
	v_cndmask_b32_e64 v20, v52, v20, s[10:11]
	v_cndmask_b32_e64 v48, v48, v50, s[10:11]
	v_lshlrev_b32_e32 v47, 24, v47
	v_lshlrev_b32_e32 v48, 20, v48
	v_and_b32_e32 v47, 0x80000000, v47
	v_lshl_add_u32 v20, v20, 23, v31
	v_or3_b32 v48, v47, v20, v48
.LBB332_141:                            ;   in Loop: Header=BB332_14 Depth=1
	s_or_b64 exec, exec, s[52:53]
.LBB332_142:                            ;   in Loop: Header=BB332_14 Depth=1
	s_or_b64 exec, exec, s[50:51]
.LBB332_143:                            ;   in Loop: Header=BB332_14 Depth=1
	s_or_b64 exec, exec, s[48:49]
	v_mul_f32_e32 v20, s66, v48
	v_and_b32_e32 v47, 0x7f800000, v20
	v_cmp_ne_u32_e64 s[10:11], s64, v47
                                        ; implicit-def: $vgpr47
	s_and_saveexec_b64 s[48:49], s[10:11]
	s_xor_b64 s[10:11], exec, s[48:49]
; %bb.144:                              ;   in Loop: Header=BB332_14 Depth=1
	v_bfe_u32 v47, v20, 16, 1
	v_add3_u32 v47, v20, v47, s65
                                        ; implicit-def: $vgpr20
; %bb.145:                              ;   in Loop: Header=BB332_14 Depth=1
	s_andn2_saveexec_b64 s[48:49], s[10:11]
; %bb.146:                              ;   in Loop: Header=BB332_14 Depth=1
	v_or_b32_e32 v47, 0x10000, v20
	v_cmp_eq_u32_sdwa s[10:11], v20, v23 src0_sel:WORD_0 src1_sel:DWORD
	v_cndmask_b32_e64 v47, v47, v20, s[10:11]
; %bb.147:                              ;   in Loop: Header=BB332_14 Depth=1
	s_or_b64 exec, exec, s[48:49]
	global_load_ubyte v48, v[18:19], off offset:776
	v_mov_b32_e32 v49, 0
	s_waitcnt vmcnt(0)
	v_cmp_ne_u16_e64 s[10:11], 0, v48
	s_and_saveexec_b64 s[48:49], s[10:11]
	s_cbranch_execz .LBB332_153
; %bb.148:                              ;   in Loop: Header=BB332_14 Depth=1
	v_cmp_ne_u16_e64 s[10:11], s62, v48
	v_bfrev_b32_e32 v49, 1
	s_and_saveexec_b64 s[50:51], s[10:11]
	s_cbranch_execz .LBB332_152
; %bb.149:                              ;   in Loop: Header=BB332_14 Depth=1
	v_and_b32_e32 v20, 0xffff, v48
	v_and_b32_e32 v50, 0x7f, v20
	v_cmp_ne_u32_e64 s[10:11], s63, v50
	v_mov_b32_e32 v49, 0x7f800001
	s_and_saveexec_b64 s[52:53], s[10:11]
	s_cbranch_execz .LBB332_151
; %bb.150:                              ;   in Loop: Header=BB332_14 Depth=1
	v_and_b32_e32 v49, 7, v20
	v_ffbh_u32_e32 v52, v49
	v_min_u32_e32 v54, 32, v52
	v_subrev_u32_e32 v52, 28, v54
	v_lshlrev_b64 v[52:53], v52, v[20:21]
	v_lshrrev_b32_e32 v51, 3, v50
	v_sub_u32_e32 v20, 29, v54
	v_and_b32_e32 v52, 7, v52
	v_cmp_gt_u32_e64 s[10:11], 8, v50
	v_cndmask_b32_e64 v20, v51, v20, s[10:11]
	v_cndmask_b32_e64 v49, v49, v52, s[10:11]
	v_lshlrev_b32_e32 v48, 24, v48
	v_lshlrev_b32_e32 v49, 20, v49
	v_and_b32_e32 v48, 0x80000000, v48
	v_lshl_add_u32 v20, v20, 23, v31
	v_or3_b32 v49, v48, v20, v49
.LBB332_151:                            ;   in Loop: Header=BB332_14 Depth=1
	s_or_b64 exec, exec, s[52:53]
.LBB332_152:                            ;   in Loop: Header=BB332_14 Depth=1
	s_or_b64 exec, exec, s[50:51]
.LBB332_153:                            ;   in Loop: Header=BB332_14 Depth=1
	s_or_b64 exec, exec, s[48:49]
	v_mul_f32_e32 v48, s66, v49
	v_and_b32_e32 v20, 0x7f800000, v48
	v_cmp_ne_u32_e64 s[10:11], s64, v20
                                        ; implicit-def: $vgpr20
	s_and_saveexec_b64 s[48:49], s[10:11]
	s_xor_b64 s[10:11], exec, s[48:49]
; %bb.154:                              ;   in Loop: Header=BB332_14 Depth=1
	v_bfe_u32 v20, v48, 16, 1
	v_add3_u32 v20, v48, v20, s65
                                        ; implicit-def: $vgpr48
; %bb.155:                              ;   in Loop: Header=BB332_14 Depth=1
	s_andn2_saveexec_b64 s[48:49], s[10:11]
; %bb.156:                              ;   in Loop: Header=BB332_14 Depth=1
	v_or_b32_e32 v20, 0x10000, v48
	v_cmp_eq_u32_sdwa s[10:11], v48, v23 src0_sel:WORD_0 src1_sel:DWORD
	v_cndmask_b32_e64 v20, v20, v48, s[10:11]
; %bb.157:                              ;   in Loop: Header=BB332_14 Depth=1
	s_or_b64 exec, exec, s[48:49]
	global_load_ubyte v19, v[18:19], off offset:896
	v_mov_b32_e32 v48, 0
	s_waitcnt vmcnt(0)
	v_cmp_ne_u16_e64 s[10:11], 0, v19
	s_and_saveexec_b64 s[48:49], s[10:11]
	s_cbranch_execz .LBB332_163
; %bb.158:                              ;   in Loop: Header=BB332_14 Depth=1
	v_cmp_ne_u16_e64 s[10:11], s62, v19
	v_bfrev_b32_e32 v48, 1
	s_and_saveexec_b64 s[50:51], s[10:11]
	s_cbranch_execz .LBB332_162
; %bb.159:                              ;   in Loop: Header=BB332_14 Depth=1
	v_and_b32_e32 v18, 0xffff, v19
	v_and_b32_e32 v49, 0x7f, v18
	v_cmp_ne_u32_e64 s[10:11], s63, v49
	v_mov_b32_e32 v48, 0x7f800001
	s_and_saveexec_b64 s[52:53], s[10:11]
	s_cbranch_execz .LBB332_161
; %bb.160:                              ;   in Loop: Header=BB332_14 Depth=1
	v_and_b32_e32 v48, 7, v18
	v_ffbh_u32_e32 v50, v48
	v_min_u32_e32 v53, 32, v50
	v_subrev_u32_e32 v50, 28, v53
	v_lshlrev_b64 v[50:51], v50, v[18:19]
	v_lshrrev_b32_e32 v52, 3, v49
	v_sub_u32_e32 v18, 29, v53
	v_and_b32_e32 v50, 7, v50
	v_cmp_gt_u32_e64 s[10:11], 8, v49
	v_cndmask_b32_e64 v18, v52, v18, s[10:11]
	v_cndmask_b32_e64 v48, v48, v50, s[10:11]
	v_lshlrev_b32_e32 v19, 24, v19
	v_lshlrev_b32_e32 v48, 20, v48
	v_and_b32_e32 v19, 0x80000000, v19
	v_lshl_add_u32 v18, v18, 23, v31
	v_or3_b32 v48, v19, v18, v48
.LBB332_161:                            ;   in Loop: Header=BB332_14 Depth=1
	s_or_b64 exec, exec, s[52:53]
.LBB332_162:                            ;   in Loop: Header=BB332_14 Depth=1
	s_or_b64 exec, exec, s[50:51]
.LBB332_163:                            ;   in Loop: Header=BB332_14 Depth=1
	s_or_b64 exec, exec, s[48:49]
	v_mul_f32_e32 v19, s66, v48
	v_and_b32_e32 v18, 0x7f800000, v19
	v_cmp_ne_u32_e64 s[10:11], s64, v18
                                        ; implicit-def: $vgpr18
	s_and_saveexec_b64 s[48:49], s[10:11]
	s_xor_b64 s[10:11], exec, s[48:49]
; %bb.164:                              ;   in Loop: Header=BB332_14 Depth=1
	v_bfe_u32 v18, v19, 16, 1
	v_add3_u32 v18, v19, v18, s65
                                        ; implicit-def: $vgpr19
; %bb.165:                              ;   in Loop: Header=BB332_14 Depth=1
	s_andn2_saveexec_b64 s[48:49], s[10:11]
; %bb.166:                              ;   in Loop: Header=BB332_14 Depth=1
	v_or_b32_e32 v18, 0x10000, v19
	v_cmp_eq_u32_sdwa s[10:11], v19, v23 src0_sel:WORD_0 src1_sel:DWORD
	v_cndmask_b32_e64 v18, v18, v19, s[10:11]
; %bb.167:                              ;   in Loop: Header=BB332_14 Depth=1
	s_or_b64 exec, exec, s[48:49]
	v_and_b32_e32 v19, 0xffff0000, v20
	v_and_b32_e32 v20, 0xffff0000, v47
	;; [unrolled: 1-line block ×3, first 2 shown]
	v_lshlrev_b32_e32 v47, 16, v2
	v_and_b32_e32 v2, 0xffff0000, v2
	v_and_b32_e32 v35, 0xffff0000, v35
	v_mul_f32_e32 v2, v2, v36
	v_and_b32_e32 v37, 0xffff0000, v37
	v_lshlrev_b32_e32 v48, 16, v3
	v_fmac_f32_e32 v2, v47, v35
	v_and_b32_e32 v38, 0xffff0000, v38
	v_and_b32_e32 v3, 0xffff0000, v3
	v_fmac_f32_e32 v2, v48, v37
	v_and_b32_e32 v39, 0xffff0000, v39
	v_lshlrev_b32_e32 v49, 16, v4
	v_fmac_f32_e32 v2, v3, v38
	v_and_b32_e32 v40, 0xffff0000, v40
	v_and_b32_e32 v4, 0xffff0000, v4
	v_fmac_f32_e32 v2, v49, v39
	;; [unrolled: 6-line block ×4, first 2 shown]
	v_and_b32_e32 v45, 0xffff0000, v45
	v_lshlrev_b32_e32 v52, 16, v7
	v_fmac_f32_e32 v2, v6, v44
	v_and_b32_e32 v46, 0xffff0000, v46
	v_and_b32_e32 v7, 0xffff0000, v7
	;; [unrolled: 1-line block ×3, first 2 shown]
	v_fmac_f32_e32 v2, v52, v45
	v_lshlrev_b32_e32 v53, 16, v8
	v_add_u32_e32 v54, 64, v54
	v_xor_b32_e32 v55, 4, v32
	v_fmac_f32_e32 v2, v7, v46
	v_and_b32_e32 v8, 0xffff0000, v8
	v_cmp_lt_i32_e64 s[10:11], v55, v54
	v_fmac_f32_e32 v2, v53, v20
	v_lshlrev_b32_e32 v34, 16, v34
	v_cndmask_b32_e64 v55, v32, v55, s[10:11]
	v_and_b32_e32 v18, 0xffff0000, v18
	v_fmac_f32_e32 v2, v8, v19
	v_lshlrev_b32_e32 v55, 2, v55
	v_fmac_f32_e32 v2, v34, v18
	ds_bpermute_b32 v3, v55, v2
	v_xor_b32_e32 v4, 2, v32
	v_cmp_lt_i32_e64 s[10:11], v4, v54
	v_cndmask_b32_e64 v4, v32, v4, s[10:11]
	v_lshlrev_b32_e32 v4, 2, v4
	s_waitcnt lgkmcnt(0)
	v_add_f32_e32 v2, v2, v3
	ds_bpermute_b32 v3, v4, v2
	v_xor_b32_e32 v4, 1, v32
	v_cmp_lt_i32_e64 s[10:11], v4, v54
	v_cndmask_b32_e64 v4, v32, v4, s[10:11]
	v_lshlrev_b32_e32 v4, 2, v4
	s_waitcnt lgkmcnt(0)
	v_add_f32_e32 v2, v2, v3
	ds_bpermute_b32 v3, v4, v2
	s_and_saveexec_b64 s[48:49], vcc
	s_cbranch_execz .LBB332_12
; %bb.168:                              ;   in Loop: Header=BB332_14 Depth=1
	v_add_u32_e32 v4, v29, v27
	v_cvt_f32_i32_e32 v4, v4
	s_waitcnt lgkmcnt(0)
	v_add_f32_e32 v2, v2, v3
	v_add_u32_e32 v5, v21, v27
	v_cmp_gt_i32_e64 s[10:11], s33, v5
	v_mul_f32_e32 v3, s7, v4
	v_cndmask_b32_e64 v3, 0, v3, s[4:5]
	v_fmac_f32_e32 v3, s45, v2
	v_cndmask_b32_e64 v2, 0, v3, s[10:11]
	ds_write_b32 v28, v2
	v_max_f32_e32 v2, v26, v26
	v_max_f32_e32 v2, v2, v3
	v_cndmask_b32_e64 v26, v26, v2, s[10:11]
	s_branch .LBB332_12
.LBB332_169:
	s_or_b64 exec, exec, s[46:47]
.LBB332_170:
	s_or_b64 exec, exec, s[22:23]
	v_mbcnt_hi_u32_b32 v2, -1, v13
	s_waitcnt lgkmcnt(0)
	v_and_b32_e32 v3, 64, v2
	v_add_u32_e32 v3, 64, v3
	v_xor_b32_e32 v4, 32, v2
	v_cmp_lt_i32_e32 vcc, v4, v3
	v_cndmask_b32_e32 v4, v2, v4, vcc
	v_lshlrev_b32_e32 v6, 2, v4
	ds_bpermute_b32 v4, v6, v26
	v_xor_b32_e32 v7, 16, v2
	v_max_f32_e32 v5, v26, v26
	v_cmp_lt_i32_e32 vcc, v7, v3
	v_and_b32_e32 v15, 63, v0
	s_waitcnt lgkmcnt(0)
	v_max_f32_e32 v4, v4, v4
	v_max_f32_e32 v4, v5, v4
	v_cndmask_b32_e32 v5, v2, v7, vcc
	v_lshlrev_b32_e32 v8, 2, v5
	ds_bpermute_b32 v5, v8, v4
	v_xor_b32_e32 v7, 8, v2
	v_cmp_lt_i32_e32 vcc, v7, v3
	s_waitcnt lgkmcnt(0)
	v_max_f32_e32 v5, v5, v5
	v_max_f32_e32 v4, v4, v5
	v_cndmask_b32_e32 v5, v2, v7, vcc
	v_lshlrev_b32_e32 v12, 2, v5
	ds_bpermute_b32 v7, v12, v4
	v_cmp_eq_u32_e32 vcc, 0, v15
	v_lshlrev_b32_e32 v5, 2, v9
	s_and_saveexec_b64 s[4:5], vcc
	s_cbranch_execz .LBB332_172
; %bb.171:
	s_waitcnt lgkmcnt(0)
	v_max_f32_e32 v7, v7, v7
	v_max_f32_e32 v4, v4, v4
	;; [unrolled: 1-line block ×3, first 2 shown]
	ds_write_b32 v5, v4 offset:240
.LBB332_172:
	s_or_b64 exec, exec, s[4:5]
	v_cmp_gt_u32_e64 s[4:5], 2, v15
	v_mov_b32_e32 v4, 0xff7fffff
	s_waitcnt lgkmcnt(0)
	v_lshlrev_b32_e32 v7, 2, v15
	s_barrier
	s_and_saveexec_b64 s[10:11], s[4:5]
	s_cbranch_execz .LBB332_174
; %bb.173:
	ds_read_b32 v4, v7 offset:240
.LBB332_174:
	s_or_b64 exec, exec, s[10:11]
	v_xor_b32_e32 v13, 1, v2
	v_cmp_lt_i32_e64 s[10:11], v13, v3
	v_cndmask_b32_e64 v13, v2, v13, s[10:11]
	v_lshlrev_b32_e32 v13, 2, v13
	s_waitcnt lgkmcnt(0)
	ds_bpermute_b32 v14, v13, v4
	v_max_f32_e32 v4, v4, v4
	s_sub_i32 s7, s56, s58
	s_lshl_b32 s7, s7, 3
	s_add_i32 s7, s7, s57
	s_waitcnt lgkmcnt(0)
	v_max_f32_e32 v14, v14, v14
	v_max_f32_e32 v4, v4, v14
	v_lshlrev_b32_e32 v14, 2, v2
	v_and_b32_e32 v14, 0x100, v14
	ds_bpermute_b32 v4, v14, v4
	s_min_i32 s45, s7, s33
	s_sub_i32 s7, s45, s57
	v_cmp_gt_i32_e64 s[10:11], s7, v0
	v_mov_b32_e32 v16, 0
	s_and_saveexec_b64 s[16:17], s[10:11]
	s_cbranch_execz .LBB332_178
; %bb.175:
	v_mov_b32_e32 v16, 0x100
	v_lshl_add_u32 v17, v0, 2, v16
	s_mov_b64 s[22:23], 0
	v_mov_b32_e32 v16, 0
	v_mov_b32_e32 v18, v0
.LBB332_176:                            ; =>This Inner Loop Header: Depth=1
	ds_read_b32 v19, v17
	v_add_u32_e32 v18, 0x80, v18
	v_cmp_le_i32_e64 s[12:13], s7, v18
	s_or_b64 s[22:23], s[12:13], s[22:23]
	s_waitcnt lgkmcnt(0)
	v_sub_f32_e32 v19, v19, v4
	v_mul_f32_e32 v19, 0x3fb8aa3b, v19
	v_exp_f32_e32 v19, v19
	ds_write_b32 v17, v19
	v_add_f32_e32 v16, v16, v19
	v_add_u32_e32 v17, 0x200, v17
	s_andn2_b64 exec, exec, s[22:23]
	s_cbranch_execnz .LBB332_176
; %bb.177:
	s_or_b64 exec, exec, s[22:23]
.LBB332_178:
	s_or_b64 exec, exec, s[16:17]
	ds_bpermute_b32 v6, v6, v16
	s_waitcnt lgkmcnt(0)
	v_add_f32_e32 v6, v16, v6
	ds_bpermute_b32 v8, v8, v6
	s_waitcnt lgkmcnt(0)
	v_add_f32_e32 v6, v6, v8
	ds_bpermute_b32 v8, v12, v6
	v_xor_b32_e32 v12, 4, v2
	v_cmp_lt_i32_e64 s[12:13], v12, v3
	v_cndmask_b32_e64 v12, v2, v12, s[12:13]
	v_lshlrev_b32_e32 v12, 2, v12
	s_waitcnt lgkmcnt(0)
	v_add_f32_e32 v6, v6, v8
	ds_bpermute_b32 v8, v12, v6
	v_xor_b32_e32 v12, 2, v2
	v_cmp_lt_i32_e64 s[12:13], v12, v3
	v_cndmask_b32_e64 v2, v2, v12, s[12:13]
	v_lshlrev_b32_e32 v2, 2, v2
	s_waitcnt lgkmcnt(0)
	v_add_f32_e32 v3, v6, v8
	ds_bpermute_b32 v2, v2, v3
	s_waitcnt lgkmcnt(0)
	v_add_f32_e32 v2, v3, v2
	ds_bpermute_b32 v3, v13, v2
	s_waitcnt lgkmcnt(0)
	v_add_f32_e32 v2, v2, v3
	s_and_saveexec_b64 s[12:13], vcc
	s_cbranch_execz .LBB332_180
; %bb.179:
	ds_write_b32 v5, v2 offset:248
.LBB332_180:
	s_or_b64 exec, exec, s[12:13]
	s_waitcnt lgkmcnt(0)
	s_barrier
	s_and_saveexec_b64 s[12:13], s[4:5]
	s_cbranch_execz .LBB332_182
; %bb.181:
	ds_read_b32 v2, v7 offset:248
.LBB332_182:
	s_or_b64 exec, exec, s[12:13]
	s_waitcnt lgkmcnt(0)
	ds_bpermute_b32 v3, v13, v2
	s_waitcnt lgkmcnt(0)
	v_add_f32_e32 v2, v2, v3
	ds_bpermute_b32 v5, v14, v2
	s_and_saveexec_b64 s[4:5], s[10:11]
	s_cbranch_execz .LBB332_195
; %bb.183:
	s_waitcnt lgkmcnt(0)
	v_add_f32_e32 v2, 0x358637bd, v5
	v_div_scale_f32 v3, s[10:11], v2, v2, 1.0
	v_rcp_f32_e32 v6, v3
	v_div_scale_f32 v7, vcc, 1.0, v2, 1.0
	s_movk_i32 s10, 0x7f
	v_fma_f32 v8, -v3, v6, 1.0
	v_fmac_f32_e32 v6, v8, v6
	v_mul_f32_e32 v8, v7, v6
	v_fma_f32 v12, -v3, v8, v7
	v_fmac_f32_e32 v8, v12, v6
	v_fma_f32 v3, -v3, v8, v7
	v_div_fmas_f32 v3, v3, v6, v8
	v_div_fixup_f32 v2, v3, v2, 1.0
	v_xad_u32 v3, v0, -1, s45
	v_subrev_u32_e32 v6, s57, v3
	v_cmp_lt_u32_e32 vcc, s10, v6
	s_mov_b64 s[12:13], -1
	v_mov_b32_e32 v3, v0
	s_and_saveexec_b64 s[10:11], vcc
	s_cbranch_execz .LBB332_192
; %bb.184:
	v_lshrrev_b32_e32 v6, 7, v6
	v_add_u32_e32 v8, -1, v6
	v_lshrrev_b32_e32 v7, 1, v8
	v_mov_b32_e32 v3, v2
	v_add_u32_e32 v7, 1, v7
	v_cmp_lt_u32_e32 vcc, 13, v8
	v_mov_b32_e32 v13, 0
	s_and_saveexec_b64 s[12:13], vcc
	s_cbranch_execz .LBB332_188
; %bb.185:
	v_mov_b32_e32 v12, 0x100
	v_and_b32_e32 v8, -8, v7
	v_lshl_add_u32 v12, v0, 2, v12
	s_mov_b32 s22, 0
	s_mov_b64 s[16:17], 0
.LBB332_186:                            ; =>This Inner Loop Header: Depth=1
	ds_read2st64_b32 v[16:17], v12 offset1:2
	ds_read2st64_b32 v[18:19], v12 offset0:4 offset1:6
	ds_read2st64_b32 v[20:21], v12 offset0:8 offset1:10
	;; [unrolled: 1-line block ×3, first 2 shown]
	v_add_u32_e32 v8, -8, v8
	s_waitcnt lgkmcnt(3)
	v_pk_mul_f32 v[16:17], v[2:3], v[16:17]
	s_waitcnt lgkmcnt(2)
	v_pk_mul_f32 v[18:19], v[2:3], v[18:19]
	ds_write2st64_b32 v12, v16, v17 offset1:2
	ds_write2st64_b32 v12, v18, v19 offset0:4 offset1:6
	ds_read2st64_b32 v[18:19], v12 offset0:16 offset1:18
	s_waitcnt lgkmcnt(4)
	v_pk_mul_f32 v[16:17], v[2:3], v[20:21]
	ds_write2st64_b32 v12, v16, v17 offset0:8 offset1:10
	s_waitcnt lgkmcnt(4)
	v_pk_mul_f32 v[16:17], v[2:3], v[24:25]
	ds_write2st64_b32 v12, v16, v17 offset0:12 offset1:14
	ds_read2st64_b32 v[16:17], v12 offset0:20 offset1:22
	s_waitcnt lgkmcnt(3)
	v_pk_mul_f32 v[18:19], v[2:3], v[18:19]
	ds_read2st64_b32 v[20:21], v12 offset0:24 offset1:26
	ds_write2st64_b32 v12, v18, v19 offset0:16 offset1:18
	ds_read2st64_b32 v[18:19], v12 offset0:28 offset1:30
	s_waitcnt lgkmcnt(3)
	v_pk_mul_f32 v[16:17], v[2:3], v[16:17]
	ds_write2st64_b32 v12, v16, v17 offset0:20 offset1:22
	s_waitcnt lgkmcnt(3)
	v_pk_mul_f32 v[16:17], v[2:3], v[20:21]
	ds_write2st64_b32 v12, v16, v17 offset0:24 offset1:26
	s_waitcnt lgkmcnt(2)
	v_pk_mul_f32 v[16:17], v[2:3], v[18:19]
	s_add_i32 s22, s22, 16
	v_cmp_eq_u32_e32 vcc, 0, v8
	ds_write2st64_b32 v12, v16, v17 offset0:28 offset1:30
	v_add_u32_e32 v12, 0x2000, v12
	s_or_b64 s[16:17], vcc, s[16:17]
	v_mov_b32_e32 v13, s22
	s_andn2_b64 exec, exec, s[16:17]
	s_cbranch_execnz .LBB332_186
; %bb.187:
	s_or_b64 exec, exec, s[16:17]
.LBB332_188:
	s_or_b64 exec, exec, s[12:13]
	v_and_b32_e32 v7, 7, v7
	v_cmp_ne_u32_e32 vcc, 0, v7
	s_and_saveexec_b64 s[12:13], vcc
	s_cbranch_execz .LBB332_191
; %bb.189:
	v_lshlrev_b32_e32 v8, 9, v13
	v_lshlrev_b32_e32 v12, 2, v0
	s_movk_i32 s16, 0x100
	v_add3_u32 v8, v8, v12, s16
	s_mov_b64 s[16:17], 0
.LBB332_190:                            ; =>This Inner Loop Header: Depth=1
	ds_read2st64_b32 v[12:13], v8 offset1:2
	v_add_u32_e32 v7, -1, v7
	v_cmp_eq_u32_e32 vcc, 0, v7
	s_or_b64 s[16:17], vcc, s[16:17]
	s_waitcnt lgkmcnt(0)
	v_pk_mul_f32 v[12:13], v[2:3], v[12:13]
	ds_write2st64_b32 v8, v12, v13 offset1:2
	v_add_u32_e32 v8, 0x400, v8
	s_andn2_b64 exec, exec, s[16:17]
	s_cbranch_execnz .LBB332_190
.LBB332_191:
	s_or_b64 exec, exec, s[12:13]
	v_add_u32_e32 v6, 1, v6
	v_and_b32_e32 v7, 0x3fffffe, v6
	v_cmp_ne_u32_e32 vcc, v6, v7
	v_lshl_add_u32 v3, v7, 7, v0
	s_orn2_b64 s[12:13], vcc, exec
.LBB332_192:
	s_or_b64 exec, exec, s[10:11]
	s_and_b64 exec, exec, s[12:13]
	s_cbranch_execz .LBB332_195
; %bb.193:
	v_mov_b32_e32 v6, 0x100
	v_lshl_add_u32 v6, v3, 2, v6
	s_mov_b64 s[10:11], 0
.LBB332_194:                            ; =>This Inner Loop Header: Depth=1
	ds_read_b32 v7, v6
	v_add_u32_e32 v3, 0x80, v3
	v_cmp_le_i32_e32 vcc, s7, v3
	s_or_b64 s[10:11], vcc, s[10:11]
	s_waitcnt lgkmcnt(0)
	v_mul_f32_e32 v7, v2, v7
	ds_write_b32 v6, v7
	v_add_u32_e32 v6, 0x200, v6
	s_andn2_b64 exec, exec, s[10:11]
	s_cbranch_execnz .LBB332_194
.LBB332_195:
	s_or_b64 exec, exec, s[4:5]
	s_mul_i32 s4, s15, s36
	v_cmp_eq_u32_e32 vcc, 0, v0
	s_mul_i32 s10, s4, s9
	s_waitcnt lgkmcnt(0)
	s_barrier
	s_and_saveexec_b64 s[4:5], vcc
	s_cbranch_execz .LBB332_197
; %bb.196:
	s_ashr_i32 s11, s10, 31
	s_lshl_b64 s[12:13], s[10:11], 2
	s_add_u32 s9, s30, s12
	s_mul_i32 s6, s15, s6
	s_addc_u32 s11, s31, s13
	s_ashr_i32 s7, s6, 31
	s_lshl_b64 s[6:7], s[6:7], 2
	s_add_u32 s22, s9, s6
	s_addc_u32 s11, s11, s7
	s_ashr_i32 s9, s8, 31
	s_lshl_b64 s[16:17], s[8:9], 2
	s_add_u32 s22, s22, s16
	s_addc_u32 s23, s11, s17
	s_add_u32 s9, s28, s12
	s_addc_u32 s11, s29, s13
	;; [unrolled: 2-line block ×3, first 2 shown]
	s_add_u32 s6, s6, s16
	v_mov_b32_e32 v2, 0
	s_addc_u32 s7, s7, s17
	global_store_dword v2, v4, s[22:23]
	global_store_dword v2, v5, s[6:7]
.LBB332_197:
	s_or_b64 exec, exec, s[4:5]
	v_mov_b32_e32 v13, 0
	v_mov_b32_e32 v12, v13
	s_and_saveexec_b64 s[6:7], s[2:3]
	s_cbranch_execz .LBB332_465
; %bb.198:
	s_sub_i32 s9, s24, s25
	s_ashr_i32 s2, s27, 31
	s_add_u32 s12, s42, s27
	s_addc_u32 s13, s43, s2
	s_abs_i32 s36, s26
	v_cvt_f32_u32_e32 v2, s36
	v_or_b32_e32 v3, 64, v15
	s_movk_i32 s2, 0x78
	v_cmp_gt_u32_e32 vcc, s2, v3
	v_rcp_iflag_f32_e32 v2, v2
	s_sub_i32 s2, 0, s36
	s_add_i32 s42, s20, -1
	v_lshlrev_b32_e32 v18, 3, v3
	v_mul_f32_e32 v2, 0x4f7ffffe, v2
	v_cvt_u32_f32_e32 v2, v2
	s_mov_b32 s16, -1
	v_mov_b32_e32 v17, 0
	s_mov_b32 s11, s21
	v_mul_lo_u32 v3, s2, v2
	s_lshl_b64 s[2:3], s[40:41], 2
	v_mul_hi_u32 v3, v2, v3
	s_add_u32 s2, s38, s2
	v_add_u32_e32 v19, v2, v3
	v_lshlrev_b64 v[2:3], 2, v[10:11]
	s_addc_u32 s3, s39, s3
	v_mov_b32_e32 v4, s3
	v_add_co_u32_e64 v20, s[2:3], s2, v2
	v_mov_b32_e32 v2, 0x100
	s_mov_b32 s17, 0xffffff
	v_lshlrev_b32_e32 v14, 3, v15
	v_addc_co_u32_e64 v21, s[2:3], v4, v3, s[2:3]
	v_lshl_add_u32 v11, v9, 5, v2
	s_mov_b64 s[20:21], 0
	s_mov_b32 s38, 0x7f800000
	s_movk_i32 s39, 0x7fff
	s_movk_i32 s40, 0x80
	;; [unrolled: 1-line block ×3, first 2 shown]
	v_bfrev_b32_e32 v23, 60
	v_mov_b32_e32 v12, v17
	v_mov_b32_e32 v13, v17
	s_branch .LBB332_202
.LBB332_199:                            ;   in Loop: Header=BB332_202 Depth=1
	s_or_b64 exec, exec, s[4:5]
	v_and_b32_e32 v26, 0xffff0000, v9
	v_and_b32_e32 v9, 0xffff0000, v8
	;; [unrolled: 1-line block ×5, first 2 shown]
	v_pk_add_f32 v[2:3], v[6:7], v[8:9]
	v_and_b32_e32 v25, 0xffff0000, v24
	v_and_b32_e32 v24, 0xffff0000, v16
	;; [unrolled: 1-line block ×3, first 2 shown]
	v_mov_b32_e32 v6, v3
	v_pk_add_f32 v[2:3], v[2:3], v[6:7]
	v_pk_add_f32 v[6:7], v[26:27], v[24:25]
	;; [unrolled: 1-line block ×3, first 2 shown]
	v_mov_b32_e32 v6, v7
	v_pk_add_f32 v[2:3], v[2:3], v[6:7]
	v_mov_b32_e32 v3, v2
	v_pk_add_f32 v[12:13], v[12:13], v[2:3]
.LBB332_200:                            ;   in Loop: Header=BB332_202 Depth=1
	s_or_b64 exec, exec, s[24:25]
	v_mov_b32_e32 v12, v4
.LBB332_201:                            ;   in Loop: Header=BB332_202 Depth=1
	s_or_b64 exec, exec, s[22:23]
	v_add_co_u32_e64 v20, s[2:3], 8, v20
	v_add_u32_e32 v10, 2, v10
	v_addc_co_u32_e64 v21, s[2:3], 0, v21, s[2:3]
	v_cmp_le_i32_e64 s[2:3], s56, v10
	v_add_u32_e32 v22, 16, v22
	s_or_b64 s[20:21], s[2:3], s[20:21]
	v_add_u32_e32 v11, 64, v11
	s_andn2_b64 exec, exec, s[20:21]
	s_cbranch_execz .LBB332_464
.LBB332_202:                            ; =>This Inner Loop Header: Depth=1
	v_sub_u32_e32 v3, 0, v22
	v_max_i32_e32 v3, v22, v3
	v_mul_hi_u32 v4, v3, s54
	v_mul_lo_u32 v5, v4, s37
	v_sub_u32_e32 v3, v3, v5
	v_add_u32_e32 v5, 1, v4
	v_cmp_le_u32_e64 s[2:3], s37, v3
	v_cndmask_b32_e64 v4, v4, v5, s[2:3]
	v_subrev_u32_e32 v5, s37, v3
	v_cndmask_b32_e64 v3, v3, v5, s[2:3]
	v_ashrrev_i32_e32 v2, 31, v22
	v_add_u32_e32 v5, 1, v4
	v_cmp_le_u32_e64 s[2:3], s37, v3
	v_xor_b32_e32 v2, s55, v2
	v_cndmask_b32_e64 v3, v4, v5, s[2:3]
	v_xor_b32_e32 v3, v3, v2
	v_sub_u32_e32 v2, v3, v2
	v_add_u32_e32 v3, s44, v2
	v_sub_u32_e32 v5, 0, v3
	v_ashrrev_i32_e32 v4, 31, v3
	v_max_i32_e32 v3, v3, v5
	v_mul_hi_u32 v5, v3, v19
	v_mul_lo_u32 v5, v5, s36
	v_sub_u32_e32 v3, v3, v5
	v_subrev_u32_e32 v5, s36, v3
	v_cmp_le_u32_e64 s[2:3], s36, v3
	v_cndmask_b32_e64 v3, v3, v5, s[2:3]
	v_subrev_u32_e32 v5, s36, v3
	v_cmp_le_u32_e64 s[2:3], s36, v3
	v_cndmask_b32_e64 v3, v3, v5, s[2:3]
	v_xor_b32_e32 v3, v3, v4
	v_sub_u32_e32 v3, v3, v4
	v_cmp_eq_u32_e64 s[2:3], 0, v3
	v_cmp_lt_i32_e64 s[4:5], s9, v2
	s_or_b64 s[2:3], s[2:3], s[4:5]
	s_and_saveexec_b64 s[22:23], s[2:3]
	s_cbranch_execz .LBB332_201
; %bb.203:                              ;   in Loop: Header=BB332_202 Depth=1
	global_load_dword v16, v[20:21], off
	ds_read2_b64 v[6:9], v11 offset1:1
	ds_read2_b64 v[2:5], v11 offset0:2 offset1:3
                                        ; implicit-def: $vgpr31
	s_waitcnt lgkmcnt(1)
	v_and_b32_e32 v24, 0x7f800000, v6
	v_cmp_ne_u32_e64 s[2:3], s38, v24
	s_and_saveexec_b64 s[4:5], s[2:3]
	s_xor_b64 s[2:3], exec, s[4:5]
; %bb.204:                              ;   in Loop: Header=BB332_202 Depth=1
	v_bfe_u32 v24, v6, 16, 1
	v_add3_u32 v31, v6, v24, s39
; %bb.205:                              ;   in Loop: Header=BB332_202 Depth=1
	s_andn2_saveexec_b64 s[4:5], s[2:3]
; %bb.206:                              ;   in Loop: Header=BB332_202 Depth=1
	v_or_b32_e32 v24, 0x10000, v6
	v_cmp_eq_u32_sdwa s[2:3], v6, v17 src0_sel:WORD_0 src1_sel:DWORD
	v_cndmask_b32_e64 v31, v24, v6, s[2:3]
; %bb.207:                              ;   in Loop: Header=BB332_202 Depth=1
	s_or_b64 exec, exec, s[4:5]
	v_and_b32_e32 v6, 0x7f800000, v7
	v_cmp_ne_u32_e64 s[2:3], s38, v6
                                        ; implicit-def: $vgpr30
	s_and_saveexec_b64 s[4:5], s[2:3]
	s_xor_b64 s[2:3], exec, s[4:5]
; %bb.208:                              ;   in Loop: Header=BB332_202 Depth=1
	v_bfe_u32 v6, v7, 16, 1
	v_add3_u32 v30, v7, v6, s39
; %bb.209:                              ;   in Loop: Header=BB332_202 Depth=1
	s_andn2_saveexec_b64 s[4:5], s[2:3]
; %bb.210:                              ;   in Loop: Header=BB332_202 Depth=1
	v_or_b32_e32 v6, 0x10000, v7
	v_cmp_eq_u32_sdwa s[2:3], v7, v17 src0_sel:WORD_0 src1_sel:DWORD
	v_cndmask_b32_e64 v30, v6, v7, s[2:3]
; %bb.211:                              ;   in Loop: Header=BB332_202 Depth=1
	s_or_b64 exec, exec, s[4:5]
	v_and_b32_e32 v6, 0x7f800000, v8
	v_cmp_ne_u32_e64 s[2:3], s38, v6
                                        ; implicit-def: $vgpr29
	s_and_saveexec_b64 s[4:5], s[2:3]
	s_xor_b64 s[2:3], exec, s[4:5]
; %bb.212:                              ;   in Loop: Header=BB332_202 Depth=1
	v_bfe_u32 v6, v8, 16, 1
	v_add3_u32 v29, v8, v6, s39
; %bb.213:                              ;   in Loop: Header=BB332_202 Depth=1
	s_andn2_saveexec_b64 s[4:5], s[2:3]
; %bb.214:                              ;   in Loop: Header=BB332_202 Depth=1
	v_or_b32_e32 v6, 0x10000, v8
	v_cmp_eq_u32_sdwa s[2:3], v8, v17 src0_sel:WORD_0 src1_sel:DWORD
	v_cndmask_b32_e64 v29, v6, v8, s[2:3]
; %bb.215:                              ;   in Loop: Header=BB332_202 Depth=1
	s_or_b64 exec, exec, s[4:5]
	v_and_b32_e32 v6, 0x7f800000, v9
	v_cmp_ne_u32_e64 s[2:3], s38, v6
                                        ; implicit-def: $vgpr24
	s_and_saveexec_b64 s[4:5], s[2:3]
	s_xor_b64 s[2:3], exec, s[4:5]
; %bb.216:                              ;   in Loop: Header=BB332_202 Depth=1
	v_bfe_u32 v6, v9, 16, 1
	v_add3_u32 v24, v9, v6, s39
                                        ; implicit-def: $vgpr6_vgpr7_vgpr8_vgpr9
; %bb.217:                              ;   in Loop: Header=BB332_202 Depth=1
	s_andn2_saveexec_b64 s[4:5], s[2:3]
; %bb.218:                              ;   in Loop: Header=BB332_202 Depth=1
	v_or_b32_e32 v6, 0x10000, v9
	v_cmp_eq_u32_sdwa s[2:3], v9, v17 src0_sel:WORD_0 src1_sel:DWORD
	v_cndmask_b32_e64 v24, v6, v9, s[2:3]
; %bb.219:                              ;   in Loop: Header=BB332_202 Depth=1
	s_or_b64 exec, exec, s[4:5]
	s_waitcnt lgkmcnt(0)
	v_and_b32_e32 v6, 0x7f800000, v2
	v_cmp_ne_u32_e64 s[2:3], s38, v6
                                        ; implicit-def: $vgpr25
	s_and_saveexec_b64 s[4:5], s[2:3]
	s_xor_b64 s[2:3], exec, s[4:5]
; %bb.220:                              ;   in Loop: Header=BB332_202 Depth=1
	v_bfe_u32 v6, v2, 16, 1
	v_add3_u32 v25, v2, v6, s39
; %bb.221:                              ;   in Loop: Header=BB332_202 Depth=1
	s_andn2_saveexec_b64 s[4:5], s[2:3]
; %bb.222:                              ;   in Loop: Header=BB332_202 Depth=1
	v_or_b32_e32 v6, 0x10000, v2
	v_cmp_eq_u32_sdwa s[2:3], v2, v17 src0_sel:WORD_0 src1_sel:DWORD
	v_cndmask_b32_e64 v25, v6, v2, s[2:3]
; %bb.223:                              ;   in Loop: Header=BB332_202 Depth=1
	s_or_b64 exec, exec, s[4:5]
	v_and_b32_e32 v2, 0x7f800000, v3
	v_cmp_ne_u32_e64 s[2:3], s38, v2
                                        ; implicit-def: $vgpr26
	s_and_saveexec_b64 s[4:5], s[2:3]
	s_xor_b64 s[2:3], exec, s[4:5]
; %bb.224:                              ;   in Loop: Header=BB332_202 Depth=1
	v_bfe_u32 v2, v3, 16, 1
	v_add3_u32 v26, v3, v2, s39
; %bb.225:                              ;   in Loop: Header=BB332_202 Depth=1
	s_andn2_saveexec_b64 s[4:5], s[2:3]
; %bb.226:                              ;   in Loop: Header=BB332_202 Depth=1
	v_or_b32_e32 v2, 0x10000, v3
	v_cmp_eq_u32_sdwa s[2:3], v3, v17 src0_sel:WORD_0 src1_sel:DWORD
	v_cndmask_b32_e64 v26, v2, v3, s[2:3]
; %bb.227:                              ;   in Loop: Header=BB332_202 Depth=1
	s_or_b64 exec, exec, s[4:5]
	v_and_b32_e32 v2, 0x7f800000, v4
	v_cmp_ne_u32_e64 s[2:3], s38, v2
                                        ; implicit-def: $vgpr27
	s_and_saveexec_b64 s[4:5], s[2:3]
	s_xor_b64 s[2:3], exec, s[4:5]
; %bb.228:                              ;   in Loop: Header=BB332_202 Depth=1
	v_bfe_u32 v2, v4, 16, 1
	v_add3_u32 v27, v4, v2, s39
; %bb.229:                              ;   in Loop: Header=BB332_202 Depth=1
	s_andn2_saveexec_b64 s[4:5], s[2:3]
; %bb.230:                              ;   in Loop: Header=BB332_202 Depth=1
	v_or_b32_e32 v2, 0x10000, v4
	v_cmp_eq_u32_sdwa s[2:3], v4, v17 src0_sel:WORD_0 src1_sel:DWORD
	v_cndmask_b32_e64 v27, v2, v4, s[2:3]
; %bb.231:                              ;   in Loop: Header=BB332_202 Depth=1
	s_or_b64 exec, exec, s[4:5]
	v_and_b32_e32 v2, 0x7f800000, v5
	v_cmp_ne_u32_e64 s[2:3], s38, v2
                                        ; implicit-def: $vgpr28
	s_and_saveexec_b64 s[4:5], s[2:3]
	s_xor_b64 s[2:3], exec, s[4:5]
; %bb.232:                              ;   in Loop: Header=BB332_202 Depth=1
	v_bfe_u32 v2, v5, 16, 1
	v_add3_u32 v28, v5, v2, s39
                                        ; implicit-def: $vgpr2_vgpr3_vgpr4_vgpr5
; %bb.233:                              ;   in Loop: Header=BB332_202 Depth=1
	s_andn2_saveexec_b64 s[4:5], s[2:3]
; %bb.234:                              ;   in Loop: Header=BB332_202 Depth=1
	v_or_b32_e32 v2, 0x10000, v5
	v_cmp_eq_u32_sdwa s[2:3], v5, v17 src0_sel:WORD_0 src1_sel:DWORD
	v_cndmask_b32_e64 v28, v2, v5, s[2:3]
; %bb.235:                              ;   in Loop: Header=BB332_202 Depth=1
	s_or_b64 exec, exec, s[4:5]
	v_pk_mov_b32 v[2:3], s[12:13], s[12:13] op_sel:[0,1]
	s_waitcnt vmcnt(0)
	v_mad_i64_i32 v[2:3], s[2:3], v16, s11, v[2:3]
	v_add_co_u32_e64 v4, s[2:3], v2, v14
	v_addc_co_u32_e64 v5, s[2:3], 0, v3, s[2:3]
	global_load_dwordx2 v[4:5], v[4:5], off
	s_load_dword s43, s[18:19], 0x0
	v_mov_b32_e32 v6, 0
	s_waitcnt vmcnt(0)
	v_cmp_ne_u16_sdwa s[2:3], v4, v17 src0_sel:BYTE_0 src1_sel:DWORD
	s_and_saveexec_b64 s[4:5], s[2:3]
	s_cbranch_execz .LBB332_241
; %bb.236:                              ;   in Loop: Header=BB332_202 Depth=1
	v_cmp_ne_u16_sdwa s[2:3], v4, s40 src0_sel:BYTE_0 src1_sel:DWORD
	v_bfrev_b32_e32 v6, 1
	s_and_saveexec_b64 s[24:25], s[2:3]
	s_cbranch_execz .LBB332_240
; %bb.237:                              ;   in Loop: Header=BB332_202 Depth=1
	v_and_b32_e32 v7, 0x7f, v4
	v_cmp_ne_u32_e64 s[2:3], s41, v7
	v_mov_b32_e32 v6, 0x7f800001
	s_and_saveexec_b64 s[26:27], s[2:3]
	s_cbranch_execz .LBB332_239
; %bb.238:                              ;   in Loop: Header=BB332_202 Depth=1
	v_and_b32_e32 v6, 7, v4
	v_ffbh_u32_e32 v6, v6
	v_min_u32_e32 v6, 32, v6
	v_lshrrev_b32_e32 v8, 3, v7
	v_subrev_u32_e32 v9, 28, v6
	v_sub_u32_e32 v6, 29, v6
	v_cmp_gt_u32_e64 s[2:3], 8, v7
	v_cndmask_b32_e64 v8, v8, v6, s[2:3]
	v_cndmask_b32_e64 v6, 0, v9, s[2:3]
	v_lshlrev_b64 v[6:7], v6, v[4:5]
	v_lshlrev_b32_e32 v6, 20, v6
	v_lshlrev_b32_e32 v7, 24, v4
	v_and_b32_e32 v6, 0x700000, v6
	v_and_b32_e32 v7, 0x80000000, v7
	v_lshl_add_u32 v8, v8, 23, v23
	v_or3_b32 v6, v7, v8, v6
.LBB332_239:                            ;   in Loop: Header=BB332_202 Depth=1
	s_or_b64 exec, exec, s[26:27]
.LBB332_240:                            ;   in Loop: Header=BB332_202 Depth=1
	s_or_b64 exec, exec, s[24:25]
.LBB332_241:                            ;   in Loop: Header=BB332_202 Depth=1
	s_or_b64 exec, exec, s[4:5]
	s_waitcnt lgkmcnt(0)
	v_mul_f32_e32 v6, s43, v6
	v_and_b32_e32 v7, 0x7f800000, v6
	v_cmp_ne_u32_e64 s[2:3], s38, v7
                                        ; implicit-def: $vgpr7
	s_and_saveexec_b64 s[4:5], s[2:3]
	s_xor_b64 s[2:3], exec, s[4:5]
; %bb.242:                              ;   in Loop: Header=BB332_202 Depth=1
	v_bfe_u32 v7, v6, 16, 1
	v_add3_u32 v7, v6, v7, s39
                                        ; implicit-def: $vgpr6
; %bb.243:                              ;   in Loop: Header=BB332_202 Depth=1
	s_andn2_saveexec_b64 s[4:5], s[2:3]
; %bb.244:                              ;   in Loop: Header=BB332_202 Depth=1
	v_or_b32_e32 v7, 0x10000, v6
	v_cmp_eq_u32_sdwa s[2:3], v6, v17 src0_sel:WORD_0 src1_sel:DWORD
	v_cndmask_b32_e64 v7, v7, v6, s[2:3]
; %bb.245:                              ;   in Loop: Header=BB332_202 Depth=1
	s_or_b64 exec, exec, s[4:5]
	v_lshrrev_b16_e32 v6, 8, v4
	v_cmp_ne_u16_e64 s[2:3], 0, v6
	v_mov_b32_e32 v8, 0
	s_and_saveexec_b64 s[4:5], s[2:3]
	s_cbranch_execz .LBB332_251
; %bb.246:                              ;   in Loop: Header=BB332_202 Depth=1
	v_cmp_ne_u16_e64 s[2:3], s40, v6
	v_bfrev_b32_e32 v8, 1
	s_and_saveexec_b64 s[24:25], s[2:3]
	s_cbranch_execz .LBB332_250
; %bb.247:                              ;   in Loop: Header=BB332_202 Depth=1
	v_and_b32_e32 v9, 0x7f, v6
	v_cmp_ne_u32_e64 s[2:3], s41, v9
	v_mov_b32_e32 v8, 0x7f800001
	s_and_saveexec_b64 s[26:27], s[2:3]
	s_cbranch_execz .LBB332_249
; %bb.248:                              ;   in Loop: Header=BB332_202 Depth=1
	v_and_b32_e32 v8, 7, v6
	v_ffbh_u32_e32 v32, v8
	v_min_u32_e32 v34, 32, v32
	v_subrev_u32_e32 v32, 28, v34
	v_lshlrev_b64 v[32:33], v32, v[6:7]
	v_lshrrev_b32_e32 v16, 3, v9
	v_sub_u32_e32 v6, 29, v34
	v_and_b32_e32 v32, 7, v32
	v_cmp_gt_u32_e64 s[2:3], 8, v9
	v_cndmask_b32_e64 v6, v16, v6, s[2:3]
	v_cndmask_b32_e64 v8, v8, v32, s[2:3]
	v_lshlrev_b32_e32 v9, 16, v4
	v_lshlrev_b32_e32 v8, 20, v8
	v_and_b32_e32 v9, 0x80000000, v9
	v_lshl_add_u32 v6, v6, 23, v23
	v_or3_b32 v8, v9, v6, v8
.LBB332_249:                            ;   in Loop: Header=BB332_202 Depth=1
	s_or_b64 exec, exec, s[26:27]
.LBB332_250:                            ;   in Loop: Header=BB332_202 Depth=1
	s_or_b64 exec, exec, s[24:25]
.LBB332_251:                            ;   in Loop: Header=BB332_202 Depth=1
	s_or_b64 exec, exec, s[4:5]
	v_mul_f32_e32 v6, s43, v8
	v_and_b32_e32 v8, 0x7f800000, v6
	v_cmp_ne_u32_e64 s[2:3], s38, v8
                                        ; implicit-def: $vgpr8
	s_and_saveexec_b64 s[4:5], s[2:3]
	s_xor_b64 s[2:3], exec, s[4:5]
; %bb.252:                              ;   in Loop: Header=BB332_202 Depth=1
	v_bfe_u32 v8, v6, 16, 1
	v_add3_u32 v8, v6, v8, s39
                                        ; implicit-def: $vgpr6
; %bb.253:                              ;   in Loop: Header=BB332_202 Depth=1
	s_andn2_saveexec_b64 s[4:5], s[2:3]
; %bb.254:                              ;   in Loop: Header=BB332_202 Depth=1
	v_or_b32_e32 v8, 0x10000, v6
	v_cmp_eq_u32_sdwa s[2:3], v6, v17 src0_sel:WORD_0 src1_sel:DWORD
	v_cndmask_b32_e64 v8, v8, v6, s[2:3]
; %bb.255:                              ;   in Loop: Header=BB332_202 Depth=1
	s_or_b64 exec, exec, s[4:5]
	v_lshrrev_b32_e32 v6, 16, v4
	v_cmp_ne_u16_sdwa s[2:3], v6, v17 src0_sel:BYTE_0 src1_sel:DWORD
	v_mov_b32_e32 v9, 0
	s_and_saveexec_b64 s[4:5], s[2:3]
	s_cbranch_execz .LBB332_261
; %bb.256:                              ;   in Loop: Header=BB332_202 Depth=1
	v_cmp_ne_u16_sdwa s[2:3], v6, s40 src0_sel:BYTE_0 src1_sel:DWORD
	v_bfrev_b32_e32 v9, 1
	s_and_saveexec_b64 s[24:25], s[2:3]
	s_cbranch_execz .LBB332_260
; %bb.257:                              ;   in Loop: Header=BB332_202 Depth=1
	v_bfe_u32 v16, v4, 16, 7
	v_cmp_ne_u32_e64 s[2:3], s41, v16
	v_mov_b32_e32 v9, 0x7f800001
	s_and_saveexec_b64 s[26:27], s[2:3]
	s_cbranch_execz .LBB332_259
; %bb.258:                              ;   in Loop: Header=BB332_202 Depth=1
	v_and_b32_e32 v9, 7, v6
	v_ffbh_u32_e32 v32, v9
	v_min_u32_e32 v35, 32, v32
	v_subrev_u32_e32 v32, 28, v35
	v_lshlrev_b64 v[32:33], v32, v[6:7]
	v_lshrrev_b32_e32 v34, 3, v16
	v_sub_u32_e32 v33, 29, v35
	v_and_b32_e32 v32, 7, v32
	v_cmp_gt_u32_e64 s[2:3], 8, v16
	v_cndmask_b32_e64 v16, v34, v33, s[2:3]
	v_cndmask_b32_e64 v9, v9, v32, s[2:3]
	v_lshlrev_b32_e32 v6, 24, v6
	v_lshlrev_b32_e32 v9, 20, v9
	v_and_b32_e32 v6, 0x80000000, v6
	v_lshl_add_u32 v16, v16, 23, v23
	v_or3_b32 v9, v6, v16, v9
.LBB332_259:                            ;   in Loop: Header=BB332_202 Depth=1
	s_or_b64 exec, exec, s[26:27]
.LBB332_260:                            ;   in Loop: Header=BB332_202 Depth=1
	s_or_b64 exec, exec, s[24:25]
.LBB332_261:                            ;   in Loop: Header=BB332_202 Depth=1
	s_or_b64 exec, exec, s[4:5]
	v_mul_f32_e32 v6, s43, v9
	v_and_b32_e32 v9, 0x7f800000, v6
	v_cmp_ne_u32_e64 s[2:3], s38, v9
                                        ; implicit-def: $vgpr9
	s_and_saveexec_b64 s[4:5], s[2:3]
	s_xor_b64 s[2:3], exec, s[4:5]
; %bb.262:                              ;   in Loop: Header=BB332_202 Depth=1
	v_bfe_u32 v9, v6, 16, 1
	v_add3_u32 v9, v6, v9, s39
                                        ; implicit-def: $vgpr6
; %bb.263:                              ;   in Loop: Header=BB332_202 Depth=1
	s_andn2_saveexec_b64 s[4:5], s[2:3]
; %bb.264:                              ;   in Loop: Header=BB332_202 Depth=1
	v_or_b32_e32 v9, 0x10000, v6
	v_cmp_eq_u32_sdwa s[2:3], v6, v17 src0_sel:WORD_0 src1_sel:DWORD
	v_cndmask_b32_e64 v9, v9, v6, s[2:3]
; %bb.265:                              ;   in Loop: Header=BB332_202 Depth=1
	s_or_b64 exec, exec, s[4:5]
	v_cmp_lt_u32_e64 s[2:3], s17, v4
	v_mov_b32_e32 v16, 0
	s_and_saveexec_b64 s[4:5], s[2:3]
	s_cbranch_execz .LBB332_271
; %bb.266:                              ;   in Loop: Header=BB332_202 Depth=1
	v_lshrrev_b32_e32 v6, 24, v4
	v_cmp_ne_u32_e64 s[2:3], s40, v6
	v_bfrev_b32_e32 v16, 1
	s_and_saveexec_b64 s[24:25], s[2:3]
	s_cbranch_execz .LBB332_270
; %bb.267:                              ;   in Loop: Header=BB332_202 Depth=1
	v_bfe_u32 v32, v4, 24, 7
	v_cmp_ne_u32_e64 s[2:3], s41, v32
	v_mov_b32_e32 v16, 0x7f800001
	s_and_saveexec_b64 s[26:27], s[2:3]
	s_cbranch_execz .LBB332_269
; %bb.268:                              ;   in Loop: Header=BB332_202 Depth=1
	v_and_b32_e32 v16, 7, v6
	v_ffbh_u32_e32 v34, v16
	v_min_u32_e32 v36, 32, v34
	v_subrev_u32_e32 v34, 28, v36
	v_lshlrev_b64 v[34:35], v34, v[6:7]
	v_lshrrev_b32_e32 v33, 3, v32
	v_sub_u32_e32 v35, 29, v36
	v_and_b32_e32 v34, 7, v34
	v_cmp_gt_u32_e64 s[2:3], 8, v32
	v_cndmask_b32_e64 v32, v33, v35, s[2:3]
	v_cndmask_b32_e64 v16, v16, v34, s[2:3]
	v_lshlrev_b32_e32 v6, 24, v6
	v_lshlrev_b32_e32 v16, 20, v16
	v_and_b32_e32 v6, 0x80000000, v6
	v_lshl_add_u32 v32, v32, 23, v23
	v_or3_b32 v16, v6, v32, v16
.LBB332_269:                            ;   in Loop: Header=BB332_202 Depth=1
	s_or_b64 exec, exec, s[26:27]
.LBB332_270:                            ;   in Loop: Header=BB332_202 Depth=1
	s_or_b64 exec, exec, s[24:25]
.LBB332_271:                            ;   in Loop: Header=BB332_202 Depth=1
	s_or_b64 exec, exec, s[4:5]
	v_mul_f32_e32 v6, s43, v16
	v_and_b32_e32 v16, 0x7f800000, v6
	v_cmp_ne_u32_e64 s[2:3], s38, v16
                                        ; implicit-def: $vgpr32
	s_and_saveexec_b64 s[4:5], s[2:3]
	s_xor_b64 s[2:3], exec, s[4:5]
; %bb.272:                              ;   in Loop: Header=BB332_202 Depth=1
	v_bfe_u32 v16, v6, 16, 1
	v_add3_u32 v32, v6, v16, s39
                                        ; implicit-def: $vgpr6
; %bb.273:                              ;   in Loop: Header=BB332_202 Depth=1
	s_andn2_saveexec_b64 s[4:5], s[2:3]
; %bb.274:                              ;   in Loop: Header=BB332_202 Depth=1
	v_or_b32_e32 v16, 0x10000, v6
	v_cmp_eq_u32_sdwa s[2:3], v6, v17 src0_sel:WORD_0 src1_sel:DWORD
	v_cndmask_b32_e64 v32, v16, v6, s[2:3]
; %bb.275:                              ;   in Loop: Header=BB332_202 Depth=1
	s_or_b64 exec, exec, s[4:5]
	v_mov_b32_e32 v16, v5
	v_cmp_ne_u16_sdwa s[2:3], v5, v17 src0_sel:BYTE_0 src1_sel:DWORD
	v_mov_b32_e32 v6, 0
	s_and_saveexec_b64 s[4:5], s[2:3]
	s_cbranch_execz .LBB332_281
; %bb.276:                              ;   in Loop: Header=BB332_202 Depth=1
	v_cmp_ne_u16_sdwa s[2:3], v5, s40 src0_sel:BYTE_0 src1_sel:DWORD
	v_bfrev_b32_e32 v6, 1
	s_and_saveexec_b64 s[24:25], s[2:3]
	s_cbranch_execz .LBB332_280
; %bb.277:                              ;   in Loop: Header=BB332_202 Depth=1
	v_and_b32_e32 v33, 0x7f, v5
	v_cmp_ne_u32_e64 s[2:3], s41, v33
	v_mov_b32_e32 v6, 0x7f800001
	s_and_saveexec_b64 s[26:27], s[2:3]
	s_cbranch_execz .LBB332_279
; %bb.278:                              ;   in Loop: Header=BB332_202 Depth=1
	v_and_b32_e32 v6, 7, v5
	v_ffbh_u32_e32 v6, v6
	v_min_u32_e32 v6, 32, v6
	v_subrev_u32_e32 v35, 28, v6
	v_cmp_gt_u32_e64 s[2:3], 8, v33
	v_lshrrev_b32_e32 v34, 3, v33
	v_sub_u32_e32 v6, 29, v6
	v_cndmask_b32_e64 v33, 0, v35, s[2:3]
	v_cndmask_b32_e64 v6, v34, v6, s[2:3]
	v_lshlrev_b64 v[34:35], v33, v[16:17]
	v_lshlrev_b32_e32 v33, 20, v34
	v_lshlrev_b32_e32 v34, 24, v16
	v_and_b32_e32 v33, 0x700000, v33
	v_and_b32_e32 v34, 0x80000000, v34
	v_lshl_add_u32 v6, v6, 23, v23
	v_or3_b32 v6, v34, v6, v33
.LBB332_279:                            ;   in Loop: Header=BB332_202 Depth=1
	s_or_b64 exec, exec, s[26:27]
.LBB332_280:                            ;   in Loop: Header=BB332_202 Depth=1
	s_or_b64 exec, exec, s[24:25]
.LBB332_281:                            ;   in Loop: Header=BB332_202 Depth=1
	s_or_b64 exec, exec, s[4:5]
	v_mul_f32_e32 v6, s43, v6
	v_and_b32_e32 v33, 0x7f800000, v6
	v_cmp_ne_u32_e64 s[2:3], s38, v33
                                        ; implicit-def: $vgpr33
	s_and_saveexec_b64 s[4:5], s[2:3]
	s_xor_b64 s[2:3], exec, s[4:5]
; %bb.282:                              ;   in Loop: Header=BB332_202 Depth=1
	v_bfe_u32 v33, v6, 16, 1
	v_add3_u32 v33, v6, v33, s39
                                        ; implicit-def: $vgpr6
; %bb.283:                              ;   in Loop: Header=BB332_202 Depth=1
	s_andn2_saveexec_b64 s[4:5], s[2:3]
; %bb.284:                              ;   in Loop: Header=BB332_202 Depth=1
	v_or_b32_e32 v33, 0x10000, v6
	v_cmp_eq_u32_sdwa s[2:3], v6, v17 src0_sel:WORD_0 src1_sel:DWORD
	v_cndmask_b32_e64 v33, v33, v6, s[2:3]
; %bb.285:                              ;   in Loop: Header=BB332_202 Depth=1
	s_or_b64 exec, exec, s[4:5]
	v_lshrrev_b16_e32 v6, 8, v16
	v_cmp_ne_u16_e64 s[2:3], 0, v6
	v_mov_b32_e32 v34, 0
	s_and_saveexec_b64 s[4:5], s[2:3]
	s_cbranch_execz .LBB332_291
; %bb.286:                              ;   in Loop: Header=BB332_202 Depth=1
	v_cmp_ne_u16_e64 s[2:3], s40, v6
	v_bfrev_b32_e32 v34, 1
	s_and_saveexec_b64 s[24:25], s[2:3]
	s_cbranch_execz .LBB332_290
; %bb.287:                              ;   in Loop: Header=BB332_202 Depth=1
	v_and_b32_e32 v35, 0x7f, v6
	v_cmp_ne_u32_e64 s[2:3], s41, v35
	v_mov_b32_e32 v34, 0x7f800001
	s_and_saveexec_b64 s[26:27], s[2:3]
	s_cbranch_execz .LBB332_289
; %bb.288:                              ;   in Loop: Header=BB332_202 Depth=1
	v_and_b32_e32 v34, 7, v6
	v_ffbh_u32_e32 v36, v34
	v_min_u32_e32 v39, 32, v36
	v_subrev_u32_e32 v36, 28, v39
	v_lshlrev_b64 v[36:37], v36, v[6:7]
	v_lshrrev_b32_e32 v38, 3, v35
	v_sub_u32_e32 v6, 29, v39
	v_and_b32_e32 v36, 7, v36
	v_cmp_gt_u32_e64 s[2:3], 8, v35
	v_cndmask_b32_e64 v6, v38, v6, s[2:3]
	v_cndmask_b32_e64 v34, v34, v36, s[2:3]
	v_lshlrev_b32_e32 v16, 16, v16
	v_lshlrev_b32_e32 v34, 20, v34
	v_and_b32_e32 v16, 0x80000000, v16
	v_lshl_add_u32 v6, v6, 23, v23
	v_or3_b32 v34, v16, v6, v34
.LBB332_289:                            ;   in Loop: Header=BB332_202 Depth=1
	s_or_b64 exec, exec, s[26:27]
.LBB332_290:                            ;   in Loop: Header=BB332_202 Depth=1
	s_or_b64 exec, exec, s[24:25]
.LBB332_291:                            ;   in Loop: Header=BB332_202 Depth=1
	s_or_b64 exec, exec, s[4:5]
	v_mul_f32_e32 v6, s43, v34
	v_and_b32_e32 v16, 0x7f800000, v6
	v_cmp_ne_u32_e64 s[2:3], s38, v16
                                        ; implicit-def: $vgpr16
	s_and_saveexec_b64 s[4:5], s[2:3]
	s_xor_b64 s[2:3], exec, s[4:5]
; %bb.292:                              ;   in Loop: Header=BB332_202 Depth=1
	v_bfe_u32 v16, v6, 16, 1
	v_add3_u32 v16, v6, v16, s39
                                        ; implicit-def: $vgpr6
; %bb.293:                              ;   in Loop: Header=BB332_202 Depth=1
	s_andn2_saveexec_b64 s[4:5], s[2:3]
; %bb.294:                              ;   in Loop: Header=BB332_202 Depth=1
	v_or_b32_e32 v16, 0x10000, v6
	v_cmp_eq_u32_sdwa s[2:3], v6, v17 src0_sel:WORD_0 src1_sel:DWORD
	v_cndmask_b32_e64 v16, v16, v6, s[2:3]
; %bb.295:                              ;   in Loop: Header=BB332_202 Depth=1
	s_or_b64 exec, exec, s[4:5]
	v_lshrrev_b32_e32 v6, 16, v5
	v_cmp_ne_u16_sdwa s[2:3], v6, v17 src0_sel:BYTE_0 src1_sel:DWORD
	v_mov_b32_e32 v34, 0
	s_and_saveexec_b64 s[4:5], s[2:3]
	s_cbranch_execz .LBB332_301
; %bb.296:                              ;   in Loop: Header=BB332_202 Depth=1
	v_cmp_ne_u16_sdwa s[2:3], v6, s40 src0_sel:BYTE_0 src1_sel:DWORD
	v_bfrev_b32_e32 v34, 1
	s_and_saveexec_b64 s[24:25], s[2:3]
	s_cbranch_execz .LBB332_300
; %bb.297:                              ;   in Loop: Header=BB332_202 Depth=1
	v_bfe_u32 v35, v5, 16, 7
	v_cmp_ne_u32_e64 s[2:3], s41, v35
	v_mov_b32_e32 v34, 0x7f800001
	s_and_saveexec_b64 s[26:27], s[2:3]
	s_cbranch_execz .LBB332_299
; %bb.298:                              ;   in Loop: Header=BB332_202 Depth=1
	v_and_b32_e32 v34, 7, v6
	v_ffbh_u32_e32 v36, v34
	v_min_u32_e32 v39, 32, v36
	v_subrev_u32_e32 v36, 28, v39
	v_lshlrev_b64 v[36:37], v36, v[6:7]
	v_lshrrev_b32_e32 v38, 3, v35
	v_sub_u32_e32 v37, 29, v39
	v_and_b32_e32 v36, 7, v36
	v_cmp_gt_u32_e64 s[2:3], 8, v35
	v_cndmask_b32_e64 v35, v38, v37, s[2:3]
	v_cndmask_b32_e64 v34, v34, v36, s[2:3]
	v_lshlrev_b32_e32 v6, 24, v6
	v_lshlrev_b32_e32 v34, 20, v34
	v_and_b32_e32 v6, 0x80000000, v6
	v_lshl_add_u32 v35, v35, 23, v23
	v_or3_b32 v34, v6, v35, v34
.LBB332_299:                            ;   in Loop: Header=BB332_202 Depth=1
	s_or_b64 exec, exec, s[26:27]
.LBB332_300:                            ;   in Loop: Header=BB332_202 Depth=1
	s_or_b64 exec, exec, s[24:25]
.LBB332_301:                            ;   in Loop: Header=BB332_202 Depth=1
	s_or_b64 exec, exec, s[4:5]
	v_mul_f32_e32 v34, s43, v34
	v_and_b32_e32 v6, 0x7f800000, v34
	v_cmp_ne_u32_e64 s[2:3], s38, v6
                                        ; implicit-def: $vgpr6
	s_and_saveexec_b64 s[4:5], s[2:3]
	s_xor_b64 s[2:3], exec, s[4:5]
; %bb.302:                              ;   in Loop: Header=BB332_202 Depth=1
	v_bfe_u32 v6, v34, 16, 1
	v_add3_u32 v6, v34, v6, s39
                                        ; implicit-def: $vgpr34
; %bb.303:                              ;   in Loop: Header=BB332_202 Depth=1
	s_andn2_saveexec_b64 s[4:5], s[2:3]
; %bb.304:                              ;   in Loop: Header=BB332_202 Depth=1
	v_or_b32_e32 v6, 0x10000, v34
	v_cmp_eq_u32_sdwa s[2:3], v34, v17 src0_sel:WORD_0 src1_sel:DWORD
	v_cndmask_b32_e64 v6, v6, v34, s[2:3]
; %bb.305:                              ;   in Loop: Header=BB332_202 Depth=1
	s_or_b64 exec, exec, s[4:5]
	v_cmp_lt_u64_e64 s[2:3], s[16:17], v[4:5]
	v_mov_b32_e32 v34, 0
	s_and_saveexec_b64 s[4:5], s[2:3]
	s_cbranch_execz .LBB332_311
; %bb.306:                              ;   in Loop: Header=BB332_202 Depth=1
	v_lshrrev_b32_e32 v4, 24, v5
	v_cmp_ne_u32_e64 s[2:3], s40, v4
	v_bfrev_b32_e32 v34, 1
	s_and_saveexec_b64 s[24:25], s[2:3]
	s_cbranch_execz .LBB332_310
; %bb.307:                              ;   in Loop: Header=BB332_202 Depth=1
	v_bfe_u32 v5, v5, 24, 7
	v_cmp_ne_u32_e64 s[2:3], s41, v5
	v_mov_b32_e32 v34, 0x7f800001
	s_and_saveexec_b64 s[26:27], s[2:3]
	s_cbranch_execz .LBB332_309
; %bb.308:                              ;   in Loop: Header=BB332_202 Depth=1
	v_and_b32_e32 v36, 7, v4
	v_ffbh_u32_e32 v34, v36
	v_min_u32_e32 v38, 32, v34
	v_subrev_u32_e32 v34, 28, v38
	v_lshlrev_b64 v[34:35], v34, v[4:5]
	v_lshrrev_b32_e32 v37, 3, v5
	v_sub_u32_e32 v35, 29, v38
	v_and_b32_e32 v34, 7, v34
	v_cmp_gt_u32_e64 s[2:3], 8, v5
	v_cndmask_b32_e64 v5, v37, v35, s[2:3]
	v_cndmask_b32_e64 v34, v36, v34, s[2:3]
	v_lshlrev_b32_e32 v4, 24, v4
	v_lshlrev_b32_e32 v34, 20, v34
	v_and_b32_e32 v4, 0x80000000, v4
	v_lshl_add_u32 v5, v5, 23, v23
	v_or3_b32 v34, v4, v5, v34
.LBB332_309:                            ;   in Loop: Header=BB332_202 Depth=1
	s_or_b64 exec, exec, s[26:27]
.LBB332_310:                            ;   in Loop: Header=BB332_202 Depth=1
	s_or_b64 exec, exec, s[24:25]
.LBB332_311:                            ;   in Loop: Header=BB332_202 Depth=1
	s_or_b64 exec, exec, s[4:5]
	v_mul_f32_e32 v5, s43, v34
	v_and_b32_e32 v4, 0x7f800000, v5
	v_cmp_ne_u32_e64 s[2:3], s38, v4
                                        ; implicit-def: $vgpr4
	s_and_saveexec_b64 s[4:5], s[2:3]
	s_xor_b64 s[2:3], exec, s[4:5]
; %bb.312:                              ;   in Loop: Header=BB332_202 Depth=1
	v_bfe_u32 v4, v5, 16, 1
	v_add3_u32 v4, v5, v4, s39
                                        ; implicit-def: $vgpr5
; %bb.313:                              ;   in Loop: Header=BB332_202 Depth=1
	s_andn2_saveexec_b64 s[4:5], s[2:3]
; %bb.314:                              ;   in Loop: Header=BB332_202 Depth=1
	v_or_b32_e32 v4, 0x10000, v5
	v_cmp_eq_u32_sdwa s[2:3], v5, v17 src0_sel:WORD_0 src1_sel:DWORD
	v_cndmask_b32_e64 v4, v4, v5, s[2:3]
; %bb.315:                              ;   in Loop: Header=BB332_202 Depth=1
	s_or_b64 exec, exec, s[4:5]
	v_cmp_eq_u32_e64 s[2:3], s42, v10
	v_lshrrev_b32_e32 v34, 16, v16
	v_lshrrev_b32_e32 v33, 16, v33
	;; [unrolled: 1-line block ×8, first 2 shown]
	s_and_saveexec_b64 s[24:25], s[2:3]
	s_cbranch_execz .LBB332_317
; %bb.316:                              ;   in Loop: Header=BB332_202 Depth=1
	v_cmp_gt_i32_e64 s[4:5], s33, v22
	v_add_u32_e32 v7, 1, v22
	v_cndmask_b32_e64 v5, 0, v5, s[4:5]
	v_cmp_gt_i32_e64 s[4:5], s33, v7
	v_add_u32_e32 v7, 2, v22
	v_cndmask_b32_e64 v9, 0, v9, s[4:5]
	;; [unrolled: 3-line block ×7, first 2 shown]
	v_cmp_gt_i32_e64 s[4:5], s33, v7
	v_cndmask_b32_e64 v4, 0, v4, s[4:5]
.LBB332_317:                            ;   in Loop: Header=BB332_202 Depth=1
	s_or_b64 exec, exec, s[24:25]
	v_and_b32_e32 v7, 0xffff0000, v31
	v_lshlrev_b32_e32 v5, 16, v5
	v_mul_f32_e32 v8, v7, v5
	v_and_b32_e32 v5, 0x7f800000, v8
	v_cmp_ne_u32_e64 s[4:5], s38, v5
                                        ; implicit-def: $vgpr5
	s_and_saveexec_b64 s[24:25], s[4:5]
	s_xor_b64 s[4:5], exec, s[24:25]
; %bb.318:                              ;   in Loop: Header=BB332_202 Depth=1
	v_bfe_u32 v5, v8, 16, 1
	v_add3_u32 v5, v8, v5, s39
                                        ; implicit-def: $vgpr8
; %bb.319:                              ;   in Loop: Header=BB332_202 Depth=1
	s_andn2_saveexec_b64 s[24:25], s[4:5]
; %bb.320:                              ;   in Loop: Header=BB332_202 Depth=1
	v_or_b32_e32 v5, 0x10000, v8
	v_cmp_eq_u32_sdwa s[4:5], v8, v17 src0_sel:WORD_0 src1_sel:DWORD
	v_cndmask_b32_e64 v5, v5, v8, s[4:5]
; %bb.321:                              ;   in Loop: Header=BB332_202 Depth=1
	s_or_b64 exec, exec, s[24:25]
	v_and_b32_e32 v8, 0xffff0000, v30
	v_lshlrev_b32_e32 v9, 16, v9
	v_mul_f32_e32 v9, v8, v9
	v_and_b32_e32 v16, 0x7f800000, v9
	v_cmp_ne_u32_e64 s[4:5], s38, v16
                                        ; implicit-def: $vgpr16
	s_and_saveexec_b64 s[24:25], s[4:5]
	s_xor_b64 s[4:5], exec, s[24:25]
; %bb.322:                              ;   in Loop: Header=BB332_202 Depth=1
	v_bfe_u32 v16, v9, 16, 1
	v_add3_u32 v16, v9, v16, s39
                                        ; implicit-def: $vgpr9
; %bb.323:                              ;   in Loop: Header=BB332_202 Depth=1
	s_andn2_saveexec_b64 s[24:25], s[4:5]
; %bb.324:                              ;   in Loop: Header=BB332_202 Depth=1
	v_or_b32_e32 v16, 0x10000, v9
	v_cmp_eq_u32_sdwa s[4:5], v9, v17 src0_sel:WORD_0 src1_sel:DWORD
	v_cndmask_b32_e64 v16, v16, v9, s[4:5]
; %bb.325:                              ;   in Loop: Header=BB332_202 Depth=1
	s_or_b64 exec, exec, s[24:25]
	v_and_b32_e32 v9, 0xffff0000, v29
	v_lshlrev_b32_e32 v29, 16, v35
	v_mul_f32_e32 v30, v9, v29
	v_and_b32_e32 v29, 0x7f800000, v30
	v_cmp_ne_u32_e64 s[4:5], s38, v29
                                        ; implicit-def: $vgpr29
	s_and_saveexec_b64 s[24:25], s[4:5]
	s_xor_b64 s[4:5], exec, s[24:25]
; %bb.326:                              ;   in Loop: Header=BB332_202 Depth=1
	v_bfe_u32 v29, v30, 16, 1
	v_add3_u32 v29, v30, v29, s39
                                        ; implicit-def: $vgpr30
; %bb.327:                              ;   in Loop: Header=BB332_202 Depth=1
	s_andn2_saveexec_b64 s[24:25], s[4:5]
; %bb.328:                              ;   in Loop: Header=BB332_202 Depth=1
	v_or_b32_e32 v29, 0x10000, v30
	v_cmp_eq_u32_sdwa s[4:5], v30, v17 src0_sel:WORD_0 src1_sel:DWORD
	v_cndmask_b32_e64 v29, v29, v30, s[4:5]
; %bb.329:                              ;   in Loop: Header=BB332_202 Depth=1
	s_or_b64 exec, exec, s[24:25]
	v_and_b32_e32 v24, 0xffff0000, v24
	v_lshlrev_b32_e32 v30, 16, v32
	v_mul_f32_e32 v31, v24, v30
	v_and_b32_e32 v30, 0x7f800000, v31
	v_cmp_ne_u32_e64 s[4:5], s38, v30
                                        ; implicit-def: $vgpr30
	s_and_saveexec_b64 s[24:25], s[4:5]
	s_xor_b64 s[4:5], exec, s[24:25]
; %bb.330:                              ;   in Loop: Header=BB332_202 Depth=1
	v_bfe_u32 v30, v31, 16, 1
	v_add3_u32 v30, v31, v30, s39
                                        ; implicit-def: $vgpr31
; %bb.331:                              ;   in Loop: Header=BB332_202 Depth=1
	s_andn2_saveexec_b64 s[24:25], s[4:5]
; %bb.332:                              ;   in Loop: Header=BB332_202 Depth=1
	v_or_b32_e32 v30, 0x10000, v31
	v_cmp_eq_u32_sdwa s[4:5], v31, v17 src0_sel:WORD_0 src1_sel:DWORD
	v_cndmask_b32_e64 v30, v30, v31, s[4:5]
; %bb.333:                              ;   in Loop: Header=BB332_202 Depth=1
	s_or_b64 exec, exec, s[24:25]
	v_and_b32_e32 v25, 0xffff0000, v25
	v_lshlrev_b32_e32 v31, 16, v33
	v_mul_f32_e32 v32, v25, v31
	v_and_b32_e32 v31, 0x7f800000, v32
	v_cmp_ne_u32_e64 s[4:5], s38, v31
                                        ; implicit-def: $vgpr31
	s_and_saveexec_b64 s[24:25], s[4:5]
	s_xor_b64 s[4:5], exec, s[24:25]
; %bb.334:                              ;   in Loop: Header=BB332_202 Depth=1
	v_bfe_u32 v31, v32, 16, 1
	v_add3_u32 v31, v32, v31, s39
                                        ; implicit-def: $vgpr32
; %bb.335:                              ;   in Loop: Header=BB332_202 Depth=1
	s_andn2_saveexec_b64 s[24:25], s[4:5]
; %bb.336:                              ;   in Loop: Header=BB332_202 Depth=1
	v_or_b32_e32 v31, 0x10000, v32
	v_cmp_eq_u32_sdwa s[4:5], v32, v17 src0_sel:WORD_0 src1_sel:DWORD
	v_cndmask_b32_e64 v31, v31, v32, s[4:5]
; %bb.337:                              ;   in Loop: Header=BB332_202 Depth=1
	s_or_b64 exec, exec, s[24:25]
	v_and_b32_e32 v26, 0xffff0000, v26
	v_lshlrev_b32_e32 v32, 16, v34
	v_mul_f32_e32 v33, v26, v32
	v_and_b32_e32 v32, 0x7f800000, v33
	v_cmp_ne_u32_e64 s[4:5], s38, v32
                                        ; implicit-def: $vgpr32
	s_and_saveexec_b64 s[24:25], s[4:5]
	s_xor_b64 s[4:5], exec, s[24:25]
; %bb.338:                              ;   in Loop: Header=BB332_202 Depth=1
	v_bfe_u32 v32, v33, 16, 1
	v_add3_u32 v32, v33, v32, s39
                                        ; implicit-def: $vgpr33
; %bb.339:                              ;   in Loop: Header=BB332_202 Depth=1
	s_andn2_saveexec_b64 s[24:25], s[4:5]
; %bb.340:                              ;   in Loop: Header=BB332_202 Depth=1
	v_or_b32_e32 v32, 0x10000, v33
	v_cmp_eq_u32_sdwa s[4:5], v33, v17 src0_sel:WORD_0 src1_sel:DWORD
	v_cndmask_b32_e64 v32, v32, v33, s[4:5]
; %bb.341:                              ;   in Loop: Header=BB332_202 Depth=1
	s_or_b64 exec, exec, s[24:25]
	v_and_b32_e32 v27, 0xffff0000, v27
	v_lshlrev_b32_e32 v6, 16, v6
	v_mul_f32_e32 v33, v27, v6
	v_and_b32_e32 v6, 0x7f800000, v33
	v_cmp_ne_u32_e64 s[4:5], s38, v6
                                        ; implicit-def: $vgpr6
	s_and_saveexec_b64 s[24:25], s[4:5]
	s_xor_b64 s[4:5], exec, s[24:25]
; %bb.342:                              ;   in Loop: Header=BB332_202 Depth=1
	v_bfe_u32 v6, v33, 16, 1
	v_add3_u32 v6, v33, v6, s39
                                        ; implicit-def: $vgpr33
; %bb.343:                              ;   in Loop: Header=BB332_202 Depth=1
	s_andn2_saveexec_b64 s[24:25], s[4:5]
; %bb.344:                              ;   in Loop: Header=BB332_202 Depth=1
	v_or_b32_e32 v6, 0x10000, v33
	v_cmp_eq_u32_sdwa s[4:5], v33, v17 src0_sel:WORD_0 src1_sel:DWORD
	v_cndmask_b32_e64 v6, v6, v33, s[4:5]
; %bb.345:                              ;   in Loop: Header=BB332_202 Depth=1
	s_or_b64 exec, exec, s[24:25]
	v_and_b32_e32 v28, 0xffff0000, v28
	v_lshlrev_b32_e32 v4, 16, v4
	v_mul_f32_e32 v4, v28, v4
	v_and_b32_e32 v33, 0x7f800000, v4
	v_cmp_ne_u32_e64 s[4:5], s38, v33
                                        ; implicit-def: $vgpr33
	s_and_saveexec_b64 s[24:25], s[4:5]
	s_xor_b64 s[4:5], exec, s[24:25]
; %bb.346:                              ;   in Loop: Header=BB332_202 Depth=1
	v_bfe_u32 v33, v4, 16, 1
	v_add3_u32 v33, v4, v33, s39
                                        ; implicit-def: $vgpr4
; %bb.347:                              ;   in Loop: Header=BB332_202 Depth=1
	s_andn2_saveexec_b64 s[24:25], s[4:5]
; %bb.348:                              ;   in Loop: Header=BB332_202 Depth=1
	v_or_b32_e32 v33, 0x10000, v4
	v_cmp_eq_u32_sdwa s[4:5], v4, v17 src0_sel:WORD_0 src1_sel:DWORD
	v_cndmask_b32_e64 v33, v33, v4, s[4:5]
; %bb.349:                              ;   in Loop: Header=BB332_202 Depth=1
	s_or_b64 exec, exec, s[24:25]
	v_and_b32_e32 v34, 0xffff0000, v31
	v_and_b32_e32 v31, 0xffff0000, v30
	;; [unrolled: 1-line block ×5, first 2 shown]
	v_pk_add_f32 v[4:5], v[36:37], v[30:31]
	v_and_b32_e32 v33, 0xffff0000, v33
	v_and_b32_e32 v32, 0xffff0000, v32
	;; [unrolled: 1-line block ×3, first 2 shown]
	v_mov_b32_e32 v6, v5
	v_pk_add_f32 v[4:5], v[4:5], v[6:7]
	v_pk_add_f32 v[30:31], v[34:35], v[32:33]
	v_pk_add_f32 v[4:5], v[4:5], v[30:31]
	v_mov_b32_e32 v6, v31
	v_pk_add_f32 v[4:5], v[4:5], v[6:7]
	v_pk_add_f32 v[4:5], v[12:13], v[4:5]
	s_and_saveexec_b64 s[24:25], vcc
	s_cbranch_execz .LBB332_200
; %bb.350:                              ;   in Loop: Header=BB332_202 Depth=1
	v_add_co_u32_e64 v2, s[4:5], v2, v18
	v_addc_co_u32_e64 v3, s[4:5], 0, v3, s[4:5]
	global_load_dwordx2 v[2:3], v[2:3], off
	v_mov_b32_e32 v5, 0
	s_waitcnt vmcnt(0)
	v_cmp_ne_u16_sdwa s[4:5], v2, v17 src0_sel:BYTE_0 src1_sel:DWORD
	s_and_saveexec_b64 s[26:27], s[4:5]
	s_cbranch_execz .LBB332_356
; %bb.351:                              ;   in Loop: Header=BB332_202 Depth=1
	v_cmp_ne_u16_sdwa s[4:5], v2, s40 src0_sel:BYTE_0 src1_sel:DWORD
	v_bfrev_b32_e32 v5, 1
	s_and_saveexec_b64 s[28:29], s[4:5]
	s_cbranch_execz .LBB332_355
; %bb.352:                              ;   in Loop: Header=BB332_202 Depth=1
	v_and_b32_e32 v6, 0x7f, v2
	v_cmp_ne_u32_e64 s[4:5], s41, v6
	v_mov_b32_e32 v5, 0x7f800001
	s_and_saveexec_b64 s[30:31], s[4:5]
	s_cbranch_execz .LBB332_354
; %bb.353:                              ;   in Loop: Header=BB332_202 Depth=1
	v_and_b32_e32 v5, 7, v2
	v_ffbh_u32_e32 v5, v5
	v_min_u32_e32 v5, 32, v5
	v_subrev_u32_e32 v29, 28, v5
	v_cmp_gt_u32_e64 s[4:5], 8, v6
	v_lshrrev_b32_e32 v16, 3, v6
	v_cndmask_b32_e64 v6, 0, v29, s[4:5]
	v_sub_u32_e32 v5, 29, v5
	v_lshlrev_b64 v[30:31], v6, v[2:3]
	v_cndmask_b32_e64 v5, v16, v5, s[4:5]
	v_lshlrev_b32_e32 v6, 20, v30
	v_lshlrev_b32_e32 v16, 24, v2
	v_and_b32_e32 v6, 0x700000, v6
	v_and_b32_e32 v16, 0x80000000, v16
	v_lshl_add_u32 v5, v5, 23, v23
	v_or3_b32 v5, v16, v5, v6
.LBB332_354:                            ;   in Loop: Header=BB332_202 Depth=1
	s_or_b64 exec, exec, s[30:31]
.LBB332_355:                            ;   in Loop: Header=BB332_202 Depth=1
	s_or_b64 exec, exec, s[28:29]
.LBB332_356:                            ;   in Loop: Header=BB332_202 Depth=1
	s_or_b64 exec, exec, s[26:27]
	v_mul_f32_e32 v6, s43, v5
	v_and_b32_e32 v5, 0x7f800000, v6
	v_cmp_ne_u32_e64 s[4:5], s38, v5
                                        ; implicit-def: $vgpr5
	s_and_saveexec_b64 s[26:27], s[4:5]
	s_xor_b64 s[4:5], exec, s[26:27]
; %bb.357:                              ;   in Loop: Header=BB332_202 Depth=1
	v_bfe_u32 v5, v6, 16, 1
	v_add3_u32 v5, v6, v5, s39
                                        ; implicit-def: $vgpr6
; %bb.358:                              ;   in Loop: Header=BB332_202 Depth=1
	s_andn2_saveexec_b64 s[26:27], s[4:5]
; %bb.359:                              ;   in Loop: Header=BB332_202 Depth=1
	v_or_b32_e32 v5, 0x10000, v6
	v_cmp_eq_u32_sdwa s[4:5], v6, v17 src0_sel:WORD_0 src1_sel:DWORD
	v_cndmask_b32_e64 v5, v5, v6, s[4:5]
; %bb.360:                              ;   in Loop: Header=BB332_202 Depth=1
	s_or_b64 exec, exec, s[26:27]
	v_lshrrev_b16_e32 v6, 8, v2
	v_cmp_ne_u16_e64 s[4:5], 0, v6
	v_mov_b32_e32 v16, 0
	s_and_saveexec_b64 s[26:27], s[4:5]
	s_cbranch_execz .LBB332_366
; %bb.361:                              ;   in Loop: Header=BB332_202 Depth=1
	v_cmp_ne_u16_e64 s[4:5], s40, v6
	v_bfrev_b32_e32 v16, 1
	s_and_saveexec_b64 s[28:29], s[4:5]
	s_cbranch_execz .LBB332_365
; %bb.362:                              ;   in Loop: Header=BB332_202 Depth=1
	v_and_b32_e32 v29, 0x7f, v6
	v_cmp_ne_u32_e64 s[4:5], s41, v29
	v_mov_b32_e32 v16, 0x7f800001
	s_and_saveexec_b64 s[30:31], s[4:5]
	s_cbranch_execz .LBB332_364
; %bb.363:                              ;   in Loop: Header=BB332_202 Depth=1
	v_and_b32_e32 v16, 7, v6
	v_ffbh_u32_e32 v30, v16
	v_min_u32_e32 v33, 32, v30
	v_subrev_u32_e32 v30, 28, v33
	v_lshlrev_b64 v[30:31], v30, v[6:7]
	v_lshrrev_b32_e32 v32, 3, v29
	v_sub_u32_e32 v6, 29, v33
	v_and_b32_e32 v30, 7, v30
	v_cmp_gt_u32_e64 s[4:5], 8, v29
	v_cndmask_b32_e64 v6, v32, v6, s[4:5]
	v_cndmask_b32_e64 v16, v16, v30, s[4:5]
	v_lshlrev_b32_e32 v29, 16, v2
	v_lshlrev_b32_e32 v16, 20, v16
	v_and_b32_e32 v29, 0x80000000, v29
	v_lshl_add_u32 v6, v6, 23, v23
	v_or3_b32 v16, v29, v6, v16
.LBB332_364:                            ;   in Loop: Header=BB332_202 Depth=1
	s_or_b64 exec, exec, s[30:31]
.LBB332_365:                            ;   in Loop: Header=BB332_202 Depth=1
	s_or_b64 exec, exec, s[28:29]
.LBB332_366:                            ;   in Loop: Header=BB332_202 Depth=1
	s_or_b64 exec, exec, s[26:27]
	v_mul_f32_e32 v6, s43, v16
	v_and_b32_e32 v16, 0x7f800000, v6
	v_cmp_ne_u32_e64 s[4:5], s38, v16
                                        ; implicit-def: $vgpr29
	s_and_saveexec_b64 s[26:27], s[4:5]
	s_xor_b64 s[4:5], exec, s[26:27]
; %bb.367:                              ;   in Loop: Header=BB332_202 Depth=1
	v_bfe_u32 v16, v6, 16, 1
	v_add3_u32 v29, v6, v16, s39
                                        ; implicit-def: $vgpr6
; %bb.368:                              ;   in Loop: Header=BB332_202 Depth=1
	s_andn2_saveexec_b64 s[26:27], s[4:5]
; %bb.369:                              ;   in Loop: Header=BB332_202 Depth=1
	v_or_b32_e32 v16, 0x10000, v6
	v_cmp_eq_u32_sdwa s[4:5], v6, v17 src0_sel:WORD_0 src1_sel:DWORD
	v_cndmask_b32_e64 v29, v16, v6, s[4:5]
; %bb.370:                              ;   in Loop: Header=BB332_202 Depth=1
	s_or_b64 exec, exec, s[26:27]
	v_lshrrev_b32_e32 v6, 16, v2
	v_cmp_ne_u16_sdwa s[4:5], v6, v17 src0_sel:BYTE_0 src1_sel:DWORD
	v_mov_b32_e32 v16, 0
	s_and_saveexec_b64 s[26:27], s[4:5]
	s_cbranch_execz .LBB332_376
; %bb.371:                              ;   in Loop: Header=BB332_202 Depth=1
	v_cmp_ne_u16_sdwa s[4:5], v6, s40 src0_sel:BYTE_0 src1_sel:DWORD
	v_bfrev_b32_e32 v16, 1
	s_and_saveexec_b64 s[28:29], s[4:5]
	s_cbranch_execz .LBB332_375
; %bb.372:                              ;   in Loop: Header=BB332_202 Depth=1
	v_bfe_u32 v30, v2, 16, 7
	v_cmp_ne_u32_e64 s[4:5], s41, v30
	v_mov_b32_e32 v16, 0x7f800001
	s_and_saveexec_b64 s[30:31], s[4:5]
	s_cbranch_execz .LBB332_374
; %bb.373:                              ;   in Loop: Header=BB332_202 Depth=1
	v_and_b32_e32 v16, 7, v6
	v_ffbh_u32_e32 v32, v16
	v_min_u32_e32 v34, 32, v32
	v_subrev_u32_e32 v32, 28, v34
	v_lshlrev_b64 v[32:33], v32, v[6:7]
	v_lshrrev_b32_e32 v31, 3, v30
	v_sub_u32_e32 v33, 29, v34
	v_and_b32_e32 v32, 7, v32
	v_cmp_gt_u32_e64 s[4:5], 8, v30
	v_cndmask_b32_e64 v30, v31, v33, s[4:5]
	v_cndmask_b32_e64 v16, v16, v32, s[4:5]
	v_lshlrev_b32_e32 v6, 24, v6
	v_lshlrev_b32_e32 v16, 20, v16
	v_and_b32_e32 v6, 0x80000000, v6
	v_lshl_add_u32 v30, v30, 23, v23
	v_or3_b32 v16, v6, v30, v16
.LBB332_374:                            ;   in Loop: Header=BB332_202 Depth=1
	s_or_b64 exec, exec, s[30:31]
.LBB332_375:                            ;   in Loop: Header=BB332_202 Depth=1
	s_or_b64 exec, exec, s[28:29]
.LBB332_376:                            ;   in Loop: Header=BB332_202 Depth=1
	s_or_b64 exec, exec, s[26:27]
	v_mul_f32_e32 v6, s43, v16
	v_and_b32_e32 v16, 0x7f800000, v6
	v_cmp_ne_u32_e64 s[4:5], s38, v16
                                        ; implicit-def: $vgpr30
	s_and_saveexec_b64 s[26:27], s[4:5]
	s_xor_b64 s[4:5], exec, s[26:27]
; %bb.377:                              ;   in Loop: Header=BB332_202 Depth=1
	v_bfe_u32 v16, v6, 16, 1
	v_add3_u32 v30, v6, v16, s39
                                        ; implicit-def: $vgpr6
; %bb.378:                              ;   in Loop: Header=BB332_202 Depth=1
	s_andn2_saveexec_b64 s[26:27], s[4:5]
; %bb.379:                              ;   in Loop: Header=BB332_202 Depth=1
	v_or_b32_e32 v16, 0x10000, v6
	v_cmp_eq_u32_sdwa s[4:5], v6, v17 src0_sel:WORD_0 src1_sel:DWORD
	v_cndmask_b32_e64 v30, v16, v6, s[4:5]
; %bb.380:                              ;   in Loop: Header=BB332_202 Depth=1
	s_or_b64 exec, exec, s[26:27]
	v_cmp_lt_u32_e64 s[4:5], s17, v2
	v_mov_b32_e32 v16, 0
	s_and_saveexec_b64 s[26:27], s[4:5]
	s_cbranch_execz .LBB332_386
; %bb.381:                              ;   in Loop: Header=BB332_202 Depth=1
	v_lshrrev_b32_e32 v6, 24, v2
	v_cmp_ne_u32_e64 s[4:5], s40, v6
	v_bfrev_b32_e32 v16, 1
	s_and_saveexec_b64 s[28:29], s[4:5]
	s_cbranch_execz .LBB332_385
; %bb.382:                              ;   in Loop: Header=BB332_202 Depth=1
	v_bfe_u32 v31, v2, 24, 7
	v_cmp_ne_u32_e64 s[4:5], s41, v31
	v_mov_b32_e32 v16, 0x7f800001
	s_and_saveexec_b64 s[30:31], s[4:5]
	s_cbranch_execz .LBB332_384
; %bb.383:                              ;   in Loop: Header=BB332_202 Depth=1
	v_and_b32_e32 v16, 7, v6
	v_ffbh_u32_e32 v32, v16
	v_min_u32_e32 v35, 32, v32
	v_subrev_u32_e32 v32, 28, v35
	v_lshlrev_b64 v[32:33], v32, v[6:7]
	v_lshrrev_b32_e32 v34, 3, v31
	v_sub_u32_e32 v33, 29, v35
	v_and_b32_e32 v32, 7, v32
	v_cmp_gt_u32_e64 s[4:5], 8, v31
	v_cndmask_b32_e64 v31, v34, v33, s[4:5]
	v_cndmask_b32_e64 v16, v16, v32, s[4:5]
	v_lshlrev_b32_e32 v6, 24, v6
	v_lshlrev_b32_e32 v16, 20, v16
	v_and_b32_e32 v6, 0x80000000, v6
	v_lshl_add_u32 v31, v31, 23, v23
	v_or3_b32 v16, v6, v31, v16
.LBB332_384:                            ;   in Loop: Header=BB332_202 Depth=1
	s_or_b64 exec, exec, s[30:31]
.LBB332_385:                            ;   in Loop: Header=BB332_202 Depth=1
	s_or_b64 exec, exec, s[28:29]
.LBB332_386:                            ;   in Loop: Header=BB332_202 Depth=1
	s_or_b64 exec, exec, s[26:27]
	v_mul_f32_e32 v6, s43, v16
	v_and_b32_e32 v16, 0x7f800000, v6
	v_cmp_ne_u32_e64 s[4:5], s38, v16
                                        ; implicit-def: $vgpr31
	s_and_saveexec_b64 s[26:27], s[4:5]
	s_xor_b64 s[4:5], exec, s[26:27]
; %bb.387:                              ;   in Loop: Header=BB332_202 Depth=1
	v_bfe_u32 v16, v6, 16, 1
	v_add3_u32 v31, v6, v16, s39
                                        ; implicit-def: $vgpr6
; %bb.388:                              ;   in Loop: Header=BB332_202 Depth=1
	s_andn2_saveexec_b64 s[26:27], s[4:5]
; %bb.389:                              ;   in Loop: Header=BB332_202 Depth=1
	v_or_b32_e32 v16, 0x10000, v6
	v_cmp_eq_u32_sdwa s[4:5], v6, v17 src0_sel:WORD_0 src1_sel:DWORD
	v_cndmask_b32_e64 v31, v16, v6, s[4:5]
; %bb.390:                              ;   in Loop: Header=BB332_202 Depth=1
	s_or_b64 exec, exec, s[26:27]
	v_mov_b32_e32 v16, v3
	v_cmp_ne_u16_sdwa s[4:5], v3, v17 src0_sel:BYTE_0 src1_sel:DWORD
	v_mov_b32_e32 v6, 0
	s_and_saveexec_b64 s[26:27], s[4:5]
	s_cbranch_execz .LBB332_396
; %bb.391:                              ;   in Loop: Header=BB332_202 Depth=1
	v_cmp_ne_u16_sdwa s[4:5], v3, s40 src0_sel:BYTE_0 src1_sel:DWORD
	v_bfrev_b32_e32 v6, 1
	s_and_saveexec_b64 s[28:29], s[4:5]
	s_cbranch_execz .LBB332_395
; %bb.392:                              ;   in Loop: Header=BB332_202 Depth=1
	v_and_b32_e32 v32, 0x7f, v3
	v_cmp_ne_u32_e64 s[4:5], s41, v32
	v_mov_b32_e32 v6, 0x7f800001
	s_and_saveexec_b64 s[30:31], s[4:5]
	s_cbranch_execz .LBB332_394
; %bb.393:                              ;   in Loop: Header=BB332_202 Depth=1
	v_and_b32_e32 v6, 7, v3
	v_ffbh_u32_e32 v6, v6
	v_min_u32_e32 v6, 32, v6
	v_subrev_u32_e32 v34, 28, v6
	v_cmp_gt_u32_e64 s[4:5], 8, v32
	v_lshrrev_b32_e32 v33, 3, v32
	v_sub_u32_e32 v6, 29, v6
	v_cndmask_b32_e64 v32, 0, v34, s[4:5]
	v_cndmask_b32_e64 v6, v33, v6, s[4:5]
	v_lshlrev_b64 v[32:33], v32, v[16:17]
	v_lshlrev_b32_e32 v32, 20, v32
	v_lshlrev_b32_e32 v33, 24, v16
	v_and_b32_e32 v32, 0x700000, v32
	v_and_b32_e32 v33, 0x80000000, v33
	v_lshl_add_u32 v6, v6, 23, v23
	v_or3_b32 v6, v33, v6, v32
.LBB332_394:                            ;   in Loop: Header=BB332_202 Depth=1
	s_or_b64 exec, exec, s[30:31]
.LBB332_395:                            ;   in Loop: Header=BB332_202 Depth=1
	s_or_b64 exec, exec, s[28:29]
.LBB332_396:                            ;   in Loop: Header=BB332_202 Depth=1
	s_or_b64 exec, exec, s[26:27]
	v_mul_f32_e32 v6, s43, v6
	v_and_b32_e32 v32, 0x7f800000, v6
	v_cmp_ne_u32_e64 s[4:5], s38, v32
                                        ; implicit-def: $vgpr32
	s_and_saveexec_b64 s[26:27], s[4:5]
	s_xor_b64 s[4:5], exec, s[26:27]
; %bb.397:                              ;   in Loop: Header=BB332_202 Depth=1
	v_bfe_u32 v32, v6, 16, 1
	v_add3_u32 v32, v6, v32, s39
                                        ; implicit-def: $vgpr6
; %bb.398:                              ;   in Loop: Header=BB332_202 Depth=1
	s_andn2_saveexec_b64 s[26:27], s[4:5]
; %bb.399:                              ;   in Loop: Header=BB332_202 Depth=1
	v_or_b32_e32 v32, 0x10000, v6
	v_cmp_eq_u32_sdwa s[4:5], v6, v17 src0_sel:WORD_0 src1_sel:DWORD
	v_cndmask_b32_e64 v32, v32, v6, s[4:5]
; %bb.400:                              ;   in Loop: Header=BB332_202 Depth=1
	s_or_b64 exec, exec, s[26:27]
	v_lshrrev_b16_e32 v6, 8, v16
	v_cmp_ne_u16_e64 s[4:5], 0, v6
	v_mov_b32_e32 v33, 0
	s_and_saveexec_b64 s[26:27], s[4:5]
	s_cbranch_execz .LBB332_406
; %bb.401:                              ;   in Loop: Header=BB332_202 Depth=1
	v_cmp_ne_u16_e64 s[4:5], s40, v6
	v_bfrev_b32_e32 v33, 1
	s_and_saveexec_b64 s[28:29], s[4:5]
	s_cbranch_execz .LBB332_405
; %bb.402:                              ;   in Loop: Header=BB332_202 Depth=1
	v_and_b32_e32 v34, 0x7f, v6
	v_cmp_ne_u32_e64 s[4:5], s41, v34
	v_mov_b32_e32 v33, 0x7f800001
	s_and_saveexec_b64 s[30:31], s[4:5]
	s_cbranch_execz .LBB332_404
; %bb.403:                              ;   in Loop: Header=BB332_202 Depth=1
	v_and_b32_e32 v33, 7, v6
	v_ffbh_u32_e32 v36, v33
	v_min_u32_e32 v38, 32, v36
	v_subrev_u32_e32 v36, 28, v38
	v_lshlrev_b64 v[36:37], v36, v[6:7]
	v_lshrrev_b32_e32 v35, 3, v34
	v_sub_u32_e32 v6, 29, v38
	v_and_b32_e32 v36, 7, v36
	v_cmp_gt_u32_e64 s[4:5], 8, v34
	v_cndmask_b32_e64 v6, v35, v6, s[4:5]
	v_cndmask_b32_e64 v33, v33, v36, s[4:5]
	v_lshlrev_b32_e32 v16, 16, v16
	v_lshlrev_b32_e32 v33, 20, v33
	v_and_b32_e32 v16, 0x80000000, v16
	v_lshl_add_u32 v6, v6, 23, v23
	v_or3_b32 v33, v16, v6, v33
.LBB332_404:                            ;   in Loop: Header=BB332_202 Depth=1
	s_or_b64 exec, exec, s[30:31]
.LBB332_405:                            ;   in Loop: Header=BB332_202 Depth=1
	s_or_b64 exec, exec, s[28:29]
.LBB332_406:                            ;   in Loop: Header=BB332_202 Depth=1
	s_or_b64 exec, exec, s[26:27]
	v_mul_f32_e32 v6, s43, v33
	v_and_b32_e32 v16, 0x7f800000, v6
	v_cmp_ne_u32_e64 s[4:5], s38, v16
                                        ; implicit-def: $vgpr16
	s_and_saveexec_b64 s[26:27], s[4:5]
	s_xor_b64 s[4:5], exec, s[26:27]
; %bb.407:                              ;   in Loop: Header=BB332_202 Depth=1
	v_bfe_u32 v16, v6, 16, 1
	v_add3_u32 v16, v6, v16, s39
                                        ; implicit-def: $vgpr6
; %bb.408:                              ;   in Loop: Header=BB332_202 Depth=1
	s_andn2_saveexec_b64 s[26:27], s[4:5]
; %bb.409:                              ;   in Loop: Header=BB332_202 Depth=1
	v_or_b32_e32 v16, 0x10000, v6
	v_cmp_eq_u32_sdwa s[4:5], v6, v17 src0_sel:WORD_0 src1_sel:DWORD
	v_cndmask_b32_e64 v16, v16, v6, s[4:5]
; %bb.410:                              ;   in Loop: Header=BB332_202 Depth=1
	s_or_b64 exec, exec, s[26:27]
	v_lshrrev_b32_e32 v6, 16, v3
	v_cmp_ne_u16_sdwa s[4:5], v6, v17 src0_sel:BYTE_0 src1_sel:DWORD
	v_mov_b32_e32 v33, 0
	s_and_saveexec_b64 s[26:27], s[4:5]
	s_cbranch_execz .LBB332_416
; %bb.411:                              ;   in Loop: Header=BB332_202 Depth=1
	v_cmp_ne_u16_sdwa s[4:5], v6, s40 src0_sel:BYTE_0 src1_sel:DWORD
	v_bfrev_b32_e32 v33, 1
	s_and_saveexec_b64 s[28:29], s[4:5]
	s_cbranch_execz .LBB332_415
; %bb.412:                              ;   in Loop: Header=BB332_202 Depth=1
	v_bfe_u32 v34, v3, 16, 7
	v_cmp_ne_u32_e64 s[4:5], s41, v34
	v_mov_b32_e32 v33, 0x7f800001
	s_and_saveexec_b64 s[30:31], s[4:5]
	s_cbranch_execz .LBB332_414
; %bb.413:                              ;   in Loop: Header=BB332_202 Depth=1
	v_and_b32_e32 v33, 7, v6
	v_ffbh_u32_e32 v36, v33
	v_min_u32_e32 v38, 32, v36
	v_subrev_u32_e32 v36, 28, v38
	v_lshlrev_b64 v[36:37], v36, v[6:7]
	v_lshrrev_b32_e32 v35, 3, v34
	v_sub_u32_e32 v37, 29, v38
	v_and_b32_e32 v36, 7, v36
	v_cmp_gt_u32_e64 s[4:5], 8, v34
	v_cndmask_b32_e64 v34, v35, v37, s[4:5]
	v_cndmask_b32_e64 v33, v33, v36, s[4:5]
	v_lshlrev_b32_e32 v6, 24, v6
	v_lshlrev_b32_e32 v33, 20, v33
	v_and_b32_e32 v6, 0x80000000, v6
	v_lshl_add_u32 v34, v34, 23, v23
	v_or3_b32 v33, v6, v34, v33
.LBB332_414:                            ;   in Loop: Header=BB332_202 Depth=1
	s_or_b64 exec, exec, s[30:31]
.LBB332_415:                            ;   in Loop: Header=BB332_202 Depth=1
	s_or_b64 exec, exec, s[28:29]
.LBB332_416:                            ;   in Loop: Header=BB332_202 Depth=1
	s_or_b64 exec, exec, s[26:27]
	v_mul_f32_e32 v33, s43, v33
	v_and_b32_e32 v6, 0x7f800000, v33
	v_cmp_ne_u32_e64 s[4:5], s38, v6
                                        ; implicit-def: $vgpr6
	s_and_saveexec_b64 s[26:27], s[4:5]
	s_xor_b64 s[4:5], exec, s[26:27]
; %bb.417:                              ;   in Loop: Header=BB332_202 Depth=1
	v_bfe_u32 v6, v33, 16, 1
	v_add3_u32 v6, v33, v6, s39
                                        ; implicit-def: $vgpr33
; %bb.418:                              ;   in Loop: Header=BB332_202 Depth=1
	s_andn2_saveexec_b64 s[26:27], s[4:5]
; %bb.419:                              ;   in Loop: Header=BB332_202 Depth=1
	v_or_b32_e32 v6, 0x10000, v33
	v_cmp_eq_u32_sdwa s[4:5], v33, v17 src0_sel:WORD_0 src1_sel:DWORD
	v_cndmask_b32_e64 v6, v6, v33, s[4:5]
; %bb.420:                              ;   in Loop: Header=BB332_202 Depth=1
	s_or_b64 exec, exec, s[26:27]
	v_cmp_lt_u64_e64 s[4:5], s[16:17], v[2:3]
	v_mov_b32_e32 v33, 0
	s_and_saveexec_b64 s[26:27], s[4:5]
	s_cbranch_execz .LBB332_426
; %bb.421:                              ;   in Loop: Header=BB332_202 Depth=1
	v_lshrrev_b32_e32 v2, 24, v3
	v_cmp_ne_u32_e64 s[4:5], s40, v2
	v_bfrev_b32_e32 v33, 1
	s_and_saveexec_b64 s[28:29], s[4:5]
	s_cbranch_execz .LBB332_425
; %bb.422:                              ;   in Loop: Header=BB332_202 Depth=1
	v_bfe_u32 v3, v3, 24, 7
	v_cmp_ne_u32_e64 s[4:5], s41, v3
	v_mov_b32_e32 v33, 0x7f800001
	s_and_saveexec_b64 s[30:31], s[4:5]
	s_cbranch_execz .LBB332_424
; %bb.423:                              ;   in Loop: Header=BB332_202 Depth=1
	v_and_b32_e32 v33, 7, v2
	v_ffbh_u32_e32 v34, v33
	v_min_u32_e32 v37, 32, v34
	v_subrev_u32_e32 v34, 28, v37
	v_lshlrev_b64 v[34:35], v34, v[2:3]
	v_lshrrev_b32_e32 v36, 3, v3
	v_sub_u32_e32 v35, 29, v37
	v_and_b32_e32 v34, 7, v34
	v_cmp_gt_u32_e64 s[4:5], 8, v3
	v_cndmask_b32_e64 v3, v36, v35, s[4:5]
	v_cndmask_b32_e64 v33, v33, v34, s[4:5]
	v_lshlrev_b32_e32 v2, 24, v2
	v_lshlrev_b32_e32 v33, 20, v33
	v_and_b32_e32 v2, 0x80000000, v2
	v_lshl_add_u32 v3, v3, 23, v23
	v_or3_b32 v33, v2, v3, v33
.LBB332_424:                            ;   in Loop: Header=BB332_202 Depth=1
	s_or_b64 exec, exec, s[30:31]
.LBB332_425:                            ;   in Loop: Header=BB332_202 Depth=1
	s_or_b64 exec, exec, s[28:29]
.LBB332_426:                            ;   in Loop: Header=BB332_202 Depth=1
	s_or_b64 exec, exec, s[26:27]
	v_mul_f32_e32 v3, s43, v33
	v_and_b32_e32 v2, 0x7f800000, v3
	v_cmp_ne_u32_e64 s[4:5], s38, v2
                                        ; implicit-def: $vgpr2
	s_and_saveexec_b64 s[26:27], s[4:5]
	s_xor_b64 s[4:5], exec, s[26:27]
; %bb.427:                              ;   in Loop: Header=BB332_202 Depth=1
	v_bfe_u32 v2, v3, 16, 1
	v_add3_u32 v2, v3, v2, s39
                                        ; implicit-def: $vgpr3
; %bb.428:                              ;   in Loop: Header=BB332_202 Depth=1
	s_andn2_saveexec_b64 s[26:27], s[4:5]
; %bb.429:                              ;   in Loop: Header=BB332_202 Depth=1
	v_or_b32_e32 v2, 0x10000, v3
	v_cmp_eq_u32_sdwa s[4:5], v3, v17 src0_sel:WORD_0 src1_sel:DWORD
	v_cndmask_b32_e64 v2, v2, v3, s[4:5]
; %bb.430:                              ;   in Loop: Header=BB332_202 Depth=1
	s_or_b64 exec, exec, s[26:27]
	v_lshrrev_b32_e32 v16, 16, v16
	v_lshrrev_b32_e32 v32, 16, v32
	;; [unrolled: 1-line block ×8, first 2 shown]
	s_and_saveexec_b64 s[4:5], s[2:3]
	s_cbranch_execz .LBB332_432
; %bb.431:                              ;   in Loop: Header=BB332_202 Depth=1
	v_cmp_gt_i32_e64 s[2:3], s33, v22
	v_add_u32_e32 v6, 1, v22
	v_cndmask_b32_e64 v3, 0, v3, s[2:3]
	v_cmp_gt_i32_e64 s[2:3], s33, v6
	v_add_u32_e32 v6, 2, v22
	v_cndmask_b32_e64 v29, 0, v29, s[2:3]
	;; [unrolled: 3-line block ×7, first 2 shown]
	v_cmp_gt_i32_e64 s[2:3], s33, v6
	v_cndmask_b32_e64 v2, 0, v2, s[2:3]
.LBB332_432:                            ;   in Loop: Header=BB332_202 Depth=1
	s_or_b64 exec, exec, s[4:5]
	v_lshlrev_b32_e32 v3, 16, v3
	v_mul_f32_e32 v6, v7, v3
	v_and_b32_e32 v3, 0x7f800000, v6
	v_cmp_ne_u32_e64 s[2:3], s38, v3
                                        ; implicit-def: $vgpr3
	s_and_saveexec_b64 s[4:5], s[2:3]
	s_xor_b64 s[2:3], exec, s[4:5]
; %bb.433:                              ;   in Loop: Header=BB332_202 Depth=1
	v_bfe_u32 v3, v6, 16, 1
	v_add3_u32 v3, v6, v3, s39
                                        ; implicit-def: $vgpr6
; %bb.434:                              ;   in Loop: Header=BB332_202 Depth=1
	s_andn2_saveexec_b64 s[4:5], s[2:3]
; %bb.435:                              ;   in Loop: Header=BB332_202 Depth=1
	v_or_b32_e32 v3, 0x10000, v6
	v_cmp_eq_u32_sdwa s[2:3], v6, v17 src0_sel:WORD_0 src1_sel:DWORD
	v_cndmask_b32_e64 v3, v3, v6, s[2:3]
; %bb.436:                              ;   in Loop: Header=BB332_202 Depth=1
	s_or_b64 exec, exec, s[4:5]
	v_lshlrev_b32_e32 v6, 16, v29
	v_mul_f32_e32 v7, v8, v6
	v_and_b32_e32 v6, 0x7f800000, v7
	v_cmp_ne_u32_e64 s[2:3], s38, v6
                                        ; implicit-def: $vgpr6
	s_and_saveexec_b64 s[4:5], s[2:3]
	s_xor_b64 s[2:3], exec, s[4:5]
; %bb.437:                              ;   in Loop: Header=BB332_202 Depth=1
	v_bfe_u32 v6, v7, 16, 1
	v_add3_u32 v6, v7, v6, s39
                                        ; implicit-def: $vgpr7
; %bb.438:                              ;   in Loop: Header=BB332_202 Depth=1
	s_andn2_saveexec_b64 s[4:5], s[2:3]
; %bb.439:                              ;   in Loop: Header=BB332_202 Depth=1
	v_or_b32_e32 v6, 0x10000, v7
	v_cmp_eq_u32_sdwa s[2:3], v7, v17 src0_sel:WORD_0 src1_sel:DWORD
	v_cndmask_b32_e64 v6, v6, v7, s[2:3]
; %bb.440:                              ;   in Loop: Header=BB332_202 Depth=1
	s_or_b64 exec, exec, s[4:5]
	v_lshlrev_b32_e32 v7, 16, v30
	v_mul_f32_e32 v8, v9, v7
	v_and_b32_e32 v7, 0x7f800000, v8
	v_cmp_ne_u32_e64 s[2:3], s38, v7
                                        ; implicit-def: $vgpr7
	s_and_saveexec_b64 s[4:5], s[2:3]
	s_xor_b64 s[2:3], exec, s[4:5]
; %bb.441:                              ;   in Loop: Header=BB332_202 Depth=1
	v_bfe_u32 v7, v8, 16, 1
	v_add3_u32 v7, v8, v7, s39
                                        ; implicit-def: $vgpr8
; %bb.442:                              ;   in Loop: Header=BB332_202 Depth=1
	s_andn2_saveexec_b64 s[4:5], s[2:3]
; %bb.443:                              ;   in Loop: Header=BB332_202 Depth=1
	v_or_b32_e32 v7, 0x10000, v8
	v_cmp_eq_u32_sdwa s[2:3], v8, v17 src0_sel:WORD_0 src1_sel:DWORD
	v_cndmask_b32_e64 v7, v7, v8, s[2:3]
; %bb.444:                              ;   in Loop: Header=BB332_202 Depth=1
	s_or_b64 exec, exec, s[4:5]
	v_lshlrev_b32_e32 v8, 16, v31
	v_mul_f32_e32 v9, v24, v8
	v_and_b32_e32 v8, 0x7f800000, v9
	v_cmp_ne_u32_e64 s[2:3], s38, v8
                                        ; implicit-def: $vgpr8
	s_and_saveexec_b64 s[4:5], s[2:3]
	s_xor_b64 s[2:3], exec, s[4:5]
; %bb.445:                              ;   in Loop: Header=BB332_202 Depth=1
	v_bfe_u32 v8, v9, 16, 1
	v_add3_u32 v8, v9, v8, s39
                                        ; implicit-def: $vgpr9
; %bb.446:                              ;   in Loop: Header=BB332_202 Depth=1
	s_andn2_saveexec_b64 s[4:5], s[2:3]
; %bb.447:                              ;   in Loop: Header=BB332_202 Depth=1
	v_or_b32_e32 v8, 0x10000, v9
	v_cmp_eq_u32_sdwa s[2:3], v9, v17 src0_sel:WORD_0 src1_sel:DWORD
	v_cndmask_b32_e64 v8, v8, v9, s[2:3]
; %bb.448:                              ;   in Loop: Header=BB332_202 Depth=1
	s_or_b64 exec, exec, s[4:5]
	v_lshlrev_b32_e32 v9, 16, v32
	v_mul_f32_e32 v24, v25, v9
	v_and_b32_e32 v9, 0x7f800000, v24
	v_cmp_ne_u32_e64 s[2:3], s38, v9
                                        ; implicit-def: $vgpr9
	s_and_saveexec_b64 s[4:5], s[2:3]
	s_xor_b64 s[2:3], exec, s[4:5]
; %bb.449:                              ;   in Loop: Header=BB332_202 Depth=1
	v_bfe_u32 v9, v24, 16, 1
	v_add3_u32 v9, v24, v9, s39
                                        ; implicit-def: $vgpr24
; %bb.450:                              ;   in Loop: Header=BB332_202 Depth=1
	s_andn2_saveexec_b64 s[4:5], s[2:3]
; %bb.451:                              ;   in Loop: Header=BB332_202 Depth=1
	v_or_b32_e32 v9, 0x10000, v24
	v_cmp_eq_u32_sdwa s[2:3], v24, v17 src0_sel:WORD_0 src1_sel:DWORD
	v_cndmask_b32_e64 v9, v9, v24, s[2:3]
; %bb.452:                              ;   in Loop: Header=BB332_202 Depth=1
	s_or_b64 exec, exec, s[4:5]
	v_lshlrev_b32_e32 v16, 16, v16
	v_mul_f32_e32 v24, v26, v16
	v_and_b32_e32 v16, 0x7f800000, v24
	v_cmp_ne_u32_e64 s[2:3], s38, v16
                                        ; implicit-def: $vgpr16
	s_and_saveexec_b64 s[4:5], s[2:3]
	s_xor_b64 s[2:3], exec, s[4:5]
; %bb.453:                              ;   in Loop: Header=BB332_202 Depth=1
	v_bfe_u32 v16, v24, 16, 1
	v_add3_u32 v16, v24, v16, s39
                                        ; implicit-def: $vgpr24
; %bb.454:                              ;   in Loop: Header=BB332_202 Depth=1
	s_andn2_saveexec_b64 s[4:5], s[2:3]
; %bb.455:                              ;   in Loop: Header=BB332_202 Depth=1
	v_or_b32_e32 v16, 0x10000, v24
	v_cmp_eq_u32_sdwa s[2:3], v24, v17 src0_sel:WORD_0 src1_sel:DWORD
	v_cndmask_b32_e64 v16, v16, v24, s[2:3]
; %bb.456:                              ;   in Loop: Header=BB332_202 Depth=1
	s_or_b64 exec, exec, s[4:5]
	v_lshlrev_b32_e32 v5, 16, v5
	v_mul_f32_e32 v24, v27, v5
	v_and_b32_e32 v5, 0x7f800000, v24
	v_cmp_ne_u32_e64 s[2:3], s38, v5
                                        ; implicit-def: $vgpr5
	s_and_saveexec_b64 s[4:5], s[2:3]
	s_xor_b64 s[2:3], exec, s[4:5]
; %bb.457:                              ;   in Loop: Header=BB332_202 Depth=1
	v_bfe_u32 v5, v24, 16, 1
	v_add3_u32 v5, v24, v5, s39
                                        ; implicit-def: $vgpr24
; %bb.458:                              ;   in Loop: Header=BB332_202 Depth=1
	s_andn2_saveexec_b64 s[4:5], s[2:3]
; %bb.459:                              ;   in Loop: Header=BB332_202 Depth=1
	v_or_b32_e32 v5, 0x10000, v24
	v_cmp_eq_u32_sdwa s[2:3], v24, v17 src0_sel:WORD_0 src1_sel:DWORD
	v_cndmask_b32_e64 v5, v5, v24, s[2:3]
; %bb.460:                              ;   in Loop: Header=BB332_202 Depth=1
	s_or_b64 exec, exec, s[4:5]
	v_lshlrev_b32_e32 v2, 16, v2
	v_mul_f32_e32 v2, v28, v2
	v_and_b32_e32 v24, 0x7f800000, v2
	v_cmp_ne_u32_e64 s[2:3], s38, v24
                                        ; implicit-def: $vgpr24
	s_and_saveexec_b64 s[4:5], s[2:3]
	s_xor_b64 s[2:3], exec, s[4:5]
; %bb.461:                              ;   in Loop: Header=BB332_202 Depth=1
	v_bfe_u32 v24, v2, 16, 1
	v_add3_u32 v24, v2, v24, s39
                                        ; implicit-def: $vgpr2
; %bb.462:                              ;   in Loop: Header=BB332_202 Depth=1
	s_andn2_saveexec_b64 s[4:5], s[2:3]
	s_cbranch_execz .LBB332_199
; %bb.463:                              ;   in Loop: Header=BB332_202 Depth=1
	v_or_b32_e32 v24, 0x10000, v2
	v_cmp_eq_u32_sdwa s[2:3], v2, v17 src0_sel:WORD_0 src1_sel:DWORD
	v_cndmask_b32_e64 v24, v24, v2, s[2:3]
	s_branch .LBB332_199
.LBB332_464:
	s_or_b64 exec, exec, s[20:21]
.LBB332_465:
	s_or_b64 exec, exec, s[6:7]
	v_and_b32_e32 v2, 0x3c0, v0
	v_cmp_eq_u32_e32 vcc, 64, v2
	s_barrier
	s_and_saveexec_b64 s[2:3], vcc
	s_cbranch_execz .LBB332_468
; %bb.466:
	v_mov_b32_e32 v2, 0x100
	v_lshl_add_u32 v3, v15, 2, v2
	ds_write_b32 v3, v12
	s_and_b64 exec, exec, s[0:1]
	s_cbranch_execz .LBB332_468
; %bb.467:
	v_lshl_add_u32 v2, v0, 2, v2
	ds_write_b32 v2, v13
.LBB332_468:
	s_or_b64 exec, exec, s[2:3]
	v_cmp_gt_u32_e32 vcc, 64, v0
	v_or_b32_e32 v2, 64, v0
	s_waitcnt lgkmcnt(0)
	s_barrier
	s_and_saveexec_b64 s[2:3], vcc
	s_cbranch_execz .LBB332_472
; %bb.469:
	v_mov_b32_e32 v3, 0x100
	v_lshl_add_u32 v3, v0, 2, v3
	ds_read_b32 v0, v3
	s_movk_i32 s0, 0x78
	v_cmp_gt_u32_e64 s[0:1], s0, v2
	s_and_saveexec_b64 s[4:5], s[0:1]
	s_cbranch_execz .LBB332_471
; %bb.470:
	ds_read_b32 v3, v3 offset:256
	s_waitcnt lgkmcnt(0)
	v_add_f32_e32 v13, v13, v3
.LBB332_471:
	s_or_b64 exec, exec, s[4:5]
	s_waitcnt lgkmcnt(0)
	v_add_f32_e32 v12, v12, v0
.LBB332_472:
	s_or_b64 exec, exec, s[2:3]
	s_barrier
	s_and_saveexec_b64 s[0:1], vcc
	s_cbranch_execz .LBB332_483
; %bb.473:
	s_mov_b32 s0, 0x7f800000
	v_and_b32_e32 v0, 0x7f800000, v12
	v_cmp_ne_u32_e32 vcc, s0, v0
                                        ; implicit-def: $vgpr0
	s_and_saveexec_b64 s[0:1], vcc
	s_xor_b64 s[0:1], exec, s[0:1]
; %bb.474:
	v_bfe_u32 v0, v12, 16, 1
	s_movk_i32 s2, 0x7fff
	v_add3_u32 v0, v12, v0, s2
; %bb.475:
	s_andn2_saveexec_b64 s[0:1], s[0:1]
; %bb.476:
	v_mov_b32_e32 v0, 0
	v_or_b32_e32 v3, 0x10000, v12
	v_cmp_eq_u32_sdwa vcc, v12, v0 src0_sel:WORD_0 src1_sel:DWORD
	v_cndmask_b32_e32 v0, v3, v12, vcc
; %bb.477:
	s_or_b64 exec, exec, s[0:1]
	s_mul_i32 s0, s10, 0x78
	s_ashr_i32 s1, s0, 31
	s_lshl_b64 s[0:1], s[0:1], 1
	s_add_u32 s3, s34, s0
	s_mul_i32 s0, s15, s14
	s_addc_u32 s4, s35, s1
	s_ashr_i32 s1, s0, 31
	s_lshl_b64 s[0:1], s[0:1], 1
	s_add_u32 s3, s3, s0
	s_mul_i32 s0, s8, 0x78
	s_addc_u32 s4, s4, s1
	s_ashr_i32 s1, s0, 31
	s_lshl_b64 s[0:1], s[0:1], 1
	s_movk_i32 s2, 0x78
	s_add_u32 s0, s3, s0
	s_addc_u32 s1, s4, s1
	v_cmp_gt_u32_e32 vcc, s2, v2
	global_store_short_d16_hi v1, v0, s[0:1]
	s_and_b64 exec, exec, vcc
	s_cbranch_execz .LBB332_483
; %bb.478:
	v_mov_b32_e32 v2, s1
	v_add_co_u32_e32 v0, vcc, s0, v1
	v_addc_co_u32_e32 v1, vcc, 0, v2, vcc
	s_mov_b32 s0, 0x7f800000
	v_and_b32_e32 v2, 0x7f800000, v13
	v_cmp_ne_u32_e32 vcc, s0, v2
                                        ; implicit-def: $vgpr2
	s_and_saveexec_b64 s[0:1], vcc
	s_xor_b64 s[0:1], exec, s[0:1]
; %bb.479:
	v_bfe_u32 v2, v13, 16, 1
	s_movk_i32 s2, 0x7fff
	v_add3_u32 v2, v13, v2, s2
                                        ; implicit-def: $vgpr13
; %bb.480:
	s_andn2_saveexec_b64 s[0:1], s[0:1]
; %bb.481:
	v_mov_b32_e32 v2, 0
	v_or_b32_e32 v3, 0x10000, v13
	v_cmp_eq_u32_sdwa vcc, v13, v2 src0_sel:WORD_0 src1_sel:DWORD
	v_cndmask_b32_e32 v2, v3, v13, vcc
; %bb.482:
	s_or_b64 exec, exec, s[0:1]
	global_store_short_d16_hi v[0:1], v2, off offset:128
.LBB332_483:
	s_endpgm
	.section	.rodata,"a",@progbits
	.p2align	6, 0x0
	.amdhsa_kernel _ZN4vllm25paged_attention_v2_kernelI14__hip_bfloat16hLi120ELi8ELi128ELNS_18Fp8KVCacheDataTypeE1ELb1ELi512EEEvPfS3_PT_PKS4_PKT0_SA_ifPKiSC_iPKfiiiSE_SE_iiiii
		.amdhsa_group_segment_fixed_size 256
		.amdhsa_private_segment_fixed_size 0
		.amdhsa_kernarg_size 400
		.amdhsa_user_sgpr_count 6
		.amdhsa_user_sgpr_private_segment_buffer 1
		.amdhsa_user_sgpr_dispatch_ptr 0
		.amdhsa_user_sgpr_queue_ptr 0
		.amdhsa_user_sgpr_kernarg_segment_ptr 1
		.amdhsa_user_sgpr_dispatch_id 0
		.amdhsa_user_sgpr_flat_scratch_init 0
		.amdhsa_user_sgpr_kernarg_preload_length 0
		.amdhsa_user_sgpr_kernarg_preload_offset 0
		.amdhsa_user_sgpr_private_segment_size 0
		.amdhsa_uses_dynamic_stack 0
		.amdhsa_system_sgpr_private_segment_wavefront_offset 0
		.amdhsa_system_sgpr_workgroup_id_x 1
		.amdhsa_system_sgpr_workgroup_id_y 1
		.amdhsa_system_sgpr_workgroup_id_z 1
		.amdhsa_system_sgpr_workgroup_info 0
		.amdhsa_system_vgpr_workitem_id 0
		.amdhsa_next_free_vgpr 56
		.amdhsa_next_free_sgpr 67
		.amdhsa_accum_offset 56
		.amdhsa_reserve_vcc 1
		.amdhsa_reserve_flat_scratch 0
		.amdhsa_float_round_mode_32 0
		.amdhsa_float_round_mode_16_64 0
		.amdhsa_float_denorm_mode_32 3
		.amdhsa_float_denorm_mode_16_64 3
		.amdhsa_dx10_clamp 1
		.amdhsa_ieee_mode 1
		.amdhsa_fp16_overflow 0
		.amdhsa_tg_split 0
		.amdhsa_exception_fp_ieee_invalid_op 0
		.amdhsa_exception_fp_denorm_src 0
		.amdhsa_exception_fp_ieee_div_zero 0
		.amdhsa_exception_fp_ieee_overflow 0
		.amdhsa_exception_fp_ieee_underflow 0
		.amdhsa_exception_fp_ieee_inexact 0
		.amdhsa_exception_int_div_zero 0
	.end_amdhsa_kernel
	.section	.text._ZN4vllm25paged_attention_v2_kernelI14__hip_bfloat16hLi120ELi8ELi128ELNS_18Fp8KVCacheDataTypeE1ELb1ELi512EEEvPfS3_PT_PKS4_PKT0_SA_ifPKiSC_iPKfiiiSE_SE_iiiii,"axG",@progbits,_ZN4vllm25paged_attention_v2_kernelI14__hip_bfloat16hLi120ELi8ELi128ELNS_18Fp8KVCacheDataTypeE1ELb1ELi512EEEvPfS3_PT_PKS4_PKT0_SA_ifPKiSC_iPKfiiiSE_SE_iiiii,comdat
.Lfunc_end332:
	.size	_ZN4vllm25paged_attention_v2_kernelI14__hip_bfloat16hLi120ELi8ELi128ELNS_18Fp8KVCacheDataTypeE1ELb1ELi512EEEvPfS3_PT_PKS4_PKT0_SA_ifPKiSC_iPKfiiiSE_SE_iiiii, .Lfunc_end332-_ZN4vllm25paged_attention_v2_kernelI14__hip_bfloat16hLi120ELi8ELi128ELNS_18Fp8KVCacheDataTypeE1ELb1ELi512EEEvPfS3_PT_PKS4_PKT0_SA_ifPKiSC_iPKfiiiSE_SE_iiiii
                                        ; -- End function
	.section	.AMDGPU.csdata,"",@progbits
; Kernel info:
; codeLenInByte = 15276
; NumSgprs: 71
; NumVgprs: 56
; NumAgprs: 0
; TotalNumVgprs: 56
; ScratchSize: 0
; MemoryBound: 0
; FloatMode: 240
; IeeeMode: 1
; LDSByteSize: 256 bytes/workgroup (compile time only)
; SGPRBlocks: 8
; VGPRBlocks: 6
; NumSGPRsForWavesPerEU: 71
; NumVGPRsForWavesPerEU: 56
; AccumOffset: 56
; Occupancy: 8
; WaveLimiterHint : 1
; COMPUTE_PGM_RSRC2:SCRATCH_EN: 0
; COMPUTE_PGM_RSRC2:USER_SGPR: 6
; COMPUTE_PGM_RSRC2:TRAP_HANDLER: 0
; COMPUTE_PGM_RSRC2:TGID_X_EN: 1
; COMPUTE_PGM_RSRC2:TGID_Y_EN: 1
; COMPUTE_PGM_RSRC2:TGID_Z_EN: 1
; COMPUTE_PGM_RSRC2:TIDIG_COMP_CNT: 0
; COMPUTE_PGM_RSRC3_GFX90A:ACCUM_OFFSET: 13
; COMPUTE_PGM_RSRC3_GFX90A:TG_SPLIT: 0
	.section	.text._ZN4vllm25paged_attention_v2_kernelI14__hip_bfloat16hLi128ELi8ELi128ELNS_18Fp8KVCacheDataTypeE1ELb1ELi512EEEvPfS3_PT_PKS4_PKT0_SA_ifPKiSC_iPKfiiiSE_SE_iiiii,"axG",@progbits,_ZN4vllm25paged_attention_v2_kernelI14__hip_bfloat16hLi128ELi8ELi128ELNS_18Fp8KVCacheDataTypeE1ELb1ELi512EEEvPfS3_PT_PKS4_PKT0_SA_ifPKiSC_iPKfiiiSE_SE_iiiii,comdat
	.protected	_ZN4vllm25paged_attention_v2_kernelI14__hip_bfloat16hLi128ELi8ELi128ELNS_18Fp8KVCacheDataTypeE1ELb1ELi512EEEvPfS3_PT_PKS4_PKT0_SA_ifPKiSC_iPKfiiiSE_SE_iiiii ; -- Begin function _ZN4vllm25paged_attention_v2_kernelI14__hip_bfloat16hLi128ELi8ELi128ELNS_18Fp8KVCacheDataTypeE1ELb1ELi512EEEvPfS3_PT_PKS4_PKT0_SA_ifPKiSC_iPKfiiiSE_SE_iiiii
	.globl	_ZN4vllm25paged_attention_v2_kernelI14__hip_bfloat16hLi128ELi8ELi128ELNS_18Fp8KVCacheDataTypeE1ELb1ELi512EEEvPfS3_PT_PKS4_PKT0_SA_ifPKiSC_iPKfiiiSE_SE_iiiii
	.p2align	8
	.type	_ZN4vllm25paged_attention_v2_kernelI14__hip_bfloat16hLi128ELi8ELi128ELNS_18Fp8KVCacheDataTypeE1ELb1ELi512EEEvPfS3_PT_PKS4_PKT0_SA_ifPKiSC_iPKfiiiSE_SE_iiiii,@function
_ZN4vllm25paged_attention_v2_kernelI14__hip_bfloat16hLi128ELi8ELi128ELNS_18Fp8KVCacheDataTypeE1ELb1ELi512EEEvPfS3_PT_PKS4_PKT0_SA_ifPKiSC_iPKfiiiSE_SE_iiiii: ; @_ZN4vllm25paged_attention_v2_kernelI14__hip_bfloat16hLi128ELi8ELi128ELNS_18Fp8KVCacheDataTypeE1ELb1ELi512EEEvPfS3_PT_PKS4_PKT0_SA_ifPKiSC_iPKfiiiSE_SE_iiiii
; %bb.0:
	s_load_dwordx2 s[0:1], s[4:5], 0x40
	s_mov_b32 s34, s7
	s_ashr_i32 s35, s7, 31
	s_lshl_b64 s[2:3], s[34:35], 2
	s_waitcnt lgkmcnt(0)
	s_add_u32 s0, s0, s2
	s_addc_u32 s1, s1, s3
	s_load_dword s33, s[0:1], 0x0
	s_lshl_b32 s54, s8, 9
	s_waitcnt lgkmcnt(0)
	s_cmp_ge_i32 s54, s33
	s_cbranch_scc1 .LBB333_487
; %bb.1:
	s_load_dword s9, s[4:5], 0x90
	s_load_dwordx2 s[42:43], s[4:5], 0x30
	s_mov_b32 s55, 0
	s_waitcnt lgkmcnt(0)
	s_abs_i32 s2, s9
	s_abs_i32 s0, s42
	v_cvt_f32_u32_e32 v1, s0
	s_sub_i32 s3, 0, s0
	s_xor_b32 s1, s9, s42
	s_ashr_i32 s1, s1, 31
	v_rcp_iflag_f32_e32 v1, v1
	v_mul_f32_e32 v1, 0x4f7ffffe, v1
	v_cvt_u32_f32_e32 v1, v1
	v_readfirstlane_b32 s7, v1
	s_mul_i32 s3, s3, s7
	s_mul_hi_u32 s3, s7, s3
	s_add_i32 s7, s7, s3
	s_mul_hi_u32 s3, s2, s7
	s_mul_i32 s7, s3, s0
	s_sub_i32 s2, s2, s7
	s_add_i32 s10, s3, 1
	s_sub_i32 s7, s2, s0
	s_cmp_ge_u32 s2, s0
	s_cselect_b32 s3, s10, s3
	s_cselect_b32 s2, s7, s2
	s_add_i32 s7, s3, 1
	s_cmp_ge_u32 s2, s0
	s_cselect_b32 s0, s7, s3
	s_xor_b32 s0, s0, s1
	s_sub_i32 s11, s0, s1
	s_abs_i32 s2, s11
	v_cvt_f32_u32_e32 v1, s2
	s_load_dwordx2 s[0:1], s[4:5], 0x50
	s_sub_i32 s7, 0, s2
	s_abs_i32 s3, s6
	v_rcp_iflag_f32_e32 v1, v1
	v_mul_f32_e32 v1, 0x4f7ffffe, v1
	v_cvt_u32_f32_e32 v1, v1
	v_readfirstlane_b32 s10, v1
	s_mul_i32 s7, s7, s10
	s_mul_hi_u32 s7, s10, s7
	s_add_i32 s10, s10, s7
	s_waitcnt lgkmcnt(0)
	s_cmp_eq_u64 s[0:1], 0
	s_mul_hi_u32 s10, s3, s10
	s_cbranch_scc1 .LBB333_3
; %bb.2:
	s_ashr_i32 s7, s6, 31
	s_lshl_b64 s[12:13], s[6:7], 2
	s_add_u32 s0, s0, s12
	s_addc_u32 s1, s1, s13
	s_load_dword s55, s[0:1], 0x0
.LBB333_3:
	s_load_dwordx4 s[16:19], s[4:5], 0x58
	s_movk_i32 s0, 0x80
	s_ashr_i32 s7, s6, 31
	s_ashr_i32 s11, s11, 31
	v_and_b32_e32 v12, 7, v0
	s_lshl_b32 s28, s6, 7
	v_cmp_gt_u32_e32 vcc, s0, v0
	v_lshlrev_b32_e32 v21, 1, v0
	s_and_saveexec_b64 s[0:1], vcc
	s_cbranch_execz .LBB333_5
; %bb.4:
	s_load_dwordx2 s[12:13], s[4:5], 0x18
	s_waitcnt lgkmcnt(0)
	s_mul_i32 s14, s34, s16
	s_ashr_i32 s15, s14, 31
	s_lshl_b64 s[14:15], s[14:15], 1
	v_lshrrev_b32_e32 v2, 2, v0
	s_add_u32 s14, s12, s14
	s_addc_u32 s15, s13, s15
	s_ashr_i32 s29, s28, 31
	s_lshl_b64 s[12:13], s[28:29], 1
	s_add_u32 s12, s14, s12
	s_addc_u32 s13, s15, s13
	global_load_ushort v1, v21, s[12:13]
	v_and_b32_e32 v2, 0xfe, v2
	v_lshl_add_u32 v2, v12, 5, v2
	s_waitcnt vmcnt(0)
	ds_write_b16 v2, v1
.LBB333_5:
	s_or_b64 exec, exec, s[0:1]
	s_mul_i32 s1, s10, s2
	s_sub_i32 s1, s3, s1
	s_xor_b32 s0, s7, s11
	s_add_i32 s3, s10, 1
	s_sub_i32 s7, s1, s2
	s_load_dwordx4 s[20:23], s[4:5], 0x78
	s_cmp_ge_u32 s1, s2
	s_cselect_b32 s3, s3, s10
	s_load_dword s10, s[4:5], 0x88
	s_cselect_b32 s1, s7, s1
	s_add_i32 s7, s3, 1
	s_cmp_ge_u32 s1, s2
	s_cselect_b32 s1, s7, s3
	s_waitcnt lgkmcnt(0)
	s_abs_i32 s29, s23
	v_cvt_f32_u32_e32 v1, s29
	s_xor_b32 s1, s1, s0
	s_sub_i32 s2, s1, s0
	s_sub_i32 s0, 0, s29
	v_rcp_iflag_f32_e32 v1, v1
	s_add_i32 s11, s33, -1
	s_abs_i32 s3, s11
	v_mul_f32_e32 v1, 0x4f7ffffe, v1
	v_cvt_u32_f32_e32 v1, v1
	s_barrier
	v_readfirstlane_b32 s35, v1
	s_mul_i32 s0, s0, s35
	s_mul_hi_u32 s0, s35, s0
	s_add_i32 s35, s35, s0
	s_cmp_lt_i32 s10, 0
	s_mul_hi_u32 s7, s3, s35
	s_cbranch_scc0 .LBB333_7
; %bb.6:
	s_mul_i32 s0, s20, s42
	s_add_i32 s0, s2, s0
	s_mul_i32 s0, s0, s10
	s_sub_i32 s42, 1, s0
	s_mov_b64 s[0:1], 0
	s_branch .LBB333_8
.LBB333_7:
	s_mov_b64 s[0:1], -1
                                        ; implicit-def: $sgpr42
.LBB333_8:
	s_load_dwordx2 s[36:37], s[4:5], 0x38
	s_ashr_i32 s11, s11, 31
	s_andn2_b64 vcc, exec, s[0:1]
	s_ashr_i32 s52, s23, 31
	s_cbranch_vccnz .LBB333_10
; %bb.9:
	s_mul_i32 s0, s9, s20
	s_add_i32 s0, s0, s6
	s_mul_i32 s0, s0, s10
	s_add_i32 s42, s0, 1
.LBB333_10:
	s_load_dwordx2 s[40:41], s[4:5], 0x28
	s_load_dword s0, s[4:5], 0x48
	s_load_dwordx4 s[24:27], s[4:5], 0x0
	s_load_dwordx2 s[30:31], s[4:5], 0x10
	s_load_dword s23, s[4:5], 0x98
	s_load_dwordx4 s[12:15], s[4:5], 0x68
	s_mul_i32 s1, s7, s29
	s_waitcnt lgkmcnt(0)
	s_mul_i32 s38, s34, s0
	s_sub_i32 s1, s3, s1
	s_ashr_i32 s39, s38, 31
	s_xor_b32 s0, s11, s52
	s_add_i32 s3, s7, 1
	s_sub_i32 s10, s1, s29
	s_cmp_ge_u32 s1, s29
	s_cselect_b32 s3, s3, s7
	s_cselect_b32 s1, s10, s1
	s_add_i32 s7, s3, 1
	s_cmp_ge_u32 s1, s29
	s_cselect_b32 s1, s7, s3
	s_xor_b32 s1, s1, s0
	s_sub_i32 s7, s1, s0
	s_add_i32 s0, s33, 7
	s_ashr_i32 s1, s0, 31
	s_lshr_b32 s1, s1, 29
	s_add_i32 s0, s0, s1
	s_lshl_b32 s56, s8, 6
	s_ashr_i32 s16, s0, 3
	s_add_i32 s0, s56, 64
	v_lshrrev_b32_e32 v23, 6, v0
	s_min_i32 s53, s0, s16
	v_or_b32_e32 v10, s56, v23
	v_cmp_gt_i32_e64 s[0:1], s53, v10
	v_mov_b32_e32 v27, 0xff7fffff
	s_mul_i32 s20, s2, s18
	v_ashrrev_i32_e32 v11, 31, v10
	v_lshl_add_u32 v1, v23, 3, s54
	v_mbcnt_lo_u32_b32 v13, -1, 0
	s_and_saveexec_b64 s[18:19], s[0:1]
	s_cbranch_execz .LBB333_180
; %bb.11:
	s_load_dwordx2 s[2:3], s[4:5], 0x20
	s_sub_i32 s57, s7, s21
	s_ashr_i32 s4, s20, 31
	v_bfe_u32 v22, v0, 3, 3
	v_lshlrev_b32_e32 v3, 4, v22
	s_waitcnt lgkmcnt(0)
	s_add_u32 s2, s2, s20
	s_addc_u32 s3, s3, s4
	s_abs_i32 s59, s22
	v_cvt_f32_u32_e32 v2, s59
	s_sub_i32 s4, 0, s59
	v_mov_b32_e32 v4, s3
	v_add_co_u32_e64 v14, s[2:3], s2, v3
	v_rcp_iflag_f32_e32 v2, v2
	v_addc_co_u32_e64 v15, s[2:3], 0, v4, s[2:3]
	v_cmp_eq_u32_e32 vcc, 0, v12
	v_mul_f32_e32 v2, 0x4f7ffffe, v2
	v_cvt_u32_f32_e32 v2, v2
	s_mov_b32 s58, s17
	v_mov_b32_e32 v24, 0
	v_lshlrev_b32_e32 v25, 5, v12
	v_mul_lo_u32 v3, s4, v2
	s_lshl_b64 s[4:5], s[38:39], 2
	v_mul_hi_u32 v3, v2, v3
	s_add_u32 s4, s36, s4
	v_add_u32_e32 v26, v2, v3
	v_lshlrev_b64 v[2:3], 2, v[10:11]
	s_addc_u32 s5, s37, s5
	v_mov_b32_e32 v4, s5
	v_add_co_u32_e64 v16, s[4:5], s4, v2
	v_lshlrev_b32_e32 v2, 2, v22
	v_lshl_or_b32 v2, v23, 5, v2
	v_add_u32_e32 v29, 0x110, v2
	v_subrev_u32_e32 v2, s33, v22
	v_cmp_neq_f32_e64 s[2:3], s55, 0
	v_addc_co_u32_e64 v17, s[4:5], v4, v3, s[4:5]
	v_lshl_add_u32 v28, v23, 3, s54
	v_add_u32_e32 v30, 1, v2
	s_mov_b64 s[44:45], 0
	v_mov_b32_e32 v31, 0xff7fffff
	s_movk_i32 s60, 0x80
	s_movk_i32 s61, 0x7f
	s_mov_b32 s62, 0x7f800000
	s_movk_i32 s63, 0x7fff
	v_bfrev_b32_e32 v32, 60
	v_mbcnt_hi_u32_b32 v33, -1, v13
	v_mov_b32_e32 v27, 0xff7fffff
	v_mov_b32_e32 v34, v10
	s_branch .LBB333_14
.LBB333_12:                             ;   in Loop: Header=BB333_14 Depth=1
	s_or_b64 exec, exec, s[46:47]
.LBB333_13:                             ;   in Loop: Header=BB333_14 Depth=1
	s_or_b64 exec, exec, s[10:11]
	v_add_co_u32_e64 v16, s[4:5], 8, v16
	v_add_u32_e32 v34, 2, v34
	v_addc_co_u32_e64 v17, s[4:5], 0, v17, s[4:5]
	v_cmp_le_i32_e64 s[4:5], s53, v34
	v_add_u32_e32 v28, 16, v28
	s_or_b64 s[44:45], s[4:5], s[44:45]
	v_add_u32_e32 v29, 64, v29
	s_andn2_b64 exec, exec, s[44:45]
	s_cbranch_execz .LBB333_179
.LBB333_14:                             ; =>This Inner Loop Header: Depth=1
	s_waitcnt lgkmcnt(0)
	v_sub_u32_e32 v3, 0, v28
	v_max_i32_e32 v3, v28, v3
	v_mul_hi_u32 v4, v3, s35
	v_mul_lo_u32 v5, v4, s29
	v_sub_u32_e32 v3, v3, v5
	v_add_u32_e32 v5, 1, v4
	v_cmp_le_u32_e64 s[4:5], s29, v3
	v_cndmask_b32_e64 v4, v4, v5, s[4:5]
	v_subrev_u32_e32 v5, s29, v3
	v_cndmask_b32_e64 v3, v3, v5, s[4:5]
	v_ashrrev_i32_e32 v2, 31, v28
	v_add_u32_e32 v5, 1, v4
	v_cmp_le_u32_e64 s[4:5], s29, v3
	v_xor_b32_e32 v2, s52, v2
	v_cndmask_b32_e64 v3, v4, v5, s[4:5]
	v_xor_b32_e32 v3, v3, v2
	v_sub_u32_e32 v2, v3, v2
	v_add_u32_e32 v3, s42, v2
	v_sub_u32_e32 v5, 0, v3
	v_ashrrev_i32_e32 v4, 31, v3
	v_max_i32_e32 v3, v3, v5
	v_mul_hi_u32 v5, v3, v26
	v_mul_lo_u32 v5, v5, s59
	v_sub_u32_e32 v3, v3, v5
	v_subrev_u32_e32 v5, s59, v3
	v_cmp_le_u32_e64 s[4:5], s59, v3
	v_cndmask_b32_e64 v3, v3, v5, s[4:5]
	v_subrev_u32_e32 v5, s59, v3
	v_cmp_le_u32_e64 s[4:5], s59, v3
	v_cndmask_b32_e64 v3, v3, v5, s[4:5]
	v_xor_b32_e32 v3, v3, v4
	v_sub_u32_e32 v3, v3, v4
	v_cmp_ne_u32_e64 s[4:5], 0, v3
	v_cmp_ge_i32_e64 s[10:11], s57, v2
	s_and_b64 s[4:5], s[4:5], s[10:11]
	s_and_b64 s[46:47], vcc, s[4:5]
	s_and_saveexec_b64 s[10:11], s[46:47]
	s_cbranch_execz .LBB333_16
; %bb.15:                               ;   in Loop: Header=BB333_14 Depth=1
	ds_write_b32 v29, v31
.LBB333_16:                             ;   in Loop: Header=BB333_14 Depth=1
	s_or_b64 exec, exec, s[10:11]
	s_xor_b64 s[4:5], s[4:5], -1
	s_and_saveexec_b64 s[10:11], s[4:5]
	s_cbranch_execz .LBB333_13
; %bb.17:                               ;   in Loop: Header=BB333_14 Depth=1
	global_load_dword v2, v[16:17], off
	v_mov_b32_e32 v36, 0
	s_waitcnt vmcnt(0)
	v_mad_i64_i32 v[2:3], s[4:5], v2, s58, v[14:15]
	v_add_co_u32_e64 v18, s[4:5], v2, v12
	v_addc_co_u32_e64 v19, s[4:5], 0, v3, s[4:5]
	global_load_ubyte v35, v[18:19], off
	ds_read_b128 v[6:9], v25
	ds_read_b128 v[2:5], v25 offset:16
	s_load_dword s64, s[12:13], 0x0
	s_waitcnt vmcnt(0)
	v_cmp_ne_u16_e64 s[4:5], 0, v35
	s_and_saveexec_b64 s[46:47], s[4:5]
	s_cbranch_execz .LBB333_23
; %bb.18:                               ;   in Loop: Header=BB333_14 Depth=1
	v_cmp_ne_u16_e64 s[4:5], s60, v35
	v_bfrev_b32_e32 v36, 1
	s_and_saveexec_b64 s[48:49], s[4:5]
	s_cbranch_execz .LBB333_22
; %bb.19:                               ;   in Loop: Header=BB333_14 Depth=1
	v_and_b32_e32 v20, 0xffff, v35
	v_and_b32_e32 v37, 0x7f, v20
	v_cmp_ne_u32_e64 s[4:5], s61, v37
	v_mov_b32_e32 v36, 0x7f800001
	s_and_saveexec_b64 s[50:51], s[4:5]
	s_cbranch_execz .LBB333_21
; %bb.20:                               ;   in Loop: Header=BB333_14 Depth=1
	v_and_b32_e32 v36, 7, v20
	v_ffbh_u32_e32 v38, v36
	v_min_u32_e32 v41, 32, v38
	v_subrev_u32_e32 v38, 28, v41
	v_lshlrev_b64 v[38:39], v38, v[20:21]
	v_lshrrev_b32_e32 v40, 3, v37
	v_sub_u32_e32 v20, 29, v41
	v_and_b32_e32 v38, 7, v38
	v_cmp_gt_u32_e64 s[4:5], 8, v37
	v_cndmask_b32_e64 v20, v40, v20, s[4:5]
	v_cndmask_b32_e64 v36, v36, v38, s[4:5]
	v_lshlrev_b32_e32 v35, 24, v35
	v_lshlrev_b32_e32 v36, 20, v36
	v_and_b32_e32 v35, 0x80000000, v35
	v_lshl_add_u32 v20, v20, 23, v32
	v_or3_b32 v36, v35, v20, v36
.LBB333_21:                             ;   in Loop: Header=BB333_14 Depth=1
	s_or_b64 exec, exec, s[50:51]
.LBB333_22:                             ;   in Loop: Header=BB333_14 Depth=1
	s_or_b64 exec, exec, s[48:49]
.LBB333_23:                             ;   in Loop: Header=BB333_14 Depth=1
	s_or_b64 exec, exec, s[46:47]
	s_waitcnt lgkmcnt(0)
	v_mul_f32_e32 v20, s64, v36
	v_and_b32_e32 v35, 0x7f800000, v20
	v_cmp_ne_u32_e64 s[4:5], s62, v35
                                        ; implicit-def: $vgpr35
	s_and_saveexec_b64 s[46:47], s[4:5]
	s_xor_b64 s[4:5], exec, s[46:47]
; %bb.24:                               ;   in Loop: Header=BB333_14 Depth=1
	v_bfe_u32 v35, v20, 16, 1
	v_add3_u32 v35, v20, v35, s63
                                        ; implicit-def: $vgpr20
; %bb.25:                               ;   in Loop: Header=BB333_14 Depth=1
	s_andn2_saveexec_b64 s[46:47], s[4:5]
; %bb.26:                               ;   in Loop: Header=BB333_14 Depth=1
	v_or_b32_e32 v35, 0x10000, v20
	v_cmp_eq_u32_sdwa s[4:5], v20, v24 src0_sel:WORD_0 src1_sel:DWORD
	v_cndmask_b32_e64 v35, v35, v20, s[4:5]
; %bb.27:                               ;   in Loop: Header=BB333_14 Depth=1
	s_or_b64 exec, exec, s[46:47]
	global_load_ubyte v36, v[18:19], off offset:8
	v_mov_b32_e32 v37, 0
	s_waitcnt vmcnt(0)
	v_cmp_ne_u16_e64 s[4:5], 0, v36
	s_and_saveexec_b64 s[46:47], s[4:5]
	s_cbranch_execz .LBB333_33
; %bb.28:                               ;   in Loop: Header=BB333_14 Depth=1
	v_cmp_ne_u16_e64 s[4:5], s60, v36
	v_bfrev_b32_e32 v37, 1
	s_and_saveexec_b64 s[48:49], s[4:5]
	s_cbranch_execz .LBB333_32
; %bb.29:                               ;   in Loop: Header=BB333_14 Depth=1
	v_and_b32_e32 v20, 0xffff, v36
	v_and_b32_e32 v38, 0x7f, v20
	v_cmp_ne_u32_e64 s[4:5], s61, v38
	v_mov_b32_e32 v37, 0x7f800001
	s_and_saveexec_b64 s[50:51], s[4:5]
	s_cbranch_execz .LBB333_31
; %bb.30:                               ;   in Loop: Header=BB333_14 Depth=1
	v_and_b32_e32 v37, 7, v20
	v_ffbh_u32_e32 v40, v37
	v_min_u32_e32 v42, 32, v40
	v_subrev_u32_e32 v40, 28, v42
	v_lshlrev_b64 v[40:41], v40, v[20:21]
	v_lshrrev_b32_e32 v39, 3, v38
	v_sub_u32_e32 v20, 29, v42
	v_and_b32_e32 v40, 7, v40
	v_cmp_gt_u32_e64 s[4:5], 8, v38
	v_cndmask_b32_e64 v20, v39, v20, s[4:5]
	v_cndmask_b32_e64 v37, v37, v40, s[4:5]
	v_lshlrev_b32_e32 v36, 24, v36
	v_lshlrev_b32_e32 v37, 20, v37
	v_and_b32_e32 v36, 0x80000000, v36
	v_lshl_add_u32 v20, v20, 23, v32
	v_or3_b32 v37, v36, v20, v37
.LBB333_31:                             ;   in Loop: Header=BB333_14 Depth=1
	s_or_b64 exec, exec, s[50:51]
.LBB333_32:                             ;   in Loop: Header=BB333_14 Depth=1
	s_or_b64 exec, exec, s[48:49]
.LBB333_33:                             ;   in Loop: Header=BB333_14 Depth=1
	s_or_b64 exec, exec, s[46:47]
	v_mul_f32_e32 v20, s64, v37
	v_and_b32_e32 v36, 0x7f800000, v20
	v_cmp_ne_u32_e64 s[4:5], s62, v36
                                        ; implicit-def: $vgpr36
	s_and_saveexec_b64 s[46:47], s[4:5]
	s_xor_b64 s[4:5], exec, s[46:47]
; %bb.34:                               ;   in Loop: Header=BB333_14 Depth=1
	v_bfe_u32 v36, v20, 16, 1
	v_add3_u32 v36, v20, v36, s63
                                        ; implicit-def: $vgpr20
; %bb.35:                               ;   in Loop: Header=BB333_14 Depth=1
	s_andn2_saveexec_b64 s[46:47], s[4:5]
; %bb.36:                               ;   in Loop: Header=BB333_14 Depth=1
	v_or_b32_e32 v36, 0x10000, v20
	v_cmp_eq_u32_sdwa s[4:5], v20, v24 src0_sel:WORD_0 src1_sel:DWORD
	v_cndmask_b32_e64 v36, v36, v20, s[4:5]
; %bb.37:                               ;   in Loop: Header=BB333_14 Depth=1
	s_or_b64 exec, exec, s[46:47]
	global_load_ubyte v37, v[18:19], off offset:128
	v_mov_b32_e32 v38, 0
	s_waitcnt vmcnt(0)
	v_cmp_ne_u16_e64 s[4:5], 0, v37
	s_and_saveexec_b64 s[46:47], s[4:5]
	s_cbranch_execz .LBB333_43
; %bb.38:                               ;   in Loop: Header=BB333_14 Depth=1
	v_cmp_ne_u16_e64 s[4:5], s60, v37
	v_bfrev_b32_e32 v38, 1
	s_and_saveexec_b64 s[48:49], s[4:5]
	s_cbranch_execz .LBB333_42
; %bb.39:                               ;   in Loop: Header=BB333_14 Depth=1
	v_and_b32_e32 v20, 0xffff, v37
	v_and_b32_e32 v39, 0x7f, v20
	v_cmp_ne_u32_e64 s[4:5], s61, v39
	v_mov_b32_e32 v38, 0x7f800001
	s_and_saveexec_b64 s[50:51], s[4:5]
	s_cbranch_execz .LBB333_41
; %bb.40:                               ;   in Loop: Header=BB333_14 Depth=1
	v_and_b32_e32 v38, 7, v20
	v_ffbh_u32_e32 v40, v38
	v_min_u32_e32 v43, 32, v40
	v_subrev_u32_e32 v40, 28, v43
	v_lshlrev_b64 v[40:41], v40, v[20:21]
	v_lshrrev_b32_e32 v42, 3, v39
	v_sub_u32_e32 v20, 29, v43
	v_and_b32_e32 v40, 7, v40
	v_cmp_gt_u32_e64 s[4:5], 8, v39
	v_cndmask_b32_e64 v20, v42, v20, s[4:5]
	v_cndmask_b32_e64 v38, v38, v40, s[4:5]
	v_lshlrev_b32_e32 v37, 24, v37
	v_lshlrev_b32_e32 v38, 20, v38
	v_and_b32_e32 v37, 0x80000000, v37
	v_lshl_add_u32 v20, v20, 23, v32
	v_or3_b32 v38, v37, v20, v38
.LBB333_41:                             ;   in Loop: Header=BB333_14 Depth=1
	s_or_b64 exec, exec, s[50:51]
.LBB333_42:                             ;   in Loop: Header=BB333_14 Depth=1
	s_or_b64 exec, exec, s[48:49]
.LBB333_43:                             ;   in Loop: Header=BB333_14 Depth=1
	s_or_b64 exec, exec, s[46:47]
	v_mul_f32_e32 v20, s64, v38
	v_and_b32_e32 v37, 0x7f800000, v20
	v_cmp_ne_u32_e64 s[4:5], s62, v37
                                        ; implicit-def: $vgpr37
	s_and_saveexec_b64 s[46:47], s[4:5]
	s_xor_b64 s[4:5], exec, s[46:47]
; %bb.44:                               ;   in Loop: Header=BB333_14 Depth=1
	v_bfe_u32 v37, v20, 16, 1
	v_add3_u32 v37, v20, v37, s63
                                        ; implicit-def: $vgpr20
; %bb.45:                               ;   in Loop: Header=BB333_14 Depth=1
	s_andn2_saveexec_b64 s[46:47], s[4:5]
; %bb.46:                               ;   in Loop: Header=BB333_14 Depth=1
	v_or_b32_e32 v37, 0x10000, v20
	v_cmp_eq_u32_sdwa s[4:5], v20, v24 src0_sel:WORD_0 src1_sel:DWORD
	v_cndmask_b32_e64 v37, v37, v20, s[4:5]
; %bb.47:                               ;   in Loop: Header=BB333_14 Depth=1
	s_or_b64 exec, exec, s[46:47]
	global_load_ubyte v38, v[18:19], off offset:136
	v_mov_b32_e32 v39, 0
	s_waitcnt vmcnt(0)
	v_cmp_ne_u16_e64 s[4:5], 0, v38
	s_and_saveexec_b64 s[46:47], s[4:5]
	s_cbranch_execz .LBB333_53
; %bb.48:                               ;   in Loop: Header=BB333_14 Depth=1
	v_cmp_ne_u16_e64 s[4:5], s60, v38
	v_bfrev_b32_e32 v39, 1
	s_and_saveexec_b64 s[48:49], s[4:5]
	s_cbranch_execz .LBB333_52
; %bb.49:                               ;   in Loop: Header=BB333_14 Depth=1
	v_and_b32_e32 v20, 0xffff, v38
	v_and_b32_e32 v40, 0x7f, v20
	v_cmp_ne_u32_e64 s[4:5], s61, v40
	v_mov_b32_e32 v39, 0x7f800001
	s_and_saveexec_b64 s[50:51], s[4:5]
	s_cbranch_execz .LBB333_51
; %bb.50:                               ;   in Loop: Header=BB333_14 Depth=1
	v_and_b32_e32 v39, 7, v20
	v_ffbh_u32_e32 v42, v39
	v_min_u32_e32 v44, 32, v42
	v_subrev_u32_e32 v42, 28, v44
	v_lshlrev_b64 v[42:43], v42, v[20:21]
	v_lshrrev_b32_e32 v41, 3, v40
	v_sub_u32_e32 v20, 29, v44
	v_and_b32_e32 v42, 7, v42
	v_cmp_gt_u32_e64 s[4:5], 8, v40
	v_cndmask_b32_e64 v20, v41, v20, s[4:5]
	v_cndmask_b32_e64 v39, v39, v42, s[4:5]
	v_lshlrev_b32_e32 v38, 24, v38
	v_lshlrev_b32_e32 v39, 20, v39
	v_and_b32_e32 v38, 0x80000000, v38
	v_lshl_add_u32 v20, v20, 23, v32
	v_or3_b32 v39, v38, v20, v39
.LBB333_51:                             ;   in Loop: Header=BB333_14 Depth=1
	s_or_b64 exec, exec, s[50:51]
.LBB333_52:                             ;   in Loop: Header=BB333_14 Depth=1
	s_or_b64 exec, exec, s[48:49]
.LBB333_53:                             ;   in Loop: Header=BB333_14 Depth=1
	s_or_b64 exec, exec, s[46:47]
	v_mul_f32_e32 v20, s64, v39
	v_and_b32_e32 v38, 0x7f800000, v20
	v_cmp_ne_u32_e64 s[4:5], s62, v38
                                        ; implicit-def: $vgpr38
	s_and_saveexec_b64 s[46:47], s[4:5]
	s_xor_b64 s[4:5], exec, s[46:47]
; %bb.54:                               ;   in Loop: Header=BB333_14 Depth=1
	v_bfe_u32 v38, v20, 16, 1
	v_add3_u32 v38, v20, v38, s63
                                        ; implicit-def: $vgpr20
; %bb.55:                               ;   in Loop: Header=BB333_14 Depth=1
	s_andn2_saveexec_b64 s[46:47], s[4:5]
; %bb.56:                               ;   in Loop: Header=BB333_14 Depth=1
	v_or_b32_e32 v38, 0x10000, v20
	v_cmp_eq_u32_sdwa s[4:5], v20, v24 src0_sel:WORD_0 src1_sel:DWORD
	v_cndmask_b32_e64 v38, v38, v20, s[4:5]
; %bb.57:                               ;   in Loop: Header=BB333_14 Depth=1
	s_or_b64 exec, exec, s[46:47]
	global_load_ubyte v39, v[18:19], off offset:256
	v_mov_b32_e32 v40, 0
	s_waitcnt vmcnt(0)
	v_cmp_ne_u16_e64 s[4:5], 0, v39
	s_and_saveexec_b64 s[46:47], s[4:5]
	s_cbranch_execz .LBB333_63
; %bb.58:                               ;   in Loop: Header=BB333_14 Depth=1
	v_cmp_ne_u16_e64 s[4:5], s60, v39
	v_bfrev_b32_e32 v40, 1
	s_and_saveexec_b64 s[48:49], s[4:5]
	s_cbranch_execz .LBB333_62
; %bb.59:                               ;   in Loop: Header=BB333_14 Depth=1
	v_and_b32_e32 v20, 0xffff, v39
	v_and_b32_e32 v41, 0x7f, v20
	v_cmp_ne_u32_e64 s[4:5], s61, v41
	v_mov_b32_e32 v40, 0x7f800001
	s_and_saveexec_b64 s[50:51], s[4:5]
	s_cbranch_execz .LBB333_61
; %bb.60:                               ;   in Loop: Header=BB333_14 Depth=1
	v_and_b32_e32 v40, 7, v20
	v_ffbh_u32_e32 v42, v40
	v_min_u32_e32 v45, 32, v42
	v_subrev_u32_e32 v42, 28, v45
	v_lshlrev_b64 v[42:43], v42, v[20:21]
	v_lshrrev_b32_e32 v44, 3, v41
	v_sub_u32_e32 v20, 29, v45
	v_and_b32_e32 v42, 7, v42
	v_cmp_gt_u32_e64 s[4:5], 8, v41
	v_cndmask_b32_e64 v20, v44, v20, s[4:5]
	v_cndmask_b32_e64 v40, v40, v42, s[4:5]
	v_lshlrev_b32_e32 v39, 24, v39
	v_lshlrev_b32_e32 v40, 20, v40
	v_and_b32_e32 v39, 0x80000000, v39
	v_lshl_add_u32 v20, v20, 23, v32
	v_or3_b32 v40, v39, v20, v40
.LBB333_61:                             ;   in Loop: Header=BB333_14 Depth=1
	s_or_b64 exec, exec, s[50:51]
.LBB333_62:                             ;   in Loop: Header=BB333_14 Depth=1
	s_or_b64 exec, exec, s[48:49]
.LBB333_63:                             ;   in Loop: Header=BB333_14 Depth=1
	s_or_b64 exec, exec, s[46:47]
	v_mul_f32_e32 v20, s64, v40
	v_and_b32_e32 v39, 0x7f800000, v20
	v_cmp_ne_u32_e64 s[4:5], s62, v39
                                        ; implicit-def: $vgpr39
	s_and_saveexec_b64 s[46:47], s[4:5]
	s_xor_b64 s[4:5], exec, s[46:47]
; %bb.64:                               ;   in Loop: Header=BB333_14 Depth=1
	v_bfe_u32 v39, v20, 16, 1
	v_add3_u32 v39, v20, v39, s63
                                        ; implicit-def: $vgpr20
; %bb.65:                               ;   in Loop: Header=BB333_14 Depth=1
	s_andn2_saveexec_b64 s[46:47], s[4:5]
; %bb.66:                               ;   in Loop: Header=BB333_14 Depth=1
	v_or_b32_e32 v39, 0x10000, v20
	v_cmp_eq_u32_sdwa s[4:5], v20, v24 src0_sel:WORD_0 src1_sel:DWORD
	v_cndmask_b32_e64 v39, v39, v20, s[4:5]
; %bb.67:                               ;   in Loop: Header=BB333_14 Depth=1
	s_or_b64 exec, exec, s[46:47]
	global_load_ubyte v40, v[18:19], off offset:264
	v_mov_b32_e32 v41, 0
	s_waitcnt vmcnt(0)
	v_cmp_ne_u16_e64 s[4:5], 0, v40
	s_and_saveexec_b64 s[46:47], s[4:5]
	s_cbranch_execz .LBB333_73
; %bb.68:                               ;   in Loop: Header=BB333_14 Depth=1
	v_cmp_ne_u16_e64 s[4:5], s60, v40
	v_bfrev_b32_e32 v41, 1
	s_and_saveexec_b64 s[48:49], s[4:5]
	s_cbranch_execz .LBB333_72
; %bb.69:                               ;   in Loop: Header=BB333_14 Depth=1
	v_and_b32_e32 v20, 0xffff, v40
	v_and_b32_e32 v42, 0x7f, v20
	v_cmp_ne_u32_e64 s[4:5], s61, v42
	v_mov_b32_e32 v41, 0x7f800001
	s_and_saveexec_b64 s[50:51], s[4:5]
	s_cbranch_execz .LBB333_71
; %bb.70:                               ;   in Loop: Header=BB333_14 Depth=1
	v_and_b32_e32 v41, 7, v20
	v_ffbh_u32_e32 v44, v41
	v_min_u32_e32 v46, 32, v44
	v_subrev_u32_e32 v44, 28, v46
	v_lshlrev_b64 v[44:45], v44, v[20:21]
	v_lshrrev_b32_e32 v43, 3, v42
	v_sub_u32_e32 v20, 29, v46
	v_and_b32_e32 v44, 7, v44
	v_cmp_gt_u32_e64 s[4:5], 8, v42
	v_cndmask_b32_e64 v20, v43, v20, s[4:5]
	v_cndmask_b32_e64 v41, v41, v44, s[4:5]
	v_lshlrev_b32_e32 v40, 24, v40
	v_lshlrev_b32_e32 v41, 20, v41
	v_and_b32_e32 v40, 0x80000000, v40
	v_lshl_add_u32 v20, v20, 23, v32
	v_or3_b32 v41, v40, v20, v41
.LBB333_71:                             ;   in Loop: Header=BB333_14 Depth=1
	s_or_b64 exec, exec, s[50:51]
.LBB333_72:                             ;   in Loop: Header=BB333_14 Depth=1
	s_or_b64 exec, exec, s[48:49]
.LBB333_73:                             ;   in Loop: Header=BB333_14 Depth=1
	s_or_b64 exec, exec, s[46:47]
	v_mul_f32_e32 v20, s64, v41
	v_and_b32_e32 v40, 0x7f800000, v20
	v_cmp_ne_u32_e64 s[4:5], s62, v40
                                        ; implicit-def: $vgpr40
	s_and_saveexec_b64 s[46:47], s[4:5]
	s_xor_b64 s[4:5], exec, s[46:47]
; %bb.74:                               ;   in Loop: Header=BB333_14 Depth=1
	v_bfe_u32 v40, v20, 16, 1
	v_add3_u32 v40, v20, v40, s63
                                        ; implicit-def: $vgpr20
; %bb.75:                               ;   in Loop: Header=BB333_14 Depth=1
	s_andn2_saveexec_b64 s[46:47], s[4:5]
; %bb.76:                               ;   in Loop: Header=BB333_14 Depth=1
	v_or_b32_e32 v40, 0x10000, v20
	v_cmp_eq_u32_sdwa s[4:5], v20, v24 src0_sel:WORD_0 src1_sel:DWORD
	v_cndmask_b32_e64 v40, v40, v20, s[4:5]
; %bb.77:                               ;   in Loop: Header=BB333_14 Depth=1
	s_or_b64 exec, exec, s[46:47]
	global_load_ubyte v41, v[18:19], off offset:384
	v_mov_b32_e32 v42, 0
	s_waitcnt vmcnt(0)
	v_cmp_ne_u16_e64 s[4:5], 0, v41
	s_and_saveexec_b64 s[46:47], s[4:5]
	s_cbranch_execz .LBB333_83
; %bb.78:                               ;   in Loop: Header=BB333_14 Depth=1
	v_cmp_ne_u16_e64 s[4:5], s60, v41
	v_bfrev_b32_e32 v42, 1
	s_and_saveexec_b64 s[48:49], s[4:5]
	s_cbranch_execz .LBB333_82
; %bb.79:                               ;   in Loop: Header=BB333_14 Depth=1
	v_and_b32_e32 v20, 0xffff, v41
	v_and_b32_e32 v43, 0x7f, v20
	v_cmp_ne_u32_e64 s[4:5], s61, v43
	v_mov_b32_e32 v42, 0x7f800001
	s_and_saveexec_b64 s[50:51], s[4:5]
	s_cbranch_execz .LBB333_81
; %bb.80:                               ;   in Loop: Header=BB333_14 Depth=1
	v_and_b32_e32 v42, 7, v20
	v_ffbh_u32_e32 v44, v42
	v_min_u32_e32 v47, 32, v44
	v_subrev_u32_e32 v44, 28, v47
	v_lshlrev_b64 v[44:45], v44, v[20:21]
	v_lshrrev_b32_e32 v46, 3, v43
	v_sub_u32_e32 v20, 29, v47
	v_and_b32_e32 v44, 7, v44
	v_cmp_gt_u32_e64 s[4:5], 8, v43
	v_cndmask_b32_e64 v20, v46, v20, s[4:5]
	v_cndmask_b32_e64 v42, v42, v44, s[4:5]
	v_lshlrev_b32_e32 v41, 24, v41
	v_lshlrev_b32_e32 v42, 20, v42
	v_and_b32_e32 v41, 0x80000000, v41
	v_lshl_add_u32 v20, v20, 23, v32
	v_or3_b32 v42, v41, v20, v42
.LBB333_81:                             ;   in Loop: Header=BB333_14 Depth=1
	s_or_b64 exec, exec, s[50:51]
.LBB333_82:                             ;   in Loop: Header=BB333_14 Depth=1
	s_or_b64 exec, exec, s[48:49]
.LBB333_83:                             ;   in Loop: Header=BB333_14 Depth=1
	s_or_b64 exec, exec, s[46:47]
	v_mul_f32_e32 v20, s64, v42
	v_and_b32_e32 v41, 0x7f800000, v20
	v_cmp_ne_u32_e64 s[4:5], s62, v41
                                        ; implicit-def: $vgpr41
	s_and_saveexec_b64 s[46:47], s[4:5]
	s_xor_b64 s[4:5], exec, s[46:47]
; %bb.84:                               ;   in Loop: Header=BB333_14 Depth=1
	v_bfe_u32 v41, v20, 16, 1
	v_add3_u32 v41, v20, v41, s63
                                        ; implicit-def: $vgpr20
; %bb.85:                               ;   in Loop: Header=BB333_14 Depth=1
	s_andn2_saveexec_b64 s[46:47], s[4:5]
; %bb.86:                               ;   in Loop: Header=BB333_14 Depth=1
	v_or_b32_e32 v41, 0x10000, v20
	v_cmp_eq_u32_sdwa s[4:5], v20, v24 src0_sel:WORD_0 src1_sel:DWORD
	v_cndmask_b32_e64 v41, v41, v20, s[4:5]
; %bb.87:                               ;   in Loop: Header=BB333_14 Depth=1
	s_or_b64 exec, exec, s[46:47]
	global_load_ubyte v42, v[18:19], off offset:392
	v_mov_b32_e32 v43, 0
	s_waitcnt vmcnt(0)
	v_cmp_ne_u16_e64 s[4:5], 0, v42
	s_and_saveexec_b64 s[46:47], s[4:5]
	s_cbranch_execz .LBB333_93
; %bb.88:                               ;   in Loop: Header=BB333_14 Depth=1
	v_cmp_ne_u16_e64 s[4:5], s60, v42
	v_bfrev_b32_e32 v43, 1
	s_and_saveexec_b64 s[48:49], s[4:5]
	s_cbranch_execz .LBB333_92
; %bb.89:                               ;   in Loop: Header=BB333_14 Depth=1
	v_and_b32_e32 v20, 0xffff, v42
	v_and_b32_e32 v44, 0x7f, v20
	v_cmp_ne_u32_e64 s[4:5], s61, v44
	v_mov_b32_e32 v43, 0x7f800001
	s_and_saveexec_b64 s[50:51], s[4:5]
	s_cbranch_execz .LBB333_91
; %bb.90:                               ;   in Loop: Header=BB333_14 Depth=1
	v_and_b32_e32 v43, 7, v20
	v_ffbh_u32_e32 v46, v43
	v_min_u32_e32 v48, 32, v46
	v_subrev_u32_e32 v46, 28, v48
	v_lshlrev_b64 v[46:47], v46, v[20:21]
	v_lshrrev_b32_e32 v45, 3, v44
	v_sub_u32_e32 v20, 29, v48
	v_and_b32_e32 v46, 7, v46
	v_cmp_gt_u32_e64 s[4:5], 8, v44
	v_cndmask_b32_e64 v20, v45, v20, s[4:5]
	v_cndmask_b32_e64 v43, v43, v46, s[4:5]
	v_lshlrev_b32_e32 v42, 24, v42
	v_lshlrev_b32_e32 v43, 20, v43
	v_and_b32_e32 v42, 0x80000000, v42
	v_lshl_add_u32 v20, v20, 23, v32
	v_or3_b32 v43, v42, v20, v43
.LBB333_91:                             ;   in Loop: Header=BB333_14 Depth=1
	s_or_b64 exec, exec, s[50:51]
.LBB333_92:                             ;   in Loop: Header=BB333_14 Depth=1
	s_or_b64 exec, exec, s[48:49]
.LBB333_93:                             ;   in Loop: Header=BB333_14 Depth=1
	s_or_b64 exec, exec, s[46:47]
	v_mul_f32_e32 v20, s64, v43
	v_and_b32_e32 v42, 0x7f800000, v20
	v_cmp_ne_u32_e64 s[4:5], s62, v42
                                        ; implicit-def: $vgpr42
	s_and_saveexec_b64 s[46:47], s[4:5]
	s_xor_b64 s[4:5], exec, s[46:47]
; %bb.94:                               ;   in Loop: Header=BB333_14 Depth=1
	v_bfe_u32 v42, v20, 16, 1
	v_add3_u32 v42, v20, v42, s63
                                        ; implicit-def: $vgpr20
; %bb.95:                               ;   in Loop: Header=BB333_14 Depth=1
	s_andn2_saveexec_b64 s[46:47], s[4:5]
; %bb.96:                               ;   in Loop: Header=BB333_14 Depth=1
	v_or_b32_e32 v42, 0x10000, v20
	v_cmp_eq_u32_sdwa s[4:5], v20, v24 src0_sel:WORD_0 src1_sel:DWORD
	v_cndmask_b32_e64 v42, v42, v20, s[4:5]
; %bb.97:                               ;   in Loop: Header=BB333_14 Depth=1
	s_or_b64 exec, exec, s[46:47]
	global_load_ubyte v43, v[18:19], off offset:512
	v_mov_b32_e32 v44, 0
	s_waitcnt vmcnt(0)
	v_cmp_ne_u16_e64 s[4:5], 0, v43
	s_and_saveexec_b64 s[46:47], s[4:5]
	s_cbranch_execz .LBB333_103
; %bb.98:                               ;   in Loop: Header=BB333_14 Depth=1
	v_cmp_ne_u16_e64 s[4:5], s60, v43
	v_bfrev_b32_e32 v44, 1
	s_and_saveexec_b64 s[48:49], s[4:5]
	s_cbranch_execz .LBB333_102
; %bb.99:                               ;   in Loop: Header=BB333_14 Depth=1
	v_and_b32_e32 v20, 0xffff, v43
	v_and_b32_e32 v45, 0x7f, v20
	v_cmp_ne_u32_e64 s[4:5], s61, v45
	v_mov_b32_e32 v44, 0x7f800001
	s_and_saveexec_b64 s[50:51], s[4:5]
	s_cbranch_execz .LBB333_101
; %bb.100:                              ;   in Loop: Header=BB333_14 Depth=1
	v_and_b32_e32 v44, 7, v20
	v_ffbh_u32_e32 v46, v44
	v_min_u32_e32 v49, 32, v46
	v_subrev_u32_e32 v46, 28, v49
	v_lshlrev_b64 v[46:47], v46, v[20:21]
	v_lshrrev_b32_e32 v48, 3, v45
	v_sub_u32_e32 v20, 29, v49
	v_and_b32_e32 v46, 7, v46
	v_cmp_gt_u32_e64 s[4:5], 8, v45
	v_cndmask_b32_e64 v20, v48, v20, s[4:5]
	v_cndmask_b32_e64 v44, v44, v46, s[4:5]
	v_lshlrev_b32_e32 v43, 24, v43
	v_lshlrev_b32_e32 v44, 20, v44
	v_and_b32_e32 v43, 0x80000000, v43
	v_lshl_add_u32 v20, v20, 23, v32
	v_or3_b32 v44, v43, v20, v44
.LBB333_101:                            ;   in Loop: Header=BB333_14 Depth=1
	s_or_b64 exec, exec, s[50:51]
.LBB333_102:                            ;   in Loop: Header=BB333_14 Depth=1
	s_or_b64 exec, exec, s[48:49]
.LBB333_103:                            ;   in Loop: Header=BB333_14 Depth=1
	s_or_b64 exec, exec, s[46:47]
	v_mul_f32_e32 v20, s64, v44
	v_and_b32_e32 v43, 0x7f800000, v20
	v_cmp_ne_u32_e64 s[4:5], s62, v43
                                        ; implicit-def: $vgpr43
	s_and_saveexec_b64 s[46:47], s[4:5]
	s_xor_b64 s[4:5], exec, s[46:47]
; %bb.104:                              ;   in Loop: Header=BB333_14 Depth=1
	v_bfe_u32 v43, v20, 16, 1
	v_add3_u32 v43, v20, v43, s63
                                        ; implicit-def: $vgpr20
; %bb.105:                              ;   in Loop: Header=BB333_14 Depth=1
	s_andn2_saveexec_b64 s[46:47], s[4:5]
; %bb.106:                              ;   in Loop: Header=BB333_14 Depth=1
	v_or_b32_e32 v43, 0x10000, v20
	v_cmp_eq_u32_sdwa s[4:5], v20, v24 src0_sel:WORD_0 src1_sel:DWORD
	v_cndmask_b32_e64 v43, v43, v20, s[4:5]
; %bb.107:                              ;   in Loop: Header=BB333_14 Depth=1
	s_or_b64 exec, exec, s[46:47]
	global_load_ubyte v44, v[18:19], off offset:520
	v_mov_b32_e32 v45, 0
	s_waitcnt vmcnt(0)
	v_cmp_ne_u16_e64 s[4:5], 0, v44
	s_and_saveexec_b64 s[46:47], s[4:5]
	s_cbranch_execz .LBB333_113
; %bb.108:                              ;   in Loop: Header=BB333_14 Depth=1
	v_cmp_ne_u16_e64 s[4:5], s60, v44
	v_bfrev_b32_e32 v45, 1
	s_and_saveexec_b64 s[48:49], s[4:5]
	s_cbranch_execz .LBB333_112
; %bb.109:                              ;   in Loop: Header=BB333_14 Depth=1
	v_and_b32_e32 v20, 0xffff, v44
	v_and_b32_e32 v46, 0x7f, v20
	v_cmp_ne_u32_e64 s[4:5], s61, v46
	v_mov_b32_e32 v45, 0x7f800001
	s_and_saveexec_b64 s[50:51], s[4:5]
	s_cbranch_execz .LBB333_111
; %bb.110:                              ;   in Loop: Header=BB333_14 Depth=1
	v_and_b32_e32 v45, 7, v20
	v_ffbh_u32_e32 v48, v45
	v_min_u32_e32 v50, 32, v48
	v_subrev_u32_e32 v48, 28, v50
	v_lshlrev_b64 v[48:49], v48, v[20:21]
	v_lshrrev_b32_e32 v47, 3, v46
	v_sub_u32_e32 v20, 29, v50
	v_and_b32_e32 v48, 7, v48
	v_cmp_gt_u32_e64 s[4:5], 8, v46
	v_cndmask_b32_e64 v20, v47, v20, s[4:5]
	v_cndmask_b32_e64 v45, v45, v48, s[4:5]
	v_lshlrev_b32_e32 v44, 24, v44
	v_lshlrev_b32_e32 v45, 20, v45
	v_and_b32_e32 v44, 0x80000000, v44
	v_lshl_add_u32 v20, v20, 23, v32
	v_or3_b32 v45, v44, v20, v45
.LBB333_111:                            ;   in Loop: Header=BB333_14 Depth=1
	s_or_b64 exec, exec, s[50:51]
.LBB333_112:                            ;   in Loop: Header=BB333_14 Depth=1
	s_or_b64 exec, exec, s[48:49]
.LBB333_113:                            ;   in Loop: Header=BB333_14 Depth=1
	s_or_b64 exec, exec, s[46:47]
	v_mul_f32_e32 v20, s64, v45
	v_and_b32_e32 v44, 0x7f800000, v20
	v_cmp_ne_u32_e64 s[4:5], s62, v44
                                        ; implicit-def: $vgpr44
	s_and_saveexec_b64 s[46:47], s[4:5]
	s_xor_b64 s[4:5], exec, s[46:47]
; %bb.114:                              ;   in Loop: Header=BB333_14 Depth=1
	v_bfe_u32 v44, v20, 16, 1
	v_add3_u32 v44, v20, v44, s63
                                        ; implicit-def: $vgpr20
; %bb.115:                              ;   in Loop: Header=BB333_14 Depth=1
	s_andn2_saveexec_b64 s[46:47], s[4:5]
; %bb.116:                              ;   in Loop: Header=BB333_14 Depth=1
	v_or_b32_e32 v44, 0x10000, v20
	v_cmp_eq_u32_sdwa s[4:5], v20, v24 src0_sel:WORD_0 src1_sel:DWORD
	v_cndmask_b32_e64 v44, v44, v20, s[4:5]
; %bb.117:                              ;   in Loop: Header=BB333_14 Depth=1
	s_or_b64 exec, exec, s[46:47]
	global_load_ubyte v45, v[18:19], off offset:640
	v_mov_b32_e32 v46, 0
	s_waitcnt vmcnt(0)
	v_cmp_ne_u16_e64 s[4:5], 0, v45
	s_and_saveexec_b64 s[46:47], s[4:5]
	s_cbranch_execz .LBB333_123
; %bb.118:                              ;   in Loop: Header=BB333_14 Depth=1
	v_cmp_ne_u16_e64 s[4:5], s60, v45
	v_bfrev_b32_e32 v46, 1
	s_and_saveexec_b64 s[48:49], s[4:5]
	s_cbranch_execz .LBB333_122
; %bb.119:                              ;   in Loop: Header=BB333_14 Depth=1
	v_and_b32_e32 v20, 0xffff, v45
	v_and_b32_e32 v47, 0x7f, v20
	v_cmp_ne_u32_e64 s[4:5], s61, v47
	v_mov_b32_e32 v46, 0x7f800001
	s_and_saveexec_b64 s[50:51], s[4:5]
	s_cbranch_execz .LBB333_121
; %bb.120:                              ;   in Loop: Header=BB333_14 Depth=1
	v_and_b32_e32 v46, 7, v20
	v_ffbh_u32_e32 v48, v46
	v_min_u32_e32 v51, 32, v48
	v_subrev_u32_e32 v48, 28, v51
	v_lshlrev_b64 v[48:49], v48, v[20:21]
	v_lshrrev_b32_e32 v50, 3, v47
	v_sub_u32_e32 v20, 29, v51
	v_and_b32_e32 v48, 7, v48
	v_cmp_gt_u32_e64 s[4:5], 8, v47
	v_cndmask_b32_e64 v20, v50, v20, s[4:5]
	v_cndmask_b32_e64 v46, v46, v48, s[4:5]
	v_lshlrev_b32_e32 v45, 24, v45
	v_lshlrev_b32_e32 v46, 20, v46
	v_and_b32_e32 v45, 0x80000000, v45
	v_lshl_add_u32 v20, v20, 23, v32
	v_or3_b32 v46, v45, v20, v46
.LBB333_121:                            ;   in Loop: Header=BB333_14 Depth=1
	s_or_b64 exec, exec, s[50:51]
.LBB333_122:                            ;   in Loop: Header=BB333_14 Depth=1
	s_or_b64 exec, exec, s[48:49]
.LBB333_123:                            ;   in Loop: Header=BB333_14 Depth=1
	s_or_b64 exec, exec, s[46:47]
	v_mul_f32_e32 v20, s64, v46
	v_and_b32_e32 v45, 0x7f800000, v20
	v_cmp_ne_u32_e64 s[4:5], s62, v45
                                        ; implicit-def: $vgpr45
	s_and_saveexec_b64 s[46:47], s[4:5]
	s_xor_b64 s[4:5], exec, s[46:47]
; %bb.124:                              ;   in Loop: Header=BB333_14 Depth=1
	v_bfe_u32 v45, v20, 16, 1
	v_add3_u32 v45, v20, v45, s63
                                        ; implicit-def: $vgpr20
; %bb.125:                              ;   in Loop: Header=BB333_14 Depth=1
	s_andn2_saveexec_b64 s[46:47], s[4:5]
; %bb.126:                              ;   in Loop: Header=BB333_14 Depth=1
	v_or_b32_e32 v45, 0x10000, v20
	v_cmp_eq_u32_sdwa s[4:5], v20, v24 src0_sel:WORD_0 src1_sel:DWORD
	v_cndmask_b32_e64 v45, v45, v20, s[4:5]
; %bb.127:                              ;   in Loop: Header=BB333_14 Depth=1
	s_or_b64 exec, exec, s[46:47]
	global_load_ubyte v46, v[18:19], off offset:648
	v_mov_b32_e32 v47, 0
	s_waitcnt vmcnt(0)
	v_cmp_ne_u16_e64 s[4:5], 0, v46
	s_and_saveexec_b64 s[46:47], s[4:5]
	s_cbranch_execz .LBB333_133
; %bb.128:                              ;   in Loop: Header=BB333_14 Depth=1
	v_cmp_ne_u16_e64 s[4:5], s60, v46
	v_bfrev_b32_e32 v47, 1
	s_and_saveexec_b64 s[48:49], s[4:5]
	s_cbranch_execz .LBB333_132
; %bb.129:                              ;   in Loop: Header=BB333_14 Depth=1
	v_and_b32_e32 v20, 0xffff, v46
	v_and_b32_e32 v48, 0x7f, v20
	v_cmp_ne_u32_e64 s[4:5], s61, v48
	v_mov_b32_e32 v47, 0x7f800001
	s_and_saveexec_b64 s[50:51], s[4:5]
	s_cbranch_execz .LBB333_131
; %bb.130:                              ;   in Loop: Header=BB333_14 Depth=1
	v_and_b32_e32 v47, 7, v20
	v_ffbh_u32_e32 v50, v47
	v_min_u32_e32 v52, 32, v50
	v_subrev_u32_e32 v50, 28, v52
	v_lshlrev_b64 v[50:51], v50, v[20:21]
	v_lshrrev_b32_e32 v49, 3, v48
	v_sub_u32_e32 v20, 29, v52
	v_and_b32_e32 v50, 7, v50
	v_cmp_gt_u32_e64 s[4:5], 8, v48
	v_cndmask_b32_e64 v20, v49, v20, s[4:5]
	v_cndmask_b32_e64 v47, v47, v50, s[4:5]
	v_lshlrev_b32_e32 v46, 24, v46
	v_lshlrev_b32_e32 v47, 20, v47
	v_and_b32_e32 v46, 0x80000000, v46
	v_lshl_add_u32 v20, v20, 23, v32
	v_or3_b32 v47, v46, v20, v47
.LBB333_131:                            ;   in Loop: Header=BB333_14 Depth=1
	s_or_b64 exec, exec, s[50:51]
.LBB333_132:                            ;   in Loop: Header=BB333_14 Depth=1
	s_or_b64 exec, exec, s[48:49]
.LBB333_133:                            ;   in Loop: Header=BB333_14 Depth=1
	s_or_b64 exec, exec, s[46:47]
	v_mul_f32_e32 v20, s64, v47
	v_and_b32_e32 v46, 0x7f800000, v20
	v_cmp_ne_u32_e64 s[4:5], s62, v46
                                        ; implicit-def: $vgpr46
	s_and_saveexec_b64 s[46:47], s[4:5]
	s_xor_b64 s[4:5], exec, s[46:47]
; %bb.134:                              ;   in Loop: Header=BB333_14 Depth=1
	v_bfe_u32 v46, v20, 16, 1
	v_add3_u32 v46, v20, v46, s63
                                        ; implicit-def: $vgpr20
; %bb.135:                              ;   in Loop: Header=BB333_14 Depth=1
	s_andn2_saveexec_b64 s[46:47], s[4:5]
; %bb.136:                              ;   in Loop: Header=BB333_14 Depth=1
	v_or_b32_e32 v46, 0x10000, v20
	v_cmp_eq_u32_sdwa s[4:5], v20, v24 src0_sel:WORD_0 src1_sel:DWORD
	v_cndmask_b32_e64 v46, v46, v20, s[4:5]
; %bb.137:                              ;   in Loop: Header=BB333_14 Depth=1
	s_or_b64 exec, exec, s[46:47]
	global_load_ubyte v47, v[18:19], off offset:768
	v_mov_b32_e32 v48, 0
	s_waitcnt vmcnt(0)
	v_cmp_ne_u16_e64 s[4:5], 0, v47
	s_and_saveexec_b64 s[46:47], s[4:5]
	s_cbranch_execz .LBB333_143
; %bb.138:                              ;   in Loop: Header=BB333_14 Depth=1
	v_cmp_ne_u16_e64 s[4:5], s60, v47
	v_bfrev_b32_e32 v48, 1
	s_and_saveexec_b64 s[48:49], s[4:5]
	s_cbranch_execz .LBB333_142
; %bb.139:                              ;   in Loop: Header=BB333_14 Depth=1
	v_and_b32_e32 v20, 0xffff, v47
	v_and_b32_e32 v49, 0x7f, v20
	v_cmp_ne_u32_e64 s[4:5], s61, v49
	v_mov_b32_e32 v48, 0x7f800001
	s_and_saveexec_b64 s[50:51], s[4:5]
	s_cbranch_execz .LBB333_141
; %bb.140:                              ;   in Loop: Header=BB333_14 Depth=1
	v_and_b32_e32 v48, 7, v20
	v_ffbh_u32_e32 v50, v48
	v_min_u32_e32 v53, 32, v50
	v_subrev_u32_e32 v50, 28, v53
	v_lshlrev_b64 v[50:51], v50, v[20:21]
	v_lshrrev_b32_e32 v52, 3, v49
	v_sub_u32_e32 v20, 29, v53
	v_and_b32_e32 v50, 7, v50
	v_cmp_gt_u32_e64 s[4:5], 8, v49
	v_cndmask_b32_e64 v20, v52, v20, s[4:5]
	v_cndmask_b32_e64 v48, v48, v50, s[4:5]
	v_lshlrev_b32_e32 v47, 24, v47
	v_lshlrev_b32_e32 v48, 20, v48
	v_and_b32_e32 v47, 0x80000000, v47
	v_lshl_add_u32 v20, v20, 23, v32
	v_or3_b32 v48, v47, v20, v48
.LBB333_141:                            ;   in Loop: Header=BB333_14 Depth=1
	s_or_b64 exec, exec, s[50:51]
.LBB333_142:                            ;   in Loop: Header=BB333_14 Depth=1
	s_or_b64 exec, exec, s[48:49]
.LBB333_143:                            ;   in Loop: Header=BB333_14 Depth=1
	s_or_b64 exec, exec, s[46:47]
	v_mul_f32_e32 v20, s64, v48
	v_and_b32_e32 v47, 0x7f800000, v20
	v_cmp_ne_u32_e64 s[4:5], s62, v47
                                        ; implicit-def: $vgpr47
	s_and_saveexec_b64 s[46:47], s[4:5]
	s_xor_b64 s[4:5], exec, s[46:47]
; %bb.144:                              ;   in Loop: Header=BB333_14 Depth=1
	v_bfe_u32 v47, v20, 16, 1
	v_add3_u32 v47, v20, v47, s63
                                        ; implicit-def: $vgpr20
; %bb.145:                              ;   in Loop: Header=BB333_14 Depth=1
	s_andn2_saveexec_b64 s[46:47], s[4:5]
; %bb.146:                              ;   in Loop: Header=BB333_14 Depth=1
	v_or_b32_e32 v47, 0x10000, v20
	v_cmp_eq_u32_sdwa s[4:5], v20, v24 src0_sel:WORD_0 src1_sel:DWORD
	v_cndmask_b32_e64 v47, v47, v20, s[4:5]
; %bb.147:                              ;   in Loop: Header=BB333_14 Depth=1
	s_or_b64 exec, exec, s[46:47]
	global_load_ubyte v48, v[18:19], off offset:776
	v_mov_b32_e32 v49, 0
	s_waitcnt vmcnt(0)
	v_cmp_ne_u16_e64 s[4:5], 0, v48
	s_and_saveexec_b64 s[46:47], s[4:5]
	s_cbranch_execz .LBB333_153
; %bb.148:                              ;   in Loop: Header=BB333_14 Depth=1
	v_cmp_ne_u16_e64 s[4:5], s60, v48
	v_bfrev_b32_e32 v49, 1
	s_and_saveexec_b64 s[48:49], s[4:5]
	s_cbranch_execz .LBB333_152
; %bb.149:                              ;   in Loop: Header=BB333_14 Depth=1
	v_and_b32_e32 v20, 0xffff, v48
	v_and_b32_e32 v50, 0x7f, v20
	v_cmp_ne_u32_e64 s[4:5], s61, v50
	v_mov_b32_e32 v49, 0x7f800001
	s_and_saveexec_b64 s[50:51], s[4:5]
	s_cbranch_execz .LBB333_151
; %bb.150:                              ;   in Loop: Header=BB333_14 Depth=1
	v_and_b32_e32 v49, 7, v20
	v_ffbh_u32_e32 v52, v49
	v_min_u32_e32 v54, 32, v52
	v_subrev_u32_e32 v52, 28, v54
	v_lshlrev_b64 v[52:53], v52, v[20:21]
	v_lshrrev_b32_e32 v51, 3, v50
	v_sub_u32_e32 v20, 29, v54
	v_and_b32_e32 v52, 7, v52
	v_cmp_gt_u32_e64 s[4:5], 8, v50
	v_cndmask_b32_e64 v20, v51, v20, s[4:5]
	v_cndmask_b32_e64 v49, v49, v52, s[4:5]
	v_lshlrev_b32_e32 v48, 24, v48
	v_lshlrev_b32_e32 v49, 20, v49
	v_and_b32_e32 v48, 0x80000000, v48
	v_lshl_add_u32 v20, v20, 23, v32
	v_or3_b32 v49, v48, v20, v49
.LBB333_151:                            ;   in Loop: Header=BB333_14 Depth=1
	s_or_b64 exec, exec, s[50:51]
.LBB333_152:                            ;   in Loop: Header=BB333_14 Depth=1
	s_or_b64 exec, exec, s[48:49]
.LBB333_153:                            ;   in Loop: Header=BB333_14 Depth=1
	s_or_b64 exec, exec, s[46:47]
	v_mul_f32_e32 v20, s64, v49
	v_and_b32_e32 v48, 0x7f800000, v20
	v_cmp_ne_u32_e64 s[4:5], s62, v48
                                        ; implicit-def: $vgpr48
	s_and_saveexec_b64 s[46:47], s[4:5]
	s_xor_b64 s[4:5], exec, s[46:47]
; %bb.154:                              ;   in Loop: Header=BB333_14 Depth=1
	v_bfe_u32 v48, v20, 16, 1
	v_add3_u32 v48, v20, v48, s63
                                        ; implicit-def: $vgpr20
; %bb.155:                              ;   in Loop: Header=BB333_14 Depth=1
	s_andn2_saveexec_b64 s[46:47], s[4:5]
; %bb.156:                              ;   in Loop: Header=BB333_14 Depth=1
	v_or_b32_e32 v48, 0x10000, v20
	v_cmp_eq_u32_sdwa s[4:5], v20, v24 src0_sel:WORD_0 src1_sel:DWORD
	v_cndmask_b32_e64 v48, v48, v20, s[4:5]
; %bb.157:                              ;   in Loop: Header=BB333_14 Depth=1
	s_or_b64 exec, exec, s[46:47]
	global_load_ubyte v49, v[18:19], off offset:896
	v_mov_b32_e32 v50, 0
	s_waitcnt vmcnt(0)
	v_cmp_ne_u16_e64 s[4:5], 0, v49
	s_and_saveexec_b64 s[46:47], s[4:5]
	s_cbranch_execz .LBB333_163
; %bb.158:                              ;   in Loop: Header=BB333_14 Depth=1
	v_cmp_ne_u16_e64 s[4:5], s60, v49
	v_bfrev_b32_e32 v50, 1
	s_and_saveexec_b64 s[48:49], s[4:5]
	s_cbranch_execz .LBB333_162
; %bb.159:                              ;   in Loop: Header=BB333_14 Depth=1
	v_and_b32_e32 v20, 0xffff, v49
	v_and_b32_e32 v51, 0x7f, v20
	v_cmp_ne_u32_e64 s[4:5], s61, v51
	v_mov_b32_e32 v50, 0x7f800001
	s_and_saveexec_b64 s[50:51], s[4:5]
	s_cbranch_execz .LBB333_161
; %bb.160:                              ;   in Loop: Header=BB333_14 Depth=1
	v_and_b32_e32 v50, 7, v20
	v_ffbh_u32_e32 v52, v50
	v_min_u32_e32 v55, 32, v52
	v_subrev_u32_e32 v52, 28, v55
	v_lshlrev_b64 v[52:53], v52, v[20:21]
	v_lshrrev_b32_e32 v54, 3, v51
	v_sub_u32_e32 v20, 29, v55
	v_and_b32_e32 v52, 7, v52
	v_cmp_gt_u32_e64 s[4:5], 8, v51
	v_cndmask_b32_e64 v20, v54, v20, s[4:5]
	v_cndmask_b32_e64 v50, v50, v52, s[4:5]
	v_lshlrev_b32_e32 v49, 24, v49
	v_lshlrev_b32_e32 v50, 20, v50
	v_and_b32_e32 v49, 0x80000000, v49
	v_lshl_add_u32 v20, v20, 23, v32
	v_or3_b32 v50, v49, v20, v50
.LBB333_161:                            ;   in Loop: Header=BB333_14 Depth=1
	s_or_b64 exec, exec, s[50:51]
.LBB333_162:                            ;   in Loop: Header=BB333_14 Depth=1
	s_or_b64 exec, exec, s[48:49]
.LBB333_163:                            ;   in Loop: Header=BB333_14 Depth=1
	s_or_b64 exec, exec, s[46:47]
	v_mul_f32_e32 v49, s64, v50
	v_and_b32_e32 v20, 0x7f800000, v49
	v_cmp_ne_u32_e64 s[4:5], s62, v20
                                        ; implicit-def: $vgpr20
	s_and_saveexec_b64 s[46:47], s[4:5]
	s_xor_b64 s[4:5], exec, s[46:47]
; %bb.164:                              ;   in Loop: Header=BB333_14 Depth=1
	v_bfe_u32 v20, v49, 16, 1
	v_add3_u32 v20, v49, v20, s63
                                        ; implicit-def: $vgpr49
; %bb.165:                              ;   in Loop: Header=BB333_14 Depth=1
	s_andn2_saveexec_b64 s[46:47], s[4:5]
; %bb.166:                              ;   in Loop: Header=BB333_14 Depth=1
	v_or_b32_e32 v20, 0x10000, v49
	v_cmp_eq_u32_sdwa s[4:5], v49, v24 src0_sel:WORD_0 src1_sel:DWORD
	v_cndmask_b32_e64 v20, v20, v49, s[4:5]
; %bb.167:                              ;   in Loop: Header=BB333_14 Depth=1
	s_or_b64 exec, exec, s[46:47]
	global_load_ubyte v19, v[18:19], off offset:904
	v_mov_b32_e32 v49, 0
	s_waitcnt vmcnt(0)
	v_cmp_ne_u16_e64 s[4:5], 0, v19
	s_and_saveexec_b64 s[46:47], s[4:5]
	s_cbranch_execz .LBB333_173
; %bb.168:                              ;   in Loop: Header=BB333_14 Depth=1
	v_cmp_ne_u16_e64 s[4:5], s60, v19
	v_bfrev_b32_e32 v49, 1
	s_and_saveexec_b64 s[48:49], s[4:5]
	s_cbranch_execz .LBB333_172
; %bb.169:                              ;   in Loop: Header=BB333_14 Depth=1
	v_and_b32_e32 v18, 0xffff, v19
	v_and_b32_e32 v50, 0x7f, v18
	v_cmp_ne_u32_e64 s[4:5], s61, v50
	v_mov_b32_e32 v49, 0x7f800001
	s_and_saveexec_b64 s[50:51], s[4:5]
	s_cbranch_execz .LBB333_171
; %bb.170:                              ;   in Loop: Header=BB333_14 Depth=1
	v_and_b32_e32 v49, 7, v18
	v_ffbh_u32_e32 v52, v49
	v_min_u32_e32 v54, 32, v52
	v_subrev_u32_e32 v52, 28, v54
	v_lshlrev_b64 v[52:53], v52, v[18:19]
	v_lshrrev_b32_e32 v51, 3, v50
	v_sub_u32_e32 v18, 29, v54
	v_and_b32_e32 v52, 7, v52
	v_cmp_gt_u32_e64 s[4:5], 8, v50
	v_cndmask_b32_e64 v18, v51, v18, s[4:5]
	v_cndmask_b32_e64 v49, v49, v52, s[4:5]
	v_lshlrev_b32_e32 v19, 24, v19
	v_lshlrev_b32_e32 v49, 20, v49
	v_and_b32_e32 v19, 0x80000000, v19
	v_lshl_add_u32 v18, v18, 23, v32
	v_or3_b32 v49, v19, v18, v49
.LBB333_171:                            ;   in Loop: Header=BB333_14 Depth=1
	s_or_b64 exec, exec, s[50:51]
.LBB333_172:                            ;   in Loop: Header=BB333_14 Depth=1
	s_or_b64 exec, exec, s[48:49]
.LBB333_173:                            ;   in Loop: Header=BB333_14 Depth=1
	s_or_b64 exec, exec, s[46:47]
	v_mul_f32_e32 v19, s64, v49
	v_and_b32_e32 v18, 0x7f800000, v19
	v_cmp_ne_u32_e64 s[4:5], s62, v18
                                        ; implicit-def: $vgpr18
	s_and_saveexec_b64 s[46:47], s[4:5]
	s_xor_b64 s[4:5], exec, s[46:47]
; %bb.174:                              ;   in Loop: Header=BB333_14 Depth=1
	v_bfe_u32 v18, v19, 16, 1
	v_add3_u32 v18, v19, v18, s63
                                        ; implicit-def: $vgpr19
; %bb.175:                              ;   in Loop: Header=BB333_14 Depth=1
	s_andn2_saveexec_b64 s[46:47], s[4:5]
; %bb.176:                              ;   in Loop: Header=BB333_14 Depth=1
	v_or_b32_e32 v18, 0x10000, v19
	v_cmp_eq_u32_sdwa s[4:5], v19, v24 src0_sel:WORD_0 src1_sel:DWORD
	v_cndmask_b32_e64 v18, v18, v19, s[4:5]
; %bb.177:                              ;   in Loop: Header=BB333_14 Depth=1
	s_or_b64 exec, exec, s[46:47]
	v_and_b32_e32 v19, 0xffff0000, v20
	v_and_b32_e32 v20, 0xffff0000, v48
	;; [unrolled: 1-line block ×3, first 2 shown]
	v_lshlrev_b32_e32 v48, 16, v6
	v_and_b32_e32 v6, 0xffff0000, v6
	v_and_b32_e32 v35, 0xffff0000, v35
	v_mul_f32_e32 v6, v6, v36
	v_and_b32_e32 v37, 0xffff0000, v37
	v_lshlrev_b32_e32 v49, 16, v7
	v_fmac_f32_e32 v6, v48, v35
	v_and_b32_e32 v38, 0xffff0000, v38
	v_and_b32_e32 v7, 0xffff0000, v7
	v_fmac_f32_e32 v6, v49, v37
	v_and_b32_e32 v39, 0xffff0000, v39
	v_lshlrev_b32_e32 v50, 16, v8
	v_fmac_f32_e32 v6, v7, v38
	v_and_b32_e32 v40, 0xffff0000, v40
	v_and_b32_e32 v8, 0xffff0000, v8
	v_fmac_f32_e32 v6, v50, v39
	;; [unrolled: 6-line block ×5, first 2 shown]
	v_and_b32_e32 v47, 0xffff0000, v47
	v_lshlrev_b32_e32 v54, 16, v4
	v_and_b32_e32 v56, 64, v33
	v_fmac_f32_e32 v6, v3, v46
	v_and_b32_e32 v4, 0xffff0000, v4
	v_add_u32_e32 v56, 64, v56
	v_xor_b32_e32 v57, 4, v33
	v_fmac_f32_e32 v6, v54, v47
	v_lshlrev_b32_e32 v55, 16, v5
	v_cmp_lt_i32_e64 s[4:5], v57, v56
	v_fmac_f32_e32 v6, v4, v20
	v_and_b32_e32 v5, 0xffff0000, v5
	v_cndmask_b32_e64 v57, v33, v57, s[4:5]
	v_and_b32_e32 v18, 0xffff0000, v18
	v_fmac_f32_e32 v6, v55, v19
	v_lshlrev_b32_e32 v57, 2, v57
	v_fmac_f32_e32 v6, v5, v18
	ds_bpermute_b32 v2, v57, v6
	v_xor_b32_e32 v3, 2, v33
	v_cmp_lt_i32_e64 s[4:5], v3, v56
	v_cndmask_b32_e64 v3, v33, v3, s[4:5]
	v_lshlrev_b32_e32 v3, 2, v3
	s_waitcnt lgkmcnt(0)
	v_add_f32_e32 v2, v6, v2
	ds_bpermute_b32 v3, v3, v2
	v_xor_b32_e32 v4, 1, v33
	v_cmp_lt_i32_e64 s[4:5], v4, v56
	v_cndmask_b32_e64 v4, v33, v4, s[4:5]
	v_lshlrev_b32_e32 v4, 2, v4
	s_waitcnt lgkmcnt(0)
	v_add_f32_e32 v2, v2, v3
	ds_bpermute_b32 v3, v4, v2
	s_and_saveexec_b64 s[46:47], vcc
	s_cbranch_execz .LBB333_12
; %bb.178:                              ;   in Loop: Header=BB333_14 Depth=1
	v_add_u32_e32 v4, v30, v28
	v_cvt_f32_i32_e32 v4, v4
	s_waitcnt lgkmcnt(0)
	v_add_f32_e32 v2, v2, v3
	v_add_u32_e32 v5, v22, v28
	v_cmp_gt_i32_e64 s[4:5], s33, v5
	v_mul_f32_e32 v3, s55, v4
	v_cndmask_b32_e64 v3, 0, v3, s[2:3]
	v_fmac_f32_e32 v3, s43, v2
	v_cndmask_b32_e64 v2, 0, v3, s[4:5]
	ds_write_b32 v29, v2
	v_max_f32_e32 v2, v27, v27
	v_max_f32_e32 v2, v2, v3
	v_cndmask_b32_e64 v27, v27, v2, s[4:5]
	s_branch .LBB333_12
.LBB333_179:
	s_or_b64 exec, exec, s[44:45]
.LBB333_180:
	s_or_b64 exec, exec, s[18:19]
	v_mbcnt_hi_u32_b32 v2, -1, v13
	s_waitcnt lgkmcnt(0)
	v_and_b32_e32 v3, 64, v2
	v_add_u32_e32 v3, 64, v3
	v_xor_b32_e32 v4, 32, v2
	v_cmp_lt_i32_e32 vcc, v4, v3
	v_cndmask_b32_e32 v4, v2, v4, vcc
	v_lshlrev_b32_e32 v6, 2, v4
	ds_bpermute_b32 v4, v6, v27
	v_xor_b32_e32 v7, 16, v2
	v_max_f32_e32 v5, v27, v27
	v_cmp_lt_i32_e32 vcc, v7, v3
	v_and_b32_e32 v20, 63, v0
	s_waitcnt lgkmcnt(0)
	v_max_f32_e32 v4, v4, v4
	v_max_f32_e32 v4, v5, v4
	v_cndmask_b32_e32 v5, v2, v7, vcc
	v_lshlrev_b32_e32 v8, 2, v5
	ds_bpermute_b32 v5, v8, v4
	v_xor_b32_e32 v7, 8, v2
	v_cmp_lt_i32_e32 vcc, v7, v3
	s_waitcnt lgkmcnt(0)
	v_max_f32_e32 v5, v5, v5
	v_max_f32_e32 v4, v4, v5
	v_cndmask_b32_e32 v5, v2, v7, vcc
	v_lshlrev_b32_e32 v9, 2, v5
	ds_bpermute_b32 v7, v9, v4
	v_cmp_eq_u32_e32 vcc, 0, v20
	v_lshlrev_b32_e32 v5, 2, v23
	s_and_saveexec_b64 s[2:3], vcc
	s_cbranch_execz .LBB333_182
; %bb.181:
	s_waitcnt lgkmcnt(0)
	v_max_f32_e32 v7, v7, v7
	v_max_f32_e32 v4, v4, v4
	v_max_f32_e32 v4, v4, v7
	ds_write_b32 v5, v4 offset:256
.LBB333_182:
	s_or_b64 exec, exec, s[2:3]
	v_cmp_gt_u32_e64 s[2:3], 2, v20
	v_mov_b32_e32 v4, 0xff7fffff
	s_waitcnt lgkmcnt(0)
	v_lshlrev_b32_e32 v7, 2, v20
	s_barrier
	s_and_saveexec_b64 s[4:5], s[2:3]
	s_cbranch_execz .LBB333_184
; %bb.183:
	ds_read_b32 v4, v7 offset:256
.LBB333_184:
	s_or_b64 exec, exec, s[4:5]
	v_xor_b32_e32 v12, 1, v2
	v_cmp_lt_i32_e64 s[4:5], v12, v3
	v_cndmask_b32_e64 v12, v2, v12, s[4:5]
	v_lshlrev_b32_e32 v12, 2, v12
	s_waitcnt lgkmcnt(0)
	ds_bpermute_b32 v13, v12, v4
	v_max_f32_e32 v4, v4, v4
	s_sub_i32 s4, s53, s56
	s_lshl_b32 s4, s4, 3
	s_add_i32 s4, s4, s54
	s_waitcnt lgkmcnt(0)
	v_max_f32_e32 v13, v13, v13
	v_max_f32_e32 v4, v4, v13
	v_lshlrev_b32_e32 v13, 2, v2
	v_and_b32_e32 v13, 0x100, v13
	ds_bpermute_b32 v4, v13, v4
	s_min_i32 s44, s4, s33
	s_sub_i32 s43, s44, s54
	v_cmp_gt_i32_e64 s[4:5], s43, v0
	v_mov_b32_e32 v14, 0
	s_and_saveexec_b64 s[12:13], s[4:5]
	s_cbranch_execz .LBB333_188
; %bb.185:
	v_mov_b32_e32 v14, 0x110
	v_lshl_add_u32 v15, v0, 2, v14
	s_mov_b64 s[18:19], 0
	v_mov_b32_e32 v14, 0
	v_mov_b32_e32 v16, v0
.LBB333_186:                            ; =>This Inner Loop Header: Depth=1
	ds_read_b32 v17, v15
	v_add_u32_e32 v16, 0x80, v16
	v_cmp_le_i32_e64 s[10:11], s43, v16
	s_or_b64 s[18:19], s[10:11], s[18:19]
	s_waitcnt lgkmcnt(0)
	v_sub_f32_e32 v17, v17, v4
	v_mul_f32_e32 v17, 0x3fb8aa3b, v17
	v_exp_f32_e32 v17, v17
	ds_write_b32 v15, v17
	v_add_f32_e32 v14, v14, v17
	v_add_u32_e32 v15, 0x200, v15
	s_andn2_b64 exec, exec, s[18:19]
	s_cbranch_execnz .LBB333_186
; %bb.187:
	s_or_b64 exec, exec, s[18:19]
.LBB333_188:
	s_or_b64 exec, exec, s[12:13]
	ds_bpermute_b32 v6, v6, v14
	s_waitcnt lgkmcnt(0)
	v_add_f32_e32 v6, v14, v6
	ds_bpermute_b32 v8, v8, v6
	s_waitcnt lgkmcnt(0)
	v_add_f32_e32 v6, v6, v8
	ds_bpermute_b32 v8, v9, v6
	v_xor_b32_e32 v9, 4, v2
	v_cmp_lt_i32_e64 s[10:11], v9, v3
	v_cndmask_b32_e64 v9, v2, v9, s[10:11]
	v_lshlrev_b32_e32 v9, 2, v9
	s_waitcnt lgkmcnt(0)
	v_add_f32_e32 v6, v6, v8
	ds_bpermute_b32 v8, v9, v6
	v_xor_b32_e32 v9, 2, v2
	v_cmp_lt_i32_e64 s[10:11], v9, v3
	v_cndmask_b32_e64 v2, v2, v9, s[10:11]
	v_lshlrev_b32_e32 v2, 2, v2
	s_waitcnt lgkmcnt(0)
	v_add_f32_e32 v3, v6, v8
	ds_bpermute_b32 v2, v2, v3
	s_waitcnt lgkmcnt(0)
	v_add_f32_e32 v2, v3, v2
	ds_bpermute_b32 v3, v12, v2
	s_waitcnt lgkmcnt(0)
	v_add_f32_e32 v2, v2, v3
	s_and_saveexec_b64 s[10:11], vcc
	s_cbranch_execz .LBB333_190
; %bb.189:
	ds_write_b32 v5, v2 offset:264
.LBB333_190:
	s_or_b64 exec, exec, s[10:11]
	s_waitcnt lgkmcnt(0)
	s_barrier
	s_and_saveexec_b64 s[10:11], s[2:3]
	s_cbranch_execz .LBB333_192
; %bb.191:
	ds_read_b32 v2, v7 offset:264
.LBB333_192:
	s_or_b64 exec, exec, s[10:11]
	s_waitcnt lgkmcnt(0)
	ds_bpermute_b32 v3, v12, v2
	s_waitcnt lgkmcnt(0)
	v_add_f32_e32 v2, v2, v3
	ds_bpermute_b32 v5, v13, v2
	s_and_saveexec_b64 s[2:3], s[4:5]
	s_cbranch_execz .LBB333_205
; %bb.193:
	s_waitcnt lgkmcnt(0)
	v_add_f32_e32 v2, 0x358637bd, v5
	v_div_scale_f32 v3, s[4:5], v2, v2, 1.0
	v_rcp_f32_e32 v6, v3
	v_div_scale_f32 v7, vcc, 1.0, v2, 1.0
	s_movk_i32 s4, 0x7f
	v_fma_f32 v8, -v3, v6, 1.0
	v_fmac_f32_e32 v6, v8, v6
	v_mul_f32_e32 v8, v7, v6
	v_fma_f32 v9, -v3, v8, v7
	v_fmac_f32_e32 v8, v9, v6
	v_fma_f32 v3, -v3, v8, v7
	v_div_fmas_f32 v3, v3, v6, v8
	v_div_fixup_f32 v2, v3, v2, 1.0
	v_xad_u32 v3, v0, -1, s44
	v_subrev_u32_e32 v6, s54, v3
	v_cmp_lt_u32_e32 vcc, s4, v6
	s_mov_b64 s[10:11], -1
	v_mov_b32_e32 v3, v0
	s_and_saveexec_b64 s[4:5], vcc
	s_cbranch_execz .LBB333_202
; %bb.194:
	v_lshrrev_b32_e32 v6, 7, v6
	v_add_u32_e32 v8, -1, v6
	v_lshrrev_b32_e32 v7, 1, v8
	v_mov_b32_e32 v3, v2
	v_add_u32_e32 v7, 1, v7
	v_cmp_lt_u32_e32 vcc, 13, v8
	v_mov_b32_e32 v12, 0
	s_and_saveexec_b64 s[10:11], vcc
	s_cbranch_execz .LBB333_198
; %bb.195:
	v_mov_b32_e32 v9, 0x110
	v_and_b32_e32 v8, -8, v7
	v_lshl_add_u32 v9, v0, 2, v9
	s_mov_b32 s18, 0
	s_mov_b64 s[12:13], 0
.LBB333_196:                            ; =>This Inner Loop Header: Depth=1
	ds_read2st64_b32 v[12:13], v9 offset1:2
	ds_read2st64_b32 v[14:15], v9 offset0:4 offset1:6
	ds_read2st64_b32 v[16:17], v9 offset0:8 offset1:10
	;; [unrolled: 1-line block ×3, first 2 shown]
	v_add_u32_e32 v8, -8, v8
	s_waitcnt lgkmcnt(3)
	v_pk_mul_f32 v[12:13], v[2:3], v[12:13]
	s_waitcnt lgkmcnt(2)
	v_pk_mul_f32 v[14:15], v[2:3], v[14:15]
	ds_write2st64_b32 v9, v12, v13 offset1:2
	ds_write2st64_b32 v9, v14, v15 offset0:4 offset1:6
	ds_read2st64_b32 v[14:15], v9 offset0:16 offset1:18
	s_waitcnt lgkmcnt(4)
	v_pk_mul_f32 v[12:13], v[2:3], v[16:17]
	ds_write2st64_b32 v9, v12, v13 offset0:8 offset1:10
	s_waitcnt lgkmcnt(4)
	v_pk_mul_f32 v[12:13], v[2:3], v[18:19]
	ds_write2st64_b32 v9, v12, v13 offset0:12 offset1:14
	ds_read2st64_b32 v[12:13], v9 offset0:20 offset1:22
	s_waitcnt lgkmcnt(3)
	v_pk_mul_f32 v[14:15], v[2:3], v[14:15]
	ds_read2st64_b32 v[16:17], v9 offset0:24 offset1:26
	ds_write2st64_b32 v9, v14, v15 offset0:16 offset1:18
	ds_read2st64_b32 v[14:15], v9 offset0:28 offset1:30
	s_waitcnt lgkmcnt(3)
	v_pk_mul_f32 v[12:13], v[2:3], v[12:13]
	ds_write2st64_b32 v9, v12, v13 offset0:20 offset1:22
	s_waitcnt lgkmcnt(3)
	v_pk_mul_f32 v[12:13], v[2:3], v[16:17]
	ds_write2st64_b32 v9, v12, v13 offset0:24 offset1:26
	s_waitcnt lgkmcnt(2)
	v_pk_mul_f32 v[12:13], v[2:3], v[14:15]
	s_add_i32 s18, s18, 16
	v_cmp_eq_u32_e32 vcc, 0, v8
	ds_write2st64_b32 v9, v12, v13 offset0:28 offset1:30
	v_add_u32_e32 v9, 0x2000, v9
	s_or_b64 s[12:13], vcc, s[12:13]
	v_mov_b32_e32 v12, s18
	s_andn2_b64 exec, exec, s[12:13]
	s_cbranch_execnz .LBB333_196
; %bb.197:
	s_or_b64 exec, exec, s[12:13]
.LBB333_198:
	s_or_b64 exec, exec, s[10:11]
	v_and_b32_e32 v7, 7, v7
	v_cmp_ne_u32_e32 vcc, 0, v7
	s_and_saveexec_b64 s[10:11], vcc
	s_cbranch_execz .LBB333_201
; %bb.199:
	v_lshlrev_b32_e32 v8, 9, v12
	v_lshlrev_b32_e32 v9, 2, v0
	s_movk_i32 s12, 0x110
	v_add3_u32 v8, v8, v9, s12
	s_mov_b64 s[12:13], 0
.LBB333_200:                            ; =>This Inner Loop Header: Depth=1
	ds_read2st64_b32 v[12:13], v8 offset1:2
	v_add_u32_e32 v7, -1, v7
	v_cmp_eq_u32_e32 vcc, 0, v7
	s_or_b64 s[12:13], vcc, s[12:13]
	s_waitcnt lgkmcnt(0)
	v_pk_mul_f32 v[12:13], v[2:3], v[12:13]
	ds_write2st64_b32 v8, v12, v13 offset1:2
	v_add_u32_e32 v8, 0x400, v8
	s_andn2_b64 exec, exec, s[12:13]
	s_cbranch_execnz .LBB333_200
.LBB333_201:
	s_or_b64 exec, exec, s[10:11]
	v_add_u32_e32 v6, 1, v6
	v_and_b32_e32 v7, 0x3fffffe, v6
	v_cmp_ne_u32_e32 vcc, v6, v7
	v_lshl_add_u32 v3, v7, 7, v0
	s_orn2_b64 s[10:11], vcc, exec
.LBB333_202:
	s_or_b64 exec, exec, s[4:5]
	s_and_b64 exec, exec, s[10:11]
	s_cbranch_execz .LBB333_205
; %bb.203:
	v_mov_b32_e32 v6, 0x110
	v_lshl_add_u32 v6, v3, 2, v6
	s_mov_b64 s[4:5], 0
.LBB333_204:                            ; =>This Inner Loop Header: Depth=1
	ds_read_b32 v7, v6
	v_add_u32_e32 v3, 0x80, v3
	v_cmp_le_i32_e32 vcc, s43, v3
	s_or_b64 s[4:5], vcc, s[4:5]
	s_waitcnt lgkmcnt(0)
	v_mul_f32_e32 v7, v2, v7
	ds_write_b32 v6, v7
	v_add_u32_e32 v6, 0x200, v6
	s_andn2_b64 exec, exec, s[4:5]
	s_cbranch_execnz .LBB333_204
.LBB333_205:
	s_or_b64 exec, exec, s[2:3]
	s_mul_i32 s2, s23, s34
	v_cmp_eq_u32_e32 vcc, 0, v0
	s_mul_i32 s2, s2, s9
	s_waitcnt lgkmcnt(0)
	s_barrier
	s_and_saveexec_b64 s[4:5], vcc
	s_cbranch_execz .LBB333_207
; %bb.206:
	s_ashr_i32 s3, s2, 31
	s_lshl_b64 s[10:11], s[2:3], 2
	s_add_u32 s3, s26, s10
	s_mul_i32 s12, s23, s6
	s_addc_u32 s9, s27, s11
	s_ashr_i32 s13, s12, 31
	s_lshl_b64 s[12:13], s[12:13], 2
	s_add_u32 s3, s3, s12
	s_addc_u32 s6, s9, s13
	s_ashr_i32 s9, s8, 31
	s_lshl_b64 s[18:19], s[8:9], 2
	s_add_u32 s26, s3, s18
	s_addc_u32 s27, s6, s19
	s_add_u32 s3, s24, s10
	s_addc_u32 s6, s25, s11
	;; [unrolled: 2-line block ×3, first 2 shown]
	s_add_u32 s10, s3, s18
	v_mov_b32_e32 v2, 0
	s_addc_u32 s11, s6, s19
	global_store_dword v2, v4, s[26:27]
	global_store_dword v2, v5, s[10:11]
.LBB333_207:
	s_or_b64 exec, exec, s[4:5]
	v_mov_b32_e32 v13, 0
	v_mov_b32_e32 v12, v13
	s_and_saveexec_b64 s[4:5], s[0:1]
	s_cbranch_execz .LBB333_473
; %bb.208:
	s_sub_i32 s3, s7, s21
	s_ashr_i32 s0, s20, 31
	s_add_u32 s1, s40, s20
	s_addc_u32 s0, s41, s0
	s_abs_i32 s9, s22
	v_cvt_f32_u32_e32 v2, s9
	v_lshlrev_b32_e32 v3, 3, v20
	s_sub_i32 s10, 0, s9
	s_add_i32 s24, s16, -1
	v_rcp_iflag_f32_e32 v2, v2
	v_mov_b32_e32 v4, s0
	v_add_co_u32_e32 v14, vcc, s1, v3
	v_mul_f32_e32 v2, 0x4f7ffffe, v2
	v_cvt_u32_f32_e32 v2, v2
	s_lshl_b64 s[0:1], s[38:39], 2
	s_add_u32 s0, s36, s0
	v_addc_co_u32_e32 v15, vcc, 0, v4, vcc
	v_mul_lo_u32 v5, s10, v2
	v_mul_hi_u32 v5, v2, v5
	v_add_u32_e32 v22, v2, v5
	v_lshlrev_b64 v[2:3], 2, v[10:11]
	s_addc_u32 s1, s37, s1
	s_mov_b32 s6, -1
	v_mov_b32_e32 v4, s1
	v_add_co_u32_e32 v16, vcc, s0, v2
	v_mov_b32_e32 v2, 0x110
	s_mov_b32 s22, s17
	s_mov_b32 s7, 0xffffff
	v_addc_co_u32_e32 v17, vcc, v4, v3, vcc
	v_lshl_add_u32 v11, v23, 5, v2
	s_mov_b64 s[10:11], 0
	v_mov_b32_e32 v23, 0
	s_mov_b32 s25, 0x7f800000
	s_movk_i32 s26, 0x7fff
	s_movk_i32 s27, 0x80
	;; [unrolled: 1-line block ×3, first 2 shown]
	v_mov_b32_e32 v19, 0
	v_bfrev_b32_e32 v24, 60
	v_mov_b32_e32 v25, 0
	v_mov_b32_e32 v13, 0
	s_branch .LBB333_211
.LBB333_209:                            ;   in Loop: Header=BB333_211 Depth=1
	s_or_b64 exec, exec, s[0:1]
	v_and_b32_e32 v33, 0xffff0000, v34
	v_and_b32_e32 v34, 0xffff0000, v9
	;; [unrolled: 1-line block ×12, first 2 shown]
	v_pk_add_f32 v[2:3], v[2:3], v[28:29]
	v_and_b32_e32 v32, 0xffff0000, v12
	v_and_b32_e32 v30, 0xffff0000, v30
	v_mov_b32_e32 v12, v3
	v_pk_add_f32 v[2:3], v[2:3], v[12:13]
	v_pk_add_f32 v[4:5], v[4:5], v[30:31]
	v_pk_add_f32 v[2:3], v[2:3], v[4:5]
	v_mov_b32_e32 v4, v5
	v_and_b32_e32 v7, 0xffff0000, v7
	v_pk_add_f32 v[2:3], v[2:3], v[4:5]
	v_and_b32_e32 v35, 0xffff0000, v26
	v_pk_add_f32 v[6:7], v[6:7], v[8:9]
	v_mov_b32_e32 v3, v2
	v_pk_add_f32 v[8:9], v[34:35], v[32:33]
	v_pk_add_f32 v[12:13], v[12:13], v[2:3]
	v_add_f32_e32 v2, v6, v7
	v_add_f32_e32 v2, v2, v8
	;; [unrolled: 1-line block ×4, first 2 shown]
.LBB333_210:                            ;   in Loop: Header=BB333_211 Depth=1
	s_or_b64 exec, exec, s[12:13]
	v_add_co_u32_e32 v16, vcc, 8, v16
	v_add_u32_e32 v10, 2, v10
	v_addc_co_u32_e32 v17, vcc, 0, v17, vcc
	v_cmp_le_i32_e32 vcc, s53, v10
	v_add_u32_e32 v1, 16, v1
	s_or_b64 s[10:11], vcc, s[10:11]
	v_add_u32_e32 v11, 64, v11
	s_andn2_b64 exec, exec, s[10:11]
	s_cbranch_execz .LBB333_472
.LBB333_211:                            ; =>This Inner Loop Header: Depth=1
	v_sub_u32_e32 v3, 0, v1
	v_max_i32_e32 v3, v1, v3
	v_mul_hi_u32 v4, v3, s35
	v_mul_lo_u32 v5, v4, s29
	v_sub_u32_e32 v3, v3, v5
	v_add_u32_e32 v5, 1, v4
	v_cmp_le_u32_e32 vcc, s29, v3
	v_cndmask_b32_e32 v4, v4, v5, vcc
	v_subrev_u32_e32 v5, s29, v3
	v_cndmask_b32_e32 v3, v3, v5, vcc
	v_ashrrev_i32_e32 v2, 31, v1
	v_add_u32_e32 v5, 1, v4
	v_cmp_le_u32_e32 vcc, s29, v3
	v_xor_b32_e32 v2, s52, v2
	v_cndmask_b32_e32 v3, v4, v5, vcc
	v_xor_b32_e32 v3, v3, v2
	v_sub_u32_e32 v2, v3, v2
	v_add_u32_e32 v3, s42, v2
	v_sub_u32_e32 v5, 0, v3
	v_ashrrev_i32_e32 v4, 31, v3
	v_max_i32_e32 v3, v3, v5
	v_mul_hi_u32 v5, v3, v22
	v_mul_lo_u32 v5, v5, s9
	v_sub_u32_e32 v3, v3, v5
	v_subrev_u32_e32 v5, s9, v3
	v_cmp_le_u32_e32 vcc, s9, v3
	v_cndmask_b32_e32 v3, v3, v5, vcc
	v_subrev_u32_e32 v5, s9, v3
	v_cmp_le_u32_e32 vcc, s9, v3
	v_cndmask_b32_e32 v3, v3, v5, vcc
	v_xor_b32_e32 v3, v3, v4
	v_sub_u32_e32 v3, v3, v4
	v_cmp_eq_u32_e32 vcc, 0, v3
	v_cmp_lt_i32_e64 s[0:1], s3, v2
	s_or_b64 s[0:1], vcc, s[0:1]
	s_and_saveexec_b64 s[12:13], s[0:1]
	s_cbranch_execz .LBB333_210
; %bb.212:                              ;   in Loop: Header=BB333_211 Depth=1
	global_load_dword v18, v[16:17], off
	ds_read2_b64 v[6:9], v11 offset1:1
	ds_read2_b64 v[2:5], v11 offset0:2 offset1:3
                                        ; implicit-def: $vgpr35
	s_waitcnt lgkmcnt(1)
	v_and_b32_e32 v12, 0x7f800000, v6
	v_cmp_ne_u32_e32 vcc, s25, v12
	s_and_saveexec_b64 s[0:1], vcc
	s_xor_b64 s[0:1], exec, s[0:1]
; %bb.213:                              ;   in Loop: Header=BB333_211 Depth=1
	v_bfe_u32 v12, v6, 16, 1
	v_add3_u32 v35, v6, v12, s26
; %bb.214:                              ;   in Loop: Header=BB333_211 Depth=1
	s_andn2_saveexec_b64 s[0:1], s[0:1]
; %bb.215:                              ;   in Loop: Header=BB333_211 Depth=1
	v_or_b32_e32 v12, 0x10000, v6
	v_cmp_eq_u32_sdwa vcc, v6, v23 src0_sel:WORD_0 src1_sel:DWORD
	v_cndmask_b32_e32 v35, v12, v6, vcc
; %bb.216:                              ;   in Loop: Header=BB333_211 Depth=1
	s_or_b64 exec, exec, s[0:1]
	v_and_b32_e32 v6, 0x7f800000, v7
	v_cmp_ne_u32_e32 vcc, s25, v6
                                        ; implicit-def: $vgpr36
	s_and_saveexec_b64 s[0:1], vcc
	s_xor_b64 s[0:1], exec, s[0:1]
; %bb.217:                              ;   in Loop: Header=BB333_211 Depth=1
	v_bfe_u32 v6, v7, 16, 1
	v_add3_u32 v36, v7, v6, s26
; %bb.218:                              ;   in Loop: Header=BB333_211 Depth=1
	s_andn2_saveexec_b64 s[0:1], s[0:1]
; %bb.219:                              ;   in Loop: Header=BB333_211 Depth=1
	v_or_b32_e32 v6, 0x10000, v7
	v_cmp_eq_u32_sdwa vcc, v7, v23 src0_sel:WORD_0 src1_sel:DWORD
	v_cndmask_b32_e32 v36, v6, v7, vcc
; %bb.220:                              ;   in Loop: Header=BB333_211 Depth=1
	s_or_b64 exec, exec, s[0:1]
	v_and_b32_e32 v6, 0x7f800000, v8
	v_cmp_ne_u32_e32 vcc, s25, v6
                                        ; implicit-def: $vgpr37
	s_and_saveexec_b64 s[0:1], vcc
	s_xor_b64 s[0:1], exec, s[0:1]
; %bb.221:                              ;   in Loop: Header=BB333_211 Depth=1
	v_bfe_u32 v6, v8, 16, 1
	v_add3_u32 v37, v8, v6, s26
; %bb.222:                              ;   in Loop: Header=BB333_211 Depth=1
	s_andn2_saveexec_b64 s[0:1], s[0:1]
; %bb.223:                              ;   in Loop: Header=BB333_211 Depth=1
	v_or_b32_e32 v6, 0x10000, v8
	v_cmp_eq_u32_sdwa vcc, v8, v23 src0_sel:WORD_0 src1_sel:DWORD
	v_cndmask_b32_e32 v37, v6, v8, vcc
; %bb.224:                              ;   in Loop: Header=BB333_211 Depth=1
	s_or_b64 exec, exec, s[0:1]
	v_and_b32_e32 v6, 0x7f800000, v9
	v_cmp_ne_u32_e32 vcc, s25, v6
                                        ; implicit-def: $vgpr38
	s_and_saveexec_b64 s[0:1], vcc
	s_xor_b64 s[0:1], exec, s[0:1]
; %bb.225:                              ;   in Loop: Header=BB333_211 Depth=1
	v_bfe_u32 v6, v9, 16, 1
	v_add3_u32 v38, v9, v6, s26
                                        ; implicit-def: $vgpr6_vgpr7_vgpr8_vgpr9
; %bb.226:                              ;   in Loop: Header=BB333_211 Depth=1
	s_andn2_saveexec_b64 s[0:1], s[0:1]
; %bb.227:                              ;   in Loop: Header=BB333_211 Depth=1
	v_or_b32_e32 v6, 0x10000, v9
	v_cmp_eq_u32_sdwa vcc, v9, v23 src0_sel:WORD_0 src1_sel:DWORD
	v_cndmask_b32_e32 v38, v6, v9, vcc
; %bb.228:                              ;   in Loop: Header=BB333_211 Depth=1
	s_or_b64 exec, exec, s[0:1]
	s_waitcnt lgkmcnt(0)
	v_and_b32_e32 v6, 0x7f800000, v2
	v_cmp_ne_u32_e32 vcc, s25, v6
                                        ; implicit-def: $vgpr9
	s_and_saveexec_b64 s[0:1], vcc
	s_xor_b64 s[0:1], exec, s[0:1]
; %bb.229:                              ;   in Loop: Header=BB333_211 Depth=1
	v_bfe_u32 v6, v2, 16, 1
	v_add3_u32 v9, v2, v6, s26
; %bb.230:                              ;   in Loop: Header=BB333_211 Depth=1
	s_andn2_saveexec_b64 s[0:1], s[0:1]
; %bb.231:                              ;   in Loop: Header=BB333_211 Depth=1
	v_or_b32_e32 v6, 0x10000, v2
	v_cmp_eq_u32_sdwa vcc, v2, v23 src0_sel:WORD_0 src1_sel:DWORD
	v_cndmask_b32_e32 v9, v6, v2, vcc
; %bb.232:                              ;   in Loop: Header=BB333_211 Depth=1
	s_or_b64 exec, exec, s[0:1]
	v_and_b32_e32 v2, 0x7f800000, v3
	v_cmp_ne_u32_e32 vcc, s25, v2
                                        ; implicit-def: $vgpr12
	s_and_saveexec_b64 s[0:1], vcc
	s_xor_b64 s[0:1], exec, s[0:1]
; %bb.233:                              ;   in Loop: Header=BB333_211 Depth=1
	v_bfe_u32 v2, v3, 16, 1
	v_add3_u32 v12, v3, v2, s26
; %bb.234:                              ;   in Loop: Header=BB333_211 Depth=1
	s_andn2_saveexec_b64 s[0:1], s[0:1]
; %bb.235:                              ;   in Loop: Header=BB333_211 Depth=1
	v_or_b32_e32 v2, 0x10000, v3
	v_cmp_eq_u32_sdwa vcc, v3, v23 src0_sel:WORD_0 src1_sel:DWORD
	v_cndmask_b32_e32 v12, v2, v3, vcc
; %bb.236:                              ;   in Loop: Header=BB333_211 Depth=1
	s_or_b64 exec, exec, s[0:1]
	v_and_b32_e32 v2, 0x7f800000, v4
	v_cmp_ne_u32_e32 vcc, s25, v2
                                        ; implicit-def: $vgpr26
	s_and_saveexec_b64 s[0:1], vcc
	s_xor_b64 s[0:1], exec, s[0:1]
; %bb.237:                              ;   in Loop: Header=BB333_211 Depth=1
	v_bfe_u32 v2, v4, 16, 1
	v_add3_u32 v26, v4, v2, s26
; %bb.238:                              ;   in Loop: Header=BB333_211 Depth=1
	s_andn2_saveexec_b64 s[0:1], s[0:1]
; %bb.239:                              ;   in Loop: Header=BB333_211 Depth=1
	v_or_b32_e32 v2, 0x10000, v4
	v_cmp_eq_u32_sdwa vcc, v4, v23 src0_sel:WORD_0 src1_sel:DWORD
	v_cndmask_b32_e32 v26, v2, v4, vcc
; %bb.240:                              ;   in Loop: Header=BB333_211 Depth=1
	s_or_b64 exec, exec, s[0:1]
	v_and_b32_e32 v2, 0x7f800000, v5
	v_cmp_ne_u32_e32 vcc, s25, v2
                                        ; implicit-def: $vgpr34
	s_and_saveexec_b64 s[0:1], vcc
	s_xor_b64 s[0:1], exec, s[0:1]
; %bb.241:                              ;   in Loop: Header=BB333_211 Depth=1
	v_bfe_u32 v2, v5, 16, 1
	v_add3_u32 v34, v5, v2, s26
                                        ; implicit-def: $vgpr2_vgpr3_vgpr4_vgpr5
; %bb.242:                              ;   in Loop: Header=BB333_211 Depth=1
	s_andn2_saveexec_b64 s[0:1], s[0:1]
; %bb.243:                              ;   in Loop: Header=BB333_211 Depth=1
	v_or_b32_e32 v2, 0x10000, v5
	v_cmp_eq_u32_sdwa vcc, v5, v23 src0_sel:WORD_0 src1_sel:DWORD
	v_cndmask_b32_e32 v34, v2, v5, vcc
; %bb.244:                              ;   in Loop: Header=BB333_211 Depth=1
	s_or_b64 exec, exec, s[0:1]
	s_waitcnt vmcnt(0)
	v_mad_i64_i32 v[2:3], s[0:1], v18, s22, v[14:15]
	global_load_dwordx2 v[4:5], v[2:3], off
	s_load_dword s36, s[14:15], 0x0
	v_mov_b32_e32 v6, 0
	s_waitcnt vmcnt(0)
	v_cmp_ne_u16_sdwa s[16:17], v4, v23 src0_sel:BYTE_0 src1_sel:DWORD
	s_and_saveexec_b64 s[0:1], s[16:17]
	s_cbranch_execz .LBB333_250
; %bb.245:                              ;   in Loop: Header=BB333_211 Depth=1
	v_cmp_ne_u16_sdwa s[18:19], v4, s27 src0_sel:BYTE_0 src1_sel:DWORD
	v_bfrev_b32_e32 v6, 1
	s_and_saveexec_b64 s[16:17], s[18:19]
	s_cbranch_execz .LBB333_249
; %bb.246:                              ;   in Loop: Header=BB333_211 Depth=1
	v_and_b32_e32 v7, 0x7f, v4
	v_cmp_ne_u32_e32 vcc, s34, v7
	v_mov_b32_e32 v6, 0x7f800001
	s_and_saveexec_b64 s[18:19], vcc
	s_cbranch_execz .LBB333_248
; %bb.247:                              ;   in Loop: Header=BB333_211 Depth=1
	v_and_b32_e32 v6, 7, v4
	v_ffbh_u32_e32 v6, v6
	v_min_u32_e32 v6, 32, v6
	v_lshrrev_b32_e32 v8, 3, v7
	v_subrev_u32_e32 v18, 28, v6
	v_sub_u32_e32 v6, 29, v6
	v_cmp_gt_u32_e32 vcc, 8, v7
	v_cndmask_b32_e32 v8, v8, v6, vcc
	v_cndmask_b32_e32 v6, 0, v18, vcc
	v_lshlrev_b64 v[6:7], v6, v[4:5]
	v_lshlrev_b32_e32 v6, 20, v6
	v_lshlrev_b32_e32 v7, 24, v4
	v_and_b32_e32 v6, 0x700000, v6
	v_and_b32_e32 v7, 0x80000000, v7
	v_lshl_add_u32 v8, v8, 23, v24
	v_or3_b32 v6, v7, v8, v6
.LBB333_248:                            ;   in Loop: Header=BB333_211 Depth=1
	s_or_b64 exec, exec, s[18:19]
.LBB333_249:                            ;   in Loop: Header=BB333_211 Depth=1
	s_or_b64 exec, exec, s[16:17]
.LBB333_250:                            ;   in Loop: Header=BB333_211 Depth=1
	s_or_b64 exec, exec, s[0:1]
	s_waitcnt lgkmcnt(0)
	v_mul_f32_e32 v6, s36, v6
	v_and_b32_e32 v7, 0x7f800000, v6
	v_cmp_ne_u32_e32 vcc, s25, v7
                                        ; implicit-def: $vgpr7
	s_and_saveexec_b64 s[0:1], vcc
	s_xor_b64 s[0:1], exec, s[0:1]
; %bb.251:                              ;   in Loop: Header=BB333_211 Depth=1
	v_bfe_u32 v7, v6, 16, 1
	v_add3_u32 v7, v6, v7, s26
                                        ; implicit-def: $vgpr6
; %bb.252:                              ;   in Loop: Header=BB333_211 Depth=1
	s_andn2_saveexec_b64 s[0:1], s[0:1]
; %bb.253:                              ;   in Loop: Header=BB333_211 Depth=1
	v_or_b32_e32 v7, 0x10000, v6
	v_cmp_eq_u32_sdwa vcc, v6, v23 src0_sel:WORD_0 src1_sel:DWORD
	v_cndmask_b32_e32 v7, v7, v6, vcc
; %bb.254:                              ;   in Loop: Header=BB333_211 Depth=1
	s_or_b64 exec, exec, s[0:1]
	v_lshrrev_b16_e32 v6, 8, v4
	v_cmp_ne_u16_e32 vcc, 0, v6
	v_mov_b32_e32 v8, 0
	s_and_saveexec_b64 s[0:1], vcc
	s_cbranch_execz .LBB333_260
; %bb.255:                              ;   in Loop: Header=BB333_211 Depth=1
	v_cmp_ne_u16_e32 vcc, s27, v6
	v_bfrev_b32_e32 v8, 1
	s_and_saveexec_b64 s[16:17], vcc
	s_cbranch_execz .LBB333_259
; %bb.256:                              ;   in Loop: Header=BB333_211 Depth=1
	v_and_b32_e32 v18, 0x7f, v6
	v_cmp_ne_u32_e32 vcc, s34, v18
	v_mov_b32_e32 v8, 0x7f800001
	s_and_saveexec_b64 s[18:19], vcc
	s_cbranch_execz .LBB333_258
; %bb.257:                              ;   in Loop: Header=BB333_211 Depth=1
	v_and_b32_e32 v8, 7, v6
	v_ffbh_u32_e32 v28, v8
	v_min_u32_e32 v30, 32, v28
	v_subrev_u32_e32 v28, 28, v30
	v_lshlrev_b64 v[28:29], v28, v[6:7]
	v_lshrrev_b32_e32 v27, 3, v18
	v_sub_u32_e32 v6, 29, v30
	v_and_b32_e32 v28, 7, v28
	v_cmp_gt_u32_e32 vcc, 8, v18
	v_cndmask_b32_e32 v6, v27, v6, vcc
	v_cndmask_b32_e32 v8, v8, v28, vcc
	v_lshlrev_b32_e32 v18, 16, v4
	v_lshlrev_b32_e32 v8, 20, v8
	v_and_b32_e32 v18, 0x80000000, v18
	v_lshl_add_u32 v6, v6, 23, v24
	v_or3_b32 v8, v18, v6, v8
.LBB333_258:                            ;   in Loop: Header=BB333_211 Depth=1
	s_or_b64 exec, exec, s[18:19]
.LBB333_259:                            ;   in Loop: Header=BB333_211 Depth=1
	s_or_b64 exec, exec, s[16:17]
.LBB333_260:                            ;   in Loop: Header=BB333_211 Depth=1
	s_or_b64 exec, exec, s[0:1]
	v_mul_f32_e32 v6, s36, v8
	v_and_b32_e32 v8, 0x7f800000, v6
	v_cmp_ne_u32_e32 vcc, s25, v8
                                        ; implicit-def: $vgpr8
	s_and_saveexec_b64 s[0:1], vcc
	s_xor_b64 s[0:1], exec, s[0:1]
; %bb.261:                              ;   in Loop: Header=BB333_211 Depth=1
	v_bfe_u32 v8, v6, 16, 1
	v_add3_u32 v8, v6, v8, s26
                                        ; implicit-def: $vgpr6
; %bb.262:                              ;   in Loop: Header=BB333_211 Depth=1
	s_andn2_saveexec_b64 s[0:1], s[0:1]
; %bb.263:                              ;   in Loop: Header=BB333_211 Depth=1
	v_or_b32_e32 v8, 0x10000, v6
	v_cmp_eq_u32_sdwa vcc, v6, v23 src0_sel:WORD_0 src1_sel:DWORD
	v_cndmask_b32_e32 v8, v8, v6, vcc
; %bb.264:                              ;   in Loop: Header=BB333_211 Depth=1
	s_or_b64 exec, exec, s[0:1]
	v_lshrrev_b32_e32 v6, 16, v4
	v_cmp_ne_u16_sdwa s[16:17], v6, v23 src0_sel:BYTE_0 src1_sel:DWORD
	v_mov_b32_e32 v18, 0
	s_and_saveexec_b64 s[0:1], s[16:17]
	s_cbranch_execz .LBB333_270
; %bb.265:                              ;   in Loop: Header=BB333_211 Depth=1
	v_cmp_ne_u16_sdwa s[18:19], v6, s27 src0_sel:BYTE_0 src1_sel:DWORD
	v_bfrev_b32_e32 v18, 1
	s_and_saveexec_b64 s[16:17], s[18:19]
	s_cbranch_execz .LBB333_269
; %bb.266:                              ;   in Loop: Header=BB333_211 Depth=1
	v_bfe_u32 v27, v4, 16, 7
	v_cmp_ne_u32_e32 vcc, s34, v27
	v_mov_b32_e32 v18, 0x7f800001
	s_and_saveexec_b64 s[18:19], vcc
	s_cbranch_execz .LBB333_268
; %bb.267:                              ;   in Loop: Header=BB333_211 Depth=1
	v_and_b32_e32 v18, 7, v6
	v_ffbh_u32_e32 v28, v18
	v_min_u32_e32 v31, 32, v28
	v_subrev_u32_e32 v28, 28, v31
	v_lshlrev_b64 v[28:29], v28, v[6:7]
	v_lshrrev_b32_e32 v30, 3, v27
	v_sub_u32_e32 v29, 29, v31
	v_and_b32_e32 v28, 7, v28
	v_cmp_gt_u32_e32 vcc, 8, v27
	v_cndmask_b32_e32 v27, v30, v29, vcc
	v_cndmask_b32_e32 v18, v18, v28, vcc
	v_lshlrev_b32_e32 v6, 24, v6
	v_lshlrev_b32_e32 v18, 20, v18
	v_and_b32_e32 v6, 0x80000000, v6
	v_lshl_add_u32 v27, v27, 23, v24
	v_or3_b32 v18, v6, v27, v18
.LBB333_268:                            ;   in Loop: Header=BB333_211 Depth=1
	s_or_b64 exec, exec, s[18:19]
.LBB333_269:                            ;   in Loop: Header=BB333_211 Depth=1
	s_or_b64 exec, exec, s[16:17]
.LBB333_270:                            ;   in Loop: Header=BB333_211 Depth=1
	s_or_b64 exec, exec, s[0:1]
	v_mul_f32_e32 v6, s36, v18
	v_and_b32_e32 v18, 0x7f800000, v6
	v_cmp_ne_u32_e32 vcc, s25, v18
                                        ; implicit-def: $vgpr27
	s_and_saveexec_b64 s[0:1], vcc
	s_xor_b64 s[0:1], exec, s[0:1]
; %bb.271:                              ;   in Loop: Header=BB333_211 Depth=1
	v_bfe_u32 v18, v6, 16, 1
	v_add3_u32 v27, v6, v18, s26
                                        ; implicit-def: $vgpr6
; %bb.272:                              ;   in Loop: Header=BB333_211 Depth=1
	s_andn2_saveexec_b64 s[0:1], s[0:1]
; %bb.273:                              ;   in Loop: Header=BB333_211 Depth=1
	v_or_b32_e32 v18, 0x10000, v6
	v_cmp_eq_u32_sdwa vcc, v6, v23 src0_sel:WORD_0 src1_sel:DWORD
	v_cndmask_b32_e32 v27, v18, v6, vcc
; %bb.274:                              ;   in Loop: Header=BB333_211 Depth=1
	s_or_b64 exec, exec, s[0:1]
	v_cmp_lt_u32_e32 vcc, s7, v4
	v_mov_b32_e32 v18, 0
	s_and_saveexec_b64 s[0:1], vcc
	s_cbranch_execz .LBB333_280
; %bb.275:                              ;   in Loop: Header=BB333_211 Depth=1
	v_lshrrev_b32_e32 v6, 24, v4
	v_cmp_ne_u32_e32 vcc, s27, v6
	v_bfrev_b32_e32 v18, 1
	s_and_saveexec_b64 s[16:17], vcc
	s_cbranch_execz .LBB333_279
; %bb.276:                              ;   in Loop: Header=BB333_211 Depth=1
	v_bfe_u32 v28, v4, 24, 7
	v_cmp_ne_u32_e32 vcc, s34, v28
	v_mov_b32_e32 v18, 0x7f800001
	s_and_saveexec_b64 s[18:19], vcc
	s_cbranch_execz .LBB333_278
; %bb.277:                              ;   in Loop: Header=BB333_211 Depth=1
	v_and_b32_e32 v18, 7, v6
	v_ffbh_u32_e32 v30, v18
	v_min_u32_e32 v32, 32, v30
	v_subrev_u32_e32 v30, 28, v32
	v_lshlrev_b64 v[30:31], v30, v[6:7]
	v_lshrrev_b32_e32 v29, 3, v28
	v_sub_u32_e32 v31, 29, v32
	v_and_b32_e32 v30, 7, v30
	v_cmp_gt_u32_e32 vcc, 8, v28
	v_cndmask_b32_e32 v28, v29, v31, vcc
	v_cndmask_b32_e32 v18, v18, v30, vcc
	v_lshlrev_b32_e32 v6, 24, v6
	v_lshlrev_b32_e32 v18, 20, v18
	v_and_b32_e32 v6, 0x80000000, v6
	v_lshl_add_u32 v28, v28, 23, v24
	v_or3_b32 v18, v6, v28, v18
.LBB333_278:                            ;   in Loop: Header=BB333_211 Depth=1
	s_or_b64 exec, exec, s[18:19]
.LBB333_279:                            ;   in Loop: Header=BB333_211 Depth=1
	s_or_b64 exec, exec, s[16:17]
.LBB333_280:                            ;   in Loop: Header=BB333_211 Depth=1
	s_or_b64 exec, exec, s[0:1]
	v_mul_f32_e32 v6, s36, v18
	v_and_b32_e32 v18, 0x7f800000, v6
	v_cmp_ne_u32_e32 vcc, s25, v18
                                        ; implicit-def: $vgpr28
	s_and_saveexec_b64 s[0:1], vcc
	s_xor_b64 s[0:1], exec, s[0:1]
; %bb.281:                              ;   in Loop: Header=BB333_211 Depth=1
	v_bfe_u32 v18, v6, 16, 1
	v_add3_u32 v28, v6, v18, s26
                                        ; implicit-def: $vgpr6
; %bb.282:                              ;   in Loop: Header=BB333_211 Depth=1
	s_andn2_saveexec_b64 s[0:1], s[0:1]
; %bb.283:                              ;   in Loop: Header=BB333_211 Depth=1
	v_or_b32_e32 v18, 0x10000, v6
	v_cmp_eq_u32_sdwa vcc, v6, v23 src0_sel:WORD_0 src1_sel:DWORD
	v_cndmask_b32_e32 v28, v18, v6, vcc
; %bb.284:                              ;   in Loop: Header=BB333_211 Depth=1
	s_or_b64 exec, exec, s[0:1]
	v_mov_b32_e32 v18, v5
	v_cmp_ne_u16_sdwa s[16:17], v5, v23 src0_sel:BYTE_0 src1_sel:DWORD
	v_mov_b32_e32 v6, 0
	s_and_saveexec_b64 s[0:1], s[16:17]
	s_cbranch_execz .LBB333_290
; %bb.285:                              ;   in Loop: Header=BB333_211 Depth=1
	v_cmp_ne_u16_sdwa s[18:19], v5, s27 src0_sel:BYTE_0 src1_sel:DWORD
	v_bfrev_b32_e32 v6, 1
	s_and_saveexec_b64 s[16:17], s[18:19]
	s_cbranch_execz .LBB333_289
; %bb.286:                              ;   in Loop: Header=BB333_211 Depth=1
	v_and_b32_e32 v29, 0x7f, v5
	v_cmp_ne_u32_e32 vcc, s34, v29
	v_mov_b32_e32 v6, 0x7f800001
	s_and_saveexec_b64 s[18:19], vcc
	s_cbranch_execz .LBB333_288
; %bb.287:                              ;   in Loop: Header=BB333_211 Depth=1
	v_and_b32_e32 v6, 7, v5
	v_ffbh_u32_e32 v6, v6
	v_min_u32_e32 v6, 32, v6
	v_subrev_u32_e32 v31, 28, v6
	v_cmp_gt_u32_e32 vcc, 8, v29
	v_lshrrev_b32_e32 v30, 3, v29
	v_sub_u32_e32 v6, 29, v6
	v_cndmask_b32_e32 v29, 0, v31, vcc
	v_cndmask_b32_e32 v6, v30, v6, vcc
	v_lshlrev_b64 v[30:31], v29, v[18:19]
	v_lshlrev_b32_e32 v29, 20, v30
	v_lshlrev_b32_e32 v30, 24, v18
	v_and_b32_e32 v29, 0x700000, v29
	v_and_b32_e32 v30, 0x80000000, v30
	v_lshl_add_u32 v6, v6, 23, v24
	v_or3_b32 v6, v30, v6, v29
.LBB333_288:                            ;   in Loop: Header=BB333_211 Depth=1
	s_or_b64 exec, exec, s[18:19]
.LBB333_289:                            ;   in Loop: Header=BB333_211 Depth=1
	s_or_b64 exec, exec, s[16:17]
.LBB333_290:                            ;   in Loop: Header=BB333_211 Depth=1
	s_or_b64 exec, exec, s[0:1]
	v_mul_f32_e32 v6, s36, v6
	v_and_b32_e32 v29, 0x7f800000, v6
	v_cmp_ne_u32_e32 vcc, s25, v29
                                        ; implicit-def: $vgpr29
	s_and_saveexec_b64 s[0:1], vcc
	s_xor_b64 s[0:1], exec, s[0:1]
; %bb.291:                              ;   in Loop: Header=BB333_211 Depth=1
	v_bfe_u32 v29, v6, 16, 1
	v_add3_u32 v29, v6, v29, s26
                                        ; implicit-def: $vgpr6
; %bb.292:                              ;   in Loop: Header=BB333_211 Depth=1
	s_andn2_saveexec_b64 s[0:1], s[0:1]
; %bb.293:                              ;   in Loop: Header=BB333_211 Depth=1
	v_or_b32_e32 v29, 0x10000, v6
	v_cmp_eq_u32_sdwa vcc, v6, v23 src0_sel:WORD_0 src1_sel:DWORD
	v_cndmask_b32_e32 v29, v29, v6, vcc
; %bb.294:                              ;   in Loop: Header=BB333_211 Depth=1
	s_or_b64 exec, exec, s[0:1]
	v_lshrrev_b16_e32 v6, 8, v18
	v_cmp_ne_u16_e32 vcc, 0, v6
	v_mov_b32_e32 v30, 0
	s_and_saveexec_b64 s[0:1], vcc
	s_cbranch_execz .LBB333_300
; %bb.295:                              ;   in Loop: Header=BB333_211 Depth=1
	v_cmp_ne_u16_e32 vcc, s27, v6
	v_bfrev_b32_e32 v30, 1
	s_and_saveexec_b64 s[16:17], vcc
	s_cbranch_execz .LBB333_299
; %bb.296:                              ;   in Loop: Header=BB333_211 Depth=1
	v_and_b32_e32 v31, 0x7f, v6
	v_cmp_ne_u32_e32 vcc, s34, v31
	v_mov_b32_e32 v30, 0x7f800001
	s_and_saveexec_b64 s[18:19], vcc
	s_cbranch_execz .LBB333_298
; %bb.297:                              ;   in Loop: Header=BB333_211 Depth=1
	v_and_b32_e32 v30, 7, v6
	v_ffbh_u32_e32 v32, v30
	v_min_u32_e32 v40, 32, v32
	v_subrev_u32_e32 v32, 28, v40
	v_lshlrev_b64 v[32:33], v32, v[6:7]
	v_lshrrev_b32_e32 v39, 3, v31
	v_sub_u32_e32 v6, 29, v40
	v_and_b32_e32 v32, 7, v32
	v_cmp_gt_u32_e32 vcc, 8, v31
	v_cndmask_b32_e32 v6, v39, v6, vcc
	v_cndmask_b32_e32 v30, v30, v32, vcc
	v_lshlrev_b32_e32 v18, 16, v18
	v_lshlrev_b32_e32 v30, 20, v30
	v_and_b32_e32 v18, 0x80000000, v18
	v_lshl_add_u32 v6, v6, 23, v24
	v_or3_b32 v30, v18, v6, v30
.LBB333_298:                            ;   in Loop: Header=BB333_211 Depth=1
	s_or_b64 exec, exec, s[18:19]
.LBB333_299:                            ;   in Loop: Header=BB333_211 Depth=1
	s_or_b64 exec, exec, s[16:17]
.LBB333_300:                            ;   in Loop: Header=BB333_211 Depth=1
	s_or_b64 exec, exec, s[0:1]
	v_mul_f32_e32 v6, s36, v30
	v_and_b32_e32 v18, 0x7f800000, v6
	v_cmp_ne_u32_e32 vcc, s25, v18
                                        ; implicit-def: $vgpr18
	s_and_saveexec_b64 s[0:1], vcc
	s_xor_b64 s[0:1], exec, s[0:1]
; %bb.301:                              ;   in Loop: Header=BB333_211 Depth=1
	v_bfe_u32 v18, v6, 16, 1
	v_add3_u32 v18, v6, v18, s26
                                        ; implicit-def: $vgpr6
; %bb.302:                              ;   in Loop: Header=BB333_211 Depth=1
	s_andn2_saveexec_b64 s[0:1], s[0:1]
; %bb.303:                              ;   in Loop: Header=BB333_211 Depth=1
	v_or_b32_e32 v18, 0x10000, v6
	v_cmp_eq_u32_sdwa vcc, v6, v23 src0_sel:WORD_0 src1_sel:DWORD
	v_cndmask_b32_e32 v18, v18, v6, vcc
; %bb.304:                              ;   in Loop: Header=BB333_211 Depth=1
	s_or_b64 exec, exec, s[0:1]
	v_lshrrev_b32_e32 v6, 16, v5
	v_cmp_ne_u16_sdwa s[16:17], v6, v23 src0_sel:BYTE_0 src1_sel:DWORD
	v_mov_b32_e32 v30, 0
	s_and_saveexec_b64 s[0:1], s[16:17]
	s_cbranch_execz .LBB333_310
; %bb.305:                              ;   in Loop: Header=BB333_211 Depth=1
	v_cmp_ne_u16_sdwa s[18:19], v6, s27 src0_sel:BYTE_0 src1_sel:DWORD
	v_bfrev_b32_e32 v30, 1
	s_and_saveexec_b64 s[16:17], s[18:19]
	s_cbranch_execz .LBB333_309
; %bb.306:                              ;   in Loop: Header=BB333_211 Depth=1
	v_bfe_u32 v31, v5, 16, 7
	v_cmp_ne_u32_e32 vcc, s34, v31
	v_mov_b32_e32 v30, 0x7f800001
	s_and_saveexec_b64 s[18:19], vcc
	s_cbranch_execz .LBB333_308
; %bb.307:                              ;   in Loop: Header=BB333_211 Depth=1
	v_and_b32_e32 v30, 7, v6
	v_ffbh_u32_e32 v32, v30
	v_min_u32_e32 v40, 32, v32
	v_subrev_u32_e32 v32, 28, v40
	v_lshlrev_b64 v[32:33], v32, v[6:7]
	v_lshrrev_b32_e32 v39, 3, v31
	v_sub_u32_e32 v33, 29, v40
	v_and_b32_e32 v32, 7, v32
	v_cmp_gt_u32_e32 vcc, 8, v31
	v_cndmask_b32_e32 v31, v39, v33, vcc
	v_cndmask_b32_e32 v30, v30, v32, vcc
	v_lshlrev_b32_e32 v6, 24, v6
	v_lshlrev_b32_e32 v30, 20, v30
	v_and_b32_e32 v6, 0x80000000, v6
	v_lshl_add_u32 v31, v31, 23, v24
	v_or3_b32 v30, v6, v31, v30
.LBB333_308:                            ;   in Loop: Header=BB333_211 Depth=1
	s_or_b64 exec, exec, s[18:19]
.LBB333_309:                            ;   in Loop: Header=BB333_211 Depth=1
	s_or_b64 exec, exec, s[16:17]
.LBB333_310:                            ;   in Loop: Header=BB333_211 Depth=1
	s_or_b64 exec, exec, s[0:1]
	v_mul_f32_e32 v30, s36, v30
	v_and_b32_e32 v6, 0x7f800000, v30
	v_cmp_ne_u32_e32 vcc, s25, v6
                                        ; implicit-def: $vgpr6
	s_and_saveexec_b64 s[0:1], vcc
	s_xor_b64 s[0:1], exec, s[0:1]
; %bb.311:                              ;   in Loop: Header=BB333_211 Depth=1
	v_bfe_u32 v6, v30, 16, 1
	v_add3_u32 v6, v30, v6, s26
                                        ; implicit-def: $vgpr30
; %bb.312:                              ;   in Loop: Header=BB333_211 Depth=1
	s_andn2_saveexec_b64 s[0:1], s[0:1]
; %bb.313:                              ;   in Loop: Header=BB333_211 Depth=1
	v_or_b32_e32 v6, 0x10000, v30
	v_cmp_eq_u32_sdwa vcc, v30, v23 src0_sel:WORD_0 src1_sel:DWORD
	v_cndmask_b32_e32 v6, v6, v30, vcc
; %bb.314:                              ;   in Loop: Header=BB333_211 Depth=1
	s_or_b64 exec, exec, s[0:1]
	v_cmp_lt_u64_e32 vcc, s[6:7], v[4:5]
	v_mov_b32_e32 v30, 0
	s_and_saveexec_b64 s[0:1], vcc
	s_cbranch_execz .LBB333_320
; %bb.315:                              ;   in Loop: Header=BB333_211 Depth=1
	v_lshrrev_b32_e32 v4, 24, v5
	v_cmp_ne_u32_e32 vcc, s27, v4
	v_bfrev_b32_e32 v30, 1
	s_and_saveexec_b64 s[16:17], vcc
	s_cbranch_execz .LBB333_319
; %bb.316:                              ;   in Loop: Header=BB333_211 Depth=1
	v_bfe_u32 v5, v5, 24, 7
	v_cmp_ne_u32_e32 vcc, s34, v5
	v_mov_b32_e32 v30, 0x7f800001
	s_and_saveexec_b64 s[18:19], vcc
	s_cbranch_execz .LBB333_318
; %bb.317:                              ;   in Loop: Header=BB333_211 Depth=1
	v_and_b32_e32 v32, 7, v4
	v_ffbh_u32_e32 v30, v32
	v_min_u32_e32 v39, 32, v30
	v_subrev_u32_e32 v30, 28, v39
	v_lshlrev_b64 v[30:31], v30, v[4:5]
	v_lshrrev_b32_e32 v33, 3, v5
	v_sub_u32_e32 v31, 29, v39
	v_and_b32_e32 v30, 7, v30
	v_cmp_gt_u32_e32 vcc, 8, v5
	v_cndmask_b32_e32 v5, v33, v31, vcc
	v_cndmask_b32_e32 v30, v32, v30, vcc
	v_lshlrev_b32_e32 v4, 24, v4
	v_lshlrev_b32_e32 v30, 20, v30
	v_and_b32_e32 v4, 0x80000000, v4
	v_lshl_add_u32 v5, v5, 23, v24
	v_or3_b32 v30, v4, v5, v30
.LBB333_318:                            ;   in Loop: Header=BB333_211 Depth=1
	s_or_b64 exec, exec, s[18:19]
.LBB333_319:                            ;   in Loop: Header=BB333_211 Depth=1
	s_or_b64 exec, exec, s[16:17]
.LBB333_320:                            ;   in Loop: Header=BB333_211 Depth=1
	s_or_b64 exec, exec, s[0:1]
	v_mul_f32_e32 v5, s36, v30
	v_and_b32_e32 v4, 0x7f800000, v5
	v_cmp_ne_u32_e32 vcc, s25, v4
                                        ; implicit-def: $vgpr4
	s_and_saveexec_b64 s[0:1], vcc
	s_xor_b64 s[0:1], exec, s[0:1]
; %bb.321:                              ;   in Loop: Header=BB333_211 Depth=1
	v_bfe_u32 v4, v5, 16, 1
	v_add3_u32 v4, v5, v4, s26
                                        ; implicit-def: $vgpr5
; %bb.322:                              ;   in Loop: Header=BB333_211 Depth=1
	s_andn2_saveexec_b64 s[0:1], s[0:1]
; %bb.323:                              ;   in Loop: Header=BB333_211 Depth=1
	v_or_b32_e32 v4, 0x10000, v5
	v_cmp_eq_u32_sdwa vcc, v5, v23 src0_sel:WORD_0 src1_sel:DWORD
	v_cndmask_b32_e32 v4, v4, v5, vcc
; %bb.324:                              ;   in Loop: Header=BB333_211 Depth=1
	s_or_b64 exec, exec, s[0:1]
	v_cmp_eq_u32_e32 vcc, s24, v10
	v_lshrrev_b32_e32 v41, 16, v18
	v_lshrrev_b32_e32 v40, 16, v29
	;; [unrolled: 1-line block ×8, first 2 shown]
	v_add_u32_e32 v33, 1, v1
	v_add_u32_e32 v32, 2, v1
	;; [unrolled: 1-line block ×7, first 2 shown]
	s_and_saveexec_b64 s[16:17], vcc
	s_cbranch_execz .LBB333_326
; %bb.325:                              ;   in Loop: Header=BB333_211 Depth=1
	v_cmp_gt_i32_e64 s[0:1], s33, v1
	v_cndmask_b32_e64 v5, 0, v5, s[0:1]
	v_cmp_gt_i32_e64 s[0:1], s33, v33
	v_cndmask_b32_e64 v8, 0, v8, s[0:1]
	;; [unrolled: 2-line block ×8, first 2 shown]
.LBB333_326:                            ;   in Loop: Header=BB333_211 Depth=1
	s_or_b64 exec, exec, s[16:17]
	v_and_b32_e32 v35, 0xffff0000, v35
	v_lshlrev_b32_e32 v5, 16, v5
	v_mul_f32_e32 v6, v35, v5
	v_and_b32_e32 v5, 0x7f800000, v6
	v_cmp_ne_u32_e64 s[0:1], s25, v5
                                        ; implicit-def: $vgpr5
	s_and_saveexec_b64 s[16:17], s[0:1]
	s_xor_b64 s[0:1], exec, s[16:17]
; %bb.327:                              ;   in Loop: Header=BB333_211 Depth=1
	v_bfe_u32 v5, v6, 16, 1
	v_add3_u32 v5, v6, v5, s26
                                        ; implicit-def: $vgpr6
; %bb.328:                              ;   in Loop: Header=BB333_211 Depth=1
	s_andn2_saveexec_b64 s[16:17], s[0:1]
; %bb.329:                              ;   in Loop: Header=BB333_211 Depth=1
	v_or_b32_e32 v5, 0x10000, v6
	v_cmp_eq_u32_sdwa s[0:1], v6, v23 src0_sel:WORD_0 src1_sel:DWORD
	v_cndmask_b32_e64 v5, v5, v6, s[0:1]
; %bb.330:                              ;   in Loop: Header=BB333_211 Depth=1
	s_or_b64 exec, exec, s[16:17]
	v_and_b32_e32 v36, 0xffff0000, v36
	v_lshlrev_b32_e32 v6, 16, v8
	v_mul_f32_e32 v7, v36, v6
	v_and_b32_e32 v6, 0x7f800000, v7
	v_cmp_ne_u32_e64 s[0:1], s25, v6
                                        ; implicit-def: $vgpr6
	s_and_saveexec_b64 s[16:17], s[0:1]
	s_xor_b64 s[0:1], exec, s[16:17]
; %bb.331:                              ;   in Loop: Header=BB333_211 Depth=1
	v_bfe_u32 v6, v7, 16, 1
	v_add3_u32 v6, v7, v6, s26
                                        ; implicit-def: $vgpr7
; %bb.332:                              ;   in Loop: Header=BB333_211 Depth=1
	s_andn2_saveexec_b64 s[16:17], s[0:1]
; %bb.333:                              ;   in Loop: Header=BB333_211 Depth=1
	v_or_b32_e32 v6, 0x10000, v7
	v_cmp_eq_u32_sdwa s[0:1], v7, v23 src0_sel:WORD_0 src1_sel:DWORD
	v_cndmask_b32_e64 v6, v6, v7, s[0:1]
; %bb.334:                              ;   in Loop: Header=BB333_211 Depth=1
	s_or_b64 exec, exec, s[16:17]
	v_and_b32_e32 v37, 0xffff0000, v37
	v_lshlrev_b32_e32 v7, 16, v42
	v_mul_f32_e32 v8, v37, v7
	v_and_b32_e32 v7, 0x7f800000, v8
	v_cmp_ne_u32_e64 s[0:1], s25, v7
                                        ; implicit-def: $vgpr7
	s_and_saveexec_b64 s[16:17], s[0:1]
	s_xor_b64 s[0:1], exec, s[16:17]
; %bb.335:                              ;   in Loop: Header=BB333_211 Depth=1
	v_bfe_u32 v7, v8, 16, 1
	v_add3_u32 v7, v8, v7, s26
                                        ; implicit-def: $vgpr8
; %bb.336:                              ;   in Loop: Header=BB333_211 Depth=1
	s_andn2_saveexec_b64 s[16:17], s[0:1]
; %bb.337:                              ;   in Loop: Header=BB333_211 Depth=1
	v_or_b32_e32 v7, 0x10000, v8
	v_cmp_eq_u32_sdwa s[0:1], v8, v23 src0_sel:WORD_0 src1_sel:DWORD
	v_cndmask_b32_e64 v7, v7, v8, s[0:1]
; %bb.338:                              ;   in Loop: Header=BB333_211 Depth=1
	s_or_b64 exec, exec, s[16:17]
	v_and_b32_e32 v38, 0xffff0000, v38
	v_lshlrev_b32_e32 v8, 16, v39
	v_mul_f32_e32 v39, v38, v8
	v_and_b32_e32 v8, 0x7f800000, v39
	v_cmp_ne_u32_e64 s[0:1], s25, v8
                                        ; implicit-def: $vgpr8
	s_and_saveexec_b64 s[16:17], s[0:1]
	s_xor_b64 s[0:1], exec, s[16:17]
; %bb.339:                              ;   in Loop: Header=BB333_211 Depth=1
	v_bfe_u32 v8, v39, 16, 1
	v_add3_u32 v8, v39, v8, s26
                                        ; implicit-def: $vgpr39
; %bb.340:                              ;   in Loop: Header=BB333_211 Depth=1
	s_andn2_saveexec_b64 s[16:17], s[0:1]
; %bb.341:                              ;   in Loop: Header=BB333_211 Depth=1
	v_or_b32_e32 v8, 0x10000, v39
	v_cmp_eq_u32_sdwa s[0:1], v39, v23 src0_sel:WORD_0 src1_sel:DWORD
	v_cndmask_b32_e64 v8, v8, v39, s[0:1]
; %bb.342:                              ;   in Loop: Header=BB333_211 Depth=1
	s_or_b64 exec, exec, s[16:17]
	v_and_b32_e32 v39, 0xffff0000, v9
	v_lshlrev_b32_e32 v9, 16, v40
	v_mul_f32_e32 v40, v39, v9
	v_and_b32_e32 v9, 0x7f800000, v40
	v_cmp_ne_u32_e64 s[0:1], s25, v9
                                        ; implicit-def: $vgpr9
	s_and_saveexec_b64 s[16:17], s[0:1]
	s_xor_b64 s[0:1], exec, s[16:17]
; %bb.343:                              ;   in Loop: Header=BB333_211 Depth=1
	v_bfe_u32 v9, v40, 16, 1
	v_add3_u32 v9, v40, v9, s26
                                        ; implicit-def: $vgpr40
; %bb.344:                              ;   in Loop: Header=BB333_211 Depth=1
	s_andn2_saveexec_b64 s[16:17], s[0:1]
; %bb.345:                              ;   in Loop: Header=BB333_211 Depth=1
	v_or_b32_e32 v9, 0x10000, v40
	v_cmp_eq_u32_sdwa s[0:1], v40, v23 src0_sel:WORD_0 src1_sel:DWORD
	v_cndmask_b32_e64 v9, v9, v40, s[0:1]
; %bb.346:                              ;   in Loop: Header=BB333_211 Depth=1
	s_or_b64 exec, exec, s[16:17]
	v_and_b32_e32 v40, 0xffff0000, v12
	v_lshlrev_b32_e32 v12, 16, v41
	v_mul_f32_e32 v41, v40, v12
	v_and_b32_e32 v12, 0x7f800000, v41
	v_cmp_ne_u32_e64 s[0:1], s25, v12
                                        ; implicit-def: $vgpr12
	s_and_saveexec_b64 s[16:17], s[0:1]
	s_xor_b64 s[0:1], exec, s[16:17]
; %bb.347:                              ;   in Loop: Header=BB333_211 Depth=1
	v_bfe_u32 v12, v41, 16, 1
	v_add3_u32 v12, v41, v12, s26
                                        ; implicit-def: $vgpr41
; %bb.348:                              ;   in Loop: Header=BB333_211 Depth=1
	s_andn2_saveexec_b64 s[16:17], s[0:1]
; %bb.349:                              ;   in Loop: Header=BB333_211 Depth=1
	v_or_b32_e32 v12, 0x10000, v41
	v_cmp_eq_u32_sdwa s[0:1], v41, v23 src0_sel:WORD_0 src1_sel:DWORD
	v_cndmask_b32_e64 v12, v12, v41, s[0:1]
; %bb.350:                              ;   in Loop: Header=BB333_211 Depth=1
	s_or_b64 exec, exec, s[16:17]
	v_and_b32_e32 v41, 0xffff0000, v26
	v_lshlrev_b32_e32 v18, 16, v18
	v_mul_f32_e32 v18, v41, v18
	v_and_b32_e32 v26, 0x7f800000, v18
	v_cmp_ne_u32_e64 s[0:1], s25, v26
                                        ; implicit-def: $vgpr26
	s_and_saveexec_b64 s[16:17], s[0:1]
	s_xor_b64 s[0:1], exec, s[16:17]
; %bb.351:                              ;   in Loop: Header=BB333_211 Depth=1
	v_bfe_u32 v26, v18, 16, 1
	v_add3_u32 v26, v18, v26, s26
                                        ; implicit-def: $vgpr18
; %bb.352:                              ;   in Loop: Header=BB333_211 Depth=1
	s_andn2_saveexec_b64 s[16:17], s[0:1]
; %bb.353:                              ;   in Loop: Header=BB333_211 Depth=1
	v_or_b32_e32 v26, 0x10000, v18
	v_cmp_eq_u32_sdwa s[0:1], v18, v23 src0_sel:WORD_0 src1_sel:DWORD
	v_cndmask_b32_e64 v26, v26, v18, s[0:1]
; %bb.354:                              ;   in Loop: Header=BB333_211 Depth=1
	s_or_b64 exec, exec, s[16:17]
	v_and_b32_e32 v42, 0xffff0000, v34
	v_lshlrev_b32_e32 v4, 16, v4
	v_mul_f32_e32 v4, v42, v4
	v_and_b32_e32 v18, 0x7f800000, v4
	v_cmp_ne_u32_e64 s[0:1], s25, v18
                                        ; implicit-def: $vgpr34
	s_and_saveexec_b64 s[16:17], s[0:1]
	s_xor_b64 s[0:1], exec, s[16:17]
; %bb.355:                              ;   in Loop: Header=BB333_211 Depth=1
	v_bfe_u32 v18, v4, 16, 1
	v_add3_u32 v34, v4, v18, s26
                                        ; implicit-def: $vgpr4
; %bb.356:                              ;   in Loop: Header=BB333_211 Depth=1
	s_andn2_saveexec_b64 s[16:17], s[0:1]
; %bb.357:                              ;   in Loop: Header=BB333_211 Depth=1
	v_or_b32_e32 v18, 0x10000, v4
	v_cmp_eq_u32_sdwa s[0:1], v4, v23 src0_sel:WORD_0 src1_sel:DWORD
	v_cndmask_b32_e64 v34, v18, v4, s[0:1]
; %bb.358:                              ;   in Loop: Header=BB333_211 Depth=1
	s_or_b64 exec, exec, s[16:17]
	global_load_dwordx2 v[2:3], v[2:3], off offset:512
	v_mov_b32_e32 v4, 0
	s_waitcnt vmcnt(0)
	v_cmp_ne_u16_sdwa s[0:1], v2, v23 src0_sel:BYTE_0 src1_sel:DWORD
	s_and_saveexec_b64 s[16:17], s[0:1]
	s_cbranch_execz .LBB333_364
; %bb.359:                              ;   in Loop: Header=BB333_211 Depth=1
	v_cmp_ne_u16_sdwa s[0:1], v2, s27 src0_sel:BYTE_0 src1_sel:DWORD
	v_bfrev_b32_e32 v4, 1
	s_and_saveexec_b64 s[18:19], s[0:1]
	s_cbranch_execz .LBB333_363
; %bb.360:                              ;   in Loop: Header=BB333_211 Depth=1
	v_and_b32_e32 v18, 0x7f, v2
	v_cmp_ne_u32_e64 s[0:1], s34, v18
	v_mov_b32_e32 v4, 0x7f800001
	s_and_saveexec_b64 s[20:21], s[0:1]
	s_cbranch_execz .LBB333_362
; %bb.361:                              ;   in Loop: Header=BB333_211 Depth=1
	v_and_b32_e32 v4, 7, v2
	v_ffbh_u32_e32 v4, v4
	v_min_u32_e32 v4, 32, v4
	v_subrev_u32_e32 v44, 28, v4
	v_cmp_gt_u32_e64 s[0:1], 8, v18
	v_lshrrev_b32_e32 v43, 3, v18
	v_cndmask_b32_e64 v18, 0, v44, s[0:1]
	v_sub_u32_e32 v4, 29, v4
	v_lshlrev_b64 v[44:45], v18, v[2:3]
	v_cndmask_b32_e64 v4, v43, v4, s[0:1]
	v_lshlrev_b32_e32 v18, 20, v44
	v_lshlrev_b32_e32 v43, 24, v2
	v_and_b32_e32 v18, 0x700000, v18
	v_and_b32_e32 v43, 0x80000000, v43
	v_lshl_add_u32 v4, v4, 23, v24
	v_or3_b32 v4, v43, v4, v18
.LBB333_362:                            ;   in Loop: Header=BB333_211 Depth=1
	s_or_b64 exec, exec, s[20:21]
.LBB333_363:                            ;   in Loop: Header=BB333_211 Depth=1
	s_or_b64 exec, exec, s[18:19]
.LBB333_364:                            ;   in Loop: Header=BB333_211 Depth=1
	s_or_b64 exec, exec, s[16:17]
	v_mul_f32_e32 v4, s36, v4
	v_and_b32_e32 v18, 0x7f800000, v4
	v_cmp_ne_u32_e64 s[0:1], s25, v18
                                        ; implicit-def: $vgpr43
	s_and_saveexec_b64 s[16:17], s[0:1]
	s_xor_b64 s[0:1], exec, s[16:17]
; %bb.365:                              ;   in Loop: Header=BB333_211 Depth=1
	v_bfe_u32 v18, v4, 16, 1
	v_add3_u32 v43, v4, v18, s26
                                        ; implicit-def: $vgpr4
; %bb.366:                              ;   in Loop: Header=BB333_211 Depth=1
	s_andn2_saveexec_b64 s[16:17], s[0:1]
; %bb.367:                              ;   in Loop: Header=BB333_211 Depth=1
	v_or_b32_e32 v18, 0x10000, v4
	v_cmp_eq_u32_sdwa s[0:1], v4, v23 src0_sel:WORD_0 src1_sel:DWORD
	v_cndmask_b32_e64 v43, v18, v4, s[0:1]
; %bb.368:                              ;   in Loop: Header=BB333_211 Depth=1
	s_or_b64 exec, exec, s[16:17]
	v_lshrrev_b16_e32 v4, 8, v2
	v_cmp_ne_u16_e64 s[0:1], 0, v4
	v_mov_b32_e32 v18, 0
	s_and_saveexec_b64 s[16:17], s[0:1]
	s_cbranch_execz .LBB333_374
; %bb.369:                              ;   in Loop: Header=BB333_211 Depth=1
	v_cmp_ne_u16_e64 s[0:1], s27, v4
	v_bfrev_b32_e32 v18, 1
	s_and_saveexec_b64 s[18:19], s[0:1]
	s_cbranch_execz .LBB333_373
; %bb.370:                              ;   in Loop: Header=BB333_211 Depth=1
	v_and_b32_e32 v44, 0x7f, v4
	v_cmp_ne_u32_e64 s[0:1], s34, v44
	v_mov_b32_e32 v18, 0x7f800001
	s_and_saveexec_b64 s[20:21], s[0:1]
	s_cbranch_execz .LBB333_372
; %bb.371:                              ;   in Loop: Header=BB333_211 Depth=1
	v_and_b32_e32 v18, 7, v4
	v_ffbh_u32_e32 v46, v18
	v_min_u32_e32 v48, 32, v46
	v_subrev_u32_e32 v46, 28, v48
	v_lshlrev_b64 v[46:47], v46, v[4:5]
	v_lshrrev_b32_e32 v45, 3, v44
	v_sub_u32_e32 v4, 29, v48
	v_and_b32_e32 v46, 7, v46
	v_cmp_gt_u32_e64 s[0:1], 8, v44
	v_cndmask_b32_e64 v4, v45, v4, s[0:1]
	v_cndmask_b32_e64 v18, v18, v46, s[0:1]
	v_lshlrev_b32_e32 v44, 16, v2
	v_lshlrev_b32_e32 v18, 20, v18
	v_and_b32_e32 v44, 0x80000000, v44
	v_lshl_add_u32 v4, v4, 23, v24
	v_or3_b32 v18, v44, v4, v18
.LBB333_372:                            ;   in Loop: Header=BB333_211 Depth=1
	s_or_b64 exec, exec, s[20:21]
.LBB333_373:                            ;   in Loop: Header=BB333_211 Depth=1
	s_or_b64 exec, exec, s[18:19]
.LBB333_374:                            ;   in Loop: Header=BB333_211 Depth=1
	s_or_b64 exec, exec, s[16:17]
	v_mul_f32_e32 v4, s36, v18
	v_and_b32_e32 v18, 0x7f800000, v4
	v_cmp_ne_u32_e64 s[0:1], s25, v18
                                        ; implicit-def: $vgpr44
	s_and_saveexec_b64 s[16:17], s[0:1]
	s_xor_b64 s[0:1], exec, s[16:17]
; %bb.375:                              ;   in Loop: Header=BB333_211 Depth=1
	v_bfe_u32 v18, v4, 16, 1
	v_add3_u32 v44, v4, v18, s26
                                        ; implicit-def: $vgpr4
; %bb.376:                              ;   in Loop: Header=BB333_211 Depth=1
	s_andn2_saveexec_b64 s[16:17], s[0:1]
; %bb.377:                              ;   in Loop: Header=BB333_211 Depth=1
	v_or_b32_e32 v18, 0x10000, v4
	v_cmp_eq_u32_sdwa s[0:1], v4, v23 src0_sel:WORD_0 src1_sel:DWORD
	v_cndmask_b32_e64 v44, v18, v4, s[0:1]
; %bb.378:                              ;   in Loop: Header=BB333_211 Depth=1
	s_or_b64 exec, exec, s[16:17]
	v_lshrrev_b32_e32 v4, 16, v2
	v_cmp_ne_u16_sdwa s[0:1], v4, v23 src0_sel:BYTE_0 src1_sel:DWORD
	v_mov_b32_e32 v18, 0
	s_and_saveexec_b64 s[16:17], s[0:1]
	s_cbranch_execz .LBB333_384
; %bb.379:                              ;   in Loop: Header=BB333_211 Depth=1
	v_cmp_ne_u16_sdwa s[0:1], v4, s27 src0_sel:BYTE_0 src1_sel:DWORD
	v_bfrev_b32_e32 v18, 1
	s_and_saveexec_b64 s[18:19], s[0:1]
	s_cbranch_execz .LBB333_383
; %bb.380:                              ;   in Loop: Header=BB333_211 Depth=1
	v_bfe_u32 v45, v2, 16, 7
	v_cmp_ne_u32_e64 s[0:1], s34, v45
	v_mov_b32_e32 v18, 0x7f800001
	s_and_saveexec_b64 s[20:21], s[0:1]
	s_cbranch_execz .LBB333_382
; %bb.381:                              ;   in Loop: Header=BB333_211 Depth=1
	v_and_b32_e32 v18, 7, v4
	v_ffbh_u32_e32 v46, v18
	v_min_u32_e32 v49, 32, v46
	v_subrev_u32_e32 v46, 28, v49
	v_lshlrev_b64 v[46:47], v46, v[4:5]
	v_lshrrev_b32_e32 v48, 3, v45
	v_sub_u32_e32 v47, 29, v49
	v_and_b32_e32 v46, 7, v46
	v_cmp_gt_u32_e64 s[0:1], 8, v45
	v_cndmask_b32_e64 v45, v48, v47, s[0:1]
	v_cndmask_b32_e64 v18, v18, v46, s[0:1]
	v_lshlrev_b32_e32 v4, 24, v4
	v_lshlrev_b32_e32 v18, 20, v18
	v_and_b32_e32 v4, 0x80000000, v4
	v_lshl_add_u32 v45, v45, 23, v24
	v_or3_b32 v18, v4, v45, v18
.LBB333_382:                            ;   in Loop: Header=BB333_211 Depth=1
	s_or_b64 exec, exec, s[20:21]
.LBB333_383:                            ;   in Loop: Header=BB333_211 Depth=1
	s_or_b64 exec, exec, s[18:19]
.LBB333_384:                            ;   in Loop: Header=BB333_211 Depth=1
	s_or_b64 exec, exec, s[16:17]
	v_mul_f32_e32 v4, s36, v18
	v_and_b32_e32 v18, 0x7f800000, v4
	v_cmp_ne_u32_e64 s[0:1], s25, v18
                                        ; implicit-def: $vgpr45
	s_and_saveexec_b64 s[16:17], s[0:1]
	s_xor_b64 s[0:1], exec, s[16:17]
; %bb.385:                              ;   in Loop: Header=BB333_211 Depth=1
	v_bfe_u32 v18, v4, 16, 1
	v_add3_u32 v45, v4, v18, s26
                                        ; implicit-def: $vgpr4
; %bb.386:                              ;   in Loop: Header=BB333_211 Depth=1
	s_andn2_saveexec_b64 s[16:17], s[0:1]
; %bb.387:                              ;   in Loop: Header=BB333_211 Depth=1
	v_or_b32_e32 v18, 0x10000, v4
	v_cmp_eq_u32_sdwa s[0:1], v4, v23 src0_sel:WORD_0 src1_sel:DWORD
	v_cndmask_b32_e64 v45, v18, v4, s[0:1]
; %bb.388:                              ;   in Loop: Header=BB333_211 Depth=1
	s_or_b64 exec, exec, s[16:17]
	v_cmp_lt_u32_e64 s[0:1], s7, v2
	v_mov_b32_e32 v18, 0
	s_and_saveexec_b64 s[16:17], s[0:1]
	s_cbranch_execz .LBB333_394
; %bb.389:                              ;   in Loop: Header=BB333_211 Depth=1
	v_lshrrev_b32_e32 v4, 24, v2
	v_cmp_ne_u32_e64 s[0:1], s27, v4
	v_bfrev_b32_e32 v18, 1
	s_and_saveexec_b64 s[18:19], s[0:1]
	s_cbranch_execz .LBB333_393
; %bb.390:                              ;   in Loop: Header=BB333_211 Depth=1
	v_bfe_u32 v46, v2, 24, 7
	v_cmp_ne_u32_e64 s[0:1], s34, v46
	v_mov_b32_e32 v18, 0x7f800001
	s_and_saveexec_b64 s[20:21], s[0:1]
	s_cbranch_execz .LBB333_392
; %bb.391:                              ;   in Loop: Header=BB333_211 Depth=1
	v_and_b32_e32 v18, 7, v4
	v_ffbh_u32_e32 v48, v18
	v_min_u32_e32 v50, 32, v48
	v_subrev_u32_e32 v48, 28, v50
	v_lshlrev_b64 v[48:49], v48, v[4:5]
	v_lshrrev_b32_e32 v47, 3, v46
	v_sub_u32_e32 v49, 29, v50
	v_and_b32_e32 v48, 7, v48
	v_cmp_gt_u32_e64 s[0:1], 8, v46
	v_cndmask_b32_e64 v46, v47, v49, s[0:1]
	v_cndmask_b32_e64 v18, v18, v48, s[0:1]
	v_lshlrev_b32_e32 v4, 24, v4
	v_lshlrev_b32_e32 v18, 20, v18
	v_and_b32_e32 v4, 0x80000000, v4
	v_lshl_add_u32 v46, v46, 23, v24
	v_or3_b32 v18, v4, v46, v18
.LBB333_392:                            ;   in Loop: Header=BB333_211 Depth=1
	s_or_b64 exec, exec, s[20:21]
.LBB333_393:                            ;   in Loop: Header=BB333_211 Depth=1
	s_or_b64 exec, exec, s[18:19]
.LBB333_394:                            ;   in Loop: Header=BB333_211 Depth=1
	s_or_b64 exec, exec, s[16:17]
	v_mul_f32_e32 v4, s36, v18
	v_and_b32_e32 v18, 0x7f800000, v4
	v_cmp_ne_u32_e64 s[0:1], s25, v18
                                        ; implicit-def: $vgpr46
	s_and_saveexec_b64 s[16:17], s[0:1]
	s_xor_b64 s[0:1], exec, s[16:17]
; %bb.395:                              ;   in Loop: Header=BB333_211 Depth=1
	v_bfe_u32 v18, v4, 16, 1
	v_add3_u32 v46, v4, v18, s26
                                        ; implicit-def: $vgpr4
; %bb.396:                              ;   in Loop: Header=BB333_211 Depth=1
	s_andn2_saveexec_b64 s[16:17], s[0:1]
; %bb.397:                              ;   in Loop: Header=BB333_211 Depth=1
	v_or_b32_e32 v18, 0x10000, v4
	v_cmp_eq_u32_sdwa s[0:1], v4, v23 src0_sel:WORD_0 src1_sel:DWORD
	v_cndmask_b32_e64 v46, v18, v4, s[0:1]
; %bb.398:                              ;   in Loop: Header=BB333_211 Depth=1
	s_or_b64 exec, exec, s[16:17]
	v_mov_b32_e32 v18, v3
	v_cmp_ne_u16_sdwa s[0:1], v3, v23 src0_sel:BYTE_0 src1_sel:DWORD
	v_mov_b32_e32 v4, 0
	s_and_saveexec_b64 s[16:17], s[0:1]
	s_cbranch_execz .LBB333_404
; %bb.399:                              ;   in Loop: Header=BB333_211 Depth=1
	v_cmp_ne_u16_sdwa s[0:1], v3, s27 src0_sel:BYTE_0 src1_sel:DWORD
	v_bfrev_b32_e32 v4, 1
	s_and_saveexec_b64 s[18:19], s[0:1]
	s_cbranch_execz .LBB333_403
; %bb.400:                              ;   in Loop: Header=BB333_211 Depth=1
	v_and_b32_e32 v47, 0x7f, v3
	v_cmp_ne_u32_e64 s[0:1], s34, v47
	v_mov_b32_e32 v4, 0x7f800001
	s_and_saveexec_b64 s[20:21], s[0:1]
	s_cbranch_execz .LBB333_402
; %bb.401:                              ;   in Loop: Header=BB333_211 Depth=1
	v_and_b32_e32 v4, 7, v3
	v_ffbh_u32_e32 v4, v4
	v_min_u32_e32 v4, 32, v4
	v_subrev_u32_e32 v49, 28, v4
	v_cmp_gt_u32_e64 s[0:1], 8, v47
	v_lshrrev_b32_e32 v48, 3, v47
	v_sub_u32_e32 v4, 29, v4
	v_cndmask_b32_e64 v47, 0, v49, s[0:1]
	v_cndmask_b32_e64 v4, v48, v4, s[0:1]
	v_lshlrev_b64 v[48:49], v47, v[18:19]
	v_lshlrev_b32_e32 v47, 20, v48
	v_lshlrev_b32_e32 v48, 24, v18
	v_and_b32_e32 v47, 0x700000, v47
	v_and_b32_e32 v48, 0x80000000, v48
	v_lshl_add_u32 v4, v4, 23, v24
	v_or3_b32 v4, v48, v4, v47
.LBB333_402:                            ;   in Loop: Header=BB333_211 Depth=1
	s_or_b64 exec, exec, s[20:21]
.LBB333_403:                            ;   in Loop: Header=BB333_211 Depth=1
	s_or_b64 exec, exec, s[18:19]
.LBB333_404:                            ;   in Loop: Header=BB333_211 Depth=1
	s_or_b64 exec, exec, s[16:17]
	v_mul_f32_e32 v4, s36, v4
	v_and_b32_e32 v47, 0x7f800000, v4
	v_cmp_ne_u32_e64 s[0:1], s25, v47
                                        ; implicit-def: $vgpr47
	s_and_saveexec_b64 s[16:17], s[0:1]
	s_xor_b64 s[0:1], exec, s[16:17]
; %bb.405:                              ;   in Loop: Header=BB333_211 Depth=1
	v_bfe_u32 v47, v4, 16, 1
	v_add3_u32 v47, v4, v47, s26
                                        ; implicit-def: $vgpr4
; %bb.406:                              ;   in Loop: Header=BB333_211 Depth=1
	s_andn2_saveexec_b64 s[16:17], s[0:1]
; %bb.407:                              ;   in Loop: Header=BB333_211 Depth=1
	v_or_b32_e32 v47, 0x10000, v4
	v_cmp_eq_u32_sdwa s[0:1], v4, v23 src0_sel:WORD_0 src1_sel:DWORD
	v_cndmask_b32_e64 v47, v47, v4, s[0:1]
; %bb.408:                              ;   in Loop: Header=BB333_211 Depth=1
	s_or_b64 exec, exec, s[16:17]
	v_lshrrev_b16_e32 v4, 8, v18
	v_cmp_ne_u16_e64 s[0:1], 0, v4
	v_mov_b32_e32 v48, 0
	s_and_saveexec_b64 s[16:17], s[0:1]
	s_cbranch_execz .LBB333_414
; %bb.409:                              ;   in Loop: Header=BB333_211 Depth=1
	v_cmp_ne_u16_e64 s[0:1], s27, v4
	v_bfrev_b32_e32 v48, 1
	s_and_saveexec_b64 s[18:19], s[0:1]
	s_cbranch_execz .LBB333_413
; %bb.410:                              ;   in Loop: Header=BB333_211 Depth=1
	v_and_b32_e32 v49, 0x7f, v4
	v_cmp_ne_u32_e64 s[0:1], s34, v49
	v_mov_b32_e32 v48, 0x7f800001
	s_and_saveexec_b64 s[20:21], s[0:1]
	s_cbranch_execz .LBB333_412
; %bb.411:                              ;   in Loop: Header=BB333_211 Depth=1
	v_and_b32_e32 v48, 7, v4
	v_ffbh_u32_e32 v50, v48
	v_min_u32_e32 v53, 32, v50
	v_subrev_u32_e32 v50, 28, v53
	v_lshlrev_b64 v[50:51], v50, v[4:5]
	v_lshrrev_b32_e32 v52, 3, v49
	v_sub_u32_e32 v4, 29, v53
	v_and_b32_e32 v50, 7, v50
	v_cmp_gt_u32_e64 s[0:1], 8, v49
	v_cndmask_b32_e64 v4, v52, v4, s[0:1]
	v_cndmask_b32_e64 v48, v48, v50, s[0:1]
	v_lshlrev_b32_e32 v18, 16, v18
	v_lshlrev_b32_e32 v48, 20, v48
	v_and_b32_e32 v18, 0x80000000, v18
	v_lshl_add_u32 v4, v4, 23, v24
	v_or3_b32 v48, v18, v4, v48
.LBB333_412:                            ;   in Loop: Header=BB333_211 Depth=1
	s_or_b64 exec, exec, s[20:21]
.LBB333_413:                            ;   in Loop: Header=BB333_211 Depth=1
	s_or_b64 exec, exec, s[18:19]
.LBB333_414:                            ;   in Loop: Header=BB333_211 Depth=1
	s_or_b64 exec, exec, s[16:17]
	v_mul_f32_e32 v4, s36, v48
	v_and_b32_e32 v18, 0x7f800000, v4
	v_cmp_ne_u32_e64 s[0:1], s25, v18
                                        ; implicit-def: $vgpr18
	s_and_saveexec_b64 s[16:17], s[0:1]
	s_xor_b64 s[0:1], exec, s[16:17]
; %bb.415:                              ;   in Loop: Header=BB333_211 Depth=1
	v_bfe_u32 v18, v4, 16, 1
	v_add3_u32 v18, v4, v18, s26
                                        ; implicit-def: $vgpr4
; %bb.416:                              ;   in Loop: Header=BB333_211 Depth=1
	s_andn2_saveexec_b64 s[16:17], s[0:1]
; %bb.417:                              ;   in Loop: Header=BB333_211 Depth=1
	v_or_b32_e32 v18, 0x10000, v4
	v_cmp_eq_u32_sdwa s[0:1], v4, v23 src0_sel:WORD_0 src1_sel:DWORD
	v_cndmask_b32_e64 v18, v18, v4, s[0:1]
; %bb.418:                              ;   in Loop: Header=BB333_211 Depth=1
	s_or_b64 exec, exec, s[16:17]
	v_lshrrev_b32_e32 v4, 16, v3
	v_cmp_ne_u16_sdwa s[0:1], v4, v23 src0_sel:BYTE_0 src1_sel:DWORD
	v_mov_b32_e32 v48, 0
	s_and_saveexec_b64 s[16:17], s[0:1]
	s_cbranch_execz .LBB333_424
; %bb.419:                              ;   in Loop: Header=BB333_211 Depth=1
	v_cmp_ne_u16_sdwa s[0:1], v4, s27 src0_sel:BYTE_0 src1_sel:DWORD
	v_bfrev_b32_e32 v48, 1
	s_and_saveexec_b64 s[18:19], s[0:1]
	s_cbranch_execz .LBB333_423
; %bb.420:                              ;   in Loop: Header=BB333_211 Depth=1
	v_bfe_u32 v49, v3, 16, 7
	v_cmp_ne_u32_e64 s[0:1], s34, v49
	v_mov_b32_e32 v48, 0x7f800001
	s_and_saveexec_b64 s[20:21], s[0:1]
	s_cbranch_execz .LBB333_422
; %bb.421:                              ;   in Loop: Header=BB333_211 Depth=1
	v_and_b32_e32 v48, 7, v4
	v_ffbh_u32_e32 v50, v48
	v_min_u32_e32 v53, 32, v50
	v_subrev_u32_e32 v50, 28, v53
	v_lshlrev_b64 v[50:51], v50, v[4:5]
	v_lshrrev_b32_e32 v52, 3, v49
	v_sub_u32_e32 v51, 29, v53
	v_and_b32_e32 v50, 7, v50
	v_cmp_gt_u32_e64 s[0:1], 8, v49
	v_cndmask_b32_e64 v49, v52, v51, s[0:1]
	v_cndmask_b32_e64 v48, v48, v50, s[0:1]
	v_lshlrev_b32_e32 v4, 24, v4
	v_lshlrev_b32_e32 v48, 20, v48
	v_and_b32_e32 v4, 0x80000000, v4
	v_lshl_add_u32 v49, v49, 23, v24
	v_or3_b32 v48, v4, v49, v48
.LBB333_422:                            ;   in Loop: Header=BB333_211 Depth=1
	s_or_b64 exec, exec, s[20:21]
.LBB333_423:                            ;   in Loop: Header=BB333_211 Depth=1
	s_or_b64 exec, exec, s[18:19]
.LBB333_424:                            ;   in Loop: Header=BB333_211 Depth=1
	s_or_b64 exec, exec, s[16:17]
	v_mul_f32_e32 v48, s36, v48
	v_and_b32_e32 v4, 0x7f800000, v48
	v_cmp_ne_u32_e64 s[0:1], s25, v4
                                        ; implicit-def: $vgpr4
	s_and_saveexec_b64 s[16:17], s[0:1]
	s_xor_b64 s[0:1], exec, s[16:17]
; %bb.425:                              ;   in Loop: Header=BB333_211 Depth=1
	v_bfe_u32 v4, v48, 16, 1
	v_add3_u32 v4, v48, v4, s26
                                        ; implicit-def: $vgpr48
; %bb.426:                              ;   in Loop: Header=BB333_211 Depth=1
	s_andn2_saveexec_b64 s[16:17], s[0:1]
; %bb.427:                              ;   in Loop: Header=BB333_211 Depth=1
	v_or_b32_e32 v4, 0x10000, v48
	v_cmp_eq_u32_sdwa s[0:1], v48, v23 src0_sel:WORD_0 src1_sel:DWORD
	v_cndmask_b32_e64 v4, v4, v48, s[0:1]
; %bb.428:                              ;   in Loop: Header=BB333_211 Depth=1
	s_or_b64 exec, exec, s[16:17]
	v_cmp_lt_u64_e64 s[0:1], s[6:7], v[2:3]
	v_mov_b32_e32 v48, 0
	s_and_saveexec_b64 s[16:17], s[0:1]
	s_cbranch_execz .LBB333_434
; %bb.429:                              ;   in Loop: Header=BB333_211 Depth=1
	v_lshrrev_b32_e32 v2, 24, v3
	v_cmp_ne_u32_e64 s[0:1], s27, v2
	v_bfrev_b32_e32 v48, 1
	s_and_saveexec_b64 s[18:19], s[0:1]
	s_cbranch_execz .LBB333_433
; %bb.430:                              ;   in Loop: Header=BB333_211 Depth=1
	v_bfe_u32 v3, v3, 24, 7
	v_cmp_ne_u32_e64 s[0:1], s34, v3
	v_mov_b32_e32 v48, 0x7f800001
	s_and_saveexec_b64 s[20:21], s[0:1]
	s_cbranch_execz .LBB333_432
; %bb.431:                              ;   in Loop: Header=BB333_211 Depth=1
	v_and_b32_e32 v50, 7, v2
	v_ffbh_u32_e32 v48, v50
	v_min_u32_e32 v52, 32, v48
	v_subrev_u32_e32 v48, 28, v52
	v_lshlrev_b64 v[48:49], v48, v[2:3]
	v_lshrrev_b32_e32 v51, 3, v3
	v_sub_u32_e32 v49, 29, v52
	v_and_b32_e32 v48, 7, v48
	v_cmp_gt_u32_e64 s[0:1], 8, v3
	v_cndmask_b32_e64 v3, v51, v49, s[0:1]
	v_cndmask_b32_e64 v48, v50, v48, s[0:1]
	v_lshlrev_b32_e32 v2, 24, v2
	v_lshlrev_b32_e32 v48, 20, v48
	v_and_b32_e32 v2, 0x80000000, v2
	v_lshl_add_u32 v3, v3, 23, v24
	v_or3_b32 v48, v2, v3, v48
.LBB333_432:                            ;   in Loop: Header=BB333_211 Depth=1
	s_or_b64 exec, exec, s[20:21]
.LBB333_433:                            ;   in Loop: Header=BB333_211 Depth=1
	s_or_b64 exec, exec, s[18:19]
.LBB333_434:                            ;   in Loop: Header=BB333_211 Depth=1
	s_or_b64 exec, exec, s[16:17]
	v_mul_f32_e32 v2, s36, v48
	v_and_b32_e32 v3, 0x7f800000, v2
	v_cmp_ne_u32_e64 s[0:1], s25, v3
                                        ; implicit-def: $vgpr3
	s_and_saveexec_b64 s[16:17], s[0:1]
	s_xor_b64 s[0:1], exec, s[16:17]
; %bb.435:                              ;   in Loop: Header=BB333_211 Depth=1
	v_bfe_u32 v3, v2, 16, 1
	v_add3_u32 v3, v2, v3, s26
                                        ; implicit-def: $vgpr2
; %bb.436:                              ;   in Loop: Header=BB333_211 Depth=1
	s_andn2_saveexec_b64 s[16:17], s[0:1]
; %bb.437:                              ;   in Loop: Header=BB333_211 Depth=1
	v_or_b32_e32 v3, 0x10000, v2
	v_cmp_eq_u32_sdwa s[0:1], v2, v23 src0_sel:WORD_0 src1_sel:DWORD
	v_cndmask_b32_e64 v3, v3, v2, s[0:1]
; %bb.438:                              ;   in Loop: Header=BB333_211 Depth=1
	s_or_b64 exec, exec, s[16:17]
	v_lshrrev_b32_e32 v48, 16, v18
	v_lshrrev_b32_e32 v47, 16, v47
	;; [unrolled: 1-line block ×8, first 2 shown]
	s_and_saveexec_b64 s[0:1], vcc
	s_cbranch_execz .LBB333_440
; %bb.439:                              ;   in Loop: Header=BB333_211 Depth=1
	v_cmp_gt_i32_e32 vcc, s33, v1
	v_cndmask_b32_e32 v2, 0, v2, vcc
	v_cmp_gt_i32_e32 vcc, s33, v33
	v_cndmask_b32_e32 v18, 0, v18, vcc
	;; [unrolled: 2-line block ×8, first 2 shown]
.LBB333_440:                            ;   in Loop: Header=BB333_211 Depth=1
	s_or_b64 exec, exec, s[0:1]
	v_lshlrev_b32_e32 v2, 16, v2
	v_mul_f32_e32 v27, v35, v2
	v_and_b32_e32 v2, 0x7f800000, v27
	v_cmp_ne_u32_e32 vcc, s25, v2
                                        ; implicit-def: $vgpr2
	s_and_saveexec_b64 s[0:1], vcc
	s_xor_b64 s[0:1], exec, s[0:1]
; %bb.441:                              ;   in Loop: Header=BB333_211 Depth=1
	v_bfe_u32 v2, v27, 16, 1
	v_add3_u32 v2, v27, v2, s26
                                        ; implicit-def: $vgpr27
; %bb.442:                              ;   in Loop: Header=BB333_211 Depth=1
	s_andn2_saveexec_b64 s[0:1], s[0:1]
; %bb.443:                              ;   in Loop: Header=BB333_211 Depth=1
	v_or_b32_e32 v2, 0x10000, v27
	v_cmp_eq_u32_sdwa vcc, v27, v23 src0_sel:WORD_0 src1_sel:DWORD
	v_cndmask_b32_e32 v2, v2, v27, vcc
; %bb.444:                              ;   in Loop: Header=BB333_211 Depth=1
	s_or_b64 exec, exec, s[0:1]
	v_lshlrev_b32_e32 v18, 16, v18
	v_mul_f32_e32 v27, v36, v18
	v_and_b32_e32 v18, 0x7f800000, v27
	v_cmp_ne_u32_e32 vcc, s25, v18
                                        ; implicit-def: $vgpr18
	s_and_saveexec_b64 s[0:1], vcc
	s_xor_b64 s[0:1], exec, s[0:1]
; %bb.445:                              ;   in Loop: Header=BB333_211 Depth=1
	v_bfe_u32 v18, v27, 16, 1
	v_add3_u32 v18, v27, v18, s26
                                        ; implicit-def: $vgpr27
; %bb.446:                              ;   in Loop: Header=BB333_211 Depth=1
	s_andn2_saveexec_b64 s[0:1], s[0:1]
; %bb.447:                              ;   in Loop: Header=BB333_211 Depth=1
	v_or_b32_e32 v18, 0x10000, v27
	v_cmp_eq_u32_sdwa vcc, v27, v23 src0_sel:WORD_0 src1_sel:DWORD
	v_cndmask_b32_e32 v18, v18, v27, vcc
; %bb.448:                              ;   in Loop: Header=BB333_211 Depth=1
	s_or_b64 exec, exec, s[0:1]
	v_lshlrev_b32_e32 v27, 16, v45
	v_mul_f32_e32 v28, v37, v27
	v_and_b32_e32 v27, 0x7f800000, v28
	v_cmp_ne_u32_e32 vcc, s25, v27
                                        ; implicit-def: $vgpr27
	s_and_saveexec_b64 s[0:1], vcc
	s_xor_b64 s[0:1], exec, s[0:1]
; %bb.449:                              ;   in Loop: Header=BB333_211 Depth=1
	v_bfe_u32 v27, v28, 16, 1
	v_add3_u32 v27, v28, v27, s26
                                        ; implicit-def: $vgpr28
; %bb.450:                              ;   in Loop: Header=BB333_211 Depth=1
	s_andn2_saveexec_b64 s[0:1], s[0:1]
; %bb.451:                              ;   in Loop: Header=BB333_211 Depth=1
	v_or_b32_e32 v27, 0x10000, v28
	v_cmp_eq_u32_sdwa vcc, v28, v23 src0_sel:WORD_0 src1_sel:DWORD
	v_cndmask_b32_e32 v27, v27, v28, vcc
; %bb.452:                              ;   in Loop: Header=BB333_211 Depth=1
	s_or_b64 exec, exec, s[0:1]
	v_lshlrev_b32_e32 v28, 16, v46
	v_mul_f32_e32 v29, v38, v28
	v_and_b32_e32 v28, 0x7f800000, v29
	v_cmp_ne_u32_e32 vcc, s25, v28
                                        ; implicit-def: $vgpr28
	s_and_saveexec_b64 s[0:1], vcc
	s_xor_b64 s[0:1], exec, s[0:1]
; %bb.453:                              ;   in Loop: Header=BB333_211 Depth=1
	v_bfe_u32 v28, v29, 16, 1
	v_add3_u32 v28, v29, v28, s26
                                        ; implicit-def: $vgpr29
; %bb.454:                              ;   in Loop: Header=BB333_211 Depth=1
	s_andn2_saveexec_b64 s[0:1], s[0:1]
; %bb.455:                              ;   in Loop: Header=BB333_211 Depth=1
	v_or_b32_e32 v28, 0x10000, v29
	v_cmp_eq_u32_sdwa vcc, v29, v23 src0_sel:WORD_0 src1_sel:DWORD
	v_cndmask_b32_e32 v28, v28, v29, vcc
; %bb.456:                              ;   in Loop: Header=BB333_211 Depth=1
	s_or_b64 exec, exec, s[0:1]
	v_lshlrev_b32_e32 v29, 16, v47
	v_mul_f32_e32 v30, v39, v29
	v_and_b32_e32 v29, 0x7f800000, v30
	v_cmp_ne_u32_e32 vcc, s25, v29
                                        ; implicit-def: $vgpr29
	s_and_saveexec_b64 s[0:1], vcc
	s_xor_b64 s[0:1], exec, s[0:1]
; %bb.457:                              ;   in Loop: Header=BB333_211 Depth=1
	v_bfe_u32 v29, v30, 16, 1
	v_add3_u32 v29, v30, v29, s26
                                        ; implicit-def: $vgpr30
; %bb.458:                              ;   in Loop: Header=BB333_211 Depth=1
	s_andn2_saveexec_b64 s[0:1], s[0:1]
; %bb.459:                              ;   in Loop: Header=BB333_211 Depth=1
	v_or_b32_e32 v29, 0x10000, v30
	v_cmp_eq_u32_sdwa vcc, v30, v23 src0_sel:WORD_0 src1_sel:DWORD
	v_cndmask_b32_e32 v29, v29, v30, vcc
; %bb.460:                              ;   in Loop: Header=BB333_211 Depth=1
	s_or_b64 exec, exec, s[0:1]
	v_lshlrev_b32_e32 v30, 16, v48
	v_mul_f32_e32 v31, v40, v30
	v_and_b32_e32 v30, 0x7f800000, v31
	v_cmp_ne_u32_e32 vcc, s25, v30
                                        ; implicit-def: $vgpr30
	s_and_saveexec_b64 s[0:1], vcc
	s_xor_b64 s[0:1], exec, s[0:1]
; %bb.461:                              ;   in Loop: Header=BB333_211 Depth=1
	v_bfe_u32 v30, v31, 16, 1
	v_add3_u32 v30, v31, v30, s26
                                        ; implicit-def: $vgpr31
; %bb.462:                              ;   in Loop: Header=BB333_211 Depth=1
	s_andn2_saveexec_b64 s[0:1], s[0:1]
; %bb.463:                              ;   in Loop: Header=BB333_211 Depth=1
	v_or_b32_e32 v30, 0x10000, v31
	v_cmp_eq_u32_sdwa vcc, v31, v23 src0_sel:WORD_0 src1_sel:DWORD
	v_cndmask_b32_e32 v30, v30, v31, vcc
; %bb.464:                              ;   in Loop: Header=BB333_211 Depth=1
	s_or_b64 exec, exec, s[0:1]
	v_lshlrev_b32_e32 v4, 16, v4
	v_mul_f32_e32 v31, v41, v4
	v_and_b32_e32 v4, 0x7f800000, v31
	v_cmp_ne_u32_e32 vcc, s25, v4
                                        ; implicit-def: $vgpr4
	s_and_saveexec_b64 s[0:1], vcc
	s_xor_b64 s[0:1], exec, s[0:1]
; %bb.465:                              ;   in Loop: Header=BB333_211 Depth=1
	v_bfe_u32 v4, v31, 16, 1
	v_add3_u32 v4, v31, v4, s26
                                        ; implicit-def: $vgpr31
; %bb.466:                              ;   in Loop: Header=BB333_211 Depth=1
	s_andn2_saveexec_b64 s[0:1], s[0:1]
; %bb.467:                              ;   in Loop: Header=BB333_211 Depth=1
	v_or_b32_e32 v4, 0x10000, v31
	v_cmp_eq_u32_sdwa vcc, v31, v23 src0_sel:WORD_0 src1_sel:DWORD
	v_cndmask_b32_e32 v4, v4, v31, vcc
; %bb.468:                              ;   in Loop: Header=BB333_211 Depth=1
	s_or_b64 exec, exec, s[0:1]
	v_lshlrev_b32_e32 v3, 16, v3
	v_mul_f32_e32 v31, v42, v3
	v_and_b32_e32 v3, 0x7f800000, v31
	v_cmp_ne_u32_e32 vcc, s25, v3
                                        ; implicit-def: $vgpr3
	s_and_saveexec_b64 s[0:1], vcc
	s_xor_b64 s[0:1], exec, s[0:1]
; %bb.469:                              ;   in Loop: Header=BB333_211 Depth=1
	v_bfe_u32 v3, v31, 16, 1
	v_add3_u32 v3, v31, v3, s26
                                        ; implicit-def: $vgpr31
; %bb.470:                              ;   in Loop: Header=BB333_211 Depth=1
	s_andn2_saveexec_b64 s[0:1], s[0:1]
	s_cbranch_execz .LBB333_209
; %bb.471:                              ;   in Loop: Header=BB333_211 Depth=1
	v_or_b32_e32 v3, 0x10000, v31
	v_cmp_eq_u32_sdwa vcc, v31, v23 src0_sel:WORD_0 src1_sel:DWORD
	v_cndmask_b32_e32 v3, v3, v31, vcc
	s_branch .LBB333_209
.LBB333_472:
	s_or_b64 exec, exec, s[10:11]
	v_mov_b32_e32 v12, v25
.LBB333_473:
	s_or_b64 exec, exec, s[4:5]
	v_and_b32_e32 v1, 0x3c0, v0
	v_cmp_eq_u32_e32 vcc, 64, v1
	s_barrier
	s_and_saveexec_b64 s[0:1], vcc
	s_cbranch_execz .LBB333_475
; %bb.474:
	v_mov_b32_e32 v1, 0x110
	v_lshl_add_u32 v2, v0, 2, v1
	v_lshl_add_u32 v1, v20, 2, v1
	ds_write_b32 v1, v12
	ds_write_b32 v2, v13
.LBB333_475:
	s_or_b64 exec, exec, s[0:1]
	v_cmp_gt_u32_e32 vcc, 64, v0
	s_waitcnt lgkmcnt(0)
	s_barrier
	s_and_saveexec_b64 s[0:1], vcc
	s_cbranch_execz .LBB333_477
; %bb.476:
	v_mov_b32_e32 v1, 0x110
	v_lshl_add_u32 v0, v0, 2, v1
	ds_read2st64_b32 v[0:1], v0 offset1:1
	s_waitcnt lgkmcnt(0)
	v_pk_add_f32 v[12:13], v[12:13], v[0:1]
.LBB333_477:
	s_or_b64 exec, exec, s[0:1]
	s_barrier
	s_and_saveexec_b64 s[0:1], vcc
	s_cbranch_execz .LBB333_487
; %bb.478:
	s_mov_b32 s0, 0x7f800000
	v_and_b32_e32 v0, 0x7f800000, v12
	v_cmp_ne_u32_e32 vcc, s0, v0
                                        ; implicit-def: $vgpr2
	s_and_saveexec_b64 s[0:1], vcc
	s_xor_b64 s[0:1], exec, s[0:1]
; %bb.479:
	v_bfe_u32 v0, v12, 16, 1
	s_movk_i32 s3, 0x7fff
	v_add3_u32 v2, v12, v0, s3
; %bb.480:
	s_andn2_saveexec_b64 s[0:1], s[0:1]
; %bb.481:
	v_mov_b32_e32 v0, 0
	v_or_b32_e32 v1, 0x10000, v12
	v_cmp_eq_u32_sdwa vcc, v12, v0 src0_sel:WORD_0 src1_sel:DWORD
	v_cndmask_b32_e32 v2, v1, v12, vcc
; %bb.482:
	s_or_b64 exec, exec, s[0:1]
	s_lshl_b32 s0, s2, 7
	s_ashr_i32 s1, s0, 31
	s_lshl_b64 s[0:1], s[0:1], 1
	s_add_u32 s2, s30, s0
	s_mul_i32 s0, s23, s28
	s_addc_u32 s3, s31, s1
	s_ashr_i32 s1, s0, 31
	s_lshl_b64 s[0:1], s[0:1], 1
	s_add_u32 s2, s2, s0
	s_addc_u32 s3, s3, s1
	s_lshl_b32 s0, s8, 7
	s_ashr_i32 s1, s0, 31
	s_lshl_b64 s[0:1], s[0:1], 1
	s_add_u32 s0, s2, s0
	s_addc_u32 s1, s3, s1
	v_mov_b32_e32 v1, s1
	v_add_co_u32_e32 v0, vcc, s0, v21
	v_addc_co_u32_e32 v1, vcc, 0, v1, vcc
	global_store_short_d16_hi v21, v2, s[0:1]
	s_mov_b32 s0, 0x7f800000
	v_and_b32_e32 v2, 0x7f800000, v13
	v_cmp_ne_u32_e32 vcc, s0, v2
                                        ; implicit-def: $vgpr2
	s_and_saveexec_b64 s[0:1], vcc
	s_xor_b64 s[0:1], exec, s[0:1]
; %bb.483:
	v_bfe_u32 v2, v13, 16, 1
	s_movk_i32 s2, 0x7fff
	v_add3_u32 v2, v13, v2, s2
                                        ; implicit-def: $vgpr12_vgpr13
; %bb.484:
	s_andn2_saveexec_b64 s[0:1], s[0:1]
; %bb.485:
	v_mov_b32_e32 v2, 0
	v_or_b32_e32 v3, 0x10000, v13
	v_cmp_eq_u32_sdwa vcc, v13, v2 src0_sel:WORD_0 src1_sel:DWORD
	v_cndmask_b32_e32 v2, v3, v13, vcc
; %bb.486:
	s_or_b64 exec, exec, s[0:1]
	global_store_short_d16_hi v[0:1], v2, off offset:128
.LBB333_487:
	s_endpgm
	.section	.rodata,"a",@progbits
	.p2align	6, 0x0
	.amdhsa_kernel _ZN4vllm25paged_attention_v2_kernelI14__hip_bfloat16hLi128ELi8ELi128ELNS_18Fp8KVCacheDataTypeE1ELb1ELi512EEEvPfS3_PT_PKS4_PKT0_SA_ifPKiSC_iPKfiiiSE_SE_iiiii
		.amdhsa_group_segment_fixed_size 272
		.amdhsa_private_segment_fixed_size 0
		.amdhsa_kernarg_size 400
		.amdhsa_user_sgpr_count 6
		.amdhsa_user_sgpr_private_segment_buffer 1
		.amdhsa_user_sgpr_dispatch_ptr 0
		.amdhsa_user_sgpr_queue_ptr 0
		.amdhsa_user_sgpr_kernarg_segment_ptr 1
		.amdhsa_user_sgpr_dispatch_id 0
		.amdhsa_user_sgpr_flat_scratch_init 0
		.amdhsa_user_sgpr_kernarg_preload_length 0
		.amdhsa_user_sgpr_kernarg_preload_offset 0
		.amdhsa_user_sgpr_private_segment_size 0
		.amdhsa_uses_dynamic_stack 0
		.amdhsa_system_sgpr_private_segment_wavefront_offset 0
		.amdhsa_system_sgpr_workgroup_id_x 1
		.amdhsa_system_sgpr_workgroup_id_y 1
		.amdhsa_system_sgpr_workgroup_id_z 1
		.amdhsa_system_sgpr_workgroup_info 0
		.amdhsa_system_vgpr_workitem_id 0
		.amdhsa_next_free_vgpr 58
		.amdhsa_next_free_sgpr 65
		.amdhsa_accum_offset 60
		.amdhsa_reserve_vcc 1
		.amdhsa_reserve_flat_scratch 0
		.amdhsa_float_round_mode_32 0
		.amdhsa_float_round_mode_16_64 0
		.amdhsa_float_denorm_mode_32 3
		.amdhsa_float_denorm_mode_16_64 3
		.amdhsa_dx10_clamp 1
		.amdhsa_ieee_mode 1
		.amdhsa_fp16_overflow 0
		.amdhsa_tg_split 0
		.amdhsa_exception_fp_ieee_invalid_op 0
		.amdhsa_exception_fp_denorm_src 0
		.amdhsa_exception_fp_ieee_div_zero 0
		.amdhsa_exception_fp_ieee_overflow 0
		.amdhsa_exception_fp_ieee_underflow 0
		.amdhsa_exception_fp_ieee_inexact 0
		.amdhsa_exception_int_div_zero 0
	.end_amdhsa_kernel
	.section	.text._ZN4vllm25paged_attention_v2_kernelI14__hip_bfloat16hLi128ELi8ELi128ELNS_18Fp8KVCacheDataTypeE1ELb1ELi512EEEvPfS3_PT_PKS4_PKT0_SA_ifPKiSC_iPKfiiiSE_SE_iiiii,"axG",@progbits,_ZN4vllm25paged_attention_v2_kernelI14__hip_bfloat16hLi128ELi8ELi128ELNS_18Fp8KVCacheDataTypeE1ELb1ELi512EEEvPfS3_PT_PKS4_PKT0_SA_ifPKiSC_iPKfiiiSE_SE_iiiii,comdat
.Lfunc_end333:
	.size	_ZN4vllm25paged_attention_v2_kernelI14__hip_bfloat16hLi128ELi8ELi128ELNS_18Fp8KVCacheDataTypeE1ELb1ELi512EEEvPfS3_PT_PKS4_PKT0_SA_ifPKiSC_iPKfiiiSE_SE_iiiii, .Lfunc_end333-_ZN4vllm25paged_attention_v2_kernelI14__hip_bfloat16hLi128ELi8ELi128ELNS_18Fp8KVCacheDataTypeE1ELb1ELi512EEEvPfS3_PT_PKS4_PKT0_SA_ifPKiSC_iPKfiiiSE_SE_iiiii
                                        ; -- End function
	.section	.AMDGPU.csdata,"",@progbits
; Kernel info:
; codeLenInByte = 14896
; NumSgprs: 69
; NumVgprs: 58
; NumAgprs: 0
; TotalNumVgprs: 58
; ScratchSize: 0
; MemoryBound: 0
; FloatMode: 240
; IeeeMode: 1
; LDSByteSize: 272 bytes/workgroup (compile time only)
; SGPRBlocks: 8
; VGPRBlocks: 7
; NumSGPRsForWavesPerEU: 69
; NumVGPRsForWavesPerEU: 58
; AccumOffset: 60
; Occupancy: 8
; WaveLimiterHint : 1
; COMPUTE_PGM_RSRC2:SCRATCH_EN: 0
; COMPUTE_PGM_RSRC2:USER_SGPR: 6
; COMPUTE_PGM_RSRC2:TRAP_HANDLER: 0
; COMPUTE_PGM_RSRC2:TGID_X_EN: 1
; COMPUTE_PGM_RSRC2:TGID_Y_EN: 1
; COMPUTE_PGM_RSRC2:TGID_Z_EN: 1
; COMPUTE_PGM_RSRC2:TIDIG_COMP_CNT: 0
; COMPUTE_PGM_RSRC3_GFX90A:ACCUM_OFFSET: 14
; COMPUTE_PGM_RSRC3_GFX90A:TG_SPLIT: 0
	.section	.text._ZN4vllm25paged_attention_v2_kernelI14__hip_bfloat16hLi192ELi8ELi128ELNS_18Fp8KVCacheDataTypeE1ELb1ELi512EEEvPfS3_PT_PKS4_PKT0_SA_ifPKiSC_iPKfiiiSE_SE_iiiii,"axG",@progbits,_ZN4vllm25paged_attention_v2_kernelI14__hip_bfloat16hLi192ELi8ELi128ELNS_18Fp8KVCacheDataTypeE1ELb1ELi512EEEvPfS3_PT_PKS4_PKT0_SA_ifPKiSC_iPKfiiiSE_SE_iiiii,comdat
	.protected	_ZN4vllm25paged_attention_v2_kernelI14__hip_bfloat16hLi192ELi8ELi128ELNS_18Fp8KVCacheDataTypeE1ELb1ELi512EEEvPfS3_PT_PKS4_PKT0_SA_ifPKiSC_iPKfiiiSE_SE_iiiii ; -- Begin function _ZN4vllm25paged_attention_v2_kernelI14__hip_bfloat16hLi192ELi8ELi128ELNS_18Fp8KVCacheDataTypeE1ELb1ELi512EEEvPfS3_PT_PKS4_PKT0_SA_ifPKiSC_iPKfiiiSE_SE_iiiii
	.globl	_ZN4vllm25paged_attention_v2_kernelI14__hip_bfloat16hLi192ELi8ELi128ELNS_18Fp8KVCacheDataTypeE1ELb1ELi512EEEvPfS3_PT_PKS4_PKT0_SA_ifPKiSC_iPKfiiiSE_SE_iiiii
	.p2align	8
	.type	_ZN4vllm25paged_attention_v2_kernelI14__hip_bfloat16hLi192ELi8ELi128ELNS_18Fp8KVCacheDataTypeE1ELb1ELi512EEEvPfS3_PT_PKS4_PKT0_SA_ifPKiSC_iPKfiiiSE_SE_iiiii,@function
_ZN4vllm25paged_attention_v2_kernelI14__hip_bfloat16hLi192ELi8ELi128ELNS_18Fp8KVCacheDataTypeE1ELb1ELi512EEEvPfS3_PT_PKS4_PKT0_SA_ifPKiSC_iPKfiiiSE_SE_iiiii: ; @_ZN4vllm25paged_attention_v2_kernelI14__hip_bfloat16hLi192ELi8ELi128ELNS_18Fp8KVCacheDataTypeE1ELb1ELi512EEEvPfS3_PT_PKS4_PKT0_SA_ifPKiSC_iPKfiiiSE_SE_iiiii
; %bb.0:
	s_load_dwordx2 s[0:1], s[4:5], 0x40
	s_mov_b32 s38, s7
	s_ashr_i32 s39, s7, 31
	s_lshl_b64 s[2:3], s[38:39], 2
	s_waitcnt lgkmcnt(0)
	s_add_u32 s0, s0, s2
	s_addc_u32 s1, s1, s3
	s_load_dword s39, s[0:1], 0x0
	s_lshl_b32 s54, s8, 9
	s_waitcnt lgkmcnt(0)
	s_cmp_ge_i32 s54, s39
	s_cbranch_scc1 .LBB334_685
; %bb.1:
	s_load_dword s9, s[4:5], 0x90
	s_load_dwordx2 s[44:45], s[4:5], 0x30
	s_mov_b32 s55, 0
	s_waitcnt lgkmcnt(0)
	s_abs_i32 s2, s9
	s_abs_i32 s0, s44
	v_cvt_f32_u32_e32 v1, s0
	s_sub_i32 s3, 0, s0
	s_xor_b32 s1, s9, s44
	s_ashr_i32 s1, s1, 31
	v_rcp_iflag_f32_e32 v1, v1
	v_mul_f32_e32 v1, 0x4f7ffffe, v1
	v_cvt_u32_f32_e32 v1, v1
	v_readfirstlane_b32 s7, v1
	s_mul_i32 s3, s3, s7
	s_mul_hi_u32 s3, s7, s3
	s_add_i32 s7, s7, s3
	s_mul_hi_u32 s3, s2, s7
	s_mul_i32 s7, s3, s0
	s_sub_i32 s2, s2, s7
	s_add_i32 s10, s3, 1
	s_sub_i32 s7, s2, s0
	s_cmp_ge_u32 s2, s0
	s_cselect_b32 s3, s10, s3
	s_cselect_b32 s2, s7, s2
	s_add_i32 s7, s3, 1
	s_cmp_ge_u32 s2, s0
	s_cselect_b32 s0, s7, s3
	s_xor_b32 s0, s0, s1
	s_sub_i32 s11, s0, s1
	s_abs_i32 s10, s11
	v_cvt_f32_u32_e32 v1, s10
	s_load_dwordx2 s[0:1], s[4:5], 0x50
	s_sub_i32 s2, 0, s10
	s_abs_i32 s12, s6
	v_rcp_iflag_f32_e32 v1, v1
	v_mul_f32_e32 v1, 0x4f7ffffe, v1
	v_cvt_u32_f32_e32 v1, v1
	v_readfirstlane_b32 s3, v1
	s_mul_i32 s2, s2, s3
	s_mul_hi_u32 s2, s3, s2
	s_add_i32 s2, s3, s2
	s_waitcnt lgkmcnt(0)
	s_cmp_eq_u64 s[0:1], 0
	s_cbranch_scc1 .LBB334_3
; %bb.2:
	s_ashr_i32 s7, s6, 31
	s_lshl_b64 s[14:15], s[6:7], 2
	s_add_u32 s0, s0, s14
	s_addc_u32 s1, s1, s15
	s_load_dword s55, s[0:1], 0x0
.LBB334_3:
	s_load_dwordx4 s[24:27], s[4:5], 0x0
	s_load_dwordx2 s[34:35], s[4:5], 0x10
	s_load_dwordx4 s[20:23], s[4:5], 0x20
	s_load_dwordx2 s[40:41], s[4:5], 0x38
	s_load_dword s33, s[4:5], 0x98
	s_load_dwordx4 s[16:19], s[4:5], 0x58
	s_movk_i32 s0, 0xc0
	s_mul_i32 s36, s6, 0xc0
	s_mul_hi_u32 s7, s12, s2
	v_and_b32_e32 v16, 7, v0
	s_ashr_i32 s37, s36, 31
	v_cmp_gt_u32_e32 vcc, s0, v0
	s_and_saveexec_b64 s[0:1], vcc
	s_cbranch_execz .LBB334_6
; %bb.4:
	s_load_dwordx2 s[2:3], s[4:5], 0x18
	s_waitcnt lgkmcnt(0)
	s_mul_i32 s14, s38, s16
	s_ashr_i32 s15, s14, 31
	s_lshl_b64 s[14:15], s[14:15], 1
	s_lshl_b64 s[28:29], s[36:37], 1
	v_lshrrev_b32_e32 v2, 3, v0
	s_add_u32 s13, s14, s28
	v_lshlrev_b32_e32 v3, 1, v2
	s_addc_u32 s14, s15, s29
	v_mad_u32_u24 v4, v16, 48, v3
	v_lshlrev_b32_e32 v3, 1, v16
	s_add_u32 s2, s2, s13
	v_add_u32_e32 v1, -16, v2
	v_lshl_or_b32 v2, v2, 4, v3
	s_addc_u32 s3, s3, s14
	v_mov_b32_e32 v3, s3
	v_add_co_u32_e32 v2, vcc, s2, v2
	v_addc_co_u32_e32 v3, vcc, 0, v3, vcc
	s_mov_b64 s[2:3], 0
.LBB334_5:                              ; =>This Inner Loop Header: Depth=1
	global_load_ushort v5, v[2:3], off
	v_add_co_u32_e32 v2, vcc, 0x100, v2
	v_add_u32_e32 v1, 16, v1
	v_addc_co_u32_e32 v3, vcc, 0, v3, vcc
	v_cmp_lt_u32_e32 vcc, 7, v1
	s_or_b64 s[2:3], vcc, s[2:3]
	s_waitcnt vmcnt(0)
	ds_write_b16 v4, v5
	v_add_u32_e32 v4, 32, v4
	s_andn2_b64 exec, exec, s[2:3]
	s_cbranch_execnz .LBB334_5
.LBB334_6:
	s_or_b64 exec, exec, s[0:1]
	s_ashr_i32 s0, s6, 31
	s_ashr_i32 s1, s11, 31
	s_xor_b32 s0, s0, s1
	s_mul_i32 s1, s7, s10
	s_sub_i32 s1, s12, s1
	s_add_i32 s2, s7, 1
	s_sub_i32 s3, s1, s10
	s_load_dwordx4 s[28:31], s[4:5], 0x78
	s_cmp_ge_u32 s1, s10
	s_cselect_b32 s2, s2, s7
	s_cselect_b32 s1, s3, s1
	s_add_i32 s3, s2, 1
	s_cmp_ge_u32 s1, s10
	s_cselect_b32 s1, s3, s2
	s_load_dword s2, s[4:5], 0x88
	s_waitcnt lgkmcnt(0)
	s_abs_i32 s37, s31
	v_cvt_f32_u32_e32 v1, s37
	s_xor_b32 s1, s1, s0
	s_sub_i32 s53, s1, s0
	s_sub_i32 s0, 0, s37
	v_rcp_iflag_f32_e32 v1, v1
	s_add_i32 s10, s39, -1
	s_abs_i32 s3, s10
	v_mul_f32_e32 v1, 0x4f7ffffe, v1
	v_cvt_u32_f32_e32 v1, v1
	s_barrier
	v_readfirstlane_b32 s52, v1
	s_mul_i32 s0, s0, s52
	s_mul_hi_u32 s0, s52, s0
	s_add_i32 s52, s52, s0
	s_cmp_lt_i32 s2, 0
	s_mul_hi_u32 s7, s3, s52
	s_cbranch_scc0 .LBB334_8
; %bb.7:
	s_mul_i32 s0, s28, s44
	s_add_i32 s0, s53, s0
	s_mul_i32 s0, s0, s2
	s_sub_i32 s44, 1, s0
	s_ashr_i32 s10, s10, 31
	s_ashr_i32 s31, s31, 31
	s_cbranch_execz .LBB334_9
	s_branch .LBB334_10
.LBB334_8:
                                        ; implicit-def: $sgpr44
	s_ashr_i32 s10, s10, 31
	s_ashr_i32 s31, s31, 31
.LBB334_9:
	s_mul_i32 s0, s9, s28
	s_add_i32 s0, s0, s6
	s_mul_i32 s0, s0, s2
	s_add_i32 s44, s0, 1
.LBB334_10:
	s_load_dword s0, s[4:5], 0x48
	s_load_dwordx4 s[12:15], s[4:5], 0x68
	s_mul_i32 s2, s7, s37
	s_sub_i32 s2, s3, s2
	s_xor_b32 s1, s10, s31
	s_waitcnt lgkmcnt(0)
	s_mul_i32 s42, s38, s0
	s_ashr_i32 s43, s42, 31
	s_add_i32 s0, s7, 1
	s_sub_i32 s3, s2, s37
	s_cmp_ge_u32 s2, s37
	s_cselect_b32 s0, s0, s7
	s_cselect_b32 s2, s3, s2
	s_add_i32 s3, s0, 1
	s_cmp_ge_u32 s2, s37
	s_cselect_b32 s0, s3, s0
	s_xor_b32 s0, s0, s1
	s_sub_i32 s7, s0, s1
	s_add_i32 s0, s39, 7
	s_ashr_i32 s1, s0, 31
	s_lshr_b32 s1, s1, 29
	s_add_i32 s0, s0, s1
	s_lshl_b32 s56, s8, 6
	s_ashr_i32 s16, s0, 3
	s_add_i32 s0, s56, 64
	v_lshrrev_b32_e32 v25, 6, v0
	s_min_i32 s28, s0, s16
	v_or_b32_e32 v14, s56, v25
	v_cmp_gt_i32_e64 s[0:1], s28, v14
	v_mov_b32_e32 v30, 0xff7fffff
	s_mul_i32 s53, s53, s18
	v_ashrrev_i32_e32 v15, 31, v14
	v_lshl_add_u32 v1, v25, 3, s54
	v_mbcnt_lo_u32_b32 v17, -1, 0
	s_and_saveexec_b64 s[18:19], s[0:1]
	s_cbranch_execz .LBB334_260
; %bb.11:
	s_sub_i32 s57, s7, s29
	s_ashr_i32 s2, s53, 31
	s_add_u32 s3, s20, s53
	s_addc_u32 s2, s21, s2
	s_abs_i32 s59, s30
	v_cvt_f32_u32_e32 v2, s59
	v_bfe_u32 v26, v0, 3, 3
	v_lshlrev_b32_e32 v3, 4, v26
	s_sub_i32 s4, 0, s59
	v_rcp_iflag_f32_e32 v2, v2
	v_mov_b32_e32 v4, s2
	v_add_co_u32_e64 v18, s[2:3], s3, v3
	v_mul_f32_e32 v2, 0x4f7ffffe, v2
	v_cvt_u32_f32_e32 v2, v2
	v_addc_co_u32_e64 v19, s[2:3], 0, v4, s[2:3]
	v_cmp_eq_u32_e32 vcc, 0, v16
	v_mul_lo_u32 v3, s4, v2
	s_lshl_b64 s[4:5], s[42:43], 2
	v_mul_hi_u32 v3, v2, v3
	s_add_u32 s4, s40, s4
	v_add_u32_e32 v29, v2, v3
	v_lshlrev_b64 v[2:3], 2, v[14:15]
	s_addc_u32 s5, s41, s5
	v_mov_b32_e32 v4, s5
	v_add_co_u32_e64 v20, s[4:5], s4, v2
	v_lshlrev_b32_e32 v2, 2, v26
	v_lshl_or_b32 v2, v25, 5, v2
	v_add_u32_e32 v32, 0x190, v2
	v_subrev_u32_e32 v2, s39, v26
	s_mov_b32 s58, s17
	v_mov_b32_e32 v27, 0
	v_mul_u32_u24_e32 v28, 48, v16
	v_cmp_neq_f32_e64 s[2:3], s55, 0
	v_addc_co_u32_e64 v21, s[4:5], v4, v3, s[4:5]
	v_lshl_add_u32 v31, v25, 3, s54
	v_add_u32_e32 v33, 1, v2
	s_mov_b64 s[20:21], 0
	v_mov_b32_e32 v34, 0xff7fffff
	s_movk_i32 s60, 0x80
	s_movk_i32 s61, 0x7f
	s_mov_b32 s62, 0x7f800000
	s_movk_i32 s63, 0x7fff
	v_bfrev_b32_e32 v35, 60
	v_mbcnt_hi_u32_b32 v36, -1, v17
	v_mov_b32_e32 v30, 0xff7fffff
	v_mov_b32_e32 v37, v14
	s_branch .LBB334_14
.LBB334_12:                             ;   in Loop: Header=BB334_14 Depth=1
	s_or_b64 exec, exec, s[46:47]
.LBB334_13:                             ;   in Loop: Header=BB334_14 Depth=1
	s_or_b64 exec, exec, s[10:11]
	v_add_co_u32_e64 v20, s[4:5], 8, v20
	v_add_u32_e32 v37, 2, v37
	v_addc_co_u32_e64 v21, s[4:5], 0, v21, s[4:5]
	v_cmp_le_i32_e64 s[4:5], s28, v37
	v_add_u32_e32 v31, 16, v31
	s_or_b64 s[20:21], s[4:5], s[20:21]
	v_add_u32_e32 v32, 64, v32
	s_andn2_b64 exec, exec, s[20:21]
	s_cbranch_execz .LBB334_259
.LBB334_14:                             ; =>This Inner Loop Header: Depth=1
	s_waitcnt lgkmcnt(0)
	v_sub_u32_e32 v3, 0, v31
	v_max_i32_e32 v3, v31, v3
	v_mul_hi_u32 v4, v3, s52
	v_mul_lo_u32 v5, v4, s37
	v_sub_u32_e32 v3, v3, v5
	v_add_u32_e32 v5, 1, v4
	v_cmp_le_u32_e64 s[4:5], s37, v3
	v_cndmask_b32_e64 v4, v4, v5, s[4:5]
	v_subrev_u32_e32 v5, s37, v3
	v_cndmask_b32_e64 v3, v3, v5, s[4:5]
	v_ashrrev_i32_e32 v2, 31, v31
	v_add_u32_e32 v5, 1, v4
	v_cmp_le_u32_e64 s[4:5], s37, v3
	v_xor_b32_e32 v2, s31, v2
	v_cndmask_b32_e64 v3, v4, v5, s[4:5]
	v_xor_b32_e32 v3, v3, v2
	v_sub_u32_e32 v2, v3, v2
	v_add_u32_e32 v3, s44, v2
	v_sub_u32_e32 v5, 0, v3
	v_ashrrev_i32_e32 v4, 31, v3
	v_max_i32_e32 v3, v3, v5
	v_mul_hi_u32 v5, v3, v29
	v_mul_lo_u32 v5, v5, s59
	v_sub_u32_e32 v3, v3, v5
	v_subrev_u32_e32 v5, s59, v3
	v_cmp_le_u32_e64 s[4:5], s59, v3
	v_cndmask_b32_e64 v3, v3, v5, s[4:5]
	v_subrev_u32_e32 v5, s59, v3
	v_cmp_le_u32_e64 s[4:5], s59, v3
	v_cndmask_b32_e64 v3, v3, v5, s[4:5]
	v_xor_b32_e32 v3, v3, v4
	v_sub_u32_e32 v3, v3, v4
	v_cmp_ne_u32_e64 s[4:5], 0, v3
	v_cmp_ge_i32_e64 s[10:11], s57, v2
	s_and_b64 s[4:5], s[4:5], s[10:11]
	s_and_b64 s[46:47], vcc, s[4:5]
	s_and_saveexec_b64 s[10:11], s[46:47]
	s_cbranch_execz .LBB334_16
; %bb.15:                               ;   in Loop: Header=BB334_14 Depth=1
	ds_write_b32 v32, v34
.LBB334_16:                             ;   in Loop: Header=BB334_14 Depth=1
	s_or_b64 exec, exec, s[10:11]
	s_xor_b64 s[4:5], s[4:5], -1
	s_and_saveexec_b64 s[10:11], s[4:5]
	s_cbranch_execz .LBB334_13
; %bb.17:                               ;   in Loop: Header=BB334_14 Depth=1
	global_load_dword v2, v[20:21], off
	v_mov_b32_e32 v39, 0
	s_waitcnt vmcnt(0)
	v_mad_i64_i32 v[2:3], s[4:5], v2, s58, v[18:19]
	v_add_co_u32_e64 v22, s[4:5], v2, v16
	v_addc_co_u32_e64 v23, s[4:5], 0, v3, s[4:5]
	global_load_ubyte v38, v[22:23], off
	ds_read_b128 v[10:13], v28
	ds_read_b128 v[6:9], v28 offset:16
	ds_read_b128 v[2:5], v28 offset:32
	s_load_dword s64, s[12:13], 0x0
	s_waitcnt vmcnt(0)
	v_cmp_ne_u16_e64 s[4:5], 0, v38
	s_and_saveexec_b64 s[46:47], s[4:5]
	s_cbranch_execz .LBB334_23
; %bb.18:                               ;   in Loop: Header=BB334_14 Depth=1
	v_cmp_ne_u16_e64 s[4:5], s60, v38
	v_bfrev_b32_e32 v39, 1
	s_and_saveexec_b64 s[48:49], s[4:5]
	s_cbranch_execz .LBB334_22
; %bb.19:                               ;   in Loop: Header=BB334_14 Depth=1
	v_and_b32_e32 v24, 0xffff, v38
	v_and_b32_e32 v40, 0x7f, v24
	v_cmp_ne_u32_e64 s[4:5], s61, v40
	v_mov_b32_e32 v39, 0x7f800001
	s_and_saveexec_b64 s[50:51], s[4:5]
	s_cbranch_execz .LBB334_21
; %bb.20:                               ;   in Loop: Header=BB334_14 Depth=1
	v_and_b32_e32 v39, 7, v24
	v_ffbh_u32_e32 v42, v39
	v_min_u32_e32 v44, 32, v42
	v_subrev_u32_e32 v42, 28, v44
	v_lshlrev_b64 v[42:43], v42, v[24:25]
	v_lshrrev_b32_e32 v41, 3, v40
	v_sub_u32_e32 v24, 29, v44
	v_and_b32_e32 v42, 7, v42
	v_cmp_gt_u32_e64 s[4:5], 8, v40
	v_cndmask_b32_e64 v24, v41, v24, s[4:5]
	v_cndmask_b32_e64 v39, v39, v42, s[4:5]
	v_lshlrev_b32_e32 v38, 24, v38
	v_lshlrev_b32_e32 v39, 20, v39
	v_and_b32_e32 v38, 0x80000000, v38
	v_lshl_add_u32 v24, v24, 23, v35
	v_or3_b32 v39, v38, v24, v39
.LBB334_21:                             ;   in Loop: Header=BB334_14 Depth=1
	s_or_b64 exec, exec, s[50:51]
.LBB334_22:                             ;   in Loop: Header=BB334_14 Depth=1
	s_or_b64 exec, exec, s[48:49]
.LBB334_23:                             ;   in Loop: Header=BB334_14 Depth=1
	s_or_b64 exec, exec, s[46:47]
	s_waitcnt lgkmcnt(0)
	v_mul_f32_e32 v24, s64, v39
	v_and_b32_e32 v38, 0x7f800000, v24
	v_cmp_ne_u32_e64 s[4:5], s62, v38
                                        ; implicit-def: $vgpr38
	s_and_saveexec_b64 s[46:47], s[4:5]
	s_xor_b64 s[4:5], exec, s[46:47]
; %bb.24:                               ;   in Loop: Header=BB334_14 Depth=1
	v_bfe_u32 v38, v24, 16, 1
	v_add3_u32 v38, v24, v38, s63
                                        ; implicit-def: $vgpr24
; %bb.25:                               ;   in Loop: Header=BB334_14 Depth=1
	s_andn2_saveexec_b64 s[46:47], s[4:5]
; %bb.26:                               ;   in Loop: Header=BB334_14 Depth=1
	v_or_b32_e32 v38, 0x10000, v24
	v_cmp_eq_u32_sdwa s[4:5], v24, v27 src0_sel:WORD_0 src1_sel:DWORD
	v_cndmask_b32_e64 v38, v38, v24, s[4:5]
; %bb.27:                               ;   in Loop: Header=BB334_14 Depth=1
	s_or_b64 exec, exec, s[46:47]
	global_load_ubyte v39, v[22:23], off offset:8
	v_mov_b32_e32 v40, 0
	s_waitcnt vmcnt(0)
	v_cmp_ne_u16_e64 s[4:5], 0, v39
	s_and_saveexec_b64 s[46:47], s[4:5]
	s_cbranch_execz .LBB334_33
; %bb.28:                               ;   in Loop: Header=BB334_14 Depth=1
	v_cmp_ne_u16_e64 s[4:5], s60, v39
	v_bfrev_b32_e32 v40, 1
	s_and_saveexec_b64 s[48:49], s[4:5]
	s_cbranch_execz .LBB334_32
; %bb.29:                               ;   in Loop: Header=BB334_14 Depth=1
	v_and_b32_e32 v24, 0xffff, v39
	v_and_b32_e32 v41, 0x7f, v24
	v_cmp_ne_u32_e64 s[4:5], s61, v41
	v_mov_b32_e32 v40, 0x7f800001
	s_and_saveexec_b64 s[50:51], s[4:5]
	s_cbranch_execz .LBB334_31
; %bb.30:                               ;   in Loop: Header=BB334_14 Depth=1
	v_and_b32_e32 v40, 7, v24
	v_ffbh_u32_e32 v42, v40
	v_min_u32_e32 v45, 32, v42
	v_subrev_u32_e32 v42, 28, v45
	v_lshlrev_b64 v[42:43], v42, v[24:25]
	v_lshrrev_b32_e32 v44, 3, v41
	v_sub_u32_e32 v24, 29, v45
	v_and_b32_e32 v42, 7, v42
	v_cmp_gt_u32_e64 s[4:5], 8, v41
	v_cndmask_b32_e64 v24, v44, v24, s[4:5]
	v_cndmask_b32_e64 v40, v40, v42, s[4:5]
	v_lshlrev_b32_e32 v39, 24, v39
	v_lshlrev_b32_e32 v40, 20, v40
	v_and_b32_e32 v39, 0x80000000, v39
	v_lshl_add_u32 v24, v24, 23, v35
	v_or3_b32 v40, v39, v24, v40
.LBB334_31:                             ;   in Loop: Header=BB334_14 Depth=1
	s_or_b64 exec, exec, s[50:51]
.LBB334_32:                             ;   in Loop: Header=BB334_14 Depth=1
	s_or_b64 exec, exec, s[48:49]
.LBB334_33:                             ;   in Loop: Header=BB334_14 Depth=1
	s_or_b64 exec, exec, s[46:47]
	v_mul_f32_e32 v24, s64, v40
	v_and_b32_e32 v39, 0x7f800000, v24
	v_cmp_ne_u32_e64 s[4:5], s62, v39
                                        ; implicit-def: $vgpr39
	s_and_saveexec_b64 s[46:47], s[4:5]
	s_xor_b64 s[4:5], exec, s[46:47]
; %bb.34:                               ;   in Loop: Header=BB334_14 Depth=1
	v_bfe_u32 v39, v24, 16, 1
	v_add3_u32 v39, v24, v39, s63
                                        ; implicit-def: $vgpr24
; %bb.35:                               ;   in Loop: Header=BB334_14 Depth=1
	s_andn2_saveexec_b64 s[46:47], s[4:5]
; %bb.36:                               ;   in Loop: Header=BB334_14 Depth=1
	v_or_b32_e32 v39, 0x10000, v24
	v_cmp_eq_u32_sdwa s[4:5], v24, v27 src0_sel:WORD_0 src1_sel:DWORD
	v_cndmask_b32_e64 v39, v39, v24, s[4:5]
; %bb.37:                               ;   in Loop: Header=BB334_14 Depth=1
	s_or_b64 exec, exec, s[46:47]
	global_load_ubyte v40, v[22:23], off offset:128
	v_mov_b32_e32 v41, 0
	s_waitcnt vmcnt(0)
	v_cmp_ne_u16_e64 s[4:5], 0, v40
	s_and_saveexec_b64 s[46:47], s[4:5]
	s_cbranch_execz .LBB334_43
; %bb.38:                               ;   in Loop: Header=BB334_14 Depth=1
	v_cmp_ne_u16_e64 s[4:5], s60, v40
	v_bfrev_b32_e32 v41, 1
	s_and_saveexec_b64 s[48:49], s[4:5]
	s_cbranch_execz .LBB334_42
; %bb.39:                               ;   in Loop: Header=BB334_14 Depth=1
	v_and_b32_e32 v24, 0xffff, v40
	v_and_b32_e32 v42, 0x7f, v24
	v_cmp_ne_u32_e64 s[4:5], s61, v42
	v_mov_b32_e32 v41, 0x7f800001
	s_and_saveexec_b64 s[50:51], s[4:5]
	s_cbranch_execz .LBB334_41
; %bb.40:                               ;   in Loop: Header=BB334_14 Depth=1
	v_and_b32_e32 v41, 7, v24
	v_ffbh_u32_e32 v44, v41
	v_min_u32_e32 v46, 32, v44
	v_subrev_u32_e32 v44, 28, v46
	v_lshlrev_b64 v[44:45], v44, v[24:25]
	v_lshrrev_b32_e32 v43, 3, v42
	v_sub_u32_e32 v24, 29, v46
	v_and_b32_e32 v44, 7, v44
	v_cmp_gt_u32_e64 s[4:5], 8, v42
	v_cndmask_b32_e64 v24, v43, v24, s[4:5]
	v_cndmask_b32_e64 v41, v41, v44, s[4:5]
	v_lshlrev_b32_e32 v40, 24, v40
	v_lshlrev_b32_e32 v41, 20, v41
	v_and_b32_e32 v40, 0x80000000, v40
	v_lshl_add_u32 v24, v24, 23, v35
	v_or3_b32 v41, v40, v24, v41
.LBB334_41:                             ;   in Loop: Header=BB334_14 Depth=1
	s_or_b64 exec, exec, s[50:51]
.LBB334_42:                             ;   in Loop: Header=BB334_14 Depth=1
	s_or_b64 exec, exec, s[48:49]
.LBB334_43:                             ;   in Loop: Header=BB334_14 Depth=1
	s_or_b64 exec, exec, s[46:47]
	v_mul_f32_e32 v24, s64, v41
	v_and_b32_e32 v40, 0x7f800000, v24
	v_cmp_ne_u32_e64 s[4:5], s62, v40
                                        ; implicit-def: $vgpr40
	s_and_saveexec_b64 s[46:47], s[4:5]
	s_xor_b64 s[4:5], exec, s[46:47]
; %bb.44:                               ;   in Loop: Header=BB334_14 Depth=1
	v_bfe_u32 v40, v24, 16, 1
	v_add3_u32 v40, v24, v40, s63
                                        ; implicit-def: $vgpr24
; %bb.45:                               ;   in Loop: Header=BB334_14 Depth=1
	s_andn2_saveexec_b64 s[46:47], s[4:5]
; %bb.46:                               ;   in Loop: Header=BB334_14 Depth=1
	v_or_b32_e32 v40, 0x10000, v24
	v_cmp_eq_u32_sdwa s[4:5], v24, v27 src0_sel:WORD_0 src1_sel:DWORD
	v_cndmask_b32_e64 v40, v40, v24, s[4:5]
; %bb.47:                               ;   in Loop: Header=BB334_14 Depth=1
	s_or_b64 exec, exec, s[46:47]
	global_load_ubyte v41, v[22:23], off offset:136
	v_mov_b32_e32 v42, 0
	s_waitcnt vmcnt(0)
	v_cmp_ne_u16_e64 s[4:5], 0, v41
	s_and_saveexec_b64 s[46:47], s[4:5]
	s_cbranch_execz .LBB334_53
; %bb.48:                               ;   in Loop: Header=BB334_14 Depth=1
	v_cmp_ne_u16_e64 s[4:5], s60, v41
	v_bfrev_b32_e32 v42, 1
	s_and_saveexec_b64 s[48:49], s[4:5]
	s_cbranch_execz .LBB334_52
; %bb.49:                               ;   in Loop: Header=BB334_14 Depth=1
	v_and_b32_e32 v24, 0xffff, v41
	v_and_b32_e32 v43, 0x7f, v24
	v_cmp_ne_u32_e64 s[4:5], s61, v43
	v_mov_b32_e32 v42, 0x7f800001
	s_and_saveexec_b64 s[50:51], s[4:5]
	s_cbranch_execz .LBB334_51
; %bb.50:                               ;   in Loop: Header=BB334_14 Depth=1
	v_and_b32_e32 v42, 7, v24
	v_ffbh_u32_e32 v44, v42
	v_min_u32_e32 v47, 32, v44
	v_subrev_u32_e32 v44, 28, v47
	v_lshlrev_b64 v[44:45], v44, v[24:25]
	v_lshrrev_b32_e32 v46, 3, v43
	v_sub_u32_e32 v24, 29, v47
	v_and_b32_e32 v44, 7, v44
	v_cmp_gt_u32_e64 s[4:5], 8, v43
	v_cndmask_b32_e64 v24, v46, v24, s[4:5]
	v_cndmask_b32_e64 v42, v42, v44, s[4:5]
	v_lshlrev_b32_e32 v41, 24, v41
	v_lshlrev_b32_e32 v42, 20, v42
	v_and_b32_e32 v41, 0x80000000, v41
	v_lshl_add_u32 v24, v24, 23, v35
	v_or3_b32 v42, v41, v24, v42
.LBB334_51:                             ;   in Loop: Header=BB334_14 Depth=1
	s_or_b64 exec, exec, s[50:51]
.LBB334_52:                             ;   in Loop: Header=BB334_14 Depth=1
	s_or_b64 exec, exec, s[48:49]
.LBB334_53:                             ;   in Loop: Header=BB334_14 Depth=1
	s_or_b64 exec, exec, s[46:47]
	v_mul_f32_e32 v24, s64, v42
	v_and_b32_e32 v41, 0x7f800000, v24
	v_cmp_ne_u32_e64 s[4:5], s62, v41
                                        ; implicit-def: $vgpr41
	s_and_saveexec_b64 s[46:47], s[4:5]
	s_xor_b64 s[4:5], exec, s[46:47]
; %bb.54:                               ;   in Loop: Header=BB334_14 Depth=1
	v_bfe_u32 v41, v24, 16, 1
	v_add3_u32 v41, v24, v41, s63
                                        ; implicit-def: $vgpr24
; %bb.55:                               ;   in Loop: Header=BB334_14 Depth=1
	s_andn2_saveexec_b64 s[46:47], s[4:5]
; %bb.56:                               ;   in Loop: Header=BB334_14 Depth=1
	v_or_b32_e32 v41, 0x10000, v24
	v_cmp_eq_u32_sdwa s[4:5], v24, v27 src0_sel:WORD_0 src1_sel:DWORD
	v_cndmask_b32_e64 v41, v41, v24, s[4:5]
; %bb.57:                               ;   in Loop: Header=BB334_14 Depth=1
	s_or_b64 exec, exec, s[46:47]
	global_load_ubyte v42, v[22:23], off offset:256
	v_mov_b32_e32 v43, 0
	s_waitcnt vmcnt(0)
	v_cmp_ne_u16_e64 s[4:5], 0, v42
	s_and_saveexec_b64 s[46:47], s[4:5]
	s_cbranch_execz .LBB334_63
; %bb.58:                               ;   in Loop: Header=BB334_14 Depth=1
	v_cmp_ne_u16_e64 s[4:5], s60, v42
	v_bfrev_b32_e32 v43, 1
	s_and_saveexec_b64 s[48:49], s[4:5]
	s_cbranch_execz .LBB334_62
; %bb.59:                               ;   in Loop: Header=BB334_14 Depth=1
	v_and_b32_e32 v24, 0xffff, v42
	v_and_b32_e32 v44, 0x7f, v24
	v_cmp_ne_u32_e64 s[4:5], s61, v44
	v_mov_b32_e32 v43, 0x7f800001
	s_and_saveexec_b64 s[50:51], s[4:5]
	s_cbranch_execz .LBB334_61
; %bb.60:                               ;   in Loop: Header=BB334_14 Depth=1
	v_and_b32_e32 v43, 7, v24
	v_ffbh_u32_e32 v46, v43
	v_min_u32_e32 v48, 32, v46
	v_subrev_u32_e32 v46, 28, v48
	v_lshlrev_b64 v[46:47], v46, v[24:25]
	v_lshrrev_b32_e32 v45, 3, v44
	v_sub_u32_e32 v24, 29, v48
	v_and_b32_e32 v46, 7, v46
	v_cmp_gt_u32_e64 s[4:5], 8, v44
	v_cndmask_b32_e64 v24, v45, v24, s[4:5]
	v_cndmask_b32_e64 v43, v43, v46, s[4:5]
	v_lshlrev_b32_e32 v42, 24, v42
	v_lshlrev_b32_e32 v43, 20, v43
	v_and_b32_e32 v42, 0x80000000, v42
	v_lshl_add_u32 v24, v24, 23, v35
	v_or3_b32 v43, v42, v24, v43
.LBB334_61:                             ;   in Loop: Header=BB334_14 Depth=1
	s_or_b64 exec, exec, s[50:51]
.LBB334_62:                             ;   in Loop: Header=BB334_14 Depth=1
	s_or_b64 exec, exec, s[48:49]
.LBB334_63:                             ;   in Loop: Header=BB334_14 Depth=1
	s_or_b64 exec, exec, s[46:47]
	v_mul_f32_e32 v24, s64, v43
	v_and_b32_e32 v42, 0x7f800000, v24
	v_cmp_ne_u32_e64 s[4:5], s62, v42
                                        ; implicit-def: $vgpr42
	s_and_saveexec_b64 s[46:47], s[4:5]
	s_xor_b64 s[4:5], exec, s[46:47]
; %bb.64:                               ;   in Loop: Header=BB334_14 Depth=1
	v_bfe_u32 v42, v24, 16, 1
	v_add3_u32 v42, v24, v42, s63
                                        ; implicit-def: $vgpr24
; %bb.65:                               ;   in Loop: Header=BB334_14 Depth=1
	s_andn2_saveexec_b64 s[46:47], s[4:5]
; %bb.66:                               ;   in Loop: Header=BB334_14 Depth=1
	v_or_b32_e32 v42, 0x10000, v24
	v_cmp_eq_u32_sdwa s[4:5], v24, v27 src0_sel:WORD_0 src1_sel:DWORD
	v_cndmask_b32_e64 v42, v42, v24, s[4:5]
; %bb.67:                               ;   in Loop: Header=BB334_14 Depth=1
	s_or_b64 exec, exec, s[46:47]
	global_load_ubyte v43, v[22:23], off offset:264
	v_mov_b32_e32 v44, 0
	s_waitcnt vmcnt(0)
	v_cmp_ne_u16_e64 s[4:5], 0, v43
	s_and_saveexec_b64 s[46:47], s[4:5]
	s_cbranch_execz .LBB334_73
; %bb.68:                               ;   in Loop: Header=BB334_14 Depth=1
	v_cmp_ne_u16_e64 s[4:5], s60, v43
	v_bfrev_b32_e32 v44, 1
	s_and_saveexec_b64 s[48:49], s[4:5]
	s_cbranch_execz .LBB334_72
; %bb.69:                               ;   in Loop: Header=BB334_14 Depth=1
	v_and_b32_e32 v24, 0xffff, v43
	v_and_b32_e32 v45, 0x7f, v24
	v_cmp_ne_u32_e64 s[4:5], s61, v45
	v_mov_b32_e32 v44, 0x7f800001
	s_and_saveexec_b64 s[50:51], s[4:5]
	s_cbranch_execz .LBB334_71
; %bb.70:                               ;   in Loop: Header=BB334_14 Depth=1
	v_and_b32_e32 v44, 7, v24
	v_ffbh_u32_e32 v46, v44
	v_min_u32_e32 v49, 32, v46
	v_subrev_u32_e32 v46, 28, v49
	v_lshlrev_b64 v[46:47], v46, v[24:25]
	v_lshrrev_b32_e32 v48, 3, v45
	v_sub_u32_e32 v24, 29, v49
	v_and_b32_e32 v46, 7, v46
	v_cmp_gt_u32_e64 s[4:5], 8, v45
	v_cndmask_b32_e64 v24, v48, v24, s[4:5]
	v_cndmask_b32_e64 v44, v44, v46, s[4:5]
	v_lshlrev_b32_e32 v43, 24, v43
	v_lshlrev_b32_e32 v44, 20, v44
	v_and_b32_e32 v43, 0x80000000, v43
	v_lshl_add_u32 v24, v24, 23, v35
	v_or3_b32 v44, v43, v24, v44
.LBB334_71:                             ;   in Loop: Header=BB334_14 Depth=1
	s_or_b64 exec, exec, s[50:51]
.LBB334_72:                             ;   in Loop: Header=BB334_14 Depth=1
	s_or_b64 exec, exec, s[48:49]
.LBB334_73:                             ;   in Loop: Header=BB334_14 Depth=1
	s_or_b64 exec, exec, s[46:47]
	v_mul_f32_e32 v24, s64, v44
	v_and_b32_e32 v43, 0x7f800000, v24
	v_cmp_ne_u32_e64 s[4:5], s62, v43
                                        ; implicit-def: $vgpr43
	s_and_saveexec_b64 s[46:47], s[4:5]
	s_xor_b64 s[4:5], exec, s[46:47]
; %bb.74:                               ;   in Loop: Header=BB334_14 Depth=1
	v_bfe_u32 v43, v24, 16, 1
	v_add3_u32 v43, v24, v43, s63
                                        ; implicit-def: $vgpr24
; %bb.75:                               ;   in Loop: Header=BB334_14 Depth=1
	s_andn2_saveexec_b64 s[46:47], s[4:5]
; %bb.76:                               ;   in Loop: Header=BB334_14 Depth=1
	v_or_b32_e32 v43, 0x10000, v24
	v_cmp_eq_u32_sdwa s[4:5], v24, v27 src0_sel:WORD_0 src1_sel:DWORD
	v_cndmask_b32_e64 v43, v43, v24, s[4:5]
; %bb.77:                               ;   in Loop: Header=BB334_14 Depth=1
	s_or_b64 exec, exec, s[46:47]
	global_load_ubyte v44, v[22:23], off offset:384
	v_mov_b32_e32 v45, 0
	s_waitcnt vmcnt(0)
	v_cmp_ne_u16_e64 s[4:5], 0, v44
	s_and_saveexec_b64 s[46:47], s[4:5]
	s_cbranch_execz .LBB334_83
; %bb.78:                               ;   in Loop: Header=BB334_14 Depth=1
	v_cmp_ne_u16_e64 s[4:5], s60, v44
	v_bfrev_b32_e32 v45, 1
	s_and_saveexec_b64 s[48:49], s[4:5]
	s_cbranch_execz .LBB334_82
; %bb.79:                               ;   in Loop: Header=BB334_14 Depth=1
	v_and_b32_e32 v24, 0xffff, v44
	v_and_b32_e32 v46, 0x7f, v24
	v_cmp_ne_u32_e64 s[4:5], s61, v46
	v_mov_b32_e32 v45, 0x7f800001
	s_and_saveexec_b64 s[50:51], s[4:5]
	s_cbranch_execz .LBB334_81
; %bb.80:                               ;   in Loop: Header=BB334_14 Depth=1
	v_and_b32_e32 v45, 7, v24
	v_ffbh_u32_e32 v48, v45
	v_min_u32_e32 v50, 32, v48
	v_subrev_u32_e32 v48, 28, v50
	v_lshlrev_b64 v[48:49], v48, v[24:25]
	v_lshrrev_b32_e32 v47, 3, v46
	v_sub_u32_e32 v24, 29, v50
	v_and_b32_e32 v48, 7, v48
	v_cmp_gt_u32_e64 s[4:5], 8, v46
	v_cndmask_b32_e64 v24, v47, v24, s[4:5]
	v_cndmask_b32_e64 v45, v45, v48, s[4:5]
	v_lshlrev_b32_e32 v44, 24, v44
	v_lshlrev_b32_e32 v45, 20, v45
	v_and_b32_e32 v44, 0x80000000, v44
	v_lshl_add_u32 v24, v24, 23, v35
	v_or3_b32 v45, v44, v24, v45
.LBB334_81:                             ;   in Loop: Header=BB334_14 Depth=1
	s_or_b64 exec, exec, s[50:51]
.LBB334_82:                             ;   in Loop: Header=BB334_14 Depth=1
	s_or_b64 exec, exec, s[48:49]
.LBB334_83:                             ;   in Loop: Header=BB334_14 Depth=1
	s_or_b64 exec, exec, s[46:47]
	v_mul_f32_e32 v24, s64, v45
	v_and_b32_e32 v44, 0x7f800000, v24
	v_cmp_ne_u32_e64 s[4:5], s62, v44
                                        ; implicit-def: $vgpr44
	s_and_saveexec_b64 s[46:47], s[4:5]
	s_xor_b64 s[4:5], exec, s[46:47]
; %bb.84:                               ;   in Loop: Header=BB334_14 Depth=1
	v_bfe_u32 v44, v24, 16, 1
	v_add3_u32 v44, v24, v44, s63
                                        ; implicit-def: $vgpr24
; %bb.85:                               ;   in Loop: Header=BB334_14 Depth=1
	s_andn2_saveexec_b64 s[46:47], s[4:5]
; %bb.86:                               ;   in Loop: Header=BB334_14 Depth=1
	v_or_b32_e32 v44, 0x10000, v24
	v_cmp_eq_u32_sdwa s[4:5], v24, v27 src0_sel:WORD_0 src1_sel:DWORD
	v_cndmask_b32_e64 v44, v44, v24, s[4:5]
; %bb.87:                               ;   in Loop: Header=BB334_14 Depth=1
	s_or_b64 exec, exec, s[46:47]
	global_load_ubyte v45, v[22:23], off offset:392
	v_mov_b32_e32 v46, 0
	s_waitcnt vmcnt(0)
	v_cmp_ne_u16_e64 s[4:5], 0, v45
	s_and_saveexec_b64 s[46:47], s[4:5]
	s_cbranch_execz .LBB334_93
; %bb.88:                               ;   in Loop: Header=BB334_14 Depth=1
	v_cmp_ne_u16_e64 s[4:5], s60, v45
	v_bfrev_b32_e32 v46, 1
	s_and_saveexec_b64 s[48:49], s[4:5]
	s_cbranch_execz .LBB334_92
; %bb.89:                               ;   in Loop: Header=BB334_14 Depth=1
	v_and_b32_e32 v24, 0xffff, v45
	v_and_b32_e32 v47, 0x7f, v24
	v_cmp_ne_u32_e64 s[4:5], s61, v47
	v_mov_b32_e32 v46, 0x7f800001
	s_and_saveexec_b64 s[50:51], s[4:5]
	s_cbranch_execz .LBB334_91
; %bb.90:                               ;   in Loop: Header=BB334_14 Depth=1
	v_and_b32_e32 v46, 7, v24
	v_ffbh_u32_e32 v48, v46
	v_min_u32_e32 v51, 32, v48
	v_subrev_u32_e32 v48, 28, v51
	v_lshlrev_b64 v[48:49], v48, v[24:25]
	v_lshrrev_b32_e32 v50, 3, v47
	v_sub_u32_e32 v24, 29, v51
	v_and_b32_e32 v48, 7, v48
	v_cmp_gt_u32_e64 s[4:5], 8, v47
	v_cndmask_b32_e64 v24, v50, v24, s[4:5]
	v_cndmask_b32_e64 v46, v46, v48, s[4:5]
	v_lshlrev_b32_e32 v45, 24, v45
	v_lshlrev_b32_e32 v46, 20, v46
	v_and_b32_e32 v45, 0x80000000, v45
	v_lshl_add_u32 v24, v24, 23, v35
	v_or3_b32 v46, v45, v24, v46
.LBB334_91:                             ;   in Loop: Header=BB334_14 Depth=1
	s_or_b64 exec, exec, s[50:51]
.LBB334_92:                             ;   in Loop: Header=BB334_14 Depth=1
	s_or_b64 exec, exec, s[48:49]
.LBB334_93:                             ;   in Loop: Header=BB334_14 Depth=1
	s_or_b64 exec, exec, s[46:47]
	v_mul_f32_e32 v24, s64, v46
	v_and_b32_e32 v45, 0x7f800000, v24
	v_cmp_ne_u32_e64 s[4:5], s62, v45
                                        ; implicit-def: $vgpr45
	s_and_saveexec_b64 s[46:47], s[4:5]
	s_xor_b64 s[4:5], exec, s[46:47]
; %bb.94:                               ;   in Loop: Header=BB334_14 Depth=1
	v_bfe_u32 v45, v24, 16, 1
	v_add3_u32 v45, v24, v45, s63
                                        ; implicit-def: $vgpr24
; %bb.95:                               ;   in Loop: Header=BB334_14 Depth=1
	s_andn2_saveexec_b64 s[46:47], s[4:5]
; %bb.96:                               ;   in Loop: Header=BB334_14 Depth=1
	v_or_b32_e32 v45, 0x10000, v24
	v_cmp_eq_u32_sdwa s[4:5], v24, v27 src0_sel:WORD_0 src1_sel:DWORD
	v_cndmask_b32_e64 v45, v45, v24, s[4:5]
; %bb.97:                               ;   in Loop: Header=BB334_14 Depth=1
	s_or_b64 exec, exec, s[46:47]
	global_load_ubyte v46, v[22:23], off offset:512
	v_mov_b32_e32 v47, 0
	s_waitcnt vmcnt(0)
	v_cmp_ne_u16_e64 s[4:5], 0, v46
	s_and_saveexec_b64 s[46:47], s[4:5]
	s_cbranch_execz .LBB334_103
; %bb.98:                               ;   in Loop: Header=BB334_14 Depth=1
	v_cmp_ne_u16_e64 s[4:5], s60, v46
	v_bfrev_b32_e32 v47, 1
	s_and_saveexec_b64 s[48:49], s[4:5]
	s_cbranch_execz .LBB334_102
; %bb.99:                               ;   in Loop: Header=BB334_14 Depth=1
	v_and_b32_e32 v24, 0xffff, v46
	v_and_b32_e32 v48, 0x7f, v24
	v_cmp_ne_u32_e64 s[4:5], s61, v48
	v_mov_b32_e32 v47, 0x7f800001
	s_and_saveexec_b64 s[50:51], s[4:5]
	s_cbranch_execz .LBB334_101
; %bb.100:                              ;   in Loop: Header=BB334_14 Depth=1
	v_and_b32_e32 v47, 7, v24
	v_ffbh_u32_e32 v50, v47
	v_min_u32_e32 v52, 32, v50
	v_subrev_u32_e32 v50, 28, v52
	v_lshlrev_b64 v[50:51], v50, v[24:25]
	v_lshrrev_b32_e32 v49, 3, v48
	v_sub_u32_e32 v24, 29, v52
	v_and_b32_e32 v50, 7, v50
	v_cmp_gt_u32_e64 s[4:5], 8, v48
	v_cndmask_b32_e64 v24, v49, v24, s[4:5]
	v_cndmask_b32_e64 v47, v47, v50, s[4:5]
	v_lshlrev_b32_e32 v46, 24, v46
	v_lshlrev_b32_e32 v47, 20, v47
	v_and_b32_e32 v46, 0x80000000, v46
	v_lshl_add_u32 v24, v24, 23, v35
	v_or3_b32 v47, v46, v24, v47
.LBB334_101:                            ;   in Loop: Header=BB334_14 Depth=1
	s_or_b64 exec, exec, s[50:51]
.LBB334_102:                            ;   in Loop: Header=BB334_14 Depth=1
	s_or_b64 exec, exec, s[48:49]
.LBB334_103:                            ;   in Loop: Header=BB334_14 Depth=1
	s_or_b64 exec, exec, s[46:47]
	v_mul_f32_e32 v24, s64, v47
	v_and_b32_e32 v46, 0x7f800000, v24
	v_cmp_ne_u32_e64 s[4:5], s62, v46
                                        ; implicit-def: $vgpr46
	s_and_saveexec_b64 s[46:47], s[4:5]
	s_xor_b64 s[4:5], exec, s[46:47]
; %bb.104:                              ;   in Loop: Header=BB334_14 Depth=1
	v_bfe_u32 v46, v24, 16, 1
	v_add3_u32 v46, v24, v46, s63
                                        ; implicit-def: $vgpr24
; %bb.105:                              ;   in Loop: Header=BB334_14 Depth=1
	s_andn2_saveexec_b64 s[46:47], s[4:5]
; %bb.106:                              ;   in Loop: Header=BB334_14 Depth=1
	v_or_b32_e32 v46, 0x10000, v24
	v_cmp_eq_u32_sdwa s[4:5], v24, v27 src0_sel:WORD_0 src1_sel:DWORD
	v_cndmask_b32_e64 v46, v46, v24, s[4:5]
; %bb.107:                              ;   in Loop: Header=BB334_14 Depth=1
	s_or_b64 exec, exec, s[46:47]
	global_load_ubyte v47, v[22:23], off offset:520
	v_mov_b32_e32 v48, 0
	s_waitcnt vmcnt(0)
	v_cmp_ne_u16_e64 s[4:5], 0, v47
	s_and_saveexec_b64 s[46:47], s[4:5]
	s_cbranch_execz .LBB334_113
; %bb.108:                              ;   in Loop: Header=BB334_14 Depth=1
	v_cmp_ne_u16_e64 s[4:5], s60, v47
	v_bfrev_b32_e32 v48, 1
	s_and_saveexec_b64 s[48:49], s[4:5]
	s_cbranch_execz .LBB334_112
; %bb.109:                              ;   in Loop: Header=BB334_14 Depth=1
	v_and_b32_e32 v24, 0xffff, v47
	v_and_b32_e32 v49, 0x7f, v24
	v_cmp_ne_u32_e64 s[4:5], s61, v49
	v_mov_b32_e32 v48, 0x7f800001
	s_and_saveexec_b64 s[50:51], s[4:5]
	s_cbranch_execz .LBB334_111
; %bb.110:                              ;   in Loop: Header=BB334_14 Depth=1
	v_and_b32_e32 v48, 7, v24
	v_ffbh_u32_e32 v50, v48
	v_min_u32_e32 v53, 32, v50
	v_subrev_u32_e32 v50, 28, v53
	v_lshlrev_b64 v[50:51], v50, v[24:25]
	v_lshrrev_b32_e32 v52, 3, v49
	v_sub_u32_e32 v24, 29, v53
	v_and_b32_e32 v50, 7, v50
	v_cmp_gt_u32_e64 s[4:5], 8, v49
	v_cndmask_b32_e64 v24, v52, v24, s[4:5]
	v_cndmask_b32_e64 v48, v48, v50, s[4:5]
	v_lshlrev_b32_e32 v47, 24, v47
	v_lshlrev_b32_e32 v48, 20, v48
	v_and_b32_e32 v47, 0x80000000, v47
	v_lshl_add_u32 v24, v24, 23, v35
	v_or3_b32 v48, v47, v24, v48
.LBB334_111:                            ;   in Loop: Header=BB334_14 Depth=1
	s_or_b64 exec, exec, s[50:51]
.LBB334_112:                            ;   in Loop: Header=BB334_14 Depth=1
	s_or_b64 exec, exec, s[48:49]
.LBB334_113:                            ;   in Loop: Header=BB334_14 Depth=1
	s_or_b64 exec, exec, s[46:47]
	v_mul_f32_e32 v24, s64, v48
	v_and_b32_e32 v47, 0x7f800000, v24
	v_cmp_ne_u32_e64 s[4:5], s62, v47
                                        ; implicit-def: $vgpr47
	s_and_saveexec_b64 s[46:47], s[4:5]
	s_xor_b64 s[4:5], exec, s[46:47]
; %bb.114:                              ;   in Loop: Header=BB334_14 Depth=1
	v_bfe_u32 v47, v24, 16, 1
	v_add3_u32 v47, v24, v47, s63
                                        ; implicit-def: $vgpr24
; %bb.115:                              ;   in Loop: Header=BB334_14 Depth=1
	s_andn2_saveexec_b64 s[46:47], s[4:5]
; %bb.116:                              ;   in Loop: Header=BB334_14 Depth=1
	v_or_b32_e32 v47, 0x10000, v24
	v_cmp_eq_u32_sdwa s[4:5], v24, v27 src0_sel:WORD_0 src1_sel:DWORD
	v_cndmask_b32_e64 v47, v47, v24, s[4:5]
; %bb.117:                              ;   in Loop: Header=BB334_14 Depth=1
	s_or_b64 exec, exec, s[46:47]
	global_load_ubyte v48, v[22:23], off offset:640
	v_mov_b32_e32 v49, 0
	s_waitcnt vmcnt(0)
	v_cmp_ne_u16_e64 s[4:5], 0, v48
	s_and_saveexec_b64 s[46:47], s[4:5]
	s_cbranch_execz .LBB334_123
; %bb.118:                              ;   in Loop: Header=BB334_14 Depth=1
	v_cmp_ne_u16_e64 s[4:5], s60, v48
	v_bfrev_b32_e32 v49, 1
	s_and_saveexec_b64 s[48:49], s[4:5]
	s_cbranch_execz .LBB334_122
; %bb.119:                              ;   in Loop: Header=BB334_14 Depth=1
	v_and_b32_e32 v24, 0xffff, v48
	v_and_b32_e32 v50, 0x7f, v24
	v_cmp_ne_u32_e64 s[4:5], s61, v50
	v_mov_b32_e32 v49, 0x7f800001
	s_and_saveexec_b64 s[50:51], s[4:5]
	s_cbranch_execz .LBB334_121
; %bb.120:                              ;   in Loop: Header=BB334_14 Depth=1
	v_and_b32_e32 v49, 7, v24
	v_ffbh_u32_e32 v52, v49
	v_min_u32_e32 v54, 32, v52
	v_subrev_u32_e32 v52, 28, v54
	v_lshlrev_b64 v[52:53], v52, v[24:25]
	v_lshrrev_b32_e32 v51, 3, v50
	v_sub_u32_e32 v24, 29, v54
	v_and_b32_e32 v52, 7, v52
	v_cmp_gt_u32_e64 s[4:5], 8, v50
	v_cndmask_b32_e64 v24, v51, v24, s[4:5]
	v_cndmask_b32_e64 v49, v49, v52, s[4:5]
	v_lshlrev_b32_e32 v48, 24, v48
	v_lshlrev_b32_e32 v49, 20, v49
	v_and_b32_e32 v48, 0x80000000, v48
	v_lshl_add_u32 v24, v24, 23, v35
	v_or3_b32 v49, v48, v24, v49
.LBB334_121:                            ;   in Loop: Header=BB334_14 Depth=1
	s_or_b64 exec, exec, s[50:51]
.LBB334_122:                            ;   in Loop: Header=BB334_14 Depth=1
	s_or_b64 exec, exec, s[48:49]
.LBB334_123:                            ;   in Loop: Header=BB334_14 Depth=1
	s_or_b64 exec, exec, s[46:47]
	v_mul_f32_e32 v24, s64, v49
	v_and_b32_e32 v48, 0x7f800000, v24
	v_cmp_ne_u32_e64 s[4:5], s62, v48
                                        ; implicit-def: $vgpr48
	s_and_saveexec_b64 s[46:47], s[4:5]
	s_xor_b64 s[4:5], exec, s[46:47]
; %bb.124:                              ;   in Loop: Header=BB334_14 Depth=1
	v_bfe_u32 v48, v24, 16, 1
	v_add3_u32 v48, v24, v48, s63
                                        ; implicit-def: $vgpr24
; %bb.125:                              ;   in Loop: Header=BB334_14 Depth=1
	s_andn2_saveexec_b64 s[46:47], s[4:5]
; %bb.126:                              ;   in Loop: Header=BB334_14 Depth=1
	v_or_b32_e32 v48, 0x10000, v24
	v_cmp_eq_u32_sdwa s[4:5], v24, v27 src0_sel:WORD_0 src1_sel:DWORD
	v_cndmask_b32_e64 v48, v48, v24, s[4:5]
; %bb.127:                              ;   in Loop: Header=BB334_14 Depth=1
	s_or_b64 exec, exec, s[46:47]
	global_load_ubyte v49, v[22:23], off offset:648
	v_mov_b32_e32 v50, 0
	s_waitcnt vmcnt(0)
	v_cmp_ne_u16_e64 s[4:5], 0, v49
	s_and_saveexec_b64 s[46:47], s[4:5]
	s_cbranch_execz .LBB334_133
; %bb.128:                              ;   in Loop: Header=BB334_14 Depth=1
	v_cmp_ne_u16_e64 s[4:5], s60, v49
	v_bfrev_b32_e32 v50, 1
	s_and_saveexec_b64 s[48:49], s[4:5]
	s_cbranch_execz .LBB334_132
; %bb.129:                              ;   in Loop: Header=BB334_14 Depth=1
	v_and_b32_e32 v24, 0xffff, v49
	v_and_b32_e32 v51, 0x7f, v24
	v_cmp_ne_u32_e64 s[4:5], s61, v51
	v_mov_b32_e32 v50, 0x7f800001
	s_and_saveexec_b64 s[50:51], s[4:5]
	s_cbranch_execz .LBB334_131
; %bb.130:                              ;   in Loop: Header=BB334_14 Depth=1
	v_and_b32_e32 v50, 7, v24
	v_ffbh_u32_e32 v52, v50
	v_min_u32_e32 v55, 32, v52
	v_subrev_u32_e32 v52, 28, v55
	v_lshlrev_b64 v[52:53], v52, v[24:25]
	v_lshrrev_b32_e32 v54, 3, v51
	v_sub_u32_e32 v24, 29, v55
	v_and_b32_e32 v52, 7, v52
	v_cmp_gt_u32_e64 s[4:5], 8, v51
	v_cndmask_b32_e64 v24, v54, v24, s[4:5]
	v_cndmask_b32_e64 v50, v50, v52, s[4:5]
	v_lshlrev_b32_e32 v49, 24, v49
	v_lshlrev_b32_e32 v50, 20, v50
	v_and_b32_e32 v49, 0x80000000, v49
	v_lshl_add_u32 v24, v24, 23, v35
	v_or3_b32 v50, v49, v24, v50
.LBB334_131:                            ;   in Loop: Header=BB334_14 Depth=1
	s_or_b64 exec, exec, s[50:51]
.LBB334_132:                            ;   in Loop: Header=BB334_14 Depth=1
	s_or_b64 exec, exec, s[48:49]
.LBB334_133:                            ;   in Loop: Header=BB334_14 Depth=1
	s_or_b64 exec, exec, s[46:47]
	v_mul_f32_e32 v24, s64, v50
	v_and_b32_e32 v49, 0x7f800000, v24
	v_cmp_ne_u32_e64 s[4:5], s62, v49
                                        ; implicit-def: $vgpr49
	s_and_saveexec_b64 s[46:47], s[4:5]
	s_xor_b64 s[4:5], exec, s[46:47]
; %bb.134:                              ;   in Loop: Header=BB334_14 Depth=1
	v_bfe_u32 v49, v24, 16, 1
	v_add3_u32 v49, v24, v49, s63
                                        ; implicit-def: $vgpr24
; %bb.135:                              ;   in Loop: Header=BB334_14 Depth=1
	s_andn2_saveexec_b64 s[46:47], s[4:5]
; %bb.136:                              ;   in Loop: Header=BB334_14 Depth=1
	v_or_b32_e32 v49, 0x10000, v24
	v_cmp_eq_u32_sdwa s[4:5], v24, v27 src0_sel:WORD_0 src1_sel:DWORD
	v_cndmask_b32_e64 v49, v49, v24, s[4:5]
; %bb.137:                              ;   in Loop: Header=BB334_14 Depth=1
	s_or_b64 exec, exec, s[46:47]
	global_load_ubyte v50, v[22:23], off offset:768
	v_mov_b32_e32 v51, 0
	s_waitcnt vmcnt(0)
	v_cmp_ne_u16_e64 s[4:5], 0, v50
	s_and_saveexec_b64 s[46:47], s[4:5]
	s_cbranch_execz .LBB334_143
; %bb.138:                              ;   in Loop: Header=BB334_14 Depth=1
	v_cmp_ne_u16_e64 s[4:5], s60, v50
	v_bfrev_b32_e32 v51, 1
	s_and_saveexec_b64 s[48:49], s[4:5]
	s_cbranch_execz .LBB334_142
; %bb.139:                              ;   in Loop: Header=BB334_14 Depth=1
	v_and_b32_e32 v24, 0xffff, v50
	v_and_b32_e32 v52, 0x7f, v24
	v_cmp_ne_u32_e64 s[4:5], s61, v52
	v_mov_b32_e32 v51, 0x7f800001
	s_and_saveexec_b64 s[50:51], s[4:5]
	s_cbranch_execz .LBB334_141
; %bb.140:                              ;   in Loop: Header=BB334_14 Depth=1
	v_and_b32_e32 v51, 7, v24
	v_ffbh_u32_e32 v54, v51
	v_min_u32_e32 v56, 32, v54
	v_subrev_u32_e32 v54, 28, v56
	v_lshlrev_b64 v[54:55], v54, v[24:25]
	v_lshrrev_b32_e32 v53, 3, v52
	v_sub_u32_e32 v24, 29, v56
	v_and_b32_e32 v54, 7, v54
	v_cmp_gt_u32_e64 s[4:5], 8, v52
	v_cndmask_b32_e64 v24, v53, v24, s[4:5]
	v_cndmask_b32_e64 v51, v51, v54, s[4:5]
	v_lshlrev_b32_e32 v50, 24, v50
	v_lshlrev_b32_e32 v51, 20, v51
	v_and_b32_e32 v50, 0x80000000, v50
	v_lshl_add_u32 v24, v24, 23, v35
	v_or3_b32 v51, v50, v24, v51
.LBB334_141:                            ;   in Loop: Header=BB334_14 Depth=1
	s_or_b64 exec, exec, s[50:51]
.LBB334_142:                            ;   in Loop: Header=BB334_14 Depth=1
	s_or_b64 exec, exec, s[48:49]
.LBB334_143:                            ;   in Loop: Header=BB334_14 Depth=1
	s_or_b64 exec, exec, s[46:47]
	v_mul_f32_e32 v24, s64, v51
	v_and_b32_e32 v50, 0x7f800000, v24
	v_cmp_ne_u32_e64 s[4:5], s62, v50
                                        ; implicit-def: $vgpr50
	s_and_saveexec_b64 s[46:47], s[4:5]
	s_xor_b64 s[4:5], exec, s[46:47]
; %bb.144:                              ;   in Loop: Header=BB334_14 Depth=1
	v_bfe_u32 v50, v24, 16, 1
	v_add3_u32 v50, v24, v50, s63
                                        ; implicit-def: $vgpr24
; %bb.145:                              ;   in Loop: Header=BB334_14 Depth=1
	s_andn2_saveexec_b64 s[46:47], s[4:5]
; %bb.146:                              ;   in Loop: Header=BB334_14 Depth=1
	v_or_b32_e32 v50, 0x10000, v24
	v_cmp_eq_u32_sdwa s[4:5], v24, v27 src0_sel:WORD_0 src1_sel:DWORD
	v_cndmask_b32_e64 v50, v50, v24, s[4:5]
; %bb.147:                              ;   in Loop: Header=BB334_14 Depth=1
	s_or_b64 exec, exec, s[46:47]
	global_load_ubyte v51, v[22:23], off offset:776
	v_mov_b32_e32 v52, 0
	s_waitcnt vmcnt(0)
	v_cmp_ne_u16_e64 s[4:5], 0, v51
	s_and_saveexec_b64 s[46:47], s[4:5]
	s_cbranch_execz .LBB334_153
; %bb.148:                              ;   in Loop: Header=BB334_14 Depth=1
	v_cmp_ne_u16_e64 s[4:5], s60, v51
	v_bfrev_b32_e32 v52, 1
	s_and_saveexec_b64 s[48:49], s[4:5]
	s_cbranch_execz .LBB334_152
; %bb.149:                              ;   in Loop: Header=BB334_14 Depth=1
	v_and_b32_e32 v24, 0xffff, v51
	v_and_b32_e32 v53, 0x7f, v24
	v_cmp_ne_u32_e64 s[4:5], s61, v53
	v_mov_b32_e32 v52, 0x7f800001
	s_and_saveexec_b64 s[50:51], s[4:5]
	s_cbranch_execz .LBB334_151
; %bb.150:                              ;   in Loop: Header=BB334_14 Depth=1
	v_and_b32_e32 v52, 7, v24
	v_ffbh_u32_e32 v54, v52
	v_min_u32_e32 v57, 32, v54
	v_subrev_u32_e32 v54, 28, v57
	v_lshlrev_b64 v[54:55], v54, v[24:25]
	v_lshrrev_b32_e32 v56, 3, v53
	v_sub_u32_e32 v24, 29, v57
	v_and_b32_e32 v54, 7, v54
	v_cmp_gt_u32_e64 s[4:5], 8, v53
	v_cndmask_b32_e64 v24, v56, v24, s[4:5]
	v_cndmask_b32_e64 v52, v52, v54, s[4:5]
	v_lshlrev_b32_e32 v51, 24, v51
	v_lshlrev_b32_e32 v52, 20, v52
	v_and_b32_e32 v51, 0x80000000, v51
	v_lshl_add_u32 v24, v24, 23, v35
	v_or3_b32 v52, v51, v24, v52
.LBB334_151:                            ;   in Loop: Header=BB334_14 Depth=1
	s_or_b64 exec, exec, s[50:51]
.LBB334_152:                            ;   in Loop: Header=BB334_14 Depth=1
	s_or_b64 exec, exec, s[48:49]
.LBB334_153:                            ;   in Loop: Header=BB334_14 Depth=1
	s_or_b64 exec, exec, s[46:47]
	v_mul_f32_e32 v24, s64, v52
	v_and_b32_e32 v51, 0x7f800000, v24
	v_cmp_ne_u32_e64 s[4:5], s62, v51
                                        ; implicit-def: $vgpr51
	s_and_saveexec_b64 s[46:47], s[4:5]
	s_xor_b64 s[4:5], exec, s[46:47]
; %bb.154:                              ;   in Loop: Header=BB334_14 Depth=1
	v_bfe_u32 v51, v24, 16, 1
	v_add3_u32 v51, v24, v51, s63
                                        ; implicit-def: $vgpr24
; %bb.155:                              ;   in Loop: Header=BB334_14 Depth=1
	s_andn2_saveexec_b64 s[46:47], s[4:5]
; %bb.156:                              ;   in Loop: Header=BB334_14 Depth=1
	v_or_b32_e32 v51, 0x10000, v24
	v_cmp_eq_u32_sdwa s[4:5], v24, v27 src0_sel:WORD_0 src1_sel:DWORD
	v_cndmask_b32_e64 v51, v51, v24, s[4:5]
; %bb.157:                              ;   in Loop: Header=BB334_14 Depth=1
	s_or_b64 exec, exec, s[46:47]
	global_load_ubyte v52, v[22:23], off offset:896
	v_mov_b32_e32 v53, 0
	s_waitcnt vmcnt(0)
	v_cmp_ne_u16_e64 s[4:5], 0, v52
	s_and_saveexec_b64 s[46:47], s[4:5]
	s_cbranch_execz .LBB334_163
; %bb.158:                              ;   in Loop: Header=BB334_14 Depth=1
	v_cmp_ne_u16_e64 s[4:5], s60, v52
	v_bfrev_b32_e32 v53, 1
	s_and_saveexec_b64 s[48:49], s[4:5]
	s_cbranch_execz .LBB334_162
; %bb.159:                              ;   in Loop: Header=BB334_14 Depth=1
	v_and_b32_e32 v24, 0xffff, v52
	v_and_b32_e32 v54, 0x7f, v24
	v_cmp_ne_u32_e64 s[4:5], s61, v54
	v_mov_b32_e32 v53, 0x7f800001
	s_and_saveexec_b64 s[50:51], s[4:5]
	s_cbranch_execz .LBB334_161
; %bb.160:                              ;   in Loop: Header=BB334_14 Depth=1
	v_and_b32_e32 v53, 7, v24
	v_ffbh_u32_e32 v56, v53
	v_min_u32_e32 v58, 32, v56
	v_subrev_u32_e32 v56, 28, v58
	v_lshlrev_b64 v[56:57], v56, v[24:25]
	v_lshrrev_b32_e32 v55, 3, v54
	v_sub_u32_e32 v24, 29, v58
	v_and_b32_e32 v56, 7, v56
	v_cmp_gt_u32_e64 s[4:5], 8, v54
	v_cndmask_b32_e64 v24, v55, v24, s[4:5]
	v_cndmask_b32_e64 v53, v53, v56, s[4:5]
	v_lshlrev_b32_e32 v52, 24, v52
	v_lshlrev_b32_e32 v53, 20, v53
	v_and_b32_e32 v52, 0x80000000, v52
	v_lshl_add_u32 v24, v24, 23, v35
	v_or3_b32 v53, v52, v24, v53
.LBB334_161:                            ;   in Loop: Header=BB334_14 Depth=1
	s_or_b64 exec, exec, s[50:51]
.LBB334_162:                            ;   in Loop: Header=BB334_14 Depth=1
	s_or_b64 exec, exec, s[48:49]
.LBB334_163:                            ;   in Loop: Header=BB334_14 Depth=1
	s_or_b64 exec, exec, s[46:47]
	v_mul_f32_e32 v24, s64, v53
	v_and_b32_e32 v52, 0x7f800000, v24
	v_cmp_ne_u32_e64 s[4:5], s62, v52
                                        ; implicit-def: $vgpr52
	s_and_saveexec_b64 s[46:47], s[4:5]
	s_xor_b64 s[4:5], exec, s[46:47]
; %bb.164:                              ;   in Loop: Header=BB334_14 Depth=1
	v_bfe_u32 v52, v24, 16, 1
	v_add3_u32 v52, v24, v52, s63
                                        ; implicit-def: $vgpr24
; %bb.165:                              ;   in Loop: Header=BB334_14 Depth=1
	s_andn2_saveexec_b64 s[46:47], s[4:5]
; %bb.166:                              ;   in Loop: Header=BB334_14 Depth=1
	v_or_b32_e32 v52, 0x10000, v24
	v_cmp_eq_u32_sdwa s[4:5], v24, v27 src0_sel:WORD_0 src1_sel:DWORD
	v_cndmask_b32_e64 v52, v52, v24, s[4:5]
; %bb.167:                              ;   in Loop: Header=BB334_14 Depth=1
	s_or_b64 exec, exec, s[46:47]
	global_load_ubyte v53, v[22:23], off offset:904
	v_mov_b32_e32 v54, 0
	s_waitcnt vmcnt(0)
	v_cmp_ne_u16_e64 s[4:5], 0, v53
	s_and_saveexec_b64 s[46:47], s[4:5]
	s_cbranch_execz .LBB334_173
; %bb.168:                              ;   in Loop: Header=BB334_14 Depth=1
	v_cmp_ne_u16_e64 s[4:5], s60, v53
	v_bfrev_b32_e32 v54, 1
	s_and_saveexec_b64 s[48:49], s[4:5]
	s_cbranch_execz .LBB334_172
; %bb.169:                              ;   in Loop: Header=BB334_14 Depth=1
	v_and_b32_e32 v24, 0xffff, v53
	v_and_b32_e32 v55, 0x7f, v24
	v_cmp_ne_u32_e64 s[4:5], s61, v55
	v_mov_b32_e32 v54, 0x7f800001
	s_and_saveexec_b64 s[50:51], s[4:5]
	s_cbranch_execz .LBB334_171
; %bb.170:                              ;   in Loop: Header=BB334_14 Depth=1
	v_and_b32_e32 v54, 7, v24
	v_ffbh_u32_e32 v56, v54
	v_min_u32_e32 v59, 32, v56
	v_subrev_u32_e32 v56, 28, v59
	v_lshlrev_b64 v[56:57], v56, v[24:25]
	v_lshrrev_b32_e32 v58, 3, v55
	v_sub_u32_e32 v24, 29, v59
	v_and_b32_e32 v56, 7, v56
	v_cmp_gt_u32_e64 s[4:5], 8, v55
	v_cndmask_b32_e64 v24, v58, v24, s[4:5]
	v_cndmask_b32_e64 v54, v54, v56, s[4:5]
	v_lshlrev_b32_e32 v53, 24, v53
	v_lshlrev_b32_e32 v54, 20, v54
	v_and_b32_e32 v53, 0x80000000, v53
	v_lshl_add_u32 v24, v24, 23, v35
	v_or3_b32 v54, v53, v24, v54
.LBB334_171:                            ;   in Loop: Header=BB334_14 Depth=1
	s_or_b64 exec, exec, s[50:51]
.LBB334_172:                            ;   in Loop: Header=BB334_14 Depth=1
	s_or_b64 exec, exec, s[48:49]
.LBB334_173:                            ;   in Loop: Header=BB334_14 Depth=1
	s_or_b64 exec, exec, s[46:47]
	v_mul_f32_e32 v24, s64, v54
	v_and_b32_e32 v53, 0x7f800000, v24
	v_cmp_ne_u32_e64 s[4:5], s62, v53
                                        ; implicit-def: $vgpr53
	s_and_saveexec_b64 s[46:47], s[4:5]
	s_xor_b64 s[4:5], exec, s[46:47]
; %bb.174:                              ;   in Loop: Header=BB334_14 Depth=1
	v_bfe_u32 v53, v24, 16, 1
	v_add3_u32 v53, v24, v53, s63
                                        ; implicit-def: $vgpr24
; %bb.175:                              ;   in Loop: Header=BB334_14 Depth=1
	s_andn2_saveexec_b64 s[46:47], s[4:5]
; %bb.176:                              ;   in Loop: Header=BB334_14 Depth=1
	v_or_b32_e32 v53, 0x10000, v24
	v_cmp_eq_u32_sdwa s[4:5], v24, v27 src0_sel:WORD_0 src1_sel:DWORD
	v_cndmask_b32_e64 v53, v53, v24, s[4:5]
; %bb.177:                              ;   in Loop: Header=BB334_14 Depth=1
	s_or_b64 exec, exec, s[46:47]
	global_load_ubyte v54, v[22:23], off offset:1024
	v_mov_b32_e32 v55, 0
	s_waitcnt vmcnt(0)
	v_cmp_ne_u16_e64 s[4:5], 0, v54
	s_and_saveexec_b64 s[46:47], s[4:5]
	s_cbranch_execz .LBB334_183
; %bb.178:                              ;   in Loop: Header=BB334_14 Depth=1
	v_cmp_ne_u16_e64 s[4:5], s60, v54
	v_bfrev_b32_e32 v55, 1
	s_and_saveexec_b64 s[48:49], s[4:5]
	s_cbranch_execz .LBB334_182
; %bb.179:                              ;   in Loop: Header=BB334_14 Depth=1
	v_and_b32_e32 v24, 0xffff, v54
	v_and_b32_e32 v56, 0x7f, v24
	v_cmp_ne_u32_e64 s[4:5], s61, v56
	v_mov_b32_e32 v55, 0x7f800001
	s_and_saveexec_b64 s[50:51], s[4:5]
	s_cbranch_execz .LBB334_181
; %bb.180:                              ;   in Loop: Header=BB334_14 Depth=1
	v_and_b32_e32 v55, 7, v24
	v_ffbh_u32_e32 v58, v55
	v_min_u32_e32 v60, 32, v58
	v_subrev_u32_e32 v58, 28, v60
	v_lshlrev_b64 v[58:59], v58, v[24:25]
	v_lshrrev_b32_e32 v57, 3, v56
	v_sub_u32_e32 v24, 29, v60
	v_and_b32_e32 v58, 7, v58
	v_cmp_gt_u32_e64 s[4:5], 8, v56
	v_cndmask_b32_e64 v24, v57, v24, s[4:5]
	v_cndmask_b32_e64 v55, v55, v58, s[4:5]
	v_lshlrev_b32_e32 v54, 24, v54
	v_lshlrev_b32_e32 v55, 20, v55
	v_and_b32_e32 v54, 0x80000000, v54
	v_lshl_add_u32 v24, v24, 23, v35
	v_or3_b32 v55, v54, v24, v55
.LBB334_181:                            ;   in Loop: Header=BB334_14 Depth=1
	s_or_b64 exec, exec, s[50:51]
.LBB334_182:                            ;   in Loop: Header=BB334_14 Depth=1
	s_or_b64 exec, exec, s[48:49]
.LBB334_183:                            ;   in Loop: Header=BB334_14 Depth=1
	s_or_b64 exec, exec, s[46:47]
	v_mul_f32_e32 v24, s64, v55
	v_and_b32_e32 v54, 0x7f800000, v24
	v_cmp_ne_u32_e64 s[4:5], s62, v54
                                        ; implicit-def: $vgpr54
	s_and_saveexec_b64 s[46:47], s[4:5]
	s_xor_b64 s[4:5], exec, s[46:47]
; %bb.184:                              ;   in Loop: Header=BB334_14 Depth=1
	v_bfe_u32 v54, v24, 16, 1
	v_add3_u32 v54, v24, v54, s63
                                        ; implicit-def: $vgpr24
; %bb.185:                              ;   in Loop: Header=BB334_14 Depth=1
	s_andn2_saveexec_b64 s[46:47], s[4:5]
; %bb.186:                              ;   in Loop: Header=BB334_14 Depth=1
	v_or_b32_e32 v54, 0x10000, v24
	v_cmp_eq_u32_sdwa s[4:5], v24, v27 src0_sel:WORD_0 src1_sel:DWORD
	v_cndmask_b32_e64 v54, v54, v24, s[4:5]
; %bb.187:                              ;   in Loop: Header=BB334_14 Depth=1
	s_or_b64 exec, exec, s[46:47]
	global_load_ubyte v55, v[22:23], off offset:1032
	v_mov_b32_e32 v56, 0
	s_waitcnt vmcnt(0)
	v_cmp_ne_u16_e64 s[4:5], 0, v55
	s_and_saveexec_b64 s[46:47], s[4:5]
	s_cbranch_execz .LBB334_193
; %bb.188:                              ;   in Loop: Header=BB334_14 Depth=1
	v_cmp_ne_u16_e64 s[4:5], s60, v55
	v_bfrev_b32_e32 v56, 1
	s_and_saveexec_b64 s[48:49], s[4:5]
	s_cbranch_execz .LBB334_192
; %bb.189:                              ;   in Loop: Header=BB334_14 Depth=1
	v_and_b32_e32 v24, 0xffff, v55
	v_and_b32_e32 v57, 0x7f, v24
	v_cmp_ne_u32_e64 s[4:5], s61, v57
	v_mov_b32_e32 v56, 0x7f800001
	s_and_saveexec_b64 s[50:51], s[4:5]
	s_cbranch_execz .LBB334_191
; %bb.190:                              ;   in Loop: Header=BB334_14 Depth=1
	v_and_b32_e32 v56, 7, v24
	v_ffbh_u32_e32 v58, v56
	v_min_u32_e32 v61, 32, v58
	v_subrev_u32_e32 v58, 28, v61
	v_lshlrev_b64 v[58:59], v58, v[24:25]
	v_lshrrev_b32_e32 v60, 3, v57
	v_sub_u32_e32 v24, 29, v61
	v_and_b32_e32 v58, 7, v58
	v_cmp_gt_u32_e64 s[4:5], 8, v57
	v_cndmask_b32_e64 v24, v60, v24, s[4:5]
	v_cndmask_b32_e64 v56, v56, v58, s[4:5]
	v_lshlrev_b32_e32 v55, 24, v55
	v_lshlrev_b32_e32 v56, 20, v56
	v_and_b32_e32 v55, 0x80000000, v55
	v_lshl_add_u32 v24, v24, 23, v35
	v_or3_b32 v56, v55, v24, v56
.LBB334_191:                            ;   in Loop: Header=BB334_14 Depth=1
	s_or_b64 exec, exec, s[50:51]
.LBB334_192:                            ;   in Loop: Header=BB334_14 Depth=1
	s_or_b64 exec, exec, s[48:49]
.LBB334_193:                            ;   in Loop: Header=BB334_14 Depth=1
	s_or_b64 exec, exec, s[46:47]
	v_mul_f32_e32 v24, s64, v56
	v_and_b32_e32 v55, 0x7f800000, v24
	v_cmp_ne_u32_e64 s[4:5], s62, v55
                                        ; implicit-def: $vgpr55
	s_and_saveexec_b64 s[46:47], s[4:5]
	s_xor_b64 s[4:5], exec, s[46:47]
; %bb.194:                              ;   in Loop: Header=BB334_14 Depth=1
	v_bfe_u32 v55, v24, 16, 1
	v_add3_u32 v55, v24, v55, s63
                                        ; implicit-def: $vgpr24
; %bb.195:                              ;   in Loop: Header=BB334_14 Depth=1
	s_andn2_saveexec_b64 s[46:47], s[4:5]
; %bb.196:                              ;   in Loop: Header=BB334_14 Depth=1
	v_or_b32_e32 v55, 0x10000, v24
	v_cmp_eq_u32_sdwa s[4:5], v24, v27 src0_sel:WORD_0 src1_sel:DWORD
	v_cndmask_b32_e64 v55, v55, v24, s[4:5]
; %bb.197:                              ;   in Loop: Header=BB334_14 Depth=1
	s_or_b64 exec, exec, s[46:47]
	global_load_ubyte v56, v[22:23], off offset:1152
	v_mov_b32_e32 v57, 0
	s_waitcnt vmcnt(0)
	v_cmp_ne_u16_e64 s[4:5], 0, v56
	s_and_saveexec_b64 s[46:47], s[4:5]
	s_cbranch_execz .LBB334_203
; %bb.198:                              ;   in Loop: Header=BB334_14 Depth=1
	v_cmp_ne_u16_e64 s[4:5], s60, v56
	v_bfrev_b32_e32 v57, 1
	s_and_saveexec_b64 s[48:49], s[4:5]
	s_cbranch_execz .LBB334_202
; %bb.199:                              ;   in Loop: Header=BB334_14 Depth=1
	v_and_b32_e32 v24, 0xffff, v56
	v_and_b32_e32 v58, 0x7f, v24
	v_cmp_ne_u32_e64 s[4:5], s61, v58
	v_mov_b32_e32 v57, 0x7f800001
	s_and_saveexec_b64 s[50:51], s[4:5]
	s_cbranch_execz .LBB334_201
; %bb.200:                              ;   in Loop: Header=BB334_14 Depth=1
	v_and_b32_e32 v57, 7, v24
	v_ffbh_u32_e32 v60, v57
	v_min_u32_e32 v62, 32, v60
	v_subrev_u32_e32 v60, 28, v62
	v_lshlrev_b64 v[60:61], v60, v[24:25]
	v_lshrrev_b32_e32 v59, 3, v58
	v_sub_u32_e32 v24, 29, v62
	v_and_b32_e32 v60, 7, v60
	v_cmp_gt_u32_e64 s[4:5], 8, v58
	v_cndmask_b32_e64 v24, v59, v24, s[4:5]
	v_cndmask_b32_e64 v57, v57, v60, s[4:5]
	v_lshlrev_b32_e32 v56, 24, v56
	v_lshlrev_b32_e32 v57, 20, v57
	v_and_b32_e32 v56, 0x80000000, v56
	v_lshl_add_u32 v24, v24, 23, v35
	v_or3_b32 v57, v56, v24, v57
.LBB334_201:                            ;   in Loop: Header=BB334_14 Depth=1
	s_or_b64 exec, exec, s[50:51]
.LBB334_202:                            ;   in Loop: Header=BB334_14 Depth=1
	s_or_b64 exec, exec, s[48:49]
.LBB334_203:                            ;   in Loop: Header=BB334_14 Depth=1
	s_or_b64 exec, exec, s[46:47]
	v_mul_f32_e32 v24, s64, v57
	v_and_b32_e32 v56, 0x7f800000, v24
	v_cmp_ne_u32_e64 s[4:5], s62, v56
                                        ; implicit-def: $vgpr56
	s_and_saveexec_b64 s[46:47], s[4:5]
	s_xor_b64 s[4:5], exec, s[46:47]
; %bb.204:                              ;   in Loop: Header=BB334_14 Depth=1
	v_bfe_u32 v56, v24, 16, 1
	v_add3_u32 v56, v24, v56, s63
                                        ; implicit-def: $vgpr24
; %bb.205:                              ;   in Loop: Header=BB334_14 Depth=1
	s_andn2_saveexec_b64 s[46:47], s[4:5]
; %bb.206:                              ;   in Loop: Header=BB334_14 Depth=1
	v_or_b32_e32 v56, 0x10000, v24
	v_cmp_eq_u32_sdwa s[4:5], v24, v27 src0_sel:WORD_0 src1_sel:DWORD
	v_cndmask_b32_e64 v56, v56, v24, s[4:5]
; %bb.207:                              ;   in Loop: Header=BB334_14 Depth=1
	s_or_b64 exec, exec, s[46:47]
	global_load_ubyte v57, v[22:23], off offset:1160
	v_mov_b32_e32 v58, 0
	s_waitcnt vmcnt(0)
	v_cmp_ne_u16_e64 s[4:5], 0, v57
	s_and_saveexec_b64 s[46:47], s[4:5]
	s_cbranch_execz .LBB334_213
; %bb.208:                              ;   in Loop: Header=BB334_14 Depth=1
	v_cmp_ne_u16_e64 s[4:5], s60, v57
	v_bfrev_b32_e32 v58, 1
	s_and_saveexec_b64 s[48:49], s[4:5]
	s_cbranch_execz .LBB334_212
; %bb.209:                              ;   in Loop: Header=BB334_14 Depth=1
	v_and_b32_e32 v24, 0xffff, v57
	v_and_b32_e32 v59, 0x7f, v24
	v_cmp_ne_u32_e64 s[4:5], s61, v59
	v_mov_b32_e32 v58, 0x7f800001
	s_and_saveexec_b64 s[50:51], s[4:5]
	s_cbranch_execz .LBB334_211
; %bb.210:                              ;   in Loop: Header=BB334_14 Depth=1
	v_and_b32_e32 v58, 7, v24
	v_ffbh_u32_e32 v60, v58
	v_min_u32_e32 v63, 32, v60
	v_subrev_u32_e32 v60, 28, v63
	v_lshlrev_b64 v[60:61], v60, v[24:25]
	v_lshrrev_b32_e32 v62, 3, v59
	v_sub_u32_e32 v24, 29, v63
	v_and_b32_e32 v60, 7, v60
	v_cmp_gt_u32_e64 s[4:5], 8, v59
	v_cndmask_b32_e64 v24, v62, v24, s[4:5]
	v_cndmask_b32_e64 v58, v58, v60, s[4:5]
	v_lshlrev_b32_e32 v57, 24, v57
	v_lshlrev_b32_e32 v58, 20, v58
	v_and_b32_e32 v57, 0x80000000, v57
	v_lshl_add_u32 v24, v24, 23, v35
	v_or3_b32 v58, v57, v24, v58
.LBB334_211:                            ;   in Loop: Header=BB334_14 Depth=1
	s_or_b64 exec, exec, s[50:51]
.LBB334_212:                            ;   in Loop: Header=BB334_14 Depth=1
	s_or_b64 exec, exec, s[48:49]
.LBB334_213:                            ;   in Loop: Header=BB334_14 Depth=1
	s_or_b64 exec, exec, s[46:47]
	v_mul_f32_e32 v24, s64, v58
	v_and_b32_e32 v57, 0x7f800000, v24
	v_cmp_ne_u32_e64 s[4:5], s62, v57
                                        ; implicit-def: $vgpr57
	s_and_saveexec_b64 s[46:47], s[4:5]
	s_xor_b64 s[4:5], exec, s[46:47]
; %bb.214:                              ;   in Loop: Header=BB334_14 Depth=1
	v_bfe_u32 v57, v24, 16, 1
	v_add3_u32 v57, v24, v57, s63
                                        ; implicit-def: $vgpr24
; %bb.215:                              ;   in Loop: Header=BB334_14 Depth=1
	s_andn2_saveexec_b64 s[46:47], s[4:5]
; %bb.216:                              ;   in Loop: Header=BB334_14 Depth=1
	v_or_b32_e32 v57, 0x10000, v24
	v_cmp_eq_u32_sdwa s[4:5], v24, v27 src0_sel:WORD_0 src1_sel:DWORD
	v_cndmask_b32_e64 v57, v57, v24, s[4:5]
; %bb.217:                              ;   in Loop: Header=BB334_14 Depth=1
	s_or_b64 exec, exec, s[46:47]
	global_load_ubyte v58, v[22:23], off offset:1280
	v_mov_b32_e32 v59, 0
	s_waitcnt vmcnt(0)
	v_cmp_ne_u16_e64 s[4:5], 0, v58
	s_and_saveexec_b64 s[46:47], s[4:5]
	s_cbranch_execz .LBB334_223
; %bb.218:                              ;   in Loop: Header=BB334_14 Depth=1
	v_cmp_ne_u16_e64 s[4:5], s60, v58
	v_bfrev_b32_e32 v59, 1
	s_and_saveexec_b64 s[48:49], s[4:5]
	s_cbranch_execz .LBB334_222
; %bb.219:                              ;   in Loop: Header=BB334_14 Depth=1
	v_and_b32_e32 v24, 0xffff, v58
	v_and_b32_e32 v60, 0x7f, v24
	v_cmp_ne_u32_e64 s[4:5], s61, v60
	v_mov_b32_e32 v59, 0x7f800001
	s_and_saveexec_b64 s[50:51], s[4:5]
	s_cbranch_execz .LBB334_221
; %bb.220:                              ;   in Loop: Header=BB334_14 Depth=1
	v_and_b32_e32 v59, 7, v24
	v_ffbh_u32_e32 v62, v59
	v_min_u32_e32 v64, 32, v62
	v_subrev_u32_e32 v62, 28, v64
	v_lshlrev_b64 v[62:63], v62, v[24:25]
	v_lshrrev_b32_e32 v61, 3, v60
	v_sub_u32_e32 v24, 29, v64
	v_and_b32_e32 v62, 7, v62
	v_cmp_gt_u32_e64 s[4:5], 8, v60
	v_cndmask_b32_e64 v24, v61, v24, s[4:5]
	v_cndmask_b32_e64 v59, v59, v62, s[4:5]
	v_lshlrev_b32_e32 v58, 24, v58
	v_lshlrev_b32_e32 v59, 20, v59
	v_and_b32_e32 v58, 0x80000000, v58
	v_lshl_add_u32 v24, v24, 23, v35
	v_or3_b32 v59, v58, v24, v59
.LBB334_221:                            ;   in Loop: Header=BB334_14 Depth=1
	s_or_b64 exec, exec, s[50:51]
.LBB334_222:                            ;   in Loop: Header=BB334_14 Depth=1
	s_or_b64 exec, exec, s[48:49]
.LBB334_223:                            ;   in Loop: Header=BB334_14 Depth=1
	s_or_b64 exec, exec, s[46:47]
	v_mul_f32_e32 v24, s64, v59
	v_and_b32_e32 v58, 0x7f800000, v24
	v_cmp_ne_u32_e64 s[4:5], s62, v58
                                        ; implicit-def: $vgpr58
	s_and_saveexec_b64 s[46:47], s[4:5]
	s_xor_b64 s[4:5], exec, s[46:47]
; %bb.224:                              ;   in Loop: Header=BB334_14 Depth=1
	v_bfe_u32 v58, v24, 16, 1
	v_add3_u32 v58, v24, v58, s63
                                        ; implicit-def: $vgpr24
; %bb.225:                              ;   in Loop: Header=BB334_14 Depth=1
	s_andn2_saveexec_b64 s[46:47], s[4:5]
; %bb.226:                              ;   in Loop: Header=BB334_14 Depth=1
	v_or_b32_e32 v58, 0x10000, v24
	v_cmp_eq_u32_sdwa s[4:5], v24, v27 src0_sel:WORD_0 src1_sel:DWORD
	v_cndmask_b32_e64 v58, v58, v24, s[4:5]
; %bb.227:                              ;   in Loop: Header=BB334_14 Depth=1
	s_or_b64 exec, exec, s[46:47]
	global_load_ubyte v59, v[22:23], off offset:1288
	v_mov_b32_e32 v60, 0
	s_waitcnt vmcnt(0)
	v_cmp_ne_u16_e64 s[4:5], 0, v59
	s_and_saveexec_b64 s[46:47], s[4:5]
	s_cbranch_execz .LBB334_233
; %bb.228:                              ;   in Loop: Header=BB334_14 Depth=1
	v_cmp_ne_u16_e64 s[4:5], s60, v59
	v_bfrev_b32_e32 v60, 1
	s_and_saveexec_b64 s[48:49], s[4:5]
	s_cbranch_execz .LBB334_232
; %bb.229:                              ;   in Loop: Header=BB334_14 Depth=1
	v_and_b32_e32 v24, 0xffff, v59
	v_and_b32_e32 v61, 0x7f, v24
	v_cmp_ne_u32_e64 s[4:5], s61, v61
	v_mov_b32_e32 v60, 0x7f800001
	s_and_saveexec_b64 s[50:51], s[4:5]
	s_cbranch_execz .LBB334_231
; %bb.230:                              ;   in Loop: Header=BB334_14 Depth=1
	v_and_b32_e32 v60, 7, v24
	v_ffbh_u32_e32 v62, v60
	v_min_u32_e32 v65, 32, v62
	v_subrev_u32_e32 v62, 28, v65
	v_lshlrev_b64 v[62:63], v62, v[24:25]
	v_lshrrev_b32_e32 v64, 3, v61
	v_sub_u32_e32 v24, 29, v65
	v_and_b32_e32 v62, 7, v62
	v_cmp_gt_u32_e64 s[4:5], 8, v61
	v_cndmask_b32_e64 v24, v64, v24, s[4:5]
	v_cndmask_b32_e64 v60, v60, v62, s[4:5]
	v_lshlrev_b32_e32 v59, 24, v59
	v_lshlrev_b32_e32 v60, 20, v60
	v_and_b32_e32 v59, 0x80000000, v59
	v_lshl_add_u32 v24, v24, 23, v35
	v_or3_b32 v60, v59, v24, v60
.LBB334_231:                            ;   in Loop: Header=BB334_14 Depth=1
	s_or_b64 exec, exec, s[50:51]
.LBB334_232:                            ;   in Loop: Header=BB334_14 Depth=1
	s_or_b64 exec, exec, s[48:49]
.LBB334_233:                            ;   in Loop: Header=BB334_14 Depth=1
	s_or_b64 exec, exec, s[46:47]
	v_mul_f32_e32 v24, s64, v60
	v_and_b32_e32 v59, 0x7f800000, v24
	v_cmp_ne_u32_e64 s[4:5], s62, v59
                                        ; implicit-def: $vgpr59
	s_and_saveexec_b64 s[46:47], s[4:5]
	s_xor_b64 s[4:5], exec, s[46:47]
; %bb.234:                              ;   in Loop: Header=BB334_14 Depth=1
	v_bfe_u32 v59, v24, 16, 1
	v_add3_u32 v59, v24, v59, s63
                                        ; implicit-def: $vgpr24
; %bb.235:                              ;   in Loop: Header=BB334_14 Depth=1
	s_andn2_saveexec_b64 s[46:47], s[4:5]
; %bb.236:                              ;   in Loop: Header=BB334_14 Depth=1
	v_or_b32_e32 v59, 0x10000, v24
	v_cmp_eq_u32_sdwa s[4:5], v24, v27 src0_sel:WORD_0 src1_sel:DWORD
	v_cndmask_b32_e64 v59, v59, v24, s[4:5]
; %bb.237:                              ;   in Loop: Header=BB334_14 Depth=1
	s_or_b64 exec, exec, s[46:47]
	global_load_ubyte v60, v[22:23], off offset:1408
	v_mov_b32_e32 v61, 0
	s_waitcnt vmcnt(0)
	v_cmp_ne_u16_e64 s[4:5], 0, v60
	s_and_saveexec_b64 s[46:47], s[4:5]
	s_cbranch_execz .LBB334_243
; %bb.238:                              ;   in Loop: Header=BB334_14 Depth=1
	v_cmp_ne_u16_e64 s[4:5], s60, v60
	v_bfrev_b32_e32 v61, 1
	s_and_saveexec_b64 s[48:49], s[4:5]
	s_cbranch_execz .LBB334_242
; %bb.239:                              ;   in Loop: Header=BB334_14 Depth=1
	v_and_b32_e32 v24, 0xffff, v60
	v_and_b32_e32 v62, 0x7f, v24
	v_cmp_ne_u32_e64 s[4:5], s61, v62
	v_mov_b32_e32 v61, 0x7f800001
	s_and_saveexec_b64 s[50:51], s[4:5]
	s_cbranch_execz .LBB334_241
; %bb.240:                              ;   in Loop: Header=BB334_14 Depth=1
	v_and_b32_e32 v61, 7, v24
	v_ffbh_u32_e32 v64, v61
	v_min_u32_e32 v66, 32, v64
	v_subrev_u32_e32 v64, 28, v66
	v_lshlrev_b64 v[64:65], v64, v[24:25]
	v_lshrrev_b32_e32 v63, 3, v62
	v_sub_u32_e32 v24, 29, v66
	v_and_b32_e32 v64, 7, v64
	v_cmp_gt_u32_e64 s[4:5], 8, v62
	v_cndmask_b32_e64 v24, v63, v24, s[4:5]
	v_cndmask_b32_e64 v61, v61, v64, s[4:5]
	v_lshlrev_b32_e32 v60, 24, v60
	v_lshlrev_b32_e32 v61, 20, v61
	v_and_b32_e32 v60, 0x80000000, v60
	v_lshl_add_u32 v24, v24, 23, v35
	v_or3_b32 v61, v60, v24, v61
.LBB334_241:                            ;   in Loop: Header=BB334_14 Depth=1
	s_or_b64 exec, exec, s[50:51]
.LBB334_242:                            ;   in Loop: Header=BB334_14 Depth=1
	s_or_b64 exec, exec, s[48:49]
.LBB334_243:                            ;   in Loop: Header=BB334_14 Depth=1
	s_or_b64 exec, exec, s[46:47]
	v_mul_f32_e32 v60, s64, v61
	v_and_b32_e32 v24, 0x7f800000, v60
	v_cmp_ne_u32_e64 s[4:5], s62, v24
                                        ; implicit-def: $vgpr24
	s_and_saveexec_b64 s[46:47], s[4:5]
	s_xor_b64 s[4:5], exec, s[46:47]
; %bb.244:                              ;   in Loop: Header=BB334_14 Depth=1
	v_bfe_u32 v24, v60, 16, 1
	v_add3_u32 v24, v60, v24, s63
                                        ; implicit-def: $vgpr60
; %bb.245:                              ;   in Loop: Header=BB334_14 Depth=1
	s_andn2_saveexec_b64 s[46:47], s[4:5]
; %bb.246:                              ;   in Loop: Header=BB334_14 Depth=1
	v_or_b32_e32 v24, 0x10000, v60
	v_cmp_eq_u32_sdwa s[4:5], v60, v27 src0_sel:WORD_0 src1_sel:DWORD
	v_cndmask_b32_e64 v24, v24, v60, s[4:5]
; %bb.247:                              ;   in Loop: Header=BB334_14 Depth=1
	s_or_b64 exec, exec, s[46:47]
	global_load_ubyte v23, v[22:23], off offset:1416
	v_mov_b32_e32 v60, 0
	s_waitcnt vmcnt(0)
	v_cmp_ne_u16_e64 s[4:5], 0, v23
	s_and_saveexec_b64 s[46:47], s[4:5]
	s_cbranch_execz .LBB334_253
; %bb.248:                              ;   in Loop: Header=BB334_14 Depth=1
	v_cmp_ne_u16_e64 s[4:5], s60, v23
	v_bfrev_b32_e32 v60, 1
	s_and_saveexec_b64 s[48:49], s[4:5]
	s_cbranch_execz .LBB334_252
; %bb.249:                              ;   in Loop: Header=BB334_14 Depth=1
	v_and_b32_e32 v22, 0xffff, v23
	v_and_b32_e32 v61, 0x7f, v22
	v_cmp_ne_u32_e64 s[4:5], s61, v61
	v_mov_b32_e32 v60, 0x7f800001
	s_and_saveexec_b64 s[50:51], s[4:5]
	s_cbranch_execz .LBB334_251
; %bb.250:                              ;   in Loop: Header=BB334_14 Depth=1
	v_and_b32_e32 v60, 7, v22
	v_ffbh_u32_e32 v62, v60
	v_min_u32_e32 v65, 32, v62
	v_subrev_u32_e32 v62, 28, v65
	v_lshlrev_b64 v[62:63], v62, v[22:23]
	v_lshrrev_b32_e32 v64, 3, v61
	v_sub_u32_e32 v22, 29, v65
	v_and_b32_e32 v62, 7, v62
	v_cmp_gt_u32_e64 s[4:5], 8, v61
	v_cndmask_b32_e64 v22, v64, v22, s[4:5]
	v_cndmask_b32_e64 v60, v60, v62, s[4:5]
	v_lshlrev_b32_e32 v23, 24, v23
	v_lshlrev_b32_e32 v60, 20, v60
	v_and_b32_e32 v23, 0x80000000, v23
	v_lshl_add_u32 v22, v22, 23, v35
	v_or3_b32 v60, v23, v22, v60
.LBB334_251:                            ;   in Loop: Header=BB334_14 Depth=1
	s_or_b64 exec, exec, s[50:51]
.LBB334_252:                            ;   in Loop: Header=BB334_14 Depth=1
	s_or_b64 exec, exec, s[48:49]
.LBB334_253:                            ;   in Loop: Header=BB334_14 Depth=1
	s_or_b64 exec, exec, s[46:47]
	v_mul_f32_e32 v23, s64, v60
	v_and_b32_e32 v22, 0x7f800000, v23
	v_cmp_ne_u32_e64 s[4:5], s62, v22
                                        ; implicit-def: $vgpr22
	s_and_saveexec_b64 s[46:47], s[4:5]
	s_xor_b64 s[4:5], exec, s[46:47]
; %bb.254:                              ;   in Loop: Header=BB334_14 Depth=1
	v_bfe_u32 v22, v23, 16, 1
	v_add3_u32 v22, v23, v22, s63
                                        ; implicit-def: $vgpr23
; %bb.255:                              ;   in Loop: Header=BB334_14 Depth=1
	s_andn2_saveexec_b64 s[46:47], s[4:5]
; %bb.256:                              ;   in Loop: Header=BB334_14 Depth=1
	v_or_b32_e32 v22, 0x10000, v23
	v_cmp_eq_u32_sdwa s[4:5], v23, v27 src0_sel:WORD_0 src1_sel:DWORD
	v_cndmask_b32_e64 v22, v22, v23, s[4:5]
; %bb.257:                              ;   in Loop: Header=BB334_14 Depth=1
	s_or_b64 exec, exec, s[46:47]
	v_and_b32_e32 v23, 0xffff0000, v24
	v_and_b32_e32 v24, 0xffff0000, v59
	;; [unrolled: 1-line block ×3, first 2 shown]
	v_lshlrev_b32_e32 v59, 16, v10
	v_and_b32_e32 v10, 0xffff0000, v10
	v_and_b32_e32 v38, 0xffff0000, v38
	v_mul_f32_e32 v10, v10, v39
	v_and_b32_e32 v40, 0xffff0000, v40
	v_lshlrev_b32_e32 v60, 16, v11
	v_fmac_f32_e32 v10, v59, v38
	v_and_b32_e32 v41, 0xffff0000, v41
	v_and_b32_e32 v11, 0xffff0000, v11
	v_fmac_f32_e32 v10, v60, v40
	v_and_b32_e32 v42, 0xffff0000, v42
	v_lshlrev_b32_e32 v61, 16, v12
	v_fmac_f32_e32 v10, v11, v41
	v_and_b32_e32 v43, 0xffff0000, v43
	v_and_b32_e32 v12, 0xffff0000, v12
	v_fmac_f32_e32 v10, v61, v42
	;; [unrolled: 6-line block ×9, first 2 shown]
	v_and_b32_e32 v58, 0xffff0000, v58
	v_lshlrev_b32_e32 v69, 16, v4
	v_and_b32_e32 v71, 64, v36
	v_fmac_f32_e32 v10, v3, v57
	v_and_b32_e32 v4, 0xffff0000, v4
	v_add_u32_e32 v71, 64, v71
	v_xor_b32_e32 v72, 4, v36
	v_fmac_f32_e32 v10, v69, v58
	v_lshlrev_b32_e32 v70, 16, v5
	v_cmp_lt_i32_e64 s[4:5], v72, v71
	v_fmac_f32_e32 v10, v4, v24
	v_and_b32_e32 v5, 0xffff0000, v5
	v_cndmask_b32_e64 v72, v36, v72, s[4:5]
	v_and_b32_e32 v22, 0xffff0000, v22
	v_fmac_f32_e32 v10, v70, v23
	v_lshlrev_b32_e32 v72, 2, v72
	v_fmac_f32_e32 v10, v5, v22
	ds_bpermute_b32 v2, v72, v10
	v_xor_b32_e32 v3, 2, v36
	v_cmp_lt_i32_e64 s[4:5], v3, v71
	v_cndmask_b32_e64 v3, v36, v3, s[4:5]
	v_lshlrev_b32_e32 v3, 2, v3
	s_waitcnt lgkmcnt(0)
	v_add_f32_e32 v2, v10, v2
	ds_bpermute_b32 v3, v3, v2
	v_xor_b32_e32 v4, 1, v36
	v_cmp_lt_i32_e64 s[4:5], v4, v71
	v_cndmask_b32_e64 v4, v36, v4, s[4:5]
	v_lshlrev_b32_e32 v4, 2, v4
	s_waitcnt lgkmcnt(0)
	v_add_f32_e32 v2, v2, v3
	ds_bpermute_b32 v3, v4, v2
	s_and_saveexec_b64 s[46:47], vcc
	s_cbranch_execz .LBB334_12
; %bb.258:                              ;   in Loop: Header=BB334_14 Depth=1
	v_add_u32_e32 v4, v33, v31
	v_cvt_f32_i32_e32 v4, v4
	s_waitcnt lgkmcnt(0)
	v_add_f32_e32 v2, v2, v3
	v_add_u32_e32 v5, v26, v31
	v_cmp_gt_i32_e64 s[4:5], s39, v5
	v_mul_f32_e32 v3, s55, v4
	v_cndmask_b32_e64 v3, 0, v3, s[2:3]
	v_fmac_f32_e32 v3, s45, v2
	v_cndmask_b32_e64 v2, 0, v3, s[4:5]
	ds_write_b32 v32, v2
	v_max_f32_e32 v2, v30, v30
	v_max_f32_e32 v2, v2, v3
	v_cndmask_b32_e64 v30, v30, v2, s[4:5]
	s_branch .LBB334_12
.LBB334_259:
	s_or_b64 exec, exec, s[20:21]
.LBB334_260:
	s_or_b64 exec, exec, s[18:19]
	v_mbcnt_hi_u32_b32 v2, -1, v17
	s_waitcnt lgkmcnt(0)
	v_and_b32_e32 v3, 64, v2
	v_add_u32_e32 v3, 64, v3
	v_xor_b32_e32 v4, 32, v2
	v_cmp_lt_i32_e32 vcc, v4, v3
	v_cndmask_b32_e32 v4, v2, v4, vcc
	v_lshlrev_b32_e32 v6, 2, v4
	ds_bpermute_b32 v4, v6, v30
	v_xor_b32_e32 v7, 16, v2
	v_max_f32_e32 v5, v30, v30
	v_cmp_lt_i32_e32 vcc, v7, v3
	v_and_b32_e32 v11, 63, v0
	s_waitcnt lgkmcnt(0)
	v_max_f32_e32 v4, v4, v4
	v_max_f32_e32 v4, v5, v4
	v_cndmask_b32_e32 v5, v2, v7, vcc
	v_lshlrev_b32_e32 v8, 2, v5
	ds_bpermute_b32 v5, v8, v4
	v_xor_b32_e32 v7, 8, v2
	v_cmp_lt_i32_e32 vcc, v7, v3
	s_waitcnt lgkmcnt(0)
	v_max_f32_e32 v5, v5, v5
	v_max_f32_e32 v4, v4, v5
	v_cndmask_b32_e32 v5, v2, v7, vcc
	v_lshlrev_b32_e32 v9, 2, v5
	ds_bpermute_b32 v7, v9, v4
	v_cmp_eq_u32_e32 vcc, 0, v11
	v_lshlrev_b32_e32 v5, 2, v25
	s_and_saveexec_b64 s[2:3], vcc
	s_cbranch_execz .LBB334_262
; %bb.261:
	s_waitcnt lgkmcnt(0)
	v_max_f32_e32 v7, v7, v7
	v_max_f32_e32 v4, v4, v4
	;; [unrolled: 1-line block ×3, first 2 shown]
	ds_write_b32 v5, v4 offset:384
.LBB334_262:
	s_or_b64 exec, exec, s[2:3]
	v_cmp_gt_u32_e64 s[2:3], 2, v11
	v_mov_b32_e32 v4, 0xff7fffff
	s_waitcnt lgkmcnt(0)
	v_lshlrev_b32_e32 v7, 2, v11
	s_barrier
	s_and_saveexec_b64 s[4:5], s[2:3]
	s_cbranch_execz .LBB334_264
; %bb.263:
	ds_read_b32 v4, v7 offset:384
.LBB334_264:
	s_or_b64 exec, exec, s[4:5]
	v_xor_b32_e32 v10, 1, v2
	v_cmp_lt_i32_e64 s[4:5], v10, v3
	v_cndmask_b32_e64 v10, v2, v10, s[4:5]
	v_lshlrev_b32_e32 v10, 2, v10
	s_waitcnt lgkmcnt(0)
	ds_bpermute_b32 v12, v10, v4
	v_max_f32_e32 v4, v4, v4
	s_sub_i32 s4, s28, s56
	s_lshl_b32 s4, s4, 3
	s_add_i32 s4, s4, s54
	s_waitcnt lgkmcnt(0)
	v_max_f32_e32 v12, v12, v12
	v_max_f32_e32 v4, v4, v12
	v_lshlrev_b32_e32 v12, 2, v2
	v_and_b32_e32 v12, 0x100, v12
	ds_bpermute_b32 v4, v12, v4
	s_min_i32 s21, s4, s39
	s_sub_i32 s20, s21, s54
	v_cmp_gt_i32_e64 s[4:5], s20, v0
	v_mov_b32_e32 v13, 0
	s_and_saveexec_b64 s[12:13], s[4:5]
	s_cbranch_execz .LBB334_268
; %bb.265:
	v_mov_b32_e32 v13, 0x190
	v_lshl_add_u32 v16, v0, 2, v13
	s_mov_b64 s[18:19], 0
	v_mov_b32_e32 v13, 0
	v_mov_b32_e32 v17, v0
.LBB334_266:                            ; =>This Inner Loop Header: Depth=1
	ds_read_b32 v18, v16
	v_add_u32_e32 v17, 0x80, v17
	v_cmp_le_i32_e64 s[10:11], s20, v17
	s_or_b64 s[18:19], s[10:11], s[18:19]
	s_waitcnt lgkmcnt(0)
	v_sub_f32_e32 v18, v18, v4
	v_mul_f32_e32 v18, 0x3fb8aa3b, v18
	v_exp_f32_e32 v18, v18
	ds_write_b32 v16, v18
	v_add_f32_e32 v13, v13, v18
	v_add_u32_e32 v16, 0x200, v16
	s_andn2_b64 exec, exec, s[18:19]
	s_cbranch_execnz .LBB334_266
; %bb.267:
	s_or_b64 exec, exec, s[18:19]
.LBB334_268:
	s_or_b64 exec, exec, s[12:13]
	ds_bpermute_b32 v6, v6, v13
	s_waitcnt lgkmcnt(0)
	v_add_f32_e32 v6, v13, v6
	ds_bpermute_b32 v8, v8, v6
	s_waitcnt lgkmcnt(0)
	v_add_f32_e32 v6, v6, v8
	ds_bpermute_b32 v8, v9, v6
	v_xor_b32_e32 v9, 4, v2
	v_cmp_lt_i32_e64 s[10:11], v9, v3
	v_cndmask_b32_e64 v9, v2, v9, s[10:11]
	v_lshlrev_b32_e32 v9, 2, v9
	s_waitcnt lgkmcnt(0)
	v_add_f32_e32 v6, v6, v8
	ds_bpermute_b32 v8, v9, v6
	v_xor_b32_e32 v9, 2, v2
	v_cmp_lt_i32_e64 s[10:11], v9, v3
	v_cndmask_b32_e64 v2, v2, v9, s[10:11]
	v_lshlrev_b32_e32 v2, 2, v2
	s_waitcnt lgkmcnt(0)
	v_add_f32_e32 v3, v6, v8
	ds_bpermute_b32 v2, v2, v3
	s_waitcnt lgkmcnt(0)
	v_add_f32_e32 v2, v3, v2
	ds_bpermute_b32 v3, v10, v2
	s_waitcnt lgkmcnt(0)
	v_add_f32_e32 v2, v2, v3
	s_and_saveexec_b64 s[10:11], vcc
	s_cbranch_execz .LBB334_270
; %bb.269:
	ds_write_b32 v5, v2 offset:392
.LBB334_270:
	s_or_b64 exec, exec, s[10:11]
	s_waitcnt lgkmcnt(0)
	s_barrier
	s_and_saveexec_b64 s[10:11], s[2:3]
	s_cbranch_execz .LBB334_272
; %bb.271:
	ds_read_b32 v2, v7 offset:392
.LBB334_272:
	s_or_b64 exec, exec, s[10:11]
	s_waitcnt lgkmcnt(0)
	ds_bpermute_b32 v3, v10, v2
	s_waitcnt lgkmcnt(0)
	v_add_f32_e32 v2, v2, v3
	ds_bpermute_b32 v5, v12, v2
	s_and_saveexec_b64 s[2:3], s[4:5]
	s_cbranch_execz .LBB334_285
; %bb.273:
	s_waitcnt lgkmcnt(0)
	v_add_f32_e32 v2, 0x358637bd, v5
	v_div_scale_f32 v3, s[4:5], v2, v2, 1.0
	v_rcp_f32_e32 v6, v3
	v_div_scale_f32 v7, vcc, 1.0, v2, 1.0
	s_movk_i32 s4, 0x7f
	v_fma_f32 v8, -v3, v6, 1.0
	v_fmac_f32_e32 v6, v8, v6
	v_mul_f32_e32 v8, v7, v6
	v_fma_f32 v9, -v3, v8, v7
	v_fmac_f32_e32 v8, v9, v6
	v_fma_f32 v3, -v3, v8, v7
	v_div_fmas_f32 v3, v3, v6, v8
	v_div_fixup_f32 v2, v3, v2, 1.0
	v_xad_u32 v3, v0, -1, s21
	v_subrev_u32_e32 v6, s54, v3
	v_cmp_lt_u32_e32 vcc, s4, v6
	s_mov_b64 s[10:11], -1
	v_mov_b32_e32 v3, v0
	s_and_saveexec_b64 s[4:5], vcc
	s_cbranch_execz .LBB334_282
; %bb.274:
	v_lshrrev_b32_e32 v6, 7, v6
	v_add_u32_e32 v8, -1, v6
	v_lshrrev_b32_e32 v7, 1, v8
	v_mov_b32_e32 v3, v2
	v_add_u32_e32 v7, 1, v7
	v_cmp_lt_u32_e32 vcc, 13, v8
	v_mov_b32_e32 v10, 0
	s_and_saveexec_b64 s[10:11], vcc
	s_cbranch_execz .LBB334_278
; %bb.275:
	v_mov_b32_e32 v9, 0x190
	v_and_b32_e32 v8, -8, v7
	v_lshl_add_u32 v9, v0, 2, v9
	s_mov_b32 s18, 0
	s_mov_b64 s[12:13], 0
.LBB334_276:                            ; =>This Inner Loop Header: Depth=1
	ds_read2st64_b32 v[12:13], v9 offset1:2
	ds_read2st64_b32 v[16:17], v9 offset0:4 offset1:6
	ds_read2st64_b32 v[18:19], v9 offset0:8 offset1:10
	;; [unrolled: 1-line block ×3, first 2 shown]
	v_add_u32_e32 v8, -8, v8
	s_waitcnt lgkmcnt(3)
	v_pk_mul_f32 v[12:13], v[2:3], v[12:13]
	s_waitcnt lgkmcnt(2)
	v_pk_mul_f32 v[16:17], v[2:3], v[16:17]
	ds_write2st64_b32 v9, v12, v13 offset1:2
	ds_write2st64_b32 v9, v16, v17 offset0:4 offset1:6
	ds_read2st64_b32 v[16:17], v9 offset0:16 offset1:18
	s_waitcnt lgkmcnt(4)
	v_pk_mul_f32 v[12:13], v[2:3], v[18:19]
	ds_write2st64_b32 v9, v12, v13 offset0:8 offset1:10
	s_waitcnt lgkmcnt(4)
	v_pk_mul_f32 v[12:13], v[2:3], v[20:21]
	ds_write2st64_b32 v9, v12, v13 offset0:12 offset1:14
	ds_read2st64_b32 v[12:13], v9 offset0:20 offset1:22
	s_waitcnt lgkmcnt(3)
	v_pk_mul_f32 v[16:17], v[2:3], v[16:17]
	ds_read2st64_b32 v[18:19], v9 offset0:24 offset1:26
	ds_write2st64_b32 v9, v16, v17 offset0:16 offset1:18
	ds_read2st64_b32 v[16:17], v9 offset0:28 offset1:30
	s_waitcnt lgkmcnt(3)
	v_pk_mul_f32 v[12:13], v[2:3], v[12:13]
	ds_write2st64_b32 v9, v12, v13 offset0:20 offset1:22
	s_waitcnt lgkmcnt(3)
	v_pk_mul_f32 v[12:13], v[2:3], v[18:19]
	ds_write2st64_b32 v9, v12, v13 offset0:24 offset1:26
	s_waitcnt lgkmcnt(2)
	v_pk_mul_f32 v[12:13], v[2:3], v[16:17]
	s_add_i32 s18, s18, 16
	v_cmp_eq_u32_e32 vcc, 0, v8
	ds_write2st64_b32 v9, v12, v13 offset0:28 offset1:30
	v_add_u32_e32 v9, 0x2000, v9
	s_or_b64 s[12:13], vcc, s[12:13]
	v_mov_b32_e32 v10, s18
	s_andn2_b64 exec, exec, s[12:13]
	s_cbranch_execnz .LBB334_276
; %bb.277:
	s_or_b64 exec, exec, s[12:13]
.LBB334_278:
	s_or_b64 exec, exec, s[10:11]
	v_and_b32_e32 v7, 7, v7
	v_cmp_ne_u32_e32 vcc, 0, v7
	s_and_saveexec_b64 s[10:11], vcc
	s_cbranch_execz .LBB334_281
; %bb.279:
	v_lshlrev_b32_e32 v8, 9, v10
	v_lshlrev_b32_e32 v9, 2, v0
	s_movk_i32 s12, 0x190
	v_add3_u32 v8, v8, v9, s12
	s_mov_b64 s[12:13], 0
.LBB334_280:                            ; =>This Inner Loop Header: Depth=1
	ds_read2st64_b32 v[12:13], v8 offset1:2
	v_add_u32_e32 v7, -1, v7
	v_cmp_eq_u32_e32 vcc, 0, v7
	s_or_b64 s[12:13], vcc, s[12:13]
	s_waitcnt lgkmcnt(0)
	v_pk_mul_f32 v[12:13], v[2:3], v[12:13]
	ds_write2st64_b32 v8, v12, v13 offset1:2
	v_add_u32_e32 v8, 0x400, v8
	s_andn2_b64 exec, exec, s[12:13]
	s_cbranch_execnz .LBB334_280
.LBB334_281:
	s_or_b64 exec, exec, s[10:11]
	v_add_u32_e32 v6, 1, v6
	v_and_b32_e32 v7, 0x3fffffe, v6
	v_cmp_ne_u32_e32 vcc, v6, v7
	v_lshl_add_u32 v3, v7, 7, v0
	s_orn2_b64 s[10:11], vcc, exec
.LBB334_282:
	s_or_b64 exec, exec, s[4:5]
	s_and_b64 exec, exec, s[10:11]
	s_cbranch_execz .LBB334_285
; %bb.283:
	v_mov_b32_e32 v6, 0x190
	v_lshl_add_u32 v6, v3, 2, v6
	s_mov_b64 s[4:5], 0
.LBB334_284:                            ; =>This Inner Loop Header: Depth=1
	ds_read_b32 v7, v6
	v_add_u32_e32 v3, 0x80, v3
	v_cmp_le_i32_e32 vcc, s20, v3
	s_or_b64 s[4:5], vcc, s[4:5]
	s_waitcnt lgkmcnt(0)
	v_mul_f32_e32 v7, v2, v7
	ds_write_b32 v6, v7
	v_add_u32_e32 v6, 0x200, v6
	s_andn2_b64 exec, exec, s[4:5]
	s_cbranch_execnz .LBB334_284
.LBB334_285:
	s_or_b64 exec, exec, s[2:3]
	s_mul_i32 s2, s33, s38
	v_cmp_eq_u32_e32 vcc, 0, v0
	s_mul_i32 s2, s2, s9
	s_waitcnt lgkmcnt(0)
	s_barrier
	s_and_saveexec_b64 s[4:5], vcc
	s_cbranch_execz .LBB334_287
; %bb.286:
	s_ashr_i32 s3, s2, 31
	s_lshl_b64 s[10:11], s[2:3], 2
	s_add_u32 s3, s26, s10
	s_mul_i32 s12, s33, s6
	s_addc_u32 s9, s27, s11
	s_ashr_i32 s13, s12, 31
	s_lshl_b64 s[12:13], s[12:13], 2
	s_add_u32 s3, s3, s12
	s_addc_u32 s6, s9, s13
	s_ashr_i32 s9, s8, 31
	s_lshl_b64 s[18:19], s[8:9], 2
	s_add_u32 s20, s3, s18
	s_addc_u32 s21, s6, s19
	s_add_u32 s3, s24, s10
	s_addc_u32 s6, s25, s11
	;; [unrolled: 2-line block ×3, first 2 shown]
	s_add_u32 s10, s3, s18
	v_mov_b32_e32 v2, 0
	s_addc_u32 s11, s6, s19
	global_store_dword v2, v4, s[20:21]
	global_store_dword v2, v5, s[10:11]
.LBB334_287:
	s_or_b64 exec, exec, s[4:5]
	v_mov_b32_e32 v10, 0
	v_mov_b32_e32 v13, v10
	;; [unrolled: 1-line block ×3, first 2 shown]
	s_and_saveexec_b64 s[4:5], s[0:1]
	s_cbranch_execz .LBB334_667
; %bb.288:
	s_sub_i32 s3, s7, s29
	s_ashr_i32 s0, s53, 31
	s_add_u32 s1, s22, s53
	s_addc_u32 s0, s23, s0
	s_abs_i32 s9, s30
	v_cvt_f32_u32_e32 v2, s9
	v_lshlrev_b32_e32 v3, 3, v11
	s_sub_i32 s10, 0, s9
	s_add_i32 s23, s16, -1
	v_rcp_iflag_f32_e32 v2, v2
	v_mov_b32_e32 v4, s0
	v_add_co_u32_e32 v16, vcc, s1, v3
	v_mul_f32_e32 v2, 0x4f7ffffe, v2
	v_cvt_u32_f32_e32 v2, v2
	s_lshl_b64 s[0:1], s[42:43], 2
	s_add_u32 s0, s40, s0
	v_addc_co_u32_e32 v17, vcc, 0, v4, vcc
	v_mul_lo_u32 v5, s10, v2
	v_mul_hi_u32 v5, v2, v5
	v_add_u32_e32 v22, v2, v5
	v_lshlrev_b64 v[2:3], 2, v[14:15]
	s_addc_u32 s1, s41, s1
	s_mov_b32 s6, -1
	v_mov_b32_e32 v4, s1
	v_add_co_u32_e32 v18, vcc, s0, v2
	v_mov_b32_e32 v2, 0x190
	s_mov_b32 s22, s17
	s_mov_b32 s7, 0xffffff
	v_addc_co_u32_e32 v19, vcc, v4, v3, vcc
	v_lshl_add_u32 v15, v25, 5, v2
	s_mov_b64 s[10:11], 0
	v_mov_b32_e32 v23, 0
	s_mov_b32 s24, 0x7f800000
	s_movk_i32 s25, 0x7fff
	s_movk_i32 s26, 0x80
	s_movk_i32 s27, 0x7f
	v_mov_b32_e32 v21, 0
	v_bfrev_b32_e32 v24, 60
	v_mov_b32_e32 v12, 0
	v_mov_b32_e32 v13, 0
	;; [unrolled: 1-line block ×3, first 2 shown]
	s_branch .LBB334_291
.LBB334_289:                            ;   in Loop: Header=BB334_291 Depth=1
	s_or_b64 exec, exec, s[0:1]
	v_and_b32_e32 v39, 0xffff0000, v46
	v_and_b32_e32 v38, 0xffff0000, v6
	;; [unrolled: 1-line block ×8, first 2 shown]
	v_pk_add_f32 v[38:39], v[40:41], v[38:39]
	v_pk_add_f32 v[34:35], v[36:37], v[34:35]
	v_add_f32_e32 v5, v38, v39
	v_add_f32_e32 v5, v5, v34
	;; [unrolled: 1-line block ×3, first 2 shown]
	v_and_b32_e32 v35, 0xffff0000, v29
	v_and_b32_e32 v34, 0xffff0000, v27
	;; [unrolled: 1-line block ×8, first 2 shown]
	v_pk_add_f32 v[6:7], v[8:9], v[28:29]
	v_add_f32_e32 v13, v13, v5
	v_pk_add_f32 v[8:9], v[26:27], v[34:35]
	v_add_f32_e32 v5, v6, v7
	v_add_f32_e32 v5, v5, v8
	;; [unrolled: 1-line block ×4, first 2 shown]
	v_and_b32_e32 v7, 0xffff0000, v3
	v_and_b32_e32 v5, 0xffff0000, v31
	;; [unrolled: 1-line block ×8, first 2 shown]
	v_pk_add_f32 v[2:3], v[2:3], v[4:5]
	v_pk_add_f32 v[4:5], v[8:9], v[6:7]
	v_add_f32_e32 v2, v2, v3
	v_add_f32_e32 v2, v2, v4
	;; [unrolled: 1-line block ×4, first 2 shown]
.LBB334_290:                            ;   in Loop: Header=BB334_291 Depth=1
	s_or_b64 exec, exec, s[12:13]
	v_add_co_u32_e32 v18, vcc, 8, v18
	v_add_u32_e32 v14, 2, v14
	v_addc_co_u32_e32 v19, vcc, 0, v19, vcc
	v_cmp_le_i32_e32 vcc, s28, v14
	v_add_u32_e32 v1, 16, v1
	s_or_b64 s[10:11], vcc, s[10:11]
	v_add_u32_e32 v15, 64, v15
	s_andn2_b64 exec, exec, s[10:11]
	s_cbranch_execz .LBB334_666
.LBB334_291:                            ; =>This Inner Loop Header: Depth=1
	v_sub_u32_e32 v3, 0, v1
	v_max_i32_e32 v3, v1, v3
	v_mul_hi_u32 v4, v3, s52
	v_mul_lo_u32 v5, v4, s37
	v_sub_u32_e32 v3, v3, v5
	v_add_u32_e32 v5, 1, v4
	v_cmp_le_u32_e32 vcc, s37, v3
	v_cndmask_b32_e32 v4, v4, v5, vcc
	v_subrev_u32_e32 v5, s37, v3
	v_cndmask_b32_e32 v3, v3, v5, vcc
	v_ashrrev_i32_e32 v2, 31, v1
	v_add_u32_e32 v5, 1, v4
	v_cmp_le_u32_e32 vcc, s37, v3
	v_xor_b32_e32 v2, s31, v2
	v_cndmask_b32_e32 v3, v4, v5, vcc
	v_xor_b32_e32 v3, v3, v2
	v_sub_u32_e32 v2, v3, v2
	v_add_u32_e32 v3, s44, v2
	v_sub_u32_e32 v5, 0, v3
	v_ashrrev_i32_e32 v4, 31, v3
	v_max_i32_e32 v3, v3, v5
	v_mul_hi_u32 v5, v3, v22
	v_mul_lo_u32 v5, v5, s9
	v_sub_u32_e32 v3, v3, v5
	v_subrev_u32_e32 v5, s9, v3
	v_cmp_le_u32_e32 vcc, s9, v3
	v_cndmask_b32_e32 v3, v3, v5, vcc
	v_subrev_u32_e32 v5, s9, v3
	v_cmp_le_u32_e32 vcc, s9, v3
	v_cndmask_b32_e32 v3, v3, v5, vcc
	v_xor_b32_e32 v3, v3, v4
	v_sub_u32_e32 v3, v3, v4
	v_cmp_eq_u32_e32 vcc, 0, v3
	v_cmp_lt_i32_e64 s[0:1], s3, v2
	s_or_b64 s[0:1], vcc, s[0:1]
	s_and_saveexec_b64 s[12:13], s[0:1]
	s_cbranch_execz .LBB334_290
; %bb.292:                              ;   in Loop: Header=BB334_291 Depth=1
	global_load_dword v20, v[18:19], off
	ds_read2_b64 v[6:9], v15 offset1:1
	ds_read2_b64 v[2:5], v15 offset0:2 offset1:3
                                        ; implicit-def: $vgpr37
	s_waitcnt lgkmcnt(1)
	v_and_b32_e32 v25, 0x7f800000, v6
	v_cmp_ne_u32_e32 vcc, s24, v25
	s_and_saveexec_b64 s[0:1], vcc
	s_xor_b64 s[0:1], exec, s[0:1]
; %bb.293:                              ;   in Loop: Header=BB334_291 Depth=1
	v_bfe_u32 v25, v6, 16, 1
	v_add3_u32 v37, v6, v25, s25
; %bb.294:                              ;   in Loop: Header=BB334_291 Depth=1
	s_andn2_saveexec_b64 s[0:1], s[0:1]
; %bb.295:                              ;   in Loop: Header=BB334_291 Depth=1
	v_or_b32_e32 v25, 0x10000, v6
	v_cmp_eq_u32_sdwa vcc, v6, v23 src0_sel:WORD_0 src1_sel:DWORD
	v_cndmask_b32_e32 v37, v25, v6, vcc
; %bb.296:                              ;   in Loop: Header=BB334_291 Depth=1
	s_or_b64 exec, exec, s[0:1]
	v_and_b32_e32 v6, 0x7f800000, v7
	v_cmp_ne_u32_e32 vcc, s24, v6
                                        ; implicit-def: $vgpr38
	s_and_saveexec_b64 s[0:1], vcc
	s_xor_b64 s[0:1], exec, s[0:1]
; %bb.297:                              ;   in Loop: Header=BB334_291 Depth=1
	v_bfe_u32 v6, v7, 16, 1
	v_add3_u32 v38, v7, v6, s25
; %bb.298:                              ;   in Loop: Header=BB334_291 Depth=1
	s_andn2_saveexec_b64 s[0:1], s[0:1]
; %bb.299:                              ;   in Loop: Header=BB334_291 Depth=1
	v_or_b32_e32 v6, 0x10000, v7
	v_cmp_eq_u32_sdwa vcc, v7, v23 src0_sel:WORD_0 src1_sel:DWORD
	v_cndmask_b32_e32 v38, v6, v7, vcc
; %bb.300:                              ;   in Loop: Header=BB334_291 Depth=1
	s_or_b64 exec, exec, s[0:1]
	v_and_b32_e32 v6, 0x7f800000, v8
	v_cmp_ne_u32_e32 vcc, s24, v6
                                        ; implicit-def: $vgpr39
	s_and_saveexec_b64 s[0:1], vcc
	s_xor_b64 s[0:1], exec, s[0:1]
; %bb.301:                              ;   in Loop: Header=BB334_291 Depth=1
	v_bfe_u32 v6, v8, 16, 1
	v_add3_u32 v39, v8, v6, s25
; %bb.302:                              ;   in Loop: Header=BB334_291 Depth=1
	s_andn2_saveexec_b64 s[0:1], s[0:1]
; %bb.303:                              ;   in Loop: Header=BB334_291 Depth=1
	v_or_b32_e32 v6, 0x10000, v8
	v_cmp_eq_u32_sdwa vcc, v8, v23 src0_sel:WORD_0 src1_sel:DWORD
	v_cndmask_b32_e32 v39, v6, v8, vcc
; %bb.304:                              ;   in Loop: Header=BB334_291 Depth=1
	s_or_b64 exec, exec, s[0:1]
	v_and_b32_e32 v6, 0x7f800000, v9
	v_cmp_ne_u32_e32 vcc, s24, v6
                                        ; implicit-def: $vgpr25
	s_and_saveexec_b64 s[0:1], vcc
	s_xor_b64 s[0:1], exec, s[0:1]
; %bb.305:                              ;   in Loop: Header=BB334_291 Depth=1
	v_bfe_u32 v6, v9, 16, 1
	v_add3_u32 v25, v9, v6, s25
                                        ; implicit-def: $vgpr6_vgpr7_vgpr8_vgpr9
; %bb.306:                              ;   in Loop: Header=BB334_291 Depth=1
	s_andn2_saveexec_b64 s[0:1], s[0:1]
; %bb.307:                              ;   in Loop: Header=BB334_291 Depth=1
	v_or_b32_e32 v6, 0x10000, v9
	v_cmp_eq_u32_sdwa vcc, v9, v23 src0_sel:WORD_0 src1_sel:DWORD
	v_cndmask_b32_e32 v25, v6, v9, vcc
; %bb.308:                              ;   in Loop: Header=BB334_291 Depth=1
	s_or_b64 exec, exec, s[0:1]
	s_waitcnt lgkmcnt(0)
	v_and_b32_e32 v6, 0x7f800000, v2
	v_cmp_ne_u32_e32 vcc, s24, v6
                                        ; implicit-def: $vgpr26
	s_and_saveexec_b64 s[0:1], vcc
	s_xor_b64 s[0:1], exec, s[0:1]
; %bb.309:                              ;   in Loop: Header=BB334_291 Depth=1
	v_bfe_u32 v6, v2, 16, 1
	v_add3_u32 v26, v2, v6, s25
; %bb.310:                              ;   in Loop: Header=BB334_291 Depth=1
	s_andn2_saveexec_b64 s[0:1], s[0:1]
; %bb.311:                              ;   in Loop: Header=BB334_291 Depth=1
	v_or_b32_e32 v6, 0x10000, v2
	v_cmp_eq_u32_sdwa vcc, v2, v23 src0_sel:WORD_0 src1_sel:DWORD
	v_cndmask_b32_e32 v26, v6, v2, vcc
; %bb.312:                              ;   in Loop: Header=BB334_291 Depth=1
	s_or_b64 exec, exec, s[0:1]
	v_and_b32_e32 v2, 0x7f800000, v3
	v_cmp_ne_u32_e32 vcc, s24, v2
                                        ; implicit-def: $vgpr27
	s_and_saveexec_b64 s[0:1], vcc
	s_xor_b64 s[0:1], exec, s[0:1]
; %bb.313:                              ;   in Loop: Header=BB334_291 Depth=1
	v_bfe_u32 v2, v3, 16, 1
	v_add3_u32 v27, v3, v2, s25
; %bb.314:                              ;   in Loop: Header=BB334_291 Depth=1
	s_andn2_saveexec_b64 s[0:1], s[0:1]
; %bb.315:                              ;   in Loop: Header=BB334_291 Depth=1
	v_or_b32_e32 v2, 0x10000, v3
	v_cmp_eq_u32_sdwa vcc, v3, v23 src0_sel:WORD_0 src1_sel:DWORD
	v_cndmask_b32_e32 v27, v2, v3, vcc
; %bb.316:                              ;   in Loop: Header=BB334_291 Depth=1
	s_or_b64 exec, exec, s[0:1]
	v_and_b32_e32 v2, 0x7f800000, v4
	v_cmp_ne_u32_e32 vcc, s24, v2
                                        ; implicit-def: $vgpr28
	s_and_saveexec_b64 s[0:1], vcc
	s_xor_b64 s[0:1], exec, s[0:1]
; %bb.317:                              ;   in Loop: Header=BB334_291 Depth=1
	v_bfe_u32 v2, v4, 16, 1
	v_add3_u32 v28, v4, v2, s25
; %bb.318:                              ;   in Loop: Header=BB334_291 Depth=1
	s_andn2_saveexec_b64 s[0:1], s[0:1]
; %bb.319:                              ;   in Loop: Header=BB334_291 Depth=1
	v_or_b32_e32 v2, 0x10000, v4
	v_cmp_eq_u32_sdwa vcc, v4, v23 src0_sel:WORD_0 src1_sel:DWORD
	v_cndmask_b32_e32 v28, v2, v4, vcc
; %bb.320:                              ;   in Loop: Header=BB334_291 Depth=1
	s_or_b64 exec, exec, s[0:1]
	v_and_b32_e32 v2, 0x7f800000, v5
	v_cmp_ne_u32_e32 vcc, s24, v2
                                        ; implicit-def: $vgpr29
	s_and_saveexec_b64 s[0:1], vcc
	s_xor_b64 s[0:1], exec, s[0:1]
; %bb.321:                              ;   in Loop: Header=BB334_291 Depth=1
	v_bfe_u32 v2, v5, 16, 1
	v_add3_u32 v29, v5, v2, s25
                                        ; implicit-def: $vgpr2_vgpr3_vgpr4_vgpr5
; %bb.322:                              ;   in Loop: Header=BB334_291 Depth=1
	s_andn2_saveexec_b64 s[0:1], s[0:1]
; %bb.323:                              ;   in Loop: Header=BB334_291 Depth=1
	v_or_b32_e32 v2, 0x10000, v5
	v_cmp_eq_u32_sdwa vcc, v5, v23 src0_sel:WORD_0 src1_sel:DWORD
	v_cndmask_b32_e32 v29, v2, v5, vcc
; %bb.324:                              ;   in Loop: Header=BB334_291 Depth=1
	s_or_b64 exec, exec, s[0:1]
	s_waitcnt vmcnt(0)
	v_mad_i64_i32 v[2:3], s[0:1], v20, s22, v[16:17]
	global_load_dwordx2 v[4:5], v[2:3], off
	s_load_dword s29, s[14:15], 0x0
	v_mov_b32_e32 v6, 0
	s_waitcnt vmcnt(0)
	v_cmp_ne_u16_sdwa s[16:17], v4, v23 src0_sel:BYTE_0 src1_sel:DWORD
	s_and_saveexec_b64 s[0:1], s[16:17]
	s_cbranch_execz .LBB334_330
; %bb.325:                              ;   in Loop: Header=BB334_291 Depth=1
	v_cmp_ne_u16_sdwa s[18:19], v4, s26 src0_sel:BYTE_0 src1_sel:DWORD
	v_bfrev_b32_e32 v6, 1
	s_and_saveexec_b64 s[16:17], s[18:19]
	s_cbranch_execz .LBB334_329
; %bb.326:                              ;   in Loop: Header=BB334_291 Depth=1
	v_and_b32_e32 v7, 0x7f, v4
	v_cmp_ne_u32_e32 vcc, s27, v7
	v_mov_b32_e32 v6, 0x7f800001
	s_and_saveexec_b64 s[18:19], vcc
	s_cbranch_execz .LBB334_328
; %bb.327:                              ;   in Loop: Header=BB334_291 Depth=1
	v_and_b32_e32 v6, 7, v4
	v_ffbh_u32_e32 v6, v6
	v_min_u32_e32 v6, 32, v6
	v_lshrrev_b32_e32 v8, 3, v7
	v_subrev_u32_e32 v9, 28, v6
	v_sub_u32_e32 v6, 29, v6
	v_cmp_gt_u32_e32 vcc, 8, v7
	v_cndmask_b32_e32 v8, v8, v6, vcc
	v_cndmask_b32_e32 v6, 0, v9, vcc
	v_lshlrev_b64 v[6:7], v6, v[4:5]
	v_lshlrev_b32_e32 v6, 20, v6
	v_lshlrev_b32_e32 v7, 24, v4
	v_and_b32_e32 v6, 0x700000, v6
	v_and_b32_e32 v7, 0x80000000, v7
	v_lshl_add_u32 v8, v8, 23, v24
	v_or3_b32 v6, v7, v8, v6
.LBB334_328:                            ;   in Loop: Header=BB334_291 Depth=1
	s_or_b64 exec, exec, s[18:19]
.LBB334_329:                            ;   in Loop: Header=BB334_291 Depth=1
	s_or_b64 exec, exec, s[16:17]
.LBB334_330:                            ;   in Loop: Header=BB334_291 Depth=1
	s_or_b64 exec, exec, s[0:1]
	s_waitcnt lgkmcnt(0)
	v_mul_f32_e32 v6, s29, v6
	v_and_b32_e32 v7, 0x7f800000, v6
	v_cmp_ne_u32_e32 vcc, s24, v7
                                        ; implicit-def: $vgpr7
	s_and_saveexec_b64 s[0:1], vcc
	s_xor_b64 s[0:1], exec, s[0:1]
; %bb.331:                              ;   in Loop: Header=BB334_291 Depth=1
	v_bfe_u32 v7, v6, 16, 1
	v_add3_u32 v7, v6, v7, s25
                                        ; implicit-def: $vgpr6
; %bb.332:                              ;   in Loop: Header=BB334_291 Depth=1
	s_andn2_saveexec_b64 s[0:1], s[0:1]
; %bb.333:                              ;   in Loop: Header=BB334_291 Depth=1
	v_or_b32_e32 v7, 0x10000, v6
	v_cmp_eq_u32_sdwa vcc, v6, v23 src0_sel:WORD_0 src1_sel:DWORD
	v_cndmask_b32_e32 v7, v7, v6, vcc
; %bb.334:                              ;   in Loop: Header=BB334_291 Depth=1
	s_or_b64 exec, exec, s[0:1]
	v_lshrrev_b16_e32 v6, 8, v4
	v_cmp_ne_u16_e32 vcc, 0, v6
	v_mov_b32_e32 v8, 0
	s_and_saveexec_b64 s[0:1], vcc
	s_cbranch_execz .LBB334_340
; %bb.335:                              ;   in Loop: Header=BB334_291 Depth=1
	v_cmp_ne_u16_e32 vcc, s26, v6
	v_bfrev_b32_e32 v8, 1
	s_and_saveexec_b64 s[16:17], vcc
	s_cbranch_execz .LBB334_339
; %bb.336:                              ;   in Loop: Header=BB334_291 Depth=1
	v_and_b32_e32 v9, 0x7f, v6
	v_cmp_ne_u32_e32 vcc, s27, v9
	v_mov_b32_e32 v8, 0x7f800001
	s_and_saveexec_b64 s[18:19], vcc
	s_cbranch_execz .LBB334_338
; %bb.337:                              ;   in Loop: Header=BB334_291 Depth=1
	v_and_b32_e32 v8, 7, v6
	v_ffbh_u32_e32 v30, v8
	v_min_u32_e32 v32, 32, v30
	v_subrev_u32_e32 v30, 28, v32
	v_lshlrev_b64 v[30:31], v30, v[6:7]
	v_lshrrev_b32_e32 v20, 3, v9
	v_sub_u32_e32 v6, 29, v32
	v_and_b32_e32 v30, 7, v30
	v_cmp_gt_u32_e32 vcc, 8, v9
	v_cndmask_b32_e32 v6, v20, v6, vcc
	v_cndmask_b32_e32 v8, v8, v30, vcc
	v_lshlrev_b32_e32 v9, 16, v4
	v_lshlrev_b32_e32 v8, 20, v8
	v_and_b32_e32 v9, 0x80000000, v9
	v_lshl_add_u32 v6, v6, 23, v24
	v_or3_b32 v8, v9, v6, v8
.LBB334_338:                            ;   in Loop: Header=BB334_291 Depth=1
	s_or_b64 exec, exec, s[18:19]
.LBB334_339:                            ;   in Loop: Header=BB334_291 Depth=1
	s_or_b64 exec, exec, s[16:17]
.LBB334_340:                            ;   in Loop: Header=BB334_291 Depth=1
	s_or_b64 exec, exec, s[0:1]
	v_mul_f32_e32 v6, s29, v8
	v_and_b32_e32 v8, 0x7f800000, v6
	v_cmp_ne_u32_e32 vcc, s24, v8
                                        ; implicit-def: $vgpr8
	s_and_saveexec_b64 s[0:1], vcc
	s_xor_b64 s[0:1], exec, s[0:1]
; %bb.341:                              ;   in Loop: Header=BB334_291 Depth=1
	v_bfe_u32 v8, v6, 16, 1
	v_add3_u32 v8, v6, v8, s25
                                        ; implicit-def: $vgpr6
; %bb.342:                              ;   in Loop: Header=BB334_291 Depth=1
	s_andn2_saveexec_b64 s[0:1], s[0:1]
; %bb.343:                              ;   in Loop: Header=BB334_291 Depth=1
	v_or_b32_e32 v8, 0x10000, v6
	v_cmp_eq_u32_sdwa vcc, v6, v23 src0_sel:WORD_0 src1_sel:DWORD
	v_cndmask_b32_e32 v8, v8, v6, vcc
; %bb.344:                              ;   in Loop: Header=BB334_291 Depth=1
	s_or_b64 exec, exec, s[0:1]
	v_lshrrev_b32_e32 v6, 16, v4
	v_cmp_ne_u16_sdwa s[16:17], v6, v23 src0_sel:BYTE_0 src1_sel:DWORD
	v_mov_b32_e32 v9, 0
	s_and_saveexec_b64 s[0:1], s[16:17]
	s_cbranch_execz .LBB334_350
; %bb.345:                              ;   in Loop: Header=BB334_291 Depth=1
	v_cmp_ne_u16_sdwa s[18:19], v6, s26 src0_sel:BYTE_0 src1_sel:DWORD
	v_bfrev_b32_e32 v9, 1
	s_and_saveexec_b64 s[16:17], s[18:19]
	s_cbranch_execz .LBB334_349
; %bb.346:                              ;   in Loop: Header=BB334_291 Depth=1
	v_bfe_u32 v20, v4, 16, 7
	v_cmp_ne_u32_e32 vcc, s27, v20
	v_mov_b32_e32 v9, 0x7f800001
	s_and_saveexec_b64 s[18:19], vcc
	s_cbranch_execz .LBB334_348
; %bb.347:                              ;   in Loop: Header=BB334_291 Depth=1
	v_and_b32_e32 v9, 7, v6
	v_ffbh_u32_e32 v30, v9
	v_min_u32_e32 v33, 32, v30
	v_subrev_u32_e32 v30, 28, v33
	v_lshlrev_b64 v[30:31], v30, v[6:7]
	v_lshrrev_b32_e32 v32, 3, v20
	v_sub_u32_e32 v31, 29, v33
	v_and_b32_e32 v30, 7, v30
	v_cmp_gt_u32_e32 vcc, 8, v20
	v_cndmask_b32_e32 v20, v32, v31, vcc
	v_cndmask_b32_e32 v9, v9, v30, vcc
	v_lshlrev_b32_e32 v6, 24, v6
	v_lshlrev_b32_e32 v9, 20, v9
	v_and_b32_e32 v6, 0x80000000, v6
	v_lshl_add_u32 v20, v20, 23, v24
	v_or3_b32 v9, v6, v20, v9
.LBB334_348:                            ;   in Loop: Header=BB334_291 Depth=1
	s_or_b64 exec, exec, s[18:19]
.LBB334_349:                            ;   in Loop: Header=BB334_291 Depth=1
	s_or_b64 exec, exec, s[16:17]
.LBB334_350:                            ;   in Loop: Header=BB334_291 Depth=1
	s_or_b64 exec, exec, s[0:1]
	v_mul_f32_e32 v6, s29, v9
	v_and_b32_e32 v9, 0x7f800000, v6
	v_cmp_ne_u32_e32 vcc, s24, v9
                                        ; implicit-def: $vgpr9
	s_and_saveexec_b64 s[0:1], vcc
	s_xor_b64 s[0:1], exec, s[0:1]
; %bb.351:                              ;   in Loop: Header=BB334_291 Depth=1
	v_bfe_u32 v9, v6, 16, 1
	v_add3_u32 v9, v6, v9, s25
                                        ; implicit-def: $vgpr6
; %bb.352:                              ;   in Loop: Header=BB334_291 Depth=1
	s_andn2_saveexec_b64 s[0:1], s[0:1]
; %bb.353:                              ;   in Loop: Header=BB334_291 Depth=1
	v_or_b32_e32 v9, 0x10000, v6
	v_cmp_eq_u32_sdwa vcc, v6, v23 src0_sel:WORD_0 src1_sel:DWORD
	v_cndmask_b32_e32 v9, v9, v6, vcc
; %bb.354:                              ;   in Loop: Header=BB334_291 Depth=1
	s_or_b64 exec, exec, s[0:1]
	v_cmp_lt_u32_e32 vcc, s7, v4
	v_mov_b32_e32 v20, 0
	s_and_saveexec_b64 s[0:1], vcc
	s_cbranch_execz .LBB334_360
; %bb.355:                              ;   in Loop: Header=BB334_291 Depth=1
	v_lshrrev_b32_e32 v6, 24, v4
	v_cmp_ne_u32_e32 vcc, s26, v6
	v_bfrev_b32_e32 v20, 1
	s_and_saveexec_b64 s[16:17], vcc
	s_cbranch_execz .LBB334_359
; %bb.356:                              ;   in Loop: Header=BB334_291 Depth=1
	v_bfe_u32 v30, v4, 24, 7
	v_cmp_ne_u32_e32 vcc, s27, v30
	v_mov_b32_e32 v20, 0x7f800001
	s_and_saveexec_b64 s[18:19], vcc
	s_cbranch_execz .LBB334_358
; %bb.357:                              ;   in Loop: Header=BB334_291 Depth=1
	v_and_b32_e32 v20, 7, v6
	v_ffbh_u32_e32 v32, v20
	v_min_u32_e32 v34, 32, v32
	v_subrev_u32_e32 v32, 28, v34
	v_lshlrev_b64 v[32:33], v32, v[6:7]
	v_lshrrev_b32_e32 v31, 3, v30
	v_sub_u32_e32 v33, 29, v34
	v_and_b32_e32 v32, 7, v32
	v_cmp_gt_u32_e32 vcc, 8, v30
	v_cndmask_b32_e32 v30, v31, v33, vcc
	v_cndmask_b32_e32 v20, v20, v32, vcc
	v_lshlrev_b32_e32 v6, 24, v6
	v_lshlrev_b32_e32 v20, 20, v20
	v_and_b32_e32 v6, 0x80000000, v6
	v_lshl_add_u32 v30, v30, 23, v24
	v_or3_b32 v20, v6, v30, v20
.LBB334_358:                            ;   in Loop: Header=BB334_291 Depth=1
	s_or_b64 exec, exec, s[18:19]
.LBB334_359:                            ;   in Loop: Header=BB334_291 Depth=1
	s_or_b64 exec, exec, s[16:17]
.LBB334_360:                            ;   in Loop: Header=BB334_291 Depth=1
	s_or_b64 exec, exec, s[0:1]
	v_mul_f32_e32 v6, s29, v20
	v_and_b32_e32 v20, 0x7f800000, v6
	v_cmp_ne_u32_e32 vcc, s24, v20
                                        ; implicit-def: $vgpr30
	s_and_saveexec_b64 s[0:1], vcc
	s_xor_b64 s[0:1], exec, s[0:1]
; %bb.361:                              ;   in Loop: Header=BB334_291 Depth=1
	v_bfe_u32 v20, v6, 16, 1
	v_add3_u32 v30, v6, v20, s25
                                        ; implicit-def: $vgpr6
; %bb.362:                              ;   in Loop: Header=BB334_291 Depth=1
	s_andn2_saveexec_b64 s[0:1], s[0:1]
; %bb.363:                              ;   in Loop: Header=BB334_291 Depth=1
	v_or_b32_e32 v20, 0x10000, v6
	v_cmp_eq_u32_sdwa vcc, v6, v23 src0_sel:WORD_0 src1_sel:DWORD
	v_cndmask_b32_e32 v30, v20, v6, vcc
; %bb.364:                              ;   in Loop: Header=BB334_291 Depth=1
	s_or_b64 exec, exec, s[0:1]
	v_mov_b32_e32 v20, v5
	v_cmp_ne_u16_sdwa s[16:17], v5, v23 src0_sel:BYTE_0 src1_sel:DWORD
	v_mov_b32_e32 v6, 0
	s_and_saveexec_b64 s[0:1], s[16:17]
	s_cbranch_execz .LBB334_370
; %bb.365:                              ;   in Loop: Header=BB334_291 Depth=1
	v_cmp_ne_u16_sdwa s[18:19], v5, s26 src0_sel:BYTE_0 src1_sel:DWORD
	v_bfrev_b32_e32 v6, 1
	s_and_saveexec_b64 s[16:17], s[18:19]
	s_cbranch_execz .LBB334_369
; %bb.366:                              ;   in Loop: Header=BB334_291 Depth=1
	v_and_b32_e32 v31, 0x7f, v5
	v_cmp_ne_u32_e32 vcc, s27, v31
	v_mov_b32_e32 v6, 0x7f800001
	s_and_saveexec_b64 s[18:19], vcc
	s_cbranch_execz .LBB334_368
; %bb.367:                              ;   in Loop: Header=BB334_291 Depth=1
	v_and_b32_e32 v6, 7, v5
	v_ffbh_u32_e32 v6, v6
	v_min_u32_e32 v6, 32, v6
	v_subrev_u32_e32 v33, 28, v6
	v_cmp_gt_u32_e32 vcc, 8, v31
	v_lshrrev_b32_e32 v32, 3, v31
	v_sub_u32_e32 v6, 29, v6
	v_cndmask_b32_e32 v31, 0, v33, vcc
	v_cndmask_b32_e32 v6, v32, v6, vcc
	v_lshlrev_b64 v[32:33], v31, v[20:21]
	v_lshlrev_b32_e32 v31, 20, v32
	v_lshlrev_b32_e32 v32, 24, v20
	v_and_b32_e32 v31, 0x700000, v31
	v_and_b32_e32 v32, 0x80000000, v32
	v_lshl_add_u32 v6, v6, 23, v24
	v_or3_b32 v6, v32, v6, v31
.LBB334_368:                            ;   in Loop: Header=BB334_291 Depth=1
	s_or_b64 exec, exec, s[18:19]
.LBB334_369:                            ;   in Loop: Header=BB334_291 Depth=1
	s_or_b64 exec, exec, s[16:17]
.LBB334_370:                            ;   in Loop: Header=BB334_291 Depth=1
	s_or_b64 exec, exec, s[0:1]
	v_mul_f32_e32 v6, s29, v6
	v_and_b32_e32 v31, 0x7f800000, v6
	v_cmp_ne_u32_e32 vcc, s24, v31
                                        ; implicit-def: $vgpr31
	s_and_saveexec_b64 s[0:1], vcc
	s_xor_b64 s[0:1], exec, s[0:1]
; %bb.371:                              ;   in Loop: Header=BB334_291 Depth=1
	v_bfe_u32 v31, v6, 16, 1
	v_add3_u32 v31, v6, v31, s25
                                        ; implicit-def: $vgpr6
; %bb.372:                              ;   in Loop: Header=BB334_291 Depth=1
	s_andn2_saveexec_b64 s[0:1], s[0:1]
; %bb.373:                              ;   in Loop: Header=BB334_291 Depth=1
	v_or_b32_e32 v31, 0x10000, v6
	v_cmp_eq_u32_sdwa vcc, v6, v23 src0_sel:WORD_0 src1_sel:DWORD
	v_cndmask_b32_e32 v31, v31, v6, vcc
; %bb.374:                              ;   in Loop: Header=BB334_291 Depth=1
	s_or_b64 exec, exec, s[0:1]
	v_lshrrev_b16_e32 v6, 8, v20
	v_cmp_ne_u16_e32 vcc, 0, v6
	v_mov_b32_e32 v32, 0
	s_and_saveexec_b64 s[0:1], vcc
	s_cbranch_execz .LBB334_380
; %bb.375:                              ;   in Loop: Header=BB334_291 Depth=1
	v_cmp_ne_u16_e32 vcc, s26, v6
	v_bfrev_b32_e32 v32, 1
	s_and_saveexec_b64 s[16:17], vcc
	s_cbranch_execz .LBB334_379
; %bb.376:                              ;   in Loop: Header=BB334_291 Depth=1
	v_and_b32_e32 v33, 0x7f, v6
	v_cmp_ne_u32_e32 vcc, s27, v33
	v_mov_b32_e32 v32, 0x7f800001
	s_and_saveexec_b64 s[18:19], vcc
	s_cbranch_execz .LBB334_378
; %bb.377:                              ;   in Loop: Header=BB334_291 Depth=1
	v_and_b32_e32 v32, 7, v6
	v_ffbh_u32_e32 v34, v32
	v_min_u32_e32 v40, 32, v34
	v_subrev_u32_e32 v34, 28, v40
	v_lshlrev_b64 v[34:35], v34, v[6:7]
	v_lshrrev_b32_e32 v36, 3, v33
	v_sub_u32_e32 v6, 29, v40
	v_and_b32_e32 v34, 7, v34
	v_cmp_gt_u32_e32 vcc, 8, v33
	v_cndmask_b32_e32 v6, v36, v6, vcc
	v_cndmask_b32_e32 v32, v32, v34, vcc
	v_lshlrev_b32_e32 v20, 16, v20
	v_lshlrev_b32_e32 v32, 20, v32
	v_and_b32_e32 v20, 0x80000000, v20
	v_lshl_add_u32 v6, v6, 23, v24
	v_or3_b32 v32, v20, v6, v32
.LBB334_378:                            ;   in Loop: Header=BB334_291 Depth=1
	s_or_b64 exec, exec, s[18:19]
.LBB334_379:                            ;   in Loop: Header=BB334_291 Depth=1
	s_or_b64 exec, exec, s[16:17]
.LBB334_380:                            ;   in Loop: Header=BB334_291 Depth=1
	s_or_b64 exec, exec, s[0:1]
	v_mul_f32_e32 v6, s29, v32
	v_and_b32_e32 v20, 0x7f800000, v6
	v_cmp_ne_u32_e32 vcc, s24, v20
                                        ; implicit-def: $vgpr20
	s_and_saveexec_b64 s[0:1], vcc
	s_xor_b64 s[0:1], exec, s[0:1]
; %bb.381:                              ;   in Loop: Header=BB334_291 Depth=1
	v_bfe_u32 v20, v6, 16, 1
	v_add3_u32 v20, v6, v20, s25
                                        ; implicit-def: $vgpr6
; %bb.382:                              ;   in Loop: Header=BB334_291 Depth=1
	s_andn2_saveexec_b64 s[0:1], s[0:1]
; %bb.383:                              ;   in Loop: Header=BB334_291 Depth=1
	v_or_b32_e32 v20, 0x10000, v6
	v_cmp_eq_u32_sdwa vcc, v6, v23 src0_sel:WORD_0 src1_sel:DWORD
	v_cndmask_b32_e32 v20, v20, v6, vcc
; %bb.384:                              ;   in Loop: Header=BB334_291 Depth=1
	s_or_b64 exec, exec, s[0:1]
	v_lshrrev_b32_e32 v6, 16, v5
	v_cmp_ne_u16_sdwa s[16:17], v6, v23 src0_sel:BYTE_0 src1_sel:DWORD
	v_mov_b32_e32 v32, 0
	s_and_saveexec_b64 s[0:1], s[16:17]
	s_cbranch_execz .LBB334_390
; %bb.385:                              ;   in Loop: Header=BB334_291 Depth=1
	v_cmp_ne_u16_sdwa s[18:19], v6, s26 src0_sel:BYTE_0 src1_sel:DWORD
	v_bfrev_b32_e32 v32, 1
	s_and_saveexec_b64 s[16:17], s[18:19]
	s_cbranch_execz .LBB334_389
; %bb.386:                              ;   in Loop: Header=BB334_291 Depth=1
	v_bfe_u32 v33, v5, 16, 7
	v_cmp_ne_u32_e32 vcc, s27, v33
	v_mov_b32_e32 v32, 0x7f800001
	s_and_saveexec_b64 s[18:19], vcc
	s_cbranch_execz .LBB334_388
; %bb.387:                              ;   in Loop: Header=BB334_291 Depth=1
	v_and_b32_e32 v32, 7, v6
	v_ffbh_u32_e32 v34, v32
	v_min_u32_e32 v40, 32, v34
	v_subrev_u32_e32 v34, 28, v40
	v_lshlrev_b64 v[34:35], v34, v[6:7]
	v_lshrrev_b32_e32 v36, 3, v33
	v_sub_u32_e32 v35, 29, v40
	v_and_b32_e32 v34, 7, v34
	v_cmp_gt_u32_e32 vcc, 8, v33
	v_cndmask_b32_e32 v33, v36, v35, vcc
	v_cndmask_b32_e32 v32, v32, v34, vcc
	v_lshlrev_b32_e32 v6, 24, v6
	v_lshlrev_b32_e32 v32, 20, v32
	v_and_b32_e32 v6, 0x80000000, v6
	v_lshl_add_u32 v33, v33, 23, v24
	v_or3_b32 v32, v6, v33, v32
.LBB334_388:                            ;   in Loop: Header=BB334_291 Depth=1
	s_or_b64 exec, exec, s[18:19]
.LBB334_389:                            ;   in Loop: Header=BB334_291 Depth=1
	s_or_b64 exec, exec, s[16:17]
.LBB334_390:                            ;   in Loop: Header=BB334_291 Depth=1
	s_or_b64 exec, exec, s[0:1]
	v_mul_f32_e32 v6, s29, v32
	v_and_b32_e32 v32, 0x7f800000, v6
	v_cmp_ne_u32_e32 vcc, s24, v32
                                        ; implicit-def: $vgpr32
	s_and_saveexec_b64 s[0:1], vcc
	s_xor_b64 s[0:1], exec, s[0:1]
; %bb.391:                              ;   in Loop: Header=BB334_291 Depth=1
	v_bfe_u32 v32, v6, 16, 1
	v_add3_u32 v32, v6, v32, s25
                                        ; implicit-def: $vgpr6
; %bb.392:                              ;   in Loop: Header=BB334_291 Depth=1
	s_andn2_saveexec_b64 s[0:1], s[0:1]
; %bb.393:                              ;   in Loop: Header=BB334_291 Depth=1
	v_or_b32_e32 v32, 0x10000, v6
	v_cmp_eq_u32_sdwa vcc, v6, v23 src0_sel:WORD_0 src1_sel:DWORD
	v_cndmask_b32_e32 v32, v32, v6, vcc
; %bb.394:                              ;   in Loop: Header=BB334_291 Depth=1
	s_or_b64 exec, exec, s[0:1]
	v_cmp_lt_u64_e32 vcc, s[6:7], v[4:5]
	v_mov_b32_e32 v6, 0
	s_and_saveexec_b64 s[0:1], vcc
	s_cbranch_execz .LBB334_400
; %bb.395:                              ;   in Loop: Header=BB334_291 Depth=1
	v_lshrrev_b32_e32 v4, 24, v5
	v_cmp_ne_u32_e32 vcc, s26, v4
	v_bfrev_b32_e32 v6, 1
	s_and_saveexec_b64 s[16:17], vcc
	s_cbranch_execz .LBB334_399
; %bb.396:                              ;   in Loop: Header=BB334_291 Depth=1
	v_bfe_u32 v5, v5, 24, 7
	v_cmp_ne_u32_e32 vcc, s27, v5
	v_mov_b32_e32 v6, 0x7f800001
	s_and_saveexec_b64 s[18:19], vcc
	s_cbranch_execz .LBB334_398
; %bb.397:                              ;   in Loop: Header=BB334_291 Depth=1
	v_and_b32_e32 v6, 7, v4
	v_ffbh_u32_e32 v34, v6
	v_min_u32_e32 v36, 32, v34
	v_subrev_u32_e32 v34, 28, v36
	v_lshlrev_b64 v[34:35], v34, v[4:5]
	v_lshrrev_b32_e32 v33, 3, v5
	v_sub_u32_e32 v35, 29, v36
	v_and_b32_e32 v34, 7, v34
	v_cmp_gt_u32_e32 vcc, 8, v5
	v_cndmask_b32_e32 v5, v33, v35, vcc
	v_cndmask_b32_e32 v6, v6, v34, vcc
	v_lshlrev_b32_e32 v4, 24, v4
	v_lshlrev_b32_e32 v6, 20, v6
	v_and_b32_e32 v4, 0x80000000, v4
	v_lshl_add_u32 v5, v5, 23, v24
	v_or3_b32 v6, v4, v5, v6
.LBB334_398:                            ;   in Loop: Header=BB334_291 Depth=1
	s_or_b64 exec, exec, s[18:19]
.LBB334_399:                            ;   in Loop: Header=BB334_291 Depth=1
	s_or_b64 exec, exec, s[16:17]
.LBB334_400:                            ;   in Loop: Header=BB334_291 Depth=1
	s_or_b64 exec, exec, s[0:1]
	v_mul_f32_e32 v5, s29, v6
	v_and_b32_e32 v4, 0x7f800000, v5
	v_cmp_ne_u32_e32 vcc, s24, v4
                                        ; implicit-def: $vgpr4
	s_and_saveexec_b64 s[0:1], vcc
	s_xor_b64 s[0:1], exec, s[0:1]
; %bb.401:                              ;   in Loop: Header=BB334_291 Depth=1
	v_bfe_u32 v4, v5, 16, 1
	v_add3_u32 v4, v5, v4, s25
                                        ; implicit-def: $vgpr5
; %bb.402:                              ;   in Loop: Header=BB334_291 Depth=1
	s_andn2_saveexec_b64 s[0:1], s[0:1]
; %bb.403:                              ;   in Loop: Header=BB334_291 Depth=1
	v_or_b32_e32 v4, 0x10000, v5
	v_cmp_eq_u32_sdwa vcc, v5, v23 src0_sel:WORD_0 src1_sel:DWORD
	v_cndmask_b32_e32 v4, v4, v5, vcc
; %bb.404:                              ;   in Loop: Header=BB334_291 Depth=1
	s_or_b64 exec, exec, s[0:1]
	v_cmp_eq_u32_e32 vcc, s23, v14
	v_lshrrev_b32_e32 v6, 16, v20
	v_lshrrev_b32_e32 v20, 16, v31
	;; [unrolled: 1-line block ×8, first 2 shown]
	v_add_u32_e32 v36, 1, v1
	v_add_u32_e32 v35, 2, v1
	;; [unrolled: 1-line block ×7, first 2 shown]
	s_and_saveexec_b64 s[16:17], vcc
	s_cbranch_execz .LBB334_406
; %bb.405:                              ;   in Loop: Header=BB334_291 Depth=1
	v_cmp_gt_i32_e64 s[0:1], s39, v1
	v_cndmask_b32_e64 v7, 0, v7, s[0:1]
	v_cmp_gt_i32_e64 s[0:1], s39, v36
	v_cndmask_b32_e64 v8, 0, v8, s[0:1]
	;; [unrolled: 2-line block ×8, first 2 shown]
.LBB334_406:                            ;   in Loop: Header=BB334_291 Depth=1
	s_or_b64 exec, exec, s[16:17]
	v_and_b32_e32 v37, 0xffff0000, v37
	v_lshlrev_b32_e32 v7, 16, v7
	v_mul_f32_e32 v40, v37, v7
	v_and_b32_e32 v7, 0x7f800000, v40
	v_cmp_ne_u32_e64 s[0:1], s24, v7
                                        ; implicit-def: $vgpr7
	s_and_saveexec_b64 s[16:17], s[0:1]
	s_xor_b64 s[0:1], exec, s[16:17]
; %bb.407:                              ;   in Loop: Header=BB334_291 Depth=1
	v_bfe_u32 v7, v40, 16, 1
	v_add3_u32 v7, v40, v7, s25
                                        ; implicit-def: $vgpr40
; %bb.408:                              ;   in Loop: Header=BB334_291 Depth=1
	s_andn2_saveexec_b64 s[16:17], s[0:1]
; %bb.409:                              ;   in Loop: Header=BB334_291 Depth=1
	v_or_b32_e32 v7, 0x10000, v40
	v_cmp_eq_u32_sdwa s[0:1], v40, v23 src0_sel:WORD_0 src1_sel:DWORD
	v_cndmask_b32_e64 v7, v7, v40, s[0:1]
; %bb.410:                              ;   in Loop: Header=BB334_291 Depth=1
	s_or_b64 exec, exec, s[16:17]
	v_and_b32_e32 v38, 0xffff0000, v38
	v_lshlrev_b32_e32 v8, 16, v8
	v_mul_f32_e32 v40, v38, v8
	v_and_b32_e32 v8, 0x7f800000, v40
	v_cmp_ne_u32_e64 s[0:1], s24, v8
                                        ; implicit-def: $vgpr8
	s_and_saveexec_b64 s[16:17], s[0:1]
	s_xor_b64 s[0:1], exec, s[16:17]
; %bb.411:                              ;   in Loop: Header=BB334_291 Depth=1
	v_bfe_u32 v8, v40, 16, 1
	v_add3_u32 v8, v40, v8, s25
                                        ; implicit-def: $vgpr40
; %bb.412:                              ;   in Loop: Header=BB334_291 Depth=1
	s_andn2_saveexec_b64 s[16:17], s[0:1]
; %bb.413:                              ;   in Loop: Header=BB334_291 Depth=1
	v_or_b32_e32 v8, 0x10000, v40
	v_cmp_eq_u32_sdwa s[0:1], v40, v23 src0_sel:WORD_0 src1_sel:DWORD
	v_cndmask_b32_e64 v8, v8, v40, s[0:1]
; %bb.414:                              ;   in Loop: Header=BB334_291 Depth=1
	s_or_b64 exec, exec, s[16:17]
	v_and_b32_e32 v39, 0xffff0000, v39
	v_lshlrev_b32_e32 v9, 16, v9
	v_mul_f32_e32 v40, v39, v9
	v_and_b32_e32 v9, 0x7f800000, v40
	v_cmp_ne_u32_e64 s[0:1], s24, v9
                                        ; implicit-def: $vgpr9
	s_and_saveexec_b64 s[16:17], s[0:1]
	s_xor_b64 s[0:1], exec, s[16:17]
; %bb.415:                              ;   in Loop: Header=BB334_291 Depth=1
	v_bfe_u32 v9, v40, 16, 1
	v_add3_u32 v9, v40, v9, s25
                                        ; implicit-def: $vgpr40
; %bb.416:                              ;   in Loop: Header=BB334_291 Depth=1
	s_andn2_saveexec_b64 s[16:17], s[0:1]
; %bb.417:                              ;   in Loop: Header=BB334_291 Depth=1
	v_or_b32_e32 v9, 0x10000, v40
	v_cmp_eq_u32_sdwa s[0:1], v40, v23 src0_sel:WORD_0 src1_sel:DWORD
	v_cndmask_b32_e64 v9, v9, v40, s[0:1]
; %bb.418:                              ;   in Loop: Header=BB334_291 Depth=1
	s_or_b64 exec, exec, s[16:17]
	v_and_b32_e32 v40, 0xffff0000, v25
	v_lshlrev_b32_e32 v25, 16, v41
	v_mul_f32_e32 v41, v40, v25
	v_and_b32_e32 v25, 0x7f800000, v41
	v_cmp_ne_u32_e64 s[0:1], s24, v25
                                        ; implicit-def: $vgpr25
	s_and_saveexec_b64 s[16:17], s[0:1]
	s_xor_b64 s[0:1], exec, s[16:17]
; %bb.419:                              ;   in Loop: Header=BB334_291 Depth=1
	v_bfe_u32 v25, v41, 16, 1
	v_add3_u32 v25, v41, v25, s25
                                        ; implicit-def: $vgpr41
; %bb.420:                              ;   in Loop: Header=BB334_291 Depth=1
	s_andn2_saveexec_b64 s[16:17], s[0:1]
; %bb.421:                              ;   in Loop: Header=BB334_291 Depth=1
	v_or_b32_e32 v25, 0x10000, v41
	v_cmp_eq_u32_sdwa s[0:1], v41, v23 src0_sel:WORD_0 src1_sel:DWORD
	v_cndmask_b32_e64 v25, v25, v41, s[0:1]
; %bb.422:                              ;   in Loop: Header=BB334_291 Depth=1
	s_or_b64 exec, exec, s[16:17]
	v_and_b32_e32 v41, 0xffff0000, v26
	v_lshlrev_b32_e32 v20, 16, v20
	v_mul_f32_e32 v20, v41, v20
	v_and_b32_e32 v26, 0x7f800000, v20
	v_cmp_ne_u32_e64 s[0:1], s24, v26
                                        ; implicit-def: $vgpr26
	s_and_saveexec_b64 s[16:17], s[0:1]
	s_xor_b64 s[0:1], exec, s[16:17]
; %bb.423:                              ;   in Loop: Header=BB334_291 Depth=1
	v_bfe_u32 v26, v20, 16, 1
	v_add3_u32 v26, v20, v26, s25
                                        ; implicit-def: $vgpr20
; %bb.424:                              ;   in Loop: Header=BB334_291 Depth=1
	s_andn2_saveexec_b64 s[16:17], s[0:1]
; %bb.425:                              ;   in Loop: Header=BB334_291 Depth=1
	v_or_b32_e32 v26, 0x10000, v20
	v_cmp_eq_u32_sdwa s[0:1], v20, v23 src0_sel:WORD_0 src1_sel:DWORD
	v_cndmask_b32_e64 v26, v26, v20, s[0:1]
; %bb.426:                              ;   in Loop: Header=BB334_291 Depth=1
	s_or_b64 exec, exec, s[16:17]
	v_and_b32_e32 v42, 0xffff0000, v27
	v_lshlrev_b32_e32 v6, 16, v6
	v_mul_f32_e32 v6, v42, v6
	v_and_b32_e32 v20, 0x7f800000, v6
	v_cmp_ne_u32_e64 s[0:1], s24, v20
                                        ; implicit-def: $vgpr27
	s_and_saveexec_b64 s[16:17], s[0:1]
	s_xor_b64 s[0:1], exec, s[16:17]
; %bb.427:                              ;   in Loop: Header=BB334_291 Depth=1
	v_bfe_u32 v20, v6, 16, 1
	v_add3_u32 v27, v6, v20, s25
                                        ; implicit-def: $vgpr6
; %bb.428:                              ;   in Loop: Header=BB334_291 Depth=1
	s_andn2_saveexec_b64 s[16:17], s[0:1]
; %bb.429:                              ;   in Loop: Header=BB334_291 Depth=1
	v_or_b32_e32 v20, 0x10000, v6
	v_cmp_eq_u32_sdwa s[0:1], v6, v23 src0_sel:WORD_0 src1_sel:DWORD
	v_cndmask_b32_e64 v27, v20, v6, s[0:1]
; %bb.430:                              ;   in Loop: Header=BB334_291 Depth=1
	s_or_b64 exec, exec, s[16:17]
	v_and_b32_e32 v43, 0xffff0000, v28
	v_lshlrev_b32_e32 v5, 16, v5
	v_mul_f32_e32 v5, v43, v5
	v_and_b32_e32 v6, 0x7f800000, v5
	v_cmp_ne_u32_e64 s[0:1], s24, v6
                                        ; implicit-def: $vgpr28
	s_and_saveexec_b64 s[16:17], s[0:1]
	s_xor_b64 s[0:1], exec, s[16:17]
; %bb.431:                              ;   in Loop: Header=BB334_291 Depth=1
	v_bfe_u32 v6, v5, 16, 1
	v_add3_u32 v28, v5, v6, s25
                                        ; implicit-def: $vgpr5
; %bb.432:                              ;   in Loop: Header=BB334_291 Depth=1
	s_andn2_saveexec_b64 s[16:17], s[0:1]
; %bb.433:                              ;   in Loop: Header=BB334_291 Depth=1
	v_or_b32_e32 v6, 0x10000, v5
	v_cmp_eq_u32_sdwa s[0:1], v5, v23 src0_sel:WORD_0 src1_sel:DWORD
	v_cndmask_b32_e64 v28, v6, v5, s[0:1]
; %bb.434:                              ;   in Loop: Header=BB334_291 Depth=1
	s_or_b64 exec, exec, s[16:17]
	v_and_b32_e32 v44, 0xffff0000, v29
	v_lshlrev_b32_e32 v4, 16, v4
	v_mul_f32_e32 v4, v44, v4
	v_and_b32_e32 v5, 0x7f800000, v4
	v_cmp_ne_u32_e64 s[0:1], s24, v5
                                        ; implicit-def: $vgpr29
	s_and_saveexec_b64 s[16:17], s[0:1]
	s_xor_b64 s[0:1], exec, s[16:17]
; %bb.435:                              ;   in Loop: Header=BB334_291 Depth=1
	v_bfe_u32 v5, v4, 16, 1
	v_add3_u32 v29, v4, v5, s25
                                        ; implicit-def: $vgpr4
; %bb.436:                              ;   in Loop: Header=BB334_291 Depth=1
	s_andn2_saveexec_b64 s[16:17], s[0:1]
; %bb.437:                              ;   in Loop: Header=BB334_291 Depth=1
	v_or_b32_e32 v5, 0x10000, v4
	v_cmp_eq_u32_sdwa s[0:1], v4, v23 src0_sel:WORD_0 src1_sel:DWORD
	v_cndmask_b32_e64 v29, v5, v4, s[0:1]
; %bb.438:                              ;   in Loop: Header=BB334_291 Depth=1
	s_or_b64 exec, exec, s[16:17]
	global_load_dwordx2 v[4:5], v[2:3], off offset:512
	v_mov_b32_e32 v6, 0
	s_waitcnt vmcnt(0)
	v_cmp_ne_u16_sdwa s[0:1], v4, v23 src0_sel:BYTE_0 src1_sel:DWORD
	s_and_saveexec_b64 s[16:17], s[0:1]
	s_cbranch_execz .LBB334_444
; %bb.439:                              ;   in Loop: Header=BB334_291 Depth=1
	v_cmp_ne_u16_sdwa s[0:1], v4, s26 src0_sel:BYTE_0 src1_sel:DWORD
	v_bfrev_b32_e32 v6, 1
	s_and_saveexec_b64 s[18:19], s[0:1]
	s_cbranch_execz .LBB334_443
; %bb.440:                              ;   in Loop: Header=BB334_291 Depth=1
	v_and_b32_e32 v20, 0x7f, v4
	v_cmp_ne_u32_e64 s[0:1], s27, v20
	v_mov_b32_e32 v6, 0x7f800001
	s_and_saveexec_b64 s[20:21], s[0:1]
	s_cbranch_execz .LBB334_442
; %bb.441:                              ;   in Loop: Header=BB334_291 Depth=1
	v_and_b32_e32 v6, 7, v4
	v_ffbh_u32_e32 v6, v6
	v_min_u32_e32 v6, 32, v6
	v_subrev_u32_e32 v46, 28, v6
	v_cmp_gt_u32_e64 s[0:1], 8, v20
	v_lshrrev_b32_e32 v45, 3, v20
	v_cndmask_b32_e64 v20, 0, v46, s[0:1]
	v_sub_u32_e32 v6, 29, v6
	v_lshlrev_b64 v[46:47], v20, v[4:5]
	v_cndmask_b32_e64 v6, v45, v6, s[0:1]
	v_lshlrev_b32_e32 v20, 20, v46
	v_lshlrev_b32_e32 v45, 24, v4
	v_and_b32_e32 v20, 0x700000, v20
	v_and_b32_e32 v45, 0x80000000, v45
	v_lshl_add_u32 v6, v6, 23, v24
	v_or3_b32 v6, v45, v6, v20
.LBB334_442:                            ;   in Loop: Header=BB334_291 Depth=1
	s_or_b64 exec, exec, s[20:21]
.LBB334_443:                            ;   in Loop: Header=BB334_291 Depth=1
	s_or_b64 exec, exec, s[18:19]
.LBB334_444:                            ;   in Loop: Header=BB334_291 Depth=1
	s_or_b64 exec, exec, s[16:17]
	v_mul_f32_e32 v6, s29, v6
	v_and_b32_e32 v20, 0x7f800000, v6
	v_cmp_ne_u32_e64 s[0:1], s24, v20
                                        ; implicit-def: $vgpr45
	s_and_saveexec_b64 s[16:17], s[0:1]
	s_xor_b64 s[0:1], exec, s[16:17]
; %bb.445:                              ;   in Loop: Header=BB334_291 Depth=1
	v_bfe_u32 v20, v6, 16, 1
	v_add3_u32 v45, v6, v20, s25
                                        ; implicit-def: $vgpr6
; %bb.446:                              ;   in Loop: Header=BB334_291 Depth=1
	s_andn2_saveexec_b64 s[16:17], s[0:1]
; %bb.447:                              ;   in Loop: Header=BB334_291 Depth=1
	v_or_b32_e32 v20, 0x10000, v6
	v_cmp_eq_u32_sdwa s[0:1], v6, v23 src0_sel:WORD_0 src1_sel:DWORD
	v_cndmask_b32_e64 v45, v20, v6, s[0:1]
; %bb.448:                              ;   in Loop: Header=BB334_291 Depth=1
	s_or_b64 exec, exec, s[16:17]
	v_lshrrev_b16_e32 v6, 8, v4
	v_cmp_ne_u16_e64 s[0:1], 0, v6
	v_mov_b32_e32 v20, 0
	s_and_saveexec_b64 s[16:17], s[0:1]
	s_cbranch_execz .LBB334_454
; %bb.449:                              ;   in Loop: Header=BB334_291 Depth=1
	v_cmp_ne_u16_e64 s[0:1], s26, v6
	v_bfrev_b32_e32 v20, 1
	s_and_saveexec_b64 s[18:19], s[0:1]
	s_cbranch_execz .LBB334_453
; %bb.450:                              ;   in Loop: Header=BB334_291 Depth=1
	v_and_b32_e32 v46, 0x7f, v6
	v_cmp_ne_u32_e64 s[0:1], s27, v46
	v_mov_b32_e32 v20, 0x7f800001
	s_and_saveexec_b64 s[20:21], s[0:1]
	s_cbranch_execz .LBB334_452
; %bb.451:                              ;   in Loop: Header=BB334_291 Depth=1
	v_and_b32_e32 v20, 7, v6
	v_ffbh_u32_e32 v48, v20
	v_min_u32_e32 v50, 32, v48
	v_subrev_u32_e32 v48, 28, v50
	v_lshlrev_b64 v[48:49], v48, v[6:7]
	v_lshrrev_b32_e32 v47, 3, v46
	v_sub_u32_e32 v6, 29, v50
	v_and_b32_e32 v48, 7, v48
	v_cmp_gt_u32_e64 s[0:1], 8, v46
	v_cndmask_b32_e64 v6, v47, v6, s[0:1]
	v_cndmask_b32_e64 v20, v20, v48, s[0:1]
	v_lshlrev_b32_e32 v46, 16, v4
	v_lshlrev_b32_e32 v20, 20, v20
	v_and_b32_e32 v46, 0x80000000, v46
	v_lshl_add_u32 v6, v6, 23, v24
	v_or3_b32 v20, v46, v6, v20
.LBB334_452:                            ;   in Loop: Header=BB334_291 Depth=1
	s_or_b64 exec, exec, s[20:21]
.LBB334_453:                            ;   in Loop: Header=BB334_291 Depth=1
	s_or_b64 exec, exec, s[18:19]
.LBB334_454:                            ;   in Loop: Header=BB334_291 Depth=1
	s_or_b64 exec, exec, s[16:17]
	v_mul_f32_e32 v6, s29, v20
	v_and_b32_e32 v20, 0x7f800000, v6
	v_cmp_ne_u32_e64 s[0:1], s24, v20
                                        ; implicit-def: $vgpr46
	s_and_saveexec_b64 s[16:17], s[0:1]
	s_xor_b64 s[0:1], exec, s[16:17]
; %bb.455:                              ;   in Loop: Header=BB334_291 Depth=1
	v_bfe_u32 v20, v6, 16, 1
	v_add3_u32 v46, v6, v20, s25
                                        ; implicit-def: $vgpr6
; %bb.456:                              ;   in Loop: Header=BB334_291 Depth=1
	s_andn2_saveexec_b64 s[16:17], s[0:1]
; %bb.457:                              ;   in Loop: Header=BB334_291 Depth=1
	v_or_b32_e32 v20, 0x10000, v6
	v_cmp_eq_u32_sdwa s[0:1], v6, v23 src0_sel:WORD_0 src1_sel:DWORD
	v_cndmask_b32_e64 v46, v20, v6, s[0:1]
; %bb.458:                              ;   in Loop: Header=BB334_291 Depth=1
	s_or_b64 exec, exec, s[16:17]
	v_lshrrev_b32_e32 v6, 16, v4
	v_cmp_ne_u16_sdwa s[0:1], v6, v23 src0_sel:BYTE_0 src1_sel:DWORD
	v_mov_b32_e32 v20, 0
	s_and_saveexec_b64 s[16:17], s[0:1]
	s_cbranch_execz .LBB334_464
; %bb.459:                              ;   in Loop: Header=BB334_291 Depth=1
	v_cmp_ne_u16_sdwa s[0:1], v6, s26 src0_sel:BYTE_0 src1_sel:DWORD
	v_bfrev_b32_e32 v20, 1
	s_and_saveexec_b64 s[18:19], s[0:1]
	s_cbranch_execz .LBB334_463
; %bb.460:                              ;   in Loop: Header=BB334_291 Depth=1
	v_bfe_u32 v47, v4, 16, 7
	v_cmp_ne_u32_e64 s[0:1], s27, v47
	v_mov_b32_e32 v20, 0x7f800001
	s_and_saveexec_b64 s[20:21], s[0:1]
	s_cbranch_execz .LBB334_462
; %bb.461:                              ;   in Loop: Header=BB334_291 Depth=1
	v_and_b32_e32 v20, 7, v6
	v_ffbh_u32_e32 v48, v20
	v_min_u32_e32 v51, 32, v48
	v_subrev_u32_e32 v48, 28, v51
	v_lshlrev_b64 v[48:49], v48, v[6:7]
	v_lshrrev_b32_e32 v50, 3, v47
	v_sub_u32_e32 v49, 29, v51
	v_and_b32_e32 v48, 7, v48
	v_cmp_gt_u32_e64 s[0:1], 8, v47
	v_cndmask_b32_e64 v47, v50, v49, s[0:1]
	v_cndmask_b32_e64 v20, v20, v48, s[0:1]
	v_lshlrev_b32_e32 v6, 24, v6
	v_lshlrev_b32_e32 v20, 20, v20
	v_and_b32_e32 v6, 0x80000000, v6
	v_lshl_add_u32 v47, v47, 23, v24
	v_or3_b32 v20, v6, v47, v20
.LBB334_462:                            ;   in Loop: Header=BB334_291 Depth=1
	s_or_b64 exec, exec, s[20:21]
.LBB334_463:                            ;   in Loop: Header=BB334_291 Depth=1
	s_or_b64 exec, exec, s[18:19]
.LBB334_464:                            ;   in Loop: Header=BB334_291 Depth=1
	s_or_b64 exec, exec, s[16:17]
	v_mul_f32_e32 v6, s29, v20
	v_and_b32_e32 v20, 0x7f800000, v6
	v_cmp_ne_u32_e64 s[0:1], s24, v20
                                        ; implicit-def: $vgpr47
	s_and_saveexec_b64 s[16:17], s[0:1]
	s_xor_b64 s[0:1], exec, s[16:17]
; %bb.465:                              ;   in Loop: Header=BB334_291 Depth=1
	v_bfe_u32 v20, v6, 16, 1
	v_add3_u32 v47, v6, v20, s25
                                        ; implicit-def: $vgpr6
; %bb.466:                              ;   in Loop: Header=BB334_291 Depth=1
	s_andn2_saveexec_b64 s[16:17], s[0:1]
; %bb.467:                              ;   in Loop: Header=BB334_291 Depth=1
	v_or_b32_e32 v20, 0x10000, v6
	v_cmp_eq_u32_sdwa s[0:1], v6, v23 src0_sel:WORD_0 src1_sel:DWORD
	v_cndmask_b32_e64 v47, v20, v6, s[0:1]
; %bb.468:                              ;   in Loop: Header=BB334_291 Depth=1
	s_or_b64 exec, exec, s[16:17]
	v_cmp_lt_u32_e64 s[0:1], s7, v4
	v_mov_b32_e32 v20, 0
	s_and_saveexec_b64 s[16:17], s[0:1]
	s_cbranch_execz .LBB334_474
; %bb.469:                              ;   in Loop: Header=BB334_291 Depth=1
	v_lshrrev_b32_e32 v6, 24, v4
	v_cmp_ne_u32_e64 s[0:1], s26, v6
	v_bfrev_b32_e32 v20, 1
	s_and_saveexec_b64 s[18:19], s[0:1]
	s_cbranch_execz .LBB334_473
; %bb.470:                              ;   in Loop: Header=BB334_291 Depth=1
	v_bfe_u32 v48, v4, 24, 7
	v_cmp_ne_u32_e64 s[0:1], s27, v48
	v_mov_b32_e32 v20, 0x7f800001
	s_and_saveexec_b64 s[20:21], s[0:1]
	s_cbranch_execz .LBB334_472
; %bb.471:                              ;   in Loop: Header=BB334_291 Depth=1
	v_and_b32_e32 v20, 7, v6
	v_ffbh_u32_e32 v50, v20
	v_min_u32_e32 v52, 32, v50
	v_subrev_u32_e32 v50, 28, v52
	v_lshlrev_b64 v[50:51], v50, v[6:7]
	v_lshrrev_b32_e32 v49, 3, v48
	v_sub_u32_e32 v51, 29, v52
	v_and_b32_e32 v50, 7, v50
	v_cmp_gt_u32_e64 s[0:1], 8, v48
	v_cndmask_b32_e64 v48, v49, v51, s[0:1]
	v_cndmask_b32_e64 v20, v20, v50, s[0:1]
	v_lshlrev_b32_e32 v6, 24, v6
	v_lshlrev_b32_e32 v20, 20, v20
	v_and_b32_e32 v6, 0x80000000, v6
	v_lshl_add_u32 v48, v48, 23, v24
	v_or3_b32 v20, v6, v48, v20
.LBB334_472:                            ;   in Loop: Header=BB334_291 Depth=1
	s_or_b64 exec, exec, s[20:21]
.LBB334_473:                            ;   in Loop: Header=BB334_291 Depth=1
	s_or_b64 exec, exec, s[18:19]
.LBB334_474:                            ;   in Loop: Header=BB334_291 Depth=1
	s_or_b64 exec, exec, s[16:17]
	v_mul_f32_e32 v6, s29, v20
	v_and_b32_e32 v20, 0x7f800000, v6
	v_cmp_ne_u32_e64 s[0:1], s24, v20
                                        ; implicit-def: $vgpr48
	s_and_saveexec_b64 s[16:17], s[0:1]
	s_xor_b64 s[0:1], exec, s[16:17]
; %bb.475:                              ;   in Loop: Header=BB334_291 Depth=1
	v_bfe_u32 v20, v6, 16, 1
	v_add3_u32 v48, v6, v20, s25
                                        ; implicit-def: $vgpr6
; %bb.476:                              ;   in Loop: Header=BB334_291 Depth=1
	s_andn2_saveexec_b64 s[16:17], s[0:1]
; %bb.477:                              ;   in Loop: Header=BB334_291 Depth=1
	v_or_b32_e32 v20, 0x10000, v6
	v_cmp_eq_u32_sdwa s[0:1], v6, v23 src0_sel:WORD_0 src1_sel:DWORD
	v_cndmask_b32_e64 v48, v20, v6, s[0:1]
; %bb.478:                              ;   in Loop: Header=BB334_291 Depth=1
	s_or_b64 exec, exec, s[16:17]
	v_mov_b32_e32 v20, v5
	v_cmp_ne_u16_sdwa s[0:1], v5, v23 src0_sel:BYTE_0 src1_sel:DWORD
	v_mov_b32_e32 v6, 0
	s_and_saveexec_b64 s[16:17], s[0:1]
	s_cbranch_execz .LBB334_484
; %bb.479:                              ;   in Loop: Header=BB334_291 Depth=1
	v_cmp_ne_u16_sdwa s[0:1], v5, s26 src0_sel:BYTE_0 src1_sel:DWORD
	v_bfrev_b32_e32 v6, 1
	s_and_saveexec_b64 s[18:19], s[0:1]
	s_cbranch_execz .LBB334_483
; %bb.480:                              ;   in Loop: Header=BB334_291 Depth=1
	v_and_b32_e32 v49, 0x7f, v5
	v_cmp_ne_u32_e64 s[0:1], s27, v49
	v_mov_b32_e32 v6, 0x7f800001
	s_and_saveexec_b64 s[20:21], s[0:1]
	s_cbranch_execz .LBB334_482
; %bb.481:                              ;   in Loop: Header=BB334_291 Depth=1
	v_and_b32_e32 v6, 7, v5
	v_ffbh_u32_e32 v6, v6
	v_min_u32_e32 v6, 32, v6
	v_subrev_u32_e32 v51, 28, v6
	v_cmp_gt_u32_e64 s[0:1], 8, v49
	v_lshrrev_b32_e32 v50, 3, v49
	v_sub_u32_e32 v6, 29, v6
	v_cndmask_b32_e64 v49, 0, v51, s[0:1]
	v_cndmask_b32_e64 v6, v50, v6, s[0:1]
	v_lshlrev_b64 v[50:51], v49, v[20:21]
	v_lshlrev_b32_e32 v49, 20, v50
	v_lshlrev_b32_e32 v50, 24, v20
	v_and_b32_e32 v49, 0x700000, v49
	v_and_b32_e32 v50, 0x80000000, v50
	v_lshl_add_u32 v6, v6, 23, v24
	v_or3_b32 v6, v50, v6, v49
.LBB334_482:                            ;   in Loop: Header=BB334_291 Depth=1
	s_or_b64 exec, exec, s[20:21]
.LBB334_483:                            ;   in Loop: Header=BB334_291 Depth=1
	s_or_b64 exec, exec, s[18:19]
.LBB334_484:                            ;   in Loop: Header=BB334_291 Depth=1
	s_or_b64 exec, exec, s[16:17]
	v_mul_f32_e32 v6, s29, v6
	v_and_b32_e32 v49, 0x7f800000, v6
	v_cmp_ne_u32_e64 s[0:1], s24, v49
                                        ; implicit-def: $vgpr49
	s_and_saveexec_b64 s[16:17], s[0:1]
	s_xor_b64 s[0:1], exec, s[16:17]
; %bb.485:                              ;   in Loop: Header=BB334_291 Depth=1
	v_bfe_u32 v49, v6, 16, 1
	v_add3_u32 v49, v6, v49, s25
                                        ; implicit-def: $vgpr6
; %bb.486:                              ;   in Loop: Header=BB334_291 Depth=1
	s_andn2_saveexec_b64 s[16:17], s[0:1]
; %bb.487:                              ;   in Loop: Header=BB334_291 Depth=1
	v_or_b32_e32 v49, 0x10000, v6
	v_cmp_eq_u32_sdwa s[0:1], v6, v23 src0_sel:WORD_0 src1_sel:DWORD
	v_cndmask_b32_e64 v49, v49, v6, s[0:1]
; %bb.488:                              ;   in Loop: Header=BB334_291 Depth=1
	s_or_b64 exec, exec, s[16:17]
	v_lshrrev_b16_e32 v6, 8, v20
	v_cmp_ne_u16_e64 s[0:1], 0, v6
	v_mov_b32_e32 v50, 0
	s_and_saveexec_b64 s[16:17], s[0:1]
	s_cbranch_execz .LBB334_494
; %bb.489:                              ;   in Loop: Header=BB334_291 Depth=1
	v_cmp_ne_u16_e64 s[0:1], s26, v6
	v_bfrev_b32_e32 v50, 1
	s_and_saveexec_b64 s[18:19], s[0:1]
	s_cbranch_execz .LBB334_493
; %bb.490:                              ;   in Loop: Header=BB334_291 Depth=1
	v_and_b32_e32 v51, 0x7f, v6
	v_cmp_ne_u32_e64 s[0:1], s27, v51
	v_mov_b32_e32 v50, 0x7f800001
	s_and_saveexec_b64 s[20:21], s[0:1]
	s_cbranch_execz .LBB334_492
; %bb.491:                              ;   in Loop: Header=BB334_291 Depth=1
	v_and_b32_e32 v50, 7, v6
	v_ffbh_u32_e32 v52, v50
	v_min_u32_e32 v55, 32, v52
	v_subrev_u32_e32 v52, 28, v55
	v_lshlrev_b64 v[52:53], v52, v[6:7]
	v_lshrrev_b32_e32 v54, 3, v51
	v_sub_u32_e32 v6, 29, v55
	v_and_b32_e32 v52, 7, v52
	v_cmp_gt_u32_e64 s[0:1], 8, v51
	v_cndmask_b32_e64 v6, v54, v6, s[0:1]
	v_cndmask_b32_e64 v50, v50, v52, s[0:1]
	v_lshlrev_b32_e32 v20, 16, v20
	v_lshlrev_b32_e32 v50, 20, v50
	v_and_b32_e32 v20, 0x80000000, v20
	v_lshl_add_u32 v6, v6, 23, v24
	v_or3_b32 v50, v20, v6, v50
.LBB334_492:                            ;   in Loop: Header=BB334_291 Depth=1
	s_or_b64 exec, exec, s[20:21]
.LBB334_493:                            ;   in Loop: Header=BB334_291 Depth=1
	s_or_b64 exec, exec, s[18:19]
.LBB334_494:                            ;   in Loop: Header=BB334_291 Depth=1
	s_or_b64 exec, exec, s[16:17]
	v_mul_f32_e32 v6, s29, v50
	v_and_b32_e32 v20, 0x7f800000, v6
	v_cmp_ne_u32_e64 s[0:1], s24, v20
                                        ; implicit-def: $vgpr20
	s_and_saveexec_b64 s[16:17], s[0:1]
	s_xor_b64 s[0:1], exec, s[16:17]
; %bb.495:                              ;   in Loop: Header=BB334_291 Depth=1
	v_bfe_u32 v20, v6, 16, 1
	v_add3_u32 v20, v6, v20, s25
                                        ; implicit-def: $vgpr6
; %bb.496:                              ;   in Loop: Header=BB334_291 Depth=1
	s_andn2_saveexec_b64 s[16:17], s[0:1]
; %bb.497:                              ;   in Loop: Header=BB334_291 Depth=1
	v_or_b32_e32 v20, 0x10000, v6
	v_cmp_eq_u32_sdwa s[0:1], v6, v23 src0_sel:WORD_0 src1_sel:DWORD
	v_cndmask_b32_e64 v20, v20, v6, s[0:1]
; %bb.498:                              ;   in Loop: Header=BB334_291 Depth=1
	s_or_b64 exec, exec, s[16:17]
	v_lshrrev_b32_e32 v6, 16, v5
	v_cmp_ne_u16_sdwa s[0:1], v6, v23 src0_sel:BYTE_0 src1_sel:DWORD
	v_mov_b32_e32 v50, 0
	s_and_saveexec_b64 s[16:17], s[0:1]
	s_cbranch_execz .LBB334_504
; %bb.499:                              ;   in Loop: Header=BB334_291 Depth=1
	v_cmp_ne_u16_sdwa s[0:1], v6, s26 src0_sel:BYTE_0 src1_sel:DWORD
	v_bfrev_b32_e32 v50, 1
	s_and_saveexec_b64 s[18:19], s[0:1]
	s_cbranch_execz .LBB334_503
; %bb.500:                              ;   in Loop: Header=BB334_291 Depth=1
	v_bfe_u32 v51, v5, 16, 7
	v_cmp_ne_u32_e64 s[0:1], s27, v51
	v_mov_b32_e32 v50, 0x7f800001
	s_and_saveexec_b64 s[20:21], s[0:1]
	s_cbranch_execz .LBB334_502
; %bb.501:                              ;   in Loop: Header=BB334_291 Depth=1
	v_and_b32_e32 v50, 7, v6
	v_ffbh_u32_e32 v52, v50
	v_min_u32_e32 v55, 32, v52
	v_subrev_u32_e32 v52, 28, v55
	v_lshlrev_b64 v[52:53], v52, v[6:7]
	v_lshrrev_b32_e32 v54, 3, v51
	v_sub_u32_e32 v53, 29, v55
	v_and_b32_e32 v52, 7, v52
	v_cmp_gt_u32_e64 s[0:1], 8, v51
	v_cndmask_b32_e64 v51, v54, v53, s[0:1]
	v_cndmask_b32_e64 v50, v50, v52, s[0:1]
	v_lshlrev_b32_e32 v6, 24, v6
	v_lshlrev_b32_e32 v50, 20, v50
	v_and_b32_e32 v6, 0x80000000, v6
	v_lshl_add_u32 v51, v51, 23, v24
	v_or3_b32 v50, v6, v51, v50
.LBB334_502:                            ;   in Loop: Header=BB334_291 Depth=1
	s_or_b64 exec, exec, s[20:21]
.LBB334_503:                            ;   in Loop: Header=BB334_291 Depth=1
	s_or_b64 exec, exec, s[18:19]
.LBB334_504:                            ;   in Loop: Header=BB334_291 Depth=1
	s_or_b64 exec, exec, s[16:17]
	v_mul_f32_e32 v50, s29, v50
	v_and_b32_e32 v6, 0x7f800000, v50
	v_cmp_ne_u32_e64 s[0:1], s24, v6
                                        ; implicit-def: $vgpr6
	s_and_saveexec_b64 s[16:17], s[0:1]
	s_xor_b64 s[0:1], exec, s[16:17]
; %bb.505:                              ;   in Loop: Header=BB334_291 Depth=1
	v_bfe_u32 v6, v50, 16, 1
	v_add3_u32 v6, v50, v6, s25
                                        ; implicit-def: $vgpr50
; %bb.506:                              ;   in Loop: Header=BB334_291 Depth=1
	s_andn2_saveexec_b64 s[16:17], s[0:1]
; %bb.507:                              ;   in Loop: Header=BB334_291 Depth=1
	v_or_b32_e32 v6, 0x10000, v50
	v_cmp_eq_u32_sdwa s[0:1], v50, v23 src0_sel:WORD_0 src1_sel:DWORD
	v_cndmask_b32_e64 v6, v6, v50, s[0:1]
; %bb.508:                              ;   in Loop: Header=BB334_291 Depth=1
	s_or_b64 exec, exec, s[16:17]
	v_cmp_lt_u64_e64 s[0:1], s[6:7], v[4:5]
	v_mov_b32_e32 v50, 0
	s_and_saveexec_b64 s[16:17], s[0:1]
	s_cbranch_execz .LBB334_514
; %bb.509:                              ;   in Loop: Header=BB334_291 Depth=1
	v_lshrrev_b32_e32 v4, 24, v5
	v_cmp_ne_u32_e64 s[0:1], s26, v4
	v_bfrev_b32_e32 v50, 1
	s_and_saveexec_b64 s[18:19], s[0:1]
	s_cbranch_execz .LBB334_513
; %bb.510:                              ;   in Loop: Header=BB334_291 Depth=1
	v_bfe_u32 v5, v5, 24, 7
	v_cmp_ne_u32_e64 s[0:1], s27, v5
	v_mov_b32_e32 v50, 0x7f800001
	s_and_saveexec_b64 s[20:21], s[0:1]
	s_cbranch_execz .LBB334_512
; %bb.511:                              ;   in Loop: Header=BB334_291 Depth=1
	v_and_b32_e32 v52, 7, v4
	v_ffbh_u32_e32 v50, v52
	v_min_u32_e32 v54, 32, v50
	v_subrev_u32_e32 v50, 28, v54
	v_lshlrev_b64 v[50:51], v50, v[4:5]
	v_lshrrev_b32_e32 v53, 3, v5
	v_sub_u32_e32 v51, 29, v54
	v_and_b32_e32 v50, 7, v50
	v_cmp_gt_u32_e64 s[0:1], 8, v5
	v_cndmask_b32_e64 v5, v53, v51, s[0:1]
	v_cndmask_b32_e64 v50, v52, v50, s[0:1]
	v_lshlrev_b32_e32 v4, 24, v4
	v_lshlrev_b32_e32 v50, 20, v50
	v_and_b32_e32 v4, 0x80000000, v4
	v_lshl_add_u32 v5, v5, 23, v24
	v_or3_b32 v50, v4, v5, v50
.LBB334_512:                            ;   in Loop: Header=BB334_291 Depth=1
	s_or_b64 exec, exec, s[20:21]
.LBB334_513:                            ;   in Loop: Header=BB334_291 Depth=1
	s_or_b64 exec, exec, s[18:19]
.LBB334_514:                            ;   in Loop: Header=BB334_291 Depth=1
	s_or_b64 exec, exec, s[16:17]
	v_mul_f32_e32 v5, s29, v50
	v_and_b32_e32 v4, 0x7f800000, v5
	v_cmp_ne_u32_e64 s[0:1], s24, v4
                                        ; implicit-def: $vgpr4
	s_and_saveexec_b64 s[16:17], s[0:1]
	s_xor_b64 s[0:1], exec, s[16:17]
; %bb.515:                              ;   in Loop: Header=BB334_291 Depth=1
	v_bfe_u32 v4, v5, 16, 1
	v_add3_u32 v4, v5, v4, s25
                                        ; implicit-def: $vgpr5
; %bb.516:                              ;   in Loop: Header=BB334_291 Depth=1
	s_andn2_saveexec_b64 s[16:17], s[0:1]
; %bb.517:                              ;   in Loop: Header=BB334_291 Depth=1
	v_or_b32_e32 v4, 0x10000, v5
	v_cmp_eq_u32_sdwa s[0:1], v5, v23 src0_sel:WORD_0 src1_sel:DWORD
	v_cndmask_b32_e64 v4, v4, v5, s[0:1]
; %bb.518:                              ;   in Loop: Header=BB334_291 Depth=1
	s_or_b64 exec, exec, s[16:17]
	v_lshrrev_b32_e32 v50, 16, v20
	v_lshrrev_b32_e32 v49, 16, v49
	;; [unrolled: 1-line block ×8, first 2 shown]
	s_and_saveexec_b64 s[16:17], vcc
	s_cbranch_execz .LBB334_520
; %bb.519:                              ;   in Loop: Header=BB334_291 Depth=1
	v_cmp_gt_i32_e64 s[0:1], s39, v1
	v_cndmask_b32_e64 v5, 0, v5, s[0:1]
	v_cmp_gt_i32_e64 s[0:1], s39, v36
	v_cndmask_b32_e64 v46, 0, v46, s[0:1]
	;; [unrolled: 2-line block ×8, first 2 shown]
.LBB334_520:                            ;   in Loop: Header=BB334_291 Depth=1
	s_or_b64 exec, exec, s[16:17]
	v_lshlrev_b32_e32 v5, 16, v5
	v_mul_f32_e32 v6, v37, v5
	v_and_b32_e32 v5, 0x7f800000, v6
	v_cmp_ne_u32_e64 s[0:1], s24, v5
                                        ; implicit-def: $vgpr5
	s_and_saveexec_b64 s[16:17], s[0:1]
	s_xor_b64 s[0:1], exec, s[16:17]
; %bb.521:                              ;   in Loop: Header=BB334_291 Depth=1
	v_bfe_u32 v5, v6, 16, 1
	v_add3_u32 v5, v6, v5, s25
                                        ; implicit-def: $vgpr6
; %bb.522:                              ;   in Loop: Header=BB334_291 Depth=1
	s_andn2_saveexec_b64 s[16:17], s[0:1]
; %bb.523:                              ;   in Loop: Header=BB334_291 Depth=1
	v_or_b32_e32 v5, 0x10000, v6
	v_cmp_eq_u32_sdwa s[0:1], v6, v23 src0_sel:WORD_0 src1_sel:DWORD
	v_cndmask_b32_e64 v5, v5, v6, s[0:1]
; %bb.524:                              ;   in Loop: Header=BB334_291 Depth=1
	s_or_b64 exec, exec, s[16:17]
	v_lshlrev_b32_e32 v6, 16, v46
	v_mul_f32_e32 v45, v38, v6
	v_and_b32_e32 v6, 0x7f800000, v45
	v_cmp_ne_u32_e64 s[0:1], s24, v6
                                        ; implicit-def: $vgpr6
	s_and_saveexec_b64 s[16:17], s[0:1]
	s_xor_b64 s[0:1], exec, s[16:17]
; %bb.525:                              ;   in Loop: Header=BB334_291 Depth=1
	v_bfe_u32 v6, v45, 16, 1
	v_add3_u32 v6, v45, v6, s25
                                        ; implicit-def: $vgpr45
; %bb.526:                              ;   in Loop: Header=BB334_291 Depth=1
	s_andn2_saveexec_b64 s[16:17], s[0:1]
; %bb.527:                              ;   in Loop: Header=BB334_291 Depth=1
	v_or_b32_e32 v6, 0x10000, v45
	v_cmp_eq_u32_sdwa s[0:1], v45, v23 src0_sel:WORD_0 src1_sel:DWORD
	v_cndmask_b32_e64 v6, v6, v45, s[0:1]
; %bb.528:                              ;   in Loop: Header=BB334_291 Depth=1
	s_or_b64 exec, exec, s[16:17]
	v_lshlrev_b32_e32 v45, 16, v47
	v_mul_f32_e32 v46, v39, v45
	v_and_b32_e32 v45, 0x7f800000, v46
	v_cmp_ne_u32_e64 s[0:1], s24, v45
                                        ; implicit-def: $vgpr45
	s_and_saveexec_b64 s[16:17], s[0:1]
	s_xor_b64 s[0:1], exec, s[16:17]
; %bb.529:                              ;   in Loop: Header=BB334_291 Depth=1
	v_bfe_u32 v45, v46, 16, 1
	v_add3_u32 v45, v46, v45, s25
                                        ; implicit-def: $vgpr46
; %bb.530:                              ;   in Loop: Header=BB334_291 Depth=1
	s_andn2_saveexec_b64 s[16:17], s[0:1]
; %bb.531:                              ;   in Loop: Header=BB334_291 Depth=1
	v_or_b32_e32 v45, 0x10000, v46
	v_cmp_eq_u32_sdwa s[0:1], v46, v23 src0_sel:WORD_0 src1_sel:DWORD
	v_cndmask_b32_e64 v45, v45, v46, s[0:1]
; %bb.532:                              ;   in Loop: Header=BB334_291 Depth=1
	s_or_b64 exec, exec, s[16:17]
	v_lshlrev_b32_e32 v46, 16, v48
	v_mul_f32_e32 v47, v40, v46
	v_and_b32_e32 v46, 0x7f800000, v47
	v_cmp_ne_u32_e64 s[0:1], s24, v46
                                        ; implicit-def: $vgpr46
	s_and_saveexec_b64 s[16:17], s[0:1]
	s_xor_b64 s[0:1], exec, s[16:17]
; %bb.533:                              ;   in Loop: Header=BB334_291 Depth=1
	v_bfe_u32 v46, v47, 16, 1
	v_add3_u32 v46, v47, v46, s25
                                        ; implicit-def: $vgpr47
; %bb.534:                              ;   in Loop: Header=BB334_291 Depth=1
	s_andn2_saveexec_b64 s[16:17], s[0:1]
; %bb.535:                              ;   in Loop: Header=BB334_291 Depth=1
	v_or_b32_e32 v46, 0x10000, v47
	v_cmp_eq_u32_sdwa s[0:1], v47, v23 src0_sel:WORD_0 src1_sel:DWORD
	v_cndmask_b32_e64 v46, v46, v47, s[0:1]
; %bb.536:                              ;   in Loop: Header=BB334_291 Depth=1
	s_or_b64 exec, exec, s[16:17]
	v_lshlrev_b32_e32 v47, 16, v49
	v_mul_f32_e32 v48, v41, v47
	v_and_b32_e32 v47, 0x7f800000, v48
	v_cmp_ne_u32_e64 s[0:1], s24, v47
                                        ; implicit-def: $vgpr47
	s_and_saveexec_b64 s[16:17], s[0:1]
	s_xor_b64 s[0:1], exec, s[16:17]
; %bb.537:                              ;   in Loop: Header=BB334_291 Depth=1
	v_bfe_u32 v47, v48, 16, 1
	v_add3_u32 v47, v48, v47, s25
                                        ; implicit-def: $vgpr48
; %bb.538:                              ;   in Loop: Header=BB334_291 Depth=1
	s_andn2_saveexec_b64 s[16:17], s[0:1]
; %bb.539:                              ;   in Loop: Header=BB334_291 Depth=1
	v_or_b32_e32 v47, 0x10000, v48
	v_cmp_eq_u32_sdwa s[0:1], v48, v23 src0_sel:WORD_0 src1_sel:DWORD
	v_cndmask_b32_e64 v47, v47, v48, s[0:1]
; %bb.540:                              ;   in Loop: Header=BB334_291 Depth=1
	s_or_b64 exec, exec, s[16:17]
	v_lshlrev_b32_e32 v48, 16, v50
	v_mul_f32_e32 v49, v42, v48
	v_and_b32_e32 v48, 0x7f800000, v49
	v_cmp_ne_u32_e64 s[0:1], s24, v48
                                        ; implicit-def: $vgpr48
	s_and_saveexec_b64 s[16:17], s[0:1]
	s_xor_b64 s[0:1], exec, s[16:17]
; %bb.541:                              ;   in Loop: Header=BB334_291 Depth=1
	v_bfe_u32 v48, v49, 16, 1
	v_add3_u32 v48, v49, v48, s25
                                        ; implicit-def: $vgpr49
; %bb.542:                              ;   in Loop: Header=BB334_291 Depth=1
	s_andn2_saveexec_b64 s[16:17], s[0:1]
; %bb.543:                              ;   in Loop: Header=BB334_291 Depth=1
	v_or_b32_e32 v48, 0x10000, v49
	v_cmp_eq_u32_sdwa s[0:1], v49, v23 src0_sel:WORD_0 src1_sel:DWORD
	v_cndmask_b32_e64 v48, v48, v49, s[0:1]
; %bb.544:                              ;   in Loop: Header=BB334_291 Depth=1
	s_or_b64 exec, exec, s[16:17]
	v_lshlrev_b32_e32 v20, 16, v20
	v_mul_f32_e32 v20, v43, v20
	v_and_b32_e32 v49, 0x7f800000, v20
	v_cmp_ne_u32_e64 s[0:1], s24, v49
                                        ; implicit-def: $vgpr49
	s_and_saveexec_b64 s[16:17], s[0:1]
	s_xor_b64 s[0:1], exec, s[16:17]
; %bb.545:                              ;   in Loop: Header=BB334_291 Depth=1
	v_bfe_u32 v49, v20, 16, 1
	v_add3_u32 v49, v20, v49, s25
                                        ; implicit-def: $vgpr20
; %bb.546:                              ;   in Loop: Header=BB334_291 Depth=1
	s_andn2_saveexec_b64 s[16:17], s[0:1]
; %bb.547:                              ;   in Loop: Header=BB334_291 Depth=1
	v_or_b32_e32 v49, 0x10000, v20
	v_cmp_eq_u32_sdwa s[0:1], v20, v23 src0_sel:WORD_0 src1_sel:DWORD
	v_cndmask_b32_e64 v49, v49, v20, s[0:1]
; %bb.548:                              ;   in Loop: Header=BB334_291 Depth=1
	s_or_b64 exec, exec, s[16:17]
	v_lshlrev_b32_e32 v4, 16, v4
	v_mul_f32_e32 v4, v44, v4
	v_and_b32_e32 v20, 0x7f800000, v4
	v_cmp_ne_u32_e64 s[0:1], s24, v20
                                        ; implicit-def: $vgpr50
	s_and_saveexec_b64 s[16:17], s[0:1]
	s_xor_b64 s[0:1], exec, s[16:17]
; %bb.549:                              ;   in Loop: Header=BB334_291 Depth=1
	v_bfe_u32 v20, v4, 16, 1
	v_add3_u32 v50, v4, v20, s25
                                        ; implicit-def: $vgpr4
; %bb.550:                              ;   in Loop: Header=BB334_291 Depth=1
	s_andn2_saveexec_b64 s[16:17], s[0:1]
; %bb.551:                              ;   in Loop: Header=BB334_291 Depth=1
	v_or_b32_e32 v20, 0x10000, v4
	v_cmp_eq_u32_sdwa s[0:1], v4, v23 src0_sel:WORD_0 src1_sel:DWORD
	v_cndmask_b32_e64 v50, v20, v4, s[0:1]
; %bb.552:                              ;   in Loop: Header=BB334_291 Depth=1
	s_or_b64 exec, exec, s[16:17]
	global_load_dwordx2 v[2:3], v[2:3], off offset:1024
	v_mov_b32_e32 v4, 0
	s_waitcnt vmcnt(0)
	v_cmp_ne_u16_sdwa s[0:1], v2, v23 src0_sel:BYTE_0 src1_sel:DWORD
	s_and_saveexec_b64 s[16:17], s[0:1]
	s_cbranch_execz .LBB334_558
; %bb.553:                              ;   in Loop: Header=BB334_291 Depth=1
	v_cmp_ne_u16_sdwa s[0:1], v2, s26 src0_sel:BYTE_0 src1_sel:DWORD
	v_bfrev_b32_e32 v4, 1
	s_and_saveexec_b64 s[18:19], s[0:1]
	s_cbranch_execz .LBB334_557
; %bb.554:                              ;   in Loop: Header=BB334_291 Depth=1
	v_and_b32_e32 v20, 0x7f, v2
	v_cmp_ne_u32_e64 s[0:1], s27, v20
	v_mov_b32_e32 v4, 0x7f800001
	s_and_saveexec_b64 s[20:21], s[0:1]
	s_cbranch_execz .LBB334_556
; %bb.555:                              ;   in Loop: Header=BB334_291 Depth=1
	v_and_b32_e32 v4, 7, v2
	v_ffbh_u32_e32 v4, v4
	v_min_u32_e32 v4, 32, v4
	v_subrev_u32_e32 v52, 28, v4
	v_cmp_gt_u32_e64 s[0:1], 8, v20
	v_lshrrev_b32_e32 v51, 3, v20
	v_cndmask_b32_e64 v20, 0, v52, s[0:1]
	v_sub_u32_e32 v4, 29, v4
	v_lshlrev_b64 v[52:53], v20, v[2:3]
	v_cndmask_b32_e64 v4, v51, v4, s[0:1]
	v_lshlrev_b32_e32 v20, 20, v52
	v_lshlrev_b32_e32 v51, 24, v2
	v_and_b32_e32 v20, 0x700000, v20
	v_and_b32_e32 v51, 0x80000000, v51
	v_lshl_add_u32 v4, v4, 23, v24
	v_or3_b32 v4, v51, v4, v20
.LBB334_556:                            ;   in Loop: Header=BB334_291 Depth=1
	s_or_b64 exec, exec, s[20:21]
.LBB334_557:                            ;   in Loop: Header=BB334_291 Depth=1
	s_or_b64 exec, exec, s[18:19]
.LBB334_558:                            ;   in Loop: Header=BB334_291 Depth=1
	s_or_b64 exec, exec, s[16:17]
	v_mul_f32_e32 v4, s29, v4
	v_and_b32_e32 v20, 0x7f800000, v4
	v_cmp_ne_u32_e64 s[0:1], s24, v20
                                        ; implicit-def: $vgpr51
	s_and_saveexec_b64 s[16:17], s[0:1]
	s_xor_b64 s[0:1], exec, s[16:17]
; %bb.559:                              ;   in Loop: Header=BB334_291 Depth=1
	v_bfe_u32 v20, v4, 16, 1
	v_add3_u32 v51, v4, v20, s25
                                        ; implicit-def: $vgpr4
; %bb.560:                              ;   in Loop: Header=BB334_291 Depth=1
	s_andn2_saveexec_b64 s[16:17], s[0:1]
; %bb.561:                              ;   in Loop: Header=BB334_291 Depth=1
	v_or_b32_e32 v20, 0x10000, v4
	v_cmp_eq_u32_sdwa s[0:1], v4, v23 src0_sel:WORD_0 src1_sel:DWORD
	v_cndmask_b32_e64 v51, v20, v4, s[0:1]
; %bb.562:                              ;   in Loop: Header=BB334_291 Depth=1
	s_or_b64 exec, exec, s[16:17]
	v_lshrrev_b16_e32 v4, 8, v2
	v_cmp_ne_u16_e64 s[0:1], 0, v4
	v_mov_b32_e32 v20, 0
	s_and_saveexec_b64 s[16:17], s[0:1]
	s_cbranch_execz .LBB334_568
; %bb.563:                              ;   in Loop: Header=BB334_291 Depth=1
	v_cmp_ne_u16_e64 s[0:1], s26, v4
	v_bfrev_b32_e32 v20, 1
	s_and_saveexec_b64 s[18:19], s[0:1]
	s_cbranch_execz .LBB334_567
; %bb.564:                              ;   in Loop: Header=BB334_291 Depth=1
	v_and_b32_e32 v52, 0x7f, v4
	v_cmp_ne_u32_e64 s[0:1], s27, v52
	v_mov_b32_e32 v20, 0x7f800001
	s_and_saveexec_b64 s[20:21], s[0:1]
	s_cbranch_execz .LBB334_566
; %bb.565:                              ;   in Loop: Header=BB334_291 Depth=1
	v_and_b32_e32 v20, 7, v4
	v_ffbh_u32_e32 v54, v20
	v_min_u32_e32 v56, 32, v54
	v_subrev_u32_e32 v54, 28, v56
	v_lshlrev_b64 v[54:55], v54, v[4:5]
	v_lshrrev_b32_e32 v53, 3, v52
	v_sub_u32_e32 v4, 29, v56
	v_and_b32_e32 v54, 7, v54
	v_cmp_gt_u32_e64 s[0:1], 8, v52
	v_cndmask_b32_e64 v4, v53, v4, s[0:1]
	v_cndmask_b32_e64 v20, v20, v54, s[0:1]
	v_lshlrev_b32_e32 v52, 16, v2
	v_lshlrev_b32_e32 v20, 20, v20
	v_and_b32_e32 v52, 0x80000000, v52
	v_lshl_add_u32 v4, v4, 23, v24
	v_or3_b32 v20, v52, v4, v20
.LBB334_566:                            ;   in Loop: Header=BB334_291 Depth=1
	s_or_b64 exec, exec, s[20:21]
.LBB334_567:                            ;   in Loop: Header=BB334_291 Depth=1
	s_or_b64 exec, exec, s[18:19]
.LBB334_568:                            ;   in Loop: Header=BB334_291 Depth=1
	s_or_b64 exec, exec, s[16:17]
	v_mul_f32_e32 v4, s29, v20
	v_and_b32_e32 v20, 0x7f800000, v4
	v_cmp_ne_u32_e64 s[0:1], s24, v20
                                        ; implicit-def: $vgpr52
	s_and_saveexec_b64 s[16:17], s[0:1]
	s_xor_b64 s[0:1], exec, s[16:17]
; %bb.569:                              ;   in Loop: Header=BB334_291 Depth=1
	v_bfe_u32 v20, v4, 16, 1
	v_add3_u32 v52, v4, v20, s25
                                        ; implicit-def: $vgpr4
; %bb.570:                              ;   in Loop: Header=BB334_291 Depth=1
	s_andn2_saveexec_b64 s[16:17], s[0:1]
; %bb.571:                              ;   in Loop: Header=BB334_291 Depth=1
	v_or_b32_e32 v20, 0x10000, v4
	v_cmp_eq_u32_sdwa s[0:1], v4, v23 src0_sel:WORD_0 src1_sel:DWORD
	v_cndmask_b32_e64 v52, v20, v4, s[0:1]
; %bb.572:                              ;   in Loop: Header=BB334_291 Depth=1
	s_or_b64 exec, exec, s[16:17]
	v_lshrrev_b32_e32 v4, 16, v2
	v_cmp_ne_u16_sdwa s[0:1], v4, v23 src0_sel:BYTE_0 src1_sel:DWORD
	v_mov_b32_e32 v20, 0
	s_and_saveexec_b64 s[16:17], s[0:1]
	s_cbranch_execz .LBB334_578
; %bb.573:                              ;   in Loop: Header=BB334_291 Depth=1
	v_cmp_ne_u16_sdwa s[0:1], v4, s26 src0_sel:BYTE_0 src1_sel:DWORD
	v_bfrev_b32_e32 v20, 1
	s_and_saveexec_b64 s[18:19], s[0:1]
	s_cbranch_execz .LBB334_577
; %bb.574:                              ;   in Loop: Header=BB334_291 Depth=1
	v_bfe_u32 v53, v2, 16, 7
	v_cmp_ne_u32_e64 s[0:1], s27, v53
	v_mov_b32_e32 v20, 0x7f800001
	s_and_saveexec_b64 s[20:21], s[0:1]
	s_cbranch_execz .LBB334_576
; %bb.575:                              ;   in Loop: Header=BB334_291 Depth=1
	v_and_b32_e32 v20, 7, v4
	v_ffbh_u32_e32 v54, v20
	v_min_u32_e32 v57, 32, v54
	v_subrev_u32_e32 v54, 28, v57
	v_lshlrev_b64 v[54:55], v54, v[4:5]
	v_lshrrev_b32_e32 v56, 3, v53
	v_sub_u32_e32 v55, 29, v57
	v_and_b32_e32 v54, 7, v54
	v_cmp_gt_u32_e64 s[0:1], 8, v53
	v_cndmask_b32_e64 v53, v56, v55, s[0:1]
	v_cndmask_b32_e64 v20, v20, v54, s[0:1]
	v_lshlrev_b32_e32 v4, 24, v4
	v_lshlrev_b32_e32 v20, 20, v20
	v_and_b32_e32 v4, 0x80000000, v4
	v_lshl_add_u32 v53, v53, 23, v24
	v_or3_b32 v20, v4, v53, v20
.LBB334_576:                            ;   in Loop: Header=BB334_291 Depth=1
	s_or_b64 exec, exec, s[20:21]
.LBB334_577:                            ;   in Loop: Header=BB334_291 Depth=1
	s_or_b64 exec, exec, s[18:19]
.LBB334_578:                            ;   in Loop: Header=BB334_291 Depth=1
	s_or_b64 exec, exec, s[16:17]
	v_mul_f32_e32 v4, s29, v20
	v_and_b32_e32 v20, 0x7f800000, v4
	v_cmp_ne_u32_e64 s[0:1], s24, v20
                                        ; implicit-def: $vgpr53
	s_and_saveexec_b64 s[16:17], s[0:1]
	s_xor_b64 s[0:1], exec, s[16:17]
; %bb.579:                              ;   in Loop: Header=BB334_291 Depth=1
	v_bfe_u32 v20, v4, 16, 1
	v_add3_u32 v53, v4, v20, s25
                                        ; implicit-def: $vgpr4
; %bb.580:                              ;   in Loop: Header=BB334_291 Depth=1
	s_andn2_saveexec_b64 s[16:17], s[0:1]
; %bb.581:                              ;   in Loop: Header=BB334_291 Depth=1
	v_or_b32_e32 v20, 0x10000, v4
	v_cmp_eq_u32_sdwa s[0:1], v4, v23 src0_sel:WORD_0 src1_sel:DWORD
	v_cndmask_b32_e64 v53, v20, v4, s[0:1]
; %bb.582:                              ;   in Loop: Header=BB334_291 Depth=1
	s_or_b64 exec, exec, s[16:17]
	v_cmp_lt_u32_e64 s[0:1], s7, v2
	v_mov_b32_e32 v20, 0
	s_and_saveexec_b64 s[16:17], s[0:1]
	s_cbranch_execz .LBB334_588
; %bb.583:                              ;   in Loop: Header=BB334_291 Depth=1
	v_lshrrev_b32_e32 v4, 24, v2
	v_cmp_ne_u32_e64 s[0:1], s26, v4
	v_bfrev_b32_e32 v20, 1
	s_and_saveexec_b64 s[18:19], s[0:1]
	s_cbranch_execz .LBB334_587
; %bb.584:                              ;   in Loop: Header=BB334_291 Depth=1
	v_bfe_u32 v54, v2, 24, 7
	v_cmp_ne_u32_e64 s[0:1], s27, v54
	v_mov_b32_e32 v20, 0x7f800001
	s_and_saveexec_b64 s[20:21], s[0:1]
	s_cbranch_execz .LBB334_586
; %bb.585:                              ;   in Loop: Header=BB334_291 Depth=1
	v_and_b32_e32 v20, 7, v4
	v_ffbh_u32_e32 v56, v20
	v_min_u32_e32 v58, 32, v56
	v_subrev_u32_e32 v56, 28, v58
	v_lshlrev_b64 v[56:57], v56, v[4:5]
	v_lshrrev_b32_e32 v55, 3, v54
	v_sub_u32_e32 v57, 29, v58
	v_and_b32_e32 v56, 7, v56
	v_cmp_gt_u32_e64 s[0:1], 8, v54
	v_cndmask_b32_e64 v54, v55, v57, s[0:1]
	v_cndmask_b32_e64 v20, v20, v56, s[0:1]
	v_lshlrev_b32_e32 v4, 24, v4
	v_lshlrev_b32_e32 v20, 20, v20
	v_and_b32_e32 v4, 0x80000000, v4
	v_lshl_add_u32 v54, v54, 23, v24
	v_or3_b32 v20, v4, v54, v20
.LBB334_586:                            ;   in Loop: Header=BB334_291 Depth=1
	s_or_b64 exec, exec, s[20:21]
.LBB334_587:                            ;   in Loop: Header=BB334_291 Depth=1
	s_or_b64 exec, exec, s[18:19]
.LBB334_588:                            ;   in Loop: Header=BB334_291 Depth=1
	s_or_b64 exec, exec, s[16:17]
	v_mul_f32_e32 v4, s29, v20
	v_and_b32_e32 v20, 0x7f800000, v4
	v_cmp_ne_u32_e64 s[0:1], s24, v20
                                        ; implicit-def: $vgpr54
	s_and_saveexec_b64 s[16:17], s[0:1]
	s_xor_b64 s[0:1], exec, s[16:17]
; %bb.589:                              ;   in Loop: Header=BB334_291 Depth=1
	v_bfe_u32 v20, v4, 16, 1
	v_add3_u32 v54, v4, v20, s25
                                        ; implicit-def: $vgpr4
; %bb.590:                              ;   in Loop: Header=BB334_291 Depth=1
	s_andn2_saveexec_b64 s[16:17], s[0:1]
; %bb.591:                              ;   in Loop: Header=BB334_291 Depth=1
	v_or_b32_e32 v20, 0x10000, v4
	v_cmp_eq_u32_sdwa s[0:1], v4, v23 src0_sel:WORD_0 src1_sel:DWORD
	v_cndmask_b32_e64 v54, v20, v4, s[0:1]
; %bb.592:                              ;   in Loop: Header=BB334_291 Depth=1
	s_or_b64 exec, exec, s[16:17]
	v_mov_b32_e32 v20, v3
	v_cmp_ne_u16_sdwa s[0:1], v3, v23 src0_sel:BYTE_0 src1_sel:DWORD
	v_mov_b32_e32 v4, 0
	s_and_saveexec_b64 s[16:17], s[0:1]
	s_cbranch_execz .LBB334_598
; %bb.593:                              ;   in Loop: Header=BB334_291 Depth=1
	v_cmp_ne_u16_sdwa s[0:1], v3, s26 src0_sel:BYTE_0 src1_sel:DWORD
	v_bfrev_b32_e32 v4, 1
	s_and_saveexec_b64 s[18:19], s[0:1]
	s_cbranch_execz .LBB334_597
; %bb.594:                              ;   in Loop: Header=BB334_291 Depth=1
	v_and_b32_e32 v55, 0x7f, v3
	v_cmp_ne_u32_e64 s[0:1], s27, v55
	v_mov_b32_e32 v4, 0x7f800001
	s_and_saveexec_b64 s[20:21], s[0:1]
	s_cbranch_execz .LBB334_596
; %bb.595:                              ;   in Loop: Header=BB334_291 Depth=1
	v_and_b32_e32 v4, 7, v3
	v_ffbh_u32_e32 v4, v4
	v_min_u32_e32 v4, 32, v4
	v_subrev_u32_e32 v57, 28, v4
	v_cmp_gt_u32_e64 s[0:1], 8, v55
	v_lshrrev_b32_e32 v56, 3, v55
	v_sub_u32_e32 v4, 29, v4
	v_cndmask_b32_e64 v55, 0, v57, s[0:1]
	v_cndmask_b32_e64 v4, v56, v4, s[0:1]
	v_lshlrev_b64 v[56:57], v55, v[20:21]
	v_lshlrev_b32_e32 v55, 20, v56
	v_lshlrev_b32_e32 v56, 24, v20
	v_and_b32_e32 v55, 0x700000, v55
	v_and_b32_e32 v56, 0x80000000, v56
	v_lshl_add_u32 v4, v4, 23, v24
	v_or3_b32 v4, v56, v4, v55
.LBB334_596:                            ;   in Loop: Header=BB334_291 Depth=1
	s_or_b64 exec, exec, s[20:21]
.LBB334_597:                            ;   in Loop: Header=BB334_291 Depth=1
	s_or_b64 exec, exec, s[18:19]
.LBB334_598:                            ;   in Loop: Header=BB334_291 Depth=1
	s_or_b64 exec, exec, s[16:17]
	v_mul_f32_e32 v4, s29, v4
	v_and_b32_e32 v55, 0x7f800000, v4
	v_cmp_ne_u32_e64 s[0:1], s24, v55
                                        ; implicit-def: $vgpr55
	s_and_saveexec_b64 s[16:17], s[0:1]
	s_xor_b64 s[0:1], exec, s[16:17]
; %bb.599:                              ;   in Loop: Header=BB334_291 Depth=1
	v_bfe_u32 v55, v4, 16, 1
	v_add3_u32 v55, v4, v55, s25
                                        ; implicit-def: $vgpr4
; %bb.600:                              ;   in Loop: Header=BB334_291 Depth=1
	s_andn2_saveexec_b64 s[16:17], s[0:1]
; %bb.601:                              ;   in Loop: Header=BB334_291 Depth=1
	v_or_b32_e32 v55, 0x10000, v4
	v_cmp_eq_u32_sdwa s[0:1], v4, v23 src0_sel:WORD_0 src1_sel:DWORD
	v_cndmask_b32_e64 v55, v55, v4, s[0:1]
; %bb.602:                              ;   in Loop: Header=BB334_291 Depth=1
	s_or_b64 exec, exec, s[16:17]
	v_lshrrev_b16_e32 v4, 8, v20
	v_cmp_ne_u16_e64 s[0:1], 0, v4
	v_mov_b32_e32 v56, 0
	s_and_saveexec_b64 s[16:17], s[0:1]
	s_cbranch_execz .LBB334_608
; %bb.603:                              ;   in Loop: Header=BB334_291 Depth=1
	v_cmp_ne_u16_e64 s[0:1], s26, v4
	v_bfrev_b32_e32 v56, 1
	s_and_saveexec_b64 s[18:19], s[0:1]
	s_cbranch_execz .LBB334_607
; %bb.604:                              ;   in Loop: Header=BB334_291 Depth=1
	v_and_b32_e32 v57, 0x7f, v4
	v_cmp_ne_u32_e64 s[0:1], s27, v57
	v_mov_b32_e32 v56, 0x7f800001
	s_and_saveexec_b64 s[20:21], s[0:1]
	s_cbranch_execz .LBB334_606
; %bb.605:                              ;   in Loop: Header=BB334_291 Depth=1
	v_and_b32_e32 v56, 7, v4
	v_ffbh_u32_e32 v58, v56
	v_min_u32_e32 v61, 32, v58
	v_subrev_u32_e32 v58, 28, v61
	v_lshlrev_b64 v[58:59], v58, v[4:5]
	v_lshrrev_b32_e32 v60, 3, v57
	v_sub_u32_e32 v4, 29, v61
	v_and_b32_e32 v58, 7, v58
	v_cmp_gt_u32_e64 s[0:1], 8, v57
	v_cndmask_b32_e64 v4, v60, v4, s[0:1]
	v_cndmask_b32_e64 v56, v56, v58, s[0:1]
	v_lshlrev_b32_e32 v20, 16, v20
	v_lshlrev_b32_e32 v56, 20, v56
	v_and_b32_e32 v20, 0x80000000, v20
	v_lshl_add_u32 v4, v4, 23, v24
	v_or3_b32 v56, v20, v4, v56
.LBB334_606:                            ;   in Loop: Header=BB334_291 Depth=1
	s_or_b64 exec, exec, s[20:21]
.LBB334_607:                            ;   in Loop: Header=BB334_291 Depth=1
	s_or_b64 exec, exec, s[18:19]
.LBB334_608:                            ;   in Loop: Header=BB334_291 Depth=1
	s_or_b64 exec, exec, s[16:17]
	v_mul_f32_e32 v4, s29, v56
	v_and_b32_e32 v20, 0x7f800000, v4
	v_cmp_ne_u32_e64 s[0:1], s24, v20
                                        ; implicit-def: $vgpr20
	s_and_saveexec_b64 s[16:17], s[0:1]
	s_xor_b64 s[0:1], exec, s[16:17]
; %bb.609:                              ;   in Loop: Header=BB334_291 Depth=1
	v_bfe_u32 v20, v4, 16, 1
	v_add3_u32 v20, v4, v20, s25
                                        ; implicit-def: $vgpr4
; %bb.610:                              ;   in Loop: Header=BB334_291 Depth=1
	s_andn2_saveexec_b64 s[16:17], s[0:1]
; %bb.611:                              ;   in Loop: Header=BB334_291 Depth=1
	v_or_b32_e32 v20, 0x10000, v4
	v_cmp_eq_u32_sdwa s[0:1], v4, v23 src0_sel:WORD_0 src1_sel:DWORD
	v_cndmask_b32_e64 v20, v20, v4, s[0:1]
; %bb.612:                              ;   in Loop: Header=BB334_291 Depth=1
	s_or_b64 exec, exec, s[16:17]
	v_lshrrev_b32_e32 v4, 16, v3
	v_cmp_ne_u16_sdwa s[0:1], v4, v23 src0_sel:BYTE_0 src1_sel:DWORD
	v_mov_b32_e32 v56, 0
	s_and_saveexec_b64 s[16:17], s[0:1]
	s_cbranch_execz .LBB334_618
; %bb.613:                              ;   in Loop: Header=BB334_291 Depth=1
	v_cmp_ne_u16_sdwa s[0:1], v4, s26 src0_sel:BYTE_0 src1_sel:DWORD
	v_bfrev_b32_e32 v56, 1
	s_and_saveexec_b64 s[18:19], s[0:1]
	s_cbranch_execz .LBB334_617
; %bb.614:                              ;   in Loop: Header=BB334_291 Depth=1
	v_bfe_u32 v57, v3, 16, 7
	v_cmp_ne_u32_e64 s[0:1], s27, v57
	v_mov_b32_e32 v56, 0x7f800001
	s_and_saveexec_b64 s[20:21], s[0:1]
	s_cbranch_execz .LBB334_616
; %bb.615:                              ;   in Loop: Header=BB334_291 Depth=1
	v_and_b32_e32 v56, 7, v4
	v_ffbh_u32_e32 v58, v56
	v_min_u32_e32 v61, 32, v58
	v_subrev_u32_e32 v58, 28, v61
	v_lshlrev_b64 v[58:59], v58, v[4:5]
	v_lshrrev_b32_e32 v60, 3, v57
	v_sub_u32_e32 v59, 29, v61
	v_and_b32_e32 v58, 7, v58
	v_cmp_gt_u32_e64 s[0:1], 8, v57
	v_cndmask_b32_e64 v57, v60, v59, s[0:1]
	v_cndmask_b32_e64 v56, v56, v58, s[0:1]
	v_lshlrev_b32_e32 v4, 24, v4
	v_lshlrev_b32_e32 v56, 20, v56
	v_and_b32_e32 v4, 0x80000000, v4
	v_lshl_add_u32 v57, v57, 23, v24
	v_or3_b32 v56, v4, v57, v56
.LBB334_616:                            ;   in Loop: Header=BB334_291 Depth=1
	s_or_b64 exec, exec, s[20:21]
.LBB334_617:                            ;   in Loop: Header=BB334_291 Depth=1
	s_or_b64 exec, exec, s[18:19]
.LBB334_618:                            ;   in Loop: Header=BB334_291 Depth=1
	s_or_b64 exec, exec, s[16:17]
	v_mul_f32_e32 v56, s29, v56
	v_and_b32_e32 v4, 0x7f800000, v56
	v_cmp_ne_u32_e64 s[0:1], s24, v4
                                        ; implicit-def: $vgpr4
	s_and_saveexec_b64 s[16:17], s[0:1]
	s_xor_b64 s[0:1], exec, s[16:17]
; %bb.619:                              ;   in Loop: Header=BB334_291 Depth=1
	v_bfe_u32 v4, v56, 16, 1
	v_add3_u32 v4, v56, v4, s25
                                        ; implicit-def: $vgpr56
; %bb.620:                              ;   in Loop: Header=BB334_291 Depth=1
	s_andn2_saveexec_b64 s[16:17], s[0:1]
; %bb.621:                              ;   in Loop: Header=BB334_291 Depth=1
	v_or_b32_e32 v4, 0x10000, v56
	v_cmp_eq_u32_sdwa s[0:1], v56, v23 src0_sel:WORD_0 src1_sel:DWORD
	v_cndmask_b32_e64 v4, v4, v56, s[0:1]
; %bb.622:                              ;   in Loop: Header=BB334_291 Depth=1
	s_or_b64 exec, exec, s[16:17]
	v_cmp_lt_u64_e64 s[0:1], s[6:7], v[2:3]
	v_mov_b32_e32 v56, 0
	s_and_saveexec_b64 s[16:17], s[0:1]
	s_cbranch_execz .LBB334_628
; %bb.623:                              ;   in Loop: Header=BB334_291 Depth=1
	v_lshrrev_b32_e32 v2, 24, v3
	v_cmp_ne_u32_e64 s[0:1], s26, v2
	v_bfrev_b32_e32 v56, 1
	s_and_saveexec_b64 s[18:19], s[0:1]
	s_cbranch_execz .LBB334_627
; %bb.624:                              ;   in Loop: Header=BB334_291 Depth=1
	v_bfe_u32 v3, v3, 24, 7
	v_cmp_ne_u32_e64 s[0:1], s27, v3
	v_mov_b32_e32 v56, 0x7f800001
	s_and_saveexec_b64 s[20:21], s[0:1]
	s_cbranch_execz .LBB334_626
; %bb.625:                              ;   in Loop: Header=BB334_291 Depth=1
	v_and_b32_e32 v58, 7, v2
	v_ffbh_u32_e32 v56, v58
	v_min_u32_e32 v60, 32, v56
	v_subrev_u32_e32 v56, 28, v60
	v_lshlrev_b64 v[56:57], v56, v[2:3]
	v_lshrrev_b32_e32 v59, 3, v3
	v_sub_u32_e32 v57, 29, v60
	v_and_b32_e32 v56, 7, v56
	v_cmp_gt_u32_e64 s[0:1], 8, v3
	v_cndmask_b32_e64 v3, v59, v57, s[0:1]
	v_cndmask_b32_e64 v56, v58, v56, s[0:1]
	v_lshlrev_b32_e32 v2, 24, v2
	v_lshlrev_b32_e32 v56, 20, v56
	v_and_b32_e32 v2, 0x80000000, v2
	v_lshl_add_u32 v3, v3, 23, v24
	v_or3_b32 v56, v2, v3, v56
.LBB334_626:                            ;   in Loop: Header=BB334_291 Depth=1
	s_or_b64 exec, exec, s[20:21]
.LBB334_627:                            ;   in Loop: Header=BB334_291 Depth=1
	s_or_b64 exec, exec, s[18:19]
.LBB334_628:                            ;   in Loop: Header=BB334_291 Depth=1
	s_or_b64 exec, exec, s[16:17]
	v_mul_f32_e32 v2, s29, v56
	v_and_b32_e32 v3, 0x7f800000, v2
	v_cmp_ne_u32_e64 s[0:1], s24, v3
                                        ; implicit-def: $vgpr3
	s_and_saveexec_b64 s[16:17], s[0:1]
	s_xor_b64 s[0:1], exec, s[16:17]
; %bb.629:                              ;   in Loop: Header=BB334_291 Depth=1
	v_bfe_u32 v3, v2, 16, 1
	v_add3_u32 v3, v2, v3, s25
                                        ; implicit-def: $vgpr2
; %bb.630:                              ;   in Loop: Header=BB334_291 Depth=1
	s_andn2_saveexec_b64 s[16:17], s[0:1]
; %bb.631:                              ;   in Loop: Header=BB334_291 Depth=1
	v_or_b32_e32 v3, 0x10000, v2
	v_cmp_eq_u32_sdwa s[0:1], v2, v23 src0_sel:WORD_0 src1_sel:DWORD
	v_cndmask_b32_e64 v3, v3, v2, s[0:1]
; %bb.632:                              ;   in Loop: Header=BB334_291 Depth=1
	s_or_b64 exec, exec, s[16:17]
	v_lshrrev_b32_e32 v56, 16, v20
	v_lshrrev_b32_e32 v55, 16, v55
	;; [unrolled: 1-line block ×8, first 2 shown]
	s_and_saveexec_b64 s[0:1], vcc
	s_cbranch_execz .LBB334_634
; %bb.633:                              ;   in Loop: Header=BB334_291 Depth=1
	v_cmp_gt_i32_e32 vcc, s39, v1
	v_cndmask_b32_e32 v2, 0, v2, vcc
	v_cmp_gt_i32_e32 vcc, s39, v36
	v_cndmask_b32_e32 v52, 0, v52, vcc
	;; [unrolled: 2-line block ×8, first 2 shown]
.LBB334_634:                            ;   in Loop: Header=BB334_291 Depth=1
	s_or_b64 exec, exec, s[0:1]
	v_lshlrev_b32_e32 v2, 16, v2
	v_mul_f32_e32 v4, v37, v2
	v_and_b32_e32 v2, 0x7f800000, v4
	v_cmp_ne_u32_e32 vcc, s24, v2
                                        ; implicit-def: $vgpr2
	s_and_saveexec_b64 s[0:1], vcc
	s_xor_b64 s[0:1], exec, s[0:1]
; %bb.635:                              ;   in Loop: Header=BB334_291 Depth=1
	v_bfe_u32 v2, v4, 16, 1
	v_add3_u32 v2, v4, v2, s25
                                        ; implicit-def: $vgpr4
; %bb.636:                              ;   in Loop: Header=BB334_291 Depth=1
	s_andn2_saveexec_b64 s[0:1], s[0:1]
; %bb.637:                              ;   in Loop: Header=BB334_291 Depth=1
	v_or_b32_e32 v2, 0x10000, v4
	v_cmp_eq_u32_sdwa vcc, v4, v23 src0_sel:WORD_0 src1_sel:DWORD
	v_cndmask_b32_e32 v2, v2, v4, vcc
; %bb.638:                              ;   in Loop: Header=BB334_291 Depth=1
	s_or_b64 exec, exec, s[0:1]
	v_lshlrev_b32_e32 v4, 16, v52
	v_mul_f32_e32 v30, v38, v4
	v_and_b32_e32 v4, 0x7f800000, v30
	v_cmp_ne_u32_e32 vcc, s24, v4
                                        ; implicit-def: $vgpr4
	s_and_saveexec_b64 s[0:1], vcc
	s_xor_b64 s[0:1], exec, s[0:1]
; %bb.639:                              ;   in Loop: Header=BB334_291 Depth=1
	v_bfe_u32 v4, v30, 16, 1
	v_add3_u32 v4, v30, v4, s25
                                        ; implicit-def: $vgpr30
; %bb.640:                              ;   in Loop: Header=BB334_291 Depth=1
	s_andn2_saveexec_b64 s[0:1], s[0:1]
; %bb.641:                              ;   in Loop: Header=BB334_291 Depth=1
	v_or_b32_e32 v4, 0x10000, v30
	v_cmp_eq_u32_sdwa vcc, v30, v23 src0_sel:WORD_0 src1_sel:DWORD
	v_cndmask_b32_e32 v4, v4, v30, vcc
; %bb.642:                              ;   in Loop: Header=BB334_291 Depth=1
	s_or_b64 exec, exec, s[0:1]
	v_lshlrev_b32_e32 v30, 16, v53
	v_mul_f32_e32 v31, v39, v30
	v_and_b32_e32 v30, 0x7f800000, v31
	v_cmp_ne_u32_e32 vcc, s24, v30
                                        ; implicit-def: $vgpr30
	s_and_saveexec_b64 s[0:1], vcc
	s_xor_b64 s[0:1], exec, s[0:1]
; %bb.643:                              ;   in Loop: Header=BB334_291 Depth=1
	v_bfe_u32 v30, v31, 16, 1
	v_add3_u32 v30, v31, v30, s25
                                        ; implicit-def: $vgpr31
; %bb.644:                              ;   in Loop: Header=BB334_291 Depth=1
	s_andn2_saveexec_b64 s[0:1], s[0:1]
; %bb.645:                              ;   in Loop: Header=BB334_291 Depth=1
	v_or_b32_e32 v30, 0x10000, v31
	v_cmp_eq_u32_sdwa vcc, v31, v23 src0_sel:WORD_0 src1_sel:DWORD
	v_cndmask_b32_e32 v30, v30, v31, vcc
; %bb.646:                              ;   in Loop: Header=BB334_291 Depth=1
	s_or_b64 exec, exec, s[0:1]
	v_lshlrev_b32_e32 v31, 16, v54
	v_mul_f32_e32 v32, v40, v31
	v_and_b32_e32 v31, 0x7f800000, v32
	v_cmp_ne_u32_e32 vcc, s24, v31
                                        ; implicit-def: $vgpr31
	s_and_saveexec_b64 s[0:1], vcc
	s_xor_b64 s[0:1], exec, s[0:1]
; %bb.647:                              ;   in Loop: Header=BB334_291 Depth=1
	v_bfe_u32 v31, v32, 16, 1
	v_add3_u32 v31, v32, v31, s25
                                        ; implicit-def: $vgpr32
; %bb.648:                              ;   in Loop: Header=BB334_291 Depth=1
	s_andn2_saveexec_b64 s[0:1], s[0:1]
; %bb.649:                              ;   in Loop: Header=BB334_291 Depth=1
	v_or_b32_e32 v31, 0x10000, v32
	v_cmp_eq_u32_sdwa vcc, v32, v23 src0_sel:WORD_0 src1_sel:DWORD
	v_cndmask_b32_e32 v31, v31, v32, vcc
; %bb.650:                              ;   in Loop: Header=BB334_291 Depth=1
	s_or_b64 exec, exec, s[0:1]
	v_lshlrev_b32_e32 v32, 16, v55
	v_mul_f32_e32 v33, v41, v32
	v_and_b32_e32 v32, 0x7f800000, v33
	v_cmp_ne_u32_e32 vcc, s24, v32
                                        ; implicit-def: $vgpr32
	s_and_saveexec_b64 s[0:1], vcc
	s_xor_b64 s[0:1], exec, s[0:1]
; %bb.651:                              ;   in Loop: Header=BB334_291 Depth=1
	v_bfe_u32 v32, v33, 16, 1
	v_add3_u32 v32, v33, v32, s25
                                        ; implicit-def: $vgpr33
; %bb.652:                              ;   in Loop: Header=BB334_291 Depth=1
	s_andn2_saveexec_b64 s[0:1], s[0:1]
; %bb.653:                              ;   in Loop: Header=BB334_291 Depth=1
	v_or_b32_e32 v32, 0x10000, v33
	v_cmp_eq_u32_sdwa vcc, v33, v23 src0_sel:WORD_0 src1_sel:DWORD
	v_cndmask_b32_e32 v32, v32, v33, vcc
; %bb.654:                              ;   in Loop: Header=BB334_291 Depth=1
	s_or_b64 exec, exec, s[0:1]
	v_lshlrev_b32_e32 v33, 16, v56
	v_mul_f32_e32 v34, v42, v33
	v_and_b32_e32 v33, 0x7f800000, v34
	v_cmp_ne_u32_e32 vcc, s24, v33
                                        ; implicit-def: $vgpr33
	s_and_saveexec_b64 s[0:1], vcc
	s_xor_b64 s[0:1], exec, s[0:1]
; %bb.655:                              ;   in Loop: Header=BB334_291 Depth=1
	v_bfe_u32 v33, v34, 16, 1
	v_add3_u32 v33, v34, v33, s25
                                        ; implicit-def: $vgpr34
; %bb.656:                              ;   in Loop: Header=BB334_291 Depth=1
	s_andn2_saveexec_b64 s[0:1], s[0:1]
; %bb.657:                              ;   in Loop: Header=BB334_291 Depth=1
	v_or_b32_e32 v33, 0x10000, v34
	v_cmp_eq_u32_sdwa vcc, v34, v23 src0_sel:WORD_0 src1_sel:DWORD
	v_cndmask_b32_e32 v33, v33, v34, vcc
; %bb.658:                              ;   in Loop: Header=BB334_291 Depth=1
	s_or_b64 exec, exec, s[0:1]
	v_lshlrev_b32_e32 v20, 16, v20
	v_mul_f32_e32 v34, v43, v20
	v_and_b32_e32 v20, 0x7f800000, v34
	v_cmp_ne_u32_e32 vcc, s24, v20
                                        ; implicit-def: $vgpr20
	s_and_saveexec_b64 s[0:1], vcc
	s_xor_b64 s[0:1], exec, s[0:1]
; %bb.659:                              ;   in Loop: Header=BB334_291 Depth=1
	v_bfe_u32 v20, v34, 16, 1
	v_add3_u32 v20, v34, v20, s25
                                        ; implicit-def: $vgpr34
; %bb.660:                              ;   in Loop: Header=BB334_291 Depth=1
	s_andn2_saveexec_b64 s[0:1], s[0:1]
; %bb.661:                              ;   in Loop: Header=BB334_291 Depth=1
	v_or_b32_e32 v20, 0x10000, v34
	v_cmp_eq_u32_sdwa vcc, v34, v23 src0_sel:WORD_0 src1_sel:DWORD
	v_cndmask_b32_e32 v20, v20, v34, vcc
; %bb.662:                              ;   in Loop: Header=BB334_291 Depth=1
	s_or_b64 exec, exec, s[0:1]
	v_lshlrev_b32_e32 v3, 16, v3
	v_mul_f32_e32 v34, v44, v3
	v_and_b32_e32 v3, 0x7f800000, v34
	v_cmp_ne_u32_e32 vcc, s24, v3
                                        ; implicit-def: $vgpr3
	s_and_saveexec_b64 s[0:1], vcc
	s_xor_b64 s[0:1], exec, s[0:1]
; %bb.663:                              ;   in Loop: Header=BB334_291 Depth=1
	v_bfe_u32 v3, v34, 16, 1
	v_add3_u32 v3, v34, v3, s25
                                        ; implicit-def: $vgpr34
; %bb.664:                              ;   in Loop: Header=BB334_291 Depth=1
	s_andn2_saveexec_b64 s[0:1], s[0:1]
	s_cbranch_execz .LBB334_289
; %bb.665:                              ;   in Loop: Header=BB334_291 Depth=1
	v_or_b32_e32 v3, 0x10000, v34
	v_cmp_eq_u32_sdwa vcc, v34, v23 src0_sel:WORD_0 src1_sel:DWORD
	v_cndmask_b32_e32 v3, v3, v34, vcc
	s_branch .LBB334_289
.LBB334_666:
	s_or_b64 exec, exec, s[10:11]
.LBB334_667:
	s_or_b64 exec, exec, s[4:5]
	v_and_b32_e32 v1, 0x3c0, v0
	v_cmp_eq_u32_e32 vcc, 64, v1
	s_barrier
	s_and_saveexec_b64 s[0:1], vcc
	s_cbranch_execz .LBB334_669
; %bb.668:
	v_mov_b32_e32 v1, 0x190
	v_lshl_add_u32 v2, v11, 2, v1
	v_lshl_add_u32 v1, v0, 2, v1
	ds_write_b32 v2, v12
	ds_write_b32 v1, v13
	ds_write_b32 v2, v10 offset:512
.LBB334_669:
	s_or_b64 exec, exec, s[0:1]
	v_cmp_gt_u32_e32 vcc, 64, v0
	s_waitcnt lgkmcnt(0)
	s_barrier
	s_and_saveexec_b64 s[0:1], vcc
	s_cbranch_execz .LBB334_671
; %bb.670:
	v_mov_b32_e32 v1, 0x190
	v_lshl_add_u32 v1, v0, 2, v1
	ds_read2st64_b32 v[2:3], v1 offset1:1
	ds_read_b32 v1, v1 offset:512
	s_waitcnt lgkmcnt(1)
	v_pk_add_f32 v[12:13], v[12:13], v[2:3]
	s_waitcnt lgkmcnt(0)
	v_add_f32_e32 v10, v10, v1
.LBB334_671:
	s_or_b64 exec, exec, s[0:1]
	s_barrier
	s_and_saveexec_b64 s[0:1], vcc
	s_cbranch_execz .LBB334_685
; %bb.672:
	s_mov_b32 s0, 0x7f800000
	v_and_b32_e32 v1, 0x7f800000, v12
	v_cmp_ne_u32_e32 vcc, s0, v1
                                        ; implicit-def: $vgpr2
	s_and_saveexec_b64 s[0:1], vcc
	s_xor_b64 s[0:1], exec, s[0:1]
; %bb.673:
	v_bfe_u32 v1, v12, 16, 1
	s_movk_i32 s3, 0x7fff
	v_add3_u32 v2, v12, v1, s3
; %bb.674:
	s_andn2_saveexec_b64 s[0:1], s[0:1]
; %bb.675:
	v_mov_b32_e32 v1, 0
	v_or_b32_e32 v2, 0x10000, v12
	v_cmp_eq_u32_sdwa vcc, v12, v1 src0_sel:WORD_0 src1_sel:DWORD
	v_cndmask_b32_e32 v2, v2, v12, vcc
; %bb.676:
	s_or_b64 exec, exec, s[0:1]
	s_mul_i32 s0, s2, 0xc0
	s_ashr_i32 s1, s0, 31
	s_lshl_b64 s[0:1], s[0:1], 1
	s_add_u32 s2, s34, s0
	s_mul_i32 s0, s33, s36
	s_addc_u32 s3, s35, s1
	s_ashr_i32 s1, s0, 31
	s_lshl_b64 s[0:1], s[0:1], 1
	s_add_u32 s2, s2, s0
	s_mul_i32 s0, s8, 0xc0
	s_addc_u32 s3, s3, s1
	s_ashr_i32 s1, s0, 31
	s_lshl_b64 s[0:1], s[0:1], 1
	s_add_u32 s0, s2, s0
	s_addc_u32 s1, s3, s1
	v_lshlrev_b32_e32 v3, 1, v0
	v_mov_b32_e32 v1, s1
	v_add_co_u32_e32 v0, vcc, s0, v3
	v_addc_co_u32_e32 v1, vcc, 0, v1, vcc
	global_store_short_d16_hi v3, v2, s[0:1]
	s_mov_b32 s0, 0x7f800000
	v_and_b32_e32 v2, 0x7f800000, v13
	v_cmp_ne_u32_e32 vcc, s0, v2
                                        ; implicit-def: $vgpr2
	s_and_saveexec_b64 s[0:1], vcc
	s_xor_b64 s[0:1], exec, s[0:1]
; %bb.677:
	v_bfe_u32 v2, v13, 16, 1
	s_movk_i32 s2, 0x7fff
	v_add3_u32 v2, v13, v2, s2
; %bb.678:
	s_andn2_saveexec_b64 s[0:1], s[0:1]
; %bb.679:
	v_mov_b32_e32 v2, 0
	v_or_b32_e32 v3, 0x10000, v13
	v_cmp_eq_u32_sdwa vcc, v13, v2 src0_sel:WORD_0 src1_sel:DWORD
	v_cndmask_b32_e32 v2, v3, v13, vcc
; %bb.680:
	s_or_b64 exec, exec, s[0:1]
	global_store_short_d16_hi v[0:1], v2, off offset:128
	s_mov_b32 s0, 0x7f800000
	v_and_b32_e32 v2, 0x7f800000, v10
	v_cmp_ne_u32_e32 vcc, s0, v2
                                        ; implicit-def: $vgpr2
	s_and_saveexec_b64 s[0:1], vcc
	s_xor_b64 s[0:1], exec, s[0:1]
; %bb.681:
	v_bfe_u32 v2, v10, 16, 1
	s_movk_i32 s2, 0x7fff
	v_add3_u32 v2, v10, v2, s2
                                        ; implicit-def: $vgpr8_vgpr9_vgpr10
; %bb.682:
	s_andn2_saveexec_b64 s[0:1], s[0:1]
; %bb.683:
	v_mov_b32_e32 v2, 0
	v_or_b32_e32 v3, 0x10000, v10
	v_cmp_eq_u32_sdwa vcc, v10, v2 src0_sel:WORD_0 src1_sel:DWORD
	v_cndmask_b32_e32 v2, v3, v10, vcc
; %bb.684:
	s_or_b64 exec, exec, s[0:1]
	global_store_short_d16_hi v[0:1], v2, off offset:256
.LBB334_685:
	s_endpgm
	.section	.rodata,"a",@progbits
	.p2align	6, 0x0
	.amdhsa_kernel _ZN4vllm25paged_attention_v2_kernelI14__hip_bfloat16hLi192ELi8ELi128ELNS_18Fp8KVCacheDataTypeE1ELb1ELi512EEEvPfS3_PT_PKS4_PKT0_SA_ifPKiSC_iPKfiiiSE_SE_iiiii
		.amdhsa_group_segment_fixed_size 400
		.amdhsa_private_segment_fixed_size 0
		.amdhsa_kernarg_size 400
		.amdhsa_user_sgpr_count 6
		.amdhsa_user_sgpr_private_segment_buffer 1
		.amdhsa_user_sgpr_dispatch_ptr 0
		.amdhsa_user_sgpr_queue_ptr 0
		.amdhsa_user_sgpr_kernarg_segment_ptr 1
		.amdhsa_user_sgpr_dispatch_id 0
		.amdhsa_user_sgpr_flat_scratch_init 0
		.amdhsa_user_sgpr_kernarg_preload_length 0
		.amdhsa_user_sgpr_kernarg_preload_offset 0
		.amdhsa_user_sgpr_private_segment_size 0
		.amdhsa_uses_dynamic_stack 0
		.amdhsa_system_sgpr_private_segment_wavefront_offset 0
		.amdhsa_system_sgpr_workgroup_id_x 1
		.amdhsa_system_sgpr_workgroup_id_y 1
		.amdhsa_system_sgpr_workgroup_id_z 1
		.amdhsa_system_sgpr_workgroup_info 0
		.amdhsa_system_vgpr_workitem_id 0
		.amdhsa_next_free_vgpr 73
		.amdhsa_next_free_sgpr 65
		.amdhsa_accum_offset 76
		.amdhsa_reserve_vcc 1
		.amdhsa_reserve_flat_scratch 0
		.amdhsa_float_round_mode_32 0
		.amdhsa_float_round_mode_16_64 0
		.amdhsa_float_denorm_mode_32 3
		.amdhsa_float_denorm_mode_16_64 3
		.amdhsa_dx10_clamp 1
		.amdhsa_ieee_mode 1
		.amdhsa_fp16_overflow 0
		.amdhsa_tg_split 0
		.amdhsa_exception_fp_ieee_invalid_op 0
		.amdhsa_exception_fp_denorm_src 0
		.amdhsa_exception_fp_ieee_div_zero 0
		.amdhsa_exception_fp_ieee_overflow 0
		.amdhsa_exception_fp_ieee_underflow 0
		.amdhsa_exception_fp_ieee_inexact 0
		.amdhsa_exception_int_div_zero 0
	.end_amdhsa_kernel
	.section	.text._ZN4vllm25paged_attention_v2_kernelI14__hip_bfloat16hLi192ELi8ELi128ELNS_18Fp8KVCacheDataTypeE1ELb1ELi512EEEvPfS3_PT_PKS4_PKT0_SA_ifPKiSC_iPKfiiiSE_SE_iiiii,"axG",@progbits,_ZN4vllm25paged_attention_v2_kernelI14__hip_bfloat16hLi192ELi8ELi128ELNS_18Fp8KVCacheDataTypeE1ELb1ELi512EEEvPfS3_PT_PKS4_PKT0_SA_ifPKiSC_iPKfiiiSE_SE_iiiii,comdat
.Lfunc_end334:
	.size	_ZN4vllm25paged_attention_v2_kernelI14__hip_bfloat16hLi192ELi8ELi128ELNS_18Fp8KVCacheDataTypeE1ELb1ELi512EEEvPfS3_PT_PKS4_PKT0_SA_ifPKiSC_iPKfiiiSE_SE_iiiii, .Lfunc_end334-_ZN4vllm25paged_attention_v2_kernelI14__hip_bfloat16hLi192ELi8ELi128ELNS_18Fp8KVCacheDataTypeE1ELb1ELi512EEEvPfS3_PT_PKS4_PKT0_SA_ifPKiSC_iPKfiiiSE_SE_iiiii
                                        ; -- End function
	.section	.AMDGPU.csdata,"",@progbits
; Kernel info:
; codeLenInByte = 20344
; NumSgprs: 69
; NumVgprs: 73
; NumAgprs: 0
; TotalNumVgprs: 73
; ScratchSize: 0
; MemoryBound: 0
; FloatMode: 240
; IeeeMode: 1
; LDSByteSize: 400 bytes/workgroup (compile time only)
; SGPRBlocks: 8
; VGPRBlocks: 9
; NumSGPRsForWavesPerEU: 69
; NumVGPRsForWavesPerEU: 73
; AccumOffset: 76
; Occupancy: 6
; WaveLimiterHint : 1
; COMPUTE_PGM_RSRC2:SCRATCH_EN: 0
; COMPUTE_PGM_RSRC2:USER_SGPR: 6
; COMPUTE_PGM_RSRC2:TRAP_HANDLER: 0
; COMPUTE_PGM_RSRC2:TGID_X_EN: 1
; COMPUTE_PGM_RSRC2:TGID_Y_EN: 1
; COMPUTE_PGM_RSRC2:TGID_Z_EN: 1
; COMPUTE_PGM_RSRC2:TIDIG_COMP_CNT: 0
; COMPUTE_PGM_RSRC3_GFX90A:ACCUM_OFFSET: 18
; COMPUTE_PGM_RSRC3_GFX90A:TG_SPLIT: 0
	.text
	.p2align	2                               ; -- Begin function _ZN4vllm22paged_attention_kernelI14__hip_bfloat16hLi256ELi8ELi128ELNS_18Fp8KVCacheDataTypeE1ELb1ELi512EEEvPfS3_PT_PKS4_PKT0_SA_ifPKiSC_iPKfiiiSE_SE_iiiii
	.type	_ZN4vllm22paged_attention_kernelI14__hip_bfloat16hLi256ELi8ELi128ELNS_18Fp8KVCacheDataTypeE1ELb1ELi512EEEvPfS3_PT_PKS4_PKT0_SA_ifPKiSC_iPKfiiiSE_SE_iiiii,@function
_ZN4vllm22paged_attention_kernelI14__hip_bfloat16hLi256ELi8ELi128ELNS_18Fp8KVCacheDataTypeE1ELb1ELi512EEEvPfS3_PT_PKS4_PKT0_SA_ifPKiSC_iPKfiiiSE_SE_iiiii: ; @_ZN4vllm22paged_attention_kernelI14__hip_bfloat16hLi256ELi8ELi128ELNS_18Fp8KVCacheDataTypeE1ELb1ELi512EEEvPfS3_PT_PKS4_PKT0_SA_ifPKiSC_iPKfiiiSE_SE_iiiii
; %bb.0:
	s_waitcnt vmcnt(0) expcnt(0) lgkmcnt(0)
	s_or_saveexec_b64 s[4:5], -1
	buffer_store_dword v63, off, s[0:3], s32 offset:156 ; 4-byte Folded Spill
	s_mov_b64 exec, s[4:5]
	buffer_store_dword v40, off, s[0:3], s32 offset:144 ; 4-byte Folded Spill
	buffer_store_dword v41, off, s[0:3], s32 offset:140 ; 4-byte Folded Spill
	;; [unrolled: 1-line block ×35, first 2 shown]
	v_writelane_b32 v63, s34, 0
	v_writelane_b32 v63, s35, 1
	;; [unrolled: 1-line block ×11, first 2 shown]
	s_mov_b32 s22, s13
	s_ashr_i32 s23, s13, 31
	v_accvgpr_write_b32 a33, v25
	s_lshl_b64 s[4:5], s[22:23], 2
	v_accvgpr_write_b32 a32, v24
	v_mov_b32_e32 v24, v1
	v_mov_b32_e32 v25, v0
	v_mov_b32_e32 v1, s5
	v_add_co_u32_e32 v0, vcc, s4, v16
	v_accvgpr_write_b32 a4, v26
	v_addc_co_u32_e32 v1, vcc, v17, v1, vcc
	v_accvgpr_write_b32 a5, v27
	v_mov_b32_e32 v27, v2
	flat_load_dword v2, v[0:1]
	s_nop 0
	buffer_load_dword v0, off, s[0:3], s32 offset:4
	buffer_load_dword v1, off, s[0:3], s32
	s_lshl_b32 s23, s14, 9
	v_accvgpr_write_b32 a6, v22
	v_mov_b32_e32 v33, v20
	v_mov_b32_e32 v32, v19
	v_accvgpr_write_b32 a34, v13
	v_mov_b32_e32 v20, v11
	v_mov_b32_e32 v22, v10
	v_accvgpr_write_b32 a0, v5
	v_accvgpr_write_b32 a1, v4
	v_mov_b32_e32 v26, v3
	s_waitcnt vmcnt(0) lgkmcnt(0)
	v_accvgpr_write_b32 a3, v2
	v_cmp_lt_i32_e32 vcc, s23, v2
	s_and_saveexec_b64 s[16:17], vcc
	s_cbranch_execz .LBB335_883
; %bb.1:
	v_sub_u32_e32 v2, 0, v12
	v_max_i32_e32 v2, v12, v2
	v_cvt_f32_u32_e32 v3, v2
	s_load_dword s4, s[8:9], 0x10
	s_load_dword s6, s[8:9], 0x0
	v_sub_u32_e32 v5, 0, v2
	s_mov_b32 s20, s15
	v_rcp_iflag_f32_e32 v3, v3
	s_waitcnt lgkmcnt(0)
	s_lshr_b32 s4, s4, 16
	s_cmp_lg_u32 s4, 0
	s_cselect_b64 s[4:5], -1, 0
	v_mul_f32_e32 v3, 0x4f7ffffe, v3
	v_cvt_u32_f32_e32 v3, v3
	s_cmp_lg_u64 s[4:5], 0
	s_addc_u32 s15, s6, 0
	s_abs_i32 s4, s15
	v_mul_lo_u32 v5, v5, v3
	v_mul_hi_u32 v5, v3, v5
	v_add_u32_e32 v3, v3, v5
	v_mul_hi_u32 v3, s4, v3
	v_mul_lo_u32 v5, v3, v2
	v_sub_u32_e32 v5, s4, v5
	v_add_u32_e32 v10, 1, v3
	v_cmp_ge_u32_e32 vcc, v5, v2
	v_cndmask_b32_e32 v3, v3, v10, vcc
	v_sub_u32_e32 v10, v5, v2
	v_cndmask_b32_e32 v5, v5, v10, vcc
	v_xor_b32_e32 v4, s15, v12
	v_add_u32_e32 v10, 1, v3
	v_cmp_ge_u32_e32 vcc, v5, v2
	v_ashrrev_i32_e32 v4, 31, v4
	v_cndmask_b32_e32 v2, v3, v10, vcc
	v_xor_b32_e32 v2, v2, v4
	v_sub_u32_e32 v3, v2, v4
	v_sub_u32_e32 v2, 0, v3
	v_max_i32_e32 v2, v3, v2
	v_cvt_f32_u32_e32 v4, v2
	v_sub_u32_e32 v5, 0, v2
	s_abs_i32 s10, s12
	v_cmp_ne_u64_e32 vcc, 0, v[32:33]
	v_rcp_iflag_f32_e32 v4, v4
	v_mul_f32_e32 v4, 0x4f7ffffe, v4
	v_cvt_u32_f32_e32 v4, v4
	v_mul_lo_u32 v5, v5, v4
	v_mul_hi_u32 v5, v4, v5
	v_add_u32_e32 v4, v4, v5
	v_mad_u64_u32 v[16:17], s[4:5], s10, v4, 0
	v_mov_b32_e32 v4, 0
	buffer_store_dword v4, off, s[0:3], s32 offset:152 ; 4-byte Folded Spill
	s_and_saveexec_b64 s[4:5], vcc
	s_cbranch_execz .LBB335_3
; %bb.2:
	s_ashr_i32 s13, s12, 31
	s_lshl_b64 s[6:7], s[12:13], 2
	v_mov_b32_e32 v5, s7
	v_add_co_u32_e32 v4, vcc, s6, v32
	v_addc_co_u32_e32 v5, vcc, v33, v5, vcc
	flat_load_dword v4, v[4:5]
	s_waitcnt vmcnt(0) lgkmcnt(0)
	buffer_store_dword v4, off, s[0:3], s32 offset:152 ; 4-byte Folded Spill
.LBB335_3:
	s_or_b64 exec, exec, s[4:5]
	s_load_dword s11, s[8:9], 0x14
	s_load_dword s13, s[8:9], 0x8
	v_and_b32_e32 v4, 0x3ff, v31
	v_and_b32_e32 v10, 7, v4
	s_lshl_b32 s18, s12, 8
	s_movk_i32 s4, 0x100
	v_accvgpr_write_b32 a36, v10
	s_ashr_i32 s19, s18, 31
	v_accvgpr_write_b32 a2, v4
	v_cmp_gt_u32_e32 vcc, s4, v4
	s_and_saveexec_b64 s[6:7], vcc
	s_cbranch_execz .LBB335_6
; %bb.4:
	v_mul_lo_u32 v10, s22, v21
	v_ashrrev_i32_e32 v11, 31, v10
	v_lshlrev_b64 v[10:11], 1, v[10:11]
	s_lshl_b64 s[4:5], s[18:19], 1
	v_accvgpr_read_b32 v4, a2
	v_mov_b32_e32 v13, s5
	v_add_co_u32_e32 v10, vcc, s4, v10
	v_accvgpr_read_b32 v16, a36
	v_lshrrev_b32_e32 v5, 3, v4
	v_addc_co_u32_e32 v11, vcc, v11, v13, vcc
	v_lshlrev_b32_e32 v13, 1, v16
	v_lshl_or_b32 v13, v5, 4, v13
	v_add_co_u32_e32 v10, vcc, v10, v13
	v_addc_co_u32_e32 v11, vcc, 0, v11, vcc
	v_add_u32_e32 v4, -16, v5
	v_add_co_u32_e32 v6, vcc, v6, v10
	v_lshlrev_b32_e32 v5, 1, v5
	v_addc_co_u32_e32 v7, vcc, v7, v11, vcc
	v_lshl_add_u32 v5, v16, 6, v5
	s_mov_b64 s[8:9], 0
.LBB335_5:                              ; =>This Inner Loop Header: Depth=1
	flat_load_ushort v10, v[6:7]
	v_add_co_u32_e64 v4, s[4:5], 16, v4
	s_xor_b64 s[4:5], s[4:5], -1
	v_add_co_u32_e32 v6, vcc, 0x100, v6
	s_and_b64 s[4:5], exec, s[4:5]
	v_addc_co_u32_e32 v7, vcc, 0, v7, vcc
	s_or_b64 s[8:9], s[4:5], s[8:9]
	s_waitcnt vmcnt(0) lgkmcnt(0)
	ds_write_b16 v5, v10
	v_add_u32_e32 v5, 32, v5
	s_andn2_b64 exec, exec, s[8:9]
	s_cbranch_execnz .LBB335_5
.LBB335_6:
	s_or_b64 exec, exec, s[6:7]
	v_mul_lo_u32 v4, v17, v2
	v_sub_u32_e32 v4, s10, v4
	v_add_u32_e32 v5, 1, v17
	v_cmp_ge_u32_e32 vcc, v4, v2
	v_sub_u32_e32 v6, v4, v2
	v_cndmask_b32_e32 v5, v17, v5, vcc
	v_cndmask_b32_e32 v4, v4, v6, vcc
	v_add_u32_e32 v6, 1, v5
	v_cmp_ge_u32_e32 vcc, v4, v2
	v_sub_u32_e32 v4, 0, v1
	v_cndmask_b32_e32 v2, v5, v6, vcc
	v_max_i32_e32 v5, v1, v4
	v_cvt_f32_u32_e32 v4, v5
	s_ashr_i32 s4, s12, 31
	v_ashrrev_i32_e32 v3, 31, v3
	v_xor_b32_e32 v3, s4, v3
	v_xor_b32_e32 v2, v2, v3
	v_sub_u32_e32 v6, v2, v3
	v_rcp_iflag_f32_e32 v2, v4
	v_accvgpr_read_b32 v3, a3
	v_accvgpr_write_b32 a7, v5
	v_sub_u32_e32 v5, 0, v5
	v_mul_f32_e32 v2, 0x4f7ffffe, v2
	v_cvt_u32_f32_e32 v4, v2
	v_add_u32_e32 v3, -1, v3
	v_sub_u32_e32 v2, 0, v3
	v_max_i32_e32 v2, v3, v2
	v_mul_lo_u32 v5, v5, v4
	v_mul_hi_u32 v5, v4, v5
	v_add_u32_e32 v4, v4, v5
	s_waitcnt lgkmcnt(0)
	s_lshr_b32 s19, s11, 16
	v_accvgpr_write_b32 a8, v4
	v_mad_u64_u32 v[16:17], s[4:5], v2, v4, 0
	v_cmp_gt_i32_e32 vcc, 0, v0
	s_barrier
	s_waitcnt lgkmcnt(0)
                                        ; implicit-def: $agpr10
	s_and_saveexec_b64 s[4:5], vcc
	s_xor_b64 s[4:5], exec, s[4:5]
; %bb.7:
	v_mad_u64_u32 v[4:5], s[6:7], v28, v12, v[6:7]
	v_mul_lo_u32 v0, v4, v0
	v_sub_u32_e32 v0, 1, v0
	v_accvgpr_write_b32 a10, v0
                                        ; implicit-def: $vgpr28
                                        ; implicit-def: $vgpr0
; %bb.8:
	s_or_saveexec_b64 s[4:5], s[4:5]
	v_ashrrev_i32_e32 v1, 31, v1
	v_ashrrev_i32_e32 v3, 31, v3
	v_accvgpr_write_b32 a9, v1
	s_xor_b64 exec, exec, s[4:5]
; %bb.9:
	v_mul_lo_u32 v1, s15, v28
	v_add_u32_e32 v1, s12, v1
	v_mad_u64_u32 v[0:1], s[6:7], v1, v0, 1
	v_accvgpr_write_b32 a10, v0
; %bb.10:
	s_or_b64 exec, exec, s[4:5]
	v_accvgpr_read_b32 v4, a9
	v_accvgpr_read_b32 v7, a7
	v_xor_b32_e32 v3, v3, v4
	v_mul_lo_u32 v4, v17, v7
	v_sub_u32_e32 v2, v2, v4
	v_add_u32_e32 v4, 1, v17
	v_cmp_ge_u32_e32 vcc, v2, v7
	v_sub_u32_e32 v5, v2, v7
	v_cndmask_b32_e32 v4, v17, v4, vcc
	v_cndmask_b32_e32 v2, v2, v5, vcc
	v_add_u32_e32 v5, 1, v4
	v_cmp_ge_u32_e32 vcc, v2, v7
	v_cndmask_b32_e32 v2, v4, v5, vcc
	v_xor_b32_e32 v2, v2, v3
	v_sub_u32_e32 v2, v2, v3
	v_accvgpr_read_b32 v3, a3
	v_add_u32_e32 v3, 7, v3
	v_ashrrev_i32_e32 v4, 31, v3
	v_lshrrev_b32_e32 v4, 29, v4
	v_add_u32_e32 v3, v3, v4
	v_ashrrev_i32_e32 v31, 3, v3
	v_accvgpr_read_b32 v3, a2
	s_lshl_b32 s38, s14, 6
	v_lshrrev_b32_e32 v21, 6, v3
	v_mul_lo_u32 v0, s22, v18
	v_or_b32_e32 v10, s38, v21
	v_ashrrev_i32_e32 v1, 31, v0
	s_add_i32 s4, s38, 64
	v_ashrrev_i32_e32 v11, 31, v10
	v_min_i32_e32 v4, s4, v31
	v_sub_u32_e32 v2, v2, v29
	v_mul_lo_u32 v23, v6, v23
	v_accvgpr_write_b32 a13, v11
	v_lshlrev_b64 v[28:29], 2, v[0:1]
	v_lshl_add_u32 v0, v21, 3, s23
	v_accvgpr_write_b32 a11, v4
	v_cmp_lt_i32_e64 s[4:5], v10, v4
	v_mov_b32_e32 v4, 0xff7fffff
	v_accvgpr_write_b32 a14, v2
	v_accvgpr_write_b32 a12, v10
	v_ashrrev_i32_e32 v32, 31, v23
	v_sub_u32_e32 v33, 0, v30
	v_accvgpr_write_b32 a15, v0
	v_mbcnt_lo_u32_b32 v5, -1, 0
	s_and_saveexec_b64 s[24:25], s[4:5]
	s_cbranch_execz .LBB335_340
; %bb.11:
	v_bfe_u32 v6, v3, 3, 3
	v_add_co_u32_e64 v0, s[6:7], v8, v23
	v_addc_co_u32_e64 v1, s[6:7], v9, v32, s[6:7]
	v_lshlrev_b32_e32 v2, 4, v6
	v_add_co_u32_e64 v0, s[6:7], v0, v2
	v_addc_co_u32_e64 v1, s[6:7], 0, v1, s[6:7]
	v_accvgpr_read_b32 v4, a36
	v_accvgpr_write_b32 a39, v1
	v_accvgpr_write_b32 a38, v0
	v_lshlrev_b32_e32 v1, 6, v4
	v_accvgpr_write_b32 a41, v1
	buffer_load_dword v1, off, s[0:3], s32 offset:152 ; 4-byte Folded Reload
	v_max_i32_e32 v2, v30, v33
	v_cvt_f32_u32_e32 v0, v2
	s_ashr_i32 s21, s20, 31
	s_lshl_b64 s[8:9], s[20:21], 2
	v_accvgpr_write_b32 a40, v2
	v_rcp_iflag_f32_e32 v0, v0
	s_getpc_b64 s[10:11]
	s_add_u32 s10, s10, llvm.amdgcn.dynlds.offset.table@rel32@lo+4
	s_addc_u32 s11, s11, llvm.amdgcn.dynlds.offset.table@rel32@hi+12
	s_add_u32 s26, s8, s10
	s_addc_u32 s27, s9, s11
	v_mul_f32_e32 v0, 0x4f7ffffe, v0
	v_cvt_u32_f32_e32 v0, v0
	s_load_dword s21, s[26:27], 0x0
	v_accvgpr_write_b32 a26, v28
	v_accvgpr_write_b32 a28, v31
	;; [unrolled: 1-line block ×8, first 2 shown]
	v_cmp_eq_u32_e32 vcc, 0, v4
	v_accvgpr_write_b32 a29, v23
	v_accvgpr_write_b32 a30, v32
	;; [unrolled: 1-line block ×7, first 2 shown]
	v_lshl_add_u32 v4, v21, 3, s23
	v_accvgpr_write_b32 a25, v21
	v_accvgpr_write_b32 a37, v6
	s_mov_b64 s[28:29], 0
	s_movk_i32 s39, 0x80
	s_movk_i32 s40, 0x7f
	s_mov_b32 s41, 0x7f800000
	s_movk_i32 s42, 0x7fff
	v_accvgpr_write_b32 a35, v5
	s_waitcnt vmcnt(0)
	v_cmp_neq_f32_e64 s[6:7], 0, v1
	v_sub_u32_e32 v1, 0, v2
	v_mul_lo_u32 v1, v1, v0
	v_mul_hi_u32 v1, v0, v1
	v_accvgpr_read_b32 v2, a12
	v_add_u32_e32 v0, v0, v1
	v_accvgpr_read_b32 v3, a13
	v_accvgpr_write_b32 a42, v0
	v_lshlrev_b64 v[0:1], 2, v[2:3]
	v_add_co_u32_e64 v0, s[8:9], v28, v0
	v_addc_co_u32_e64 v1, s[8:9], v29, v1, s[8:9]
	v_mov_b32_e32 v3, v14
	v_add_co_u32_e64 v54, s[8:9], v3, v0
	v_lshlrev_b32_e32 v0, 2, v6
	v_lshl_or_b32 v0, v21, 5, v0
	v_accvgpr_write_b32 a43, v0
	v_accvgpr_read_b32 v0, a3
	v_sub_u32_e32 v0, v6, v0
	v_add_u32_e32 v0, 1, v0
	v_accvgpr_write_b32 a44, v0
	v_mbcnt_hi_u32_b32 v0, -1, v5
	v_addc_co_u32_e64 v55, s[8:9], v15, v1, s[8:9]
	v_accvgpr_write_b32 a45, v0
	v_mov_b32_e32 v0, 0xff7fffff
	v_mov_b32_e32 v1, v2
	buffer_store_dword v0, off, s[0:3], s32 offset:148 ; 4-byte Folded Spill
	s_branch .LBB335_14
.LBB335_12:                             ;   in Loop: Header=BB335_14 Depth=1
	s_or_b64 exec, exec, s[30:31]
.LBB335_13:                             ;   in Loop: Header=BB335_14 Depth=1
	s_or_b64 exec, exec, s[10:11]
	s_waitcnt lgkmcnt(0)
	v_accvgpr_read_b32 v1, a46
	v_add_co_u32_e64 v54, s[8:9], 8, v54
	v_add_u32_e32 v1, 2, v1
	v_addc_co_u32_e64 v55, s[8:9], 0, v55, s[8:9]
	v_accvgpr_read_b32 v0, a11
	v_cmp_ge_i32_e64 s[8:9], v1, v0
	v_accvgpr_read_b32 v0, a43
	v_add_u32_e32 v0, 64, v0
	v_add_u32_e32 v4, 16, v4
	s_or_b64 s[28:29], s[8:9], s[28:29]
	v_accvgpr_write_b32 a43, v0
	s_andn2_b64 exec, exec, s[28:29]
	s_cbranch_execz .LBB335_339
.LBB335_14:                             ; =>This Inner Loop Header: Depth=1
	v_accvgpr_write_b32 a46, v1
	v_ashrrev_i32_e32 v0, 31, v4
	v_accvgpr_read_b32 v1, a9
	v_xor_b32_e32 v0, v0, v1
	v_sub_u32_e32 v1, 0, v4
	v_max_i32_e32 v1, v4, v1
	v_accvgpr_read_b32 v2, a8
	v_mul_hi_u32 v2, v1, v2
	v_accvgpr_read_b32 v5, a7
	v_mul_lo_u32 v3, v2, v5
	v_sub_u32_e32 v1, v1, v3
	v_add_u32_e32 v3, 1, v2
	v_cmp_ge_u32_e64 s[8:9], v1, v5
	v_cndmask_b32_e64 v2, v2, v3, s[8:9]
	v_sub_u32_e32 v3, v1, v5
	v_cndmask_b32_e64 v1, v1, v3, s[8:9]
	v_add_u32_e32 v3, 1, v2
	v_cmp_ge_u32_e64 s[8:9], v1, v5
	v_cndmask_b32_e64 v1, v2, v3, s[8:9]
	v_xor_b32_e32 v1, v1, v0
	v_sub_u32_e32 v0, v1, v0
	v_accvgpr_read_b32 v2, a10
	v_add_u32_e32 v1, v0, v2
	v_sub_u32_e32 v3, 0, v1
	v_ashrrev_i32_e32 v2, 31, v1
	v_max_i32_e32 v1, v1, v3
	v_accvgpr_read_b32 v6, a42
	v_mul_hi_u32 v3, v1, v6
	v_accvgpr_read_b32 v5, a40
	v_mul_lo_u32 v3, v3, v5
	v_sub_u32_e32 v1, v1, v3
	v_sub_u32_e32 v3, v1, v5
	v_cmp_ge_u32_e64 s[8:9], v1, v5
	v_cndmask_b32_e64 v1, v1, v3, s[8:9]
	v_sub_u32_e32 v3, v1, v5
	v_cmp_ge_u32_e64 s[8:9], v1, v5
	v_cndmask_b32_e64 v1, v1, v3, s[8:9]
	v_xor_b32_e32 v1, v1, v2
	v_sub_u32_e32 v1, v1, v2
	v_cmp_ne_u32_e64 s[8:9], 0, v1
	v_accvgpr_read_b32 v1, a14
	v_cmp_le_i32_e64 s[10:11], v0, v1
	s_and_b64 s[8:9], s[8:9], s[10:11]
	s_and_b64 s[30:31], vcc, s[8:9]
	s_and_saveexec_b64 s[10:11], s[30:31]
	s_cbranch_execz .LBB335_16
; %bb.15:                               ;   in Loop: Header=BB335_14 Depth=1
	v_accvgpr_read_b32 v0, a43
	s_waitcnt lgkmcnt(0)
	v_add_u32_e32 v0, s21, v0
	v_mov_b32_e32 v1, 0xff7fffff
	ds_write_b32 v0, v1
.LBB335_16:                             ;   in Loop: Header=BB335_14 Depth=1
	s_or_b64 exec, exec, s[10:11]
	s_xor_b64 s[8:9], s[8:9], -1
	s_and_saveexec_b64 s[10:11], s[8:9]
	s_cbranch_execz .LBB335_13
; %bb.17:                               ;   in Loop: Header=BB335_14 Depth=1
	flat_load_dword v0, v[54:55]
	v_accvgpr_read_b32 v6, a38
	v_accvgpr_read_b32 v2, a6
	;; [unrolled: 1-line block ×3, first 2 shown]
	s_waitcnt vmcnt(0) lgkmcnt(0)
	v_mad_i64_i32 v[0:1], s[8:9], v0, v2, v[6:7]
	v_accvgpr_read_b32 v2, a36
	v_add_co_u32_e64 v40, s[8:9], v0, v2
	v_addc_co_u32_e64 v41, s[8:9], 0, v1, s[8:9]
	v_accvgpr_read_b32 v2, a32
	flat_load_ubyte v0, v[40:41]
	v_accvgpr_read_b32 v3, a33
	flat_load_dword v1, v[2:3]
	v_accvgpr_read_b32 v2, a41
	ds_read_b128 v[36:39], v2
	ds_read_b128 v[32:35], v2 offset:16
	ds_read_b128 v[16:19], v2 offset:32
	;; [unrolled: 1-line block ×3, first 2 shown]
	v_mov_b32_e32 v2, 0
	s_waitcnt vmcnt(0) lgkmcnt(0)
	v_cmp_ne_u16_e64 s[8:9], 0, v0
	s_and_saveexec_b64 s[30:31], s[8:9]
	s_cbranch_execz .LBB335_23
; %bb.18:                               ;   in Loop: Header=BB335_14 Depth=1
	v_cmp_ne_u16_e64 s[8:9], s39, v0
	v_bfrev_b32_e32 v2, 1
	s_and_saveexec_b64 s[34:35], s[8:9]
	s_cbranch_execz .LBB335_22
; %bb.19:                               ;   in Loop: Header=BB335_14 Depth=1
	v_and_b32_e32 v42, 0xffff, v0
	v_and_b32_e32 v3, 0x7f, v42
	v_cmp_ne_u32_e64 s[8:9], s40, v3
	v_mov_b32_e32 v2, 0x7f800001
	s_and_saveexec_b64 s[36:37], s[8:9]
	s_cbranch_execz .LBB335_21
; %bb.20:                               ;   in Loop: Header=BB335_14 Depth=1
	v_and_b32_e32 v2, 7, v42
	v_ffbh_u32_e32 v10, v2
	v_min_u32_e32 v10, 32, v10
	v_subrev_u32_e32 v12, 28, v10
	v_lshlrev_b64 v[12:13], v12, v[42:43]
	v_lshrrev_b32_e32 v5, 3, v3
	v_sub_u32_e32 v10, 29, v10
	v_and_b32_e32 v12, 7, v12
	v_cmp_gt_u32_e64 s[8:9], 8, v3
	v_cndmask_b32_e64 v3, v5, v10, s[8:9]
	v_cndmask_b32_e64 v2, v2, v12, s[8:9]
	v_lshlrev_b32_e32 v0, 24, v0
	v_bfrev_b32_e32 v5, 60
	v_lshlrev_b32_e32 v2, 20, v2
	v_and_b32_e32 v0, 0x80000000, v0
	v_lshl_add_u32 v3, v3, 23, v5
	v_or3_b32 v2, v0, v3, v2
.LBB335_21:                             ;   in Loop: Header=BB335_14 Depth=1
	s_or_b64 exec, exec, s[36:37]
.LBB335_22:                             ;   in Loop: Header=BB335_14 Depth=1
	s_or_b64 exec, exec, s[34:35]
.LBB335_23:                             ;   in Loop: Header=BB335_14 Depth=1
	s_or_b64 exec, exec, s[30:31]
	v_mul_f32_e32 v0, v1, v2
	v_and_b32_e32 v2, 0x7f800000, v0
	v_cmp_ne_u32_e64 s[8:9], s41, v2
                                        ; implicit-def: $vgpr11
	s_and_saveexec_b64 s[30:31], s[8:9]
	s_xor_b64 s[8:9], exec, s[30:31]
; %bb.24:                               ;   in Loop: Header=BB335_14 Depth=1
	v_bfe_u32 v2, v0, 16, 1
	v_add3_u32 v11, v0, v2, s42
                                        ; implicit-def: $vgpr0
; %bb.25:                               ;   in Loop: Header=BB335_14 Depth=1
	s_andn2_saveexec_b64 s[30:31], s[8:9]
; %bb.26:                               ;   in Loop: Header=BB335_14 Depth=1
	v_mov_b32_e32 v3, 0
	v_or_b32_e32 v2, 0x10000, v0
	v_cmp_eq_u32_sdwa s[8:9], v0, v3 src0_sel:WORD_0 src1_sel:DWORD
	v_cndmask_b32_e64 v11, v2, v0, s[8:9]
; %bb.27:                               ;   in Loop: Header=BB335_14 Depth=1
	s_or_b64 exec, exec, s[30:31]
	flat_load_ubyte v0, v[40:41] offset:8
	v_mov_b32_e32 v2, 0
	s_waitcnt vmcnt(0) lgkmcnt(0)
	v_cmp_ne_u16_e64 s[8:9], 0, v0
	s_and_saveexec_b64 s[30:31], s[8:9]
	s_cbranch_execz .LBB335_33
; %bb.28:                               ;   in Loop: Header=BB335_14 Depth=1
	v_cmp_ne_u16_e64 s[8:9], s39, v0
	v_bfrev_b32_e32 v2, 1
	s_and_saveexec_b64 s[34:35], s[8:9]
	s_cbranch_execz .LBB335_32
; %bb.29:                               ;   in Loop: Header=BB335_14 Depth=1
	v_and_b32_e32 v42, 0xffff, v0
	v_and_b32_e32 v3, 0x7f, v42
	v_cmp_ne_u32_e64 s[8:9], s40, v3
	v_mov_b32_e32 v2, 0x7f800001
	s_and_saveexec_b64 s[36:37], s[8:9]
	s_cbranch_execz .LBB335_31
; %bb.30:                               ;   in Loop: Header=BB335_14 Depth=1
	v_and_b32_e32 v2, 7, v42
	v_ffbh_u32_e32 v10, v2
	v_min_u32_e32 v10, 32, v10
	v_subrev_u32_e32 v12, 28, v10
	v_lshlrev_b64 v[12:13], v12, v[42:43]
	v_lshrrev_b32_e32 v5, 3, v3
	v_sub_u32_e32 v10, 29, v10
	v_and_b32_e32 v12, 7, v12
	v_cmp_gt_u32_e64 s[8:9], 8, v3
	v_cndmask_b32_e64 v3, v5, v10, s[8:9]
	v_cndmask_b32_e64 v2, v2, v12, s[8:9]
	v_lshlrev_b32_e32 v0, 24, v0
	v_bfrev_b32_e32 v5, 60
	v_lshlrev_b32_e32 v2, 20, v2
	v_and_b32_e32 v0, 0x80000000, v0
	v_lshl_add_u32 v3, v3, 23, v5
	v_or3_b32 v2, v0, v3, v2
.LBB335_31:                             ;   in Loop: Header=BB335_14 Depth=1
	s_or_b64 exec, exec, s[36:37]
.LBB335_32:                             ;   in Loop: Header=BB335_14 Depth=1
	s_or_b64 exec, exec, s[34:35]
.LBB335_33:                             ;   in Loop: Header=BB335_14 Depth=1
	s_or_b64 exec, exec, s[30:31]
	v_mul_f32_e32 v0, v1, v2
	v_and_b32_e32 v2, 0x7f800000, v0
	v_cmp_ne_u32_e64 s[8:9], s41, v2
                                        ; implicit-def: $vgpr23
	s_and_saveexec_b64 s[30:31], s[8:9]
	s_xor_b64 s[8:9], exec, s[30:31]
; %bb.34:                               ;   in Loop: Header=BB335_14 Depth=1
	v_bfe_u32 v2, v0, 16, 1
	v_add3_u32 v23, v0, v2, s42
                                        ; implicit-def: $vgpr0
; %bb.35:                               ;   in Loop: Header=BB335_14 Depth=1
	s_andn2_saveexec_b64 s[30:31], s[8:9]
; %bb.36:                               ;   in Loop: Header=BB335_14 Depth=1
	v_mov_b32_e32 v3, 0
	v_or_b32_e32 v2, 0x10000, v0
	v_cmp_eq_u32_sdwa s[8:9], v0, v3 src0_sel:WORD_0 src1_sel:DWORD
	v_cndmask_b32_e64 v23, v2, v0, s[8:9]
; %bb.37:                               ;   in Loop: Header=BB335_14 Depth=1
	s_or_b64 exec, exec, s[30:31]
	flat_load_ubyte v2, v[40:41] offset:128
	v_mov_b32_e32 v3, 0
	s_waitcnt vmcnt(0) lgkmcnt(0)
	v_cmp_ne_u16_e64 s[8:9], 0, v2
	s_and_saveexec_b64 s[30:31], s[8:9]
	s_cbranch_execz .LBB335_43
; %bb.38:                               ;   in Loop: Header=BB335_14 Depth=1
	v_cmp_ne_u16_e64 s[8:9], s39, v2
	v_bfrev_b32_e32 v3, 1
	s_and_saveexec_b64 s[34:35], s[8:9]
	s_cbranch_execz .LBB335_42
; %bb.39:                               ;   in Loop: Header=BB335_14 Depth=1
	v_and_b32_e32 v42, 0xffff, v2
	v_and_b32_e32 v0, 0x7f, v42
	v_cmp_ne_u32_e64 s[8:9], s40, v0
	v_mov_b32_e32 v3, 0x7f800001
	s_and_saveexec_b64 s[36:37], s[8:9]
	s_cbranch_execz .LBB335_41
; %bb.40:                               ;   in Loop: Header=BB335_14 Depth=1
	v_and_b32_e32 v3, 7, v42
	v_ffbh_u32_e32 v10, v3
	v_min_u32_e32 v10, 32, v10
	v_subrev_u32_e32 v12, 28, v10
	v_lshlrev_b64 v[12:13], v12, v[42:43]
	v_lshrrev_b32_e32 v5, 3, v0
	v_sub_u32_e32 v10, 29, v10
	v_and_b32_e32 v12, 7, v12
	v_cmp_gt_u32_e64 s[8:9], 8, v0
	v_cndmask_b32_e64 v0, v5, v10, s[8:9]
	v_cndmask_b32_e64 v3, v3, v12, s[8:9]
	v_lshlrev_b32_e32 v2, 24, v2
	v_bfrev_b32_e32 v5, 60
	v_lshlrev_b32_e32 v3, 20, v3
	v_and_b32_e32 v2, 0x80000000, v2
	v_lshl_add_u32 v0, v0, 23, v5
	v_or3_b32 v3, v2, v0, v3
.LBB335_41:                             ;   in Loop: Header=BB335_14 Depth=1
	s_or_b64 exec, exec, s[36:37]
.LBB335_42:                             ;   in Loop: Header=BB335_14 Depth=1
	s_or_b64 exec, exec, s[34:35]
.LBB335_43:                             ;   in Loop: Header=BB335_14 Depth=1
	s_or_b64 exec, exec, s[30:31]
	v_mul_f32_e32 v0, v1, v3
	v_and_b32_e32 v2, 0x7f800000, v0
	v_cmp_ne_u32_e64 s[8:9], s41, v2
                                        ; implicit-def: $vgpr28
	s_and_saveexec_b64 s[30:31], s[8:9]
	s_xor_b64 s[8:9], exec, s[30:31]
; %bb.44:                               ;   in Loop: Header=BB335_14 Depth=1
	v_bfe_u32 v2, v0, 16, 1
	v_add3_u32 v28, v0, v2, s42
                                        ; implicit-def: $vgpr0
; %bb.45:                               ;   in Loop: Header=BB335_14 Depth=1
	s_andn2_saveexec_b64 s[30:31], s[8:9]
; %bb.46:                               ;   in Loop: Header=BB335_14 Depth=1
	v_mov_b32_e32 v3, 0
	v_or_b32_e32 v2, 0x10000, v0
	v_cmp_eq_u32_sdwa s[8:9], v0, v3 src0_sel:WORD_0 src1_sel:DWORD
	v_cndmask_b32_e64 v28, v2, v0, s[8:9]
; %bb.47:                               ;   in Loop: Header=BB335_14 Depth=1
	s_or_b64 exec, exec, s[30:31]
	flat_load_ubyte v2, v[40:41] offset:136
	v_mov_b32_e32 v5, 0
	s_waitcnt vmcnt(0) lgkmcnt(0)
	v_cmp_ne_u16_e64 s[8:9], 0, v2
	s_and_saveexec_b64 s[30:31], s[8:9]
	s_cbranch_execz .LBB335_53
; %bb.48:                               ;   in Loop: Header=BB335_14 Depth=1
	v_cmp_ne_u16_e64 s[8:9], s39, v2
	v_bfrev_b32_e32 v5, 1
	s_and_saveexec_b64 s[34:35], s[8:9]
	s_cbranch_execz .LBB335_52
; %bb.49:                               ;   in Loop: Header=BB335_14 Depth=1
	v_and_b32_e32 v42, 0xffff, v2
	v_and_b32_e32 v0, 0x7f, v42
	v_cmp_ne_u32_e64 s[8:9], s40, v0
	v_mov_b32_e32 v5, 0x7f800001
	s_and_saveexec_b64 s[36:37], s[8:9]
	s_cbranch_execz .LBB335_51
; %bb.50:                               ;   in Loop: Header=BB335_14 Depth=1
	v_and_b32_e32 v3, 7, v42
	v_ffbh_u32_e32 v10, v3
	v_min_u32_e32 v10, 32, v10
	v_subrev_u32_e32 v12, 28, v10
	v_lshlrev_b64 v[12:13], v12, v[42:43]
	v_lshrrev_b32_e32 v5, 3, v0
	v_sub_u32_e32 v10, 29, v10
	v_and_b32_e32 v12, 7, v12
	v_cmp_gt_u32_e64 s[8:9], 8, v0
	v_cndmask_b32_e64 v0, v5, v10, s[8:9]
	v_cndmask_b32_e64 v3, v3, v12, s[8:9]
	v_lshlrev_b32_e32 v2, 24, v2
	v_bfrev_b32_e32 v5, 60
	v_lshlrev_b32_e32 v3, 20, v3
	v_and_b32_e32 v2, 0x80000000, v2
	v_lshl_add_u32 v0, v0, 23, v5
	v_or3_b32 v5, v2, v0, v3
.LBB335_51:                             ;   in Loop: Header=BB335_14 Depth=1
	s_or_b64 exec, exec, s[36:37]
.LBB335_52:                             ;   in Loop: Header=BB335_14 Depth=1
	s_or_b64 exec, exec, s[34:35]
.LBB335_53:                             ;   in Loop: Header=BB335_14 Depth=1
	s_or_b64 exec, exec, s[30:31]
	v_mul_f32_e32 v0, v1, v5
	v_and_b32_e32 v2, 0x7f800000, v0
	v_cmp_ne_u32_e64 s[8:9], s41, v2
                                        ; implicit-def: $vgpr61
	s_and_saveexec_b64 s[30:31], s[8:9]
	s_xor_b64 s[8:9], exec, s[30:31]
; %bb.54:                               ;   in Loop: Header=BB335_14 Depth=1
	v_bfe_u32 v2, v0, 16, 1
	v_add3_u32 v61, v0, v2, s42
                                        ; implicit-def: $vgpr0
; %bb.55:                               ;   in Loop: Header=BB335_14 Depth=1
	s_andn2_saveexec_b64 s[30:31], s[8:9]
; %bb.56:                               ;   in Loop: Header=BB335_14 Depth=1
	v_mov_b32_e32 v3, 0
	v_or_b32_e32 v2, 0x10000, v0
	v_cmp_eq_u32_sdwa s[8:9], v0, v3 src0_sel:WORD_0 src1_sel:DWORD
	v_cndmask_b32_e64 v61, v2, v0, s[8:9]
; %bb.57:                               ;   in Loop: Header=BB335_14 Depth=1
	s_or_b64 exec, exec, s[30:31]
	flat_load_ubyte v5, v[40:41] offset:256
	v_mov_b32_e32 v10, 0
	s_waitcnt vmcnt(0) lgkmcnt(0)
	v_cmp_ne_u16_e64 s[8:9], 0, v5
	s_and_saveexec_b64 s[30:31], s[8:9]
	s_cbranch_execz .LBB335_63
; %bb.58:                               ;   in Loop: Header=BB335_14 Depth=1
	v_cmp_ne_u16_e64 s[8:9], s39, v5
	v_bfrev_b32_e32 v10, 1
	s_and_saveexec_b64 s[34:35], s[8:9]
	s_cbranch_execz .LBB335_62
; %bb.59:                               ;   in Loop: Header=BB335_14 Depth=1
	v_and_b32_e32 v42, 0xffff, v5
	v_and_b32_e32 v0, 0x7f, v42
	v_cmp_ne_u32_e64 s[8:9], s40, v0
	v_mov_b32_e32 v10, 0x7f800001
	s_and_saveexec_b64 s[36:37], s[8:9]
	s_cbranch_execz .LBB335_61
; %bb.60:                               ;   in Loop: Header=BB335_14 Depth=1
	v_and_b32_e32 v2, 7, v42
	v_ffbh_u32_e32 v10, v2
	v_min_u32_e32 v10, 32, v10
	v_subrev_u32_e32 v12, 28, v10
	v_lshlrev_b64 v[12:13], v12, v[42:43]
	v_lshrrev_b32_e32 v3, 3, v0
	v_sub_u32_e32 v10, 29, v10
	v_and_b32_e32 v12, 7, v12
	v_cmp_gt_u32_e64 s[8:9], 8, v0
	v_cndmask_b32_e64 v0, v3, v10, s[8:9]
	v_cndmask_b32_e64 v2, v2, v12, s[8:9]
	v_lshlrev_b32_e32 v3, 24, v5
	v_bfrev_b32_e32 v5, 60
	v_lshlrev_b32_e32 v2, 20, v2
	v_and_b32_e32 v3, 0x80000000, v3
	v_lshl_add_u32 v0, v0, 23, v5
	v_or3_b32 v10, v3, v0, v2
.LBB335_61:                             ;   in Loop: Header=BB335_14 Depth=1
	s_or_b64 exec, exec, s[36:37]
.LBB335_62:                             ;   in Loop: Header=BB335_14 Depth=1
	s_or_b64 exec, exec, s[34:35]
.LBB335_63:                             ;   in Loop: Header=BB335_14 Depth=1
	s_or_b64 exec, exec, s[30:31]
	v_mul_f32_e32 v0, v1, v10
	v_and_b32_e32 v2, 0x7f800000, v0
	v_cmp_ne_u32_e64 s[8:9], s41, v2
                                        ; implicit-def: $agpr47
	s_and_saveexec_b64 s[30:31], s[8:9]
	s_xor_b64 s[8:9], exec, s[30:31]
; %bb.64:                               ;   in Loop: Header=BB335_14 Depth=1
	v_bfe_u32 v2, v0, 16, 1
	v_add3_u32 v0, v0, v2, s42
	v_accvgpr_write_b32 a47, v0
                                        ; implicit-def: $vgpr0
; %bb.65:                               ;   in Loop: Header=BB335_14 Depth=1
	s_andn2_saveexec_b64 s[30:31], s[8:9]
; %bb.66:                               ;   in Loop: Header=BB335_14 Depth=1
	v_mov_b32_e32 v3, 0
	v_or_b32_e32 v2, 0x10000, v0
	v_cmp_eq_u32_sdwa s[8:9], v0, v3 src0_sel:WORD_0 src1_sel:DWORD
	v_cndmask_b32_e64 v0, v2, v0, s[8:9]
	v_accvgpr_write_b32 a47, v0
; %bb.67:                               ;   in Loop: Header=BB335_14 Depth=1
	s_or_b64 exec, exec, s[30:31]
	flat_load_ubyte v5, v[40:41] offset:264
	v_mov_b32_e32 v10, 0
	s_waitcnt vmcnt(0) lgkmcnt(0)
	v_cmp_ne_u16_e64 s[8:9], 0, v5
	s_and_saveexec_b64 s[30:31], s[8:9]
	s_cbranch_execz .LBB335_73
; %bb.68:                               ;   in Loop: Header=BB335_14 Depth=1
	v_cmp_ne_u16_e64 s[8:9], s39, v5
	v_bfrev_b32_e32 v10, 1
	s_and_saveexec_b64 s[34:35], s[8:9]
	s_cbranch_execz .LBB335_72
; %bb.69:                               ;   in Loop: Header=BB335_14 Depth=1
	v_and_b32_e32 v42, 0xffff, v5
	v_and_b32_e32 v0, 0x7f, v42
	v_cmp_ne_u32_e64 s[8:9], s40, v0
	v_mov_b32_e32 v10, 0x7f800001
	s_and_saveexec_b64 s[36:37], s[8:9]
	s_cbranch_execz .LBB335_71
; %bb.70:                               ;   in Loop: Header=BB335_14 Depth=1
	v_and_b32_e32 v2, 7, v42
	v_ffbh_u32_e32 v10, v2
	v_min_u32_e32 v10, 32, v10
	v_subrev_u32_e32 v12, 28, v10
	v_lshlrev_b64 v[12:13], v12, v[42:43]
	v_lshrrev_b32_e32 v3, 3, v0
	v_sub_u32_e32 v10, 29, v10
	v_and_b32_e32 v12, 7, v12
	v_cmp_gt_u32_e64 s[8:9], 8, v0
	v_cndmask_b32_e64 v0, v3, v10, s[8:9]
	v_cndmask_b32_e64 v2, v2, v12, s[8:9]
	v_lshlrev_b32_e32 v3, 24, v5
	v_bfrev_b32_e32 v5, 60
	v_lshlrev_b32_e32 v2, 20, v2
	v_and_b32_e32 v3, 0x80000000, v3
	v_lshl_add_u32 v0, v0, 23, v5
	v_or3_b32 v10, v3, v0, v2
.LBB335_71:                             ;   in Loop: Header=BB335_14 Depth=1
	s_or_b64 exec, exec, s[36:37]
.LBB335_72:                             ;   in Loop: Header=BB335_14 Depth=1
	s_or_b64 exec, exec, s[34:35]
.LBB335_73:                             ;   in Loop: Header=BB335_14 Depth=1
	s_or_b64 exec, exec, s[30:31]
	v_mul_f32_e32 v0, v1, v10
	v_and_b32_e32 v2, 0x7f800000, v0
	v_cmp_ne_u32_e64 s[8:9], s41, v2
                                        ; implicit-def: $vgpr58
	s_and_saveexec_b64 s[30:31], s[8:9]
	s_xor_b64 s[8:9], exec, s[30:31]
; %bb.74:                               ;   in Loop: Header=BB335_14 Depth=1
	v_bfe_u32 v2, v0, 16, 1
	v_add3_u32 v58, v0, v2, s42
                                        ; implicit-def: $vgpr0
; %bb.75:                               ;   in Loop: Header=BB335_14 Depth=1
	s_andn2_saveexec_b64 s[30:31], s[8:9]
; %bb.76:                               ;   in Loop: Header=BB335_14 Depth=1
	v_mov_b32_e32 v3, 0
	v_or_b32_e32 v2, 0x10000, v0
	v_cmp_eq_u32_sdwa s[8:9], v0, v3 src0_sel:WORD_0 src1_sel:DWORD
	v_cndmask_b32_e64 v58, v2, v0, s[8:9]
; %bb.77:                               ;   in Loop: Header=BB335_14 Depth=1
	s_or_b64 exec, exec, s[30:31]
	flat_load_ubyte v5, v[40:41] offset:384
	v_mov_b32_e32 v10, 0
	s_waitcnt vmcnt(0) lgkmcnt(0)
	v_cmp_ne_u16_e64 s[8:9], 0, v5
	s_and_saveexec_b64 s[30:31], s[8:9]
	s_cbranch_execz .LBB335_83
; %bb.78:                               ;   in Loop: Header=BB335_14 Depth=1
	v_cmp_ne_u16_e64 s[8:9], s39, v5
	v_bfrev_b32_e32 v10, 1
	s_and_saveexec_b64 s[34:35], s[8:9]
	s_cbranch_execz .LBB335_82
; %bb.79:                               ;   in Loop: Header=BB335_14 Depth=1
	v_and_b32_e32 v42, 0xffff, v5
	v_and_b32_e32 v0, 0x7f, v42
	v_cmp_ne_u32_e64 s[8:9], s40, v0
	v_mov_b32_e32 v10, 0x7f800001
	s_and_saveexec_b64 s[36:37], s[8:9]
	s_cbranch_execz .LBB335_81
; %bb.80:                               ;   in Loop: Header=BB335_14 Depth=1
	v_and_b32_e32 v2, 7, v42
	v_ffbh_u32_e32 v10, v2
	v_min_u32_e32 v10, 32, v10
	v_subrev_u32_e32 v12, 28, v10
	v_lshlrev_b64 v[12:13], v12, v[42:43]
	v_lshrrev_b32_e32 v3, 3, v0
	v_sub_u32_e32 v10, 29, v10
	v_and_b32_e32 v12, 7, v12
	v_cmp_gt_u32_e64 s[8:9], 8, v0
	v_cndmask_b32_e64 v0, v3, v10, s[8:9]
	v_cndmask_b32_e64 v2, v2, v12, s[8:9]
	v_lshlrev_b32_e32 v3, 24, v5
	v_bfrev_b32_e32 v5, 60
	v_lshlrev_b32_e32 v2, 20, v2
	v_and_b32_e32 v3, 0x80000000, v3
	v_lshl_add_u32 v0, v0, 23, v5
	v_or3_b32 v10, v3, v0, v2
.LBB335_81:                             ;   in Loop: Header=BB335_14 Depth=1
	s_or_b64 exec, exec, s[36:37]
.LBB335_82:                             ;   in Loop: Header=BB335_14 Depth=1
	s_or_b64 exec, exec, s[34:35]
.LBB335_83:                             ;   in Loop: Header=BB335_14 Depth=1
	s_or_b64 exec, exec, s[30:31]
	v_mul_f32_e32 v0, v1, v10
	v_and_b32_e32 v2, 0x7f800000, v0
	v_cmp_ne_u32_e64 s[8:9], s41, v2
                                        ; implicit-def: $vgpr51
	s_and_saveexec_b64 s[30:31], s[8:9]
	s_xor_b64 s[8:9], exec, s[30:31]
; %bb.84:                               ;   in Loop: Header=BB335_14 Depth=1
	v_bfe_u32 v2, v0, 16, 1
	v_add3_u32 v51, v0, v2, s42
                                        ; implicit-def: $vgpr0
; %bb.85:                               ;   in Loop: Header=BB335_14 Depth=1
	s_andn2_saveexec_b64 s[30:31], s[8:9]
; %bb.86:                               ;   in Loop: Header=BB335_14 Depth=1
	v_mov_b32_e32 v3, 0
	v_or_b32_e32 v2, 0x10000, v0
	v_cmp_eq_u32_sdwa s[8:9], v0, v3 src0_sel:WORD_0 src1_sel:DWORD
	v_cndmask_b32_e64 v51, v2, v0, s[8:9]
; %bb.87:                               ;   in Loop: Header=BB335_14 Depth=1
	s_or_b64 exec, exec, s[30:31]
	flat_load_ubyte v5, v[40:41] offset:392
	v_mov_b32_e32 v10, 0
	s_waitcnt vmcnt(0) lgkmcnt(0)
	v_cmp_ne_u16_e64 s[8:9], 0, v5
	s_and_saveexec_b64 s[30:31], s[8:9]
	s_cbranch_execz .LBB335_93
; %bb.88:                               ;   in Loop: Header=BB335_14 Depth=1
	v_cmp_ne_u16_e64 s[8:9], s39, v5
	v_bfrev_b32_e32 v10, 1
	s_and_saveexec_b64 s[34:35], s[8:9]
	s_cbranch_execz .LBB335_92
; %bb.89:                               ;   in Loop: Header=BB335_14 Depth=1
	v_and_b32_e32 v42, 0xffff, v5
	v_and_b32_e32 v0, 0x7f, v42
	v_cmp_ne_u32_e64 s[8:9], s40, v0
	v_mov_b32_e32 v10, 0x7f800001
	s_and_saveexec_b64 s[36:37], s[8:9]
	s_cbranch_execz .LBB335_91
; %bb.90:                               ;   in Loop: Header=BB335_14 Depth=1
	v_and_b32_e32 v2, 7, v42
	v_ffbh_u32_e32 v10, v2
	v_min_u32_e32 v10, 32, v10
	v_subrev_u32_e32 v12, 28, v10
	v_lshlrev_b64 v[12:13], v12, v[42:43]
	v_lshrrev_b32_e32 v3, 3, v0
	v_sub_u32_e32 v10, 29, v10
	v_and_b32_e32 v12, 7, v12
	v_cmp_gt_u32_e64 s[8:9], 8, v0
	v_cndmask_b32_e64 v0, v3, v10, s[8:9]
	v_cndmask_b32_e64 v2, v2, v12, s[8:9]
	v_lshlrev_b32_e32 v3, 24, v5
	v_bfrev_b32_e32 v5, 60
	v_lshlrev_b32_e32 v2, 20, v2
	v_and_b32_e32 v3, 0x80000000, v3
	v_lshl_add_u32 v0, v0, 23, v5
	v_or3_b32 v10, v3, v0, v2
.LBB335_91:                             ;   in Loop: Header=BB335_14 Depth=1
	s_or_b64 exec, exec, s[36:37]
.LBB335_92:                             ;   in Loop: Header=BB335_14 Depth=1
	s_or_b64 exec, exec, s[34:35]
.LBB335_93:                             ;   in Loop: Header=BB335_14 Depth=1
	s_or_b64 exec, exec, s[30:31]
	v_mul_f32_e32 v0, v1, v10
	v_and_b32_e32 v2, 0x7f800000, v0
	v_cmp_ne_u32_e64 s[8:9], s41, v2
                                        ; implicit-def: $vgpr29
	s_and_saveexec_b64 s[30:31], s[8:9]
	s_xor_b64 s[8:9], exec, s[30:31]
; %bb.94:                               ;   in Loop: Header=BB335_14 Depth=1
	v_bfe_u32 v2, v0, 16, 1
	v_add3_u32 v29, v0, v2, s42
                                        ; implicit-def: $vgpr0
; %bb.95:                               ;   in Loop: Header=BB335_14 Depth=1
	s_andn2_saveexec_b64 s[30:31], s[8:9]
; %bb.96:                               ;   in Loop: Header=BB335_14 Depth=1
	v_mov_b32_e32 v3, 0
	v_or_b32_e32 v2, 0x10000, v0
	v_cmp_eq_u32_sdwa s[8:9], v0, v3 src0_sel:WORD_0 src1_sel:DWORD
	v_cndmask_b32_e64 v29, v2, v0, s[8:9]
; %bb.97:                               ;   in Loop: Header=BB335_14 Depth=1
	s_or_b64 exec, exec, s[30:31]
	flat_load_ubyte v5, v[40:41] offset:512
	v_mov_b32_e32 v10, 0
	s_waitcnt vmcnt(0) lgkmcnt(0)
	v_cmp_ne_u16_e64 s[8:9], 0, v5
	s_and_saveexec_b64 s[30:31], s[8:9]
	s_cbranch_execz .LBB335_103
; %bb.98:                               ;   in Loop: Header=BB335_14 Depth=1
	v_cmp_ne_u16_e64 s[8:9], s39, v5
	v_bfrev_b32_e32 v10, 1
	s_and_saveexec_b64 s[34:35], s[8:9]
	s_cbranch_execz .LBB335_102
; %bb.99:                               ;   in Loop: Header=BB335_14 Depth=1
	v_and_b32_e32 v42, 0xffff, v5
	v_and_b32_e32 v0, 0x7f, v42
	v_cmp_ne_u32_e64 s[8:9], s40, v0
	v_mov_b32_e32 v10, 0x7f800001
	s_and_saveexec_b64 s[36:37], s[8:9]
	s_cbranch_execz .LBB335_101
; %bb.100:                              ;   in Loop: Header=BB335_14 Depth=1
	v_and_b32_e32 v2, 7, v42
	v_ffbh_u32_e32 v10, v2
	v_min_u32_e32 v10, 32, v10
	v_subrev_u32_e32 v12, 28, v10
	v_lshlrev_b64 v[12:13], v12, v[42:43]
	v_lshrrev_b32_e32 v3, 3, v0
	v_sub_u32_e32 v10, 29, v10
	v_and_b32_e32 v12, 7, v12
	v_cmp_gt_u32_e64 s[8:9], 8, v0
	v_cndmask_b32_e64 v0, v3, v10, s[8:9]
	v_cndmask_b32_e64 v2, v2, v12, s[8:9]
	v_lshlrev_b32_e32 v3, 24, v5
	v_bfrev_b32_e32 v5, 60
	v_lshlrev_b32_e32 v2, 20, v2
	v_and_b32_e32 v3, 0x80000000, v3
	v_lshl_add_u32 v0, v0, 23, v5
	v_or3_b32 v10, v3, v0, v2
.LBB335_101:                            ;   in Loop: Header=BB335_14 Depth=1
	s_or_b64 exec, exec, s[36:37]
.LBB335_102:                            ;   in Loop: Header=BB335_14 Depth=1
	s_or_b64 exec, exec, s[34:35]
.LBB335_103:                            ;   in Loop: Header=BB335_14 Depth=1
	s_or_b64 exec, exec, s[30:31]
	v_mul_f32_e32 v0, v1, v10
	v_and_b32_e32 v2, 0x7f800000, v0
	v_cmp_ne_u32_e64 s[8:9], s41, v2
                                        ; implicit-def: $agpr48
	s_and_saveexec_b64 s[30:31], s[8:9]
	s_xor_b64 s[8:9], exec, s[30:31]
; %bb.104:                              ;   in Loop: Header=BB335_14 Depth=1
	v_bfe_u32 v2, v0, 16, 1
	v_add3_u32 v0, v0, v2, s42
	v_accvgpr_write_b32 a48, v0
                                        ; implicit-def: $vgpr0
; %bb.105:                              ;   in Loop: Header=BB335_14 Depth=1
	s_andn2_saveexec_b64 s[30:31], s[8:9]
; %bb.106:                              ;   in Loop: Header=BB335_14 Depth=1
	v_mov_b32_e32 v3, 0
	v_or_b32_e32 v2, 0x10000, v0
	v_cmp_eq_u32_sdwa s[8:9], v0, v3 src0_sel:WORD_0 src1_sel:DWORD
	v_cndmask_b32_e64 v0, v2, v0, s[8:9]
	v_accvgpr_write_b32 a48, v0
; %bb.107:                              ;   in Loop: Header=BB335_14 Depth=1
	s_or_b64 exec, exec, s[30:31]
	flat_load_ubyte v5, v[40:41] offset:520
	v_mov_b32_e32 v10, 0
	s_waitcnt vmcnt(0) lgkmcnt(0)
	v_cmp_ne_u16_e64 s[8:9], 0, v5
	s_and_saveexec_b64 s[30:31], s[8:9]
	s_cbranch_execz .LBB335_113
; %bb.108:                              ;   in Loop: Header=BB335_14 Depth=1
	v_cmp_ne_u16_e64 s[8:9], s39, v5
	v_bfrev_b32_e32 v10, 1
	s_and_saveexec_b64 s[34:35], s[8:9]
	s_cbranch_execz .LBB335_112
; %bb.109:                              ;   in Loop: Header=BB335_14 Depth=1
	v_and_b32_e32 v42, 0xffff, v5
	v_and_b32_e32 v0, 0x7f, v42
	v_cmp_ne_u32_e64 s[8:9], s40, v0
	v_mov_b32_e32 v10, 0x7f800001
	s_and_saveexec_b64 s[36:37], s[8:9]
	s_cbranch_execz .LBB335_111
; %bb.110:                              ;   in Loop: Header=BB335_14 Depth=1
	v_and_b32_e32 v2, 7, v42
	v_ffbh_u32_e32 v10, v2
	v_min_u32_e32 v10, 32, v10
	v_subrev_u32_e32 v12, 28, v10
	v_lshlrev_b64 v[12:13], v12, v[42:43]
	v_lshrrev_b32_e32 v3, 3, v0
	v_sub_u32_e32 v10, 29, v10
	v_and_b32_e32 v12, 7, v12
	v_cmp_gt_u32_e64 s[8:9], 8, v0
	v_cndmask_b32_e64 v0, v3, v10, s[8:9]
	v_cndmask_b32_e64 v2, v2, v12, s[8:9]
	v_lshlrev_b32_e32 v3, 24, v5
	v_bfrev_b32_e32 v5, 60
	v_lshlrev_b32_e32 v2, 20, v2
	v_and_b32_e32 v3, 0x80000000, v3
	v_lshl_add_u32 v0, v0, 23, v5
	v_or3_b32 v10, v3, v0, v2
.LBB335_111:                            ;   in Loop: Header=BB335_14 Depth=1
	s_or_b64 exec, exec, s[36:37]
.LBB335_112:                            ;   in Loop: Header=BB335_14 Depth=1
	s_or_b64 exec, exec, s[34:35]
.LBB335_113:                            ;   in Loop: Header=BB335_14 Depth=1
	s_or_b64 exec, exec, s[30:31]
	v_mul_f32_e32 v0, v1, v10
	v_and_b32_e32 v2, 0x7f800000, v0
	v_cmp_ne_u32_e64 s[8:9], s41, v2
                                        ; implicit-def: $vgpr59
	s_and_saveexec_b64 s[30:31], s[8:9]
	s_xor_b64 s[8:9], exec, s[30:31]
; %bb.114:                              ;   in Loop: Header=BB335_14 Depth=1
	v_bfe_u32 v2, v0, 16, 1
	v_add3_u32 v59, v0, v2, s42
                                        ; implicit-def: $vgpr0
; %bb.115:                              ;   in Loop: Header=BB335_14 Depth=1
	s_andn2_saveexec_b64 s[30:31], s[8:9]
; %bb.116:                              ;   in Loop: Header=BB335_14 Depth=1
	v_mov_b32_e32 v3, 0
	v_or_b32_e32 v2, 0x10000, v0
	v_cmp_eq_u32_sdwa s[8:9], v0, v3 src0_sel:WORD_0 src1_sel:DWORD
	v_cndmask_b32_e64 v59, v2, v0, s[8:9]
; %bb.117:                              ;   in Loop: Header=BB335_14 Depth=1
	s_or_b64 exec, exec, s[30:31]
	flat_load_ubyte v5, v[40:41] offset:640
	v_mov_b32_e32 v10, 0
	s_waitcnt vmcnt(0) lgkmcnt(0)
	v_cmp_ne_u16_e64 s[8:9], 0, v5
	s_and_saveexec_b64 s[30:31], s[8:9]
	s_cbranch_execz .LBB335_123
; %bb.118:                              ;   in Loop: Header=BB335_14 Depth=1
	v_cmp_ne_u16_e64 s[8:9], s39, v5
	v_bfrev_b32_e32 v10, 1
	s_and_saveexec_b64 s[34:35], s[8:9]
	s_cbranch_execz .LBB335_122
; %bb.119:                              ;   in Loop: Header=BB335_14 Depth=1
	v_and_b32_e32 v42, 0xffff, v5
	v_and_b32_e32 v0, 0x7f, v42
	v_cmp_ne_u32_e64 s[8:9], s40, v0
	v_mov_b32_e32 v10, 0x7f800001
	s_and_saveexec_b64 s[36:37], s[8:9]
	s_cbranch_execz .LBB335_121
; %bb.120:                              ;   in Loop: Header=BB335_14 Depth=1
	v_and_b32_e32 v2, 7, v42
	v_ffbh_u32_e32 v10, v2
	v_min_u32_e32 v10, 32, v10
	v_subrev_u32_e32 v12, 28, v10
	v_lshlrev_b64 v[12:13], v12, v[42:43]
	v_lshrrev_b32_e32 v3, 3, v0
	v_sub_u32_e32 v10, 29, v10
	v_and_b32_e32 v12, 7, v12
	v_cmp_gt_u32_e64 s[8:9], 8, v0
	v_cndmask_b32_e64 v0, v3, v10, s[8:9]
	v_cndmask_b32_e64 v2, v2, v12, s[8:9]
	v_lshlrev_b32_e32 v3, 24, v5
	v_bfrev_b32_e32 v5, 60
	v_lshlrev_b32_e32 v2, 20, v2
	v_and_b32_e32 v3, 0x80000000, v3
	v_lshl_add_u32 v0, v0, 23, v5
	v_or3_b32 v10, v3, v0, v2
.LBB335_121:                            ;   in Loop: Header=BB335_14 Depth=1
	s_or_b64 exec, exec, s[36:37]
.LBB335_122:                            ;   in Loop: Header=BB335_14 Depth=1
	s_or_b64 exec, exec, s[34:35]
.LBB335_123:                            ;   in Loop: Header=BB335_14 Depth=1
	s_or_b64 exec, exec, s[30:31]
	v_mul_f32_e32 v0, v1, v10
	v_and_b32_e32 v2, 0x7f800000, v0
	v_cmp_ne_u32_e64 s[8:9], s41, v2
                                        ; implicit-def: $agpr49
	s_and_saveexec_b64 s[30:31], s[8:9]
	s_xor_b64 s[8:9], exec, s[30:31]
; %bb.124:                              ;   in Loop: Header=BB335_14 Depth=1
	v_bfe_u32 v2, v0, 16, 1
	v_add3_u32 v0, v0, v2, s42
	v_accvgpr_write_b32 a49, v0
                                        ; implicit-def: $vgpr0
; %bb.125:                              ;   in Loop: Header=BB335_14 Depth=1
	s_andn2_saveexec_b64 s[30:31], s[8:9]
; %bb.126:                              ;   in Loop: Header=BB335_14 Depth=1
	v_mov_b32_e32 v3, 0
	v_or_b32_e32 v2, 0x10000, v0
	v_cmp_eq_u32_sdwa s[8:9], v0, v3 src0_sel:WORD_0 src1_sel:DWORD
	v_cndmask_b32_e64 v0, v2, v0, s[8:9]
	v_accvgpr_write_b32 a49, v0
; %bb.127:                              ;   in Loop: Header=BB335_14 Depth=1
	s_or_b64 exec, exec, s[30:31]
	flat_load_ubyte v5, v[40:41] offset:648
	v_mov_b32_e32 v10, 0
	s_waitcnt vmcnt(0) lgkmcnt(0)
	v_cmp_ne_u16_e64 s[8:9], 0, v5
	s_and_saveexec_b64 s[30:31], s[8:9]
	s_cbranch_execz .LBB335_133
; %bb.128:                              ;   in Loop: Header=BB335_14 Depth=1
	v_cmp_ne_u16_e64 s[8:9], s39, v5
	v_bfrev_b32_e32 v10, 1
	s_and_saveexec_b64 s[34:35], s[8:9]
	s_cbranch_execz .LBB335_132
; %bb.129:                              ;   in Loop: Header=BB335_14 Depth=1
	v_and_b32_e32 v42, 0xffff, v5
	v_and_b32_e32 v0, 0x7f, v42
	v_cmp_ne_u32_e64 s[8:9], s40, v0
	v_mov_b32_e32 v10, 0x7f800001
	s_and_saveexec_b64 s[36:37], s[8:9]
	s_cbranch_execz .LBB335_131
; %bb.130:                              ;   in Loop: Header=BB335_14 Depth=1
	v_and_b32_e32 v2, 7, v42
	v_ffbh_u32_e32 v10, v2
	v_min_u32_e32 v10, 32, v10
	v_subrev_u32_e32 v12, 28, v10
	v_lshlrev_b64 v[12:13], v12, v[42:43]
	v_lshrrev_b32_e32 v3, 3, v0
	v_sub_u32_e32 v10, 29, v10
	v_and_b32_e32 v12, 7, v12
	v_cmp_gt_u32_e64 s[8:9], 8, v0
	v_cndmask_b32_e64 v0, v3, v10, s[8:9]
	v_cndmask_b32_e64 v2, v2, v12, s[8:9]
	v_lshlrev_b32_e32 v3, 24, v5
	v_bfrev_b32_e32 v5, 60
	v_lshlrev_b32_e32 v2, 20, v2
	v_and_b32_e32 v3, 0x80000000, v3
	v_lshl_add_u32 v0, v0, 23, v5
	v_or3_b32 v10, v3, v0, v2
.LBB335_131:                            ;   in Loop: Header=BB335_14 Depth=1
	s_or_b64 exec, exec, s[36:37]
.LBB335_132:                            ;   in Loop: Header=BB335_14 Depth=1
	s_or_b64 exec, exec, s[34:35]
.LBB335_133:                            ;   in Loop: Header=BB335_14 Depth=1
	s_or_b64 exec, exec, s[30:31]
	v_mul_f32_e32 v0, v1, v10
	v_and_b32_e32 v2, 0x7f800000, v0
	v_cmp_ne_u32_e64 s[8:9], s41, v2
                                        ; implicit-def: $agpr50
	s_and_saveexec_b64 s[30:31], s[8:9]
	s_xor_b64 s[8:9], exec, s[30:31]
; %bb.134:                              ;   in Loop: Header=BB335_14 Depth=1
	v_bfe_u32 v2, v0, 16, 1
	v_add3_u32 v0, v0, v2, s42
	v_accvgpr_write_b32 a50, v0
                                        ; implicit-def: $vgpr0
; %bb.135:                              ;   in Loop: Header=BB335_14 Depth=1
	s_andn2_saveexec_b64 s[30:31], s[8:9]
; %bb.136:                              ;   in Loop: Header=BB335_14 Depth=1
	v_mov_b32_e32 v3, 0
	v_or_b32_e32 v2, 0x10000, v0
	v_cmp_eq_u32_sdwa s[8:9], v0, v3 src0_sel:WORD_0 src1_sel:DWORD
	v_cndmask_b32_e64 v0, v2, v0, s[8:9]
	v_accvgpr_write_b32 a50, v0
; %bb.137:                              ;   in Loop: Header=BB335_14 Depth=1
	s_or_b64 exec, exec, s[30:31]
	flat_load_ubyte v5, v[40:41] offset:768
	v_mov_b32_e32 v10, 0
	s_waitcnt vmcnt(0) lgkmcnt(0)
	v_cmp_ne_u16_e64 s[8:9], 0, v5
	s_and_saveexec_b64 s[30:31], s[8:9]
	s_cbranch_execz .LBB335_143
; %bb.138:                              ;   in Loop: Header=BB335_14 Depth=1
	v_cmp_ne_u16_e64 s[8:9], s39, v5
	v_bfrev_b32_e32 v10, 1
	s_and_saveexec_b64 s[34:35], s[8:9]
	s_cbranch_execz .LBB335_142
; %bb.139:                              ;   in Loop: Header=BB335_14 Depth=1
	v_and_b32_e32 v42, 0xffff, v5
	v_and_b32_e32 v0, 0x7f, v42
	v_cmp_ne_u32_e64 s[8:9], s40, v0
	v_mov_b32_e32 v10, 0x7f800001
	s_and_saveexec_b64 s[36:37], s[8:9]
	s_cbranch_execz .LBB335_141
; %bb.140:                              ;   in Loop: Header=BB335_14 Depth=1
	v_and_b32_e32 v2, 7, v42
	v_ffbh_u32_e32 v10, v2
	v_min_u32_e32 v10, 32, v10
	v_subrev_u32_e32 v12, 28, v10
	v_lshlrev_b64 v[12:13], v12, v[42:43]
	v_lshrrev_b32_e32 v3, 3, v0
	v_sub_u32_e32 v10, 29, v10
	v_and_b32_e32 v12, 7, v12
	v_cmp_gt_u32_e64 s[8:9], 8, v0
	v_cndmask_b32_e64 v0, v3, v10, s[8:9]
	v_cndmask_b32_e64 v2, v2, v12, s[8:9]
	v_lshlrev_b32_e32 v3, 24, v5
	v_bfrev_b32_e32 v5, 60
	v_lshlrev_b32_e32 v2, 20, v2
	v_and_b32_e32 v3, 0x80000000, v3
	v_lshl_add_u32 v0, v0, 23, v5
	v_or3_b32 v10, v3, v0, v2
.LBB335_141:                            ;   in Loop: Header=BB335_14 Depth=1
	s_or_b64 exec, exec, s[36:37]
.LBB335_142:                            ;   in Loop: Header=BB335_14 Depth=1
	s_or_b64 exec, exec, s[34:35]
.LBB335_143:                            ;   in Loop: Header=BB335_14 Depth=1
	s_or_b64 exec, exec, s[30:31]
	v_mul_f32_e32 v0, v1, v10
	v_and_b32_e32 v2, 0x7f800000, v0
	v_cmp_ne_u32_e64 s[8:9], s41, v2
                                        ; implicit-def: $agpr51
	s_and_saveexec_b64 s[30:31], s[8:9]
	s_xor_b64 s[8:9], exec, s[30:31]
; %bb.144:                              ;   in Loop: Header=BB335_14 Depth=1
	v_bfe_u32 v2, v0, 16, 1
	v_add3_u32 v0, v0, v2, s42
	v_accvgpr_write_b32 a51, v0
                                        ; implicit-def: $vgpr0
; %bb.145:                              ;   in Loop: Header=BB335_14 Depth=1
	s_andn2_saveexec_b64 s[30:31], s[8:9]
; %bb.146:                              ;   in Loop: Header=BB335_14 Depth=1
	v_mov_b32_e32 v3, 0
	v_or_b32_e32 v2, 0x10000, v0
	v_cmp_eq_u32_sdwa s[8:9], v0, v3 src0_sel:WORD_0 src1_sel:DWORD
	v_cndmask_b32_e64 v0, v2, v0, s[8:9]
	v_accvgpr_write_b32 a51, v0
; %bb.147:                              ;   in Loop: Header=BB335_14 Depth=1
	s_or_b64 exec, exec, s[30:31]
	flat_load_ubyte v5, v[40:41] offset:776
	v_mov_b32_e32 v10, 0
	s_waitcnt vmcnt(0) lgkmcnt(0)
	v_cmp_ne_u16_e64 s[8:9], 0, v5
	s_and_saveexec_b64 s[30:31], s[8:9]
	s_cbranch_execz .LBB335_153
; %bb.148:                              ;   in Loop: Header=BB335_14 Depth=1
	v_cmp_ne_u16_e64 s[8:9], s39, v5
	v_bfrev_b32_e32 v10, 1
	s_and_saveexec_b64 s[34:35], s[8:9]
	s_cbranch_execz .LBB335_152
; %bb.149:                              ;   in Loop: Header=BB335_14 Depth=1
	v_and_b32_e32 v42, 0xffff, v5
	v_and_b32_e32 v0, 0x7f, v42
	v_cmp_ne_u32_e64 s[8:9], s40, v0
	v_mov_b32_e32 v10, 0x7f800001
	s_and_saveexec_b64 s[36:37], s[8:9]
	s_cbranch_execz .LBB335_151
; %bb.150:                              ;   in Loop: Header=BB335_14 Depth=1
	v_and_b32_e32 v2, 7, v42
	v_ffbh_u32_e32 v10, v2
	v_min_u32_e32 v10, 32, v10
	v_subrev_u32_e32 v12, 28, v10
	v_lshlrev_b64 v[12:13], v12, v[42:43]
	v_lshrrev_b32_e32 v3, 3, v0
	v_sub_u32_e32 v10, 29, v10
	v_and_b32_e32 v12, 7, v12
	v_cmp_gt_u32_e64 s[8:9], 8, v0
	v_cndmask_b32_e64 v0, v3, v10, s[8:9]
	v_cndmask_b32_e64 v2, v2, v12, s[8:9]
	v_lshlrev_b32_e32 v3, 24, v5
	v_bfrev_b32_e32 v5, 60
	v_lshlrev_b32_e32 v2, 20, v2
	v_and_b32_e32 v3, 0x80000000, v3
	v_lshl_add_u32 v0, v0, 23, v5
	v_or3_b32 v10, v3, v0, v2
.LBB335_151:                            ;   in Loop: Header=BB335_14 Depth=1
	s_or_b64 exec, exec, s[36:37]
.LBB335_152:                            ;   in Loop: Header=BB335_14 Depth=1
	s_or_b64 exec, exec, s[34:35]
.LBB335_153:                            ;   in Loop: Header=BB335_14 Depth=1
	s_or_b64 exec, exec, s[30:31]
	v_mul_f32_e32 v0, v1, v10
	v_and_b32_e32 v2, 0x7f800000, v0
	v_cmp_ne_u32_e64 s[8:9], s41, v2
                                        ; implicit-def: $vgpr27
	s_and_saveexec_b64 s[30:31], s[8:9]
	s_xor_b64 s[8:9], exec, s[30:31]
; %bb.154:                              ;   in Loop: Header=BB335_14 Depth=1
	v_bfe_u32 v2, v0, 16, 1
	v_add3_u32 v27, v0, v2, s42
                                        ; implicit-def: $vgpr0
; %bb.155:                              ;   in Loop: Header=BB335_14 Depth=1
	s_andn2_saveexec_b64 s[30:31], s[8:9]
; %bb.156:                              ;   in Loop: Header=BB335_14 Depth=1
	v_mov_b32_e32 v3, 0
	v_or_b32_e32 v2, 0x10000, v0
	v_cmp_eq_u32_sdwa s[8:9], v0, v3 src0_sel:WORD_0 src1_sel:DWORD
	v_cndmask_b32_e64 v27, v2, v0, s[8:9]
; %bb.157:                              ;   in Loop: Header=BB335_14 Depth=1
	s_or_b64 exec, exec, s[30:31]
	flat_load_ubyte v5, v[40:41] offset:896
	v_mov_b32_e32 v10, 0
	s_waitcnt vmcnt(0) lgkmcnt(0)
	v_cmp_ne_u16_e64 s[8:9], 0, v5
	s_and_saveexec_b64 s[30:31], s[8:9]
	s_cbranch_execz .LBB335_163
; %bb.158:                              ;   in Loop: Header=BB335_14 Depth=1
	v_cmp_ne_u16_e64 s[8:9], s39, v5
	v_bfrev_b32_e32 v10, 1
	s_and_saveexec_b64 s[34:35], s[8:9]
	s_cbranch_execz .LBB335_162
; %bb.159:                              ;   in Loop: Header=BB335_14 Depth=1
	v_and_b32_e32 v42, 0xffff, v5
	v_and_b32_e32 v0, 0x7f, v42
	v_cmp_ne_u32_e64 s[8:9], s40, v0
	v_mov_b32_e32 v10, 0x7f800001
	s_and_saveexec_b64 s[36:37], s[8:9]
	s_cbranch_execz .LBB335_161
; %bb.160:                              ;   in Loop: Header=BB335_14 Depth=1
	v_and_b32_e32 v2, 7, v42
	v_lshrrev_b32_e32 v3, 3, v0
	v_cmp_gt_u32_e64 s[8:9], 8, v0
	v_ffbh_u32_e32 v0, v2
	v_min_u32_e32 v0, 32, v0
	v_subrev_u32_e32 v10, 28, v0
	v_lshlrev_b64 v[12:13], v10, v[42:43]
	v_sub_u32_e32 v0, 29, v0
	v_and_b32_e32 v10, 7, v12
	v_cndmask_b32_e64 v0, v3, v0, s[8:9]
	v_cndmask_b32_e64 v2, v2, v10, s[8:9]
	v_lshlrev_b32_e32 v3, 24, v5
	v_bfrev_b32_e32 v5, 60
	v_lshlrev_b32_e32 v2, 20, v2
	v_and_b32_e32 v3, 0x80000000, v3
	v_lshl_add_u32 v0, v0, 23, v5
	v_or3_b32 v10, v3, v0, v2
.LBB335_161:                            ;   in Loop: Header=BB335_14 Depth=1
	s_or_b64 exec, exec, s[36:37]
.LBB335_162:                            ;   in Loop: Header=BB335_14 Depth=1
	s_or_b64 exec, exec, s[34:35]
.LBB335_163:                            ;   in Loop: Header=BB335_14 Depth=1
	s_or_b64 exec, exec, s[30:31]
	v_mul_f32_e32 v0, v1, v10
	v_and_b32_e32 v2, 0x7f800000, v0
	v_cmp_ne_u32_e64 s[8:9], s41, v2
                                        ; implicit-def: $vgpr26
	s_and_saveexec_b64 s[30:31], s[8:9]
	s_xor_b64 s[8:9], exec, s[30:31]
; %bb.164:                              ;   in Loop: Header=BB335_14 Depth=1
	v_bfe_u32 v2, v0, 16, 1
	v_add3_u32 v26, v0, v2, s42
                                        ; implicit-def: $vgpr0
; %bb.165:                              ;   in Loop: Header=BB335_14 Depth=1
	s_andn2_saveexec_b64 s[30:31], s[8:9]
; %bb.166:                              ;   in Loop: Header=BB335_14 Depth=1
	v_mov_b32_e32 v3, 0
	v_or_b32_e32 v2, 0x10000, v0
	v_cmp_eq_u32_sdwa s[8:9], v0, v3 src0_sel:WORD_0 src1_sel:DWORD
	v_cndmask_b32_e64 v26, v2, v0, s[8:9]
; %bb.167:                              ;   in Loop: Header=BB335_14 Depth=1
	s_or_b64 exec, exec, s[30:31]
	flat_load_ubyte v5, v[40:41] offset:904
	v_mov_b32_e32 v10, 0
	s_waitcnt vmcnt(0) lgkmcnt(0)
	v_cmp_ne_u16_e64 s[8:9], 0, v5
	s_and_saveexec_b64 s[30:31], s[8:9]
	s_cbranch_execz .LBB335_173
; %bb.168:                              ;   in Loop: Header=BB335_14 Depth=1
	v_cmp_ne_u16_e64 s[8:9], s39, v5
	v_bfrev_b32_e32 v10, 1
	s_and_saveexec_b64 s[34:35], s[8:9]
	s_cbranch_execz .LBB335_172
; %bb.169:                              ;   in Loop: Header=BB335_14 Depth=1
	v_and_b32_e32 v42, 0xffff, v5
	v_and_b32_e32 v0, 0x7f, v42
	v_cmp_ne_u32_e64 s[8:9], s40, v0
	v_mov_b32_e32 v10, 0x7f800001
	s_and_saveexec_b64 s[36:37], s[8:9]
	s_cbranch_execz .LBB335_171
; %bb.170:                              ;   in Loop: Header=BB335_14 Depth=1
	v_and_b32_e32 v2, 7, v42
	v_ffbh_u32_e32 v10, v2
	v_min_u32_e32 v10, 32, v10
	v_subrev_u32_e32 v12, 28, v10
	v_lshlrev_b64 v[12:13], v12, v[42:43]
	v_lshrrev_b32_e32 v3, 3, v0
	v_sub_u32_e32 v10, 29, v10
	v_and_b32_e32 v12, 7, v12
	v_cmp_gt_u32_e64 s[8:9], 8, v0
	v_cndmask_b32_e64 v0, v3, v10, s[8:9]
	v_cndmask_b32_e64 v2, v2, v12, s[8:9]
	v_lshlrev_b32_e32 v3, 24, v5
	v_bfrev_b32_e32 v5, 60
	v_lshlrev_b32_e32 v2, 20, v2
	v_and_b32_e32 v3, 0x80000000, v3
	v_lshl_add_u32 v0, v0, 23, v5
	v_or3_b32 v10, v3, v0, v2
.LBB335_171:                            ;   in Loop: Header=BB335_14 Depth=1
	s_or_b64 exec, exec, s[36:37]
.LBB335_172:                            ;   in Loop: Header=BB335_14 Depth=1
	s_or_b64 exec, exec, s[34:35]
.LBB335_173:                            ;   in Loop: Header=BB335_14 Depth=1
	s_or_b64 exec, exec, s[30:31]
	v_mul_f32_e32 v0, v1, v10
	v_and_b32_e32 v2, 0x7f800000, v0
	v_cmp_ne_u32_e64 s[8:9], s41, v2
                                        ; implicit-def: $vgpr13
	s_and_saveexec_b64 s[30:31], s[8:9]
	s_xor_b64 s[8:9], exec, s[30:31]
; %bb.174:                              ;   in Loop: Header=BB335_14 Depth=1
	v_bfe_u32 v2, v0, 16, 1
	v_add3_u32 v13, v0, v2, s42
                                        ; implicit-def: $vgpr0
; %bb.175:                              ;   in Loop: Header=BB335_14 Depth=1
	s_andn2_saveexec_b64 s[30:31], s[8:9]
; %bb.176:                              ;   in Loop: Header=BB335_14 Depth=1
	v_mov_b32_e32 v3, 0
	v_or_b32_e32 v2, 0x10000, v0
	v_cmp_eq_u32_sdwa s[8:9], v0, v3 src0_sel:WORD_0 src1_sel:DWORD
	v_cndmask_b32_e64 v13, v2, v0, s[8:9]
; %bb.177:                              ;   in Loop: Header=BB335_14 Depth=1
	s_or_b64 exec, exec, s[30:31]
	flat_load_ubyte v5, v[40:41] offset:1024
	v_mov_b32_e32 v10, 0
	s_waitcnt vmcnt(0) lgkmcnt(0)
	v_cmp_ne_u16_e64 s[8:9], 0, v5
	s_and_saveexec_b64 s[30:31], s[8:9]
	s_cbranch_execz .LBB335_183
; %bb.178:                              ;   in Loop: Header=BB335_14 Depth=1
	v_cmp_ne_u16_e64 s[8:9], s39, v5
	v_bfrev_b32_e32 v10, 1
	s_and_saveexec_b64 s[34:35], s[8:9]
	s_cbranch_execz .LBB335_182
; %bb.179:                              ;   in Loop: Header=BB335_14 Depth=1
	v_and_b32_e32 v42, 0xffff, v5
	v_and_b32_e32 v0, 0x7f, v42
	v_cmp_ne_u32_e64 s[8:9], s40, v0
	v_mov_b32_e32 v10, 0x7f800001
	s_and_saveexec_b64 s[36:37], s[8:9]
	s_cbranch_execz .LBB335_181
; %bb.180:                              ;   in Loop: Header=BB335_14 Depth=1
	v_and_b32_e32 v2, 7, v42
	v_ffbh_u32_e32 v10, v2
	v_min_u32_e32 v10, 32, v10
	v_subrev_u32_e32 v12, 28, v10
	v_lshlrev_b64 v[20:21], v12, v[42:43]
	v_lshrrev_b32_e32 v3, 3, v0
	v_sub_u32_e32 v10, 29, v10
	v_and_b32_e32 v12, 7, v20
	v_cmp_gt_u32_e64 s[8:9], 8, v0
	v_cndmask_b32_e64 v0, v3, v10, s[8:9]
	v_cndmask_b32_e64 v2, v2, v12, s[8:9]
	v_lshlrev_b32_e32 v3, 24, v5
	v_bfrev_b32_e32 v5, 60
	v_lshlrev_b32_e32 v2, 20, v2
	v_and_b32_e32 v3, 0x80000000, v3
	v_lshl_add_u32 v0, v0, 23, v5
	v_or3_b32 v10, v3, v0, v2
.LBB335_181:                            ;   in Loop: Header=BB335_14 Depth=1
	s_or_b64 exec, exec, s[36:37]
.LBB335_182:                            ;   in Loop: Header=BB335_14 Depth=1
	s_or_b64 exec, exec, s[34:35]
.LBB335_183:                            ;   in Loop: Header=BB335_14 Depth=1
	s_or_b64 exec, exec, s[30:31]
	v_mul_f32_e32 v0, v1, v10
	v_and_b32_e32 v2, 0x7f800000, v0
	v_cmp_ne_u32_e64 s[8:9], s41, v2
                                        ; implicit-def: $vgpr46
	s_and_saveexec_b64 s[30:31], s[8:9]
	s_xor_b64 s[8:9], exec, s[30:31]
; %bb.184:                              ;   in Loop: Header=BB335_14 Depth=1
	v_bfe_u32 v2, v0, 16, 1
	v_add3_u32 v46, v0, v2, s42
                                        ; implicit-def: $vgpr0
; %bb.185:                              ;   in Loop: Header=BB335_14 Depth=1
	s_andn2_saveexec_b64 s[30:31], s[8:9]
; %bb.186:                              ;   in Loop: Header=BB335_14 Depth=1
	v_mov_b32_e32 v3, 0
	v_or_b32_e32 v2, 0x10000, v0
	v_cmp_eq_u32_sdwa s[8:9], v0, v3 src0_sel:WORD_0 src1_sel:DWORD
	v_cndmask_b32_e64 v46, v2, v0, s[8:9]
; %bb.187:                              ;   in Loop: Header=BB335_14 Depth=1
	s_or_b64 exec, exec, s[30:31]
	flat_load_ubyte v5, v[40:41] offset:1032
	v_mov_b32_e32 v10, 0
	s_waitcnt vmcnt(0) lgkmcnt(0)
	v_cmp_ne_u16_e64 s[8:9], 0, v5
	s_and_saveexec_b64 s[30:31], s[8:9]
	s_cbranch_execz .LBB335_193
; %bb.188:                              ;   in Loop: Header=BB335_14 Depth=1
	v_cmp_ne_u16_e64 s[8:9], s39, v5
	v_bfrev_b32_e32 v10, 1
	s_and_saveexec_b64 s[34:35], s[8:9]
	s_cbranch_execz .LBB335_192
; %bb.189:                              ;   in Loop: Header=BB335_14 Depth=1
	v_and_b32_e32 v42, 0xffff, v5
	v_and_b32_e32 v0, 0x7f, v42
	v_cmp_ne_u32_e64 s[8:9], s40, v0
	v_mov_b32_e32 v10, 0x7f800001
	s_and_saveexec_b64 s[36:37], s[8:9]
	s_cbranch_execz .LBB335_191
; %bb.190:                              ;   in Loop: Header=BB335_14 Depth=1
	v_and_b32_e32 v2, 7, v42
	v_ffbh_u32_e32 v10, v2
	v_min_u32_e32 v10, 32, v10
	v_subrev_u32_e32 v12, 28, v10
	v_lshlrev_b64 v[20:21], v12, v[42:43]
	v_lshrrev_b32_e32 v3, 3, v0
	v_sub_u32_e32 v10, 29, v10
	v_and_b32_e32 v12, 7, v20
	v_cmp_gt_u32_e64 s[8:9], 8, v0
	v_cndmask_b32_e64 v0, v3, v10, s[8:9]
	v_cndmask_b32_e64 v2, v2, v12, s[8:9]
	v_lshlrev_b32_e32 v3, 24, v5
	v_bfrev_b32_e32 v5, 60
	v_lshlrev_b32_e32 v2, 20, v2
	v_and_b32_e32 v3, 0x80000000, v3
	v_lshl_add_u32 v0, v0, 23, v5
	v_or3_b32 v10, v3, v0, v2
.LBB335_191:                            ;   in Loop: Header=BB335_14 Depth=1
	s_or_b64 exec, exec, s[36:37]
.LBB335_192:                            ;   in Loop: Header=BB335_14 Depth=1
	s_or_b64 exec, exec, s[34:35]
.LBB335_193:                            ;   in Loop: Header=BB335_14 Depth=1
	s_or_b64 exec, exec, s[30:31]
	v_mul_f32_e32 v0, v1, v10
	v_and_b32_e32 v2, 0x7f800000, v0
	v_cmp_ne_u32_e64 s[8:9], s41, v2
                                        ; implicit-def: $vgpr44
	s_and_saveexec_b64 s[30:31], s[8:9]
	s_xor_b64 s[8:9], exec, s[30:31]
; %bb.194:                              ;   in Loop: Header=BB335_14 Depth=1
	v_bfe_u32 v2, v0, 16, 1
	v_add3_u32 v44, v0, v2, s42
                                        ; implicit-def: $vgpr0
; %bb.195:                              ;   in Loop: Header=BB335_14 Depth=1
	s_andn2_saveexec_b64 s[30:31], s[8:9]
; %bb.196:                              ;   in Loop: Header=BB335_14 Depth=1
	v_mov_b32_e32 v3, 0
	v_or_b32_e32 v2, 0x10000, v0
	v_cmp_eq_u32_sdwa s[8:9], v0, v3 src0_sel:WORD_0 src1_sel:DWORD
	v_cndmask_b32_e64 v44, v2, v0, s[8:9]
; %bb.197:                              ;   in Loop: Header=BB335_14 Depth=1
	s_or_b64 exec, exec, s[30:31]
	flat_load_ubyte v5, v[40:41] offset:1152
	v_mov_b32_e32 v10, 0
	s_waitcnt vmcnt(0) lgkmcnt(0)
	v_cmp_ne_u16_e64 s[8:9], 0, v5
	s_and_saveexec_b64 s[30:31], s[8:9]
	s_cbranch_execz .LBB335_203
; %bb.198:                              ;   in Loop: Header=BB335_14 Depth=1
	v_cmp_ne_u16_e64 s[8:9], s39, v5
	v_bfrev_b32_e32 v10, 1
	s_and_saveexec_b64 s[34:35], s[8:9]
	s_cbranch_execz .LBB335_202
; %bb.199:                              ;   in Loop: Header=BB335_14 Depth=1
	v_and_b32_e32 v42, 0xffff, v5
	v_and_b32_e32 v0, 0x7f, v42
	v_cmp_ne_u32_e64 s[8:9], s40, v0
	v_mov_b32_e32 v10, 0x7f800001
	s_and_saveexec_b64 s[36:37], s[8:9]
	s_cbranch_execz .LBB335_201
; %bb.200:                              ;   in Loop: Header=BB335_14 Depth=1
	v_and_b32_e32 v2, 7, v42
	v_ffbh_u32_e32 v10, v2
	v_min_u32_e32 v10, 32, v10
	v_subrev_u32_e32 v12, 28, v10
	v_lshlrev_b64 v[20:21], v12, v[42:43]
	v_lshrrev_b32_e32 v3, 3, v0
	v_sub_u32_e32 v10, 29, v10
	v_and_b32_e32 v12, 7, v20
	v_cmp_gt_u32_e64 s[8:9], 8, v0
	v_cndmask_b32_e64 v0, v3, v10, s[8:9]
	v_cndmask_b32_e64 v2, v2, v12, s[8:9]
	v_lshlrev_b32_e32 v3, 24, v5
	v_bfrev_b32_e32 v5, 60
	v_lshlrev_b32_e32 v2, 20, v2
	v_and_b32_e32 v3, 0x80000000, v3
	v_lshl_add_u32 v0, v0, 23, v5
	v_or3_b32 v10, v3, v0, v2
.LBB335_201:                            ;   in Loop: Header=BB335_14 Depth=1
	s_or_b64 exec, exec, s[36:37]
.LBB335_202:                            ;   in Loop: Header=BB335_14 Depth=1
	s_or_b64 exec, exec, s[34:35]
.LBB335_203:                            ;   in Loop: Header=BB335_14 Depth=1
	s_or_b64 exec, exec, s[30:31]
	v_mul_f32_e32 v0, v1, v10
	v_and_b32_e32 v2, 0x7f800000, v0
	v_cmp_ne_u32_e64 s[8:9], s41, v2
                                        ; implicit-def: $vgpr45
	s_and_saveexec_b64 s[30:31], s[8:9]
	s_xor_b64 s[8:9], exec, s[30:31]
; %bb.204:                              ;   in Loop: Header=BB335_14 Depth=1
	v_bfe_u32 v2, v0, 16, 1
	v_add3_u32 v45, v0, v2, s42
                                        ; implicit-def: $vgpr0
; %bb.205:                              ;   in Loop: Header=BB335_14 Depth=1
	s_andn2_saveexec_b64 s[30:31], s[8:9]
; %bb.206:                              ;   in Loop: Header=BB335_14 Depth=1
	v_mov_b32_e32 v3, 0
	v_or_b32_e32 v2, 0x10000, v0
	v_cmp_eq_u32_sdwa s[8:9], v0, v3 src0_sel:WORD_0 src1_sel:DWORD
	v_cndmask_b32_e64 v45, v2, v0, s[8:9]
; %bb.207:                              ;   in Loop: Header=BB335_14 Depth=1
	s_or_b64 exec, exec, s[30:31]
	flat_load_ubyte v5, v[40:41] offset:1160
	v_mov_b32_e32 v10, 0
	s_waitcnt vmcnt(0) lgkmcnt(0)
	v_cmp_ne_u16_e64 s[8:9], 0, v5
	s_and_saveexec_b64 s[30:31], s[8:9]
	s_cbranch_execz .LBB335_213
; %bb.208:                              ;   in Loop: Header=BB335_14 Depth=1
	v_cmp_ne_u16_e64 s[8:9], s39, v5
	v_bfrev_b32_e32 v10, 1
	s_and_saveexec_b64 s[34:35], s[8:9]
	s_cbranch_execz .LBB335_212
; %bb.209:                              ;   in Loop: Header=BB335_14 Depth=1
	v_and_b32_e32 v42, 0xffff, v5
	v_and_b32_e32 v0, 0x7f, v42
	v_cmp_ne_u32_e64 s[8:9], s40, v0
	v_mov_b32_e32 v10, 0x7f800001
	s_and_saveexec_b64 s[36:37], s[8:9]
	s_cbranch_execz .LBB335_211
; %bb.210:                              ;   in Loop: Header=BB335_14 Depth=1
	v_and_b32_e32 v2, 7, v42
	v_ffbh_u32_e32 v10, v2
	v_min_u32_e32 v10, 32, v10
	v_subrev_u32_e32 v12, 28, v10
	v_lshlrev_b64 v[20:21], v12, v[42:43]
	v_lshrrev_b32_e32 v3, 3, v0
	v_sub_u32_e32 v10, 29, v10
	v_and_b32_e32 v12, 7, v20
	v_cmp_gt_u32_e64 s[8:9], 8, v0
	v_cndmask_b32_e64 v0, v3, v10, s[8:9]
	v_cndmask_b32_e64 v2, v2, v12, s[8:9]
	v_lshlrev_b32_e32 v3, 24, v5
	v_bfrev_b32_e32 v5, 60
	v_lshlrev_b32_e32 v2, 20, v2
	v_and_b32_e32 v3, 0x80000000, v3
	v_lshl_add_u32 v0, v0, 23, v5
	v_or3_b32 v10, v3, v0, v2
.LBB335_211:                            ;   in Loop: Header=BB335_14 Depth=1
	s_or_b64 exec, exec, s[36:37]
.LBB335_212:                            ;   in Loop: Header=BB335_14 Depth=1
	s_or_b64 exec, exec, s[34:35]
.LBB335_213:                            ;   in Loop: Header=BB335_14 Depth=1
	s_or_b64 exec, exec, s[30:31]
	v_mul_f32_e32 v0, v1, v10
	v_and_b32_e32 v2, 0x7f800000, v0
	v_cmp_ne_u32_e64 s[8:9], s41, v2
                                        ; implicit-def: $vgpr21
	s_and_saveexec_b64 s[30:31], s[8:9]
	s_xor_b64 s[8:9], exec, s[30:31]
; %bb.214:                              ;   in Loop: Header=BB335_14 Depth=1
	v_bfe_u32 v2, v0, 16, 1
	v_add3_u32 v21, v0, v2, s42
                                        ; implicit-def: $vgpr0
; %bb.215:                              ;   in Loop: Header=BB335_14 Depth=1
	s_andn2_saveexec_b64 s[30:31], s[8:9]
; %bb.216:                              ;   in Loop: Header=BB335_14 Depth=1
	v_mov_b32_e32 v3, 0
	v_or_b32_e32 v2, 0x10000, v0
	v_cmp_eq_u32_sdwa s[8:9], v0, v3 src0_sel:WORD_0 src1_sel:DWORD
	v_cndmask_b32_e64 v21, v2, v0, s[8:9]
; %bb.217:                              ;   in Loop: Header=BB335_14 Depth=1
	s_or_b64 exec, exec, s[30:31]
	flat_load_ubyte v5, v[40:41] offset:1280
	v_mov_b32_e32 v10, 0
	s_waitcnt vmcnt(0) lgkmcnt(0)
	v_cmp_ne_u16_e64 s[8:9], 0, v5
	s_and_saveexec_b64 s[30:31], s[8:9]
	s_cbranch_execz .LBB335_223
; %bb.218:                              ;   in Loop: Header=BB335_14 Depth=1
	v_cmp_ne_u16_e64 s[8:9], s39, v5
	v_bfrev_b32_e32 v10, 1
	s_and_saveexec_b64 s[34:35], s[8:9]
	s_cbranch_execz .LBB335_222
; %bb.219:                              ;   in Loop: Header=BB335_14 Depth=1
	v_and_b32_e32 v42, 0xffff, v5
	v_and_b32_e32 v0, 0x7f, v42
	v_cmp_ne_u32_e64 s[8:9], s40, v0
	v_mov_b32_e32 v10, 0x7f800001
	s_and_saveexec_b64 s[36:37], s[8:9]
	s_cbranch_execz .LBB335_221
; %bb.220:                              ;   in Loop: Header=BB335_14 Depth=1
	v_and_b32_e32 v2, 7, v42
	v_ffbh_u32_e32 v10, v2
	v_min_u32_e32 v10, 32, v10
	v_subrev_u32_e32 v12, 28, v10
	v_lshlrev_b64 v[24:25], v12, v[42:43]
	v_lshrrev_b32_e32 v3, 3, v0
	v_sub_u32_e32 v10, 29, v10
	v_and_b32_e32 v12, 7, v24
	v_cmp_gt_u32_e64 s[8:9], 8, v0
	v_cndmask_b32_e64 v0, v3, v10, s[8:9]
	v_cndmask_b32_e64 v2, v2, v12, s[8:9]
	v_lshlrev_b32_e32 v3, 24, v5
	v_bfrev_b32_e32 v5, 60
	v_lshlrev_b32_e32 v2, 20, v2
	v_and_b32_e32 v3, 0x80000000, v3
	v_lshl_add_u32 v0, v0, 23, v5
	v_or3_b32 v10, v3, v0, v2
.LBB335_221:                            ;   in Loop: Header=BB335_14 Depth=1
	s_or_b64 exec, exec, s[36:37]
.LBB335_222:                            ;   in Loop: Header=BB335_14 Depth=1
	s_or_b64 exec, exec, s[34:35]
.LBB335_223:                            ;   in Loop: Header=BB335_14 Depth=1
	s_or_b64 exec, exec, s[30:31]
	v_mul_f32_e32 v0, v1, v10
	v_and_b32_e32 v2, 0x7f800000, v0
	v_cmp_ne_u32_e64 s[8:9], s41, v2
                                        ; implicit-def: $vgpr12
	s_and_saveexec_b64 s[30:31], s[8:9]
	s_xor_b64 s[8:9], exec, s[30:31]
; %bb.224:                              ;   in Loop: Header=BB335_14 Depth=1
	v_bfe_u32 v2, v0, 16, 1
	v_add3_u32 v12, v0, v2, s42
                                        ; implicit-def: $vgpr0
; %bb.225:                              ;   in Loop: Header=BB335_14 Depth=1
	s_andn2_saveexec_b64 s[30:31], s[8:9]
; %bb.226:                              ;   in Loop: Header=BB335_14 Depth=1
	v_mov_b32_e32 v3, 0
	v_or_b32_e32 v2, 0x10000, v0
	v_cmp_eq_u32_sdwa s[8:9], v0, v3 src0_sel:WORD_0 src1_sel:DWORD
	v_cndmask_b32_e64 v12, v2, v0, s[8:9]
; %bb.227:                              ;   in Loop: Header=BB335_14 Depth=1
	s_or_b64 exec, exec, s[30:31]
	flat_load_ubyte v5, v[40:41] offset:1288
	v_mov_b32_e32 v10, 0
	s_waitcnt vmcnt(0) lgkmcnt(0)
	v_cmp_ne_u16_e64 s[8:9], 0, v5
	s_and_saveexec_b64 s[30:31], s[8:9]
	s_cbranch_execz .LBB335_233
; %bb.228:                              ;   in Loop: Header=BB335_14 Depth=1
	v_cmp_ne_u16_e64 s[8:9], s39, v5
	v_bfrev_b32_e32 v10, 1
	s_and_saveexec_b64 s[34:35], s[8:9]
	s_cbranch_execz .LBB335_232
; %bb.229:                              ;   in Loop: Header=BB335_14 Depth=1
	v_and_b32_e32 v42, 0xffff, v5
	v_and_b32_e32 v0, 0x7f, v42
	v_cmp_ne_u32_e64 s[8:9], s40, v0
	v_mov_b32_e32 v10, 0x7f800001
	s_and_saveexec_b64 s[36:37], s[8:9]
	s_cbranch_execz .LBB335_231
; %bb.230:                              ;   in Loop: Header=BB335_14 Depth=1
	v_and_b32_e32 v2, 7, v42
	v_ffbh_u32_e32 v10, v2
	v_min_u32_e32 v10, 32, v10
	v_subrev_u32_e32 v14, 28, v10
	v_lshlrev_b64 v[24:25], v14, v[42:43]
	v_lshrrev_b32_e32 v3, 3, v0
	v_sub_u32_e32 v10, 29, v10
	v_and_b32_e32 v14, 7, v24
	v_cmp_gt_u32_e64 s[8:9], 8, v0
	v_cndmask_b32_e64 v0, v3, v10, s[8:9]
	v_cndmask_b32_e64 v2, v2, v14, s[8:9]
	v_lshlrev_b32_e32 v3, 24, v5
	v_bfrev_b32_e32 v5, 60
	v_lshlrev_b32_e32 v2, 20, v2
	v_and_b32_e32 v3, 0x80000000, v3
	v_lshl_add_u32 v0, v0, 23, v5
	v_or3_b32 v10, v3, v0, v2
.LBB335_231:                            ;   in Loop: Header=BB335_14 Depth=1
	s_or_b64 exec, exec, s[36:37]
.LBB335_232:                            ;   in Loop: Header=BB335_14 Depth=1
	s_or_b64 exec, exec, s[34:35]
.LBB335_233:                            ;   in Loop: Header=BB335_14 Depth=1
	s_or_b64 exec, exec, s[30:31]
	v_mul_f32_e32 v0, v1, v10
	v_and_b32_e32 v2, 0x7f800000, v0
	v_cmp_ne_u32_e64 s[8:9], s41, v2
                                        ; implicit-def: $vgpr52
	s_and_saveexec_b64 s[30:31], s[8:9]
	s_xor_b64 s[8:9], exec, s[30:31]
; %bb.234:                              ;   in Loop: Header=BB335_14 Depth=1
	v_bfe_u32 v2, v0, 16, 1
	v_add3_u32 v52, v0, v2, s42
                                        ; implicit-def: $vgpr0
; %bb.235:                              ;   in Loop: Header=BB335_14 Depth=1
	s_andn2_saveexec_b64 s[30:31], s[8:9]
; %bb.236:                              ;   in Loop: Header=BB335_14 Depth=1
	v_mov_b32_e32 v3, 0
	v_or_b32_e32 v2, 0x10000, v0
	v_cmp_eq_u32_sdwa s[8:9], v0, v3 src0_sel:WORD_0 src1_sel:DWORD
	v_cndmask_b32_e64 v52, v2, v0, s[8:9]
; %bb.237:                              ;   in Loop: Header=BB335_14 Depth=1
	s_or_b64 exec, exec, s[30:31]
	flat_load_ubyte v5, v[40:41] offset:1408
	v_mov_b32_e32 v10, 0
	s_waitcnt vmcnt(0) lgkmcnt(0)
	v_cmp_ne_u16_e64 s[8:9], 0, v5
	s_and_saveexec_b64 s[30:31], s[8:9]
	s_cbranch_execz .LBB335_243
; %bb.238:                              ;   in Loop: Header=BB335_14 Depth=1
	v_cmp_ne_u16_e64 s[8:9], s39, v5
	v_bfrev_b32_e32 v10, 1
	s_and_saveexec_b64 s[34:35], s[8:9]
	s_cbranch_execz .LBB335_242
; %bb.239:                              ;   in Loop: Header=BB335_14 Depth=1
	v_and_b32_e32 v42, 0xffff, v5
	v_and_b32_e32 v0, 0x7f, v42
	v_cmp_ne_u32_e64 s[8:9], s40, v0
	v_mov_b32_e32 v10, 0x7f800001
	s_and_saveexec_b64 s[36:37], s[8:9]
	s_cbranch_execz .LBB335_241
; %bb.240:                              ;   in Loop: Header=BB335_14 Depth=1
	v_and_b32_e32 v2, 7, v42
	v_ffbh_u32_e32 v10, v2
	v_min_u32_e32 v10, 32, v10
	v_subrev_u32_e32 v14, 28, v10
	v_lshlrev_b64 v[24:25], v14, v[42:43]
	v_lshrrev_b32_e32 v3, 3, v0
	v_sub_u32_e32 v10, 29, v10
	v_and_b32_e32 v14, 7, v24
	v_cmp_gt_u32_e64 s[8:9], 8, v0
	v_cndmask_b32_e64 v0, v3, v10, s[8:9]
	v_cndmask_b32_e64 v2, v2, v14, s[8:9]
	v_lshlrev_b32_e32 v3, 24, v5
	v_bfrev_b32_e32 v5, 60
	v_lshlrev_b32_e32 v2, 20, v2
	v_and_b32_e32 v3, 0x80000000, v3
	v_lshl_add_u32 v0, v0, 23, v5
	v_or3_b32 v10, v3, v0, v2
.LBB335_241:                            ;   in Loop: Header=BB335_14 Depth=1
	s_or_b64 exec, exec, s[36:37]
.LBB335_242:                            ;   in Loop: Header=BB335_14 Depth=1
	s_or_b64 exec, exec, s[34:35]
.LBB335_243:                            ;   in Loop: Header=BB335_14 Depth=1
	s_or_b64 exec, exec, s[30:31]
	v_mul_f32_e32 v0, v1, v10
	v_and_b32_e32 v2, 0x7f800000, v0
	v_cmp_ne_u32_e64 s[8:9], s41, v2
                                        ; implicit-def: $vgpr53
	s_and_saveexec_b64 s[30:31], s[8:9]
	s_xor_b64 s[8:9], exec, s[30:31]
; %bb.244:                              ;   in Loop: Header=BB335_14 Depth=1
	v_bfe_u32 v2, v0, 16, 1
	v_add3_u32 v53, v0, v2, s42
                                        ; implicit-def: $vgpr0
; %bb.245:                              ;   in Loop: Header=BB335_14 Depth=1
	s_andn2_saveexec_b64 s[30:31], s[8:9]
; %bb.246:                              ;   in Loop: Header=BB335_14 Depth=1
	v_mov_b32_e32 v3, 0
	v_or_b32_e32 v2, 0x10000, v0
	v_cmp_eq_u32_sdwa s[8:9], v0, v3 src0_sel:WORD_0 src1_sel:DWORD
	v_cndmask_b32_e64 v53, v2, v0, s[8:9]
; %bb.247:                              ;   in Loop: Header=BB335_14 Depth=1
	s_or_b64 exec, exec, s[30:31]
	flat_load_ubyte v5, v[40:41] offset:1416
	v_mov_b32_e32 v10, 0
	s_waitcnt vmcnt(0) lgkmcnt(0)
	v_cmp_ne_u16_e64 s[8:9], 0, v5
	s_and_saveexec_b64 s[30:31], s[8:9]
	s_cbranch_execz .LBB335_253
; %bb.248:                              ;   in Loop: Header=BB335_14 Depth=1
	v_cmp_ne_u16_e64 s[8:9], s39, v5
	v_bfrev_b32_e32 v10, 1
	s_and_saveexec_b64 s[34:35], s[8:9]
	s_cbranch_execz .LBB335_252
; %bb.249:                              ;   in Loop: Header=BB335_14 Depth=1
	v_and_b32_e32 v42, 0xffff, v5
	v_and_b32_e32 v0, 0x7f, v42
	v_cmp_ne_u32_e64 s[8:9], s40, v0
	v_mov_b32_e32 v10, 0x7f800001
	s_and_saveexec_b64 s[36:37], s[8:9]
	s_cbranch_execz .LBB335_251
; %bb.250:                              ;   in Loop: Header=BB335_14 Depth=1
	v_and_b32_e32 v2, 7, v42
	v_ffbh_u32_e32 v10, v2
	v_min_u32_e32 v10, 32, v10
	v_subrev_u32_e32 v14, 28, v10
	v_lshlrev_b64 v[24:25], v14, v[42:43]
	v_lshrrev_b32_e32 v3, 3, v0
	v_sub_u32_e32 v10, 29, v10
	v_and_b32_e32 v14, 7, v24
	v_cmp_gt_u32_e64 s[8:9], 8, v0
	v_cndmask_b32_e64 v0, v3, v10, s[8:9]
	v_cndmask_b32_e64 v2, v2, v14, s[8:9]
	v_lshlrev_b32_e32 v3, 24, v5
	v_bfrev_b32_e32 v5, 60
	v_lshlrev_b32_e32 v2, 20, v2
	v_and_b32_e32 v3, 0x80000000, v3
	v_lshl_add_u32 v0, v0, 23, v5
	v_or3_b32 v10, v3, v0, v2
.LBB335_251:                            ;   in Loop: Header=BB335_14 Depth=1
	s_or_b64 exec, exec, s[36:37]
.LBB335_252:                            ;   in Loop: Header=BB335_14 Depth=1
	s_or_b64 exec, exec, s[34:35]
.LBB335_253:                            ;   in Loop: Header=BB335_14 Depth=1
	s_or_b64 exec, exec, s[30:31]
	v_mul_f32_e32 v0, v1, v10
	v_and_b32_e32 v2, 0x7f800000, v0
	v_cmp_ne_u32_e64 s[8:9], s41, v2
                                        ; implicit-def: $vgpr20
	s_and_saveexec_b64 s[30:31], s[8:9]
	s_xor_b64 s[8:9], exec, s[30:31]
; %bb.254:                              ;   in Loop: Header=BB335_14 Depth=1
	v_bfe_u32 v2, v0, 16, 1
	v_add3_u32 v20, v0, v2, s42
                                        ; implicit-def: $vgpr0
; %bb.255:                              ;   in Loop: Header=BB335_14 Depth=1
	s_andn2_saveexec_b64 s[30:31], s[8:9]
; %bb.256:                              ;   in Loop: Header=BB335_14 Depth=1
	v_mov_b32_e32 v3, 0
	v_or_b32_e32 v2, 0x10000, v0
	v_cmp_eq_u32_sdwa s[8:9], v0, v3 src0_sel:WORD_0 src1_sel:DWORD
	v_cndmask_b32_e64 v20, v2, v0, s[8:9]
; %bb.257:                              ;   in Loop: Header=BB335_14 Depth=1
	s_or_b64 exec, exec, s[30:31]
	flat_load_ubyte v5, v[40:41] offset:1536
	v_mov_b32_e32 v10, 0
	s_waitcnt vmcnt(0) lgkmcnt(0)
	v_cmp_ne_u16_e64 s[8:9], 0, v5
	s_and_saveexec_b64 s[30:31], s[8:9]
	s_cbranch_execz .LBB335_263
; %bb.258:                              ;   in Loop: Header=BB335_14 Depth=1
	v_cmp_ne_u16_e64 s[8:9], s39, v5
	v_bfrev_b32_e32 v10, 1
	s_and_saveexec_b64 s[34:35], s[8:9]
	s_cbranch_execz .LBB335_262
; %bb.259:                              ;   in Loop: Header=BB335_14 Depth=1
	v_and_b32_e32 v42, 0xffff, v5
	v_and_b32_e32 v0, 0x7f, v42
	v_cmp_ne_u32_e64 s[8:9], s40, v0
	v_mov_b32_e32 v10, 0x7f800001
	s_and_saveexec_b64 s[36:37], s[8:9]
	s_cbranch_execz .LBB335_261
; %bb.260:                              ;   in Loop: Header=BB335_14 Depth=1
	v_and_b32_e32 v2, 7, v42
	v_ffbh_u32_e32 v10, v2
	v_min_u32_e32 v10, 32, v10
	v_subrev_u32_e32 v14, 28, v10
	v_lshlrev_b64 v[24:25], v14, v[42:43]
	v_lshrrev_b32_e32 v3, 3, v0
	v_sub_u32_e32 v10, 29, v10
	v_and_b32_e32 v14, 7, v24
	v_cmp_gt_u32_e64 s[8:9], 8, v0
	v_cndmask_b32_e64 v0, v3, v10, s[8:9]
	v_cndmask_b32_e64 v2, v2, v14, s[8:9]
	v_lshlrev_b32_e32 v3, 24, v5
	v_bfrev_b32_e32 v5, 60
	v_lshlrev_b32_e32 v2, 20, v2
	v_and_b32_e32 v3, 0x80000000, v3
	v_lshl_add_u32 v0, v0, 23, v5
	v_or3_b32 v10, v3, v0, v2
.LBB335_261:                            ;   in Loop: Header=BB335_14 Depth=1
	s_or_b64 exec, exec, s[36:37]
.LBB335_262:                            ;   in Loop: Header=BB335_14 Depth=1
	s_or_b64 exec, exec, s[34:35]
.LBB335_263:                            ;   in Loop: Header=BB335_14 Depth=1
	s_or_b64 exec, exec, s[30:31]
	v_mul_f32_e32 v0, v1, v10
	v_and_b32_e32 v2, 0x7f800000, v0
	v_cmp_ne_u32_e64 s[8:9], s41, v2
                                        ; implicit-def: $vgpr5
	s_and_saveexec_b64 s[30:31], s[8:9]
	s_xor_b64 s[8:9], exec, s[30:31]
; %bb.264:                              ;   in Loop: Header=BB335_14 Depth=1
	v_bfe_u32 v2, v0, 16, 1
	v_add3_u32 v5, v0, v2, s42
                                        ; implicit-def: $vgpr0
; %bb.265:                              ;   in Loop: Header=BB335_14 Depth=1
	s_andn2_saveexec_b64 s[30:31], s[8:9]
; %bb.266:                              ;   in Loop: Header=BB335_14 Depth=1
	v_mov_b32_e32 v3, 0
	v_or_b32_e32 v2, 0x10000, v0
	v_cmp_eq_u32_sdwa s[8:9], v0, v3 src0_sel:WORD_0 src1_sel:DWORD
	v_cndmask_b32_e64 v5, v2, v0, s[8:9]
; %bb.267:                              ;   in Loop: Header=BB335_14 Depth=1
	s_or_b64 exec, exec, s[30:31]
	flat_load_ubyte v22, v[40:41] offset:1544
	v_mov_b32_e32 v10, 0
	s_waitcnt vmcnt(0) lgkmcnt(0)
	v_cmp_ne_u16_e64 s[8:9], 0, v22
	s_and_saveexec_b64 s[30:31], s[8:9]
	s_cbranch_execz .LBB335_273
; %bb.268:                              ;   in Loop: Header=BB335_14 Depth=1
	v_cmp_ne_u16_e64 s[8:9], s39, v22
	v_bfrev_b32_e32 v10, 1
	s_and_saveexec_b64 s[34:35], s[8:9]
	s_cbranch_execz .LBB335_272
; %bb.269:                              ;   in Loop: Header=BB335_14 Depth=1
	v_and_b32_e32 v42, 0xffff, v22
	v_and_b32_e32 v0, 0x7f, v42
	v_cmp_ne_u32_e64 s[8:9], s40, v0
	v_mov_b32_e32 v10, 0x7f800001
	s_and_saveexec_b64 s[36:37], s[8:9]
	s_cbranch_execz .LBB335_271
; %bb.270:                              ;   in Loop: Header=BB335_14 Depth=1
	v_and_b32_e32 v2, 7, v42
	v_ffbh_u32_e32 v10, v2
	v_min_u32_e32 v10, 32, v10
	v_subrev_u32_e32 v14, 28, v10
	v_lshlrev_b64 v[24:25], v14, v[42:43]
	v_lshrrev_b32_e32 v3, 3, v0
	v_sub_u32_e32 v10, 29, v10
	v_and_b32_e32 v14, 7, v24
	v_cmp_gt_u32_e64 s[8:9], 8, v0
	v_cndmask_b32_e64 v0, v3, v10, s[8:9]
	v_cndmask_b32_e64 v2, v2, v14, s[8:9]
	v_lshlrev_b32_e32 v3, 24, v22
	v_bfrev_b32_e32 v10, 60
	v_lshlrev_b32_e32 v2, 20, v2
	v_and_b32_e32 v3, 0x80000000, v3
	v_lshl_add_u32 v0, v0, 23, v10
	v_or3_b32 v10, v3, v0, v2
.LBB335_271:                            ;   in Loop: Header=BB335_14 Depth=1
	s_or_b64 exec, exec, s[36:37]
.LBB335_272:                            ;   in Loop: Header=BB335_14 Depth=1
	s_or_b64 exec, exec, s[34:35]
.LBB335_273:                            ;   in Loop: Header=BB335_14 Depth=1
	s_or_b64 exec, exec, s[30:31]
	v_mul_f32_e32 v0, v1, v10
	v_and_b32_e32 v2, 0x7f800000, v0
	v_cmp_ne_u32_e64 s[8:9], s41, v2
                                        ; implicit-def: $vgpr22
	s_and_saveexec_b64 s[30:31], s[8:9]
	s_xor_b64 s[8:9], exec, s[30:31]
; %bb.274:                              ;   in Loop: Header=BB335_14 Depth=1
	v_bfe_u32 v2, v0, 16, 1
	v_add3_u32 v22, v0, v2, s42
                                        ; implicit-def: $vgpr0
; %bb.275:                              ;   in Loop: Header=BB335_14 Depth=1
	s_andn2_saveexec_b64 s[30:31], s[8:9]
; %bb.276:                              ;   in Loop: Header=BB335_14 Depth=1
	v_mov_b32_e32 v3, 0
	v_or_b32_e32 v2, 0x10000, v0
	v_cmp_eq_u32_sdwa s[8:9], v0, v3 src0_sel:WORD_0 src1_sel:DWORD
	v_cndmask_b32_e64 v22, v2, v0, s[8:9]
; %bb.277:                              ;   in Loop: Header=BB335_14 Depth=1
	s_or_b64 exec, exec, s[30:31]
	flat_load_ubyte v24, v[40:41] offset:1664
	v_mov_b32_e32 v10, 0
	s_waitcnt vmcnt(0) lgkmcnt(0)
	v_cmp_ne_u16_e64 s[8:9], 0, v24
	s_and_saveexec_b64 s[30:31], s[8:9]
	s_cbranch_execz .LBB335_283
; %bb.278:                              ;   in Loop: Header=BB335_14 Depth=1
	v_cmp_ne_u16_e64 s[8:9], s39, v24
	v_bfrev_b32_e32 v10, 1
	s_and_saveexec_b64 s[34:35], s[8:9]
	s_cbranch_execz .LBB335_282
; %bb.279:                              ;   in Loop: Header=BB335_14 Depth=1
	v_and_b32_e32 v42, 0xffff, v24
	v_and_b32_e32 v0, 0x7f, v42
	v_cmp_ne_u32_e64 s[8:9], s40, v0
	v_mov_b32_e32 v10, 0x7f800001
	s_and_saveexec_b64 s[36:37], s[8:9]
	s_cbranch_execz .LBB335_281
; %bb.280:                              ;   in Loop: Header=BB335_14 Depth=1
	v_and_b32_e32 v2, 7, v42
	v_ffbh_u32_e32 v10, v2
	v_min_u32_e32 v10, 32, v10
	v_subrev_u32_e32 v14, 28, v10
	v_lshlrev_b64 v[56:57], v14, v[42:43]
	v_lshrrev_b32_e32 v3, 3, v0
	v_sub_u32_e32 v10, 29, v10
	v_and_b32_e32 v14, 7, v56
	v_cmp_gt_u32_e64 s[8:9], 8, v0
	v_cndmask_b32_e64 v0, v3, v10, s[8:9]
	v_cndmask_b32_e64 v2, v2, v14, s[8:9]
	v_lshlrev_b32_e32 v3, 24, v24
	v_bfrev_b32_e32 v10, 60
	v_lshlrev_b32_e32 v2, 20, v2
	v_and_b32_e32 v3, 0x80000000, v3
	v_lshl_add_u32 v0, v0, 23, v10
	v_or3_b32 v10, v3, v0, v2
.LBB335_281:                            ;   in Loop: Header=BB335_14 Depth=1
	s_or_b64 exec, exec, s[36:37]
.LBB335_282:                            ;   in Loop: Header=BB335_14 Depth=1
	s_or_b64 exec, exec, s[34:35]
.LBB335_283:                            ;   in Loop: Header=BB335_14 Depth=1
	s_or_b64 exec, exec, s[30:31]
	v_mul_f32_e32 v0, v1, v10
	v_and_b32_e32 v2, 0x7f800000, v0
	v_cmp_ne_u32_e64 s[8:9], s41, v2
                                        ; implicit-def: $vgpr25
	s_and_saveexec_b64 s[30:31], s[8:9]
	s_xor_b64 s[8:9], exec, s[30:31]
; %bb.284:                              ;   in Loop: Header=BB335_14 Depth=1
	v_bfe_u32 v2, v0, 16, 1
	v_add3_u32 v25, v0, v2, s42
                                        ; implicit-def: $vgpr0
; %bb.285:                              ;   in Loop: Header=BB335_14 Depth=1
	s_andn2_saveexec_b64 s[30:31], s[8:9]
; %bb.286:                              ;   in Loop: Header=BB335_14 Depth=1
	v_mov_b32_e32 v3, 0
	v_or_b32_e32 v2, 0x10000, v0
	v_cmp_eq_u32_sdwa s[8:9], v0, v3 src0_sel:WORD_0 src1_sel:DWORD
	v_cndmask_b32_e64 v25, v2, v0, s[8:9]
; %bb.287:                              ;   in Loop: Header=BB335_14 Depth=1
	s_or_b64 exec, exec, s[30:31]
	flat_load_ubyte v24, v[40:41] offset:1672
	v_mov_b32_e32 v10, 0
	s_waitcnt vmcnt(0) lgkmcnt(0)
	v_cmp_ne_u16_e64 s[8:9], 0, v24
	s_and_saveexec_b64 s[30:31], s[8:9]
	s_cbranch_execz .LBB335_293
; %bb.288:                              ;   in Loop: Header=BB335_14 Depth=1
	v_cmp_ne_u16_e64 s[8:9], s39, v24
	v_bfrev_b32_e32 v10, 1
	s_and_saveexec_b64 s[34:35], s[8:9]
	s_cbranch_execz .LBB335_292
; %bb.289:                              ;   in Loop: Header=BB335_14 Depth=1
	v_and_b32_e32 v42, 0xffff, v24
	v_and_b32_e32 v0, 0x7f, v42
	v_cmp_ne_u32_e64 s[8:9], s40, v0
	v_mov_b32_e32 v10, 0x7f800001
	s_and_saveexec_b64 s[36:37], s[8:9]
	s_cbranch_execz .LBB335_291
; %bb.290:                              ;   in Loop: Header=BB335_14 Depth=1
	v_and_b32_e32 v2, 7, v42
	v_ffbh_u32_e32 v10, v2
	v_min_u32_e32 v10, 32, v10
	v_subrev_u32_e32 v14, 28, v10
	v_lshlrev_b64 v[56:57], v14, v[42:43]
	v_lshrrev_b32_e32 v3, 3, v0
	v_sub_u32_e32 v10, 29, v10
	v_and_b32_e32 v14, 7, v56
	v_cmp_gt_u32_e64 s[8:9], 8, v0
	v_cndmask_b32_e64 v0, v3, v10, s[8:9]
	v_cndmask_b32_e64 v2, v2, v14, s[8:9]
	v_lshlrev_b32_e32 v3, 24, v24
	v_bfrev_b32_e32 v10, 60
	v_lshlrev_b32_e32 v2, 20, v2
	v_and_b32_e32 v3, 0x80000000, v3
	v_lshl_add_u32 v0, v0, 23, v10
	v_or3_b32 v10, v3, v0, v2
.LBB335_291:                            ;   in Loop: Header=BB335_14 Depth=1
	s_or_b64 exec, exec, s[36:37]
.LBB335_292:                            ;   in Loop: Header=BB335_14 Depth=1
	s_or_b64 exec, exec, s[34:35]
.LBB335_293:                            ;   in Loop: Header=BB335_14 Depth=1
	s_or_b64 exec, exec, s[30:31]
	v_mul_f32_e32 v0, v1, v10
	v_and_b32_e32 v2, 0x7f800000, v0
	v_cmp_ne_u32_e64 s[8:9], s41, v2
                                        ; implicit-def: $vgpr24
	s_and_saveexec_b64 s[30:31], s[8:9]
	s_xor_b64 s[8:9], exec, s[30:31]
; %bb.294:                              ;   in Loop: Header=BB335_14 Depth=1
	v_bfe_u32 v2, v0, 16, 1
	v_add3_u32 v24, v0, v2, s42
                                        ; implicit-def: $vgpr0
; %bb.295:                              ;   in Loop: Header=BB335_14 Depth=1
	s_andn2_saveexec_b64 s[30:31], s[8:9]
; %bb.296:                              ;   in Loop: Header=BB335_14 Depth=1
	v_mov_b32_e32 v3, 0
	v_or_b32_e32 v2, 0x10000, v0
	v_cmp_eq_u32_sdwa s[8:9], v0, v3 src0_sel:WORD_0 src1_sel:DWORD
	v_cndmask_b32_e64 v24, v2, v0, s[8:9]
; %bb.297:                              ;   in Loop: Header=BB335_14 Depth=1
	s_or_b64 exec, exec, s[30:31]
	flat_load_ubyte v56, v[40:41] offset:1792
	v_mov_b32_e32 v10, 0
	s_waitcnt vmcnt(0) lgkmcnt(0)
	v_cmp_ne_u16_e64 s[8:9], 0, v56
	s_and_saveexec_b64 s[30:31], s[8:9]
	s_cbranch_execz .LBB335_303
; %bb.298:                              ;   in Loop: Header=BB335_14 Depth=1
	v_cmp_ne_u16_e64 s[8:9], s39, v56
	v_bfrev_b32_e32 v10, 1
	s_and_saveexec_b64 s[34:35], s[8:9]
	s_cbranch_execz .LBB335_302
; %bb.299:                              ;   in Loop: Header=BB335_14 Depth=1
	v_and_b32_e32 v42, 0xffff, v56
	v_and_b32_e32 v0, 0x7f, v42
	v_cmp_ne_u32_e64 s[8:9], s40, v0
	v_mov_b32_e32 v10, 0x7f800001
	s_and_saveexec_b64 s[36:37], s[8:9]
	s_cbranch_execz .LBB335_301
; %bb.300:                              ;   in Loop: Header=BB335_14 Depth=1
	v_and_b32_e32 v10, 7, v42
	v_ffbh_u32_e32 v2, v10
	v_min_u32_e32 v15, 32, v2
	v_subrev_u32_e32 v2, 28, v15
	v_lshlrev_b64 v[2:3], v2, v[42:43]
	v_lshrrev_b32_e32 v14, 3, v0
	v_sub_u32_e32 v3, 29, v15
	v_and_b32_e32 v2, 7, v2
	v_cmp_gt_u32_e64 s[8:9], 8, v0
	v_cndmask_b32_e64 v0, v14, v3, s[8:9]
	v_cndmask_b32_e64 v2, v10, v2, s[8:9]
	v_lshlrev_b32_e32 v3, 24, v56
	v_bfrev_b32_e32 v10, 60
	v_lshlrev_b32_e32 v2, 20, v2
	v_and_b32_e32 v3, 0x80000000, v3
	v_lshl_add_u32 v0, v0, 23, v10
	v_or3_b32 v10, v3, v0, v2
.LBB335_301:                            ;   in Loop: Header=BB335_14 Depth=1
	s_or_b64 exec, exec, s[36:37]
.LBB335_302:                            ;   in Loop: Header=BB335_14 Depth=1
	s_or_b64 exec, exec, s[34:35]
.LBB335_303:                            ;   in Loop: Header=BB335_14 Depth=1
	s_or_b64 exec, exec, s[30:31]
	v_mul_f32_e32 v0, v1, v10
	v_and_b32_e32 v2, 0x7f800000, v0
	v_cmp_ne_u32_e64 s[8:9], s41, v2
                                        ; implicit-def: $vgpr56
	s_and_saveexec_b64 s[30:31], s[8:9]
	s_xor_b64 s[8:9], exec, s[30:31]
; %bb.304:                              ;   in Loop: Header=BB335_14 Depth=1
	v_bfe_u32 v2, v0, 16, 1
	v_add3_u32 v56, v0, v2, s42
                                        ; implicit-def: $vgpr0
; %bb.305:                              ;   in Loop: Header=BB335_14 Depth=1
	s_andn2_saveexec_b64 s[30:31], s[8:9]
; %bb.306:                              ;   in Loop: Header=BB335_14 Depth=1
	v_mov_b32_e32 v3, 0
	v_or_b32_e32 v2, 0x10000, v0
	v_cmp_eq_u32_sdwa s[8:9], v0, v3 src0_sel:WORD_0 src1_sel:DWORD
	v_cndmask_b32_e64 v56, v2, v0, s[8:9]
; %bb.307:                              ;   in Loop: Header=BB335_14 Depth=1
	s_or_b64 exec, exec, s[30:31]
	flat_load_ubyte v57, v[40:41] offset:1800
	v_mov_b32_e32 v10, 0
	s_waitcnt vmcnt(0) lgkmcnt(0)
	v_cmp_ne_u16_e64 s[8:9], 0, v57
	s_and_saveexec_b64 s[30:31], s[8:9]
	s_cbranch_execz .LBB335_313
; %bb.308:                              ;   in Loop: Header=BB335_14 Depth=1
	v_cmp_ne_u16_e64 s[8:9], s39, v57
	v_bfrev_b32_e32 v10, 1
	s_and_saveexec_b64 s[34:35], s[8:9]
	s_cbranch_execz .LBB335_312
; %bb.309:                              ;   in Loop: Header=BB335_14 Depth=1
	v_and_b32_e32 v42, 0xffff, v57
	v_and_b32_e32 v0, 0x7f, v42
	v_cmp_ne_u32_e64 s[8:9], s40, v0
	v_mov_b32_e32 v10, 0x7f800001
	s_and_saveexec_b64 s[36:37], s[8:9]
	s_cbranch_execz .LBB335_311
; %bb.310:                              ;   in Loop: Header=BB335_14 Depth=1
	v_and_b32_e32 v10, 7, v42
	v_ffbh_u32_e32 v2, v10
	v_min_u32_e32 v15, 32, v2
	v_subrev_u32_e32 v2, 28, v15
	v_lshlrev_b64 v[2:3], v2, v[42:43]
	v_lshrrev_b32_e32 v14, 3, v0
	v_sub_u32_e32 v3, 29, v15
	v_and_b32_e32 v2, 7, v2
	v_cmp_gt_u32_e64 s[8:9], 8, v0
	v_cndmask_b32_e64 v0, v14, v3, s[8:9]
	v_cndmask_b32_e64 v2, v10, v2, s[8:9]
	v_lshlrev_b32_e32 v3, 24, v57
	v_bfrev_b32_e32 v10, 60
	v_lshlrev_b32_e32 v2, 20, v2
	v_and_b32_e32 v3, 0x80000000, v3
	v_lshl_add_u32 v0, v0, 23, v10
	v_or3_b32 v10, v3, v0, v2
.LBB335_311:                            ;   in Loop: Header=BB335_14 Depth=1
	s_or_b64 exec, exec, s[36:37]
.LBB335_312:                            ;   in Loop: Header=BB335_14 Depth=1
	s_or_b64 exec, exec, s[34:35]
.LBB335_313:                            ;   in Loop: Header=BB335_14 Depth=1
	s_or_b64 exec, exec, s[30:31]
	v_mul_f32_e32 v0, v1, v10
	v_and_b32_e32 v2, 0x7f800000, v0
	v_cmp_ne_u32_e64 s[8:9], s41, v2
                                        ; implicit-def: $vgpr57
	s_and_saveexec_b64 s[30:31], s[8:9]
	s_xor_b64 s[8:9], exec, s[30:31]
; %bb.314:                              ;   in Loop: Header=BB335_14 Depth=1
	v_bfe_u32 v2, v0, 16, 1
	v_add3_u32 v57, v0, v2, s42
                                        ; implicit-def: $vgpr0
; %bb.315:                              ;   in Loop: Header=BB335_14 Depth=1
	s_andn2_saveexec_b64 s[30:31], s[8:9]
; %bb.316:                              ;   in Loop: Header=BB335_14 Depth=1
	v_mov_b32_e32 v3, 0
	v_or_b32_e32 v2, 0x10000, v0
	v_cmp_eq_u32_sdwa s[8:9], v0, v3 src0_sel:WORD_0 src1_sel:DWORD
	v_cndmask_b32_e64 v57, v2, v0, s[8:9]
; %bb.317:                              ;   in Loop: Header=BB335_14 Depth=1
	s_or_b64 exec, exec, s[30:31]
	flat_load_ubyte v10, v[40:41] offset:1920
	v_mov_b32_e32 v0, 0
	s_waitcnt vmcnt(0) lgkmcnt(0)
	v_cmp_ne_u16_e64 s[8:9], 0, v10
	s_and_saveexec_b64 s[30:31], s[8:9]
	s_cbranch_execz .LBB335_323
; %bb.318:                              ;   in Loop: Header=BB335_14 Depth=1
	v_cmp_ne_u16_e64 s[8:9], s39, v10
	v_bfrev_b32_e32 v0, 1
	s_and_saveexec_b64 s[34:35], s[8:9]
	s_cbranch_execz .LBB335_322
; %bb.319:                              ;   in Loop: Header=BB335_14 Depth=1
	v_and_b32_e32 v42, 0xffff, v10
	v_and_b32_e32 v3, 0x7f, v42
	v_cmp_ne_u32_e64 s[8:9], s40, v3
	v_mov_b32_e32 v0, 0x7f800001
	s_and_saveexec_b64 s[36:37], s[8:9]
	s_cbranch_execz .LBB335_321
; %bb.320:                              ;   in Loop: Header=BB335_14 Depth=1
	v_and_b32_e32 v0, 7, v42
	v_ffbh_u32_e32 v14, v0
	v_min_u32_e32 v62, 32, v14
	v_subrev_u32_e32 v14, 28, v62
	v_lshlrev_b64 v[14:15], v14, v[42:43]
	v_lshrrev_b32_e32 v2, 3, v3
	v_sub_u32_e32 v15, 29, v62
	v_and_b32_e32 v14, 7, v14
	v_cmp_gt_u32_e64 s[8:9], 8, v3
	v_cndmask_b32_e64 v2, v2, v15, s[8:9]
	v_cndmask_b32_e64 v0, v0, v14, s[8:9]
	v_lshlrev_b32_e32 v3, 24, v10
	v_bfrev_b32_e32 v10, 60
	v_lshlrev_b32_e32 v0, 20, v0
	v_and_b32_e32 v3, 0x80000000, v3
	v_lshl_add_u32 v2, v2, 23, v10
	v_or3_b32 v0, v3, v2, v0
.LBB335_321:                            ;   in Loop: Header=BB335_14 Depth=1
	s_or_b64 exec, exec, s[36:37]
.LBB335_322:                            ;   in Loop: Header=BB335_14 Depth=1
	s_or_b64 exec, exec, s[34:35]
.LBB335_323:                            ;   in Loop: Header=BB335_14 Depth=1
	s_or_b64 exec, exec, s[30:31]
	v_mul_f32_e32 v0, v1, v0
	v_and_b32_e32 v2, 0x7f800000, v0
	v_cmp_ne_u32_e64 s[8:9], s41, v2
                                        ; implicit-def: $vgpr42
	s_and_saveexec_b64 s[30:31], s[8:9]
	s_xor_b64 s[8:9], exec, s[30:31]
; %bb.324:                              ;   in Loop: Header=BB335_14 Depth=1
	v_bfe_u32 v2, v0, 16, 1
	v_add3_u32 v42, v0, v2, s42
                                        ; implicit-def: $vgpr0
; %bb.325:                              ;   in Loop: Header=BB335_14 Depth=1
	s_andn2_saveexec_b64 s[30:31], s[8:9]
; %bb.326:                              ;   in Loop: Header=BB335_14 Depth=1
	v_mov_b32_e32 v3, 0
	v_or_b32_e32 v2, 0x10000, v0
	v_cmp_eq_u32_sdwa s[8:9], v0, v3 src0_sel:WORD_0 src1_sel:DWORD
	v_cndmask_b32_e64 v42, v2, v0, s[8:9]
; %bb.327:                              ;   in Loop: Header=BB335_14 Depth=1
	s_or_b64 exec, exec, s[30:31]
	flat_load_ubyte v10, v[40:41] offset:1928
	v_mov_b32_e32 v0, 0
	s_waitcnt vmcnt(0) lgkmcnt(0)
	v_cmp_ne_u16_e64 s[8:9], 0, v10
	s_and_saveexec_b64 s[30:31], s[8:9]
	s_cbranch_execz .LBB335_333
; %bb.328:                              ;   in Loop: Header=BB335_14 Depth=1
	v_cmp_ne_u16_e64 s[8:9], s39, v10
	v_bfrev_b32_e32 v0, 1
	s_and_saveexec_b64 s[34:35], s[8:9]
	s_cbranch_execz .LBB335_332
; %bb.329:                              ;   in Loop: Header=BB335_14 Depth=1
	v_and_b32_e32 v40, 0xffff, v10
	v_and_b32_e32 v3, 0x7f, v40
	v_cmp_ne_u32_e64 s[8:9], s40, v3
	v_mov_b32_e32 v0, 0x7f800001
	s_and_saveexec_b64 s[36:37], s[8:9]
	s_cbranch_execz .LBB335_331
; %bb.330:                              ;   in Loop: Header=BB335_14 Depth=1
	v_and_b32_e32 v0, 7, v40
	v_ffbh_u32_e32 v14, v0
	v_min_u32_e32 v41, 32, v14
	v_subrev_u32_e32 v14, 28, v41
	v_lshlrev_b64 v[14:15], v14, v[40:41]
	v_lshrrev_b32_e32 v2, 3, v3
	v_sub_u32_e32 v15, 29, v41
	v_and_b32_e32 v14, 7, v14
	v_cmp_gt_u32_e64 s[8:9], 8, v3
	v_cndmask_b32_e64 v2, v2, v15, s[8:9]
	v_cndmask_b32_e64 v0, v0, v14, s[8:9]
	v_lshlrev_b32_e32 v3, 24, v10
	v_bfrev_b32_e32 v10, 60
	v_lshlrev_b32_e32 v0, 20, v0
	v_and_b32_e32 v3, 0x80000000, v3
	v_lshl_add_u32 v2, v2, 23, v10
	v_or3_b32 v0, v3, v2, v0
.LBB335_331:                            ;   in Loop: Header=BB335_14 Depth=1
	s_or_b64 exec, exec, s[36:37]
.LBB335_332:                            ;   in Loop: Header=BB335_14 Depth=1
	s_or_b64 exec, exec, s[34:35]
.LBB335_333:                            ;   in Loop: Header=BB335_14 Depth=1
	s_or_b64 exec, exec, s[30:31]
	v_mul_f32_e32 v0, v1, v0
	v_and_b32_e32 v1, 0x7f800000, v0
	v_cmp_ne_u32_e64 s[8:9], s41, v1
                                        ; implicit-def: $vgpr1
	s_and_saveexec_b64 s[30:31], s[8:9]
	s_xor_b64 s[8:9], exec, s[30:31]
; %bb.334:                              ;   in Loop: Header=BB335_14 Depth=1
	v_bfe_u32 v1, v0, 16, 1
	v_add3_u32 v1, v0, v1, s42
                                        ; implicit-def: $vgpr0
; %bb.335:                              ;   in Loop: Header=BB335_14 Depth=1
	s_andn2_saveexec_b64 s[30:31], s[8:9]
; %bb.336:                              ;   in Loop: Header=BB335_14 Depth=1
	v_mov_b32_e32 v2, 0
	v_or_b32_e32 v1, 0x10000, v0
	v_cmp_eq_u32_sdwa s[8:9], v0, v2 src0_sel:WORD_0 src1_sel:DWORD
	v_cndmask_b32_e64 v1, v1, v0, s[8:9]
; %bb.337:                              ;   in Loop: Header=BB335_14 Depth=1
	s_or_b64 exec, exec, s[30:31]
	v_and_b32_e32 v2, 0xffff0000, v36
	v_and_b32_e32 v48, 0xffff0000, v23
	v_lshlrev_b32_e32 v0, 16, v36
	v_mul_f32_e32 v2, v2, v48
	v_and_b32_e32 v48, 0xffff0000, v11
	v_lshlrev_b32_e32 v3, 16, v37
	v_fmac_f32_e32 v2, v0, v48
	v_and_b32_e32 v0, 0xffff0000, v28
	v_accvgpr_read_b32 v11, a51
	v_fmac_f32_e32 v2, v3, v0
	v_and_b32_e32 v0, 0xffff0000, v42
	v_and_b32_e32 v42, 0xffff0000, v45
	;; [unrolled: 1-line block ×4, first 2 shown]
	v_accvgpr_read_b32 v11, a50
	v_and_b32_e32 v48, 0xffff0000, v56
	v_and_b32_e32 v56, 0xffff0000, v11
	v_accvgpr_read_b32 v11, a49
	v_and_b32_e32 v3, 0xffff0000, v57
	v_and_b32_e32 v57, 0xffff0000, v11
	;; [unrolled: 3-line block ×3, first 2 shown]
	v_accvgpr_read_b32 v11, a47
	v_and_b32_e32 v61, 0xffff0000, v61
	v_lshlrev_b32_e32 v14, 16, v38
	v_and_b32_e32 v23, 0xffff0000, v11
	v_fmac_f32_e32 v2, v10, v61
	v_and_b32_e32 v15, 0xffff0000, v38
	v_and_b32_e32 v58, 0xffff0000, v58
	v_fmac_f32_e32 v2, v14, v23
	v_lshlrev_b32_e32 v36, 16, v39
	v_and_b32_e32 v51, 0xffff0000, v51
	v_fmac_f32_e32 v2, v15, v58
	v_and_b32_e32 v37, 0xffff0000, v39
	v_and_b32_e32 v29, 0xffff0000, v29
	v_fmac_f32_e32 v2, v36, v51
	v_lshlrev_b32_e32 v38, 16, v32
	v_fmac_f32_e32 v2, v37, v29
	v_and_b32_e32 v32, 0xffff0000, v32
	v_and_b32_e32 v59, 0xffff0000, v59
	v_fmac_f32_e32 v2, v38, v28
	v_lshlrev_b32_e32 v39, 16, v33
	v_fmac_f32_e32 v2, v32, v59
	v_and_b32_e32 v33, 0xffff0000, v33
	v_fmac_f32_e32 v2, v39, v57
	v_lshlrev_b32_e32 v40, 16, v34
	v_fmac_f32_e32 v2, v33, v56
	v_and_b32_e32 v34, 0xffff0000, v34
	v_and_b32_e32 v27, 0xffff0000, v27
	v_fmac_f32_e32 v2, v40, v46
	v_lshlrev_b32_e32 v41, 16, v35
	v_and_b32_e32 v26, 0xffff0000, v26
	v_fmac_f32_e32 v2, v34, v27
	v_and_b32_e32 v35, 0xffff0000, v35
	v_and_b32_e32 v13, 0xffff0000, v13
	v_fmac_f32_e32 v2, v41, v26
	v_lshlrev_b32_e32 v62, 16, v16
	v_fmac_f32_e32 v2, v35, v13
	v_and_b32_e32 v16, 0xffff0000, v16
	v_and_b32_e32 v44, 0xffff0000, v44
	v_fmac_f32_e32 v2, v62, v45
	v_lshlrev_b32_e32 v47, 16, v17
	;; [unrolled: 5-line block ×3, first 2 shown]
	v_and_b32_e32 v12, 0xffff0000, v12
	v_fmac_f32_e32 v2, v17, v21
	v_and_b32_e32 v18, 0xffff0000, v18
	v_and_b32_e32 v52, 0xffff0000, v52
	v_fmac_f32_e32 v2, v31, v12
	v_lshlrev_b32_e32 v49, 16, v19
	v_and_b32_e32 v53, 0xffff0000, v53
	v_fmac_f32_e32 v2, v18, v52
	v_and_b32_e32 v19, 0xffff0000, v19
	v_and_b32_e32 v20, 0xffff0000, v20
	v_fmac_f32_e32 v2, v49, v53
	v_lshlrev_b32_e32 v30, 16, v6
	;; [unrolled: 6-line block ×3, first 2 shown]
	v_and_b32_e32 v25, 0xffff0000, v25
	v_fmac_f32_e32 v2, v6, v22
	v_and_b32_e32 v7, 0xffff0000, v7
	v_and_b32_e32 v24, 0xffff0000, v24
	v_accvgpr_read_b32 v11, a45
	v_fmac_f32_e32 v2, v43, v25
	v_lshlrev_b32_e32 v50, 16, v8
	v_and_b32_e32 v10, 64, v11
	v_fmac_f32_e32 v2, v7, v24
	v_and_b32_e32 v8, 0xffff0000, v8
	v_add_u32_e32 v10, 64, v10
	v_xor_b32_e32 v61, 4, v11
	v_fmac_f32_e32 v2, v50, v48
	v_lshlrev_b32_e32 v60, 16, v9
	v_cmp_lt_i32_e64 s[8:9], v61, v10
	v_fmac_f32_e32 v2, v8, v3
	v_and_b32_e32 v9, 0xffff0000, v9
	v_cndmask_b32_e64 v61, v11, v61, s[8:9]
	v_and_b32_e32 v1, 0xffff0000, v1
	v_fmac_f32_e32 v2, v60, v0
	v_lshlrev_b32_e32 v61, 2, v61
	v_fmac_f32_e32 v2, v9, v1
	ds_bpermute_b32 v0, v61, v2
	v_xor_b32_e32 v1, 2, v11
	v_cmp_lt_i32_e64 s[8:9], v1, v10
	v_cndmask_b32_e64 v1, v11, v1, s[8:9]
	v_lshlrev_b32_e32 v1, 2, v1
	s_waitcnt lgkmcnt(0)
	v_add_f32_e32 v0, v2, v0
	ds_bpermute_b32 v1, v1, v0
	v_xor_b32_e32 v2, 1, v11
	v_cmp_lt_i32_e64 s[8:9], v2, v10
	v_cndmask_b32_e64 v2, v11, v2, s[8:9]
	v_lshlrev_b32_e32 v2, 2, v2
	s_waitcnt lgkmcnt(0)
	v_add_f32_e32 v0, v0, v1
	ds_bpermute_b32 v1, v2, v0
	s_and_saveexec_b64 s[30:31], vcc
	s_cbranch_execz .LBB335_12
; %bb.338:                              ;   in Loop: Header=BB335_14 Depth=1
	buffer_load_dword v5, off, s[0:3], s32 offset:152 ; 4-byte Folded Reload
	v_accvgpr_read_b32 v2, a44
	v_add_u32_e32 v2, v2, v4
	v_cvt_f32_i32_e32 v2, v2
	s_waitcnt lgkmcnt(0)
	v_add_f32_e32 v0, v0, v1
	v_accvgpr_read_b32 v1, a34
	s_load_dword s8, s[26:27], 0x0
	v_accvgpr_read_b32 v3, a37
	v_add_u32_e32 v3, v3, v4
	s_waitcnt vmcnt(0)
	v_mul_f32_e32 v2, v5, v2
	v_cndmask_b32_e64 v2, 0, v2, s[6:7]
	v_fmac_f32_e32 v2, v0, v1
	buffer_load_dword v1, off, s[0:3], s32 offset:148 ; 4-byte Folded Reload
	v_accvgpr_read_b32 v5, a43
	v_accvgpr_read_b32 v0, a3
	s_waitcnt lgkmcnt(0)
	v_add_u32_e32 v5, s8, v5
	v_cmp_lt_i32_e64 s[8:9], v3, v0
	v_cndmask_b32_e64 v0, 0, v2, s[8:9]
	ds_write_b32 v5, v0
	s_waitcnt vmcnt(0)
	v_max_f32_e32 v0, v1, v1
	v_max_f32_e32 v0, v0, v2
	v_cndmask_b32_e64 v1, v1, v0, s[8:9]
	buffer_store_dword v1, off, s[0:3], s32 offset:148 ; 4-byte Folded Spill
	s_branch .LBB335_12
.LBB335_339:
	s_or_b64 exec, exec, s[28:29]
	buffer_load_dword v4, off, s[0:3], s32 offset:148 ; 4-byte Folded Reload
	v_accvgpr_read_b32 v29, a27
	v_accvgpr_read_b32 v15, a16
	;; [unrolled: 1-line block ×17, first 2 shown]
.LBB335_340:
	s_or_b64 exec, exec, s[24:25]
	v_mbcnt_hi_u32_b32 v2, -1, v5
	v_and_b32_e32 v0, 64, v2
	v_add_u32_e32 v3, 64, v0
	v_xor_b32_e32 v0, 32, v2
	v_cmp_lt_i32_e32 vcc, v0, v3
	v_cndmask_b32_e32 v0, v2, v0, vcc
	v_lshlrev_b32_e32 v5, 2, v0
	s_waitcnt vmcnt(0)
	ds_bpermute_b32 v0, v5, v4
	v_max_f32_e32 v1, v4, v4
	v_xor_b32_e32 v4, 16, v2
	v_cmp_lt_i32_e32 vcc, v4, v3
	s_waitcnt lgkmcnt(0)
	v_max_f32_e32 v0, v0, v0
	v_max_f32_e32 v0, v1, v0
	v_cndmask_b32_e32 v1, v2, v4, vcc
	v_lshlrev_b32_e32 v8, 2, v1
	ds_bpermute_b32 v1, v8, v0
	v_xor_b32_e32 v4, 8, v2
	v_cmp_lt_i32_e32 vcc, v4, v3
	s_waitcnt lgkmcnt(0)
	v_max_f32_e32 v1, v1, v1
	v_max_f32_e32 v0, v0, v1
	v_cndmask_b32_e32 v1, v2, v4, vcc
	v_lshlrev_b32_e32 v9, 2, v1
	ds_bpermute_b32 v1, v9, v0
	v_accvgpr_read_b32 v4, a2
	v_and_b32_e32 v43, 63, v4
	v_cmp_eq_u32_e32 vcc, 0, v43
	v_lshlrev_b32_e32 v4, 2, v21
	s_and_saveexec_b64 s[6:7], vcc
	s_cbranch_execz .LBB335_342
; %bb.341:
	s_waitcnt lgkmcnt(0)
	v_max_f32_e32 v1, v1, v1
	v_max_f32_e32 v0, v0, v0
	;; [unrolled: 1-line block ×3, first 2 shown]
	ds_write_b32 v4, v0 offset:512
.LBB335_342:
	s_or_b64 exec, exec, s[6:7]
	v_cmp_gt_u32_e64 s[6:7], 2, v43
	v_mov_b32_e32 v0, 0xff7fffff
	v_lshlrev_b32_e32 v6, 2, v43
	s_waitcnt lgkmcnt(0)
	s_barrier
	s_and_saveexec_b64 s[8:9], s[6:7]
	s_cbranch_execz .LBB335_344
; %bb.343:
	ds_read_b32 v0, v6 offset:512
.LBB335_344:
	s_or_b64 exec, exec, s[8:9]
	v_xor_b32_e32 v1, 1, v2
	v_cmp_lt_i32_e64 s[8:9], v1, v3
	v_cndmask_b32_e64 v1, v2, v1, s[8:9]
	v_lshlrev_b32_e32 v10, 2, v1
	s_waitcnt lgkmcnt(0)
	ds_bpermute_b32 v1, v10, v0
	v_max_f32_e32 v0, v0, v0
	v_accvgpr_read_b32 v7, a11
	v_subrev_u32_e32 v7, s38, v7
	v_lshl_add_u32 v7, v7, 3, s23
	s_waitcnt lgkmcnt(0)
	v_max_f32_e32 v1, v1, v1
	v_max_f32_e32 v0, v0, v1
	v_lshlrev_b32_e32 v1, 2, v2
	v_and_b32_e32 v11, 0x100, v1
	ds_bpermute_b32 v0, v11, v0
	v_accvgpr_read_b32 v1, a3
	v_min_i32_e32 v7, v7, v1
	v_subrev_u32_e32 v1, s23, v7
	v_accvgpr_read_b32 v12, a2
	v_cmp_lt_i32_e64 s[8:9], v12, v1
	v_mov_b32_e32 v12, 0
	s_and_saveexec_b64 s[24:25], s[8:9]
	s_cbranch_execz .LBB335_348
; %bb.345:
	s_ashr_i32 s21, s20, 31
	s_lshl_b64 s[10:11], s[20:21], 2
	s_getpc_b64 s[26:27]
	s_add_u32 s26, s26, llvm.amdgcn.dynlds.offset.table@rel32@lo+4
	s_addc_u32 s27, s27, llvm.amdgcn.dynlds.offset.table@rel32@hi+12
	s_add_u32 s10, s10, s26
	s_addc_u32 s11, s11, s27
	s_load_dword s10, s[10:11], 0x0
	v_mov_b32_e32 v17, v14
	v_accvgpr_read_b32 v14, a2
	s_mov_b64 s[26:27], 0
	v_mov_b32_e32 v12, 0
	s_waitcnt lgkmcnt(0)
	v_lshl_add_u32 v13, v14, 2, s10
.LBB335_346:                            ; =>This Inner Loop Header: Depth=1
	ds_read_b32 v16, v13
	v_add_u32_e32 v14, 0x80, v14
	v_cmp_ge_i32_e64 s[10:11], v14, v1
	s_or_b64 s[26:27], s[10:11], s[26:27]
	s_waitcnt lgkmcnt(0)
	v_sub_f32_e32 v16, v16, v0
	v_mul_f32_e32 v16, 0x3fb8aa3b, v16
	v_exp_f32_e32 v16, v16
	ds_write_b32 v13, v16
	v_add_f32_e32 v12, v12, v16
	v_add_u32_e32 v13, 0x200, v13
	s_andn2_b64 exec, exec, s[26:27]
	s_cbranch_execnz .LBB335_346
; %bb.347:
	s_or_b64 exec, exec, s[26:27]
	v_mov_b32_e32 v14, v17
.LBB335_348:
	s_or_b64 exec, exec, s[24:25]
	ds_bpermute_b32 v5, v5, v12
	s_waitcnt lgkmcnt(0)
	v_add_f32_e32 v5, v12, v5
	ds_bpermute_b32 v8, v8, v5
	s_waitcnt lgkmcnt(0)
	v_add_f32_e32 v5, v5, v8
	ds_bpermute_b32 v8, v9, v5
	v_xor_b32_e32 v9, 4, v2
	v_cmp_lt_i32_e64 s[10:11], v9, v3
	v_cndmask_b32_e64 v9, v2, v9, s[10:11]
	v_lshlrev_b32_e32 v9, 2, v9
	s_waitcnt lgkmcnt(0)
	v_add_f32_e32 v5, v5, v8
	ds_bpermute_b32 v8, v9, v5
	v_xor_b32_e32 v9, 2, v2
	v_cmp_lt_i32_e64 s[10:11], v9, v3
	v_cndmask_b32_e64 v2, v2, v9, s[10:11]
	v_lshlrev_b32_e32 v2, 2, v2
	s_waitcnt lgkmcnt(0)
	v_add_f32_e32 v3, v5, v8
	ds_bpermute_b32 v2, v2, v3
	s_waitcnt lgkmcnt(0)
	v_add_f32_e32 v2, v3, v2
	ds_bpermute_b32 v3, v10, v2
	s_waitcnt lgkmcnt(0)
	v_add_f32_e32 v2, v2, v3
	s_and_saveexec_b64 s[10:11], vcc
	s_cbranch_execz .LBB335_350
; %bb.349:
	ds_write_b32 v4, v2 offset:520
.LBB335_350:
	s_or_b64 exec, exec, s[10:11]
	s_waitcnt lgkmcnt(0)
	s_barrier
	s_mov_b64 s[10:11], exec
	s_and_b64 s[6:7], s[10:11], s[6:7]
	v_accvgpr_read_b32 v8, a15
	s_mov_b64 exec, s[6:7]
	s_cbranch_execz .LBB335_352
; %bb.351:
	ds_read_b32 v2, v6 offset:520
.LBB335_352:
	s_or_b64 exec, exec, s[10:11]
	s_waitcnt lgkmcnt(0)
	ds_bpermute_b32 v3, v10, v2
	s_waitcnt lgkmcnt(0)
	v_add_f32_e32 v2, v2, v3
	ds_bpermute_b32 v2, v11, v2
	s_and_saveexec_b64 s[6:7], s[8:9]
	s_cbranch_execz .LBB335_365
; %bb.353:
	s_waitcnt lgkmcnt(0)
	v_add_f32_e32 v3, 0x358637bd, v2
	v_div_scale_f32 v4, s[8:9], v3, v3, 1.0
	v_rcp_f32_e32 v5, v4
	v_div_scale_f32 v6, vcc, 1.0, v3, 1.0
	s_movk_i32 s8, 0x7f
	v_fma_f32 v8, -v4, v5, 1.0
	v_fmac_f32_e32 v5, v8, v5
	v_mul_f32_e32 v8, v6, v5
	v_fma_f32 v9, -v4, v8, v6
	v_fmac_f32_e32 v8, v9, v5
	v_fma_f32 v4, -v4, v8, v6
	v_div_fmas_f32 v4, v4, v5, v8
	v_accvgpr_read_b32 v5, a2
	v_div_fixup_f32 v6, v4, v3, 1.0
	v_xad_u32 v3, v5, -1, v7
	v_subrev_u32_e32 v4, s23, v3
	v_cmp_lt_u32_e32 vcc, s8, v4
	s_mov_b64 s[10:11], -1
	v_accvgpr_read_b32 v3, a2
	s_and_saveexec_b64 s[8:9], vcc
	s_cbranch_execz .LBB335_362
; %bb.354:
	v_lshrrev_b32_e32 v3, 7, v4
	v_add_u32_e32 v5, -1, v3
	v_lshrrev_b32_e32 v4, 1, v5
	v_mov_b32_e32 v7, v6
	v_add_u32_e32 v4, 1, v4
	v_cmp_lt_u32_e32 vcc, 13, v5
	v_mov_b32_e32 v9, 0
	s_and_saveexec_b64 s[10:11], vcc
	s_cbranch_execz .LBB335_358
; %bb.355:
	s_ashr_i32 s21, s20, 31
	s_lshl_b64 s[24:25], s[20:21], 2
	s_getpc_b64 s[26:27]
	s_add_u32 s26, s26, llvm.amdgcn.dynlds.offset.table@rel32@lo+4
	s_addc_u32 s27, s27, llvm.amdgcn.dynlds.offset.table@rel32@hi+12
	s_add_u32 s24, s24, s26
	s_addc_u32 s25, s25, s27
	s_load_dword s23, s[24:25], 0x0
	v_accvgpr_read_b32 v8, a2
	v_and_b32_e32 v5, -8, v4
	s_mov_b32 s21, 0
	s_mov_b64 s[24:25], 0
	s_waitcnt lgkmcnt(0)
	v_lshl_add_u32 v8, v8, 2, s23
.LBB335_356:                            ; =>This Inner Loop Header: Depth=1
	ds_read2st64_b32 v[10:11], v8 offset1:2
	ds_read2st64_b32 v[12:13], v8 offset0:4 offset1:6
	ds_read2st64_b32 v[18:19], v8 offset0:8 offset1:10
	;; [unrolled: 1-line block ×3, first 2 shown]
	v_add_u32_e32 v5, -8, v5
	s_waitcnt lgkmcnt(3)
	v_pk_mul_f32 v[10:11], v[6:7], v[10:11]
	s_waitcnt lgkmcnt(2)
	v_pk_mul_f32 v[12:13], v[6:7], v[12:13]
	ds_write2st64_b32 v8, v10, v11 offset1:2
	ds_write2st64_b32 v8, v12, v13 offset0:4 offset1:6
	ds_read2st64_b32 v[12:13], v8 offset0:16 offset1:18
	s_waitcnt lgkmcnt(4)
	v_pk_mul_f32 v[10:11], v[6:7], v[18:19]
	ds_write2st64_b32 v8, v10, v11 offset0:8 offset1:10
	s_waitcnt lgkmcnt(4)
	v_pk_mul_f32 v[10:11], v[6:7], v[16:17]
	ds_write2st64_b32 v8, v10, v11 offset0:12 offset1:14
	ds_read2st64_b32 v[10:11], v8 offset0:20 offset1:22
	s_waitcnt lgkmcnt(3)
	v_pk_mul_f32 v[12:13], v[6:7], v[12:13]
	ds_read2st64_b32 v[16:17], v8 offset0:24 offset1:26
	ds_write2st64_b32 v8, v12, v13 offset0:16 offset1:18
	ds_read2st64_b32 v[12:13], v8 offset0:28 offset1:30
	s_waitcnt lgkmcnt(3)
	v_pk_mul_f32 v[10:11], v[6:7], v[10:11]
	ds_write2st64_b32 v8, v10, v11 offset0:20 offset1:22
	s_waitcnt lgkmcnt(3)
	v_pk_mul_f32 v[10:11], v[6:7], v[16:17]
	ds_write2st64_b32 v8, v10, v11 offset0:24 offset1:26
	s_waitcnt lgkmcnt(2)
	v_pk_mul_f32 v[10:11], v[6:7], v[12:13]
	s_add_i32 s21, s21, 16
	v_cmp_eq_u32_e32 vcc, 0, v5
	ds_write2st64_b32 v8, v10, v11 offset0:28 offset1:30
	v_add_u32_e32 v8, 0x2000, v8
	s_or_b64 s[24:25], vcc, s[24:25]
	v_mov_b32_e32 v9, s21
	s_andn2_b64 exec, exec, s[24:25]
	s_cbranch_execnz .LBB335_356
; %bb.357:
	s_or_b64 exec, exec, s[24:25]
.LBB335_358:
	s_or_b64 exec, exec, s[10:11]
	v_and_b32_e32 v4, 7, v4
	v_cmp_ne_u32_e32 vcc, 0, v4
	s_and_saveexec_b64 s[10:11], vcc
	s_cbranch_execz .LBB335_361
; %bb.359:
	s_ashr_i32 s21, s20, 31
	s_lshl_b64 s[24:25], s[20:21], 2
	s_getpc_b64 s[26:27]
	s_add_u32 s26, s26, llvm.amdgcn.dynlds.offset.table@rel32@lo+4
	s_addc_u32 s27, s27, llvm.amdgcn.dynlds.offset.table@rel32@hi+12
	s_add_u32 s24, s24, s26
	s_addc_u32 s25, s25, s27
	s_load_dword s21, s[24:25], 0x0
	v_accvgpr_read_b32 v8, a2
	v_lshlrev_b32_e32 v5, 9, v9
	v_lshlrev_b32_e32 v8, 2, v8
	s_mov_b64 s[24:25], 0
	s_waitcnt lgkmcnt(0)
	v_add3_u32 v5, v5, v8, s21
.LBB335_360:                            ; =>This Inner Loop Header: Depth=1
	ds_read2st64_b32 v[8:9], v5 offset1:2
	v_add_u32_e32 v4, -1, v4
	v_cmp_eq_u32_e32 vcc, 0, v4
	s_or_b64 s[24:25], vcc, s[24:25]
	s_waitcnt lgkmcnt(0)
	v_pk_mul_f32 v[8:9], v[6:7], v[8:9]
	ds_write2st64_b32 v5, v8, v9 offset1:2
	v_add_u32_e32 v5, 0x400, v5
	s_andn2_b64 exec, exec, s[24:25]
	s_cbranch_execnz .LBB335_360
.LBB335_361:
	s_or_b64 exec, exec, s[10:11]
	v_add_u32_e32 v4, 1, v3
	v_and_b32_e32 v5, 0x3fffffe, v4
	v_accvgpr_read_b32 v3, a2
	v_cmp_ne_u32_e32 vcc, v4, v5
	v_lshl_add_u32 v3, v5, 7, v3
	s_orn2_b64 s[10:11], vcc, exec
.LBB335_362:
	s_or_b64 exec, exec, s[8:9]
	s_and_b64 s[8:9], exec, s[10:11]
	v_accvgpr_read_b32 v8, a15
	s_mov_b64 exec, s[8:9]
	s_cbranch_execz .LBB335_365
; %bb.363:
	s_ashr_i32 s21, s20, 31
	s_lshl_b64 s[8:9], s[20:21], 2
	s_getpc_b64 s[10:11]
	s_add_u32 s10, s10, llvm.amdgcn.dynlds.offset.table@rel32@lo+4
	s_addc_u32 s11, s11, llvm.amdgcn.dynlds.offset.table@rel32@hi+12
	s_add_u32 s8, s8, s10
	s_addc_u32 s9, s9, s11
	s_load_dword s8, s[8:9], 0x0
	s_waitcnt lgkmcnt(0)
	v_lshl_add_u32 v4, v3, 2, s8
	s_mov_b64 s[8:9], 0
.LBB335_364:                            ; =>This Inner Loop Header: Depth=1
	ds_read_b32 v5, v4
	v_add_u32_e32 v3, 0x80, v3
	v_cmp_ge_i32_e32 vcc, v3, v1
	s_or_b64 s[8:9], vcc, s[8:9]
	s_waitcnt lgkmcnt(0)
	v_mul_f32_e32 v5, v6, v5
	ds_write_b32 v4, v5
	v_add_u32_e32 v4, 0x200, v4
	s_andn2_b64 exec, exec, s[8:9]
	s_cbranch_execnz .LBB335_364
.LBB335_365:
	s_or_b64 exec, exec, s[6:7]
	v_cmp_ne_u16_e64 s[6:7], s19, 0
	s_cmp_lg_u64 s[6:7], 0
	s_addc_u32 s19, s13, 0
	v_accvgpr_read_b32 v4, a2
	s_mul_i32 s6, s19, s22
	s_mov_b32 s8, 0
	v_cmp_eq_u32_e32 vcc, 0, v4
	s_mul_i32 s6, s6, s15
	s_waitcnt lgkmcnt(0)
	s_barrier
	s_and_saveexec_b64 s[10:11], vcc
	s_cbranch_execz .LBB335_367
; %bb.366:
	s_mul_i32 s12, s19, s12
	s_ashr_i32 s7, s6, 31
	s_ashr_i32 s13, s12, 31
	;; [unrolled: 1-line block ×3, first 2 shown]
	s_lshl_b64 s[22:23], s[6:7], 2
	s_lshl_b64 s[12:13], s[12:13], 2
	s_lshl_b64 s[24:25], s[14:15], 2
	s_add_u32 s7, s24, s12
	s_addc_u32 s9, s25, s13
	s_add_u32 s7, s7, s22
	s_addc_u32 s9, s9, s23
	v_mov_b32_e32 v1, s9
	v_add_co_u32_e32 v4, vcc, s7, v27
	v_addc_co_u32_e32 v5, vcc, v1, v26, vcc
	flat_store_dword v[4:5], v0
	v_add_co_u32_e32 v0, vcc, s7, v25
	v_accvgpr_read_b32 v4, a2
	v_addc_co_u32_e32 v1, vcc, v1, v24, vcc
	flat_store_dword v[0:1], v2
.LBB335_367:
	s_or_b64 exec, exec, s[10:11]
	s_ashr_i32 s21, s20, 31
	s_lshl_b64 s[10:11], s[20:21], 2
	s_getpc_b64 s[12:13]
	s_add_u32 s12, s12, llvm.amdgcn.dynlds.offset.table@rel32@lo+4
	s_addc_u32 s13, s13, llvm.amdgcn.dynlds.offset.table@rel32@hi+12
	s_add_u32 s12, s10, s12
	s_mov_b32 s9, s8
	s_addc_u32 s13, s11, s13
	s_mov_b32 s10, s8
	s_mov_b32 s11, s8
	v_pk_mov_b32 v[0:1], s[8:9], s[8:9] op_sel:[0,1]
	v_pk_mov_b32 v[2:3], s[10:11], s[10:11] op_sel:[0,1]
	s_and_saveexec_b64 s[8:9], s[4:5]
	s_cbranch_execz .LBB335_861
; %bb.368:
	v_max_i32_e32 v30, v30, v33
	v_cvt_f32_u32_e32 v0, v30
	v_add_u32_e32 v4, -1, v31
	v_accvgpr_write_b32 a15, v4
	v_sub_u32_e32 v4, 0, v30
	v_rcp_iflag_f32_e32 v0, v0
	v_add_co_u32_e32 v1, vcc, v22, v23
	v_addc_co_u32_e32 v2, vcc, v20, v32, vcc
	v_mul_f32_e32 v0, 0x4f7ffffe, v0
	v_cvt_u32_f32_e32 v0, v0
	v_lshlrev_b32_e32 v3, 3, v43
	s_load_dword s4, s[12:13], 0x0
	s_mov_b32 s24, 0
	v_mul_lo_u32 v4, v4, v0
	v_mul_hi_u32 v4, v0, v4
	v_add_u32_e32 v38, v0, v4
	v_add_co_u32_e32 v0, vcc, v1, v3
	v_addc_co_u32_e32 v1, vcc, 0, v2, vcc
	v_accvgpr_write_b32 a19, v1
	v_accvgpr_write_b32 a18, v0
	v_accvgpr_read_b32 v0, a12
	v_accvgpr_read_b32 v1, a13
	v_lshlrev_b64 v[0:1], 2, v[0:1]
	v_add_co_u32_e32 v0, vcc, v28, v0
	v_addc_co_u32_e32 v1, vcc, v29, v1, vcc
	v_add_co_u32_e32 v14, vcc, v14, v0
	s_mov_b32 s25, s24
	s_mov_b32 s10, -1
	v_addc_co_u32_e32 v15, vcc, v15, v1, vcc
	s_mov_b32 s26, s24
	s_mov_b32 s27, s24
	v_pk_mov_b32 v[0:1], s[24:25], s[24:25] op_sel:[0,1]
	s_mov_b32 s11, 0xffffff
	v_mov_b32_e32 v17, 0
	s_waitcnt lgkmcnt(0)
	v_lshl_add_u32 v29, v21, 5, s4
	s_mov_b64 s[20:21], 0
	v_pk_mov_b32 v[2:3], s[26:27], s[26:27] op_sel:[0,1]
	s_mov_b32 s7, 0x7f800000
	s_movk_i32 s15, 0x7fff
	s_movk_i32 s30, 0x80
	;; [unrolled: 1-line block ×3, first 2 shown]
	v_bfrev_b32_e32 v39, 60
	v_accvgpr_write_b32 a16, v38
	s_branch .LBB335_371
.LBB335_369:                            ;   in Loop: Header=BB335_371 Depth=1
	s_or_b64 exec, exec, s[4:5]
	v_and_b32_e32 v37, 0xffff0000, v36
	v_and_b32_e32 v36, 0xffff0000, v4
	;; [unrolled: 1-line block ×8, first 2 shown]
	v_pk_add_f32 v[4:5], v[12:13], v[4:5]
	v_pk_add_f32 v[12:13], v[36:37], v[24:25]
	v_add_f32_e32 v4, v4, v5
	v_add_f32_e32 v4, v4, v12
	;; [unrolled: 1-line block ×3, first 2 shown]
	v_and_b32_e32 v5, 0xffff0000, v32
	v_and_b32_e32 v25, 0xffff0000, v60
	;; [unrolled: 1-line block ×5, first 2 shown]
	v_add_f32_e32 v0, v0, v4
	v_and_b32_e32 v4, 0xffff0000, v62
	v_and_b32_e32 v13, 0xffff0000, v19
	;; [unrolled: 1-line block ×3, first 2 shown]
	v_pk_add_f32 v[24:25], v[32:33], v[24:25]
	v_pk_add_f32 v[4:5], v[12:13], v[4:5]
	v_add_f32_e32 v12, v24, v25
	v_add_f32_e32 v4, v12, v4
	;; [unrolled: 1-line block ×3, first 2 shown]
	v_and_b32_e32 v25, 0xffff0000, v27
	v_and_b32_e32 v24, 0xffff0000, v10
	v_and_b32_e32 v27, 0xffff0000, v26
	v_and_b32_e32 v26, 0xffff0000, v9
	v_add_f32_e32 v1, v1, v4
	v_and_b32_e32 v5, 0xffff0000, v46
	v_and_b32_e32 v4, 0xffff0000, v44
	;; [unrolled: 1-line block ×4, first 2 shown]
	v_pk_add_f32 v[24:25], v[26:27], v[24:25]
	v_pk_add_f32 v[4:5], v[12:13], v[4:5]
	v_add_f32_e32 v9, v24, v25
	v_add_f32_e32 v4, v9, v4
	;; [unrolled: 1-line block ×3, first 2 shown]
	v_and_b32_e32 v13, 0xffff0000, v18
	v_and_b32_e32 v12, 0xffff0000, v7
	;; [unrolled: 1-line block ×4, first 2 shown]
	v_add_f32_e32 v2, v2, v4
	v_and_b32_e32 v5, 0xffff0000, v8
	v_and_b32_e32 v4, 0xffff0000, v22
	;; [unrolled: 1-line block ×4, first 2 shown]
	v_pk_add_f32 v[6:7], v[6:7], v[12:13]
	v_pk_add_f32 v[4:5], v[8:9], v[4:5]
	v_add_f32_e32 v6, v6, v7
	v_add_f32_e32 v4, v6, v4
	;; [unrolled: 1-line block ×4, first 2 shown]
.LBB335_370:                            ;   in Loop: Header=BB335_371 Depth=1
	s_or_b64 exec, exec, s[22:23]
	v_accvgpr_read_b32 v6, a12
	v_add_co_u32_e32 v14, vcc, 8, v14
	v_add_u32_e32 v6, 2, v6
	v_addc_co_u32_e32 v15, vcc, 0, v15, vcc
	v_accvgpr_read_b32 v4, a11
	v_mov_b32_e32 v8, v51
	v_cmp_ge_i32_e32 vcc, v6, v4
	v_add_u32_e32 v8, 16, v8
	v_accvgpr_write_b32 a12, v6
	s_or_b64 s[20:21], vcc, s[20:21]
	v_add_u32_e32 v29, 64, v29
	s_andn2_b64 exec, exec, s[20:21]
	s_cbranch_execz .LBB335_860
.LBB335_371:                            ; =>This Inner Loop Header: Depth=1
	v_ashrrev_i32_e32 v4, 31, v8
	v_accvgpr_read_b32 v5, a9
	v_xor_b32_e32 v4, v4, v5
	v_sub_u32_e32 v5, 0, v8
	v_max_i32_e32 v5, v8, v5
	v_accvgpr_read_b32 v6, a8
	v_mov_b32_e32 v51, v8
	v_mul_hi_u32 v6, v5, v6
	v_accvgpr_read_b32 v8, a7
	v_mul_lo_u32 v7, v6, v8
	v_sub_u32_e32 v5, v5, v7
	v_add_u32_e32 v7, 1, v6
	v_cmp_ge_u32_e32 vcc, v5, v8
	v_cndmask_b32_e32 v6, v6, v7, vcc
	v_sub_u32_e32 v7, v5, v8
	v_cndmask_b32_e32 v5, v5, v7, vcc
	v_add_u32_e32 v7, 1, v6
	v_cmp_ge_u32_e32 vcc, v5, v8
	v_cndmask_b32_e32 v5, v6, v7, vcc
	v_xor_b32_e32 v5, v5, v4
	v_sub_u32_e32 v4, v5, v4
	v_accvgpr_read_b32 v6, a10
	v_add_u32_e32 v5, v4, v6
	v_sub_u32_e32 v7, 0, v5
	v_ashrrev_i32_e32 v6, 31, v5
	v_max_i32_e32 v5, v5, v7
	v_mul_hi_u32 v7, v5, v38
	v_mul_lo_u32 v7, v7, v30
	v_sub_u32_e32 v5, v5, v7
	v_sub_u32_e32 v7, v5, v30
	v_cmp_ge_u32_e32 vcc, v5, v30
	v_cndmask_b32_e32 v5, v5, v7, vcc
	v_sub_u32_e32 v7, v5, v30
	v_cmp_ge_u32_e32 vcc, v5, v30
	v_cndmask_b32_e32 v5, v5, v7, vcc
	v_xor_b32_e32 v5, v5, v6
	v_sub_u32_e32 v5, v5, v6
	v_cmp_eq_u32_e32 vcc, 0, v5
	v_accvgpr_read_b32 v5, a14
	v_cmp_gt_i32_e64 s[4:5], v4, v5
	s_or_b64 s[4:5], vcc, s[4:5]
	s_and_saveexec_b64 s[22:23], s[4:5]
	s_cbranch_execz .LBB335_370
; %bb.372:                              ;   in Loop: Header=BB335_371 Depth=1
	flat_load_dword v16, v[14:15]
	ds_read2_b64 v[10:13], v29 offset1:1
	ds_read2_b64 v[6:9], v29 offset0:2 offset1:3
                                        ; implicit-def: $vgpr32
	s_waitcnt lgkmcnt(0)
	v_and_b32_e32 v4, 0x7f800000, v10
	v_cmp_ne_u32_e32 vcc, s7, v4
	s_and_saveexec_b64 s[4:5], vcc
	s_xor_b64 s[4:5], exec, s[4:5]
; %bb.373:                              ;   in Loop: Header=BB335_371 Depth=1
	v_bfe_u32 v4, v10, 16, 1
	v_add3_u32 v32, v10, v4, s15
; %bb.374:                              ;   in Loop: Header=BB335_371 Depth=1
	s_andn2_saveexec_b64 s[4:5], s[4:5]
; %bb.375:                              ;   in Loop: Header=BB335_371 Depth=1
	v_or_b32_e32 v4, 0x10000, v10
	v_cmp_eq_u32_sdwa vcc, v10, v17 src0_sel:WORD_0 src1_sel:DWORD
	v_cndmask_b32_e32 v32, v4, v10, vcc
; %bb.376:                              ;   in Loop: Header=BB335_371 Depth=1
	s_or_b64 exec, exec, s[4:5]
	v_and_b32_e32 v4, 0x7f800000, v11
	v_cmp_ne_u32_e32 vcc, s7, v4
                                        ; implicit-def: $vgpr31
	s_and_saveexec_b64 s[4:5], vcc
	s_xor_b64 s[4:5], exec, s[4:5]
; %bb.377:                              ;   in Loop: Header=BB335_371 Depth=1
	v_bfe_u32 v4, v11, 16, 1
	v_add3_u32 v31, v11, v4, s15
; %bb.378:                              ;   in Loop: Header=BB335_371 Depth=1
	s_andn2_saveexec_b64 s[4:5], s[4:5]
; %bb.379:                              ;   in Loop: Header=BB335_371 Depth=1
	v_or_b32_e32 v4, 0x10000, v11
	v_cmp_eq_u32_sdwa vcc, v11, v17 src0_sel:WORD_0 src1_sel:DWORD
	v_cndmask_b32_e32 v31, v4, v11, vcc
; %bb.380:                              ;   in Loop: Header=BB335_371 Depth=1
	s_or_b64 exec, exec, s[4:5]
	v_and_b32_e32 v4, 0x7f800000, v12
	v_cmp_ne_u32_e32 vcc, s7, v4
                                        ; implicit-def: $vgpr27
	s_and_saveexec_b64 s[4:5], vcc
	s_xor_b64 s[4:5], exec, s[4:5]
; %bb.381:                              ;   in Loop: Header=BB335_371 Depth=1
	v_bfe_u32 v4, v12, 16, 1
	v_add3_u32 v27, v12, v4, s15
; %bb.382:                              ;   in Loop: Header=BB335_371 Depth=1
	s_andn2_saveexec_b64 s[4:5], s[4:5]
; %bb.383:                              ;   in Loop: Header=BB335_371 Depth=1
	v_or_b32_e32 v4, 0x10000, v12
	v_cmp_eq_u32_sdwa vcc, v12, v17 src0_sel:WORD_0 src1_sel:DWORD
	v_cndmask_b32_e32 v27, v4, v12, vcc
; %bb.384:                              ;   in Loop: Header=BB335_371 Depth=1
	s_or_b64 exec, exec, s[4:5]
	v_and_b32_e32 v4, 0x7f800000, v13
	v_cmp_ne_u32_e32 vcc, s7, v4
                                        ; implicit-def: $vgpr5
	s_and_saveexec_b64 s[4:5], vcc
	s_xor_b64 s[4:5], exec, s[4:5]
; %bb.385:                              ;   in Loop: Header=BB335_371 Depth=1
	v_bfe_u32 v4, v13, 16, 1
	v_add3_u32 v5, v13, v4, s15
                                        ; implicit-def: $vgpr10_vgpr11_vgpr12_vgpr13
; %bb.386:                              ;   in Loop: Header=BB335_371 Depth=1
	s_andn2_saveexec_b64 s[4:5], s[4:5]
; %bb.387:                              ;   in Loop: Header=BB335_371 Depth=1
	v_or_b32_e32 v4, 0x10000, v13
	v_cmp_eq_u32_sdwa vcc, v13, v17 src0_sel:WORD_0 src1_sel:DWORD
	v_cndmask_b32_e32 v5, v4, v13, vcc
; %bb.388:                              ;   in Loop: Header=BB335_371 Depth=1
	s_or_b64 exec, exec, s[4:5]
	v_and_b32_e32 v4, 0x7f800000, v6
	v_cmp_ne_u32_e32 vcc, s7, v4
                                        ; implicit-def: $vgpr4
	s_and_saveexec_b64 s[4:5], vcc
	s_xor_b64 s[4:5], exec, s[4:5]
; %bb.389:                              ;   in Loop: Header=BB335_371 Depth=1
	v_bfe_u32 v4, v6, 16, 1
	v_add3_u32 v4, v6, v4, s15
; %bb.390:                              ;   in Loop: Header=BB335_371 Depth=1
	s_andn2_saveexec_b64 s[4:5], s[4:5]
; %bb.391:                              ;   in Loop: Header=BB335_371 Depth=1
	v_or_b32_e32 v4, 0x10000, v6
	v_cmp_eq_u32_sdwa vcc, v6, v17 src0_sel:WORD_0 src1_sel:DWORD
	v_cndmask_b32_e32 v4, v4, v6, vcc
; %bb.392:                              ;   in Loop: Header=BB335_371 Depth=1
	s_or_b64 exec, exec, s[4:5]
	v_and_b32_e32 v6, 0x7f800000, v7
	v_cmp_ne_u32_e32 vcc, s7, v6
                                        ; implicit-def: $vgpr26
	s_and_saveexec_b64 s[4:5], vcc
	s_xor_b64 s[4:5], exec, s[4:5]
; %bb.393:                              ;   in Loop: Header=BB335_371 Depth=1
	v_bfe_u32 v6, v7, 16, 1
	v_add3_u32 v26, v7, v6, s15
; %bb.394:                              ;   in Loop: Header=BB335_371 Depth=1
	s_andn2_saveexec_b64 s[4:5], s[4:5]
; %bb.395:                              ;   in Loop: Header=BB335_371 Depth=1
	v_or_b32_e32 v6, 0x10000, v7
	v_cmp_eq_u32_sdwa vcc, v7, v17 src0_sel:WORD_0 src1_sel:DWORD
	v_cndmask_b32_e32 v26, v6, v7, vcc
; %bb.396:                              ;   in Loop: Header=BB335_371 Depth=1
	s_or_b64 exec, exec, s[4:5]
	v_and_b32_e32 v6, 0x7f800000, v8
	v_cmp_ne_u32_e32 vcc, s7, v6
                                        ; implicit-def: $vgpr21
	s_and_saveexec_b64 s[4:5], vcc
	s_xor_b64 s[4:5], exec, s[4:5]
; %bb.397:                              ;   in Loop: Header=BB335_371 Depth=1
	v_bfe_u32 v6, v8, 16, 1
	v_add3_u32 v21, v8, v6, s15
; %bb.398:                              ;   in Loop: Header=BB335_371 Depth=1
	s_andn2_saveexec_b64 s[4:5], s[4:5]
; %bb.399:                              ;   in Loop: Header=BB335_371 Depth=1
	v_or_b32_e32 v6, 0x10000, v8
	v_cmp_eq_u32_sdwa vcc, v8, v17 src0_sel:WORD_0 src1_sel:DWORD
	v_cndmask_b32_e32 v21, v6, v8, vcc
; %bb.400:                              ;   in Loop: Header=BB335_371 Depth=1
	s_or_b64 exec, exec, s[4:5]
	v_and_b32_e32 v6, 0x7f800000, v9
	v_cmp_ne_u32_e32 vcc, s7, v6
                                        ; implicit-def: $vgpr19
	s_and_saveexec_b64 s[4:5], vcc
	s_xor_b64 s[4:5], exec, s[4:5]
; %bb.401:                              ;   in Loop: Header=BB335_371 Depth=1
	v_bfe_u32 v6, v9, 16, 1
	v_add3_u32 v19, v9, v6, s15
                                        ; implicit-def: $vgpr6_vgpr7_vgpr8_vgpr9
; %bb.402:                              ;   in Loop: Header=BB335_371 Depth=1
	s_andn2_saveexec_b64 s[4:5], s[4:5]
; %bb.403:                              ;   in Loop: Header=BB335_371 Depth=1
	v_or_b32_e32 v6, 0x10000, v9
	v_cmp_eq_u32_sdwa vcc, v9, v17 src0_sel:WORD_0 src1_sel:DWORD
	v_cndmask_b32_e32 v19, v6, v9, vcc
; %bb.404:                              ;   in Loop: Header=BB335_371 Depth=1
	s_or_b64 exec, exec, s[4:5]
	v_accvgpr_read_b32 v8, a18
	v_accvgpr_read_b32 v6, a6
	;; [unrolled: 1-line block ×3, first 2 shown]
	s_waitcnt vmcnt(0)
	v_mad_i64_i32 v[6:7], s[4:5], v16, v6, v[8:9]
	v_accvgpr_read_b32 v11, a5
	flat_load_dwordx2 v[8:9], v[6:7]
	v_accvgpr_read_b32 v10, a4
	flat_load_dword v11, v[10:11]
	v_mov_b32_e32 v10, 0
	s_waitcnt vmcnt(0) lgkmcnt(0)
	v_cmp_ne_u16_sdwa s[24:25], v8, v17 src0_sel:BYTE_0 src1_sel:DWORD
	s_and_saveexec_b64 s[4:5], s[24:25]
	s_cbranch_execz .LBB335_410
; %bb.405:                              ;   in Loop: Header=BB335_371 Depth=1
	v_cmp_ne_u16_sdwa s[26:27], v8, s30 src0_sel:BYTE_0 src1_sel:DWORD
	v_bfrev_b32_e32 v10, 1
	s_and_saveexec_b64 s[24:25], s[26:27]
	s_cbranch_execz .LBB335_409
; %bb.406:                              ;   in Loop: Header=BB335_371 Depth=1
	v_and_b32_e32 v12, 0x7f, v8
	v_cmp_ne_u32_e32 vcc, s31, v12
	v_mov_b32_e32 v10, 0x7f800001
	s_and_saveexec_b64 s[26:27], vcc
	s_cbranch_execz .LBB335_408
; %bb.407:                              ;   in Loop: Header=BB335_371 Depth=1
	v_and_b32_e32 v10, 7, v8
	v_ffbh_u32_e32 v10, v10
	v_min_u32_e32 v10, 32, v10
	v_subrev_u32_e32 v16, 28, v10
	v_cmp_gt_u32_e32 vcc, 8, v12
	v_lshrrev_b32_e32 v13, 3, v12
	v_sub_u32_e32 v10, 29, v10
	v_cndmask_b32_e32 v12, 0, v16, vcc
	v_cndmask_b32_e32 v10, v13, v10, vcc
	v_lshlrev_b64 v[12:13], v12, v[8:9]
	v_lshlrev_b32_e32 v12, 20, v12
	v_lshlrev_b32_e32 v13, 24, v8
	v_and_b32_e32 v12, 0x700000, v12
	v_and_b32_e32 v13, 0x80000000, v13
	v_lshl_add_u32 v10, v10, 23, v39
	v_or3_b32 v10, v13, v10, v12
.LBB335_408:                            ;   in Loop: Header=BB335_371 Depth=1
	s_or_b64 exec, exec, s[26:27]
.LBB335_409:                            ;   in Loop: Header=BB335_371 Depth=1
	s_or_b64 exec, exec, s[24:25]
.LBB335_410:                            ;   in Loop: Header=BB335_371 Depth=1
	s_or_b64 exec, exec, s[4:5]
	v_mul_f32_e32 v10, v11, v10
	v_and_b32_e32 v12, 0x7f800000, v10
	v_cmp_ne_u32_e32 vcc, s7, v12
                                        ; implicit-def: $vgpr12
	s_and_saveexec_b64 s[4:5], vcc
	s_xor_b64 s[4:5], exec, s[4:5]
; %bb.411:                              ;   in Loop: Header=BB335_371 Depth=1
	v_bfe_u32 v12, v10, 16, 1
	v_add3_u32 v12, v10, v12, s15
                                        ; implicit-def: $vgpr10
; %bb.412:                              ;   in Loop: Header=BB335_371 Depth=1
	s_andn2_saveexec_b64 s[4:5], s[4:5]
; %bb.413:                              ;   in Loop: Header=BB335_371 Depth=1
	v_or_b32_e32 v12, 0x10000, v10
	v_cmp_eq_u32_sdwa vcc, v10, v17 src0_sel:WORD_0 src1_sel:DWORD
	v_cndmask_b32_e32 v12, v12, v10, vcc
; %bb.414:                              ;   in Loop: Header=BB335_371 Depth=1
	s_or_b64 exec, exec, s[4:5]
	v_lshrrev_b16_e32 v10, 8, v8
	v_cmp_ne_u16_e32 vcc, 0, v10
	v_mov_b32_e32 v13, 0
	s_and_saveexec_b64 s[4:5], vcc
	s_cbranch_execz .LBB335_420
; %bb.415:                              ;   in Loop: Header=BB335_371 Depth=1
	v_cmp_ne_u16_e32 vcc, s30, v10
	v_bfrev_b32_e32 v13, 1
	s_and_saveexec_b64 s[24:25], vcc
	s_cbranch_execz .LBB335_419
; %bb.416:                              ;   in Loop: Header=BB335_371 Depth=1
	v_and_b32_e32 v16, 0x7f, v10
	v_cmp_ne_u32_e32 vcc, s31, v16
	v_mov_b32_e32 v13, 0x7f800001
	s_and_saveexec_b64 s[26:27], vcc
	s_cbranch_execz .LBB335_418
; %bb.417:                              ;   in Loop: Header=BB335_371 Depth=1
	v_and_b32_e32 v13, 7, v10
	v_ffbh_u32_e32 v20, v13
	v_min_u32_e32 v20, 32, v20
	v_subrev_u32_e32 v22, 28, v20
	v_lshlrev_b64 v[24:25], v22, v[10:11]
	v_lshrrev_b32_e32 v18, 3, v16
	v_sub_u32_e32 v10, 29, v20
	v_and_b32_e32 v20, 7, v24
	v_cmp_gt_u32_e32 vcc, 8, v16
	v_cndmask_b32_e32 v10, v18, v10, vcc
	v_cndmask_b32_e32 v13, v13, v20, vcc
	v_lshlrev_b32_e32 v16, 16, v8
	v_lshlrev_b32_e32 v13, 20, v13
	v_and_b32_e32 v16, 0x80000000, v16
	v_lshl_add_u32 v10, v10, 23, v39
	v_or3_b32 v13, v16, v10, v13
.LBB335_418:                            ;   in Loop: Header=BB335_371 Depth=1
	s_or_b64 exec, exec, s[26:27]
.LBB335_419:                            ;   in Loop: Header=BB335_371 Depth=1
	s_or_b64 exec, exec, s[24:25]
.LBB335_420:                            ;   in Loop: Header=BB335_371 Depth=1
	s_or_b64 exec, exec, s[4:5]
	v_mul_f32_e32 v10, v11, v13
	v_and_b32_e32 v13, 0x7f800000, v10
	v_cmp_ne_u32_e32 vcc, s7, v13
                                        ; implicit-def: $vgpr13
	s_and_saveexec_b64 s[4:5], vcc
	s_xor_b64 s[4:5], exec, s[4:5]
; %bb.421:                              ;   in Loop: Header=BB335_371 Depth=1
	v_bfe_u32 v13, v10, 16, 1
	v_add3_u32 v13, v10, v13, s15
                                        ; implicit-def: $vgpr10
; %bb.422:                              ;   in Loop: Header=BB335_371 Depth=1
	s_andn2_saveexec_b64 s[4:5], s[4:5]
; %bb.423:                              ;   in Loop: Header=BB335_371 Depth=1
	v_or_b32_e32 v13, 0x10000, v10
	v_cmp_eq_u32_sdwa vcc, v10, v17 src0_sel:WORD_0 src1_sel:DWORD
	v_cndmask_b32_e32 v13, v13, v10, vcc
; %bb.424:                              ;   in Loop: Header=BB335_371 Depth=1
	s_or_b64 exec, exec, s[4:5]
	v_lshrrev_b32_e32 v10, 16, v8
	v_cmp_ne_u16_sdwa s[24:25], v10, v17 src0_sel:BYTE_0 src1_sel:DWORD
	v_mov_b32_e32 v16, 0
	s_and_saveexec_b64 s[4:5], s[24:25]
	s_cbranch_execz .LBB335_430
; %bb.425:                              ;   in Loop: Header=BB335_371 Depth=1
	v_cmp_ne_u16_sdwa s[26:27], v10, s30 src0_sel:BYTE_0 src1_sel:DWORD
	v_bfrev_b32_e32 v16, 1
	s_and_saveexec_b64 s[24:25], s[26:27]
	s_cbranch_execz .LBB335_429
; %bb.426:                              ;   in Loop: Header=BB335_371 Depth=1
	v_bfe_u32 v18, v8, 16, 7
	v_cmp_ne_u32_e32 vcc, s31, v18
	v_mov_b32_e32 v16, 0x7f800001
	s_and_saveexec_b64 s[26:27], vcc
	s_cbranch_execz .LBB335_428
; %bb.427:                              ;   in Loop: Header=BB335_371 Depth=1
	v_and_b32_e32 v16, 7, v10
	v_ffbh_u32_e32 v22, v16
	v_min_u32_e32 v22, 32, v22
	v_subrev_u32_e32 v23, 28, v22
	v_lshlrev_b64 v[24:25], v23, v[10:11]
	v_lshrrev_b32_e32 v20, 3, v18
	v_sub_u32_e32 v22, 29, v22
	v_and_b32_e32 v23, 7, v24
	v_cmp_gt_u32_e32 vcc, 8, v18
	v_cndmask_b32_e32 v18, v20, v22, vcc
	v_cndmask_b32_e32 v16, v16, v23, vcc
	v_lshlrev_b32_e32 v10, 24, v10
	v_lshlrev_b32_e32 v16, 20, v16
	v_and_b32_e32 v10, 0x80000000, v10
	v_lshl_add_u32 v18, v18, 23, v39
	v_or3_b32 v16, v10, v18, v16
.LBB335_428:                            ;   in Loop: Header=BB335_371 Depth=1
	s_or_b64 exec, exec, s[26:27]
.LBB335_429:                            ;   in Loop: Header=BB335_371 Depth=1
	s_or_b64 exec, exec, s[24:25]
.LBB335_430:                            ;   in Loop: Header=BB335_371 Depth=1
	s_or_b64 exec, exec, s[4:5]
	v_mul_f32_e32 v10, v11, v16
	v_and_b32_e32 v16, 0x7f800000, v10
	v_cmp_ne_u32_e32 vcc, s7, v16
                                        ; implicit-def: $vgpr20
	s_and_saveexec_b64 s[4:5], vcc
	s_xor_b64 s[4:5], exec, s[4:5]
; %bb.431:                              ;   in Loop: Header=BB335_371 Depth=1
	v_bfe_u32 v16, v10, 16, 1
	v_add3_u32 v20, v10, v16, s15
                                        ; implicit-def: $vgpr10
; %bb.432:                              ;   in Loop: Header=BB335_371 Depth=1
	s_andn2_saveexec_b64 s[4:5], s[4:5]
; %bb.433:                              ;   in Loop: Header=BB335_371 Depth=1
	v_or_b32_e32 v16, 0x10000, v10
	v_cmp_eq_u32_sdwa vcc, v10, v17 src0_sel:WORD_0 src1_sel:DWORD
	v_cndmask_b32_e32 v20, v16, v10, vcc
; %bb.434:                              ;   in Loop: Header=BB335_371 Depth=1
	s_or_b64 exec, exec, s[4:5]
	v_cmp_lt_u32_e32 vcc, s11, v8
	v_mov_b32_e32 v16, 0
	s_and_saveexec_b64 s[4:5], vcc
	s_cbranch_execz .LBB335_440
; %bb.435:                              ;   in Loop: Header=BB335_371 Depth=1
	v_lshrrev_b32_e32 v10, 24, v8
	v_cmp_ne_u32_e32 vcc, s30, v10
	v_bfrev_b32_e32 v16, 1
	s_and_saveexec_b64 s[24:25], vcc
	s_cbranch_execz .LBB335_439
; %bb.436:                              ;   in Loop: Header=BB335_371 Depth=1
	v_bfe_u32 v18, v8, 24, 7
	v_cmp_ne_u32_e32 vcc, s31, v18
	v_mov_b32_e32 v16, 0x7f800001
	s_and_saveexec_b64 s[26:27], vcc
	s_cbranch_execz .LBB335_438
; %bb.437:                              ;   in Loop: Header=BB335_371 Depth=1
	v_and_b32_e32 v16, 7, v10
	v_ffbh_u32_e32 v23, v16
	v_min_u32_e32 v23, 32, v23
	v_subrev_u32_e32 v24, 28, v23
	v_lshlrev_b64 v[24:25], v24, v[10:11]
	v_lshrrev_b32_e32 v22, 3, v18
	v_sub_u32_e32 v23, 29, v23
	v_and_b32_e32 v24, 7, v24
	v_cmp_gt_u32_e32 vcc, 8, v18
	v_cndmask_b32_e32 v18, v22, v23, vcc
	v_cndmask_b32_e32 v16, v16, v24, vcc
	v_lshlrev_b32_e32 v10, 24, v10
	v_lshlrev_b32_e32 v16, 20, v16
	v_and_b32_e32 v10, 0x80000000, v10
	v_lshl_add_u32 v18, v18, 23, v39
	v_or3_b32 v16, v10, v18, v16
.LBB335_438:                            ;   in Loop: Header=BB335_371 Depth=1
	s_or_b64 exec, exec, s[26:27]
.LBB335_439:                            ;   in Loop: Header=BB335_371 Depth=1
	s_or_b64 exec, exec, s[24:25]
.LBB335_440:                            ;   in Loop: Header=BB335_371 Depth=1
	s_or_b64 exec, exec, s[4:5]
	v_mul_f32_e32 v10, v11, v16
	v_and_b32_e32 v16, 0x7f800000, v10
	v_cmp_ne_u32_e32 vcc, s7, v16
                                        ; implicit-def: $vgpr18
	s_and_saveexec_b64 s[4:5], vcc
	s_xor_b64 s[4:5], exec, s[4:5]
; %bb.441:                              ;   in Loop: Header=BB335_371 Depth=1
	v_bfe_u32 v16, v10, 16, 1
	v_add3_u32 v18, v10, v16, s15
                                        ; implicit-def: $vgpr10
; %bb.442:                              ;   in Loop: Header=BB335_371 Depth=1
	s_andn2_saveexec_b64 s[4:5], s[4:5]
; %bb.443:                              ;   in Loop: Header=BB335_371 Depth=1
	v_or_b32_e32 v16, 0x10000, v10
	v_cmp_eq_u32_sdwa vcc, v10, v17 src0_sel:WORD_0 src1_sel:DWORD
	v_cndmask_b32_e32 v18, v16, v10, vcc
; %bb.444:                              ;   in Loop: Header=BB335_371 Depth=1
	s_or_b64 exec, exec, s[4:5]
	v_mov_b32_e32 v16, v9
	v_cmp_ne_u16_sdwa s[24:25], v9, v17 src0_sel:BYTE_0 src1_sel:DWORD
	v_mov_b32_e32 v10, 0
	s_and_saveexec_b64 s[4:5], s[24:25]
	s_cbranch_execz .LBB335_450
; %bb.445:                              ;   in Loop: Header=BB335_371 Depth=1
	v_cmp_ne_u16_sdwa s[26:27], v9, s30 src0_sel:BYTE_0 src1_sel:DWORD
	v_bfrev_b32_e32 v10, 1
	s_and_saveexec_b64 s[24:25], s[26:27]
	s_cbranch_execz .LBB335_449
; %bb.446:                              ;   in Loop: Header=BB335_371 Depth=1
	v_and_b32_e32 v22, 0x7f, v9
	v_cmp_ne_u32_e32 vcc, s31, v22
	v_mov_b32_e32 v10, 0x7f800001
	s_and_saveexec_b64 s[26:27], vcc
	s_cbranch_execz .LBB335_448
; %bb.447:                              ;   in Loop: Header=BB335_371 Depth=1
	v_and_b32_e32 v10, 7, v9
	v_ffbh_u32_e32 v10, v10
	v_min_u32_e32 v10, 32, v10
	v_subrev_u32_e32 v24, 28, v10
	v_cmp_gt_u32_e32 vcc, 8, v22
	v_lshrrev_b32_e32 v23, 3, v22
	v_cndmask_b32_e32 v22, 0, v24, vcc
	v_sub_u32_e32 v10, 29, v10
	v_lshlrev_b64 v[24:25], v22, v[16:17]
	v_cndmask_b32_e32 v10, v23, v10, vcc
	v_lshlrev_b32_e32 v22, 20, v24
	v_lshlrev_b32_e32 v23, 24, v16
	v_and_b32_e32 v22, 0x700000, v22
	v_and_b32_e32 v23, 0x80000000, v23
	v_lshl_add_u32 v10, v10, 23, v39
	v_or3_b32 v10, v23, v10, v22
.LBB335_448:                            ;   in Loop: Header=BB335_371 Depth=1
	s_or_b64 exec, exec, s[26:27]
.LBB335_449:                            ;   in Loop: Header=BB335_371 Depth=1
	s_or_b64 exec, exec, s[24:25]
.LBB335_450:                            ;   in Loop: Header=BB335_371 Depth=1
	s_or_b64 exec, exec, s[4:5]
	v_mul_f32_e32 v10, v11, v10
	v_and_b32_e32 v22, 0x7f800000, v10
	v_cmp_ne_u32_e32 vcc, s7, v22
                                        ; implicit-def: $vgpr22
	s_and_saveexec_b64 s[4:5], vcc
	s_xor_b64 s[4:5], exec, s[4:5]
; %bb.451:                              ;   in Loop: Header=BB335_371 Depth=1
	v_bfe_u32 v22, v10, 16, 1
	v_add3_u32 v22, v10, v22, s15
                                        ; implicit-def: $vgpr10
; %bb.452:                              ;   in Loop: Header=BB335_371 Depth=1
	s_andn2_saveexec_b64 s[4:5], s[4:5]
; %bb.453:                              ;   in Loop: Header=BB335_371 Depth=1
	v_or_b32_e32 v22, 0x10000, v10
	v_cmp_eq_u32_sdwa vcc, v10, v17 src0_sel:WORD_0 src1_sel:DWORD
	v_cndmask_b32_e32 v22, v22, v10, vcc
; %bb.454:                              ;   in Loop: Header=BB335_371 Depth=1
	s_or_b64 exec, exec, s[4:5]
	v_lshrrev_b16_e32 v10, 8, v16
	v_cmp_ne_u16_e32 vcc, 0, v10
	v_mov_b32_e32 v24, 0
	s_and_saveexec_b64 s[4:5], vcc
	s_cbranch_execz .LBB335_460
; %bb.455:                              ;   in Loop: Header=BB335_371 Depth=1
	v_cmp_ne_u16_e32 vcc, s30, v10
	v_bfrev_b32_e32 v24, 1
	s_and_saveexec_b64 s[24:25], vcc
	s_cbranch_execz .LBB335_459
; %bb.456:                              ;   in Loop: Header=BB335_371 Depth=1
	v_and_b32_e32 v25, 0x7f, v10
	v_cmp_ne_u32_e32 vcc, s31, v25
	v_mov_b32_e32 v24, 0x7f800001
	s_and_saveexec_b64 s[26:27], vcc
	s_cbranch_execz .LBB335_458
; %bb.457:                              ;   in Loop: Header=BB335_371 Depth=1
	v_and_b32_e32 v23, 7, v10
	v_ffbh_u32_e32 v28, v23
	v_min_u32_e32 v28, 32, v28
	v_subrev_u32_e32 v33, 28, v28
	v_lshlrev_b64 v[34:35], v33, v[10:11]
	v_lshrrev_b32_e32 v24, 3, v25
	v_sub_u32_e32 v10, 29, v28
	v_and_b32_e32 v28, 7, v34
	v_cmp_gt_u32_e32 vcc, 8, v25
	v_cndmask_b32_e32 v10, v24, v10, vcc
	v_cndmask_b32_e32 v23, v23, v28, vcc
	v_lshlrev_b32_e32 v16, 16, v16
	v_lshlrev_b32_e32 v23, 20, v23
	v_and_b32_e32 v16, 0x80000000, v16
	v_lshl_add_u32 v10, v10, 23, v39
	v_or3_b32 v24, v16, v10, v23
.LBB335_458:                            ;   in Loop: Header=BB335_371 Depth=1
	s_or_b64 exec, exec, s[26:27]
.LBB335_459:                            ;   in Loop: Header=BB335_371 Depth=1
	s_or_b64 exec, exec, s[24:25]
.LBB335_460:                            ;   in Loop: Header=BB335_371 Depth=1
	s_or_b64 exec, exec, s[4:5]
	v_mul_f32_e32 v10, v11, v24
	v_and_b32_e32 v16, 0x7f800000, v10
	v_cmp_ne_u32_e32 vcc, s7, v16
                                        ; implicit-def: $vgpr16
	s_and_saveexec_b64 s[4:5], vcc
	s_xor_b64 s[4:5], exec, s[4:5]
; %bb.461:                              ;   in Loop: Header=BB335_371 Depth=1
	v_bfe_u32 v16, v10, 16, 1
	v_add3_u32 v16, v10, v16, s15
                                        ; implicit-def: $vgpr10
; %bb.462:                              ;   in Loop: Header=BB335_371 Depth=1
	s_andn2_saveexec_b64 s[4:5], s[4:5]
; %bb.463:                              ;   in Loop: Header=BB335_371 Depth=1
	v_or_b32_e32 v16, 0x10000, v10
	v_cmp_eq_u32_sdwa vcc, v10, v17 src0_sel:WORD_0 src1_sel:DWORD
	v_cndmask_b32_e32 v16, v16, v10, vcc
; %bb.464:                              ;   in Loop: Header=BB335_371 Depth=1
	s_or_b64 exec, exec, s[4:5]
	v_lshrrev_b32_e32 v10, 16, v9
	v_cmp_ne_u16_sdwa s[24:25], v10, v17 src0_sel:BYTE_0 src1_sel:DWORD
	v_mov_b32_e32 v24, 0
	s_and_saveexec_b64 s[4:5], s[24:25]
	s_cbranch_execz .LBB335_470
; %bb.465:                              ;   in Loop: Header=BB335_371 Depth=1
	v_cmp_ne_u16_sdwa s[26:27], v10, s30 src0_sel:BYTE_0 src1_sel:DWORD
	v_bfrev_b32_e32 v24, 1
	s_and_saveexec_b64 s[24:25], s[26:27]
	s_cbranch_execz .LBB335_469
; %bb.466:                              ;   in Loop: Header=BB335_371 Depth=1
	v_bfe_u32 v25, v9, 16, 7
	v_cmp_ne_u32_e32 vcc, s31, v25
	v_mov_b32_e32 v24, 0x7f800001
	s_and_saveexec_b64 s[26:27], vcc
	s_cbranch_execz .LBB335_468
; %bb.467:                              ;   in Loop: Header=BB335_371 Depth=1
	v_and_b32_e32 v23, 7, v10
	v_ffbh_u32_e32 v28, v23
	v_min_u32_e32 v28, 32, v28
	v_subrev_u32_e32 v33, 28, v28
	v_lshlrev_b64 v[34:35], v33, v[10:11]
	v_lshrrev_b32_e32 v24, 3, v25
	v_sub_u32_e32 v28, 29, v28
	v_and_b32_e32 v33, 7, v34
	v_cmp_gt_u32_e32 vcc, 8, v25
	v_cndmask_b32_e32 v24, v24, v28, vcc
	v_cndmask_b32_e32 v23, v23, v33, vcc
	v_lshlrev_b32_e32 v10, 24, v10
	v_lshlrev_b32_e32 v23, 20, v23
	v_and_b32_e32 v10, 0x80000000, v10
	v_lshl_add_u32 v24, v24, 23, v39
	v_or3_b32 v24, v10, v24, v23
.LBB335_468:                            ;   in Loop: Header=BB335_371 Depth=1
	s_or_b64 exec, exec, s[26:27]
.LBB335_469:                            ;   in Loop: Header=BB335_371 Depth=1
	s_or_b64 exec, exec, s[24:25]
.LBB335_470:                            ;   in Loop: Header=BB335_371 Depth=1
	s_or_b64 exec, exec, s[4:5]
	v_mul_f32_e32 v10, v11, v24
	v_and_b32_e32 v23, 0x7f800000, v10
	v_cmp_ne_u32_e32 vcc, s7, v23
                                        ; implicit-def: $vgpr24
	s_and_saveexec_b64 s[4:5], vcc
	s_xor_b64 s[4:5], exec, s[4:5]
; %bb.471:                              ;   in Loop: Header=BB335_371 Depth=1
	v_bfe_u32 v23, v10, 16, 1
	v_add3_u32 v24, v10, v23, s15
                                        ; implicit-def: $vgpr10
; %bb.472:                              ;   in Loop: Header=BB335_371 Depth=1
	s_andn2_saveexec_b64 s[4:5], s[4:5]
; %bb.473:                              ;   in Loop: Header=BB335_371 Depth=1
	v_or_b32_e32 v23, 0x10000, v10
	v_cmp_eq_u32_sdwa vcc, v10, v17 src0_sel:WORD_0 src1_sel:DWORD
	v_cndmask_b32_e32 v24, v23, v10, vcc
; %bb.474:                              ;   in Loop: Header=BB335_371 Depth=1
	s_or_b64 exec, exec, s[4:5]
	v_cmp_lt_u64_e32 vcc, s[10:11], v[8:9]
	v_mov_b32_e32 v10, 0
	s_and_saveexec_b64 s[4:5], vcc
	s_cbranch_execz .LBB335_480
; %bb.475:                              ;   in Loop: Header=BB335_371 Depth=1
	v_lshrrev_b32_e32 v8, 24, v9
	v_cmp_ne_u32_e32 vcc, s30, v8
	v_bfrev_b32_e32 v10, 1
	s_and_saveexec_b64 s[24:25], vcc
	s_cbranch_execz .LBB335_479
; %bb.476:                              ;   in Loop: Header=BB335_371 Depth=1
	v_bfe_u32 v9, v9, 24, 7
	v_cmp_ne_u32_e32 vcc, s31, v9
	v_mov_b32_e32 v10, 0x7f800001
	s_and_saveexec_b64 s[26:27], vcc
	s_cbranch_execz .LBB335_478
; %bb.477:                              ;   in Loop: Header=BB335_371 Depth=1
	v_and_b32_e32 v10, 7, v8
	v_ffbh_u32_e32 v25, v10
	v_min_u32_e32 v25, 32, v25
	v_subrev_u32_e32 v28, 28, v25
	v_lshlrev_b64 v[34:35], v28, v[8:9]
	v_lshrrev_b32_e32 v23, 3, v9
	v_sub_u32_e32 v25, 29, v25
	v_and_b32_e32 v28, 7, v34
	v_cmp_gt_u32_e32 vcc, 8, v9
	v_cndmask_b32_e32 v9, v23, v25, vcc
	v_cndmask_b32_e32 v10, v10, v28, vcc
	v_lshlrev_b32_e32 v8, 24, v8
	v_lshlrev_b32_e32 v10, 20, v10
	v_and_b32_e32 v8, 0x80000000, v8
	v_lshl_add_u32 v9, v9, 23, v39
	v_or3_b32 v10, v8, v9, v10
.LBB335_478:                            ;   in Loop: Header=BB335_371 Depth=1
	s_or_b64 exec, exec, s[26:27]
.LBB335_479:                            ;   in Loop: Header=BB335_371 Depth=1
	s_or_b64 exec, exec, s[24:25]
.LBB335_480:                            ;   in Loop: Header=BB335_371 Depth=1
	s_or_b64 exec, exec, s[4:5]
	v_mul_f32_e32 v9, v11, v10
	v_and_b32_e32 v8, 0x7f800000, v9
	v_cmp_ne_u32_e32 vcc, s7, v8
                                        ; implicit-def: $vgpr8
	s_and_saveexec_b64 s[4:5], vcc
	s_xor_b64 s[4:5], exec, s[4:5]
; %bb.481:                              ;   in Loop: Header=BB335_371 Depth=1
	v_bfe_u32 v8, v9, 16, 1
	v_add3_u32 v8, v9, v8, s15
                                        ; implicit-def: $vgpr9
; %bb.482:                              ;   in Loop: Header=BB335_371 Depth=1
	s_andn2_saveexec_b64 s[4:5], s[4:5]
; %bb.483:                              ;   in Loop: Header=BB335_371 Depth=1
	v_or_b32_e32 v8, 0x10000, v9
	v_cmp_eq_u32_sdwa vcc, v9, v17 src0_sel:WORD_0 src1_sel:DWORD
	v_cndmask_b32_e32 v8, v8, v9, vcc
; %bb.484:                              ;   in Loop: Header=BB335_371 Depth=1
	s_or_b64 exec, exec, s[4:5]
	v_accvgpr_read_b32 v10, a12
	v_accvgpr_read_b32 v9, a15
	v_cmp_eq_u32_e32 vcc, v9, v10
	v_lshrrev_b32_e32 v10, 16, v16
	v_lshrrev_b32_e32 v16, 16, v22
	v_mov_b32_e32 v22, v51
	v_add_u32_e32 v23, 5, v22
	v_accvgpr_write_b32 a20, v23
	v_add_u32_e32 v23, 6, v22
	v_lshrrev_b32_e32 v18, 16, v18
	v_lshrrev_b32_e32 v20, 16, v20
	;; [unrolled: 1-line block ×6, first 2 shown]
	v_add_u32_e32 v52, 1, v22
	v_add_u32_e32 v50, 2, v22
	;; [unrolled: 1-line block ×4, first 2 shown]
	v_accvgpr_write_b32 a17, v23
	v_add_u32_e32 v28, 7, v22
	s_and_saveexec_b64 s[24:25], vcc
	s_cbranch_execz .LBB335_486
; %bb.485:                              ;   in Loop: Header=BB335_371 Depth=1
	v_accvgpr_read_b32 v22, a3
	v_mov_b32_e32 v23, v51
	v_cmp_lt_i32_e64 s[4:5], v23, v22
	v_cndmask_b32_e64 v12, 0, v12, s[4:5]
	v_cmp_lt_i32_e64 s[4:5], v52, v22
	v_cndmask_b32_e64 v13, 0, v13, s[4:5]
	;; [unrolled: 2-line block ×4, first 2 shown]
	v_cmp_lt_i32_e64 s[4:5], v48, v22
	v_accvgpr_read_b32 v23, a20
	v_cndmask_b32_e64 v16, 0, v16, s[4:5]
	v_cmp_lt_i32_e64 s[4:5], v23, v22
	v_accvgpr_read_b32 v23, a17
	v_cndmask_b32_e64 v10, 0, v10, s[4:5]
	v_cmp_lt_i32_e64 s[4:5], v23, v22
	v_cndmask_b32_e64 v9, 0, v9, s[4:5]
	v_cmp_lt_i32_e64 s[4:5], v28, v22
	v_cndmask_b32_e64 v8, 0, v8, s[4:5]
.LBB335_486:                            ;   in Loop: Header=BB335_371 Depth=1
	s_or_b64 exec, exec, s[24:25]
	v_and_b32_e32 v54, 0xffff0000, v32
	v_lshlrev_b32_e32 v12, 16, v12
	v_mul_f32_e32 v22, v54, v12
	v_and_b32_e32 v12, 0x7f800000, v22
	v_cmp_ne_u32_e64 s[4:5], s7, v12
                                        ; implicit-def: $vgpr12
	s_and_saveexec_b64 s[24:25], s[4:5]
	s_xor_b64 s[4:5], exec, s[24:25]
; %bb.487:                              ;   in Loop: Header=BB335_371 Depth=1
	v_bfe_u32 v12, v22, 16, 1
	v_add3_u32 v12, v22, v12, s15
                                        ; implicit-def: $vgpr22
; %bb.488:                              ;   in Loop: Header=BB335_371 Depth=1
	s_andn2_saveexec_b64 s[24:25], s[4:5]
; %bb.489:                              ;   in Loop: Header=BB335_371 Depth=1
	v_or_b32_e32 v12, 0x10000, v22
	v_cmp_eq_u32_sdwa s[4:5], v22, v17 src0_sel:WORD_0 src1_sel:DWORD
	v_cndmask_b32_e64 v12, v12, v22, s[4:5]
; %bb.490:                              ;   in Loop: Header=BB335_371 Depth=1
	s_or_b64 exec, exec, s[24:25]
	v_and_b32_e32 v55, 0xffff0000, v31
	v_lshlrev_b32_e32 v13, 16, v13
	v_mul_f32_e32 v22, v55, v13
	v_and_b32_e32 v13, 0x7f800000, v22
	v_cmp_ne_u32_e64 s[4:5], s7, v13
                                        ; implicit-def: $vgpr13
	s_and_saveexec_b64 s[24:25], s[4:5]
	s_xor_b64 s[4:5], exec, s[24:25]
; %bb.491:                              ;   in Loop: Header=BB335_371 Depth=1
	v_bfe_u32 v13, v22, 16, 1
	v_add3_u32 v13, v22, v13, s15
                                        ; implicit-def: $vgpr22
; %bb.492:                              ;   in Loop: Header=BB335_371 Depth=1
	s_andn2_saveexec_b64 s[24:25], s[4:5]
; %bb.493:                              ;   in Loop: Header=BB335_371 Depth=1
	v_or_b32_e32 v13, 0x10000, v22
	v_cmp_eq_u32_sdwa s[4:5], v22, v17 src0_sel:WORD_0 src1_sel:DWORD
	v_cndmask_b32_e64 v13, v13, v22, s[4:5]
; %bb.494:                              ;   in Loop: Header=BB335_371 Depth=1
	s_or_b64 exec, exec, s[24:25]
	v_and_b32_e32 v40, 0xffff0000, v27
	v_lshlrev_b32_e32 v20, 16, v20
	v_mul_f32_e32 v20, v40, v20
	v_and_b32_e32 v22, 0x7f800000, v20
	v_cmp_ne_u32_e64 s[4:5], s7, v22
                                        ; implicit-def: $vgpr34
	s_and_saveexec_b64 s[24:25], s[4:5]
	s_xor_b64 s[4:5], exec, s[24:25]
; %bb.495:                              ;   in Loop: Header=BB335_371 Depth=1
	v_bfe_u32 v22, v20, 16, 1
	v_add3_u32 v34, v20, v22, s15
                                        ; implicit-def: $vgpr20
; %bb.496:                              ;   in Loop: Header=BB335_371 Depth=1
	s_andn2_saveexec_b64 s[24:25], s[4:5]
; %bb.497:                              ;   in Loop: Header=BB335_371 Depth=1
	v_or_b32_e32 v22, 0x10000, v20
	v_cmp_eq_u32_sdwa s[4:5], v20, v17 src0_sel:WORD_0 src1_sel:DWORD
	v_cndmask_b32_e64 v34, v22, v20, s[4:5]
; %bb.498:                              ;   in Loop: Header=BB335_371 Depth=1
	s_or_b64 exec, exec, s[24:25]
	v_and_b32_e32 v41, 0xffff0000, v5
	v_lshlrev_b32_e32 v5, 16, v18
	v_mul_f32_e32 v18, v41, v5
	v_and_b32_e32 v5, 0x7f800000, v18
	v_cmp_ne_u32_e64 s[4:5], s7, v5
                                        ; implicit-def: $vgpr5
	s_and_saveexec_b64 s[24:25], s[4:5]
	s_xor_b64 s[4:5], exec, s[24:25]
; %bb.499:                              ;   in Loop: Header=BB335_371 Depth=1
	v_bfe_u32 v5, v18, 16, 1
	v_add3_u32 v5, v18, v5, s15
                                        ; implicit-def: $vgpr18
; %bb.500:                              ;   in Loop: Header=BB335_371 Depth=1
	s_andn2_saveexec_b64 s[24:25], s[4:5]
; %bb.501:                              ;   in Loop: Header=BB335_371 Depth=1
	v_or_b32_e32 v5, 0x10000, v18
	v_cmp_eq_u32_sdwa s[4:5], v18, v17 src0_sel:WORD_0 src1_sel:DWORD
	v_cndmask_b32_e64 v5, v5, v18, s[4:5]
; %bb.502:                              ;   in Loop: Header=BB335_371 Depth=1
	s_or_b64 exec, exec, s[24:25]
	v_and_b32_e32 v42, 0xffff0000, v4
	v_lshlrev_b32_e32 v4, 16, v16
	v_mul_f32_e32 v16, v42, v4
	v_and_b32_e32 v4, 0x7f800000, v16
	v_cmp_ne_u32_e64 s[4:5], s7, v4
                                        ; implicit-def: $vgpr4
	s_and_saveexec_b64 s[24:25], s[4:5]
	s_xor_b64 s[4:5], exec, s[24:25]
; %bb.503:                              ;   in Loop: Header=BB335_371 Depth=1
	v_bfe_u32 v4, v16, 16, 1
	v_add3_u32 v4, v16, v4, s15
                                        ; implicit-def: $vgpr16
; %bb.504:                              ;   in Loop: Header=BB335_371 Depth=1
	s_andn2_saveexec_b64 s[24:25], s[4:5]
; %bb.505:                              ;   in Loop: Header=BB335_371 Depth=1
	v_or_b32_e32 v4, 0x10000, v16
	v_cmp_eq_u32_sdwa s[4:5], v16, v17 src0_sel:WORD_0 src1_sel:DWORD
	v_cndmask_b32_e64 v4, v4, v16, s[4:5]
; %bb.506:                              ;   in Loop: Header=BB335_371 Depth=1
	s_or_b64 exec, exec, s[24:25]
	v_and_b32_e32 v47, 0xffff0000, v26
	v_lshlrev_b32_e32 v10, 16, v10
	v_mul_f32_e32 v10, v47, v10
	v_and_b32_e32 v16, 0x7f800000, v10
	v_cmp_ne_u32_e64 s[4:5], s7, v16
                                        ; implicit-def: $vgpr35
	s_and_saveexec_b64 s[24:25], s[4:5]
	s_xor_b64 s[4:5], exec, s[24:25]
; %bb.507:                              ;   in Loop: Header=BB335_371 Depth=1
	v_bfe_u32 v16, v10, 16, 1
	v_add3_u32 v35, v10, v16, s15
                                        ; implicit-def: $vgpr10
; %bb.508:                              ;   in Loop: Header=BB335_371 Depth=1
	s_andn2_saveexec_b64 s[24:25], s[4:5]
; %bb.509:                              ;   in Loop: Header=BB335_371 Depth=1
	v_or_b32_e32 v16, 0x10000, v10
	v_cmp_eq_u32_sdwa s[4:5], v10, v17 src0_sel:WORD_0 src1_sel:DWORD
	v_cndmask_b32_e64 v35, v16, v10, s[4:5]
; %bb.510:                              ;   in Loop: Header=BB335_371 Depth=1
	s_or_b64 exec, exec, s[24:25]
	v_and_b32_e32 v56, 0xffff0000, v21
	v_lshlrev_b32_e32 v9, 16, v9
	v_mul_f32_e32 v9, v56, v9
	v_and_b32_e32 v10, 0x7f800000, v9
	v_cmp_ne_u32_e64 s[4:5], s7, v10
                                        ; implicit-def: $vgpr36
	s_and_saveexec_b64 s[24:25], s[4:5]
	s_xor_b64 s[4:5], exec, s[24:25]
; %bb.511:                              ;   in Loop: Header=BB335_371 Depth=1
	v_bfe_u32 v10, v9, 16, 1
	v_add3_u32 v36, v9, v10, s15
                                        ; implicit-def: $vgpr9
; %bb.512:                              ;   in Loop: Header=BB335_371 Depth=1
	s_andn2_saveexec_b64 s[24:25], s[4:5]
; %bb.513:                              ;   in Loop: Header=BB335_371 Depth=1
	v_or_b32_e32 v10, 0x10000, v9
	v_cmp_eq_u32_sdwa s[4:5], v9, v17 src0_sel:WORD_0 src1_sel:DWORD
	v_cndmask_b32_e64 v36, v10, v9, s[4:5]
; %bb.514:                              ;   in Loop: Header=BB335_371 Depth=1
	s_or_b64 exec, exec, s[24:25]
	v_and_b32_e32 v57, 0xffff0000, v19
	v_lshlrev_b32_e32 v8, 16, v8
	v_mul_f32_e32 v8, v57, v8
	v_and_b32_e32 v9, 0x7f800000, v8
	v_cmp_ne_u32_e64 s[4:5], s7, v9
                                        ; implicit-def: $vgpr53
	s_and_saveexec_b64 s[24:25], s[4:5]
	s_xor_b64 s[4:5], exec, s[24:25]
; %bb.515:                              ;   in Loop: Header=BB335_371 Depth=1
	v_bfe_u32 v9, v8, 16, 1
	v_add3_u32 v53, v8, v9, s15
                                        ; implicit-def: $vgpr8
; %bb.516:                              ;   in Loop: Header=BB335_371 Depth=1
	s_andn2_saveexec_b64 s[24:25], s[4:5]
; %bb.517:                              ;   in Loop: Header=BB335_371 Depth=1
	v_or_b32_e32 v9, 0x10000, v8
	v_cmp_eq_u32_sdwa s[4:5], v8, v17 src0_sel:WORD_0 src1_sel:DWORD
	v_cndmask_b32_e64 v53, v9, v8, s[4:5]
; %bb.518:                              ;   in Loop: Header=BB335_371 Depth=1
	s_or_b64 exec, exec, s[24:25]
	flat_load_dwordx2 v[8:9], v[6:7] offset:512
	v_mov_b32_e32 v10, 0
	s_waitcnt vmcnt(0) lgkmcnt(0)
	v_cmp_ne_u16_sdwa s[4:5], v8, v17 src0_sel:BYTE_0 src1_sel:DWORD
	s_and_saveexec_b64 s[24:25], s[4:5]
	s_cbranch_execz .LBB335_524
; %bb.519:                              ;   in Loop: Header=BB335_371 Depth=1
	v_cmp_ne_u16_sdwa s[4:5], v8, s30 src0_sel:BYTE_0 src1_sel:DWORD
	v_bfrev_b32_e32 v10, 1
	s_and_saveexec_b64 s[26:27], s[4:5]
	s_cbranch_execz .LBB335_523
; %bb.520:                              ;   in Loop: Header=BB335_371 Depth=1
	v_and_b32_e32 v16, 0x7f, v8
	v_cmp_ne_u32_e64 s[4:5], s31, v16
	v_mov_b32_e32 v10, 0x7f800001
	s_and_saveexec_b64 s[28:29], s[4:5]
	s_cbranch_execz .LBB335_522
; %bb.521:                              ;   in Loop: Header=BB335_371 Depth=1
	v_and_b32_e32 v10, 7, v8
	v_ffbh_u32_e32 v10, v10
	v_min_u32_e32 v10, 32, v10
	v_subrev_u32_e32 v19, 28, v10
	v_cmp_gt_u32_e64 s[4:5], 8, v16
	v_lshrrev_b32_e32 v18, 3, v16
	v_sub_u32_e32 v10, 29, v10
	v_cndmask_b32_e64 v16, 0, v19, s[4:5]
	v_cndmask_b32_e64 v10, v18, v10, s[4:5]
	v_lshlrev_b64 v[18:19], v16, v[8:9]
	v_lshlrev_b32_e32 v16, 20, v18
	v_lshlrev_b32_e32 v18, 24, v8
	v_and_b32_e32 v16, 0x700000, v16
	v_and_b32_e32 v18, 0x80000000, v18
	v_lshl_add_u32 v10, v10, 23, v39
	v_or3_b32 v10, v18, v10, v16
.LBB335_522:                            ;   in Loop: Header=BB335_371 Depth=1
	s_or_b64 exec, exec, s[28:29]
.LBB335_523:                            ;   in Loop: Header=BB335_371 Depth=1
	s_or_b64 exec, exec, s[26:27]
.LBB335_524:                            ;   in Loop: Header=BB335_371 Depth=1
	s_or_b64 exec, exec, s[24:25]
	v_mul_f32_e32 v10, v11, v10
	v_and_b32_e32 v16, 0x7f800000, v10
	v_cmp_ne_u32_e64 s[4:5], s7, v16
                                        ; implicit-def: $vgpr19
	s_and_saveexec_b64 s[24:25], s[4:5]
	s_xor_b64 s[4:5], exec, s[24:25]
; %bb.525:                              ;   in Loop: Header=BB335_371 Depth=1
	v_bfe_u32 v16, v10, 16, 1
	v_add3_u32 v19, v10, v16, s15
                                        ; implicit-def: $vgpr10
; %bb.526:                              ;   in Loop: Header=BB335_371 Depth=1
	s_andn2_saveexec_b64 s[24:25], s[4:5]
; %bb.527:                              ;   in Loop: Header=BB335_371 Depth=1
	v_or_b32_e32 v16, 0x10000, v10
	v_cmp_eq_u32_sdwa s[4:5], v10, v17 src0_sel:WORD_0 src1_sel:DWORD
	v_cndmask_b32_e64 v19, v16, v10, s[4:5]
; %bb.528:                              ;   in Loop: Header=BB335_371 Depth=1
	s_or_b64 exec, exec, s[24:25]
	v_lshrrev_b16_e32 v10, 8, v8
	v_cmp_ne_u16_e64 s[4:5], 0, v10
	v_mov_b32_e32 v16, 0
	s_and_saveexec_b64 s[24:25], s[4:5]
	s_cbranch_execz .LBB335_534
; %bb.529:                              ;   in Loop: Header=BB335_371 Depth=1
	v_cmp_ne_u16_e64 s[4:5], s30, v10
	v_bfrev_b32_e32 v16, 1
	s_and_saveexec_b64 s[26:27], s[4:5]
	s_cbranch_execz .LBB335_533
; %bb.530:                              ;   in Loop: Header=BB335_371 Depth=1
	v_and_b32_e32 v18, 0x7f, v10
	v_cmp_ne_u32_e64 s[4:5], s31, v18
	v_mov_b32_e32 v16, 0x7f800001
	s_and_saveexec_b64 s[28:29], s[4:5]
	s_cbranch_execz .LBB335_532
; %bb.531:                              ;   in Loop: Header=BB335_371 Depth=1
	v_and_b32_e32 v16, 7, v10
	v_ffbh_u32_e32 v20, v16
	v_min_u32_e32 v23, 32, v20
	v_subrev_u32_e32 v20, 28, v23
	v_lshlrev_b64 v[20:21], v20, v[10:11]
	v_lshrrev_b32_e32 v22, 3, v18
	v_sub_u32_e32 v10, 29, v23
	v_and_b32_e32 v20, 7, v20
	v_cmp_gt_u32_e64 s[4:5], 8, v18
	v_cndmask_b32_e64 v10, v22, v10, s[4:5]
	v_cndmask_b32_e64 v16, v16, v20, s[4:5]
	v_lshlrev_b32_e32 v18, 16, v8
	v_lshlrev_b32_e32 v16, 20, v16
	v_and_b32_e32 v18, 0x80000000, v18
	v_lshl_add_u32 v10, v10, 23, v39
	v_or3_b32 v16, v18, v10, v16
.LBB335_532:                            ;   in Loop: Header=BB335_371 Depth=1
	s_or_b64 exec, exec, s[28:29]
.LBB335_533:                            ;   in Loop: Header=BB335_371 Depth=1
	s_or_b64 exec, exec, s[26:27]
.LBB335_534:                            ;   in Loop: Header=BB335_371 Depth=1
	s_or_b64 exec, exec, s[24:25]
	v_mul_f32_e32 v10, v11, v16
	v_and_b32_e32 v16, 0x7f800000, v10
	v_cmp_ne_u32_e64 s[4:5], s7, v16
                                        ; implicit-def: $vgpr20
	s_and_saveexec_b64 s[24:25], s[4:5]
	s_xor_b64 s[4:5], exec, s[24:25]
; %bb.535:                              ;   in Loop: Header=BB335_371 Depth=1
	v_bfe_u32 v16, v10, 16, 1
	v_add3_u32 v20, v10, v16, s15
                                        ; implicit-def: $vgpr10
; %bb.536:                              ;   in Loop: Header=BB335_371 Depth=1
	s_andn2_saveexec_b64 s[24:25], s[4:5]
; %bb.537:                              ;   in Loop: Header=BB335_371 Depth=1
	v_or_b32_e32 v16, 0x10000, v10
	v_cmp_eq_u32_sdwa s[4:5], v10, v17 src0_sel:WORD_0 src1_sel:DWORD
	v_cndmask_b32_e64 v20, v16, v10, s[4:5]
; %bb.538:                              ;   in Loop: Header=BB335_371 Depth=1
	s_or_b64 exec, exec, s[24:25]
	v_lshrrev_b32_e32 v10, 16, v8
	v_cmp_ne_u16_sdwa s[4:5], v10, v17 src0_sel:BYTE_0 src1_sel:DWORD
	v_mov_b32_e32 v16, 0
	s_and_saveexec_b64 s[24:25], s[4:5]
	s_cbranch_execz .LBB335_544
; %bb.539:                              ;   in Loop: Header=BB335_371 Depth=1
	v_cmp_ne_u16_sdwa s[4:5], v10, s30 src0_sel:BYTE_0 src1_sel:DWORD
	v_bfrev_b32_e32 v16, 1
	s_and_saveexec_b64 s[26:27], s[4:5]
	s_cbranch_execz .LBB335_543
; %bb.540:                              ;   in Loop: Header=BB335_371 Depth=1
	v_bfe_u32 v18, v8, 16, 7
	v_cmp_ne_u32_e64 s[4:5], s31, v18
	v_mov_b32_e32 v16, 0x7f800001
	s_and_saveexec_b64 s[28:29], s[4:5]
	s_cbranch_execz .LBB335_542
; %bb.541:                              ;   in Loop: Header=BB335_371 Depth=1
	v_and_b32_e32 v16, 7, v10
	v_ffbh_u32_e32 v22, v16
	v_min_u32_e32 v22, 32, v22
	v_subrev_u32_e32 v23, 28, v22
	v_lshlrev_b64 v[24:25], v23, v[10:11]
	v_lshrrev_b32_e32 v21, 3, v18
	v_sub_u32_e32 v22, 29, v22
	v_and_b32_e32 v23, 7, v24
	v_cmp_gt_u32_e64 s[4:5], 8, v18
	v_cndmask_b32_e64 v18, v21, v22, s[4:5]
	v_cndmask_b32_e64 v16, v16, v23, s[4:5]
	v_lshlrev_b32_e32 v10, 24, v10
	v_lshlrev_b32_e32 v16, 20, v16
	v_and_b32_e32 v10, 0x80000000, v10
	v_lshl_add_u32 v18, v18, 23, v39
	v_or3_b32 v16, v10, v18, v16
.LBB335_542:                            ;   in Loop: Header=BB335_371 Depth=1
	s_or_b64 exec, exec, s[28:29]
.LBB335_543:                            ;   in Loop: Header=BB335_371 Depth=1
	s_or_b64 exec, exec, s[26:27]
.LBB335_544:                            ;   in Loop: Header=BB335_371 Depth=1
	s_or_b64 exec, exec, s[24:25]
	v_mul_f32_e32 v10, v11, v16
	v_and_b32_e32 v16, 0x7f800000, v10
	v_cmp_ne_u32_e64 s[4:5], s7, v16
                                        ; implicit-def: $vgpr21
	s_and_saveexec_b64 s[24:25], s[4:5]
	s_xor_b64 s[4:5], exec, s[24:25]
; %bb.545:                              ;   in Loop: Header=BB335_371 Depth=1
	v_bfe_u32 v16, v10, 16, 1
	v_add3_u32 v21, v10, v16, s15
                                        ; implicit-def: $vgpr10
; %bb.546:                              ;   in Loop: Header=BB335_371 Depth=1
	s_andn2_saveexec_b64 s[24:25], s[4:5]
; %bb.547:                              ;   in Loop: Header=BB335_371 Depth=1
	v_or_b32_e32 v16, 0x10000, v10
	v_cmp_eq_u32_sdwa s[4:5], v10, v17 src0_sel:WORD_0 src1_sel:DWORD
	v_cndmask_b32_e64 v21, v16, v10, s[4:5]
; %bb.548:                              ;   in Loop: Header=BB335_371 Depth=1
	s_or_b64 exec, exec, s[24:25]
	v_cmp_lt_u32_e64 s[4:5], s11, v8
	v_mov_b32_e32 v16, 0
	s_and_saveexec_b64 s[24:25], s[4:5]
	s_cbranch_execz .LBB335_554
; %bb.549:                              ;   in Loop: Header=BB335_371 Depth=1
	v_lshrrev_b32_e32 v10, 24, v8
	v_cmp_ne_u32_e64 s[4:5], s30, v10
	v_bfrev_b32_e32 v16, 1
	s_and_saveexec_b64 s[26:27], s[4:5]
	s_cbranch_execz .LBB335_553
; %bb.550:                              ;   in Loop: Header=BB335_371 Depth=1
	v_bfe_u32 v18, v8, 24, 7
	v_cmp_ne_u32_e64 s[4:5], s31, v18
	v_mov_b32_e32 v16, 0x7f800001
	s_and_saveexec_b64 s[28:29], s[4:5]
	s_cbranch_execz .LBB335_552
; %bb.551:                              ;   in Loop: Header=BB335_371 Depth=1
	v_and_b32_e32 v16, 7, v10
	v_ffbh_u32_e32 v23, v16
	v_min_u32_e32 v23, 32, v23
	v_subrev_u32_e32 v24, 28, v23
	v_lshlrev_b64 v[24:25], v24, v[10:11]
	v_lshrrev_b32_e32 v22, 3, v18
	v_sub_u32_e32 v23, 29, v23
	v_and_b32_e32 v24, 7, v24
	v_cmp_gt_u32_e64 s[4:5], 8, v18
	v_cndmask_b32_e64 v18, v22, v23, s[4:5]
	v_cndmask_b32_e64 v16, v16, v24, s[4:5]
	v_lshlrev_b32_e32 v10, 24, v10
	v_lshlrev_b32_e32 v16, 20, v16
	v_and_b32_e32 v10, 0x80000000, v10
	v_lshl_add_u32 v18, v18, 23, v39
	v_or3_b32 v16, v10, v18, v16
.LBB335_552:                            ;   in Loop: Header=BB335_371 Depth=1
	s_or_b64 exec, exec, s[28:29]
.LBB335_553:                            ;   in Loop: Header=BB335_371 Depth=1
	s_or_b64 exec, exec, s[26:27]
.LBB335_554:                            ;   in Loop: Header=BB335_371 Depth=1
	s_or_b64 exec, exec, s[24:25]
	v_mul_f32_e32 v10, v11, v16
	v_and_b32_e32 v16, 0x7f800000, v10
	v_cmp_ne_u32_e64 s[4:5], s7, v16
                                        ; implicit-def: $vgpr18
	s_and_saveexec_b64 s[24:25], s[4:5]
	s_xor_b64 s[4:5], exec, s[24:25]
; %bb.555:                              ;   in Loop: Header=BB335_371 Depth=1
	v_bfe_u32 v16, v10, 16, 1
	v_add3_u32 v18, v10, v16, s15
                                        ; implicit-def: $vgpr10
; %bb.556:                              ;   in Loop: Header=BB335_371 Depth=1
	s_andn2_saveexec_b64 s[24:25], s[4:5]
; %bb.557:                              ;   in Loop: Header=BB335_371 Depth=1
	v_or_b32_e32 v16, 0x10000, v10
	v_cmp_eq_u32_sdwa s[4:5], v10, v17 src0_sel:WORD_0 src1_sel:DWORD
	v_cndmask_b32_e64 v18, v16, v10, s[4:5]
; %bb.558:                              ;   in Loop: Header=BB335_371 Depth=1
	s_or_b64 exec, exec, s[24:25]
	v_mov_b32_e32 v16, v9
	v_cmp_ne_u16_sdwa s[4:5], v9, v17 src0_sel:BYTE_0 src1_sel:DWORD
	v_mov_b32_e32 v10, 0
	s_and_saveexec_b64 s[24:25], s[4:5]
	s_cbranch_execz .LBB335_564
; %bb.559:                              ;   in Loop: Header=BB335_371 Depth=1
	v_cmp_ne_u16_sdwa s[4:5], v9, s30 src0_sel:BYTE_0 src1_sel:DWORD
	v_bfrev_b32_e32 v10, 1
	s_and_saveexec_b64 s[26:27], s[4:5]
	s_cbranch_execz .LBB335_563
; %bb.560:                              ;   in Loop: Header=BB335_371 Depth=1
	v_and_b32_e32 v22, 0x7f, v9
	v_cmp_ne_u32_e64 s[4:5], s31, v22
	v_mov_b32_e32 v10, 0x7f800001
	s_and_saveexec_b64 s[28:29], s[4:5]
	s_cbranch_execz .LBB335_562
; %bb.561:                              ;   in Loop: Header=BB335_371 Depth=1
	v_and_b32_e32 v10, 7, v9
	v_ffbh_u32_e32 v10, v10
	v_min_u32_e32 v10, 32, v10
	v_subrev_u32_e32 v24, 28, v10
	v_cmp_gt_u32_e64 s[4:5], 8, v22
	v_lshrrev_b32_e32 v23, 3, v22
	v_cndmask_b32_e64 v22, 0, v24, s[4:5]
	v_sub_u32_e32 v10, 29, v10
	v_lshlrev_b64 v[24:25], v22, v[16:17]
	v_cndmask_b32_e64 v10, v23, v10, s[4:5]
	v_lshlrev_b32_e32 v22, 20, v24
	v_lshlrev_b32_e32 v23, 24, v16
	v_and_b32_e32 v22, 0x700000, v22
	v_and_b32_e32 v23, 0x80000000, v23
	v_lshl_add_u32 v10, v10, 23, v39
	v_or3_b32 v10, v23, v10, v22
.LBB335_562:                            ;   in Loop: Header=BB335_371 Depth=1
	s_or_b64 exec, exec, s[28:29]
.LBB335_563:                            ;   in Loop: Header=BB335_371 Depth=1
	s_or_b64 exec, exec, s[26:27]
.LBB335_564:                            ;   in Loop: Header=BB335_371 Depth=1
	s_or_b64 exec, exec, s[24:25]
	v_mul_f32_e32 v10, v11, v10
	v_and_b32_e32 v22, 0x7f800000, v10
	v_cmp_ne_u32_e64 s[4:5], s7, v22
                                        ; implicit-def: $vgpr22
	s_and_saveexec_b64 s[24:25], s[4:5]
	s_xor_b64 s[4:5], exec, s[24:25]
; %bb.565:                              ;   in Loop: Header=BB335_371 Depth=1
	v_bfe_u32 v22, v10, 16, 1
	v_add3_u32 v22, v10, v22, s15
                                        ; implicit-def: $vgpr10
; %bb.566:                              ;   in Loop: Header=BB335_371 Depth=1
	s_andn2_saveexec_b64 s[24:25], s[4:5]
; %bb.567:                              ;   in Loop: Header=BB335_371 Depth=1
	v_or_b32_e32 v22, 0x10000, v10
	v_cmp_eq_u32_sdwa s[4:5], v10, v17 src0_sel:WORD_0 src1_sel:DWORD
	v_cndmask_b32_e64 v22, v22, v10, s[4:5]
; %bb.568:                              ;   in Loop: Header=BB335_371 Depth=1
	s_or_b64 exec, exec, s[24:25]
	v_lshrrev_b16_e32 v10, 8, v16
	v_mov_b32_e32 v24, 0
	v_cmp_ne_u16_e64 s[4:5], 0, v10
	s_mov_b64 s[24:25], exec
	s_and_b64 s[4:5], s[24:25], s[4:5]
	v_accvgpr_write_b32 a13, v28
	s_mov_b64 exec, s[4:5]
	s_cbranch_execz .LBB335_574
; %bb.569:                              ;   in Loop: Header=BB335_371 Depth=1
	v_cmp_ne_u16_e64 s[4:5], s30, v10
	v_bfrev_b32_e32 v24, 1
	s_and_saveexec_b64 s[26:27], s[4:5]
	s_cbranch_execz .LBB335_573
; %bb.570:                              ;   in Loop: Header=BB335_371 Depth=1
	v_and_b32_e32 v25, 0x7f, v10
	v_cmp_ne_u32_e64 s[4:5], s31, v25
	v_mov_b32_e32 v24, 0x7f800001
	s_and_saveexec_b64 s[28:29], s[4:5]
	s_cbranch_execz .LBB335_572
; %bb.571:                              ;   in Loop: Header=BB335_371 Depth=1
	v_and_b32_e32 v23, 7, v10
	v_ffbh_u32_e32 v26, v23
	v_min_u32_e32 v28, 32, v26
	v_subrev_u32_e32 v26, 28, v28
	v_lshlrev_b64 v[26:27], v26, v[10:11]
	v_lshrrev_b32_e32 v24, 3, v25
	v_sub_u32_e32 v10, 29, v28
	v_and_b32_e32 v26, 7, v26
	v_cmp_gt_u32_e64 s[4:5], 8, v25
	v_cndmask_b32_e64 v10, v24, v10, s[4:5]
	v_cndmask_b32_e64 v23, v23, v26, s[4:5]
	v_lshlrev_b32_e32 v16, 16, v16
	v_lshlrev_b32_e32 v23, 20, v23
	v_and_b32_e32 v16, 0x80000000, v16
	v_lshl_add_u32 v10, v10, 23, v39
	v_accvgpr_read_b32 v28, a13
	v_or3_b32 v24, v16, v10, v23
.LBB335_572:                            ;   in Loop: Header=BB335_371 Depth=1
	s_or_b64 exec, exec, s[28:29]
.LBB335_573:                            ;   in Loop: Header=BB335_371 Depth=1
	s_or_b64 exec, exec, s[26:27]
.LBB335_574:                            ;   in Loop: Header=BB335_371 Depth=1
	s_or_b64 exec, exec, s[24:25]
	v_mul_f32_e32 v10, v11, v24
	v_and_b32_e32 v16, 0x7f800000, v10
	v_cmp_ne_u32_e64 s[4:5], s7, v16
                                        ; implicit-def: $vgpr16
	s_and_saveexec_b64 s[24:25], s[4:5]
	s_xor_b64 s[4:5], exec, s[24:25]
; %bb.575:                              ;   in Loop: Header=BB335_371 Depth=1
	v_bfe_u32 v16, v10, 16, 1
	v_add3_u32 v16, v10, v16, s15
                                        ; implicit-def: $vgpr10
; %bb.576:                              ;   in Loop: Header=BB335_371 Depth=1
	s_andn2_saveexec_b64 s[24:25], s[4:5]
; %bb.577:                              ;   in Loop: Header=BB335_371 Depth=1
	v_or_b32_e32 v16, 0x10000, v10
	v_cmp_eq_u32_sdwa s[4:5], v10, v17 src0_sel:WORD_0 src1_sel:DWORD
	v_cndmask_b32_e64 v16, v16, v10, s[4:5]
; %bb.578:                              ;   in Loop: Header=BB335_371 Depth=1
	s_or_b64 exec, exec, s[24:25]
	v_lshrrev_b32_e32 v10, 16, v9
	v_cmp_ne_u16_sdwa s[4:5], v10, v17 src0_sel:BYTE_0 src1_sel:DWORD
	v_mov_b32_e32 v24, 0
	s_and_saveexec_b64 s[24:25], s[4:5]
	s_cbranch_execz .LBB335_584
; %bb.579:                              ;   in Loop: Header=BB335_371 Depth=1
	v_cmp_ne_u16_sdwa s[4:5], v10, s30 src0_sel:BYTE_0 src1_sel:DWORD
	v_bfrev_b32_e32 v24, 1
	s_and_saveexec_b64 s[26:27], s[4:5]
	s_cbranch_execz .LBB335_583
; %bb.580:                              ;   in Loop: Header=BB335_371 Depth=1
	v_bfe_u32 v25, v9, 16, 7
	v_cmp_ne_u32_e64 s[4:5], s31, v25
	v_mov_b32_e32 v24, 0x7f800001
	s_and_saveexec_b64 s[28:29], s[4:5]
	s_cbranch_execz .LBB335_582
; %bb.581:                              ;   in Loop: Header=BB335_371 Depth=1
	v_and_b32_e32 v23, 7, v10
	v_ffbh_u32_e32 v26, v23
	v_min_u32_e32 v28, 32, v26
	v_subrev_u32_e32 v26, 28, v28
	v_lshlrev_b64 v[26:27], v26, v[10:11]
	v_lshrrev_b32_e32 v24, 3, v25
	v_sub_u32_e32 v27, 29, v28
	v_and_b32_e32 v26, 7, v26
	v_cmp_gt_u32_e64 s[4:5], 8, v25
	v_cndmask_b32_e64 v24, v24, v27, s[4:5]
	v_cndmask_b32_e64 v23, v23, v26, s[4:5]
	v_lshlrev_b32_e32 v10, 24, v10
	v_lshlrev_b32_e32 v23, 20, v23
	v_and_b32_e32 v10, 0x80000000, v10
	v_lshl_add_u32 v24, v24, 23, v39
	v_accvgpr_read_b32 v28, a13
	v_or3_b32 v24, v10, v24, v23
.LBB335_582:                            ;   in Loop: Header=BB335_371 Depth=1
	s_or_b64 exec, exec, s[28:29]
.LBB335_583:                            ;   in Loop: Header=BB335_371 Depth=1
	s_or_b64 exec, exec, s[26:27]
.LBB335_584:                            ;   in Loop: Header=BB335_371 Depth=1
	s_or_b64 exec, exec, s[24:25]
	v_mul_f32_e32 v10, v11, v24
	v_and_b32_e32 v23, 0x7f800000, v10
	v_cmp_ne_u32_e64 s[4:5], s7, v23
                                        ; implicit-def: $vgpr24
	s_and_saveexec_b64 s[24:25], s[4:5]
	s_xor_b64 s[4:5], exec, s[24:25]
; %bb.585:                              ;   in Loop: Header=BB335_371 Depth=1
	v_bfe_u32 v23, v10, 16, 1
	v_add3_u32 v24, v10, v23, s15
                                        ; implicit-def: $vgpr10
; %bb.586:                              ;   in Loop: Header=BB335_371 Depth=1
	s_andn2_saveexec_b64 s[24:25], s[4:5]
; %bb.587:                              ;   in Loop: Header=BB335_371 Depth=1
	v_or_b32_e32 v23, 0x10000, v10
	v_cmp_eq_u32_sdwa s[4:5], v10, v17 src0_sel:WORD_0 src1_sel:DWORD
	v_cndmask_b32_e64 v24, v23, v10, s[4:5]
; %bb.588:                              ;   in Loop: Header=BB335_371 Depth=1
	s_or_b64 exec, exec, s[24:25]
	v_cmp_lt_u64_e64 s[4:5], s[10:11], v[8:9]
	v_mov_b32_e32 v10, 0
	s_and_saveexec_b64 s[24:25], s[4:5]
	s_cbranch_execz .LBB335_594
; %bb.589:                              ;   in Loop: Header=BB335_371 Depth=1
	v_lshrrev_b32_e32 v8, 24, v9
	v_cmp_ne_u32_e64 s[4:5], s30, v8
	v_bfrev_b32_e32 v10, 1
	s_and_saveexec_b64 s[26:27], s[4:5]
	s_cbranch_execz .LBB335_593
; %bb.590:                              ;   in Loop: Header=BB335_371 Depth=1
	v_bfe_u32 v9, v9, 24, 7
	v_cmp_ne_u32_e64 s[4:5], s31, v9
	v_mov_b32_e32 v10, 0x7f800001
	s_and_saveexec_b64 s[28:29], s[4:5]
	s_cbranch_execz .LBB335_592
; %bb.591:                              ;   in Loop: Header=BB335_371 Depth=1
	v_and_b32_e32 v10, 7, v8
	v_ffbh_u32_e32 v25, v10
	v_min_u32_e32 v25, 32, v25
	v_subrev_u32_e32 v26, 28, v25
	v_lshlrev_b64 v[26:27], v26, v[8:9]
	v_lshrrev_b32_e32 v23, 3, v9
	v_sub_u32_e32 v25, 29, v25
	v_and_b32_e32 v26, 7, v26
	v_cmp_gt_u32_e64 s[4:5], 8, v9
	v_cndmask_b32_e64 v9, v23, v25, s[4:5]
	v_cndmask_b32_e64 v10, v10, v26, s[4:5]
	v_lshlrev_b32_e32 v8, 24, v8
	v_lshlrev_b32_e32 v10, 20, v10
	v_and_b32_e32 v8, 0x80000000, v8
	v_lshl_add_u32 v9, v9, 23, v39
	v_or3_b32 v10, v8, v9, v10
.LBB335_592:                            ;   in Loop: Header=BB335_371 Depth=1
	s_or_b64 exec, exec, s[28:29]
.LBB335_593:                            ;   in Loop: Header=BB335_371 Depth=1
	s_or_b64 exec, exec, s[26:27]
.LBB335_594:                            ;   in Loop: Header=BB335_371 Depth=1
	s_or_b64 exec, exec, s[24:25]
	v_mul_f32_e32 v9, v11, v10
	v_and_b32_e32 v8, 0x7f800000, v9
	v_cmp_ne_u32_e64 s[4:5], s7, v8
                                        ; implicit-def: $vgpr8
	s_and_saveexec_b64 s[24:25], s[4:5]
	s_xor_b64 s[4:5], exec, s[24:25]
; %bb.595:                              ;   in Loop: Header=BB335_371 Depth=1
	v_bfe_u32 v8, v9, 16, 1
	v_add3_u32 v8, v9, v8, s15
                                        ; implicit-def: $vgpr9
; %bb.596:                              ;   in Loop: Header=BB335_371 Depth=1
	s_andn2_saveexec_b64 s[24:25], s[4:5]
; %bb.597:                              ;   in Loop: Header=BB335_371 Depth=1
	v_or_b32_e32 v8, 0x10000, v9
	v_cmp_eq_u32_sdwa s[4:5], v9, v17 src0_sel:WORD_0 src1_sel:DWORD
	v_cndmask_b32_e64 v8, v8, v9, s[4:5]
; %bb.598:                              ;   in Loop: Header=BB335_371 Depth=1
	s_or_b64 exec, exec, s[24:25]
	v_lshrrev_b32_e32 v10, 16, v16
	v_lshrrev_b32_e32 v16, 16, v22
	;; [unrolled: 1-line block ×8, first 2 shown]
	s_and_saveexec_b64 s[24:25], vcc
	s_cbranch_execz .LBB335_600
; %bb.599:                              ;   in Loop: Header=BB335_371 Depth=1
	v_accvgpr_read_b32 v22, a3
	v_mov_b32_e32 v23, v51
	v_cmp_lt_i32_e64 s[4:5], v23, v22
	v_cndmask_b32_e64 v19, 0, v19, s[4:5]
	v_cmp_lt_i32_e64 s[4:5], v52, v22
	v_cndmask_b32_e64 v20, 0, v20, s[4:5]
	;; [unrolled: 2-line block ×4, first 2 shown]
	v_cmp_lt_i32_e64 s[4:5], v48, v22
	v_accvgpr_read_b32 v23, a20
	v_cndmask_b32_e64 v16, 0, v16, s[4:5]
	v_cmp_lt_i32_e64 s[4:5], v23, v22
	v_accvgpr_read_b32 v23, a17
	v_cndmask_b32_e64 v10, 0, v10, s[4:5]
	v_cmp_lt_i32_e64 s[4:5], v23, v22
	v_cndmask_b32_e64 v9, 0, v9, s[4:5]
	v_cmp_lt_i32_e64 s[4:5], v28, v22
	v_cndmask_b32_e64 v8, 0, v8, s[4:5]
.LBB335_600:                            ;   in Loop: Header=BB335_371 Depth=1
	s_or_b64 exec, exec, s[24:25]
	v_lshlrev_b32_e32 v19, 16, v19
	v_mul_f32_e32 v19, v54, v19
	v_and_b32_e32 v22, 0x7f800000, v19
	v_cmp_ne_u32_e64 s[4:5], s7, v22
                                        ; implicit-def: $vgpr31
	s_and_saveexec_b64 s[24:25], s[4:5]
	s_xor_b64 s[4:5], exec, s[24:25]
; %bb.601:                              ;   in Loop: Header=BB335_371 Depth=1
	v_bfe_u32 v22, v19, 16, 1
	v_add3_u32 v31, v19, v22, s15
                                        ; implicit-def: $vgpr19
; %bb.602:                              ;   in Loop: Header=BB335_371 Depth=1
	s_andn2_saveexec_b64 s[24:25], s[4:5]
; %bb.603:                              ;   in Loop: Header=BB335_371 Depth=1
	v_or_b32_e32 v22, 0x10000, v19
	v_cmp_eq_u32_sdwa s[4:5], v19, v17 src0_sel:WORD_0 src1_sel:DWORD
	v_cndmask_b32_e64 v31, v22, v19, s[4:5]
; %bb.604:                              ;   in Loop: Header=BB335_371 Depth=1
	s_or_b64 exec, exec, s[24:25]
	v_lshlrev_b32_e32 v19, 16, v20
	v_mul_f32_e32 v19, v55, v19
	v_and_b32_e32 v20, 0x7f800000, v19
	v_cmp_ne_u32_e64 s[4:5], s7, v20
                                        ; implicit-def: $vgpr58
	s_and_saveexec_b64 s[24:25], s[4:5]
	s_xor_b64 s[4:5], exec, s[24:25]
; %bb.605:                              ;   in Loop: Header=BB335_371 Depth=1
	v_bfe_u32 v20, v19, 16, 1
	v_add3_u32 v58, v19, v20, s15
                                        ; implicit-def: $vgpr19
; %bb.606:                              ;   in Loop: Header=BB335_371 Depth=1
	s_andn2_saveexec_b64 s[24:25], s[4:5]
; %bb.607:                              ;   in Loop: Header=BB335_371 Depth=1
	v_or_b32_e32 v20, 0x10000, v19
	v_cmp_eq_u32_sdwa s[4:5], v19, v17 src0_sel:WORD_0 src1_sel:DWORD
	v_cndmask_b32_e64 v58, v20, v19, s[4:5]
; %bb.608:                              ;   in Loop: Header=BB335_371 Depth=1
	s_or_b64 exec, exec, s[24:25]
	v_lshlrev_b32_e32 v19, 16, v21
	v_mul_f32_e32 v19, v40, v19
	v_and_b32_e32 v20, 0x7f800000, v19
	v_cmp_ne_u32_e64 s[4:5], s7, v20
                                        ; implicit-def: $vgpr59
	s_and_saveexec_b64 s[24:25], s[4:5]
	s_xor_b64 s[4:5], exec, s[24:25]
; %bb.609:                              ;   in Loop: Header=BB335_371 Depth=1
	v_bfe_u32 v20, v19, 16, 1
	v_add3_u32 v59, v19, v20, s15
                                        ; implicit-def: $vgpr19
; %bb.610:                              ;   in Loop: Header=BB335_371 Depth=1
	s_andn2_saveexec_b64 s[24:25], s[4:5]
; %bb.611:                              ;   in Loop: Header=BB335_371 Depth=1
	v_or_b32_e32 v20, 0x10000, v19
	v_cmp_eq_u32_sdwa s[4:5], v19, v17 src0_sel:WORD_0 src1_sel:DWORD
	v_cndmask_b32_e64 v59, v20, v19, s[4:5]
; %bb.612:                              ;   in Loop: Header=BB335_371 Depth=1
	s_or_b64 exec, exec, s[24:25]
	v_lshlrev_b32_e32 v18, 16, v18
	v_mul_f32_e32 v18, v41, v18
	v_and_b32_e32 v19, 0x7f800000, v18
	v_cmp_ne_u32_e64 s[4:5], s7, v19
                                        ; implicit-def: $vgpr60
	s_and_saveexec_b64 s[24:25], s[4:5]
	s_xor_b64 s[4:5], exec, s[24:25]
; %bb.613:                              ;   in Loop: Header=BB335_371 Depth=1
	v_bfe_u32 v19, v18, 16, 1
	v_add3_u32 v60, v18, v19, s15
                                        ; implicit-def: $vgpr18
; %bb.614:                              ;   in Loop: Header=BB335_371 Depth=1
	s_andn2_saveexec_b64 s[24:25], s[4:5]
; %bb.615:                              ;   in Loop: Header=BB335_371 Depth=1
	v_or_b32_e32 v19, 0x10000, v18
	v_cmp_eq_u32_sdwa s[4:5], v18, v17 src0_sel:WORD_0 src1_sel:DWORD
	v_cndmask_b32_e64 v60, v19, v18, s[4:5]
; %bb.616:                              ;   in Loop: Header=BB335_371 Depth=1
	s_or_b64 exec, exec, s[24:25]
	v_lshlrev_b32_e32 v16, 16, v16
	v_mul_f32_e32 v16, v42, v16
	v_and_b32_e32 v18, 0x7f800000, v16
	v_cmp_ne_u32_e64 s[4:5], s7, v18
                                        ; implicit-def: $vgpr61
	s_and_saveexec_b64 s[24:25], s[4:5]
	s_xor_b64 s[4:5], exec, s[24:25]
; %bb.617:                              ;   in Loop: Header=BB335_371 Depth=1
	v_bfe_u32 v18, v16, 16, 1
	v_add3_u32 v61, v16, v18, s15
                                        ; implicit-def: $vgpr16
; %bb.618:                              ;   in Loop: Header=BB335_371 Depth=1
	s_andn2_saveexec_b64 s[24:25], s[4:5]
; %bb.619:                              ;   in Loop: Header=BB335_371 Depth=1
	v_or_b32_e32 v18, 0x10000, v16
	v_cmp_eq_u32_sdwa s[4:5], v16, v17 src0_sel:WORD_0 src1_sel:DWORD
	v_cndmask_b32_e64 v61, v18, v16, s[4:5]
; %bb.620:                              ;   in Loop: Header=BB335_371 Depth=1
	s_or_b64 exec, exec, s[24:25]
	v_lshlrev_b32_e32 v10, 16, v10
	v_mul_f32_e32 v10, v47, v10
	v_and_b32_e32 v16, 0x7f800000, v10
	v_cmp_ne_u32_e64 s[4:5], s7, v16
                                        ; implicit-def: $vgpr62
	s_and_saveexec_b64 s[24:25], s[4:5]
	s_xor_b64 s[4:5], exec, s[24:25]
; %bb.621:                              ;   in Loop: Header=BB335_371 Depth=1
	v_bfe_u32 v16, v10, 16, 1
	v_add3_u32 v62, v10, v16, s15
                                        ; implicit-def: $vgpr10
; %bb.622:                              ;   in Loop: Header=BB335_371 Depth=1
	s_andn2_saveexec_b64 s[24:25], s[4:5]
; %bb.623:                              ;   in Loop: Header=BB335_371 Depth=1
	v_or_b32_e32 v16, 0x10000, v10
	v_cmp_eq_u32_sdwa s[4:5], v10, v17 src0_sel:WORD_0 src1_sel:DWORD
	v_cndmask_b32_e64 v62, v16, v10, s[4:5]
; %bb.624:                              ;   in Loop: Header=BB335_371 Depth=1
	s_or_b64 exec, exec, s[24:25]
	v_lshlrev_b32_e32 v9, 16, v9
	v_mul_f32_e32 v9, v56, v9
	v_and_b32_e32 v10, 0x7f800000, v9
	v_cmp_ne_u32_e64 s[4:5], s7, v10
                                        ; implicit-def: $vgpr19
	s_and_saveexec_b64 s[24:25], s[4:5]
	s_xor_b64 s[4:5], exec, s[24:25]
; %bb.625:                              ;   in Loop: Header=BB335_371 Depth=1
	v_bfe_u32 v10, v9, 16, 1
	v_add3_u32 v19, v9, v10, s15
                                        ; implicit-def: $vgpr9
; %bb.626:                              ;   in Loop: Header=BB335_371 Depth=1
	s_andn2_saveexec_b64 s[24:25], s[4:5]
; %bb.627:                              ;   in Loop: Header=BB335_371 Depth=1
	v_or_b32_e32 v10, 0x10000, v9
	v_cmp_eq_u32_sdwa s[4:5], v9, v17 src0_sel:WORD_0 src1_sel:DWORD
	v_cndmask_b32_e64 v19, v10, v9, s[4:5]
; %bb.628:                              ;   in Loop: Header=BB335_371 Depth=1
	s_or_b64 exec, exec, s[24:25]
	v_lshlrev_b32_e32 v8, 16, v8
	v_mul_f32_e32 v8, v57, v8
	v_and_b32_e32 v9, 0x7f800000, v8
	v_cmp_ne_u32_e64 s[4:5], s7, v9
                                        ; implicit-def: $vgpr32
	s_and_saveexec_b64 s[24:25], s[4:5]
	s_xor_b64 s[4:5], exec, s[24:25]
; %bb.629:                              ;   in Loop: Header=BB335_371 Depth=1
	v_bfe_u32 v9, v8, 16, 1
	v_add3_u32 v32, v8, v9, s15
                                        ; implicit-def: $vgpr8
; %bb.630:                              ;   in Loop: Header=BB335_371 Depth=1
	s_andn2_saveexec_b64 s[24:25], s[4:5]
; %bb.631:                              ;   in Loop: Header=BB335_371 Depth=1
	v_or_b32_e32 v9, 0x10000, v8
	v_cmp_eq_u32_sdwa s[4:5], v8, v17 src0_sel:WORD_0 src1_sel:DWORD
	v_cndmask_b32_e64 v32, v9, v8, s[4:5]
; %bb.632:                              ;   in Loop: Header=BB335_371 Depth=1
	s_or_b64 exec, exec, s[24:25]
	flat_load_dwordx2 v[8:9], v[6:7] offset:1024
	v_mov_b32_e32 v10, 0
	s_waitcnt vmcnt(0) lgkmcnt(0)
	v_cmp_ne_u16_sdwa s[4:5], v8, v17 src0_sel:BYTE_0 src1_sel:DWORD
	s_and_saveexec_b64 s[24:25], s[4:5]
	s_cbranch_execz .LBB335_638
; %bb.633:                              ;   in Loop: Header=BB335_371 Depth=1
	v_cmp_ne_u16_sdwa s[4:5], v8, s30 src0_sel:BYTE_0 src1_sel:DWORD
	v_bfrev_b32_e32 v10, 1
	s_and_saveexec_b64 s[26:27], s[4:5]
	s_cbranch_execz .LBB335_637
; %bb.634:                              ;   in Loop: Header=BB335_371 Depth=1
	v_and_b32_e32 v16, 0x7f, v8
	v_cmp_ne_u32_e64 s[4:5], s31, v16
	v_mov_b32_e32 v10, 0x7f800001
	s_and_saveexec_b64 s[28:29], s[4:5]
	s_cbranch_execz .LBB335_636
; %bb.635:                              ;   in Loop: Header=BB335_371 Depth=1
	v_and_b32_e32 v10, 7, v8
	v_ffbh_u32_e32 v10, v10
	v_min_u32_e32 v10, 32, v10
	v_subrev_u32_e32 v20, 28, v10
	v_cmp_gt_u32_e64 s[4:5], 8, v16
	v_lshrrev_b32_e32 v18, 3, v16
	v_cndmask_b32_e64 v16, 0, v20, s[4:5]
	v_sub_u32_e32 v10, 29, v10
	v_lshlrev_b64 v[20:21], v16, v[8:9]
	v_cndmask_b32_e64 v10, v18, v10, s[4:5]
	v_lshlrev_b32_e32 v16, 20, v20
	v_lshlrev_b32_e32 v18, 24, v8
	v_and_b32_e32 v16, 0x700000, v16
	v_and_b32_e32 v18, 0x80000000, v18
	v_lshl_add_u32 v10, v10, 23, v39
	v_or3_b32 v10, v18, v10, v16
.LBB335_636:                            ;   in Loop: Header=BB335_371 Depth=1
	s_or_b64 exec, exec, s[28:29]
.LBB335_637:                            ;   in Loop: Header=BB335_371 Depth=1
	s_or_b64 exec, exec, s[26:27]
.LBB335_638:                            ;   in Loop: Header=BB335_371 Depth=1
	s_or_b64 exec, exec, s[24:25]
	v_mul_f32_e32 v10, v11, v10
	v_and_b32_e32 v16, 0x7f800000, v10
	v_cmp_ne_u32_e64 s[4:5], s7, v16
                                        ; implicit-def: $vgpr20
	s_and_saveexec_b64 s[24:25], s[4:5]
	s_xor_b64 s[4:5], exec, s[24:25]
; %bb.639:                              ;   in Loop: Header=BB335_371 Depth=1
	v_bfe_u32 v16, v10, 16, 1
	v_add3_u32 v20, v10, v16, s15
                                        ; implicit-def: $vgpr10
; %bb.640:                              ;   in Loop: Header=BB335_371 Depth=1
	s_andn2_saveexec_b64 s[24:25], s[4:5]
; %bb.641:                              ;   in Loop: Header=BB335_371 Depth=1
	v_or_b32_e32 v16, 0x10000, v10
	v_cmp_eq_u32_sdwa s[4:5], v10, v17 src0_sel:WORD_0 src1_sel:DWORD
	v_cndmask_b32_e64 v20, v16, v10, s[4:5]
; %bb.642:                              ;   in Loop: Header=BB335_371 Depth=1
	s_or_b64 exec, exec, s[24:25]
	v_lshrrev_b16_e32 v10, 8, v8
	v_cmp_ne_u16_e64 s[4:5], 0, v10
	v_mov_b32_e32 v16, 0
	s_and_saveexec_b64 s[24:25], s[4:5]
	s_cbranch_execz .LBB335_648
; %bb.643:                              ;   in Loop: Header=BB335_371 Depth=1
	v_cmp_ne_u16_e64 s[4:5], s30, v10
	v_bfrev_b32_e32 v16, 1
	s_and_saveexec_b64 s[26:27], s[4:5]
	s_cbranch_execz .LBB335_647
; %bb.644:                              ;   in Loop: Header=BB335_371 Depth=1
	v_and_b32_e32 v18, 0x7f, v10
	v_cmp_ne_u32_e64 s[4:5], s31, v18
	v_mov_b32_e32 v16, 0x7f800001
	s_and_saveexec_b64 s[28:29], s[4:5]
	s_cbranch_execz .LBB335_646
; %bb.645:                              ;   in Loop: Header=BB335_371 Depth=1
	v_and_b32_e32 v16, 7, v10
	v_ffbh_u32_e32 v22, v16
	v_min_u32_e32 v22, 32, v22
	v_subrev_u32_e32 v23, 28, v22
	v_lshlrev_b64 v[24:25], v23, v[10:11]
	v_lshrrev_b32_e32 v21, 3, v18
	v_sub_u32_e32 v10, 29, v22
	v_and_b32_e32 v22, 7, v24
	v_cmp_gt_u32_e64 s[4:5], 8, v18
	v_cndmask_b32_e64 v10, v21, v10, s[4:5]
	v_cndmask_b32_e64 v16, v16, v22, s[4:5]
	v_lshlrev_b32_e32 v18, 16, v8
	v_lshlrev_b32_e32 v16, 20, v16
	v_and_b32_e32 v18, 0x80000000, v18
	v_lshl_add_u32 v10, v10, 23, v39
	v_or3_b32 v16, v18, v10, v16
.LBB335_646:                            ;   in Loop: Header=BB335_371 Depth=1
	s_or_b64 exec, exec, s[28:29]
.LBB335_647:                            ;   in Loop: Header=BB335_371 Depth=1
	s_or_b64 exec, exec, s[26:27]
.LBB335_648:                            ;   in Loop: Header=BB335_371 Depth=1
	s_or_b64 exec, exec, s[24:25]
	v_mul_f32_e32 v10, v11, v16
	v_and_b32_e32 v16, 0x7f800000, v10
	v_cmp_ne_u32_e64 s[4:5], s7, v16
                                        ; implicit-def: $vgpr21
	s_and_saveexec_b64 s[24:25], s[4:5]
	s_xor_b64 s[4:5], exec, s[24:25]
; %bb.649:                              ;   in Loop: Header=BB335_371 Depth=1
	v_bfe_u32 v16, v10, 16, 1
	v_add3_u32 v21, v10, v16, s15
                                        ; implicit-def: $vgpr10
; %bb.650:                              ;   in Loop: Header=BB335_371 Depth=1
	s_andn2_saveexec_b64 s[24:25], s[4:5]
; %bb.651:                              ;   in Loop: Header=BB335_371 Depth=1
	v_or_b32_e32 v16, 0x10000, v10
	v_cmp_eq_u32_sdwa s[4:5], v10, v17 src0_sel:WORD_0 src1_sel:DWORD
	v_cndmask_b32_e64 v21, v16, v10, s[4:5]
; %bb.652:                              ;   in Loop: Header=BB335_371 Depth=1
	s_or_b64 exec, exec, s[24:25]
	v_lshrrev_b32_e32 v10, 16, v8
	v_cmp_ne_u16_sdwa s[4:5], v10, v17 src0_sel:BYTE_0 src1_sel:DWORD
	v_mov_b32_e32 v16, 0
	s_and_saveexec_b64 s[24:25], s[4:5]
	s_cbranch_execz .LBB335_658
; %bb.653:                              ;   in Loop: Header=BB335_371 Depth=1
	v_cmp_ne_u16_sdwa s[4:5], v10, s30 src0_sel:BYTE_0 src1_sel:DWORD
	v_bfrev_b32_e32 v16, 1
	s_and_saveexec_b64 s[26:27], s[4:5]
	s_cbranch_execz .LBB335_657
; %bb.654:                              ;   in Loop: Header=BB335_371 Depth=1
	v_bfe_u32 v18, v8, 16, 7
	v_cmp_ne_u32_e64 s[4:5], s31, v18
	v_mov_b32_e32 v16, 0x7f800001
	s_and_saveexec_b64 s[28:29], s[4:5]
	s_cbranch_execz .LBB335_656
; %bb.655:                              ;   in Loop: Header=BB335_371 Depth=1
	v_and_b32_e32 v16, 7, v10
	v_ffbh_u32_e32 v23, v16
	v_min_u32_e32 v23, 32, v23
	v_subrev_u32_e32 v24, 28, v23
	v_lshlrev_b64 v[24:25], v24, v[10:11]
	v_lshrrev_b32_e32 v22, 3, v18
	v_sub_u32_e32 v23, 29, v23
	v_and_b32_e32 v24, 7, v24
	v_cmp_gt_u32_e64 s[4:5], 8, v18
	v_cndmask_b32_e64 v18, v22, v23, s[4:5]
	v_cndmask_b32_e64 v16, v16, v24, s[4:5]
	v_lshlrev_b32_e32 v10, 24, v10
	v_lshlrev_b32_e32 v16, 20, v16
	v_and_b32_e32 v10, 0x80000000, v10
	v_lshl_add_u32 v18, v18, 23, v39
	v_or3_b32 v16, v10, v18, v16
.LBB335_656:                            ;   in Loop: Header=BB335_371 Depth=1
	s_or_b64 exec, exec, s[28:29]
.LBB335_657:                            ;   in Loop: Header=BB335_371 Depth=1
	s_or_b64 exec, exec, s[26:27]
.LBB335_658:                            ;   in Loop: Header=BB335_371 Depth=1
	s_or_b64 exec, exec, s[24:25]
	v_mul_f32_e32 v10, v11, v16
	v_and_b32_e32 v16, 0x7f800000, v10
	v_cmp_ne_u32_e64 s[4:5], s7, v16
                                        ; implicit-def: $vgpr22
	s_and_saveexec_b64 s[24:25], s[4:5]
	s_xor_b64 s[4:5], exec, s[24:25]
; %bb.659:                              ;   in Loop: Header=BB335_371 Depth=1
	v_bfe_u32 v16, v10, 16, 1
	v_add3_u32 v22, v10, v16, s15
                                        ; implicit-def: $vgpr10
; %bb.660:                              ;   in Loop: Header=BB335_371 Depth=1
	s_andn2_saveexec_b64 s[24:25], s[4:5]
; %bb.661:                              ;   in Loop: Header=BB335_371 Depth=1
	v_or_b32_e32 v16, 0x10000, v10
	v_cmp_eq_u32_sdwa s[4:5], v10, v17 src0_sel:WORD_0 src1_sel:DWORD
	v_cndmask_b32_e64 v22, v16, v10, s[4:5]
; %bb.662:                              ;   in Loop: Header=BB335_371 Depth=1
	s_or_b64 exec, exec, s[24:25]
	v_cmp_lt_u32_e64 s[4:5], s11, v8
	v_mov_b32_e32 v16, 0
	s_and_saveexec_b64 s[24:25], s[4:5]
	s_cbranch_execz .LBB335_668
; %bb.663:                              ;   in Loop: Header=BB335_371 Depth=1
	v_lshrrev_b32_e32 v10, 24, v8
	v_cmp_ne_u32_e64 s[4:5], s30, v10
	v_bfrev_b32_e32 v16, 1
	s_and_saveexec_b64 s[26:27], s[4:5]
	s_cbranch_execz .LBB335_667
; %bb.664:                              ;   in Loop: Header=BB335_371 Depth=1
	v_bfe_u32 v18, v8, 24, 7
	v_cmp_ne_u32_e64 s[4:5], s31, v18
	v_mov_b32_e32 v16, 0x7f800001
	s_and_saveexec_b64 s[28:29], s[4:5]
	s_cbranch_execz .LBB335_666
; %bb.665:                              ;   in Loop: Header=BB335_371 Depth=1
	v_and_b32_e32 v16, 7, v10
	v_ffbh_u32_e32 v24, v16
	v_min_u32_e32 v26, 32, v24
	v_subrev_u32_e32 v24, 28, v26
	v_lshlrev_b64 v[24:25], v24, v[10:11]
	v_lshrrev_b32_e32 v23, 3, v18
	v_sub_u32_e32 v25, 29, v26
	v_and_b32_e32 v24, 7, v24
	v_cmp_gt_u32_e64 s[4:5], 8, v18
	v_cndmask_b32_e64 v18, v23, v25, s[4:5]
	v_cndmask_b32_e64 v16, v16, v24, s[4:5]
	v_lshlrev_b32_e32 v10, 24, v10
	v_lshlrev_b32_e32 v16, 20, v16
	v_and_b32_e32 v10, 0x80000000, v10
	v_lshl_add_u32 v18, v18, 23, v39
	v_or3_b32 v16, v10, v18, v16
.LBB335_666:                            ;   in Loop: Header=BB335_371 Depth=1
	s_or_b64 exec, exec, s[28:29]
.LBB335_667:                            ;   in Loop: Header=BB335_371 Depth=1
	s_or_b64 exec, exec, s[26:27]
.LBB335_668:                            ;   in Loop: Header=BB335_371 Depth=1
	s_or_b64 exec, exec, s[24:25]
	v_mul_f32_e32 v10, v11, v16
	v_and_b32_e32 v16, 0x7f800000, v10
	v_cmp_ne_u32_e64 s[4:5], s7, v16
                                        ; implicit-def: $vgpr18
	s_and_saveexec_b64 s[24:25], s[4:5]
	s_xor_b64 s[4:5], exec, s[24:25]
; %bb.669:                              ;   in Loop: Header=BB335_371 Depth=1
	v_bfe_u32 v16, v10, 16, 1
	v_add3_u32 v18, v10, v16, s15
                                        ; implicit-def: $vgpr10
; %bb.670:                              ;   in Loop: Header=BB335_371 Depth=1
	s_andn2_saveexec_b64 s[24:25], s[4:5]
; %bb.671:                              ;   in Loop: Header=BB335_371 Depth=1
	v_or_b32_e32 v16, 0x10000, v10
	v_cmp_eq_u32_sdwa s[4:5], v10, v17 src0_sel:WORD_0 src1_sel:DWORD
	v_cndmask_b32_e64 v18, v16, v10, s[4:5]
; %bb.672:                              ;   in Loop: Header=BB335_371 Depth=1
	s_or_b64 exec, exec, s[24:25]
	v_mov_b32_e32 v16, v9
	v_cmp_ne_u16_sdwa s[4:5], v9, v17 src0_sel:BYTE_0 src1_sel:DWORD
	v_mov_b32_e32 v10, 0
	s_and_saveexec_b64 s[24:25], s[4:5]
	s_cbranch_execz .LBB335_678
; %bb.673:                              ;   in Loop: Header=BB335_371 Depth=1
	v_cmp_ne_u16_sdwa s[4:5], v9, s30 src0_sel:BYTE_0 src1_sel:DWORD
	v_bfrev_b32_e32 v10, 1
	s_and_saveexec_b64 s[26:27], s[4:5]
	s_cbranch_execz .LBB335_677
; %bb.674:                              ;   in Loop: Header=BB335_371 Depth=1
	v_and_b32_e32 v24, 0x7f, v9
	v_cmp_ne_u32_e64 s[4:5], s31, v24
	v_mov_b32_e32 v10, 0x7f800001
	s_and_saveexec_b64 s[28:29], s[4:5]
	s_cbranch_execz .LBB335_676
; %bb.675:                              ;   in Loop: Header=BB335_371 Depth=1
	v_and_b32_e32 v10, 7, v9
	v_ffbh_u32_e32 v10, v10
	v_min_u32_e32 v10, 32, v10
	v_lshrrev_b32_e32 v23, 3, v24
	v_subrev_u32_e32 v25, 28, v10
	v_sub_u32_e32 v10, 29, v10
	v_cmp_gt_u32_e64 s[4:5], 8, v24
	v_cndmask_b32_e64 v10, v23, v10, s[4:5]
	v_cndmask_b32_e64 v23, 0, v25, s[4:5]
	v_lshlrev_b64 v[24:25], v23, v[16:17]
	v_lshlrev_b32_e32 v23, 20, v24
	v_lshlrev_b32_e32 v24, 24, v16
	v_and_b32_e32 v23, 0x700000, v23
	v_and_b32_e32 v24, 0x80000000, v24
	v_lshl_add_u32 v10, v10, 23, v39
	v_or3_b32 v10, v24, v10, v23
.LBB335_676:                            ;   in Loop: Header=BB335_371 Depth=1
	s_or_b64 exec, exec, s[28:29]
.LBB335_677:                            ;   in Loop: Header=BB335_371 Depth=1
	s_or_b64 exec, exec, s[26:27]
.LBB335_678:                            ;   in Loop: Header=BB335_371 Depth=1
	s_or_b64 exec, exec, s[24:25]
	v_mul_f32_e32 v10, v11, v10
	v_and_b32_e32 v23, 0x7f800000, v10
	v_cmp_ne_u32_e64 s[4:5], s7, v23
                                        ; implicit-def: $vgpr24
	s_and_saveexec_b64 s[24:25], s[4:5]
	s_xor_b64 s[4:5], exec, s[24:25]
; %bb.679:                              ;   in Loop: Header=BB335_371 Depth=1
	v_bfe_u32 v23, v10, 16, 1
	v_add3_u32 v24, v10, v23, s15
                                        ; implicit-def: $vgpr10
; %bb.680:                              ;   in Loop: Header=BB335_371 Depth=1
	s_andn2_saveexec_b64 s[24:25], s[4:5]
; %bb.681:                              ;   in Loop: Header=BB335_371 Depth=1
	v_or_b32_e32 v23, 0x10000, v10
	v_cmp_eq_u32_sdwa s[4:5], v10, v17 src0_sel:WORD_0 src1_sel:DWORD
	v_cndmask_b32_e64 v24, v23, v10, s[4:5]
; %bb.682:                              ;   in Loop: Header=BB335_371 Depth=1
	s_or_b64 exec, exec, s[24:25]
	v_lshrrev_b16_e32 v10, 8, v16
	v_cmp_ne_u16_e64 s[4:5], 0, v10
	v_mov_b32_e32 v25, 0
	s_and_saveexec_b64 s[24:25], s[4:5]
	s_cbranch_execz .LBB335_688
; %bb.683:                              ;   in Loop: Header=BB335_371 Depth=1
	v_cmp_ne_u16_e64 s[4:5], s30, v10
	v_bfrev_b32_e32 v25, 1
	s_and_saveexec_b64 s[26:27], s[4:5]
	s_cbranch_execz .LBB335_687
; %bb.684:                              ;   in Loop: Header=BB335_371 Depth=1
	v_and_b32_e32 v26, 0x7f, v10
	v_cmp_ne_u32_e64 s[4:5], s31, v26
	v_mov_b32_e32 v25, 0x7f800001
	s_and_saveexec_b64 s[28:29], s[4:5]
	s_cbranch_execz .LBB335_686
; %bb.685:                              ;   in Loop: Header=BB335_371 Depth=1
	v_and_b32_e32 v23, 7, v10
	v_ffbh_u32_e32 v27, v23
	v_min_u32_e32 v27, 32, v27
	v_subrev_u32_e32 v28, 28, v27
	v_lshlrev_b64 v[44:45], v28, v[10:11]
	v_lshrrev_b32_e32 v25, 3, v26
	v_sub_u32_e32 v10, 29, v27
	v_and_b32_e32 v27, 7, v44
	v_cmp_gt_u32_e64 s[4:5], 8, v26
	v_cndmask_b32_e64 v10, v25, v10, s[4:5]
	v_cndmask_b32_e64 v23, v23, v27, s[4:5]
	v_lshlrev_b32_e32 v16, 16, v16
	v_lshlrev_b32_e32 v23, 20, v23
	v_and_b32_e32 v16, 0x80000000, v16
	v_lshl_add_u32 v10, v10, 23, v39
	v_accvgpr_read_b32 v28, a13
	v_or3_b32 v25, v16, v10, v23
.LBB335_686:                            ;   in Loop: Header=BB335_371 Depth=1
	s_or_b64 exec, exec, s[28:29]
.LBB335_687:                            ;   in Loop: Header=BB335_371 Depth=1
	s_or_b64 exec, exec, s[26:27]
.LBB335_688:                            ;   in Loop: Header=BB335_371 Depth=1
	s_or_b64 exec, exec, s[24:25]
	v_mul_f32_e32 v10, v11, v25
	v_and_b32_e32 v16, 0x7f800000, v10
	v_cmp_ne_u32_e64 s[4:5], s7, v16
                                        ; implicit-def: $vgpr16
	s_and_saveexec_b64 s[24:25], s[4:5]
	s_xor_b64 s[4:5], exec, s[24:25]
; %bb.689:                              ;   in Loop: Header=BB335_371 Depth=1
	v_bfe_u32 v16, v10, 16, 1
	v_add3_u32 v16, v10, v16, s15
                                        ; implicit-def: $vgpr10
; %bb.690:                              ;   in Loop: Header=BB335_371 Depth=1
	s_andn2_saveexec_b64 s[24:25], s[4:5]
; %bb.691:                              ;   in Loop: Header=BB335_371 Depth=1
	v_or_b32_e32 v16, 0x10000, v10
	v_cmp_eq_u32_sdwa s[4:5], v10, v17 src0_sel:WORD_0 src1_sel:DWORD
	v_cndmask_b32_e64 v16, v16, v10, s[4:5]
; %bb.692:                              ;   in Loop: Header=BB335_371 Depth=1
	s_or_b64 exec, exec, s[24:25]
	v_lshrrev_b32_e32 v10, 16, v9
	v_cmp_ne_u16_sdwa s[4:5], v10, v17 src0_sel:BYTE_0 src1_sel:DWORD
	v_mov_b32_e32 v25, 0
	s_and_saveexec_b64 s[24:25], s[4:5]
	s_cbranch_execz .LBB335_698
; %bb.693:                              ;   in Loop: Header=BB335_371 Depth=1
	v_cmp_ne_u16_sdwa s[4:5], v10, s30 src0_sel:BYTE_0 src1_sel:DWORD
	v_bfrev_b32_e32 v25, 1
	s_and_saveexec_b64 s[26:27], s[4:5]
	s_cbranch_execz .LBB335_697
; %bb.694:                              ;   in Loop: Header=BB335_371 Depth=1
	v_bfe_u32 v26, v9, 16, 7
	v_cmp_ne_u32_e64 s[4:5], s31, v26
	v_mov_b32_e32 v25, 0x7f800001
	s_and_saveexec_b64 s[28:29], s[4:5]
	s_cbranch_execz .LBB335_696
; %bb.695:                              ;   in Loop: Header=BB335_371 Depth=1
	v_and_b32_e32 v23, 7, v10
	v_ffbh_u32_e32 v27, v23
	v_min_u32_e32 v27, 32, v27
	v_subrev_u32_e32 v28, 28, v27
	v_lshlrev_b64 v[44:45], v28, v[10:11]
	v_lshrrev_b32_e32 v25, 3, v26
	v_sub_u32_e32 v27, 29, v27
	v_and_b32_e32 v28, 7, v44
	v_cmp_gt_u32_e64 s[4:5], 8, v26
	v_cndmask_b32_e64 v25, v25, v27, s[4:5]
	v_cndmask_b32_e64 v23, v23, v28, s[4:5]
	v_lshlrev_b32_e32 v10, 24, v10
	v_lshlrev_b32_e32 v23, 20, v23
	v_and_b32_e32 v10, 0x80000000, v10
	v_lshl_add_u32 v25, v25, 23, v39
	v_accvgpr_read_b32 v28, a13
	v_or3_b32 v25, v10, v25, v23
.LBB335_696:                            ;   in Loop: Header=BB335_371 Depth=1
	s_or_b64 exec, exec, s[28:29]
.LBB335_697:                            ;   in Loop: Header=BB335_371 Depth=1
	s_or_b64 exec, exec, s[26:27]
.LBB335_698:                            ;   in Loop: Header=BB335_371 Depth=1
	s_or_b64 exec, exec, s[24:25]
	v_mul_f32_e32 v25, v11, v25
	v_and_b32_e32 v10, 0x7f800000, v25
	v_cmp_ne_u32_e64 s[4:5], s7, v10
                                        ; implicit-def: $vgpr10
	s_and_saveexec_b64 s[24:25], s[4:5]
	s_xor_b64 s[4:5], exec, s[24:25]
; %bb.699:                              ;   in Loop: Header=BB335_371 Depth=1
	v_bfe_u32 v10, v25, 16, 1
	v_add3_u32 v10, v25, v10, s15
                                        ; implicit-def: $vgpr25
; %bb.700:                              ;   in Loop: Header=BB335_371 Depth=1
	s_andn2_saveexec_b64 s[24:25], s[4:5]
; %bb.701:                              ;   in Loop: Header=BB335_371 Depth=1
	v_or_b32_e32 v10, 0x10000, v25
	v_cmp_eq_u32_sdwa s[4:5], v25, v17 src0_sel:WORD_0 src1_sel:DWORD
	v_cndmask_b32_e64 v10, v10, v25, s[4:5]
; %bb.702:                              ;   in Loop: Header=BB335_371 Depth=1
	s_or_b64 exec, exec, s[24:25]
	v_cmp_lt_u64_e64 s[4:5], s[10:11], v[8:9]
	v_mov_b32_e32 v25, 0
	s_and_saveexec_b64 s[24:25], s[4:5]
	s_cbranch_execz .LBB335_708
; %bb.703:                              ;   in Loop: Header=BB335_371 Depth=1
	v_lshrrev_b32_e32 v8, 24, v9
	v_cmp_ne_u32_e64 s[4:5], s30, v8
	v_bfrev_b32_e32 v25, 1
	s_and_saveexec_b64 s[26:27], s[4:5]
	s_cbranch_execz .LBB335_707
; %bb.704:                              ;   in Loop: Header=BB335_371 Depth=1
	v_bfe_u32 v9, v9, 24, 7
	v_cmp_ne_u32_e64 s[4:5], s31, v9
	v_mov_b32_e32 v25, 0x7f800001
	s_and_saveexec_b64 s[28:29], s[4:5]
	s_cbranch_execz .LBB335_706
; %bb.705:                              ;   in Loop: Header=BB335_371 Depth=1
	v_and_b32_e32 v23, 7, v8
	v_ffbh_u32_e32 v26, v23
	v_min_u32_e32 v28, 32, v26
	v_subrev_u32_e32 v26, 28, v28
	v_lshlrev_b64 v[26:27], v26, v[8:9]
	v_lshrrev_b32_e32 v25, 3, v9
	v_sub_u32_e32 v27, 29, v28
	v_and_b32_e32 v26, 7, v26
	v_cmp_gt_u32_e64 s[4:5], 8, v9
	v_cndmask_b32_e64 v9, v25, v27, s[4:5]
	v_cndmask_b32_e64 v23, v23, v26, s[4:5]
	v_lshlrev_b32_e32 v8, 24, v8
	v_lshlrev_b32_e32 v23, 20, v23
	v_and_b32_e32 v8, 0x80000000, v8
	v_lshl_add_u32 v9, v9, 23, v39
	v_accvgpr_read_b32 v28, a13
	v_or3_b32 v25, v8, v9, v23
.LBB335_706:                            ;   in Loop: Header=BB335_371 Depth=1
	s_or_b64 exec, exec, s[28:29]
.LBB335_707:                            ;   in Loop: Header=BB335_371 Depth=1
	s_or_b64 exec, exec, s[26:27]
.LBB335_708:                            ;   in Loop: Header=BB335_371 Depth=1
	s_or_b64 exec, exec, s[24:25]
	v_mul_f32_e32 v9, v11, v25
	v_and_b32_e32 v8, 0x7f800000, v9
	v_cmp_ne_u32_e64 s[4:5], s7, v8
                                        ; implicit-def: $vgpr8
	s_and_saveexec_b64 s[24:25], s[4:5]
	s_xor_b64 s[4:5], exec, s[24:25]
; %bb.709:                              ;   in Loop: Header=BB335_371 Depth=1
	v_bfe_u32 v8, v9, 16, 1
	v_add3_u32 v8, v9, v8, s15
                                        ; implicit-def: $vgpr9
; %bb.710:                              ;   in Loop: Header=BB335_371 Depth=1
	s_andn2_saveexec_b64 s[24:25], s[4:5]
; %bb.711:                              ;   in Loop: Header=BB335_371 Depth=1
	v_or_b32_e32 v8, 0x10000, v9
	v_cmp_eq_u32_sdwa s[4:5], v9, v17 src0_sel:WORD_0 src1_sel:DWORD
	v_cndmask_b32_e64 v8, v8, v9, s[4:5]
; %bb.712:                              ;   in Loop: Header=BB335_371 Depth=1
	s_or_b64 exec, exec, s[24:25]
	v_lshrrev_b32_e32 v25, 16, v16
	v_lshrrev_b32_e32 v24, 16, v24
	;; [unrolled: 1-line block ×8, first 2 shown]
	s_and_saveexec_b64 s[24:25], vcc
	s_cbranch_execz .LBB335_714
; %bb.713:                              ;   in Loop: Header=BB335_371 Depth=1
	v_accvgpr_read_b32 v10, a3
	v_mov_b32_e32 v20, v51
	v_cmp_lt_i32_e64 s[4:5], v20, v10
	v_cndmask_b32_e64 v9, 0, v9, s[4:5]
	v_cmp_lt_i32_e64 s[4:5], v52, v10
	v_cndmask_b32_e64 v21, 0, v21, s[4:5]
	;; [unrolled: 2-line block ×4, first 2 shown]
	v_cmp_lt_i32_e64 s[4:5], v48, v10
	v_accvgpr_read_b32 v20, a20
	v_cndmask_b32_e64 v24, 0, v24, s[4:5]
	v_cmp_lt_i32_e64 s[4:5], v20, v10
	v_accvgpr_read_b32 v20, a17
	v_cndmask_b32_e64 v25, 0, v25, s[4:5]
	v_cmp_lt_i32_e64 s[4:5], v20, v10
	v_cndmask_b32_e64 v16, 0, v16, s[4:5]
	v_cmp_lt_i32_e64 s[4:5], v28, v10
	v_cndmask_b32_e64 v8, 0, v8, s[4:5]
.LBB335_714:                            ;   in Loop: Header=BB335_371 Depth=1
	s_or_b64 exec, exec, s[24:25]
	v_lshlrev_b32_e32 v9, 16, v9
	v_mul_f32_e32 v10, v54, v9
	v_and_b32_e32 v9, 0x7f800000, v10
	v_cmp_ne_u32_e64 s[4:5], s7, v9
                                        ; implicit-def: $vgpr9
	s_and_saveexec_b64 s[24:25], s[4:5]
	s_xor_b64 s[4:5], exec, s[24:25]
; %bb.715:                              ;   in Loop: Header=BB335_371 Depth=1
	v_bfe_u32 v9, v10, 16, 1
	v_add3_u32 v9, v10, v9, s15
                                        ; implicit-def: $vgpr10
; %bb.716:                              ;   in Loop: Header=BB335_371 Depth=1
	s_andn2_saveexec_b64 s[24:25], s[4:5]
; %bb.717:                              ;   in Loop: Header=BB335_371 Depth=1
	v_or_b32_e32 v9, 0x10000, v10
	v_cmp_eq_u32_sdwa s[4:5], v10, v17 src0_sel:WORD_0 src1_sel:DWORD
	v_cndmask_b32_e64 v9, v9, v10, s[4:5]
; %bb.718:                              ;   in Loop: Header=BB335_371 Depth=1
	s_or_b64 exec, exec, s[24:25]
	v_lshlrev_b32_e32 v10, 16, v21
	v_mul_f32_e32 v20, v55, v10
	v_and_b32_e32 v10, 0x7f800000, v20
	v_cmp_ne_u32_e64 s[4:5], s7, v10
                                        ; implicit-def: $vgpr10
	s_and_saveexec_b64 s[24:25], s[4:5]
	s_xor_b64 s[4:5], exec, s[24:25]
; %bb.719:                              ;   in Loop: Header=BB335_371 Depth=1
	v_bfe_u32 v10, v20, 16, 1
	v_add3_u32 v10, v20, v10, s15
                                        ; implicit-def: $vgpr20
; %bb.720:                              ;   in Loop: Header=BB335_371 Depth=1
	s_andn2_saveexec_b64 s[24:25], s[4:5]
; %bb.721:                              ;   in Loop: Header=BB335_371 Depth=1
	v_or_b32_e32 v10, 0x10000, v20
	v_cmp_eq_u32_sdwa s[4:5], v20, v17 src0_sel:WORD_0 src1_sel:DWORD
	v_cndmask_b32_e64 v10, v10, v20, s[4:5]
; %bb.722:                              ;   in Loop: Header=BB335_371 Depth=1
	s_or_b64 exec, exec, s[24:25]
	v_lshlrev_b32_e32 v20, 16, v22
	v_mul_f32_e32 v20, v40, v20
	v_and_b32_e32 v21, 0x7f800000, v20
	v_cmp_ne_u32_e64 s[4:5], s7, v21
                                        ; implicit-def: $vgpr26
	s_and_saveexec_b64 s[24:25], s[4:5]
	s_xor_b64 s[4:5], exec, s[24:25]
; %bb.723:                              ;   in Loop: Header=BB335_371 Depth=1
	v_bfe_u32 v21, v20, 16, 1
	v_add3_u32 v26, v20, v21, s15
                                        ; implicit-def: $vgpr20
; %bb.724:                              ;   in Loop: Header=BB335_371 Depth=1
	s_andn2_saveexec_b64 s[24:25], s[4:5]
; %bb.725:                              ;   in Loop: Header=BB335_371 Depth=1
	v_or_b32_e32 v21, 0x10000, v20
	v_cmp_eq_u32_sdwa s[4:5], v20, v17 src0_sel:WORD_0 src1_sel:DWORD
	v_cndmask_b32_e64 v26, v21, v20, s[4:5]
; %bb.726:                              ;   in Loop: Header=BB335_371 Depth=1
	s_or_b64 exec, exec, s[24:25]
	v_lshlrev_b32_e32 v18, 16, v18
	v_mul_f32_e32 v18, v41, v18
	v_and_b32_e32 v20, 0x7f800000, v18
	v_cmp_ne_u32_e64 s[4:5], s7, v20
                                        ; implicit-def: $vgpr27
	s_and_saveexec_b64 s[24:25], s[4:5]
	s_xor_b64 s[4:5], exec, s[24:25]
; %bb.727:                              ;   in Loop: Header=BB335_371 Depth=1
	v_bfe_u32 v20, v18, 16, 1
	v_add3_u32 v27, v18, v20, s15
                                        ; implicit-def: $vgpr18
; %bb.728:                              ;   in Loop: Header=BB335_371 Depth=1
	s_andn2_saveexec_b64 s[24:25], s[4:5]
; %bb.729:                              ;   in Loop: Header=BB335_371 Depth=1
	v_or_b32_e32 v20, 0x10000, v18
	v_cmp_eq_u32_sdwa s[4:5], v18, v17 src0_sel:WORD_0 src1_sel:DWORD
	v_cndmask_b32_e64 v27, v20, v18, s[4:5]
; %bb.730:                              ;   in Loop: Header=BB335_371 Depth=1
	s_or_b64 exec, exec, s[24:25]
	v_lshlrev_b32_e32 v18, 16, v24
	v_mul_f32_e32 v18, v42, v18
	v_and_b32_e32 v20, 0x7f800000, v18
	v_cmp_ne_u32_e64 s[4:5], s7, v20
                                        ; implicit-def: $vgpr21
	s_and_saveexec_b64 s[24:25], s[4:5]
	s_xor_b64 s[4:5], exec, s[24:25]
; %bb.731:                              ;   in Loop: Header=BB335_371 Depth=1
	v_bfe_u32 v20, v18, 16, 1
	v_add3_u32 v21, v18, v20, s15
                                        ; implicit-def: $vgpr18
; %bb.732:                              ;   in Loop: Header=BB335_371 Depth=1
	s_andn2_saveexec_b64 s[24:25], s[4:5]
; %bb.733:                              ;   in Loop: Header=BB335_371 Depth=1
	v_or_b32_e32 v20, 0x10000, v18
	v_cmp_eq_u32_sdwa s[4:5], v18, v17 src0_sel:WORD_0 src1_sel:DWORD
	v_cndmask_b32_e64 v21, v20, v18, s[4:5]
; %bb.734:                              ;   in Loop: Header=BB335_371 Depth=1
	s_or_b64 exec, exec, s[24:25]
	v_lshlrev_b32_e32 v18, 16, v25
	v_mul_f32_e32 v18, v47, v18
	v_and_b32_e32 v20, 0x7f800000, v18
	v_cmp_ne_u32_e64 s[4:5], s7, v20
                                        ; implicit-def: $vgpr44
	s_and_saveexec_b64 s[24:25], s[4:5]
	s_xor_b64 s[4:5], exec, s[24:25]
; %bb.735:                              ;   in Loop: Header=BB335_371 Depth=1
	v_bfe_u32 v20, v18, 16, 1
	v_add3_u32 v44, v18, v20, s15
                                        ; implicit-def: $vgpr18
; %bb.736:                              ;   in Loop: Header=BB335_371 Depth=1
	s_andn2_saveexec_b64 s[24:25], s[4:5]
; %bb.737:                              ;   in Loop: Header=BB335_371 Depth=1
	v_or_b32_e32 v20, 0x10000, v18
	v_cmp_eq_u32_sdwa s[4:5], v18, v17 src0_sel:WORD_0 src1_sel:DWORD
	v_cndmask_b32_e64 v44, v20, v18, s[4:5]
; %bb.738:                              ;   in Loop: Header=BB335_371 Depth=1
	s_or_b64 exec, exec, s[24:25]
	v_lshlrev_b32_e32 v16, 16, v16
	v_mul_f32_e32 v16, v56, v16
	v_and_b32_e32 v18, 0x7f800000, v16
	v_cmp_ne_u32_e64 s[4:5], s7, v18
                                        ; implicit-def: $vgpr45
	s_and_saveexec_b64 s[24:25], s[4:5]
	s_xor_b64 s[4:5], exec, s[24:25]
; %bb.739:                              ;   in Loop: Header=BB335_371 Depth=1
	v_bfe_u32 v18, v16, 16, 1
	v_add3_u32 v45, v16, v18, s15
                                        ; implicit-def: $vgpr16
; %bb.740:                              ;   in Loop: Header=BB335_371 Depth=1
	s_andn2_saveexec_b64 s[24:25], s[4:5]
; %bb.741:                              ;   in Loop: Header=BB335_371 Depth=1
	v_or_b32_e32 v18, 0x10000, v16
	v_cmp_eq_u32_sdwa s[4:5], v16, v17 src0_sel:WORD_0 src1_sel:DWORD
	v_cndmask_b32_e64 v45, v18, v16, s[4:5]
; %bb.742:                              ;   in Loop: Header=BB335_371 Depth=1
	s_or_b64 exec, exec, s[24:25]
	v_lshlrev_b32_e32 v8, 16, v8
	v_mul_f32_e32 v8, v57, v8
	v_and_b32_e32 v16, 0x7f800000, v8
	v_cmp_ne_u32_e64 s[4:5], s7, v16
                                        ; implicit-def: $vgpr46
	s_and_saveexec_b64 s[24:25], s[4:5]
	s_xor_b64 s[4:5], exec, s[24:25]
; %bb.743:                              ;   in Loop: Header=BB335_371 Depth=1
	v_bfe_u32 v16, v8, 16, 1
	v_add3_u32 v46, v8, v16, s15
                                        ; implicit-def: $vgpr8
; %bb.744:                              ;   in Loop: Header=BB335_371 Depth=1
	s_andn2_saveexec_b64 s[24:25], s[4:5]
; %bb.745:                              ;   in Loop: Header=BB335_371 Depth=1
	v_or_b32_e32 v16, 0x10000, v8
	v_cmp_eq_u32_sdwa s[4:5], v8, v17 src0_sel:WORD_0 src1_sel:DWORD
	v_cndmask_b32_e64 v46, v16, v8, s[4:5]
; %bb.746:                              ;   in Loop: Header=BB335_371 Depth=1
	s_or_b64 exec, exec, s[24:25]
	flat_load_dwordx2 v[6:7], v[6:7] offset:1536
	v_mov_b32_e32 v8, 0
	s_waitcnt vmcnt(0) lgkmcnt(0)
	v_cmp_ne_u16_sdwa s[4:5], v6, v17 src0_sel:BYTE_0 src1_sel:DWORD
	s_and_saveexec_b64 s[24:25], s[4:5]
	s_cbranch_execz .LBB335_752
; %bb.747:                              ;   in Loop: Header=BB335_371 Depth=1
	v_cmp_ne_u16_sdwa s[4:5], v6, s30 src0_sel:BYTE_0 src1_sel:DWORD
	v_bfrev_b32_e32 v8, 1
	s_and_saveexec_b64 s[26:27], s[4:5]
	s_cbranch_execz .LBB335_751
; %bb.748:                              ;   in Loop: Header=BB335_371 Depth=1
	v_and_b32_e32 v16, 0x7f, v6
	v_cmp_ne_u32_e64 s[4:5], s31, v16
	v_mov_b32_e32 v8, 0x7f800001
	s_and_saveexec_b64 s[28:29], s[4:5]
	s_cbranch_execz .LBB335_750
; %bb.749:                              ;   in Loop: Header=BB335_371 Depth=1
	v_and_b32_e32 v8, 7, v6
	v_ffbh_u32_e32 v8, v8
	v_min_u32_e32 v8, 32, v8
	v_subrev_u32_e32 v20, 28, v8
	v_cmp_gt_u32_e64 s[4:5], 8, v16
	v_lshrrev_b32_e32 v18, 3, v16
	v_cndmask_b32_e64 v16, 0, v20, s[4:5]
	v_sub_u32_e32 v8, 29, v8
	v_lshlrev_b64 v[24:25], v16, v[6:7]
	v_cndmask_b32_e64 v8, v18, v8, s[4:5]
	v_lshlrev_b32_e32 v16, 20, v24
	v_lshlrev_b32_e32 v18, 24, v6
	v_and_b32_e32 v16, 0x700000, v16
	v_and_b32_e32 v18, 0x80000000, v18
	v_lshl_add_u32 v8, v8, 23, v39
	v_or3_b32 v8, v18, v8, v16
.LBB335_750:                            ;   in Loop: Header=BB335_371 Depth=1
	s_or_b64 exec, exec, s[28:29]
.LBB335_751:                            ;   in Loop: Header=BB335_371 Depth=1
	s_or_b64 exec, exec, s[26:27]
.LBB335_752:                            ;   in Loop: Header=BB335_371 Depth=1
	s_or_b64 exec, exec, s[24:25]
	v_mul_f32_e32 v8, v11, v8
	v_and_b32_e32 v16, 0x7f800000, v8
	v_cmp_ne_u32_e64 s[4:5], s7, v16
                                        ; implicit-def: $vgpr20
	s_and_saveexec_b64 s[24:25], s[4:5]
	s_xor_b64 s[4:5], exec, s[24:25]
; %bb.753:                              ;   in Loop: Header=BB335_371 Depth=1
	v_bfe_u32 v16, v8, 16, 1
	v_add3_u32 v20, v8, v16, s15
                                        ; implicit-def: $vgpr8
; %bb.754:                              ;   in Loop: Header=BB335_371 Depth=1
	s_andn2_saveexec_b64 s[24:25], s[4:5]
; %bb.755:                              ;   in Loop: Header=BB335_371 Depth=1
	v_or_b32_e32 v16, 0x10000, v8
	v_cmp_eq_u32_sdwa s[4:5], v8, v17 src0_sel:WORD_0 src1_sel:DWORD
	v_cndmask_b32_e64 v20, v16, v8, s[4:5]
; %bb.756:                              ;   in Loop: Header=BB335_371 Depth=1
	s_or_b64 exec, exec, s[24:25]
	v_lshrrev_b16_e32 v8, 8, v6
	v_cmp_ne_u16_e64 s[4:5], 0, v8
	v_mov_b32_e32 v16, 0
	s_and_saveexec_b64 s[24:25], s[4:5]
	s_cbranch_execz .LBB335_762
; %bb.757:                              ;   in Loop: Header=BB335_371 Depth=1
	v_cmp_ne_u16_e64 s[4:5], s30, v8
	v_bfrev_b32_e32 v16, 1
	s_and_saveexec_b64 s[26:27], s[4:5]
	s_cbranch_execz .LBB335_761
; %bb.758:                              ;   in Loop: Header=BB335_371 Depth=1
	v_and_b32_e32 v18, 0x7f, v8
	v_cmp_ne_u32_e64 s[4:5], s31, v18
	v_mov_b32_e32 v16, 0x7f800001
	s_and_saveexec_b64 s[28:29], s[4:5]
	s_cbranch_execz .LBB335_760
; %bb.759:                              ;   in Loop: Header=BB335_371 Depth=1
	v_and_b32_e32 v16, 7, v8
	v_ffbh_u32_e32 v23, v16
	v_min_u32_e32 v23, 32, v23
	v_subrev_u32_e32 v24, 28, v23
	v_lshlrev_b64 v[24:25], v24, v[8:9]
	v_lshrrev_b32_e32 v22, 3, v18
	v_sub_u32_e32 v8, 29, v23
	v_and_b32_e32 v23, 7, v24
	v_cmp_gt_u32_e64 s[4:5], 8, v18
	v_cndmask_b32_e64 v8, v22, v8, s[4:5]
	v_cndmask_b32_e64 v16, v16, v23, s[4:5]
	v_lshlrev_b32_e32 v18, 16, v6
	v_lshlrev_b32_e32 v16, 20, v16
	v_and_b32_e32 v18, 0x80000000, v18
	v_lshl_add_u32 v8, v8, 23, v39
	v_or3_b32 v16, v18, v8, v16
.LBB335_760:                            ;   in Loop: Header=BB335_371 Depth=1
	s_or_b64 exec, exec, s[28:29]
.LBB335_761:                            ;   in Loop: Header=BB335_371 Depth=1
	s_or_b64 exec, exec, s[26:27]
.LBB335_762:                            ;   in Loop: Header=BB335_371 Depth=1
	s_or_b64 exec, exec, s[24:25]
	v_mul_f32_e32 v8, v11, v16
	v_and_b32_e32 v16, 0x7f800000, v8
	v_cmp_ne_u32_e64 s[4:5], s7, v16
                                        ; implicit-def: $vgpr22
	s_and_saveexec_b64 s[24:25], s[4:5]
	s_xor_b64 s[4:5], exec, s[24:25]
; %bb.763:                              ;   in Loop: Header=BB335_371 Depth=1
	v_bfe_u32 v16, v8, 16, 1
	v_add3_u32 v22, v8, v16, s15
                                        ; implicit-def: $vgpr8
; %bb.764:                              ;   in Loop: Header=BB335_371 Depth=1
	s_andn2_saveexec_b64 s[24:25], s[4:5]
; %bb.765:                              ;   in Loop: Header=BB335_371 Depth=1
	v_or_b32_e32 v16, 0x10000, v8
	v_cmp_eq_u32_sdwa s[4:5], v8, v17 src0_sel:WORD_0 src1_sel:DWORD
	v_cndmask_b32_e64 v22, v16, v8, s[4:5]
; %bb.766:                              ;   in Loop: Header=BB335_371 Depth=1
	s_or_b64 exec, exec, s[24:25]
	v_lshrrev_b32_e32 v8, 16, v6
	v_cmp_ne_u16_sdwa s[4:5], v8, v17 src0_sel:BYTE_0 src1_sel:DWORD
	v_mov_b32_e32 v16, 0
	s_and_saveexec_b64 s[24:25], s[4:5]
	s_cbranch_execz .LBB335_772
; %bb.767:                              ;   in Loop: Header=BB335_371 Depth=1
	v_cmp_ne_u16_sdwa s[4:5], v8, s30 src0_sel:BYTE_0 src1_sel:DWORD
	v_bfrev_b32_e32 v16, 1
	s_and_saveexec_b64 s[26:27], s[4:5]
	s_cbranch_execz .LBB335_771
; %bb.768:                              ;   in Loop: Header=BB335_371 Depth=1
	v_bfe_u32 v18, v6, 16, 7
	v_cmp_ne_u32_e64 s[4:5], s31, v18
	v_mov_b32_e32 v16, 0x7f800001
	s_and_saveexec_b64 s[28:29], s[4:5]
	s_cbranch_execz .LBB335_770
; %bb.769:                              ;   in Loop: Header=BB335_371 Depth=1
	v_and_b32_e32 v16, 7, v8
	v_ffbh_u32_e32 v24, v16
	v_min_u32_e32 v28, 32, v24
	v_subrev_u32_e32 v24, 28, v28
	v_lshlrev_b64 v[24:25], v24, v[8:9]
	v_lshrrev_b32_e32 v23, 3, v18
	v_sub_u32_e32 v25, 29, v28
	v_and_b32_e32 v24, 7, v24
	v_cmp_gt_u32_e64 s[4:5], 8, v18
	v_cndmask_b32_e64 v18, v23, v25, s[4:5]
	v_cndmask_b32_e64 v16, v16, v24, s[4:5]
	v_lshlrev_b32_e32 v8, 24, v8
	v_lshlrev_b32_e32 v16, 20, v16
	v_and_b32_e32 v8, 0x80000000, v8
	v_lshl_add_u32 v18, v18, 23, v39
	v_accvgpr_read_b32 v28, a13
	v_or3_b32 v16, v8, v18, v16
.LBB335_770:                            ;   in Loop: Header=BB335_371 Depth=1
	s_or_b64 exec, exec, s[28:29]
.LBB335_771:                            ;   in Loop: Header=BB335_371 Depth=1
	s_or_b64 exec, exec, s[26:27]
.LBB335_772:                            ;   in Loop: Header=BB335_371 Depth=1
	s_or_b64 exec, exec, s[24:25]
	v_mul_f32_e32 v8, v11, v16
	v_and_b32_e32 v16, 0x7f800000, v8
	v_cmp_ne_u32_e64 s[4:5], s7, v16
                                        ; implicit-def: $vgpr18
	s_and_saveexec_b64 s[24:25], s[4:5]
	s_xor_b64 s[4:5], exec, s[24:25]
; %bb.773:                              ;   in Loop: Header=BB335_371 Depth=1
	v_bfe_u32 v16, v8, 16, 1
	v_add3_u32 v18, v8, v16, s15
                                        ; implicit-def: $vgpr8
; %bb.774:                              ;   in Loop: Header=BB335_371 Depth=1
	s_andn2_saveexec_b64 s[24:25], s[4:5]
; %bb.775:                              ;   in Loop: Header=BB335_371 Depth=1
	v_or_b32_e32 v16, 0x10000, v8
	v_cmp_eq_u32_sdwa s[4:5], v8, v17 src0_sel:WORD_0 src1_sel:DWORD
	v_cndmask_b32_e64 v18, v16, v8, s[4:5]
; %bb.776:                              ;   in Loop: Header=BB335_371 Depth=1
	s_or_b64 exec, exec, s[24:25]
	v_cmp_lt_u32_e64 s[4:5], s11, v6
	v_mov_b32_e32 v16, 0
	s_and_saveexec_b64 s[24:25], s[4:5]
	s_cbranch_execz .LBB335_782
; %bb.777:                              ;   in Loop: Header=BB335_371 Depth=1
	v_lshrrev_b32_e32 v8, 24, v6
	v_cmp_ne_u32_e64 s[4:5], s30, v8
	v_bfrev_b32_e32 v16, 1
	s_and_saveexec_b64 s[26:27], s[4:5]
	s_cbranch_execz .LBB335_781
; %bb.778:                              ;   in Loop: Header=BB335_371 Depth=1
	v_bfe_u32 v24, v6, 24, 7
	v_cmp_ne_u32_e64 s[4:5], s31, v24
	v_mov_b32_e32 v16, 0x7f800001
	s_and_saveexec_b64 s[28:29], s[4:5]
	s_cbranch_execz .LBB335_780
; %bb.779:                              ;   in Loop: Header=BB335_371 Depth=1
	v_and_b32_e32 v16, 7, v8
	v_ffbh_u32_e32 v25, v16
	v_min_u32_e32 v25, 32, v25
	v_subrev_u32_e32 v28, 28, v25
	v_lshlrev_b64 v[38:39], v28, v[8:9]
	v_lshrrev_b32_e32 v23, 3, v24
	v_sub_u32_e32 v25, 29, v25
	v_and_b32_e32 v28, 7, v38
	v_cmp_gt_u32_e64 s[4:5], 8, v24
	v_bfrev_b32_e32 v39, 60
	v_cndmask_b32_e64 v23, v23, v25, s[4:5]
	v_cndmask_b32_e64 v16, v16, v28, s[4:5]
	v_lshlrev_b32_e32 v8, 24, v8
	v_lshlrev_b32_e32 v16, 20, v16
	v_and_b32_e32 v8, 0x80000000, v8
	v_lshl_add_u32 v23, v23, 23, v39
	v_accvgpr_read_b32 v38, a16
	v_accvgpr_read_b32 v28, a13
	v_or3_b32 v16, v8, v23, v16
.LBB335_780:                            ;   in Loop: Header=BB335_371 Depth=1
	s_or_b64 exec, exec, s[28:29]
.LBB335_781:                            ;   in Loop: Header=BB335_371 Depth=1
	s_or_b64 exec, exec, s[26:27]
.LBB335_782:                            ;   in Loop: Header=BB335_371 Depth=1
	s_or_b64 exec, exec, s[24:25]
	v_mul_f32_e32 v8, v11, v16
	v_and_b32_e32 v16, 0x7f800000, v8
	v_cmp_ne_u32_e64 s[4:5], s7, v16
                                        ; implicit-def: $vgpr24
	s_and_saveexec_b64 s[24:25], s[4:5]
	s_xor_b64 s[4:5], exec, s[24:25]
; %bb.783:                              ;   in Loop: Header=BB335_371 Depth=1
	v_bfe_u32 v16, v8, 16, 1
	v_add3_u32 v24, v8, v16, s15
                                        ; implicit-def: $vgpr8
; %bb.784:                              ;   in Loop: Header=BB335_371 Depth=1
	s_andn2_saveexec_b64 s[24:25], s[4:5]
; %bb.785:                              ;   in Loop: Header=BB335_371 Depth=1
	v_or_b32_e32 v16, 0x10000, v8
	v_cmp_eq_u32_sdwa s[4:5], v8, v17 src0_sel:WORD_0 src1_sel:DWORD
	v_cndmask_b32_e64 v24, v16, v8, s[4:5]
; %bb.786:                              ;   in Loop: Header=BB335_371 Depth=1
	s_or_b64 exec, exec, s[24:25]
	v_mov_b32_e32 v16, v7
	v_cmp_ne_u16_sdwa s[4:5], v7, v17 src0_sel:BYTE_0 src1_sel:DWORD
	v_mov_b32_e32 v8, 0
	s_and_saveexec_b64 s[24:25], s[4:5]
	s_cbranch_execz .LBB335_792
; %bb.787:                              ;   in Loop: Header=BB335_371 Depth=1
	v_cmp_ne_u16_sdwa s[4:5], v7, s30 src0_sel:BYTE_0 src1_sel:DWORD
	v_bfrev_b32_e32 v8, 1
	s_and_saveexec_b64 s[26:27], s[4:5]
	s_cbranch_execz .LBB335_791
; %bb.788:                              ;   in Loop: Header=BB335_371 Depth=1
	v_and_b32_e32 v25, 0x7f, v7
	v_cmp_ne_u32_e64 s[4:5], s31, v25
	v_mov_b32_e32 v8, 0x7f800001
	s_and_saveexec_b64 s[28:29], s[4:5]
	s_cbranch_execz .LBB335_790
; %bb.789:                              ;   in Loop: Header=BB335_371 Depth=1
	v_and_b32_e32 v8, 7, v7
	v_ffbh_u32_e32 v8, v8
	v_min_u32_e32 v8, 32, v8
	v_lshrrev_b32_e32 v23, 3, v25
	v_subrev_u32_e32 v28, 28, v8
	v_sub_u32_e32 v8, 29, v8
	v_cmp_gt_u32_e64 s[4:5], 8, v25
	v_cndmask_b32_e64 v8, v23, v8, s[4:5]
	v_cndmask_b32_e64 v23, 0, v28, s[4:5]
	v_lshlrev_b64 v[38:39], v23, v[16:17]
	v_bfrev_b32_e32 v39, 60
	v_lshlrev_b32_e32 v23, 20, v38
	v_lshlrev_b32_e32 v25, 24, v16
	v_and_b32_e32 v23, 0x700000, v23
	v_and_b32_e32 v25, 0x80000000, v25
	v_lshl_add_u32 v8, v8, 23, v39
	v_accvgpr_read_b32 v28, a13
	v_accvgpr_read_b32 v38, a16
	v_or3_b32 v8, v25, v8, v23
.LBB335_790:                            ;   in Loop: Header=BB335_371 Depth=1
	s_or_b64 exec, exec, s[28:29]
.LBB335_791:                            ;   in Loop: Header=BB335_371 Depth=1
	s_or_b64 exec, exec, s[26:27]
.LBB335_792:                            ;   in Loop: Header=BB335_371 Depth=1
	s_or_b64 exec, exec, s[24:25]
	v_mul_f32_e32 v8, v11, v8
	v_and_b32_e32 v23, 0x7f800000, v8
	v_cmp_ne_u32_e64 s[4:5], s7, v23
                                        ; implicit-def: $vgpr25
	s_and_saveexec_b64 s[24:25], s[4:5]
	s_xor_b64 s[4:5], exec, s[24:25]
; %bb.793:                              ;   in Loop: Header=BB335_371 Depth=1
	v_bfe_u32 v23, v8, 16, 1
	v_add3_u32 v25, v8, v23, s15
                                        ; implicit-def: $vgpr8
; %bb.794:                              ;   in Loop: Header=BB335_371 Depth=1
	s_andn2_saveexec_b64 s[24:25], s[4:5]
; %bb.795:                              ;   in Loop: Header=BB335_371 Depth=1
	v_or_b32_e32 v23, 0x10000, v8
	v_cmp_eq_u32_sdwa s[4:5], v8, v17 src0_sel:WORD_0 src1_sel:DWORD
	v_cndmask_b32_e64 v25, v23, v8, s[4:5]
; %bb.796:                              ;   in Loop: Header=BB335_371 Depth=1
	s_or_b64 exec, exec, s[24:25]
	v_lshrrev_b16_e32 v8, 8, v16
	v_cmp_ne_u16_e64 s[4:5], 0, v8
	v_mov_b32_e32 v33, 0
	s_and_saveexec_b64 s[24:25], s[4:5]
	s_cbranch_execz .LBB335_802
; %bb.797:                              ;   in Loop: Header=BB335_371 Depth=1
	v_cmp_ne_u16_e64 s[4:5], s30, v8
	v_bfrev_b32_e32 v33, 1
	s_and_saveexec_b64 s[26:27], s[4:5]
	s_cbranch_execz .LBB335_801
; %bb.798:                              ;   in Loop: Header=BB335_371 Depth=1
	v_and_b32_e32 v37, 0x7f, v8
	v_cmp_ne_u32_e64 s[4:5], s31, v37
	v_mov_b32_e32 v33, 0x7f800001
	s_and_saveexec_b64 s[28:29], s[4:5]
	s_cbranch_execz .LBB335_800
; %bb.799:                              ;   in Loop: Header=BB335_371 Depth=1
	v_and_b32_e32 v23, 7, v8
	v_ffbh_u32_e32 v33, v23
	v_min_u32_e32 v33, 32, v33
	v_subrev_u32_e32 v38, 28, v33
	v_lshlrev_b64 v[38:39], v38, v[8:9]
	v_lshrrev_b32_e32 v28, 3, v37
	v_sub_u32_e32 v8, 29, v33
	v_and_b32_e32 v33, 7, v38
	v_cmp_gt_u32_e64 s[4:5], 8, v37
	v_bfrev_b32_e32 v39, 60
	v_cndmask_b32_e64 v8, v28, v8, s[4:5]
	v_cndmask_b32_e64 v23, v23, v33, s[4:5]
	v_lshlrev_b32_e32 v16, 16, v16
	v_lshlrev_b32_e32 v23, 20, v23
	v_and_b32_e32 v16, 0x80000000, v16
	v_lshl_add_u32 v8, v8, 23, v39
	v_accvgpr_read_b32 v38, a16
	v_accvgpr_read_b32 v28, a13
	v_or3_b32 v33, v16, v8, v23
.LBB335_800:                            ;   in Loop: Header=BB335_371 Depth=1
	s_or_b64 exec, exec, s[28:29]
.LBB335_801:                            ;   in Loop: Header=BB335_371 Depth=1
	s_or_b64 exec, exec, s[26:27]
.LBB335_802:                            ;   in Loop: Header=BB335_371 Depth=1
	s_or_b64 exec, exec, s[24:25]
	v_mul_f32_e32 v8, v11, v33
	v_and_b32_e32 v16, 0x7f800000, v8
	v_cmp_ne_u32_e64 s[4:5], s7, v16
                                        ; implicit-def: $vgpr16
	s_and_saveexec_b64 s[24:25], s[4:5]
	s_xor_b64 s[4:5], exec, s[24:25]
; %bb.803:                              ;   in Loop: Header=BB335_371 Depth=1
	v_bfe_u32 v16, v8, 16, 1
	v_add3_u32 v16, v8, v16, s15
                                        ; implicit-def: $vgpr8
; %bb.804:                              ;   in Loop: Header=BB335_371 Depth=1
	s_andn2_saveexec_b64 s[24:25], s[4:5]
; %bb.805:                              ;   in Loop: Header=BB335_371 Depth=1
	v_or_b32_e32 v16, 0x10000, v8
	v_cmp_eq_u32_sdwa s[4:5], v8, v17 src0_sel:WORD_0 src1_sel:DWORD
	v_cndmask_b32_e64 v16, v16, v8, s[4:5]
; %bb.806:                              ;   in Loop: Header=BB335_371 Depth=1
	s_or_b64 exec, exec, s[24:25]
	v_lshrrev_b32_e32 v8, 16, v7
	v_cmp_ne_u16_sdwa s[4:5], v8, v17 src0_sel:BYTE_0 src1_sel:DWORD
	v_mov_b32_e32 v33, 0
	s_and_saveexec_b64 s[24:25], s[4:5]
	s_cbranch_execz .LBB335_812
; %bb.807:                              ;   in Loop: Header=BB335_371 Depth=1
	v_cmp_ne_u16_sdwa s[4:5], v8, s30 src0_sel:BYTE_0 src1_sel:DWORD
	v_bfrev_b32_e32 v33, 1
	s_and_saveexec_b64 s[26:27], s[4:5]
	s_cbranch_execz .LBB335_811
; %bb.808:                              ;   in Loop: Header=BB335_371 Depth=1
	v_bfe_u32 v37, v7, 16, 7
	v_cmp_ne_u32_e64 s[4:5], s31, v37
	v_mov_b32_e32 v33, 0x7f800001
	s_and_saveexec_b64 s[28:29], s[4:5]
	s_cbranch_execz .LBB335_810
; %bb.809:                              ;   in Loop: Header=BB335_371 Depth=1
	v_and_b32_e32 v23, 7, v8
	v_ffbh_u32_e32 v33, v23
	v_min_u32_e32 v33, 32, v33
	v_subrev_u32_e32 v38, 28, v33
	v_lshlrev_b64 v[38:39], v38, v[8:9]
	v_lshrrev_b32_e32 v28, 3, v37
	v_sub_u32_e32 v33, 29, v33
	v_and_b32_e32 v38, 7, v38
	v_cmp_gt_u32_e64 s[4:5], 8, v37
	v_bfrev_b32_e32 v39, 60
	v_cndmask_b32_e64 v28, v28, v33, s[4:5]
	v_cndmask_b32_e64 v23, v23, v38, s[4:5]
	v_lshlrev_b32_e32 v8, 24, v8
	v_lshlrev_b32_e32 v23, 20, v23
	v_and_b32_e32 v8, 0x80000000, v8
	v_lshl_add_u32 v28, v28, 23, v39
	v_accvgpr_read_b32 v38, a16
	v_or3_b32 v33, v8, v28, v23
	v_accvgpr_read_b32 v28, a13
.LBB335_810:                            ;   in Loop: Header=BB335_371 Depth=1
	s_or_b64 exec, exec, s[28:29]
.LBB335_811:                            ;   in Loop: Header=BB335_371 Depth=1
	s_or_b64 exec, exec, s[26:27]
.LBB335_812:                            ;   in Loop: Header=BB335_371 Depth=1
	s_or_b64 exec, exec, s[24:25]
	v_mul_f32_e32 v33, v11, v33
	v_and_b32_e32 v8, 0x7f800000, v33
	v_cmp_ne_u32_e64 s[4:5], s7, v8
                                        ; implicit-def: $vgpr8
	s_and_saveexec_b64 s[24:25], s[4:5]
	s_xor_b64 s[4:5], exec, s[24:25]
; %bb.813:                              ;   in Loop: Header=BB335_371 Depth=1
	v_bfe_u32 v8, v33, 16, 1
	v_add3_u32 v8, v33, v8, s15
                                        ; implicit-def: $vgpr33
; %bb.814:                              ;   in Loop: Header=BB335_371 Depth=1
	s_andn2_saveexec_b64 s[24:25], s[4:5]
; %bb.815:                              ;   in Loop: Header=BB335_371 Depth=1
	v_or_b32_e32 v8, 0x10000, v33
	v_cmp_eq_u32_sdwa s[4:5], v33, v17 src0_sel:WORD_0 src1_sel:DWORD
	v_cndmask_b32_e64 v8, v8, v33, s[4:5]
; %bb.816:                              ;   in Loop: Header=BB335_371 Depth=1
	s_or_b64 exec, exec, s[24:25]
	v_cmp_lt_u64_e64 s[4:5], s[10:11], v[6:7]
	v_mov_b32_e32 v33, 0
	s_and_saveexec_b64 s[24:25], s[4:5]
	s_cbranch_execz .LBB335_822
; %bb.817:                              ;   in Loop: Header=BB335_371 Depth=1
	v_lshrrev_b32_e32 v6, 24, v7
	v_cmp_ne_u32_e64 s[4:5], s30, v6
	v_bfrev_b32_e32 v33, 1
	s_and_saveexec_b64 s[26:27], s[4:5]
	s_cbranch_execz .LBB335_821
; %bb.818:                              ;   in Loop: Header=BB335_371 Depth=1
	v_bfe_u32 v7, v7, 24, 7
	v_cmp_ne_u32_e64 s[4:5], s31, v7
	v_mov_b32_e32 v33, 0x7f800001
	s_and_saveexec_b64 s[28:29], s[4:5]
	s_cbranch_execz .LBB335_820
; %bb.819:                              ;   in Loop: Header=BB335_371 Depth=1
	v_and_b32_e32 v23, 7, v6
	v_ffbh_u32_e32 v33, v23
	v_min_u32_e32 v33, 32, v33
	v_subrev_u32_e32 v37, 28, v33
	v_lshlrev_b64 v[38:39], v37, v[6:7]
	v_lshrrev_b32_e32 v28, 3, v7
	v_sub_u32_e32 v33, 29, v33
	v_and_b32_e32 v37, 7, v38
	v_cmp_gt_u32_e64 s[4:5], 8, v7
	v_bfrev_b32_e32 v39, 60
	v_cndmask_b32_e64 v7, v28, v33, s[4:5]
	v_cndmask_b32_e64 v23, v23, v37, s[4:5]
	v_lshlrev_b32_e32 v6, 24, v6
	v_lshlrev_b32_e32 v23, 20, v23
	v_and_b32_e32 v6, 0x80000000, v6
	v_lshl_add_u32 v7, v7, 23, v39
	v_accvgpr_read_b32 v38, a16
	v_accvgpr_read_b32 v28, a13
	v_or3_b32 v33, v6, v7, v23
.LBB335_820:                            ;   in Loop: Header=BB335_371 Depth=1
	s_or_b64 exec, exec, s[28:29]
.LBB335_821:                            ;   in Loop: Header=BB335_371 Depth=1
	s_or_b64 exec, exec, s[26:27]
.LBB335_822:                            ;   in Loop: Header=BB335_371 Depth=1
	s_or_b64 exec, exec, s[24:25]
	v_mul_f32_e32 v6, v11, v33
	v_and_b32_e32 v7, 0x7f800000, v6
	v_cmp_ne_u32_e64 s[4:5], s7, v7
                                        ; implicit-def: $vgpr37
	s_and_saveexec_b64 s[24:25], s[4:5]
	s_xor_b64 s[4:5], exec, s[24:25]
; %bb.823:                              ;   in Loop: Header=BB335_371 Depth=1
	v_bfe_u32 v7, v6, 16, 1
	v_add3_u32 v37, v6, v7, s15
                                        ; implicit-def: $vgpr6
; %bb.824:                              ;   in Loop: Header=BB335_371 Depth=1
	s_andn2_saveexec_b64 s[24:25], s[4:5]
; %bb.825:                              ;   in Loop: Header=BB335_371 Depth=1
	v_or_b32_e32 v7, 0x10000, v6
	v_cmp_eq_u32_sdwa s[4:5], v6, v17 src0_sel:WORD_0 src1_sel:DWORD
	v_cndmask_b32_e64 v37, v7, v6, s[4:5]
; %bb.826:                              ;   in Loop: Header=BB335_371 Depth=1
	s_or_b64 exec, exec, s[24:25]
	v_lshrrev_b32_e32 v33, 16, v16
	v_lshrrev_b32_e32 v25, 16, v25
	;; [unrolled: 1-line block ×8, first 2 shown]
	s_and_saveexec_b64 s[4:5], vcc
	s_cbranch_execz .LBB335_828
; %bb.827:                              ;   in Loop: Header=BB335_371 Depth=1
	v_accvgpr_read_b32 v18, a3
	v_mov_b32_e32 v20, v51
	v_cmp_lt_i32_e32 vcc, v20, v18
	v_cndmask_b32_e32 v6, 0, v6, vcc
	v_cmp_lt_i32_e32 vcc, v52, v18
	v_cndmask_b32_e32 v7, 0, v7, vcc
	;; [unrolled: 2-line block ×4, first 2 shown]
	v_cmp_lt_i32_e32 vcc, v48, v18
	v_accvgpr_read_b32 v20, a20
	v_cndmask_b32_e32 v25, 0, v25, vcc
	v_cmp_lt_i32_e32 vcc, v20, v18
	v_accvgpr_read_b32 v20, a17
	v_cndmask_b32_e32 v33, 0, v33, vcc
	v_cmp_lt_i32_e32 vcc, v20, v18
	v_cndmask_b32_e32 v16, 0, v16, vcc
	v_cmp_lt_i32_e32 vcc, v28, v18
	v_cndmask_b32_e32 v8, 0, v8, vcc
.LBB335_828:                            ;   in Loop: Header=BB335_371 Depth=1
	s_or_b64 exec, exec, s[4:5]
	v_lshlrev_b32_e32 v6, 16, v6
	v_mul_f32_e32 v18, v54, v6
	v_and_b32_e32 v6, 0x7f800000, v18
	v_cmp_ne_u32_e32 vcc, s7, v6
                                        ; implicit-def: $vgpr6
	s_and_saveexec_b64 s[4:5], vcc
	s_xor_b64 s[4:5], exec, s[4:5]
; %bb.829:                              ;   in Loop: Header=BB335_371 Depth=1
	v_bfe_u32 v6, v18, 16, 1
	v_add3_u32 v6, v18, v6, s15
                                        ; implicit-def: $vgpr18
; %bb.830:                              ;   in Loop: Header=BB335_371 Depth=1
	s_andn2_saveexec_b64 s[4:5], s[4:5]
; %bb.831:                              ;   in Loop: Header=BB335_371 Depth=1
	v_or_b32_e32 v6, 0x10000, v18
	v_cmp_eq_u32_sdwa vcc, v18, v17 src0_sel:WORD_0 src1_sel:DWORD
	v_cndmask_b32_e32 v6, v6, v18, vcc
; %bb.832:                              ;   in Loop: Header=BB335_371 Depth=1
	s_or_b64 exec, exec, s[4:5]
	v_lshlrev_b32_e32 v7, 16, v7
	v_mul_f32_e32 v18, v55, v7
	v_and_b32_e32 v7, 0x7f800000, v18
	v_cmp_ne_u32_e32 vcc, s7, v7
                                        ; implicit-def: $vgpr7
	s_and_saveexec_b64 s[4:5], vcc
	s_xor_b64 s[4:5], exec, s[4:5]
; %bb.833:                              ;   in Loop: Header=BB335_371 Depth=1
	v_bfe_u32 v7, v18, 16, 1
	v_add3_u32 v7, v18, v7, s15
                                        ; implicit-def: $vgpr18
; %bb.834:                              ;   in Loop: Header=BB335_371 Depth=1
	s_andn2_saveexec_b64 s[4:5], s[4:5]
; %bb.835:                              ;   in Loop: Header=BB335_371 Depth=1
	v_or_b32_e32 v7, 0x10000, v18
	v_cmp_eq_u32_sdwa vcc, v18, v17 src0_sel:WORD_0 src1_sel:DWORD
	v_cndmask_b32_e32 v7, v7, v18, vcc
; %bb.836:                              ;   in Loop: Header=BB335_371 Depth=1
	s_or_b64 exec, exec, s[4:5]
	v_lshlrev_b32_e32 v11, 16, v11
	v_mul_f32_e32 v18, v40, v11
	v_and_b32_e32 v11, 0x7f800000, v18
	v_cmp_ne_u32_e32 vcc, s7, v11
                                        ; implicit-def: $vgpr11
	s_and_saveexec_b64 s[4:5], vcc
	s_xor_b64 s[4:5], exec, s[4:5]
; %bb.837:                              ;   in Loop: Header=BB335_371 Depth=1
	v_bfe_u32 v11, v18, 16, 1
	v_add3_u32 v11, v18, v11, s15
                                        ; implicit-def: $vgpr18
; %bb.838:                              ;   in Loop: Header=BB335_371 Depth=1
	s_andn2_saveexec_b64 s[4:5], s[4:5]
; %bb.839:                              ;   in Loop: Header=BB335_371 Depth=1
	v_or_b32_e32 v11, 0x10000, v18
	v_cmp_eq_u32_sdwa vcc, v18, v17 src0_sel:WORD_0 src1_sel:DWORD
	v_cndmask_b32_e32 v11, v11, v18, vcc
; %bb.840:                              ;   in Loop: Header=BB335_371 Depth=1
	s_or_b64 exec, exec, s[4:5]
	v_lshlrev_b32_e32 v18, 16, v24
	v_mul_f32_e32 v20, v41, v18
	v_and_b32_e32 v18, 0x7f800000, v20
	v_cmp_ne_u32_e32 vcc, s7, v18
                                        ; implicit-def: $vgpr18
	s_and_saveexec_b64 s[4:5], vcc
	s_xor_b64 s[4:5], exec, s[4:5]
; %bb.841:                              ;   in Loop: Header=BB335_371 Depth=1
	v_bfe_u32 v18, v20, 16, 1
	v_add3_u32 v18, v20, v18, s15
                                        ; implicit-def: $vgpr20
; %bb.842:                              ;   in Loop: Header=BB335_371 Depth=1
	s_andn2_saveexec_b64 s[4:5], s[4:5]
; %bb.843:                              ;   in Loop: Header=BB335_371 Depth=1
	v_or_b32_e32 v18, 0x10000, v20
	v_cmp_eq_u32_sdwa vcc, v20, v17 src0_sel:WORD_0 src1_sel:DWORD
	v_cndmask_b32_e32 v18, v18, v20, vcc
; %bb.844:                              ;   in Loop: Header=BB335_371 Depth=1
	s_or_b64 exec, exec, s[4:5]
	v_lshlrev_b32_e32 v20, 16, v25
	v_mul_f32_e32 v22, v42, v20
	v_and_b32_e32 v20, 0x7f800000, v22
	v_cmp_ne_u32_e32 vcc, s7, v20
                                        ; implicit-def: $vgpr20
	s_and_saveexec_b64 s[4:5], vcc
	s_xor_b64 s[4:5], exec, s[4:5]
; %bb.845:                              ;   in Loop: Header=BB335_371 Depth=1
	v_bfe_u32 v20, v22, 16, 1
	v_add3_u32 v20, v22, v20, s15
                                        ; implicit-def: $vgpr22
; %bb.846:                              ;   in Loop: Header=BB335_371 Depth=1
	s_andn2_saveexec_b64 s[4:5], s[4:5]
; %bb.847:                              ;   in Loop: Header=BB335_371 Depth=1
	v_or_b32_e32 v20, 0x10000, v22
	v_cmp_eq_u32_sdwa vcc, v22, v17 src0_sel:WORD_0 src1_sel:DWORD
	v_cndmask_b32_e32 v20, v20, v22, vcc
; %bb.848:                              ;   in Loop: Header=BB335_371 Depth=1
	s_or_b64 exec, exec, s[4:5]
	v_lshlrev_b32_e32 v22, 16, v33
	v_mul_f32_e32 v24, v47, v22
	v_and_b32_e32 v22, 0x7f800000, v24
	v_cmp_ne_u32_e32 vcc, s7, v22
                                        ; implicit-def: $vgpr22
	s_and_saveexec_b64 s[4:5], vcc
	s_xor_b64 s[4:5], exec, s[4:5]
; %bb.849:                              ;   in Loop: Header=BB335_371 Depth=1
	v_bfe_u32 v22, v24, 16, 1
	v_add3_u32 v22, v24, v22, s15
                                        ; implicit-def: $vgpr24
; %bb.850:                              ;   in Loop: Header=BB335_371 Depth=1
	s_andn2_saveexec_b64 s[4:5], s[4:5]
; %bb.851:                              ;   in Loop: Header=BB335_371 Depth=1
	v_or_b32_e32 v22, 0x10000, v24
	v_cmp_eq_u32_sdwa vcc, v24, v17 src0_sel:WORD_0 src1_sel:DWORD
	v_cndmask_b32_e32 v22, v22, v24, vcc
; %bb.852:                              ;   in Loop: Header=BB335_371 Depth=1
	s_or_b64 exec, exec, s[4:5]
	v_lshlrev_b32_e32 v16, 16, v16
	v_mul_f32_e32 v24, v56, v16
	v_and_b32_e32 v16, 0x7f800000, v24
	v_cmp_ne_u32_e32 vcc, s7, v16
                                        ; implicit-def: $vgpr16
	s_and_saveexec_b64 s[4:5], vcc
	s_xor_b64 s[4:5], exec, s[4:5]
; %bb.853:                              ;   in Loop: Header=BB335_371 Depth=1
	v_bfe_u32 v16, v24, 16, 1
	v_add3_u32 v16, v24, v16, s15
                                        ; implicit-def: $vgpr24
; %bb.854:                              ;   in Loop: Header=BB335_371 Depth=1
	s_andn2_saveexec_b64 s[4:5], s[4:5]
; %bb.855:                              ;   in Loop: Header=BB335_371 Depth=1
	v_or_b32_e32 v16, 0x10000, v24
	v_cmp_eq_u32_sdwa vcc, v24, v17 src0_sel:WORD_0 src1_sel:DWORD
	v_cndmask_b32_e32 v16, v16, v24, vcc
; %bb.856:                              ;   in Loop: Header=BB335_371 Depth=1
	s_or_b64 exec, exec, s[4:5]
	v_lshlrev_b32_e32 v8, 16, v8
	v_mul_f32_e32 v24, v57, v8
	v_and_b32_e32 v8, 0x7f800000, v24
	v_cmp_ne_u32_e32 vcc, s7, v8
                                        ; implicit-def: $vgpr8
	s_and_saveexec_b64 s[4:5], vcc
	s_xor_b64 s[4:5], exec, s[4:5]
; %bb.857:                              ;   in Loop: Header=BB335_371 Depth=1
	v_bfe_u32 v8, v24, 16, 1
	v_add3_u32 v8, v24, v8, s15
                                        ; implicit-def: $vgpr24
; %bb.858:                              ;   in Loop: Header=BB335_371 Depth=1
	s_andn2_saveexec_b64 s[4:5], s[4:5]
	s_cbranch_execz .LBB335_369
; %bb.859:                              ;   in Loop: Header=BB335_371 Depth=1
	v_or_b32_e32 v8, 0x10000, v24
	v_cmp_eq_u32_sdwa vcc, v24, v17 src0_sel:WORD_0 src1_sel:DWORD
	v_cndmask_b32_e32 v8, v8, v24, vcc
	s_branch .LBB335_369
.LBB335_860:
	s_or_b64 exec, exec, s[20:21]
	v_accvgpr_read_b32 v4, a2
.LBB335_861:
	s_or_b64 exec, exec, s[8:9]
	v_mov_b32_e32 v7, v4
	v_and_b32_e32 v4, 0x3c0, v7
	v_cmp_eq_u32_e32 vcc, 64, v4
	s_waitcnt lgkmcnt(0)
	s_barrier
	s_and_saveexec_b64 s[4:5], vcc
	s_cbranch_execz .LBB335_863
; %bb.862:
	s_load_dword s7, s[12:13], 0x0
	v_lshlrev_b32_e32 v4, 2, v7
	s_waitcnt lgkmcnt(0)
	v_add_u32_e32 v6, s7, v4
	v_or_b32_e32 v4, 0x300, v4
	v_lshl_add_u32 v5, v43, 2, s7
	v_add_u32_e32 v4, s7, v4
	ds_write_b32 v5, v0
	ds_write_b32 v6, v1
	ds_write_b32 v5, v2 offset:512
	ds_write_b32 v4, v3
.LBB335_863:
	s_or_b64 exec, exec, s[4:5]
	v_cmp_gt_u32_e32 vcc, 64, v7
	s_waitcnt lgkmcnt(0)
	s_barrier
	s_and_saveexec_b64 s[4:5], vcc
	s_cbranch_execz .LBB335_865
; %bb.864:
	s_load_dword s7, s[12:13], 0x0
	s_waitcnt lgkmcnt(0)
	v_lshl_add_u32 v6, v7, 2, s7
	ds_read2st64_b32 v[4:5], v6 offset0:2 offset1:3
	ds_read2st64_b32 v[6:7], v6 offset1:1
	s_waitcnt lgkmcnt(0)
	v_pk_add_f32 v[2:3], v[2:3], v[4:5]
	v_pk_add_f32 v[0:1], v[0:1], v[6:7]
.LBB335_865:
	s_or_b64 exec, exec, s[4:5]
	s_barrier
	s_and_b64 exec, exec, vcc
	s_cbranch_execz .LBB335_883
; %bb.866:
	s_mov_b32 s4, 0x7f800000
	v_and_b32_e32 v4, 0x7f800000, v0
	v_cmp_ne_u32_e32 vcc, s4, v4
                                        ; implicit-def: $vgpr6
	s_and_saveexec_b64 s[4:5], vcc
	s_xor_b64 s[4:5], exec, s[4:5]
; %bb.867:
	v_bfe_u32 v4, v0, 16, 1
	s_movk_i32 s7, 0x7fff
	v_add3_u32 v6, v0, v4, s7
; %bb.868:
	s_andn2_saveexec_b64 s[4:5], s[4:5]
; %bb.869:
	v_mov_b32_e32 v4, 0
	v_or_b32_e32 v5, 0x10000, v0
	v_cmp_eq_u32_sdwa vcc, v0, v4 src0_sel:WORD_0 src1_sel:DWORD
	v_cndmask_b32_e32 v6, v5, v0, vcc
; %bb.870:
	s_or_b64 exec, exec, s[4:5]
	s_lshl_b32 s4, s6, 8
	s_mul_i32 s6, s18, s19
	s_lshl_b32 s8, s14, 8
	s_ashr_i32 s5, s4, 31
	s_ashr_i32 s7, s6, 31
	;; [unrolled: 1-line block ×3, first 2 shown]
	s_lshl_b64 s[4:5], s[4:5], 1
	s_lshl_b64 s[6:7], s[6:7], 1
	;; [unrolled: 1-line block ×3, first 2 shown]
	s_add_u32 s6, s8, s6
	s_addc_u32 s7, s9, s7
	s_add_u32 s4, s6, s4
	s_addc_u32 s5, s7, s5
	v_accvgpr_read_b32 v4, a1
	v_mov_b32_e32 v0, s5
	v_add_co_u32_e32 v4, vcc, s4, v4
	v_accvgpr_read_b32 v5, a0
	v_addc_co_u32_e32 v0, vcc, v0, v5, vcc
	v_accvgpr_read_b32 v5, a2
	v_lshlrev_b32_e32 v5, 1, v5
	v_add_co_u32_e32 v4, vcc, v4, v5
	v_addc_co_u32_e32 v5, vcc, 0, v0, vcc
	s_mov_b32 s4, 0x7f800000
	v_and_b32_e32 v0, 0x7f800000, v1
	v_cmp_ne_u32_e32 vcc, s4, v0
	flat_store_short_d16_hi v[4:5], v6
                                        ; implicit-def: $vgpr0
	s_and_saveexec_b64 s[4:5], vcc
	s_xor_b64 s[4:5], exec, s[4:5]
; %bb.871:
	v_bfe_u32 v0, v1, 16, 1
	s_movk_i32 s6, 0x7fff
	v_add3_u32 v0, v1, v0, s6
; %bb.872:
	s_andn2_saveexec_b64 s[4:5], s[4:5]
; %bb.873:
	v_mov_b32_e32 v0, 0
	v_or_b32_e32 v6, 0x10000, v1
	v_cmp_eq_u32_sdwa vcc, v1, v0 src0_sel:WORD_0 src1_sel:DWORD
	v_cndmask_b32_e32 v0, v6, v1, vcc
; %bb.874:
	s_or_b64 exec, exec, s[4:5]
	flat_store_short_d16_hi v[4:5], v0 offset:128
	s_mov_b32 s4, 0x7f800000
	v_and_b32_e32 v0, 0x7f800000, v2
	v_cmp_ne_u32_e32 vcc, s4, v0
                                        ; implicit-def: $vgpr0
	s_and_saveexec_b64 s[4:5], vcc
	s_xor_b64 s[4:5], exec, s[4:5]
; %bb.875:
	v_bfe_u32 v0, v2, 16, 1
	s_movk_i32 s6, 0x7fff
	v_add3_u32 v0, v2, v0, s6
; %bb.876:
	s_andn2_saveexec_b64 s[4:5], s[4:5]
; %bb.877:
	v_mov_b32_e32 v0, 0
	v_or_b32_e32 v1, 0x10000, v2
	v_cmp_eq_u32_sdwa vcc, v2, v0 src0_sel:WORD_0 src1_sel:DWORD
	v_cndmask_b32_e32 v0, v1, v2, vcc
; %bb.878:
	s_or_b64 exec, exec, s[4:5]
	flat_store_short_d16_hi v[4:5], v0 offset:256
	s_mov_b32 s4, 0x7f800000
	v_and_b32_e32 v0, 0x7f800000, v3
	v_cmp_ne_u32_e32 vcc, s4, v0
                                        ; implicit-def: $vgpr6
	s_and_saveexec_b64 s[4:5], vcc
	s_xor_b64 s[4:5], exec, s[4:5]
; %bb.879:
	v_bfe_u32 v0, v3, 16, 1
	s_movk_i32 s6, 0x7fff
	v_add3_u32 v6, v3, v0, s6
                                        ; implicit-def: $vgpr0_vgpr1_vgpr2_vgpr3
; %bb.880:
	s_andn2_saveexec_b64 s[4:5], s[4:5]
; %bb.881:
	v_mov_b32_e32 v0, 0
	v_or_b32_e32 v1, 0x10000, v3
	v_cmp_eq_u32_sdwa vcc, v3, v0 src0_sel:WORD_0 src1_sel:DWORD
	v_cndmask_b32_e32 v6, v1, v3, vcc
; %bb.882:
	s_or_b64 exec, exec, s[4:5]
	flat_store_short_d16_hi v[4:5], v6 offset:384
.LBB335_883:
	s_or_b64 exec, exec, s[16:17]
	buffer_load_dword a51, off, s[0:3], s32 offset:8 ; 4-byte Folded Reload
	buffer_load_dword a50, off, s[0:3], s32 offset:12 ; 4-byte Folded Reload
	;; [unrolled: 1-line block ×35, first 2 shown]
	v_readlane_b32 s30, v63, 9
	v_readlane_b32 s31, v63, 10
	;; [unrolled: 1-line block ×11, first 2 shown]
	s_or_saveexec_b64 s[4:5], -1
	buffer_load_dword v63, off, s[0:3], s32 offset:156 ; 4-byte Folded Reload
	s_mov_b64 exec, s[4:5]
	s_waitcnt vmcnt(0) lgkmcnt(0)
	s_setpc_b64 s[30:31]
.Lfunc_end335:
	.size	_ZN4vllm22paged_attention_kernelI14__hip_bfloat16hLi256ELi8ELi128ELNS_18Fp8KVCacheDataTypeE1ELb1ELi512EEEvPfS3_PT_PKS4_PKT0_SA_ifPKiSC_iPKfiiiSE_SE_iiiii, .Lfunc_end335-_ZN4vllm22paged_attention_kernelI14__hip_bfloat16hLi256ELi8ELi128ELNS_18Fp8KVCacheDataTypeE1ELb1ELi512EEEvPfS3_PT_PKS4_PKT0_SA_ifPKiSC_iPKfiiiSE_SE_iiiii
                                        ; -- End function
	.section	.AMDGPU.csdata,"",@progbits
; Function info:
; codeLenInByte = 28792
; NumSgprs: 47
; NumVgprs: 64
; NumAgprs: 52
; TotalNumVgprs: 116
; ScratchSize: 164
; MemoryBound: 0
	.section	.text._ZN4vllm25paged_attention_v2_kernelI14__hip_bfloat16hLi256ELi8ELi128ELNS_18Fp8KVCacheDataTypeE1ELb1ELi512EEEvPfS3_PT_PKS4_PKT0_SA_ifPKiSC_iPKfiiiSE_SE_iiiii,"axG",@progbits,_ZN4vllm25paged_attention_v2_kernelI14__hip_bfloat16hLi256ELi8ELi128ELNS_18Fp8KVCacheDataTypeE1ELb1ELi512EEEvPfS3_PT_PKS4_PKT0_SA_ifPKiSC_iPKfiiiSE_SE_iiiii,comdat
	.protected	_ZN4vllm25paged_attention_v2_kernelI14__hip_bfloat16hLi256ELi8ELi128ELNS_18Fp8KVCacheDataTypeE1ELb1ELi512EEEvPfS3_PT_PKS4_PKT0_SA_ifPKiSC_iPKfiiiSE_SE_iiiii ; -- Begin function _ZN4vllm25paged_attention_v2_kernelI14__hip_bfloat16hLi256ELi8ELi128ELNS_18Fp8KVCacheDataTypeE1ELb1ELi512EEEvPfS3_PT_PKS4_PKT0_SA_ifPKiSC_iPKfiiiSE_SE_iiiii
	.globl	_ZN4vllm25paged_attention_v2_kernelI14__hip_bfloat16hLi256ELi8ELi128ELNS_18Fp8KVCacheDataTypeE1ELb1ELi512EEEvPfS3_PT_PKS4_PKT0_SA_ifPKiSC_iPKfiiiSE_SE_iiiii
	.p2align	8
	.type	_ZN4vllm25paged_attention_v2_kernelI14__hip_bfloat16hLi256ELi8ELi128ELNS_18Fp8KVCacheDataTypeE1ELb1ELi512EEEvPfS3_PT_PKS4_PKT0_SA_ifPKiSC_iPKfiiiSE_SE_iiiii,@function
_ZN4vllm25paged_attention_v2_kernelI14__hip_bfloat16hLi256ELi8ELi128ELNS_18Fp8KVCacheDataTypeE1ELb1ELi512EEEvPfS3_PT_PKS4_PKT0_SA_ifPKiSC_iPKfiiiSE_SE_iiiii: ; @_ZN4vllm25paged_attention_v2_kernelI14__hip_bfloat16hLi256ELi8ELi128ELNS_18Fp8KVCacheDataTypeE1ELb1ELi512EEEvPfS3_PT_PKS4_PKT0_SA_ifPKiSC_iPKfiiiSE_SE_iiiii
; %bb.0:
	s_add_u32 flat_scratch_lo, s6, s11
	s_addc_u32 flat_scratch_hi, s7, 0
	s_add_u32 s0, s0, s11
	s_mov_b32 s12, s8
	s_load_dwordx8 s[24:31], s[4:5], 0x0
	s_load_dwordx8 s[16:23], s[4:5], 0x20
	s_load_dwordx2 s[6:7], s[4:5], 0x40
	s_load_dwordx4 s[44:47], s[4:5], 0x78
	s_load_dwordx2 s[34:35], s[4:5], 0x50
	s_load_dword s11, s[4:5], 0x48
	s_load_dword s8, s[4:5], 0x88
	s_load_dwordx8 s[36:43], s[4:5], 0x58
	s_mov_b32 s32, 0
	s_addc_u32 s1, s1, 0
	s_waitcnt lgkmcnt(0)
	v_mov_b32_e32 v1, s47
	buffer_store_dword v1, off, s[0:3], s32
	v_mov_b32_e32 v1, s8
	s_add_u32 s8, s4, 0x90
	s_mov_b32 s13, s9
	buffer_store_dword v1, off, s[0:3], s32 offset:4
	s_addc_u32 s9, s5, 0
	s_mov_b32 s14, s10
	s_mov_b32 s15, 21
	v_mov_b32_e32 v31, v0
	v_mov_b32_e32 v0, s24
	;; [unrolled: 1-line block ×32, first 2 shown]
	s_getpc_b64 s[4:5]
	s_add_u32 s4, s4, _ZN4vllm22paged_attention_kernelI14__hip_bfloat16hLi256ELi8ELi128ELNS_18Fp8KVCacheDataTypeE1ELb1ELi512EEEvPfS3_PT_PKS4_PKT0_SA_ifPKiSC_iPKfiiiSE_SE_iiiii@rel32@lo+4
	s_addc_u32 s5, s5, _ZN4vllm22paged_attention_kernelI14__hip_bfloat16hLi256ELi8ELi128ELNS_18Fp8KVCacheDataTypeE1ELb1ELi512EEEvPfS3_PT_PKS4_PKT0_SA_ifPKiSC_iPKfiiiSE_SE_iiiii@rel32@hi+12
	s_swappc_b64 s[30:31], s[4:5]
	s_endpgm
	.section	.rodata,"a",@progbits
	.p2align	6, 0x0
	.amdhsa_kernel _ZN4vllm25paged_attention_v2_kernelI14__hip_bfloat16hLi256ELi8ELi128ELNS_18Fp8KVCacheDataTypeE1ELb1ELi512EEEvPfS3_PT_PKS4_PKT0_SA_ifPKiSC_iPKfiiiSE_SE_iiiii
		.amdhsa_group_segment_fixed_size 528
		.amdhsa_private_segment_fixed_size 164
		.amdhsa_kernarg_size 400
		.amdhsa_user_sgpr_count 8
		.amdhsa_user_sgpr_private_segment_buffer 1
		.amdhsa_user_sgpr_dispatch_ptr 0
		.amdhsa_user_sgpr_queue_ptr 0
		.amdhsa_user_sgpr_kernarg_segment_ptr 1
		.amdhsa_user_sgpr_dispatch_id 0
		.amdhsa_user_sgpr_flat_scratch_init 1
		.amdhsa_user_sgpr_kernarg_preload_length 0
		.amdhsa_user_sgpr_kernarg_preload_offset 0
		.amdhsa_user_sgpr_private_segment_size 0
		.amdhsa_uses_dynamic_stack 0
		.amdhsa_system_sgpr_private_segment_wavefront_offset 1
		.amdhsa_system_sgpr_workgroup_id_x 1
		.amdhsa_system_sgpr_workgroup_id_y 1
		.amdhsa_system_sgpr_workgroup_id_z 1
		.amdhsa_system_sgpr_workgroup_info 0
		.amdhsa_system_vgpr_workitem_id 0
		.amdhsa_next_free_vgpr 116
		.amdhsa_next_free_sgpr 48
		.amdhsa_accum_offset 64
		.amdhsa_reserve_vcc 1
		.amdhsa_reserve_flat_scratch 1
		.amdhsa_float_round_mode_32 0
		.amdhsa_float_round_mode_16_64 0
		.amdhsa_float_denorm_mode_32 3
		.amdhsa_float_denorm_mode_16_64 3
		.amdhsa_dx10_clamp 1
		.amdhsa_ieee_mode 1
		.amdhsa_fp16_overflow 0
		.amdhsa_tg_split 0
		.amdhsa_exception_fp_ieee_invalid_op 0
		.amdhsa_exception_fp_denorm_src 0
		.amdhsa_exception_fp_ieee_div_zero 0
		.amdhsa_exception_fp_ieee_overflow 0
		.amdhsa_exception_fp_ieee_underflow 0
		.amdhsa_exception_fp_ieee_inexact 0
		.amdhsa_exception_int_div_zero 0
	.end_amdhsa_kernel
	.section	.text._ZN4vllm25paged_attention_v2_kernelI14__hip_bfloat16hLi256ELi8ELi128ELNS_18Fp8KVCacheDataTypeE1ELb1ELi512EEEvPfS3_PT_PKS4_PKT0_SA_ifPKiSC_iPKfiiiSE_SE_iiiii,"axG",@progbits,_ZN4vllm25paged_attention_v2_kernelI14__hip_bfloat16hLi256ELi8ELi128ELNS_18Fp8KVCacheDataTypeE1ELb1ELi512EEEvPfS3_PT_PKS4_PKT0_SA_ifPKiSC_iPKfiiiSE_SE_iiiii,comdat
.Lfunc_end336:
	.size	_ZN4vllm25paged_attention_v2_kernelI14__hip_bfloat16hLi256ELi8ELi128ELNS_18Fp8KVCacheDataTypeE1ELb1ELi512EEEvPfS3_PT_PKS4_PKT0_SA_ifPKiSC_iPKfiiiSE_SE_iiiii, .Lfunc_end336-_ZN4vllm25paged_attention_v2_kernelI14__hip_bfloat16hLi256ELi8ELi128ELNS_18Fp8KVCacheDataTypeE1ELb1ELi512EEEvPfS3_PT_PKS4_PKT0_SA_ifPKiSC_iPKfiiiSE_SE_iiiii
                                        ; -- End function
	.section	.AMDGPU.csdata,"",@progbits
; Kernel info:
; codeLenInByte = 296
; NumSgprs: 54
; NumVgprs: 64
; NumAgprs: 52
; TotalNumVgprs: 116
; ScratchSize: 164
; MemoryBound: 0
; FloatMode: 240
; IeeeMode: 1
; LDSByteSize: 528 bytes/workgroup (compile time only)
; SGPRBlocks: 6
; VGPRBlocks: 14
; NumSGPRsForWavesPerEU: 54
; NumVGPRsForWavesPerEU: 116
; AccumOffset: 64
; Occupancy: 4
; WaveLimiterHint : 1
; COMPUTE_PGM_RSRC2:SCRATCH_EN: 1
; COMPUTE_PGM_RSRC2:USER_SGPR: 8
; COMPUTE_PGM_RSRC2:TRAP_HANDLER: 0
; COMPUTE_PGM_RSRC2:TGID_X_EN: 1
; COMPUTE_PGM_RSRC2:TGID_Y_EN: 1
; COMPUTE_PGM_RSRC2:TGID_Z_EN: 1
; COMPUTE_PGM_RSRC2:TIDIG_COMP_CNT: 0
; COMPUTE_PGM_RSRC3_GFX90A:ACCUM_OFFSET: 15
; COMPUTE_PGM_RSRC3_GFX90A:TG_SPLIT: 0
	.section	.text._ZN4vllm25paged_attention_v2_kernelI14__hip_bfloat16hLi32ELi8ELi128ELNS_18Fp8KVCacheDataTypeE1ELb0ELi512EEEvPfS3_PT_PKS4_PKT0_SA_ifPKiSC_iPKfiiiSE_SE_iiiii,"axG",@progbits,_ZN4vllm25paged_attention_v2_kernelI14__hip_bfloat16hLi32ELi8ELi128ELNS_18Fp8KVCacheDataTypeE1ELb0ELi512EEEvPfS3_PT_PKS4_PKT0_SA_ifPKiSC_iPKfiiiSE_SE_iiiii,comdat
	.protected	_ZN4vllm25paged_attention_v2_kernelI14__hip_bfloat16hLi32ELi8ELi128ELNS_18Fp8KVCacheDataTypeE1ELb0ELi512EEEvPfS3_PT_PKS4_PKT0_SA_ifPKiSC_iPKfiiiSE_SE_iiiii ; -- Begin function _ZN4vllm25paged_attention_v2_kernelI14__hip_bfloat16hLi32ELi8ELi128ELNS_18Fp8KVCacheDataTypeE1ELb0ELi512EEEvPfS3_PT_PKS4_PKT0_SA_ifPKiSC_iPKfiiiSE_SE_iiiii
	.globl	_ZN4vllm25paged_attention_v2_kernelI14__hip_bfloat16hLi32ELi8ELi128ELNS_18Fp8KVCacheDataTypeE1ELb0ELi512EEEvPfS3_PT_PKS4_PKT0_SA_ifPKiSC_iPKfiiiSE_SE_iiiii
	.p2align	8
	.type	_ZN4vllm25paged_attention_v2_kernelI14__hip_bfloat16hLi32ELi8ELi128ELNS_18Fp8KVCacheDataTypeE1ELb0ELi512EEEvPfS3_PT_PKS4_PKT0_SA_ifPKiSC_iPKfiiiSE_SE_iiiii,@function
_ZN4vllm25paged_attention_v2_kernelI14__hip_bfloat16hLi32ELi8ELi128ELNS_18Fp8KVCacheDataTypeE1ELb0ELi512EEEvPfS3_PT_PKS4_PKT0_SA_ifPKiSC_iPKfiiiSE_SE_iiiii: ; @_ZN4vllm25paged_attention_v2_kernelI14__hip_bfloat16hLi32ELi8ELi128ELNS_18Fp8KVCacheDataTypeE1ELb0ELi512EEEvPfS3_PT_PKS4_PKT0_SA_ifPKiSC_iPKfiiiSE_SE_iiiii
; %bb.0:
	s_load_dwordx2 s[0:1], s[4:5], 0x40
	s_mov_b32 s28, s7
	s_ashr_i32 s29, s7, 31
	s_lshl_b64 s[2:3], s[28:29], 2
	s_waitcnt lgkmcnt(0)
	s_add_u32 s0, s0, s2
	s_addc_u32 s1, s1, s3
	s_load_dword s29, s[0:1], 0x0
	s_lshl_b32 s44, s8, 9
	s_waitcnt lgkmcnt(0)
	s_cmp_ge_i32 s44, s29
	s_cbranch_scc1 .LBB337_242
; %bb.1:
	s_load_dword s9, s[4:5], 0x90
	s_load_dwordx2 s[10:11], s[4:5], 0x30
	s_mov_b32 s45, 0
	s_waitcnt lgkmcnt(0)
	s_abs_i32 s2, s9
	s_abs_i32 s0, s10
	v_cvt_f32_u32_e32 v1, s0
	s_sub_i32 s3, 0, s0
	s_xor_b32 s1, s9, s10
	s_ashr_i32 s1, s1, 31
	v_rcp_iflag_f32_e32 v1, v1
	v_mul_f32_e32 v1, 0x4f7ffffe, v1
	v_cvt_u32_f32_e32 v1, v1
	v_readfirstlane_b32 s7, v1
	s_mul_i32 s3, s3, s7
	s_mul_hi_u32 s3, s7, s3
	s_add_i32 s7, s7, s3
	s_mul_hi_u32 s3, s2, s7
	s_mul_i32 s7, s3, s0
	s_sub_i32 s2, s2, s7
	s_add_i32 s10, s3, 1
	s_sub_i32 s7, s2, s0
	s_cmp_ge_u32 s2, s0
	s_cselect_b32 s3, s10, s3
	s_cselect_b32 s2, s7, s2
	s_add_i32 s7, s3, 1
	s_cmp_ge_u32 s2, s0
	s_cselect_b32 s0, s7, s3
	s_xor_b32 s0, s0, s1
	s_sub_i32 s10, s0, s1
	s_abs_i32 s2, s10
	v_cvt_f32_u32_e32 v1, s2
	s_load_dwordx2 s[0:1], s[4:5], 0x50
	s_sub_i32 s7, 0, s2
	s_abs_i32 s3, s6
	v_rcp_iflag_f32_e32 v1, v1
	v_mul_f32_e32 v1, 0x4f7ffffe, v1
	v_cvt_u32_f32_e32 v1, v1
	v_readfirstlane_b32 s12, v1
	s_mul_i32 s7, s7, s12
	s_mul_hi_u32 s7, s12, s7
	s_add_i32 s12, s12, s7
	s_waitcnt lgkmcnt(0)
	s_cmp_eq_u64 s[0:1], 0
	s_mul_hi_u32 s12, s3, s12
	s_cbranch_scc1 .LBB337_3
; %bb.2:
	s_ashr_i32 s7, s6, 31
	s_lshl_b64 s[14:15], s[6:7], 2
	s_add_u32 s0, s0, s14
	s_addc_u32 s1, s1, s15
	s_load_dword s45, s[0:1], 0x0
.LBB337_3:
	s_load_dwordx4 s[16:19], s[4:5], 0x58
	s_ashr_i32 s7, s6, 31
	s_ashr_i32 s13, s10, 31
	v_and_b32_e32 v2, 7, v0
	s_lshl_b32 s24, s6, 5
	v_cmp_gt_u32_e32 vcc, 32, v0
	s_and_saveexec_b64 s[0:1], vcc
	s_cbranch_execz .LBB337_5
; %bb.4:
	s_load_dwordx2 s[14:15], s[4:5], 0x18
	s_waitcnt lgkmcnt(0)
	s_mul_i32 s20, s28, s16
	s_ashr_i32 s21, s20, 31
	s_lshl_b64 s[20:21], s[20:21], 1
	v_lshlrev_b32_e32 v1, 1, v0
	s_add_u32 s10, s14, s20
	s_addc_u32 s16, s15, s21
	s_ashr_i32 s25, s24, 31
	s_lshl_b64 s[14:15], s[24:25], 1
	s_add_u32 s14, s10, s14
	s_addc_u32 s15, s16, s15
	global_load_ushort v1, v1, s[14:15]
	v_lshrrev_b32_e32 v3, 2, v0
	v_and_b32_e32 v3, 0xfe, v3
	v_lshl_add_u32 v3, v2, 3, v3
	s_waitcnt vmcnt(0)
	ds_write_b16 v3, v1
.LBB337_5:
	s_or_b64 exec, exec, s[0:1]
	s_add_i32 s0, s29, 7
	s_ashr_i32 s1, s0, 31
	s_lshr_b32 s1, s1, 29
	s_add_i32 s0, s0, s1
	s_lshl_b32 s10, s8, 6
	s_mul_i32 s1, s12, s2
	s_waitcnt lgkmcnt(0)
	s_ashr_i32 s16, s0, 3
	s_add_i32 s0, s10, 64
	s_sub_i32 s1, s3, s1
	s_min_i32 s33, s0, s16
	s_xor_b32 s0, s7, s13
	s_add_i32 s3, s12, 1
	s_sub_i32 s7, s1, s2
	s_cmp_ge_u32 s1, s2
	s_cselect_b32 s3, s3, s12
	s_cselect_b32 s1, s7, s1
	s_add_i32 s7, s3, 1
	s_cmp_ge_u32 s1, s2
	s_load_dwordx2 s[30:31], s[4:5], 0x38
	s_load_dword s2, s[4:5], 0x48
	v_lshrrev_b32_e32 v16, 6, v0
	s_cselect_b32 s1, s7, s3
	s_xor_b32 s1, s1, s0
	v_or_b32_e32 v10, s10, v16
	s_waitcnt lgkmcnt(0)
	s_mul_i32 s34, s28, s2
	s_sub_i32 s7, s1, s0
	s_ashr_i32 s35, s34, 31
	v_cmp_gt_i32_e64 s[0:1], s33, v10
	v_cmp_le_i32_e32 vcc, s33, v10
	v_mbcnt_lo_u32_b32 v6, -1, 0
	s_barrier
	s_waitcnt lgkmcnt(0)
                                        ; implicit-def: $sgpr19
                                        ; implicit-def: $vgpr3
                                        ; implicit-def: $vgpr13
	s_and_saveexec_b64 s[2:3], vcc
	s_xor_b64 s[2:3], exec, s[2:3]
; %bb.6:
	v_mbcnt_hi_u32_b32 v3, -1, v6
	v_and_b32_e32 v1, 64, v3
	v_add_u32_e32 v13, 64, v1
	s_mov_b32 s19, 0xff7fffff
                                        ; implicit-def: $vgpr2
                                        ; implicit-def: $vgpr6
; %bb.7:
	s_or_saveexec_b64 s[38:39], s[2:3]
	s_load_dwordx4 s[20:23], s[4:5], 0x0
	s_load_dwordx2 s[26:27], s[4:5], 0x10
	s_load_dword s25, s[4:5], 0x98
	s_load_dwordx2 s[36:37], s[4:5], 0x28
	s_load_dwordx4 s[12:15], s[4:5], 0x68
	v_mov_b32_e32 v20, s19
	s_mul_i32 s7, s7, s18
	v_ashrrev_i32_e32 v11, 31, v10
	v_lshlrev_b32_e32 v17, 3, v16
	s_xor_b64 exec, exec, s[38:39]
	s_cbranch_execz .LBB337_53
; %bb.8:
	s_load_dwordx2 s[2:3], s[4:5], 0x20
	v_bfe_u32 v7, v0, 3, 3
	s_ashr_i32 s4, s7, 31
	v_lshlrev_b32_e32 v3, 4, v7
	v_lshlrev_b32_e32 v4, 3, v2
	s_waitcnt lgkmcnt(0)
	s_add_u32 s2, s2, s7
	s_addc_u32 s3, s3, s4
	ds_read_b64 v[8:9], v4
	v_add_co_u32_e32 v4, vcc, s2, v3
	v_mbcnt_hi_u32_b32 v3, -1, v6
	v_mov_b32_e32 v5, s3
	v_and_b32_e32 v6, 64, v3
	v_addc_co_u32_e32 v5, vcc, 0, v5, vcc
	v_add_u32_e32 v13, 64, v6
	v_xor_b32_e32 v6, 4, v3
	v_cmp_lt_i32_e32 vcc, v6, v13
	v_cndmask_b32_e32 v6, v3, v6, vcc
	v_lshlrev_b32_e32 v21, 2, v6
	v_xor_b32_e32 v6, 2, v3
	v_cmp_lt_i32_e32 vcc, v6, v13
	v_cndmask_b32_e32 v6, v3, v6, vcc
	v_lshlrev_b32_e32 v22, 2, v6
	v_xor_b32_e32 v6, 1, v3
	v_cmp_lt_i32_e32 vcc, v6, v13
	v_cndmask_b32_e32 v6, v3, v6, vcc
	v_lshlrev_b32_e32 v23, 2, v6
	s_load_dword s47, s[12:13], 0x0
	s_sub_i32 s48, 1, s29
	v_lshlrev_b32_e32 v6, 2, v7
	s_lshl_b64 s[4:5], s[34:35], 2
	v_lshl_or_b32 v6, v16, 5, v6
	s_add_u32 s4, s30, s4
	v_add3_u32 v24, s44, v17, v7
	v_add_u32_e32 v25, 0x50, v6
	v_lshlrev_b64 v[6:7], 2, v[10:11]
	s_addc_u32 s5, s31, s5
	s_waitcnt lgkmcnt(0)
	v_lshlrev_b32_e32 v14, 16, v8
	v_and_b32_e32 v15, 0xffff0000, v8
	v_mov_b32_e32 v8, s5
	v_add_co_u32_e64 v6, s[4:5], s4, v6
	s_mov_b32 s46, s17
	v_mov_b32_e32 v1, 0
	v_lshlrev_b32_e32 v18, 16, v9
	v_and_b32_e32 v19, 0xffff0000, v9
	v_cmp_eq_u32_e32 vcc, 0, v2
	v_cmp_neq_f32_e64 s[2:3], s45, 0
	v_addc_co_u32_e64 v7, s[4:5], v8, v7, s[4:5]
	s_mov_b64 s[12:13], 0
	v_mov_b32_e32 v20, 0xff7fffff
	s_movk_i32 s49, 0x80
	s_movk_i32 s50, 0x7f
	s_mov_b32 s51, 0x7f800000
	s_movk_i32 s52, 0x7fff
	v_bfrev_b32_e32 v26, 60
	v_mov_b32_e32 v27, v10
	s_branch .LBB337_10
.LBB337_9:                              ;   in Loop: Header=BB337_10 Depth=1
	s_or_b64 exec, exec, s[18:19]
	v_add_u32_e32 v27, 2, v27
	v_cmp_le_i32_e64 s[4:5], s33, v27
	s_or_b64 s[12:13], s[4:5], s[12:13]
	v_add_co_u32_e64 v6, s[4:5], 8, v6
	v_add_u32_e32 v24, 16, v24
	v_add_u32_e32 v25, 64, v25
	v_addc_co_u32_e64 v7, s[4:5], 0, v7, s[4:5]
	s_andn2_b64 exec, exec, s[12:13]
	s_cbranch_execz .LBB337_52
.LBB337_10:                             ; =>This Inner Loop Header: Depth=1
	global_load_dword v8, v[6:7], off
	v_mov_b32_e32 v29, 0
	s_waitcnt vmcnt(0) lgkmcnt(0)
	v_mad_i64_i32 v[8:9], s[4:5], v8, s46, v[4:5]
	v_add_co_u32_e64 v8, s[4:5], v8, v2
	v_addc_co_u32_e64 v9, s[4:5], 0, v9, s[4:5]
	global_load_ubyte v28, v[8:9], off
	s_waitcnt vmcnt(0)
	v_cmp_ne_u16_e64 s[4:5], 0, v28
	s_and_saveexec_b64 s[18:19], s[4:5]
	s_cbranch_execz .LBB337_16
; %bb.11:                               ;   in Loop: Header=BB337_10 Depth=1
	v_cmp_ne_u16_e64 s[4:5], s49, v28
	v_bfrev_b32_e32 v29, 1
	s_and_saveexec_b64 s[40:41], s[4:5]
	s_cbranch_execz .LBB337_15
; %bb.12:                               ;   in Loop: Header=BB337_10 Depth=1
	v_and_b32_e32 v12, 0xffff, v28
	v_and_b32_e32 v30, 0x7f, v12
	v_cmp_ne_u32_e64 s[4:5], s50, v30
	v_mov_b32_e32 v29, 0x7f800001
	s_and_saveexec_b64 s[42:43], s[4:5]
	s_cbranch_execz .LBB337_14
; %bb.13:                               ;   in Loop: Header=BB337_10 Depth=1
	v_and_b32_e32 v29, 7, v12
	v_ffbh_u32_e32 v32, v29
	v_min_u32_e32 v34, 32, v32
	v_subrev_u32_e32 v32, 28, v34
	v_lshlrev_b64 v[32:33], v32, v[12:13]
	v_lshrrev_b32_e32 v31, 3, v30
	v_sub_u32_e32 v12, 29, v34
	v_and_b32_e32 v32, 7, v32
	v_cmp_gt_u32_e64 s[4:5], 8, v30
	v_cndmask_b32_e64 v12, v31, v12, s[4:5]
	v_cndmask_b32_e64 v29, v29, v32, s[4:5]
	v_lshlrev_b32_e32 v28, 24, v28
	v_lshlrev_b32_e32 v29, 20, v29
	v_and_b32_e32 v28, 0x80000000, v28
	v_lshl_add_u32 v12, v12, 23, v26
	v_or3_b32 v29, v28, v12, v29
.LBB337_14:                             ;   in Loop: Header=BB337_10 Depth=1
	s_or_b64 exec, exec, s[42:43]
.LBB337_15:                             ;   in Loop: Header=BB337_10 Depth=1
	s_or_b64 exec, exec, s[40:41]
.LBB337_16:                             ;   in Loop: Header=BB337_10 Depth=1
	s_or_b64 exec, exec, s[18:19]
	v_mul_f32_e32 v12, s47, v29
	v_and_b32_e32 v28, 0x7f800000, v12
	v_cmp_ne_u32_e64 s[4:5], s51, v28
                                        ; implicit-def: $vgpr28
	s_and_saveexec_b64 s[18:19], s[4:5]
	s_xor_b64 s[4:5], exec, s[18:19]
; %bb.17:                               ;   in Loop: Header=BB337_10 Depth=1
	v_bfe_u32 v28, v12, 16, 1
	v_add3_u32 v28, v12, v28, s52
                                        ; implicit-def: $vgpr12
; %bb.18:                               ;   in Loop: Header=BB337_10 Depth=1
	s_andn2_saveexec_b64 s[18:19], s[4:5]
; %bb.19:                               ;   in Loop: Header=BB337_10 Depth=1
	v_or_b32_e32 v28, 0x10000, v12
	v_cmp_eq_u32_sdwa s[4:5], v12, v1 src0_sel:WORD_0 src1_sel:DWORD
	v_cndmask_b32_e64 v28, v28, v12, s[4:5]
; %bb.20:                               ;   in Loop: Header=BB337_10 Depth=1
	s_or_b64 exec, exec, s[18:19]
	global_load_ubyte v29, v[8:9], off offset:8
	v_mov_b32_e32 v30, 0
	s_waitcnt vmcnt(0)
	v_cmp_ne_u16_e64 s[4:5], 0, v29
	s_and_saveexec_b64 s[18:19], s[4:5]
	s_cbranch_execz .LBB337_26
; %bb.21:                               ;   in Loop: Header=BB337_10 Depth=1
	v_cmp_ne_u16_e64 s[4:5], s49, v29
	v_bfrev_b32_e32 v30, 1
	s_and_saveexec_b64 s[40:41], s[4:5]
	s_cbranch_execz .LBB337_25
; %bb.22:                               ;   in Loop: Header=BB337_10 Depth=1
	v_and_b32_e32 v12, 0xffff, v29
	v_and_b32_e32 v31, 0x7f, v12
	v_cmp_ne_u32_e64 s[4:5], s50, v31
	v_mov_b32_e32 v30, 0x7f800001
	s_and_saveexec_b64 s[42:43], s[4:5]
	s_cbranch_execz .LBB337_24
; %bb.23:                               ;   in Loop: Header=BB337_10 Depth=1
	v_and_b32_e32 v30, 7, v12
	v_ffbh_u32_e32 v32, v30
	v_min_u32_e32 v35, 32, v32
	v_subrev_u32_e32 v32, 28, v35
	v_lshlrev_b64 v[32:33], v32, v[12:13]
	v_lshrrev_b32_e32 v34, 3, v31
	v_sub_u32_e32 v12, 29, v35
	v_and_b32_e32 v32, 7, v32
	v_cmp_gt_u32_e64 s[4:5], 8, v31
	v_cndmask_b32_e64 v12, v34, v12, s[4:5]
	v_cndmask_b32_e64 v30, v30, v32, s[4:5]
	v_lshlrev_b32_e32 v29, 24, v29
	v_lshlrev_b32_e32 v30, 20, v30
	v_and_b32_e32 v29, 0x80000000, v29
	v_lshl_add_u32 v12, v12, 23, v26
	v_or3_b32 v30, v29, v12, v30
.LBB337_24:                             ;   in Loop: Header=BB337_10 Depth=1
	s_or_b64 exec, exec, s[42:43]
.LBB337_25:                             ;   in Loop: Header=BB337_10 Depth=1
	s_or_b64 exec, exec, s[40:41]
.LBB337_26:                             ;   in Loop: Header=BB337_10 Depth=1
	s_or_b64 exec, exec, s[18:19]
	v_mul_f32_e32 v12, s47, v30
	v_and_b32_e32 v29, 0x7f800000, v12
	v_cmp_ne_u32_e64 s[4:5], s51, v29
                                        ; implicit-def: $vgpr29
	s_and_saveexec_b64 s[18:19], s[4:5]
	s_xor_b64 s[4:5], exec, s[18:19]
; %bb.27:                               ;   in Loop: Header=BB337_10 Depth=1
	v_bfe_u32 v29, v12, 16, 1
	v_add3_u32 v29, v12, v29, s52
                                        ; implicit-def: $vgpr12
; %bb.28:                               ;   in Loop: Header=BB337_10 Depth=1
	s_andn2_saveexec_b64 s[18:19], s[4:5]
; %bb.29:                               ;   in Loop: Header=BB337_10 Depth=1
	v_or_b32_e32 v29, 0x10000, v12
	v_cmp_eq_u32_sdwa s[4:5], v12, v1 src0_sel:WORD_0 src1_sel:DWORD
	v_cndmask_b32_e64 v29, v29, v12, s[4:5]
; %bb.30:                               ;   in Loop: Header=BB337_10 Depth=1
	s_or_b64 exec, exec, s[18:19]
	global_load_ubyte v30, v[8:9], off offset:128
	v_mov_b32_e32 v31, 0
	s_waitcnt vmcnt(0)
	v_cmp_ne_u16_e64 s[4:5], 0, v30
	s_and_saveexec_b64 s[18:19], s[4:5]
	s_cbranch_execz .LBB337_36
; %bb.31:                               ;   in Loop: Header=BB337_10 Depth=1
	v_cmp_ne_u16_e64 s[4:5], s49, v30
	v_bfrev_b32_e32 v31, 1
	s_and_saveexec_b64 s[40:41], s[4:5]
	s_cbranch_execz .LBB337_35
; %bb.32:                               ;   in Loop: Header=BB337_10 Depth=1
	v_and_b32_e32 v12, 0xffff, v30
	v_and_b32_e32 v32, 0x7f, v12
	v_cmp_ne_u32_e64 s[4:5], s50, v32
	v_mov_b32_e32 v31, 0x7f800001
	s_and_saveexec_b64 s[42:43], s[4:5]
	s_cbranch_execz .LBB337_34
; %bb.33:                               ;   in Loop: Header=BB337_10 Depth=1
	v_and_b32_e32 v31, 7, v12
	v_ffbh_u32_e32 v34, v31
	v_min_u32_e32 v36, 32, v34
	v_subrev_u32_e32 v34, 28, v36
	v_lshlrev_b64 v[34:35], v34, v[12:13]
	v_lshrrev_b32_e32 v33, 3, v32
	v_sub_u32_e32 v12, 29, v36
	v_and_b32_e32 v34, 7, v34
	v_cmp_gt_u32_e64 s[4:5], 8, v32
	v_cndmask_b32_e64 v12, v33, v12, s[4:5]
	v_cndmask_b32_e64 v31, v31, v34, s[4:5]
	v_lshlrev_b32_e32 v30, 24, v30
	v_lshlrev_b32_e32 v31, 20, v31
	v_and_b32_e32 v30, 0x80000000, v30
	v_lshl_add_u32 v12, v12, 23, v26
	v_or3_b32 v31, v30, v12, v31
.LBB337_34:                             ;   in Loop: Header=BB337_10 Depth=1
	s_or_b64 exec, exec, s[42:43]
.LBB337_35:                             ;   in Loop: Header=BB337_10 Depth=1
	s_or_b64 exec, exec, s[40:41]
.LBB337_36:                             ;   in Loop: Header=BB337_10 Depth=1
	s_or_b64 exec, exec, s[18:19]
	v_mul_f32_e32 v30, s47, v31
	v_and_b32_e32 v12, 0x7f800000, v30
	v_cmp_ne_u32_e64 s[4:5], s51, v12
                                        ; implicit-def: $vgpr12
	s_and_saveexec_b64 s[18:19], s[4:5]
	s_xor_b64 s[4:5], exec, s[18:19]
; %bb.37:                               ;   in Loop: Header=BB337_10 Depth=1
	v_bfe_u32 v12, v30, 16, 1
	v_add3_u32 v12, v30, v12, s52
                                        ; implicit-def: $vgpr30
; %bb.38:                               ;   in Loop: Header=BB337_10 Depth=1
	s_andn2_saveexec_b64 s[18:19], s[4:5]
; %bb.39:                               ;   in Loop: Header=BB337_10 Depth=1
	v_or_b32_e32 v12, 0x10000, v30
	v_cmp_eq_u32_sdwa s[4:5], v30, v1 src0_sel:WORD_0 src1_sel:DWORD
	v_cndmask_b32_e64 v12, v12, v30, s[4:5]
; %bb.40:                               ;   in Loop: Header=BB337_10 Depth=1
	s_or_b64 exec, exec, s[18:19]
	global_load_ubyte v9, v[8:9], off offset:136
	v_mov_b32_e32 v30, 0
	s_waitcnt vmcnt(0)
	v_cmp_ne_u16_e64 s[4:5], 0, v9
	s_and_saveexec_b64 s[18:19], s[4:5]
	s_cbranch_execz .LBB337_46
; %bb.41:                               ;   in Loop: Header=BB337_10 Depth=1
	v_cmp_ne_u16_e64 s[4:5], s49, v9
	v_bfrev_b32_e32 v30, 1
	s_and_saveexec_b64 s[40:41], s[4:5]
	s_cbranch_execz .LBB337_45
; %bb.42:                               ;   in Loop: Header=BB337_10 Depth=1
	v_and_b32_e32 v8, 0xffff, v9
	v_and_b32_e32 v31, 0x7f, v8
	v_cmp_ne_u32_e64 s[4:5], s50, v31
	v_mov_b32_e32 v30, 0x7f800001
	s_and_saveexec_b64 s[42:43], s[4:5]
	s_cbranch_execz .LBB337_44
; %bb.43:                               ;   in Loop: Header=BB337_10 Depth=1
	v_and_b32_e32 v30, 7, v8
	v_ffbh_u32_e32 v32, v30
	v_min_u32_e32 v35, 32, v32
	v_subrev_u32_e32 v32, 28, v35
	v_lshlrev_b64 v[32:33], v32, v[8:9]
	v_lshrrev_b32_e32 v34, 3, v31
	v_sub_u32_e32 v8, 29, v35
	v_and_b32_e32 v32, 7, v32
	v_cmp_gt_u32_e64 s[4:5], 8, v31
	v_cndmask_b32_e64 v8, v34, v8, s[4:5]
	v_cndmask_b32_e64 v30, v30, v32, s[4:5]
	v_lshlrev_b32_e32 v9, 24, v9
	v_lshlrev_b32_e32 v30, 20, v30
	v_and_b32_e32 v9, 0x80000000, v9
	v_lshl_add_u32 v8, v8, 23, v26
	v_or3_b32 v30, v9, v8, v30
.LBB337_44:                             ;   in Loop: Header=BB337_10 Depth=1
	s_or_b64 exec, exec, s[42:43]
.LBB337_45:                             ;   in Loop: Header=BB337_10 Depth=1
	s_or_b64 exec, exec, s[40:41]
.LBB337_46:                             ;   in Loop: Header=BB337_10 Depth=1
	s_or_b64 exec, exec, s[18:19]
	v_mul_f32_e32 v9, s47, v30
	v_and_b32_e32 v8, 0x7f800000, v9
	v_cmp_ne_u32_e64 s[4:5], s51, v8
                                        ; implicit-def: $vgpr8
	s_and_saveexec_b64 s[18:19], s[4:5]
	s_xor_b64 s[4:5], exec, s[18:19]
; %bb.47:                               ;   in Loop: Header=BB337_10 Depth=1
	v_bfe_u32 v8, v9, 16, 1
	v_add3_u32 v8, v9, v8, s52
                                        ; implicit-def: $vgpr9
; %bb.48:                               ;   in Loop: Header=BB337_10 Depth=1
	s_andn2_saveexec_b64 s[18:19], s[4:5]
; %bb.49:                               ;   in Loop: Header=BB337_10 Depth=1
	v_or_b32_e32 v8, 0x10000, v9
	v_cmp_eq_u32_sdwa s[4:5], v9, v1 src0_sel:WORD_0 src1_sel:DWORD
	v_cndmask_b32_e64 v8, v8, v9, s[4:5]
; %bb.50:                               ;   in Loop: Header=BB337_10 Depth=1
	s_or_b64 exec, exec, s[18:19]
	v_and_b32_e32 v9, 0xffff0000, v12
	v_and_b32_e32 v12, 0xffff0000, v29
	;; [unrolled: 1-line block ×3, first 2 shown]
	v_mul_f32_e32 v12, v15, v12
	v_fmac_f32_e32 v12, v14, v28
	v_and_b32_e32 v8, 0xffff0000, v8
	v_fmac_f32_e32 v12, v18, v9
	v_fmac_f32_e32 v12, v19, v8
	ds_bpermute_b32 v8, v21, v12
	s_waitcnt lgkmcnt(0)
	v_add_f32_e32 v8, v12, v8
	ds_bpermute_b32 v9, v22, v8
	s_waitcnt lgkmcnt(0)
	v_add_f32_e32 v8, v8, v9
	ds_bpermute_b32 v9, v23, v8
	s_and_saveexec_b64 s[18:19], vcc
	s_cbranch_execz .LBB337_9
; %bb.51:                               ;   in Loop: Header=BB337_10 Depth=1
	v_add_u32_e32 v12, s48, v24
	v_cvt_f32_i32_e32 v12, v12
	s_waitcnt lgkmcnt(0)
	v_add_f32_e32 v8, v8, v9
	v_cmp_gt_i32_e64 s[4:5], s29, v24
	v_max_f32_e32 v9, v20, v20
	v_mul_f32_e32 v12, s45, v12
	v_cndmask_b32_e64 v12, 0, v12, s[2:3]
	v_fmac_f32_e32 v12, s11, v8
	v_cndmask_b32_e64 v8, 0, v12, s[4:5]
	ds_write_b32 v25, v8
	v_max_f32_e32 v8, v9, v12
	v_cndmask_b32_e64 v20, v20, v8, s[4:5]
	s_branch .LBB337_9
.LBB337_52:
	s_or_b64 exec, exec, s[12:13]
.LBB337_53:
	s_or_b64 exec, exec, s[38:39]
	v_xor_b32_e32 v1, 32, v3
	v_cmp_lt_i32_e32 vcc, v1, v13
	v_cndmask_b32_e32 v1, v3, v1, vcc
	v_lshlrev_b32_e32 v5, 2, v1
	ds_bpermute_b32 v1, v5, v20
	v_xor_b32_e32 v4, 16, v3
	v_max_f32_e32 v2, v20, v20
	v_cmp_lt_i32_e32 vcc, v4, v13
	v_xor_b32_e32 v6, 8, v3
	s_waitcnt lgkmcnt(0)
	v_max_f32_e32 v1, v1, v1
	v_max_f32_e32 v1, v2, v1
	v_cndmask_b32_e32 v2, v3, v4, vcc
	v_lshlrev_b32_e32 v7, 2, v2
	ds_bpermute_b32 v2, v7, v1
	v_cmp_lt_i32_e32 vcc, v6, v13
	s_waitcnt lgkmcnt(0)
	v_max_f32_e32 v2, v2, v2
	v_max_f32_e32 v4, v1, v2
	v_cndmask_b32_e32 v1, v3, v6, vcc
	v_lshlrev_b32_e32 v8, 2, v1
	ds_bpermute_b32 v6, v8, v4
	v_and_b32_e32 v1, 63, v0
	v_cmp_eq_u32_e32 vcc, 0, v1
	v_lshlrev_b32_e32 v2, 2, v16
	s_and_saveexec_b64 s[2:3], vcc
	s_cbranch_execz .LBB337_55
; %bb.54:
	s_waitcnt lgkmcnt(0)
	v_max_f32_e32 v6, v6, v6
	v_max_f32_e32 v4, v4, v4
	;; [unrolled: 1-line block ×3, first 2 shown]
	ds_write_b32 v2, v4 offset:64
.LBB337_55:
	s_or_b64 exec, exec, s[2:3]
	v_cmp_gt_u32_e64 s[2:3], 2, v1
	v_mov_b32_e32 v4, 0xff7fffff
	s_waitcnt lgkmcnt(0)
	v_lshlrev_b32_e32 v6, 2, v1
	s_barrier
	s_and_saveexec_b64 s[4:5], s[2:3]
	s_cbranch_execz .LBB337_57
; %bb.56:
	ds_read_b32 v4, v6 offset:64
.LBB337_57:
	s_or_b64 exec, exec, s[4:5]
	v_xor_b32_e32 v9, 1, v3
	v_cmp_lt_i32_e64 s[4:5], v9, v13
	v_cndmask_b32_e64 v9, v3, v9, s[4:5]
	v_lshlrev_b32_e32 v9, 2, v9
	s_waitcnt lgkmcnt(0)
	ds_bpermute_b32 v12, v9, v4
	v_max_f32_e32 v4, v4, v4
	s_sub_i32 s4, s33, s10
	s_lshl_b32 s4, s4, 3
	s_add_i32 s4, s4, s44
	s_waitcnt lgkmcnt(0)
	v_max_f32_e32 v12, v12, v12
	v_max_f32_e32 v4, v4, v12
	v_lshlrev_b32_e32 v12, 2, v3
	v_and_b32_e32 v12, 0xffffff00, v12
	ds_bpermute_b32 v4, v12, v4
	s_min_i32 s39, s4, s29
	s_sub_i32 s38, s39, s44
	v_cmp_gt_i32_e64 s[4:5], s38, v0
	v_mov_b32_e32 v14, 0
	s_and_saveexec_b64 s[12:13], s[4:5]
	s_cbranch_execz .LBB337_61
; %bb.58:
	v_mov_b32_e32 v14, 0x50
	v_lshl_add_u32 v15, v0, 2, v14
	s_mov_b64 s[18:19], 0
	v_mov_b32_e32 v14, 0
	v_mov_b32_e32 v18, v0
.LBB337_59:                             ; =>This Inner Loop Header: Depth=1
	ds_read_b32 v19, v15
	v_add_u32_e32 v18, 0x80, v18
	v_cmp_le_i32_e64 s[10:11], s38, v18
	s_or_b64 s[18:19], s[10:11], s[18:19]
	s_waitcnt lgkmcnt(0)
	v_sub_f32_e32 v19, v19, v4
	v_mul_f32_e32 v19, 0x3fb8aa3b, v19
	v_exp_f32_e32 v19, v19
	ds_write_b32 v15, v19
	v_add_f32_e32 v14, v14, v19
	v_add_u32_e32 v15, 0x200, v15
	s_andn2_b64 exec, exec, s[18:19]
	s_cbranch_execnz .LBB337_59
; %bb.60:
	s_or_b64 exec, exec, s[18:19]
.LBB337_61:
	s_or_b64 exec, exec, s[12:13]
	ds_bpermute_b32 v5, v5, v14
	s_waitcnt lgkmcnt(0)
	v_add_f32_e32 v5, v14, v5
	ds_bpermute_b32 v7, v7, v5
	s_waitcnt lgkmcnt(0)
	v_add_f32_e32 v5, v5, v7
	ds_bpermute_b32 v7, v8, v5
	v_xor_b32_e32 v8, 4, v3
	v_cmp_lt_i32_e64 s[10:11], v8, v13
	v_cndmask_b32_e64 v8, v3, v8, s[10:11]
	v_lshlrev_b32_e32 v8, 2, v8
	s_waitcnt lgkmcnt(0)
	v_add_f32_e32 v5, v5, v7
	ds_bpermute_b32 v7, v8, v5
	v_xor_b32_e32 v8, 2, v3
	v_cmp_lt_i32_e64 s[10:11], v8, v13
	v_cndmask_b32_e64 v3, v3, v8, s[10:11]
	v_lshlrev_b32_e32 v3, 2, v3
	s_waitcnt lgkmcnt(0)
	v_add_f32_e32 v5, v5, v7
	ds_bpermute_b32 v3, v3, v5
	s_waitcnt lgkmcnt(0)
	v_add_f32_e32 v3, v5, v3
	ds_bpermute_b32 v5, v9, v3
	s_waitcnt lgkmcnt(0)
	v_add_f32_e32 v3, v3, v5
	s_and_saveexec_b64 s[10:11], vcc
	s_cbranch_execz .LBB337_63
; %bb.62:
	ds_write_b32 v2, v3 offset:72
.LBB337_63:
	s_or_b64 exec, exec, s[10:11]
	s_waitcnt lgkmcnt(0)
	s_barrier
	s_and_saveexec_b64 s[10:11], s[2:3]
	s_cbranch_execz .LBB337_65
; %bb.64:
	ds_read_b32 v3, v6 offset:72
.LBB337_65:
	s_or_b64 exec, exec, s[10:11]
	s_waitcnt lgkmcnt(0)
	ds_bpermute_b32 v2, v9, v3
	s_waitcnt lgkmcnt(0)
	v_add_f32_e32 v2, v3, v2
	ds_bpermute_b32 v5, v12, v2
	s_and_saveexec_b64 s[2:3], s[4:5]
	s_cbranch_execz .LBB337_78
; %bb.66:
	s_waitcnt lgkmcnt(0)
	v_add_f32_e32 v2, 0x358637bd, v5
	v_div_scale_f32 v3, s[4:5], v2, v2, 1.0
	v_rcp_f32_e32 v6, v3
	v_div_scale_f32 v7, vcc, 1.0, v2, 1.0
	s_movk_i32 s4, 0x7f
	v_fma_f32 v8, -v3, v6, 1.0
	v_fmac_f32_e32 v6, v8, v6
	v_mul_f32_e32 v8, v7, v6
	v_fma_f32 v9, -v3, v8, v7
	v_fmac_f32_e32 v8, v9, v6
	v_fma_f32 v3, -v3, v8, v7
	v_div_fmas_f32 v3, v3, v6, v8
	v_div_fixup_f32 v2, v3, v2, 1.0
	v_xad_u32 v3, v0, -1, s39
	v_subrev_u32_e32 v6, s44, v3
	v_cmp_lt_u32_e32 vcc, s4, v6
	s_mov_b64 s[10:11], -1
	v_mov_b32_e32 v3, v0
	s_and_saveexec_b64 s[4:5], vcc
	s_cbranch_execz .LBB337_75
; %bb.67:
	v_lshrrev_b32_e32 v6, 7, v6
	v_add_u32_e32 v8, -1, v6
	v_lshrrev_b32_e32 v7, 1, v8
	v_mov_b32_e32 v3, v2
	v_add_u32_e32 v7, 1, v7
	v_cmp_lt_u32_e32 vcc, 13, v8
	v_mov_b32_e32 v12, 0
	s_and_saveexec_b64 s[10:11], vcc
	s_cbranch_execz .LBB337_71
; %bb.68:
	v_mov_b32_e32 v9, 0x50
	v_and_b32_e32 v8, -8, v7
	v_lshl_add_u32 v9, v0, 2, v9
	s_mov_b32 s18, 0
	s_mov_b64 s[12:13], 0
.LBB337_69:                             ; =>This Inner Loop Header: Depth=1
	ds_read2st64_b32 v[12:13], v9 offset1:2
	ds_read2st64_b32 v[14:15], v9 offset0:4 offset1:6
	ds_read2st64_b32 v[18:19], v9 offset0:8 offset1:10
	;; [unrolled: 1-line block ×3, first 2 shown]
	v_add_u32_e32 v8, -8, v8
	s_waitcnt lgkmcnt(3)
	v_pk_mul_f32 v[12:13], v[2:3], v[12:13]
	s_waitcnt lgkmcnt(2)
	v_pk_mul_f32 v[14:15], v[2:3], v[14:15]
	ds_write2st64_b32 v9, v12, v13 offset1:2
	ds_write2st64_b32 v9, v14, v15 offset0:4 offset1:6
	ds_read2st64_b32 v[14:15], v9 offset0:16 offset1:18
	s_waitcnt lgkmcnt(4)
	v_pk_mul_f32 v[12:13], v[2:3], v[18:19]
	ds_write2st64_b32 v9, v12, v13 offset0:8 offset1:10
	s_waitcnt lgkmcnt(4)
	v_pk_mul_f32 v[12:13], v[2:3], v[20:21]
	ds_write2st64_b32 v9, v12, v13 offset0:12 offset1:14
	ds_read2st64_b32 v[12:13], v9 offset0:20 offset1:22
	s_waitcnt lgkmcnt(3)
	v_pk_mul_f32 v[14:15], v[2:3], v[14:15]
	ds_read2st64_b32 v[18:19], v9 offset0:24 offset1:26
	ds_write2st64_b32 v9, v14, v15 offset0:16 offset1:18
	ds_read2st64_b32 v[14:15], v9 offset0:28 offset1:30
	s_waitcnt lgkmcnt(3)
	v_pk_mul_f32 v[12:13], v[2:3], v[12:13]
	ds_write2st64_b32 v9, v12, v13 offset0:20 offset1:22
	s_waitcnt lgkmcnt(3)
	v_pk_mul_f32 v[12:13], v[2:3], v[18:19]
	ds_write2st64_b32 v9, v12, v13 offset0:24 offset1:26
	s_waitcnt lgkmcnt(2)
	v_pk_mul_f32 v[12:13], v[2:3], v[14:15]
	s_add_i32 s18, s18, 16
	v_cmp_eq_u32_e32 vcc, 0, v8
	ds_write2st64_b32 v9, v12, v13 offset0:28 offset1:30
	v_add_u32_e32 v9, 0x2000, v9
	s_or_b64 s[12:13], vcc, s[12:13]
	v_mov_b32_e32 v12, s18
	s_andn2_b64 exec, exec, s[12:13]
	s_cbranch_execnz .LBB337_69
; %bb.70:
	s_or_b64 exec, exec, s[12:13]
.LBB337_71:
	s_or_b64 exec, exec, s[10:11]
	v_and_b32_e32 v7, 7, v7
	v_cmp_ne_u32_e32 vcc, 0, v7
	s_and_saveexec_b64 s[10:11], vcc
	s_cbranch_execz .LBB337_74
; %bb.72:
	v_lshlrev_b32_e32 v8, 9, v12
	v_lshlrev_b32_e32 v9, 2, v0
	s_movk_i32 s12, 0x50
	v_add3_u32 v8, v8, v9, s12
	s_mov_b64 s[12:13], 0
.LBB337_73:                             ; =>This Inner Loop Header: Depth=1
	ds_read2st64_b32 v[12:13], v8 offset1:2
	v_add_u32_e32 v7, -1, v7
	v_cmp_eq_u32_e32 vcc, 0, v7
	s_or_b64 s[12:13], vcc, s[12:13]
	s_waitcnt lgkmcnt(0)
	v_pk_mul_f32 v[12:13], v[2:3], v[12:13]
	ds_write2st64_b32 v8, v12, v13 offset1:2
	v_add_u32_e32 v8, 0x400, v8
	s_andn2_b64 exec, exec, s[12:13]
	s_cbranch_execnz .LBB337_73
.LBB337_74:
	s_or_b64 exec, exec, s[10:11]
	v_add_u32_e32 v6, 1, v6
	v_and_b32_e32 v7, 0x3fffffe, v6
	v_cmp_ne_u32_e32 vcc, v6, v7
	v_lshl_add_u32 v3, v7, 7, v0
	s_orn2_b64 s[10:11], vcc, exec
.LBB337_75:
	s_or_b64 exec, exec, s[4:5]
	s_and_b64 exec, exec, s[10:11]
	s_cbranch_execz .LBB337_78
; %bb.76:
	v_mov_b32_e32 v6, 0x50
	v_lshl_add_u32 v6, v3, 2, v6
	s_mov_b64 s[4:5], 0
.LBB337_77:                             ; =>This Inner Loop Header: Depth=1
	ds_read_b32 v7, v6
	v_add_u32_e32 v3, 0x80, v3
	v_cmp_le_i32_e32 vcc, s38, v3
	s_or_b64 s[4:5], vcc, s[4:5]
	s_waitcnt lgkmcnt(0)
	v_mul_f32_e32 v7, v2, v7
	ds_write_b32 v6, v7
	v_add_u32_e32 v6, 0x200, v6
	s_andn2_b64 exec, exec, s[4:5]
	s_cbranch_execnz .LBB337_77
.LBB337_78:
	s_or_b64 exec, exec, s[2:3]
	s_mul_i32 s2, s25, s28
	v_cmp_eq_u32_e32 vcc, 0, v0
	s_mul_i32 s2, s2, s9
	s_waitcnt lgkmcnt(0)
	s_barrier
	s_and_saveexec_b64 s[4:5], vcc
	s_cbranch_execz .LBB337_80
; %bb.79:
	s_ashr_i32 s3, s2, 31
	s_lshl_b64 s[10:11], s[2:3], 2
	s_add_u32 s3, s22, s10
	s_mul_i32 s12, s25, s6
	s_addc_u32 s9, s23, s11
	s_ashr_i32 s13, s12, 31
	s_lshl_b64 s[12:13], s[12:13], 2
	s_add_u32 s3, s3, s12
	s_addc_u32 s6, s9, s13
	s_ashr_i32 s9, s8, 31
	s_lshl_b64 s[18:19], s[8:9], 2
	s_add_u32 s22, s3, s18
	s_addc_u32 s23, s6, s19
	s_add_u32 s3, s20, s10
	s_addc_u32 s6, s21, s11
	s_add_u32 s3, s3, s12
	s_addc_u32 s6, s6, s13
	s_add_u32 s10, s3, s18
	v_mov_b32_e32 v2, 0
	s_addc_u32 s11, s6, s19
	global_store_dword v2, v4, s[22:23]
	global_store_dword v2, v5, s[10:11]
.LBB337_80:
	s_or_b64 exec, exec, s[4:5]
	v_mov_b32_e32 v18, 0
	s_and_saveexec_b64 s[4:5], s[0:1]
	s_cbranch_execz .LBB337_232
; %bb.81:
	s_ashr_i32 s0, s7, 31
	s_add_u32 s1, s36, s7
	s_addc_u32 s0, s37, s0
	v_lshlrev_b32_e32 v2, 3, v1
	v_mov_b32_e32 v3, s0
	v_add_co_u32_e64 v14, s[0:1], s1, v2
	v_addc_co_u32_e64 v15, s[0:1], 0, v3, s[0:1]
	s_add_i32 s9, s16, -1
	s_lshl_b64 s[0:1], s[34:35], 2
	v_mov_b32_e32 v2, 0x50
	s_add_u32 s0, s30, s0
	v_lshl_add_u32 v20, v16, 5, v2
	v_lshlrev_b64 v[2:3], 2, v[10:11]
	s_addc_u32 s1, s31, s1
	s_mov_b32 s6, -1
	v_mov_b32_e32 v4, s1
	v_add_co_u32_e64 v16, s[0:1], s0, v2
	v_cmp_gt_u32_e32 vcc, 32, v1
	s_mov_b32 s3, s17
	v_mov_b32_e32 v13, 0
	s_mov_b32 s7, 0xffffff
	v_add3_u32 v19, s44, v17, 7
	v_addc_co_u32_e64 v17, s[0:1], v4, v3, s[0:1]
	s_mov_b64 s[10:11], 0
	s_mov_b32 s22, 0x7f800000
	s_movk_i32 s23, 0x7fff
	s_movk_i32 s28, 0x80
	;; [unrolled: 1-line block ×3, first 2 shown]
	v_bfrev_b32_e32 v11, 60
	v_mov_b32_e32 v18, 0
	s_branch .LBB337_84
.LBB337_82:                             ;   in Loop: Header=BB337_84 Depth=1
	s_or_b64 exec, exec, s[16:17]
	v_and_b32_e32 v7, 0xffff0000, v6
	v_and_b32_e32 v6, 0xffff0000, v8
	;; [unrolled: 1-line block ×8, first 2 shown]
	v_pk_add_f32 v[2:3], v[4:5], v[8:9]
	v_pk_add_f32 v[4:5], v[24:25], v[6:7]
	v_add_f32_e32 v2, v2, v3
	v_add_f32_e32 v2, v2, v4
	v_add_f32_e32 v2, v2, v5
	v_add_f32_e32 v18, v18, v2
.LBB337_83:                             ;   in Loop: Header=BB337_84 Depth=1
	s_or_b64 exec, exec, s[12:13]
	v_add_u32_e32 v10, 2, v10
	v_cmp_le_i32_e64 s[0:1], s33, v10
	s_or_b64 s[10:11], s[0:1], s[10:11]
	v_add_co_u32_e64 v16, s[0:1], 8, v16
	v_add_u32_e32 v19, 16, v19
	v_add_u32_e32 v20, 64, v20
	v_addc_co_u32_e64 v17, s[0:1], 0, v17, s[0:1]
	s_andn2_b64 exec, exec, s[10:11]
	s_cbranch_execz .LBB337_231
.LBB337_84:                             ; =>This Inner Loop Header: Depth=1
	global_load_dword v12, v[16:17], off
	ds_read2_b64 v[6:9], v20 offset1:1
	ds_read2_b64 v[2:5], v20 offset0:2 offset1:3
                                        ; implicit-def: $vgpr24
	s_waitcnt lgkmcnt(1)
	v_and_b32_e32 v21, 0x7f800000, v6
	v_cmp_ne_u32_e64 s[0:1], s22, v21
	s_and_saveexec_b64 s[12:13], s[0:1]
	s_xor_b64 s[0:1], exec, s[12:13]
; %bb.85:                               ;   in Loop: Header=BB337_84 Depth=1
	v_bfe_u32 v21, v6, 16, 1
	v_add3_u32 v24, v6, v21, s23
; %bb.86:                               ;   in Loop: Header=BB337_84 Depth=1
	s_andn2_saveexec_b64 s[12:13], s[0:1]
; %bb.87:                               ;   in Loop: Header=BB337_84 Depth=1
	v_or_b32_e32 v21, 0x10000, v6
	v_cmp_eq_u32_sdwa s[0:1], v6, v13 src0_sel:WORD_0 src1_sel:DWORD
	v_cndmask_b32_e64 v24, v21, v6, s[0:1]
; %bb.88:                               ;   in Loop: Header=BB337_84 Depth=1
	s_or_b64 exec, exec, s[12:13]
	v_and_b32_e32 v6, 0x7f800000, v7
	v_cmp_ne_u32_e64 s[0:1], s22, v6
                                        ; implicit-def: $vgpr23
	s_and_saveexec_b64 s[12:13], s[0:1]
	s_xor_b64 s[0:1], exec, s[12:13]
; %bb.89:                               ;   in Loop: Header=BB337_84 Depth=1
	v_bfe_u32 v6, v7, 16, 1
	v_add3_u32 v23, v7, v6, s23
; %bb.90:                               ;   in Loop: Header=BB337_84 Depth=1
	s_andn2_saveexec_b64 s[12:13], s[0:1]
; %bb.91:                               ;   in Loop: Header=BB337_84 Depth=1
	v_or_b32_e32 v6, 0x10000, v7
	v_cmp_eq_u32_sdwa s[0:1], v7, v13 src0_sel:WORD_0 src1_sel:DWORD
	v_cndmask_b32_e64 v23, v6, v7, s[0:1]
; %bb.92:                               ;   in Loop: Header=BB337_84 Depth=1
	s_or_b64 exec, exec, s[12:13]
	v_and_b32_e32 v6, 0x7f800000, v8
	v_cmp_ne_u32_e64 s[0:1], s22, v6
                                        ; implicit-def: $vgpr22
	s_and_saveexec_b64 s[12:13], s[0:1]
	s_xor_b64 s[0:1], exec, s[12:13]
; %bb.93:                               ;   in Loop: Header=BB337_84 Depth=1
	v_bfe_u32 v6, v8, 16, 1
	v_add3_u32 v22, v8, v6, s23
; %bb.94:                               ;   in Loop: Header=BB337_84 Depth=1
	s_andn2_saveexec_b64 s[12:13], s[0:1]
; %bb.95:                               ;   in Loop: Header=BB337_84 Depth=1
	v_or_b32_e32 v6, 0x10000, v8
	v_cmp_eq_u32_sdwa s[0:1], v8, v13 src0_sel:WORD_0 src1_sel:DWORD
	v_cndmask_b32_e64 v22, v6, v8, s[0:1]
; %bb.96:                               ;   in Loop: Header=BB337_84 Depth=1
	s_or_b64 exec, exec, s[12:13]
	v_and_b32_e32 v6, 0x7f800000, v9
	v_cmp_ne_u32_e64 s[0:1], s22, v6
                                        ; implicit-def: $vgpr21
	s_and_saveexec_b64 s[12:13], s[0:1]
	s_xor_b64 s[0:1], exec, s[12:13]
; %bb.97:                               ;   in Loop: Header=BB337_84 Depth=1
	v_bfe_u32 v6, v9, 16, 1
	v_add3_u32 v21, v9, v6, s23
                                        ; implicit-def: $vgpr6_vgpr7_vgpr8_vgpr9
; %bb.98:                               ;   in Loop: Header=BB337_84 Depth=1
	s_andn2_saveexec_b64 s[12:13], s[0:1]
; %bb.99:                               ;   in Loop: Header=BB337_84 Depth=1
	v_or_b32_e32 v6, 0x10000, v9
	v_cmp_eq_u32_sdwa s[0:1], v9, v13 src0_sel:WORD_0 src1_sel:DWORD
	v_cndmask_b32_e64 v21, v6, v9, s[0:1]
; %bb.100:                              ;   in Loop: Header=BB337_84 Depth=1
	s_or_b64 exec, exec, s[12:13]
	s_waitcnt lgkmcnt(0)
	v_and_b32_e32 v6, 0x7f800000, v2
	v_cmp_ne_u32_e64 s[0:1], s22, v6
                                        ; implicit-def: $vgpr9
	s_and_saveexec_b64 s[12:13], s[0:1]
	s_xor_b64 s[0:1], exec, s[12:13]
; %bb.101:                              ;   in Loop: Header=BB337_84 Depth=1
	v_bfe_u32 v6, v2, 16, 1
	v_add3_u32 v9, v2, v6, s23
; %bb.102:                              ;   in Loop: Header=BB337_84 Depth=1
	s_andn2_saveexec_b64 s[12:13], s[0:1]
; %bb.103:                              ;   in Loop: Header=BB337_84 Depth=1
	v_or_b32_e32 v6, 0x10000, v2
	v_cmp_eq_u32_sdwa s[0:1], v2, v13 src0_sel:WORD_0 src1_sel:DWORD
	v_cndmask_b32_e64 v9, v6, v2, s[0:1]
; %bb.104:                              ;   in Loop: Header=BB337_84 Depth=1
	s_or_b64 exec, exec, s[12:13]
	v_and_b32_e32 v2, 0x7f800000, v3
	v_cmp_ne_u32_e64 s[0:1], s22, v2
                                        ; implicit-def: $vgpr8
	s_and_saveexec_b64 s[12:13], s[0:1]
	s_xor_b64 s[0:1], exec, s[12:13]
; %bb.105:                              ;   in Loop: Header=BB337_84 Depth=1
	v_bfe_u32 v2, v3, 16, 1
	v_add3_u32 v8, v3, v2, s23
; %bb.106:                              ;   in Loop: Header=BB337_84 Depth=1
	s_andn2_saveexec_b64 s[12:13], s[0:1]
; %bb.107:                              ;   in Loop: Header=BB337_84 Depth=1
	v_or_b32_e32 v2, 0x10000, v3
	v_cmp_eq_u32_sdwa s[0:1], v3, v13 src0_sel:WORD_0 src1_sel:DWORD
	v_cndmask_b32_e64 v8, v2, v3, s[0:1]
; %bb.108:                              ;   in Loop: Header=BB337_84 Depth=1
	s_or_b64 exec, exec, s[12:13]
	v_and_b32_e32 v2, 0x7f800000, v4
	v_cmp_ne_u32_e64 s[0:1], s22, v2
                                        ; implicit-def: $vgpr7
	s_and_saveexec_b64 s[12:13], s[0:1]
	s_xor_b64 s[0:1], exec, s[12:13]
; %bb.109:                              ;   in Loop: Header=BB337_84 Depth=1
	v_bfe_u32 v2, v4, 16, 1
	v_add3_u32 v7, v4, v2, s23
; %bb.110:                              ;   in Loop: Header=BB337_84 Depth=1
	s_andn2_saveexec_b64 s[12:13], s[0:1]
; %bb.111:                              ;   in Loop: Header=BB337_84 Depth=1
	v_or_b32_e32 v2, 0x10000, v4
	v_cmp_eq_u32_sdwa s[0:1], v4, v13 src0_sel:WORD_0 src1_sel:DWORD
	v_cndmask_b32_e64 v7, v2, v4, s[0:1]
; %bb.112:                              ;   in Loop: Header=BB337_84 Depth=1
	s_or_b64 exec, exec, s[12:13]
	v_and_b32_e32 v2, 0x7f800000, v5
	v_cmp_ne_u32_e64 s[0:1], s22, v2
                                        ; implicit-def: $vgpr6
	s_and_saveexec_b64 s[12:13], s[0:1]
	s_xor_b64 s[0:1], exec, s[12:13]
	s_cbranch_execnz .LBB337_115
; %bb.113:                              ;   in Loop: Header=BB337_84 Depth=1
	s_andn2_saveexec_b64 s[12:13], s[0:1]
	s_cbranch_execnz .LBB337_116
.LBB337_114:                            ;   in Loop: Header=BB337_84 Depth=1
	s_or_b64 exec, exec, s[12:13]
	s_and_saveexec_b64 s[12:13], vcc
	s_cbranch_execz .LBB337_83
	s_branch .LBB337_117
.LBB337_115:                            ;   in Loop: Header=BB337_84 Depth=1
	v_bfe_u32 v2, v5, 16, 1
	v_add3_u32 v6, v5, v2, s23
                                        ; implicit-def: $vgpr2_vgpr3_vgpr4_vgpr5
	s_andn2_saveexec_b64 s[12:13], s[0:1]
	s_cbranch_execz .LBB337_114
.LBB337_116:                            ;   in Loop: Header=BB337_84 Depth=1
	v_or_b32_e32 v2, 0x10000, v5
	v_cmp_eq_u32_sdwa s[0:1], v5, v13 src0_sel:WORD_0 src1_sel:DWORD
	v_cndmask_b32_e64 v6, v2, v5, s[0:1]
	s_or_b64 exec, exec, s[12:13]
	s_and_saveexec_b64 s[12:13], vcc
	s_cbranch_execz .LBB337_83
.LBB337_117:                            ;   in Loop: Header=BB337_84 Depth=1
	s_waitcnt vmcnt(0)
	v_mad_i64_i32 v[2:3], s[0:1], v12, s3, v[14:15]
	global_load_dwordx2 v[2:3], v[2:3], off
	s_load_dword s31, s[14:15], 0x0
	v_mov_b32_e32 v4, 0
	s_waitcnt vmcnt(0)
	v_cmp_ne_u16_sdwa s[0:1], v2, v13 src0_sel:BYTE_0 src1_sel:DWORD
	s_and_saveexec_b64 s[16:17], s[0:1]
	s_cbranch_execz .LBB337_123
; %bb.118:                              ;   in Loop: Header=BB337_84 Depth=1
	v_cmp_ne_u16_sdwa s[0:1], v2, s28 src0_sel:BYTE_0 src1_sel:DWORD
	v_bfrev_b32_e32 v4, 1
	s_and_saveexec_b64 s[18:19], s[0:1]
	s_cbranch_execz .LBB337_122
; %bb.119:                              ;   in Loop: Header=BB337_84 Depth=1
	v_and_b32_e32 v5, 0x7f, v2
	v_cmp_ne_u32_e64 s[0:1], s30, v5
	v_mov_b32_e32 v4, 0x7f800001
	s_and_saveexec_b64 s[20:21], s[0:1]
	s_cbranch_execz .LBB337_121
; %bb.120:                              ;   in Loop: Header=BB337_84 Depth=1
	v_and_b32_e32 v4, 7, v2
	v_ffbh_u32_e32 v4, v4
	v_min_u32_e32 v4, 32, v4
	v_lshrrev_b32_e32 v12, 3, v5
	v_subrev_u32_e32 v25, 28, v4
	v_sub_u32_e32 v4, 29, v4
	v_cmp_gt_u32_e64 s[0:1], 8, v5
	v_cndmask_b32_e64 v12, v12, v4, s[0:1]
	v_cndmask_b32_e64 v4, 0, v25, s[0:1]
	v_lshlrev_b64 v[4:5], v4, v[2:3]
	v_lshlrev_b32_e32 v4, 20, v4
	v_lshlrev_b32_e32 v5, 24, v2
	v_and_b32_e32 v4, 0x700000, v4
	v_and_b32_e32 v5, 0x80000000, v5
	v_lshl_add_u32 v12, v12, 23, v11
	v_or3_b32 v4, v5, v12, v4
.LBB337_121:                            ;   in Loop: Header=BB337_84 Depth=1
	s_or_b64 exec, exec, s[20:21]
.LBB337_122:                            ;   in Loop: Header=BB337_84 Depth=1
	s_or_b64 exec, exec, s[18:19]
.LBB337_123:                            ;   in Loop: Header=BB337_84 Depth=1
	s_or_b64 exec, exec, s[16:17]
	s_waitcnt lgkmcnt(0)
	v_mul_f32_e32 v4, s31, v4
	v_and_b32_e32 v5, 0x7f800000, v4
	v_cmp_ne_u32_e64 s[0:1], s22, v5
                                        ; implicit-def: $vgpr5
	s_and_saveexec_b64 s[16:17], s[0:1]
	s_xor_b64 s[0:1], exec, s[16:17]
; %bb.124:                              ;   in Loop: Header=BB337_84 Depth=1
	v_bfe_u32 v5, v4, 16, 1
	v_add3_u32 v5, v4, v5, s23
                                        ; implicit-def: $vgpr4
; %bb.125:                              ;   in Loop: Header=BB337_84 Depth=1
	s_andn2_saveexec_b64 s[16:17], s[0:1]
; %bb.126:                              ;   in Loop: Header=BB337_84 Depth=1
	v_or_b32_e32 v5, 0x10000, v4
	v_cmp_eq_u32_sdwa s[0:1], v4, v13 src0_sel:WORD_0 src1_sel:DWORD
	v_cndmask_b32_e64 v5, v5, v4, s[0:1]
; %bb.127:                              ;   in Loop: Header=BB337_84 Depth=1
	s_or_b64 exec, exec, s[16:17]
	v_lshrrev_b16_e32 v4, 8, v2
	v_cmp_ne_u16_e64 s[0:1], 0, v4
	v_mov_b32_e32 v12, 0
	s_and_saveexec_b64 s[16:17], s[0:1]
	s_cbranch_execz .LBB337_133
; %bb.128:                              ;   in Loop: Header=BB337_84 Depth=1
	v_cmp_ne_u16_e64 s[0:1], s28, v4
	v_bfrev_b32_e32 v12, 1
	s_and_saveexec_b64 s[18:19], s[0:1]
	s_cbranch_execz .LBB337_132
; %bb.129:                              ;   in Loop: Header=BB337_84 Depth=1
	v_and_b32_e32 v25, 0x7f, v4
	v_cmp_ne_u32_e64 s[0:1], s30, v25
	v_mov_b32_e32 v12, 0x7f800001
	s_and_saveexec_b64 s[20:21], s[0:1]
	s_cbranch_execz .LBB337_131
; %bb.130:                              ;   in Loop: Header=BB337_84 Depth=1
	v_and_b32_e32 v12, 7, v4
	v_ffbh_u32_e32 v26, v12
	v_min_u32_e32 v29, 32, v26
	v_subrev_u32_e32 v26, 28, v29
	v_lshlrev_b64 v[26:27], v26, v[4:5]
	v_lshrrev_b32_e32 v28, 3, v25
	v_sub_u32_e32 v4, 29, v29
	v_and_b32_e32 v26, 7, v26
	v_cmp_gt_u32_e64 s[0:1], 8, v25
	v_cndmask_b32_e64 v4, v28, v4, s[0:1]
	v_cndmask_b32_e64 v12, v12, v26, s[0:1]
	v_lshlrev_b32_e32 v25, 16, v2
	v_lshlrev_b32_e32 v12, 20, v12
	v_and_b32_e32 v25, 0x80000000, v25
	v_lshl_add_u32 v4, v4, 23, v11
	v_or3_b32 v12, v25, v4, v12
.LBB337_131:                            ;   in Loop: Header=BB337_84 Depth=1
	s_or_b64 exec, exec, s[20:21]
.LBB337_132:                            ;   in Loop: Header=BB337_84 Depth=1
	s_or_b64 exec, exec, s[18:19]
.LBB337_133:                            ;   in Loop: Header=BB337_84 Depth=1
	s_or_b64 exec, exec, s[16:17]
	v_mul_f32_e32 v4, s31, v12
	v_and_b32_e32 v12, 0x7f800000, v4
	v_cmp_ne_u32_e64 s[0:1], s22, v12
                                        ; implicit-def: $vgpr25
	s_and_saveexec_b64 s[16:17], s[0:1]
	s_xor_b64 s[0:1], exec, s[16:17]
; %bb.134:                              ;   in Loop: Header=BB337_84 Depth=1
	v_bfe_u32 v12, v4, 16, 1
	v_add3_u32 v25, v4, v12, s23
                                        ; implicit-def: $vgpr4
; %bb.135:                              ;   in Loop: Header=BB337_84 Depth=1
	s_andn2_saveexec_b64 s[16:17], s[0:1]
; %bb.136:                              ;   in Loop: Header=BB337_84 Depth=1
	v_or_b32_e32 v12, 0x10000, v4
	v_cmp_eq_u32_sdwa s[0:1], v4, v13 src0_sel:WORD_0 src1_sel:DWORD
	v_cndmask_b32_e64 v25, v12, v4, s[0:1]
; %bb.137:                              ;   in Loop: Header=BB337_84 Depth=1
	s_or_b64 exec, exec, s[16:17]
	v_lshrrev_b32_e32 v4, 16, v2
	v_cmp_ne_u16_sdwa s[0:1], v4, v13 src0_sel:BYTE_0 src1_sel:DWORD
	v_mov_b32_e32 v12, 0
	s_and_saveexec_b64 s[16:17], s[0:1]
	s_cbranch_execz .LBB337_143
; %bb.138:                              ;   in Loop: Header=BB337_84 Depth=1
	v_cmp_ne_u16_sdwa s[0:1], v4, s28 src0_sel:BYTE_0 src1_sel:DWORD
	v_bfrev_b32_e32 v12, 1
	s_and_saveexec_b64 s[18:19], s[0:1]
	s_cbranch_execz .LBB337_142
; %bb.139:                              ;   in Loop: Header=BB337_84 Depth=1
	v_bfe_u32 v26, v2, 16, 7
	v_cmp_ne_u32_e64 s[0:1], s30, v26
	v_mov_b32_e32 v12, 0x7f800001
	s_and_saveexec_b64 s[20:21], s[0:1]
	s_cbranch_execz .LBB337_141
; %bb.140:                              ;   in Loop: Header=BB337_84 Depth=1
	v_and_b32_e32 v12, 7, v4
	v_ffbh_u32_e32 v28, v12
	v_min_u32_e32 v30, 32, v28
	v_subrev_u32_e32 v28, 28, v30
	v_lshlrev_b64 v[28:29], v28, v[4:5]
	v_lshrrev_b32_e32 v27, 3, v26
	v_sub_u32_e32 v29, 29, v30
	v_and_b32_e32 v28, 7, v28
	v_cmp_gt_u32_e64 s[0:1], 8, v26
	v_cndmask_b32_e64 v26, v27, v29, s[0:1]
	v_cndmask_b32_e64 v12, v12, v28, s[0:1]
	v_lshlrev_b32_e32 v4, 24, v4
	v_lshlrev_b32_e32 v12, 20, v12
	v_and_b32_e32 v4, 0x80000000, v4
	v_lshl_add_u32 v26, v26, 23, v11
	v_or3_b32 v12, v4, v26, v12
.LBB337_141:                            ;   in Loop: Header=BB337_84 Depth=1
	s_or_b64 exec, exec, s[20:21]
.LBB337_142:                            ;   in Loop: Header=BB337_84 Depth=1
	s_or_b64 exec, exec, s[18:19]
.LBB337_143:                            ;   in Loop: Header=BB337_84 Depth=1
	s_or_b64 exec, exec, s[16:17]
	v_mul_f32_e32 v4, s31, v12
	v_and_b32_e32 v12, 0x7f800000, v4
	v_cmp_ne_u32_e64 s[0:1], s22, v12
                                        ; implicit-def: $vgpr26
	s_and_saveexec_b64 s[16:17], s[0:1]
	s_xor_b64 s[0:1], exec, s[16:17]
; %bb.144:                              ;   in Loop: Header=BB337_84 Depth=1
	v_bfe_u32 v12, v4, 16, 1
	v_add3_u32 v26, v4, v12, s23
                                        ; implicit-def: $vgpr4
; %bb.145:                              ;   in Loop: Header=BB337_84 Depth=1
	s_andn2_saveexec_b64 s[16:17], s[0:1]
; %bb.146:                              ;   in Loop: Header=BB337_84 Depth=1
	v_or_b32_e32 v12, 0x10000, v4
	v_cmp_eq_u32_sdwa s[0:1], v4, v13 src0_sel:WORD_0 src1_sel:DWORD
	v_cndmask_b32_e64 v26, v12, v4, s[0:1]
; %bb.147:                              ;   in Loop: Header=BB337_84 Depth=1
	s_or_b64 exec, exec, s[16:17]
	v_cmp_lt_u32_e64 s[0:1], s7, v2
	v_mov_b32_e32 v12, 0
	s_and_saveexec_b64 s[16:17], s[0:1]
	s_cbranch_execz .LBB337_153
; %bb.148:                              ;   in Loop: Header=BB337_84 Depth=1
	v_lshrrev_b32_e32 v4, 24, v2
	v_cmp_ne_u32_e64 s[0:1], s28, v4
	v_bfrev_b32_e32 v12, 1
	s_and_saveexec_b64 s[18:19], s[0:1]
	s_cbranch_execz .LBB337_152
; %bb.149:                              ;   in Loop: Header=BB337_84 Depth=1
	v_bfe_u32 v27, v2, 24, 7
	v_cmp_ne_u32_e64 s[0:1], s30, v27
	v_mov_b32_e32 v12, 0x7f800001
	s_and_saveexec_b64 s[20:21], s[0:1]
	s_cbranch_execz .LBB337_151
; %bb.150:                              ;   in Loop: Header=BB337_84 Depth=1
	v_and_b32_e32 v12, 7, v4
	v_ffbh_u32_e32 v28, v12
	v_min_u32_e32 v31, 32, v28
	v_subrev_u32_e32 v28, 28, v31
	v_lshlrev_b64 v[28:29], v28, v[4:5]
	v_lshrrev_b32_e32 v30, 3, v27
	v_sub_u32_e32 v29, 29, v31
	v_and_b32_e32 v28, 7, v28
	v_cmp_gt_u32_e64 s[0:1], 8, v27
	v_cndmask_b32_e64 v27, v30, v29, s[0:1]
	v_cndmask_b32_e64 v12, v12, v28, s[0:1]
	v_lshlrev_b32_e32 v4, 24, v4
	v_lshlrev_b32_e32 v12, 20, v12
	v_and_b32_e32 v4, 0x80000000, v4
	v_lshl_add_u32 v27, v27, 23, v11
	v_or3_b32 v12, v4, v27, v12
.LBB337_151:                            ;   in Loop: Header=BB337_84 Depth=1
	s_or_b64 exec, exec, s[20:21]
.LBB337_152:                            ;   in Loop: Header=BB337_84 Depth=1
	s_or_b64 exec, exec, s[18:19]
.LBB337_153:                            ;   in Loop: Header=BB337_84 Depth=1
	s_or_b64 exec, exec, s[16:17]
	v_mul_f32_e32 v4, s31, v12
	v_and_b32_e32 v12, 0x7f800000, v4
	v_cmp_ne_u32_e64 s[0:1], s22, v12
                                        ; implicit-def: $vgpr27
	s_and_saveexec_b64 s[16:17], s[0:1]
	s_xor_b64 s[0:1], exec, s[16:17]
; %bb.154:                              ;   in Loop: Header=BB337_84 Depth=1
	v_bfe_u32 v12, v4, 16, 1
	v_add3_u32 v27, v4, v12, s23
                                        ; implicit-def: $vgpr4
; %bb.155:                              ;   in Loop: Header=BB337_84 Depth=1
	s_andn2_saveexec_b64 s[16:17], s[0:1]
; %bb.156:                              ;   in Loop: Header=BB337_84 Depth=1
	v_or_b32_e32 v12, 0x10000, v4
	v_cmp_eq_u32_sdwa s[0:1], v4, v13 src0_sel:WORD_0 src1_sel:DWORD
	v_cndmask_b32_e64 v27, v12, v4, s[0:1]
; %bb.157:                              ;   in Loop: Header=BB337_84 Depth=1
	s_or_b64 exec, exec, s[16:17]
	v_mov_b32_e32 v12, v3
	v_cmp_ne_u16_sdwa s[0:1], v3, v13 src0_sel:BYTE_0 src1_sel:DWORD
	v_mov_b32_e32 v4, 0
	s_and_saveexec_b64 s[16:17], s[0:1]
	s_cbranch_execz .LBB337_163
; %bb.158:                              ;   in Loop: Header=BB337_84 Depth=1
	v_cmp_ne_u16_sdwa s[0:1], v3, s28 src0_sel:BYTE_0 src1_sel:DWORD
	v_bfrev_b32_e32 v4, 1
	s_and_saveexec_b64 s[18:19], s[0:1]
	s_cbranch_execz .LBB337_162
; %bb.159:                              ;   in Loop: Header=BB337_84 Depth=1
	v_and_b32_e32 v28, 0x7f, v3
	v_cmp_ne_u32_e64 s[0:1], s30, v28
	v_mov_b32_e32 v4, 0x7f800001
	s_and_saveexec_b64 s[20:21], s[0:1]
	s_cbranch_execz .LBB337_161
; %bb.160:                              ;   in Loop: Header=BB337_84 Depth=1
	v_and_b32_e32 v4, 7, v3
	v_ffbh_u32_e32 v4, v4
	v_min_u32_e32 v4, 32, v4
	v_subrev_u32_e32 v30, 28, v4
	v_cmp_gt_u32_e64 s[0:1], 8, v28
	v_lshrrev_b32_e32 v29, 3, v28
	v_sub_u32_e32 v4, 29, v4
	v_cndmask_b32_e64 v28, 0, v30, s[0:1]
	v_cndmask_b32_e64 v4, v29, v4, s[0:1]
	v_lshlrev_b64 v[28:29], v28, v[12:13]
	v_lshlrev_b32_e32 v28, 20, v28
	v_lshlrev_b32_e32 v29, 24, v12
	v_and_b32_e32 v28, 0x700000, v28
	v_and_b32_e32 v29, 0x80000000, v29
	v_lshl_add_u32 v4, v4, 23, v11
	v_or3_b32 v4, v29, v4, v28
.LBB337_161:                            ;   in Loop: Header=BB337_84 Depth=1
	s_or_b64 exec, exec, s[20:21]
.LBB337_162:                            ;   in Loop: Header=BB337_84 Depth=1
	s_or_b64 exec, exec, s[18:19]
.LBB337_163:                            ;   in Loop: Header=BB337_84 Depth=1
	s_or_b64 exec, exec, s[16:17]
	v_mul_f32_e32 v4, s31, v4
	v_and_b32_e32 v28, 0x7f800000, v4
	v_cmp_ne_u32_e64 s[0:1], s22, v28
                                        ; implicit-def: $vgpr28
	s_and_saveexec_b64 s[16:17], s[0:1]
	s_xor_b64 s[0:1], exec, s[16:17]
; %bb.164:                              ;   in Loop: Header=BB337_84 Depth=1
	v_bfe_u32 v28, v4, 16, 1
	v_add3_u32 v28, v4, v28, s23
                                        ; implicit-def: $vgpr4
; %bb.165:                              ;   in Loop: Header=BB337_84 Depth=1
	s_andn2_saveexec_b64 s[16:17], s[0:1]
; %bb.166:                              ;   in Loop: Header=BB337_84 Depth=1
	v_or_b32_e32 v28, 0x10000, v4
	v_cmp_eq_u32_sdwa s[0:1], v4, v13 src0_sel:WORD_0 src1_sel:DWORD
	v_cndmask_b32_e64 v28, v28, v4, s[0:1]
; %bb.167:                              ;   in Loop: Header=BB337_84 Depth=1
	s_or_b64 exec, exec, s[16:17]
	v_lshrrev_b16_e32 v4, 8, v12
	v_cmp_ne_u16_e64 s[0:1], 0, v4
	v_mov_b32_e32 v29, 0
	s_and_saveexec_b64 s[16:17], s[0:1]
	s_cbranch_execz .LBB337_173
; %bb.168:                              ;   in Loop: Header=BB337_84 Depth=1
	v_cmp_ne_u16_e64 s[0:1], s28, v4
	v_bfrev_b32_e32 v29, 1
	s_and_saveexec_b64 s[18:19], s[0:1]
	s_cbranch_execz .LBB337_172
; %bb.169:                              ;   in Loop: Header=BB337_84 Depth=1
	v_and_b32_e32 v30, 0x7f, v4
	v_cmp_ne_u32_e64 s[0:1], s30, v30
	v_mov_b32_e32 v29, 0x7f800001
	s_and_saveexec_b64 s[20:21], s[0:1]
	s_cbranch_execz .LBB337_171
; %bb.170:                              ;   in Loop: Header=BB337_84 Depth=1
	v_and_b32_e32 v29, 7, v4
	v_ffbh_u32_e32 v32, v29
	v_min_u32_e32 v34, 32, v32
	v_subrev_u32_e32 v32, 28, v34
	v_lshlrev_b64 v[32:33], v32, v[4:5]
	v_lshrrev_b32_e32 v31, 3, v30
	v_sub_u32_e32 v4, 29, v34
	v_and_b32_e32 v32, 7, v32
	v_cmp_gt_u32_e64 s[0:1], 8, v30
	v_cndmask_b32_e64 v4, v31, v4, s[0:1]
	v_cndmask_b32_e64 v29, v29, v32, s[0:1]
	v_lshlrev_b32_e32 v12, 16, v12
	v_lshlrev_b32_e32 v29, 20, v29
	v_and_b32_e32 v12, 0x80000000, v12
	v_lshl_add_u32 v4, v4, 23, v11
	v_or3_b32 v29, v12, v4, v29
.LBB337_171:                            ;   in Loop: Header=BB337_84 Depth=1
	s_or_b64 exec, exec, s[20:21]
.LBB337_172:                            ;   in Loop: Header=BB337_84 Depth=1
	s_or_b64 exec, exec, s[18:19]
.LBB337_173:                            ;   in Loop: Header=BB337_84 Depth=1
	s_or_b64 exec, exec, s[16:17]
	v_mul_f32_e32 v4, s31, v29
	v_and_b32_e32 v12, 0x7f800000, v4
	v_cmp_ne_u32_e64 s[0:1], s22, v12
                                        ; implicit-def: $vgpr12
	s_and_saveexec_b64 s[16:17], s[0:1]
	s_xor_b64 s[0:1], exec, s[16:17]
; %bb.174:                              ;   in Loop: Header=BB337_84 Depth=1
	v_bfe_u32 v12, v4, 16, 1
	v_add3_u32 v12, v4, v12, s23
                                        ; implicit-def: $vgpr4
; %bb.175:                              ;   in Loop: Header=BB337_84 Depth=1
	s_andn2_saveexec_b64 s[16:17], s[0:1]
; %bb.176:                              ;   in Loop: Header=BB337_84 Depth=1
	v_or_b32_e32 v12, 0x10000, v4
	v_cmp_eq_u32_sdwa s[0:1], v4, v13 src0_sel:WORD_0 src1_sel:DWORD
	v_cndmask_b32_e64 v12, v12, v4, s[0:1]
; %bb.177:                              ;   in Loop: Header=BB337_84 Depth=1
	s_or_b64 exec, exec, s[16:17]
	v_lshrrev_b32_e32 v4, 16, v3
	v_cmp_ne_u16_sdwa s[0:1], v4, v13 src0_sel:BYTE_0 src1_sel:DWORD
	v_mov_b32_e32 v29, 0
	s_and_saveexec_b64 s[16:17], s[0:1]
	s_cbranch_execz .LBB337_183
; %bb.178:                              ;   in Loop: Header=BB337_84 Depth=1
	v_cmp_ne_u16_sdwa s[0:1], v4, s28 src0_sel:BYTE_0 src1_sel:DWORD
	v_bfrev_b32_e32 v29, 1
	s_and_saveexec_b64 s[18:19], s[0:1]
	s_cbranch_execz .LBB337_182
; %bb.179:                              ;   in Loop: Header=BB337_84 Depth=1
	v_bfe_u32 v30, v3, 16, 7
	v_cmp_ne_u32_e64 s[0:1], s30, v30
	v_mov_b32_e32 v29, 0x7f800001
	s_and_saveexec_b64 s[20:21], s[0:1]
	s_cbranch_execz .LBB337_181
; %bb.180:                              ;   in Loop: Header=BB337_84 Depth=1
	v_and_b32_e32 v29, 7, v4
	v_ffbh_u32_e32 v32, v29
	v_min_u32_e32 v34, 32, v32
	v_subrev_u32_e32 v32, 28, v34
	v_lshlrev_b64 v[32:33], v32, v[4:5]
	v_lshrrev_b32_e32 v31, 3, v30
	v_sub_u32_e32 v33, 29, v34
	v_and_b32_e32 v32, 7, v32
	v_cmp_gt_u32_e64 s[0:1], 8, v30
	v_cndmask_b32_e64 v30, v31, v33, s[0:1]
	v_cndmask_b32_e64 v29, v29, v32, s[0:1]
	v_lshlrev_b32_e32 v4, 24, v4
	v_lshlrev_b32_e32 v29, 20, v29
	v_and_b32_e32 v4, 0x80000000, v4
	v_lshl_add_u32 v30, v30, 23, v11
	v_or3_b32 v29, v4, v30, v29
.LBB337_181:                            ;   in Loop: Header=BB337_84 Depth=1
	s_or_b64 exec, exec, s[20:21]
.LBB337_182:                            ;   in Loop: Header=BB337_84 Depth=1
	s_or_b64 exec, exec, s[18:19]
.LBB337_183:                            ;   in Loop: Header=BB337_84 Depth=1
	s_or_b64 exec, exec, s[16:17]
	v_mul_f32_e32 v29, s31, v29
	v_and_b32_e32 v4, 0x7f800000, v29
	v_cmp_ne_u32_e64 s[0:1], s22, v4
                                        ; implicit-def: $vgpr4
	s_and_saveexec_b64 s[16:17], s[0:1]
	s_xor_b64 s[0:1], exec, s[16:17]
; %bb.184:                              ;   in Loop: Header=BB337_84 Depth=1
	v_bfe_u32 v4, v29, 16, 1
	v_add3_u32 v4, v29, v4, s23
                                        ; implicit-def: $vgpr29
; %bb.185:                              ;   in Loop: Header=BB337_84 Depth=1
	s_andn2_saveexec_b64 s[16:17], s[0:1]
; %bb.186:                              ;   in Loop: Header=BB337_84 Depth=1
	v_or_b32_e32 v4, 0x10000, v29
	v_cmp_eq_u32_sdwa s[0:1], v29, v13 src0_sel:WORD_0 src1_sel:DWORD
	v_cndmask_b32_e64 v4, v4, v29, s[0:1]
; %bb.187:                              ;   in Loop: Header=BB337_84 Depth=1
	s_or_b64 exec, exec, s[16:17]
	v_cmp_lt_u64_e64 s[0:1], s[6:7], v[2:3]
	v_mov_b32_e32 v29, 0
	s_and_saveexec_b64 s[16:17], s[0:1]
	s_cbranch_execz .LBB337_193
; %bb.188:                              ;   in Loop: Header=BB337_84 Depth=1
	v_lshrrev_b32_e32 v2, 24, v3
	v_cmp_ne_u32_e64 s[0:1], s28, v2
	v_bfrev_b32_e32 v29, 1
	s_and_saveexec_b64 s[18:19], s[0:1]
	s_cbranch_execz .LBB337_192
; %bb.189:                              ;   in Loop: Header=BB337_84 Depth=1
	v_bfe_u32 v3, v3, 24, 7
	v_cmp_ne_u32_e64 s[0:1], s30, v3
	v_mov_b32_e32 v29, 0x7f800001
	s_and_saveexec_b64 s[20:21], s[0:1]
	s_cbranch_execz .LBB337_191
; %bb.190:                              ;   in Loop: Header=BB337_84 Depth=1
	v_and_b32_e32 v29, 7, v2
	v_ffbh_u32_e32 v30, v29
	v_min_u32_e32 v33, 32, v30
	v_subrev_u32_e32 v30, 28, v33
	v_lshlrev_b64 v[30:31], v30, v[2:3]
	v_lshrrev_b32_e32 v32, 3, v3
	v_sub_u32_e32 v31, 29, v33
	v_and_b32_e32 v30, 7, v30
	v_cmp_gt_u32_e64 s[0:1], 8, v3
	v_cndmask_b32_e64 v3, v32, v31, s[0:1]
	v_cndmask_b32_e64 v29, v29, v30, s[0:1]
	v_lshlrev_b32_e32 v2, 24, v2
	v_lshlrev_b32_e32 v29, 20, v29
	v_and_b32_e32 v2, 0x80000000, v2
	v_lshl_add_u32 v3, v3, 23, v11
	v_or3_b32 v29, v2, v3, v29
.LBB337_191:                            ;   in Loop: Header=BB337_84 Depth=1
	s_or_b64 exec, exec, s[20:21]
.LBB337_192:                            ;   in Loop: Header=BB337_84 Depth=1
	s_or_b64 exec, exec, s[18:19]
.LBB337_193:                            ;   in Loop: Header=BB337_84 Depth=1
	s_or_b64 exec, exec, s[16:17]
	v_mul_f32_e32 v3, s31, v29
	v_and_b32_e32 v2, 0x7f800000, v3
	v_cmp_ne_u32_e64 s[0:1], s22, v2
                                        ; implicit-def: $vgpr2
	s_and_saveexec_b64 s[16:17], s[0:1]
	s_xor_b64 s[0:1], exec, s[16:17]
; %bb.194:                              ;   in Loop: Header=BB337_84 Depth=1
	v_bfe_u32 v2, v3, 16, 1
	v_add3_u32 v2, v3, v2, s23
                                        ; implicit-def: $vgpr3
; %bb.195:                              ;   in Loop: Header=BB337_84 Depth=1
	s_andn2_saveexec_b64 s[16:17], s[0:1]
; %bb.196:                              ;   in Loop: Header=BB337_84 Depth=1
	v_or_b32_e32 v2, 0x10000, v3
	v_cmp_eq_u32_sdwa s[0:1], v3, v13 src0_sel:WORD_0 src1_sel:DWORD
	v_cndmask_b32_e64 v2, v2, v3, s[0:1]
; %bb.197:                              ;   in Loop: Header=BB337_84 Depth=1
	s_or_b64 exec, exec, s[16:17]
	v_lshrrev_b32_e32 v12, 16, v12
	v_lshrrev_b32_e32 v28, 16, v28
	;; [unrolled: 1-line block ×8, first 2 shown]
	v_cmp_eq_u32_e64 s[0:1], s9, v10
	s_and_saveexec_b64 s[16:17], s[0:1]
	s_cbranch_execz .LBB337_199
; %bb.198:                              ;   in Loop: Header=BB337_84 Depth=1
	v_add_u32_e32 v5, -7, v19
	v_cmp_gt_i32_e64 s[0:1], s29, v5
	v_add_u32_e32 v5, -6, v19
	v_cndmask_b32_e64 v3, 0, v3, s[0:1]
	v_cmp_gt_i32_e64 s[0:1], s29, v5
	v_add_u32_e32 v5, -5, v19
	v_cndmask_b32_e64 v25, 0, v25, s[0:1]
	;; [unrolled: 3-line block ×6, first 2 shown]
	v_cmp_gt_i32_e64 s[0:1], s29, v5
	v_cndmask_b32_e64 v4, 0, v4, s[0:1]
	v_cmp_gt_i32_e64 s[0:1], s29, v19
	v_cndmask_b32_e64 v2, 0, v2, s[0:1]
.LBB337_199:                            ;   in Loop: Header=BB337_84 Depth=1
	s_or_b64 exec, exec, s[16:17]
	v_and_b32_e32 v5, 0xffff0000, v24
	v_lshlrev_b32_e32 v3, 16, v3
	v_mul_f32_e32 v5, v5, v3
	v_and_b32_e32 v3, 0x7f800000, v5
	v_cmp_ne_u32_e64 s[0:1], s22, v3
                                        ; implicit-def: $vgpr3
	s_and_saveexec_b64 s[16:17], s[0:1]
	s_xor_b64 s[0:1], exec, s[16:17]
; %bb.200:                              ;   in Loop: Header=BB337_84 Depth=1
	v_bfe_u32 v3, v5, 16, 1
	v_add3_u32 v3, v5, v3, s23
                                        ; implicit-def: $vgpr5
; %bb.201:                              ;   in Loop: Header=BB337_84 Depth=1
	s_andn2_saveexec_b64 s[16:17], s[0:1]
; %bb.202:                              ;   in Loop: Header=BB337_84 Depth=1
	v_or_b32_e32 v3, 0x10000, v5
	v_cmp_eq_u32_sdwa s[0:1], v5, v13 src0_sel:WORD_0 src1_sel:DWORD
	v_cndmask_b32_e64 v3, v3, v5, s[0:1]
; %bb.203:                              ;   in Loop: Header=BB337_84 Depth=1
	s_or_b64 exec, exec, s[16:17]
	v_and_b32_e32 v5, 0xffff0000, v23
	v_lshlrev_b32_e32 v23, 16, v25
	v_mul_f32_e32 v23, v5, v23
	v_and_b32_e32 v5, 0x7f800000, v23
	v_cmp_ne_u32_e64 s[0:1], s22, v5
                                        ; implicit-def: $vgpr5
	s_and_saveexec_b64 s[16:17], s[0:1]
	s_xor_b64 s[0:1], exec, s[16:17]
; %bb.204:                              ;   in Loop: Header=BB337_84 Depth=1
	v_bfe_u32 v5, v23, 16, 1
	v_add3_u32 v5, v23, v5, s23
                                        ; implicit-def: $vgpr23
; %bb.205:                              ;   in Loop: Header=BB337_84 Depth=1
	s_andn2_saveexec_b64 s[16:17], s[0:1]
; %bb.206:                              ;   in Loop: Header=BB337_84 Depth=1
	v_or_b32_e32 v5, 0x10000, v23
	v_cmp_eq_u32_sdwa s[0:1], v23, v13 src0_sel:WORD_0 src1_sel:DWORD
	v_cndmask_b32_e64 v5, v5, v23, s[0:1]
; %bb.207:                              ;   in Loop: Header=BB337_84 Depth=1
	s_or_b64 exec, exec, s[16:17]
	v_and_b32_e32 v22, 0xffff0000, v22
	v_lshlrev_b32_e32 v23, 16, v26
	v_mul_f32_e32 v23, v22, v23
	v_and_b32_e32 v22, 0x7f800000, v23
	v_cmp_ne_u32_e64 s[0:1], s22, v22
                                        ; implicit-def: $vgpr22
	s_and_saveexec_b64 s[16:17], s[0:1]
	s_xor_b64 s[0:1], exec, s[16:17]
; %bb.208:                              ;   in Loop: Header=BB337_84 Depth=1
	v_bfe_u32 v22, v23, 16, 1
	v_add3_u32 v22, v23, v22, s23
                                        ; implicit-def: $vgpr23
; %bb.209:                              ;   in Loop: Header=BB337_84 Depth=1
	s_andn2_saveexec_b64 s[16:17], s[0:1]
; %bb.210:                              ;   in Loop: Header=BB337_84 Depth=1
	v_or_b32_e32 v22, 0x10000, v23
	v_cmp_eq_u32_sdwa s[0:1], v23, v13 src0_sel:WORD_0 src1_sel:DWORD
	v_cndmask_b32_e64 v22, v22, v23, s[0:1]
; %bb.211:                              ;   in Loop: Header=BB337_84 Depth=1
	s_or_b64 exec, exec, s[16:17]
	v_and_b32_e32 v21, 0xffff0000, v21
	v_lshlrev_b32_e32 v23, 16, v27
	v_mul_f32_e32 v23, v21, v23
	v_and_b32_e32 v21, 0x7f800000, v23
	v_cmp_ne_u32_e64 s[0:1], s22, v21
                                        ; implicit-def: $vgpr21
	s_and_saveexec_b64 s[16:17], s[0:1]
	s_xor_b64 s[0:1], exec, s[16:17]
; %bb.212:                              ;   in Loop: Header=BB337_84 Depth=1
	v_bfe_u32 v21, v23, 16, 1
	v_add3_u32 v21, v23, v21, s23
                                        ; implicit-def: $vgpr23
; %bb.213:                              ;   in Loop: Header=BB337_84 Depth=1
	s_andn2_saveexec_b64 s[16:17], s[0:1]
; %bb.214:                              ;   in Loop: Header=BB337_84 Depth=1
	v_or_b32_e32 v21, 0x10000, v23
	v_cmp_eq_u32_sdwa s[0:1], v23, v13 src0_sel:WORD_0 src1_sel:DWORD
	v_cndmask_b32_e64 v21, v21, v23, s[0:1]
; %bb.215:                              ;   in Loop: Header=BB337_84 Depth=1
	s_or_b64 exec, exec, s[16:17]
	v_and_b32_e32 v9, 0xffff0000, v9
	v_lshlrev_b32_e32 v23, 16, v28
	v_mul_f32_e32 v23, v9, v23
	v_and_b32_e32 v9, 0x7f800000, v23
	v_cmp_ne_u32_e64 s[0:1], s22, v9
                                        ; implicit-def: $vgpr9
	s_and_saveexec_b64 s[16:17], s[0:1]
	s_xor_b64 s[0:1], exec, s[16:17]
; %bb.216:                              ;   in Loop: Header=BB337_84 Depth=1
	v_bfe_u32 v9, v23, 16, 1
	v_add3_u32 v9, v23, v9, s23
                                        ; implicit-def: $vgpr23
; %bb.217:                              ;   in Loop: Header=BB337_84 Depth=1
	s_andn2_saveexec_b64 s[16:17], s[0:1]
; %bb.218:                              ;   in Loop: Header=BB337_84 Depth=1
	v_or_b32_e32 v9, 0x10000, v23
	v_cmp_eq_u32_sdwa s[0:1], v23, v13 src0_sel:WORD_0 src1_sel:DWORD
	v_cndmask_b32_e64 v9, v9, v23, s[0:1]
; %bb.219:                              ;   in Loop: Header=BB337_84 Depth=1
	s_or_b64 exec, exec, s[16:17]
	v_and_b32_e32 v8, 0xffff0000, v8
	v_lshlrev_b32_e32 v12, 16, v12
	v_mul_f32_e32 v12, v8, v12
	v_and_b32_e32 v8, 0x7f800000, v12
	v_cmp_ne_u32_e64 s[0:1], s22, v8
                                        ; implicit-def: $vgpr8
	s_and_saveexec_b64 s[16:17], s[0:1]
	s_xor_b64 s[0:1], exec, s[16:17]
; %bb.220:                              ;   in Loop: Header=BB337_84 Depth=1
	v_bfe_u32 v8, v12, 16, 1
	v_add3_u32 v8, v12, v8, s23
                                        ; implicit-def: $vgpr12
; %bb.221:                              ;   in Loop: Header=BB337_84 Depth=1
	s_andn2_saveexec_b64 s[16:17], s[0:1]
; %bb.222:                              ;   in Loop: Header=BB337_84 Depth=1
	v_or_b32_e32 v8, 0x10000, v12
	v_cmp_eq_u32_sdwa s[0:1], v12, v13 src0_sel:WORD_0 src1_sel:DWORD
	v_cndmask_b32_e64 v8, v8, v12, s[0:1]
; %bb.223:                              ;   in Loop: Header=BB337_84 Depth=1
	s_or_b64 exec, exec, s[16:17]
	v_and_b32_e32 v7, 0xffff0000, v7
	v_lshlrev_b32_e32 v4, 16, v4
	v_mul_f32_e32 v7, v7, v4
	v_and_b32_e32 v4, 0x7f800000, v7
	v_cmp_ne_u32_e64 s[0:1], s22, v4
                                        ; implicit-def: $vgpr4
	s_and_saveexec_b64 s[16:17], s[0:1]
	s_xor_b64 s[0:1], exec, s[16:17]
; %bb.224:                              ;   in Loop: Header=BB337_84 Depth=1
	v_bfe_u32 v4, v7, 16, 1
	v_add3_u32 v4, v7, v4, s23
                                        ; implicit-def: $vgpr7
; %bb.225:                              ;   in Loop: Header=BB337_84 Depth=1
	s_andn2_saveexec_b64 s[16:17], s[0:1]
; %bb.226:                              ;   in Loop: Header=BB337_84 Depth=1
	v_or_b32_e32 v4, 0x10000, v7
	v_cmp_eq_u32_sdwa s[0:1], v7, v13 src0_sel:WORD_0 src1_sel:DWORD
	v_cndmask_b32_e64 v4, v4, v7, s[0:1]
; %bb.227:                              ;   in Loop: Header=BB337_84 Depth=1
	s_or_b64 exec, exec, s[16:17]
	v_and_b32_e32 v6, 0xffff0000, v6
	v_lshlrev_b32_e32 v2, 16, v2
	v_mul_f32_e32 v2, v6, v2
	v_and_b32_e32 v6, 0x7f800000, v2
	v_cmp_ne_u32_e64 s[0:1], s22, v6
                                        ; implicit-def: $vgpr6
	s_and_saveexec_b64 s[16:17], s[0:1]
	s_xor_b64 s[0:1], exec, s[16:17]
; %bb.228:                              ;   in Loop: Header=BB337_84 Depth=1
	v_bfe_u32 v6, v2, 16, 1
	v_add3_u32 v6, v2, v6, s23
                                        ; implicit-def: $vgpr2
; %bb.229:                              ;   in Loop: Header=BB337_84 Depth=1
	s_andn2_saveexec_b64 s[16:17], s[0:1]
	s_cbranch_execz .LBB337_82
; %bb.230:                              ;   in Loop: Header=BB337_84 Depth=1
	v_or_b32_e32 v6, 0x10000, v2
	v_cmp_eq_u32_sdwa s[0:1], v2, v13 src0_sel:WORD_0 src1_sel:DWORD
	v_cndmask_b32_e64 v6, v6, v2, s[0:1]
	s_branch .LBB337_82
.LBB337_231:
	s_or_b64 exec, exec, s[10:11]
.LBB337_232:
	s_or_b64 exec, exec, s[4:5]
	v_and_b32_e32 v2, 0x3c0, v0
	v_cmp_eq_u32_e64 s[0:1], 64, v2
	v_cmp_gt_u32_e32 vcc, 32, v1
	s_and_b64 s[4:5], s[0:1], vcc
	s_barrier
	s_and_saveexec_b64 s[0:1], s[4:5]
	s_cbranch_execz .LBB337_234
; %bb.233:
	v_mov_b32_e32 v2, 0x50
	v_lshl_add_u32 v2, v1, 2, v2
	ds_write_b32 v2, v18
.LBB337_234:
	s_or_b64 exec, exec, s[0:1]
	v_cmp_gt_u32_e64 s[0:1], 64, v0
	s_and_b64 s[0:1], s[0:1], vcc
	s_waitcnt lgkmcnt(0)
	s_barrier
	s_and_saveexec_b64 s[4:5], s[0:1]
	s_cbranch_execz .LBB337_236
; %bb.235:
	v_mov_b32_e32 v0, 0x50
	v_lshl_add_u32 v0, v1, 2, v0
	ds_read_b32 v0, v0
	s_waitcnt lgkmcnt(0)
	v_add_f32_e32 v18, v18, v0
.LBB337_236:
	s_or_b64 exec, exec, s[4:5]
	s_barrier
	s_and_saveexec_b64 s[4:5], s[0:1]
	s_cbranch_execz .LBB337_242
; %bb.237:
	s_mov_b32 s0, 0x7f800000
	v_and_b32_e32 v0, 0x7f800000, v18
	v_cmp_ne_u32_e32 vcc, s0, v0
                                        ; implicit-def: $vgpr0
	s_and_saveexec_b64 s[0:1], vcc
	s_xor_b64 s[0:1], exec, s[0:1]
; %bb.238:
	v_bfe_u32 v0, v18, 16, 1
	s_movk_i32 s3, 0x7fff
	v_add3_u32 v0, v18, v0, s3
                                        ; implicit-def: $vgpr18
; %bb.239:
	s_andn2_saveexec_b64 s[0:1], s[0:1]
; %bb.240:
	v_mov_b32_e32 v0, 0
	v_or_b32_e32 v2, 0x10000, v18
	v_cmp_eq_u32_sdwa vcc, v18, v0 src0_sel:WORD_0 src1_sel:DWORD
	v_cndmask_b32_e32 v0, v2, v18, vcc
; %bb.241:
	s_or_b64 exec, exec, s[0:1]
	s_lshl_b32 s0, s2, 5
	s_ashr_i32 s1, s0, 31
	s_lshl_b64 s[0:1], s[0:1], 1
	s_add_u32 s2, s26, s0
	s_mul_i32 s0, s25, s24
	s_addc_u32 s3, s27, s1
	s_ashr_i32 s1, s0, 31
	s_lshl_b64 s[0:1], s[0:1], 1
	s_add_u32 s2, s2, s0
	s_addc_u32 s3, s3, s1
	s_lshl_b32 s0, s8, 5
	s_ashr_i32 s1, s0, 31
	s_lshl_b64 s[0:1], s[0:1], 1
	s_add_u32 s0, s2, s0
	s_addc_u32 s1, s3, s1
	v_lshlrev_b32_e32 v1, 1, v1
	global_store_short_d16_hi v1, v0, s[0:1]
.LBB337_242:
	s_endpgm
	.section	.rodata,"a",@progbits
	.p2align	6, 0x0
	.amdhsa_kernel _ZN4vllm25paged_attention_v2_kernelI14__hip_bfloat16hLi32ELi8ELi128ELNS_18Fp8KVCacheDataTypeE1ELb0ELi512EEEvPfS3_PT_PKS4_PKT0_SA_ifPKiSC_iPKfiiiSE_SE_iiiii
		.amdhsa_group_segment_fixed_size 80
		.amdhsa_private_segment_fixed_size 0
		.amdhsa_kernarg_size 400
		.amdhsa_user_sgpr_count 6
		.amdhsa_user_sgpr_private_segment_buffer 1
		.amdhsa_user_sgpr_dispatch_ptr 0
		.amdhsa_user_sgpr_queue_ptr 0
		.amdhsa_user_sgpr_kernarg_segment_ptr 1
		.amdhsa_user_sgpr_dispatch_id 0
		.amdhsa_user_sgpr_flat_scratch_init 0
		.amdhsa_user_sgpr_kernarg_preload_length 0
		.amdhsa_user_sgpr_kernarg_preload_offset 0
		.amdhsa_user_sgpr_private_segment_size 0
		.amdhsa_uses_dynamic_stack 0
		.amdhsa_system_sgpr_private_segment_wavefront_offset 0
		.amdhsa_system_sgpr_workgroup_id_x 1
		.amdhsa_system_sgpr_workgroup_id_y 1
		.amdhsa_system_sgpr_workgroup_id_z 1
		.amdhsa_system_sgpr_workgroup_info 0
		.amdhsa_system_vgpr_workitem_id 0
		.amdhsa_next_free_vgpr 37
		.amdhsa_next_free_sgpr 53
		.amdhsa_accum_offset 40
		.amdhsa_reserve_vcc 1
		.amdhsa_reserve_flat_scratch 0
		.amdhsa_float_round_mode_32 0
		.amdhsa_float_round_mode_16_64 0
		.amdhsa_float_denorm_mode_32 3
		.amdhsa_float_denorm_mode_16_64 3
		.amdhsa_dx10_clamp 1
		.amdhsa_ieee_mode 1
		.amdhsa_fp16_overflow 0
		.amdhsa_tg_split 0
		.amdhsa_exception_fp_ieee_invalid_op 0
		.amdhsa_exception_fp_denorm_src 0
		.amdhsa_exception_fp_ieee_div_zero 0
		.amdhsa_exception_fp_ieee_overflow 0
		.amdhsa_exception_fp_ieee_underflow 0
		.amdhsa_exception_fp_ieee_inexact 0
		.amdhsa_exception_int_div_zero 0
	.end_amdhsa_kernel
	.section	.text._ZN4vllm25paged_attention_v2_kernelI14__hip_bfloat16hLi32ELi8ELi128ELNS_18Fp8KVCacheDataTypeE1ELb0ELi512EEEvPfS3_PT_PKS4_PKT0_SA_ifPKiSC_iPKfiiiSE_SE_iiiii,"axG",@progbits,_ZN4vllm25paged_attention_v2_kernelI14__hip_bfloat16hLi32ELi8ELi128ELNS_18Fp8KVCacheDataTypeE1ELb0ELi512EEEvPfS3_PT_PKS4_PKT0_SA_ifPKiSC_iPKfiiiSE_SE_iiiii,comdat
.Lfunc_end337:
	.size	_ZN4vllm25paged_attention_v2_kernelI14__hip_bfloat16hLi32ELi8ELi128ELNS_18Fp8KVCacheDataTypeE1ELb0ELi512EEEvPfS3_PT_PKS4_PKT0_SA_ifPKiSC_iPKfiiiSE_SE_iiiii, .Lfunc_end337-_ZN4vllm25paged_attention_v2_kernelI14__hip_bfloat16hLi32ELi8ELi128ELNS_18Fp8KVCacheDataTypeE1ELb0ELi512EEEvPfS3_PT_PKS4_PKT0_SA_ifPKiSC_iPKfiiiSE_SE_iiiii
                                        ; -- End function
	.section	.AMDGPU.csdata,"",@progbits
; Kernel info:
; codeLenInByte = 8052
; NumSgprs: 57
; NumVgprs: 37
; NumAgprs: 0
; TotalNumVgprs: 37
; ScratchSize: 0
; MemoryBound: 0
; FloatMode: 240
; IeeeMode: 1
; LDSByteSize: 80 bytes/workgroup (compile time only)
; SGPRBlocks: 7
; VGPRBlocks: 4
; NumSGPRsForWavesPerEU: 57
; NumVGPRsForWavesPerEU: 37
; AccumOffset: 40
; Occupancy: 8
; WaveLimiterHint : 1
; COMPUTE_PGM_RSRC2:SCRATCH_EN: 0
; COMPUTE_PGM_RSRC2:USER_SGPR: 6
; COMPUTE_PGM_RSRC2:TRAP_HANDLER: 0
; COMPUTE_PGM_RSRC2:TGID_X_EN: 1
; COMPUTE_PGM_RSRC2:TGID_Y_EN: 1
; COMPUTE_PGM_RSRC2:TGID_Z_EN: 1
; COMPUTE_PGM_RSRC2:TIDIG_COMP_CNT: 0
; COMPUTE_PGM_RSRC3_GFX90A:ACCUM_OFFSET: 9
; COMPUTE_PGM_RSRC3_GFX90A:TG_SPLIT: 0
	.section	.text._ZN4vllm25paged_attention_v2_kernelI14__hip_bfloat16hLi64ELi8ELi128ELNS_18Fp8KVCacheDataTypeE1ELb0ELi512EEEvPfS3_PT_PKS4_PKT0_SA_ifPKiSC_iPKfiiiSE_SE_iiiii,"axG",@progbits,_ZN4vllm25paged_attention_v2_kernelI14__hip_bfloat16hLi64ELi8ELi128ELNS_18Fp8KVCacheDataTypeE1ELb0ELi512EEEvPfS3_PT_PKS4_PKT0_SA_ifPKiSC_iPKfiiiSE_SE_iiiii,comdat
	.protected	_ZN4vllm25paged_attention_v2_kernelI14__hip_bfloat16hLi64ELi8ELi128ELNS_18Fp8KVCacheDataTypeE1ELb0ELi512EEEvPfS3_PT_PKS4_PKT0_SA_ifPKiSC_iPKfiiiSE_SE_iiiii ; -- Begin function _ZN4vllm25paged_attention_v2_kernelI14__hip_bfloat16hLi64ELi8ELi128ELNS_18Fp8KVCacheDataTypeE1ELb0ELi512EEEvPfS3_PT_PKS4_PKT0_SA_ifPKiSC_iPKfiiiSE_SE_iiiii
	.globl	_ZN4vllm25paged_attention_v2_kernelI14__hip_bfloat16hLi64ELi8ELi128ELNS_18Fp8KVCacheDataTypeE1ELb0ELi512EEEvPfS3_PT_PKS4_PKT0_SA_ifPKiSC_iPKfiiiSE_SE_iiiii
	.p2align	8
	.type	_ZN4vllm25paged_attention_v2_kernelI14__hip_bfloat16hLi64ELi8ELi128ELNS_18Fp8KVCacheDataTypeE1ELb0ELi512EEEvPfS3_PT_PKS4_PKT0_SA_ifPKiSC_iPKfiiiSE_SE_iiiii,@function
_ZN4vllm25paged_attention_v2_kernelI14__hip_bfloat16hLi64ELi8ELi128ELNS_18Fp8KVCacheDataTypeE1ELb0ELi512EEEvPfS3_PT_PKS4_PKT0_SA_ifPKiSC_iPKfiiiSE_SE_iiiii: ; @_ZN4vllm25paged_attention_v2_kernelI14__hip_bfloat16hLi64ELi8ELi128ELNS_18Fp8KVCacheDataTypeE1ELb0ELi512EEEvPfS3_PT_PKS4_PKT0_SA_ifPKiSC_iPKfiiiSE_SE_iiiii
; %bb.0:
	s_load_dwordx2 s[0:1], s[4:5], 0x40
	s_mov_b32 s28, s7
	s_ashr_i32 s29, s7, 31
	s_lshl_b64 s[2:3], s[28:29], 2
	s_waitcnt lgkmcnt(0)
	s_add_u32 s0, s0, s2
	s_addc_u32 s1, s1, s3
	s_load_dword s29, s[0:1], 0x0
	s_lshl_b32 s46, s8, 9
	s_waitcnt lgkmcnt(0)
	s_cmp_ge_i32 s46, s29
	s_cbranch_scc1 .LBB338_280
; %bb.1:
	s_load_dword s9, s[4:5], 0x90
	s_load_dwordx2 s[38:39], s[4:5], 0x30
	s_waitcnt lgkmcnt(0)
	s_abs_i32 s2, s9
	s_abs_i32 s0, s38
	v_cvt_f32_u32_e32 v1, s0
	s_sub_i32 s3, 0, s0
	s_xor_b32 s1, s9, s38
	s_ashr_i32 s1, s1, 31
	v_rcp_iflag_f32_e32 v1, v1
	v_mul_f32_e32 v1, 0x4f7ffffe, v1
	v_cvt_u32_f32_e32 v1, v1
	v_readfirstlane_b32 s7, v1
	s_mul_i32 s3, s3, s7
	s_mul_hi_u32 s3, s7, s3
	s_add_i32 s7, s7, s3
	s_mul_hi_u32 s3, s2, s7
	s_mul_i32 s7, s3, s0
	s_sub_i32 s2, s2, s7
	s_add_i32 s10, s3, 1
	s_sub_i32 s7, s2, s0
	s_cmp_ge_u32 s2, s0
	s_cselect_b32 s3, s10, s3
	s_cselect_b32 s2, s7, s2
	s_add_i32 s7, s3, 1
	s_cmp_ge_u32 s2, s0
	s_cselect_b32 s0, s7, s3
	s_xor_b32 s0, s0, s1
	s_sub_i32 s2, s0, s1
	s_abs_i32 s10, s2
	v_cvt_f32_u32_e32 v1, s10
	s_load_dwordx2 s[0:1], s[4:5], 0x50
	s_sub_i32 s3, 0, s10
	s_abs_i32 s11, s6
	v_rcp_iflag_f32_e32 v1, v1
	s_mov_b32 s7, 0
	v_mul_f32_e32 v1, 0x4f7ffffe, v1
	v_cvt_u32_f32_e32 v1, v1
	v_readfirstlane_b32 s12, v1
	s_mul_i32 s3, s3, s12
	s_mul_hi_u32 s3, s12, s3
	s_add_i32 s12, s12, s3
	s_waitcnt lgkmcnt(0)
	s_cmp_eq_u64 s[0:1], 0
	s_mul_hi_u32 s12, s11, s12
	s_cbranch_scc1 .LBB338_3
; %bb.2:
	s_ashr_i32 s7, s6, 31
	s_lshl_b64 s[14:15], s[6:7], 2
	s_add_u32 s0, s0, s14
	s_addc_u32 s1, s1, s15
	s_load_dword s7, s[0:1], 0x0
.LBB338_3:
	s_load_dwordx4 s[16:19], s[4:5], 0x58
	s_ashr_i32 s13, s6, 31
	s_ashr_i32 s14, s2, 31
	v_and_b32_e32 v2, 7, v0
	s_lshl_b32 s24, s6, 6
	v_cmp_gt_u32_e64 s[0:1], 64, v0
	s_and_saveexec_b64 s[2:3], s[0:1]
	s_cbranch_execz .LBB338_5
; %bb.4:
	s_load_dwordx2 s[20:21], s[4:5], 0x18
	s_waitcnt lgkmcnt(0)
	s_mul_i32 s22, s28, s16
	s_ashr_i32 s23, s22, 31
	s_lshl_b64 s[22:23], s[22:23], 1
	v_lshlrev_b32_e32 v1, 1, v0
	s_add_u32 s15, s20, s22
	s_addc_u32 s16, s21, s23
	s_ashr_i32 s25, s24, 31
	s_lshl_b64 s[20:21], s[24:25], 1
	s_add_u32 s20, s15, s20
	s_addc_u32 s21, s16, s21
	global_load_ushort v1, v1, s[20:21]
	v_lshrrev_b32_e32 v3, 2, v0
	v_and_b32_e32 v3, 0xfe, v3
	v_lshl_add_u32 v3, v2, 4, v3
	s_waitcnt vmcnt(0)
	ds_write_b16 v3, v1
.LBB338_5:
	s_or_b64 exec, exec, s[2:3]
	s_add_i32 s2, s29, 7
	s_ashr_i32 s3, s2, 31
	s_lshr_b32 s3, s3, 29
	s_add_i32 s2, s2, s3
	s_waitcnt lgkmcnt(0)
	s_lshl_b32 s16, s8, 6
	s_mul_i32 s3, s12, s10
	s_ashr_i32 s47, s2, 3
	s_add_i32 s2, s16, 64
	s_sub_i32 s3, s11, s3
	s_min_i32 s33, s2, s47
	s_xor_b32 s2, s13, s14
	s_add_i32 s11, s12, 1
	s_sub_i32 s13, s3, s10
	s_cmp_ge_u32 s3, s10
	s_cselect_b32 s11, s11, s12
	s_cselect_b32 s3, s13, s3
	s_add_i32 s12, s11, 1
	s_cmp_ge_u32 s3, s10
	s_load_dwordx2 s[30:31], s[4:5], 0x38
	s_load_dword s10, s[4:5], 0x48
	v_lshrrev_b32_e32 v16, 6, v0
	s_cselect_b32 s3, s12, s11
	s_xor_b32 s3, s3, s2
	v_or_b32_e32 v10, s16, v16
	s_waitcnt lgkmcnt(0)
	s_mul_i32 s34, s28, s10
	s_sub_i32 s48, s3, s2
	s_ashr_i32 s35, s34, 31
	v_cmp_gt_i32_e64 s[2:3], s33, v10
	v_cmp_le_i32_e32 vcc, s33, v10
	v_mbcnt_lo_u32_b32 v6, -1, 0
	s_barrier
	s_waitcnt lgkmcnt(0)
                                        ; implicit-def: $sgpr19
                                        ; implicit-def: $vgpr3
                                        ; implicit-def: $vgpr13
	s_and_saveexec_b64 s[10:11], vcc
	s_xor_b64 s[10:11], exec, s[10:11]
; %bb.6:
	v_mbcnt_hi_u32_b32 v3, -1, v6
	v_and_b32_e32 v1, 64, v3
	v_add_u32_e32 v13, 64, v1
	s_mov_b32 s19, 0xff7fffff
                                        ; implicit-def: $vgpr2
                                        ; implicit-def: $vgpr6
; %bb.7:
	s_or_saveexec_b64 s[40:41], s[10:11]
	s_load_dwordx4 s[20:23], s[4:5], 0x0
	s_load_dwordx2 s[26:27], s[4:5], 0x10
	s_load_dword s25, s[4:5], 0x98
	s_load_dwordx2 s[36:37], s[4:5], 0x28
	s_load_dwordx4 s[12:15], s[4:5], 0x68
	v_mov_b32_e32 v24, s19
	s_mul_i32 s48, s48, s18
	v_ashrrev_i32_e32 v11, 31, v10
	v_lshlrev_b32_e32 v17, 3, v16
	s_xor_b64 exec, exec, s[40:41]
	s_cbranch_execz .LBB338_93
; %bb.8:
	s_load_dwordx2 s[4:5], s[4:5], 0x20
	v_bfe_u32 v7, v0, 3, 3
	s_ashr_i32 s10, s48, 31
	v_lshlrev_b32_e32 v3, 4, v7
	v_lshlrev_b32_e32 v4, 4, v2
	s_waitcnt lgkmcnt(0)
	s_add_u32 s4, s4, s48
	s_addc_u32 s5, s5, s10
	ds_read_b128 v[20:23], v4
	v_add_co_u32_e32 v4, vcc, s4, v3
	v_mbcnt_hi_u32_b32 v3, -1, v6
	v_mov_b32_e32 v5, s5
	v_and_b32_e32 v6, 64, v3
	v_addc_co_u32_e32 v5, vcc, 0, v5, vcc
	v_add_u32_e32 v13, 64, v6
	v_xor_b32_e32 v6, 4, v3
	v_cmp_lt_i32_e32 vcc, v6, v13
	v_cndmask_b32_e32 v6, v3, v6, vcc
	v_lshlrev_b32_e32 v25, 2, v6
	v_xor_b32_e32 v6, 2, v3
	v_cmp_lt_i32_e32 vcc, v6, v13
	v_cndmask_b32_e32 v6, v3, v6, vcc
	v_lshlrev_b32_e32 v26, 2, v6
	;; [unrolled: 4-line block ×3, first 2 shown]
	s_load_dword s49, s[12:13], 0x0
	s_sub_i32 s50, 1, s29
	v_lshlrev_b32_e32 v6, 2, v7
	s_lshl_b64 s[10:11], s[34:35], 2
	v_lshl_or_b32 v6, v16, 5, v6
	s_add_u32 s10, s30, s10
	v_add3_u32 v28, s46, v17, v7
	v_add_u32_e32 v29, 0x90, v6
	v_lshlrev_b64 v[6:7], 2, v[10:11]
	s_addc_u32 s11, s31, s11
	v_mov_b32_e32 v8, s11
	v_add_co_u32_e64 v6, s[10:11], s10, v6
	s_mov_b32 s38, s17
	v_mov_b32_e32 v1, 0
	s_waitcnt lgkmcnt(0)
	v_lshlrev_b32_e32 v14, 16, v20
	v_and_b32_e32 v15, 0xffff0000, v20
	v_lshlrev_b32_e32 v18, 16, v21
	v_and_b32_e32 v19, 0xffff0000, v21
	;; [unrolled: 2-line block ×4, first 2 shown]
	v_cmp_eq_u32_e32 vcc, 0, v2
	v_cmp_neq_f32_e64 s[4:5], s7, 0
	v_addc_co_u32_e64 v7, s[10:11], v8, v7, s[10:11]
	s_mov_b64 s[12:13], 0
	v_mov_b32_e32 v24, 0xff7fffff
	s_movk_i32 s51, 0x80
	s_movk_i32 s52, 0x7f
	s_mov_b32 s53, 0x7f800000
	s_movk_i32 s54, 0x7fff
	v_bfrev_b32_e32 v30, 60
	v_mov_b32_e32 v31, v10
	s_branch .LBB338_10
.LBB338_9:                              ;   in Loop: Header=BB338_10 Depth=1
	s_or_b64 exec, exec, s[18:19]
	v_add_u32_e32 v31, 2, v31
	v_cmp_le_i32_e64 s[10:11], s33, v31
	s_or_b64 s[12:13], s[10:11], s[12:13]
	v_add_co_u32_e64 v6, s[10:11], 8, v6
	v_add_u32_e32 v28, 16, v28
	v_add_u32_e32 v29, 64, v29
	v_addc_co_u32_e64 v7, s[10:11], 0, v7, s[10:11]
	s_andn2_b64 exec, exec, s[12:13]
	s_cbranch_execz .LBB338_92
.LBB338_10:                             ; =>This Inner Loop Header: Depth=1
	global_load_dword v8, v[6:7], off
	v_mov_b32_e32 v33, 0
	s_waitcnt vmcnt(0) lgkmcnt(0)
	v_mad_i64_i32 v[8:9], s[10:11], v8, s38, v[4:5]
	v_add_co_u32_e64 v8, s[10:11], v8, v2
	v_addc_co_u32_e64 v9, s[10:11], 0, v9, s[10:11]
	global_load_ubyte v32, v[8:9], off
	s_waitcnt vmcnt(0)
	v_cmp_ne_u16_e64 s[10:11], 0, v32
	s_and_saveexec_b64 s[18:19], s[10:11]
	s_cbranch_execz .LBB338_16
; %bb.11:                               ;   in Loop: Header=BB338_10 Depth=1
	v_cmp_ne_u16_e64 s[10:11], s51, v32
	v_bfrev_b32_e32 v33, 1
	s_and_saveexec_b64 s[42:43], s[10:11]
	s_cbranch_execz .LBB338_15
; %bb.12:                               ;   in Loop: Header=BB338_10 Depth=1
	v_and_b32_e32 v12, 0xffff, v32
	v_and_b32_e32 v34, 0x7f, v12
	v_cmp_ne_u32_e64 s[10:11], s52, v34
	v_mov_b32_e32 v33, 0x7f800001
	s_and_saveexec_b64 s[44:45], s[10:11]
	s_cbranch_execz .LBB338_14
; %bb.13:                               ;   in Loop: Header=BB338_10 Depth=1
	v_and_b32_e32 v33, 7, v12
	v_ffbh_u32_e32 v36, v33
	v_min_u32_e32 v38, 32, v36
	v_subrev_u32_e32 v36, 28, v38
	v_lshlrev_b64 v[36:37], v36, v[12:13]
	v_lshrrev_b32_e32 v35, 3, v34
	v_sub_u32_e32 v12, 29, v38
	v_and_b32_e32 v36, 7, v36
	v_cmp_gt_u32_e64 s[10:11], 8, v34
	v_cndmask_b32_e64 v12, v35, v12, s[10:11]
	v_cndmask_b32_e64 v33, v33, v36, s[10:11]
	v_lshlrev_b32_e32 v32, 24, v32
	v_lshlrev_b32_e32 v33, 20, v33
	v_and_b32_e32 v32, 0x80000000, v32
	v_lshl_add_u32 v12, v12, 23, v30
	v_or3_b32 v33, v32, v12, v33
.LBB338_14:                             ;   in Loop: Header=BB338_10 Depth=1
	s_or_b64 exec, exec, s[44:45]
.LBB338_15:                             ;   in Loop: Header=BB338_10 Depth=1
	s_or_b64 exec, exec, s[42:43]
.LBB338_16:                             ;   in Loop: Header=BB338_10 Depth=1
	s_or_b64 exec, exec, s[18:19]
	v_mul_f32_e32 v12, s49, v33
	v_and_b32_e32 v32, 0x7f800000, v12
	v_cmp_ne_u32_e64 s[10:11], s53, v32
                                        ; implicit-def: $vgpr32
	s_and_saveexec_b64 s[18:19], s[10:11]
	s_xor_b64 s[10:11], exec, s[18:19]
; %bb.17:                               ;   in Loop: Header=BB338_10 Depth=1
	v_bfe_u32 v32, v12, 16, 1
	v_add3_u32 v32, v12, v32, s54
                                        ; implicit-def: $vgpr12
; %bb.18:                               ;   in Loop: Header=BB338_10 Depth=1
	s_andn2_saveexec_b64 s[18:19], s[10:11]
; %bb.19:                               ;   in Loop: Header=BB338_10 Depth=1
	v_or_b32_e32 v32, 0x10000, v12
	v_cmp_eq_u32_sdwa s[10:11], v12, v1 src0_sel:WORD_0 src1_sel:DWORD
	v_cndmask_b32_e64 v32, v32, v12, s[10:11]
; %bb.20:                               ;   in Loop: Header=BB338_10 Depth=1
	s_or_b64 exec, exec, s[18:19]
	global_load_ubyte v33, v[8:9], off offset:8
	v_mov_b32_e32 v34, 0
	s_waitcnt vmcnt(0)
	v_cmp_ne_u16_e64 s[10:11], 0, v33
	s_and_saveexec_b64 s[18:19], s[10:11]
	s_cbranch_execz .LBB338_26
; %bb.21:                               ;   in Loop: Header=BB338_10 Depth=1
	v_cmp_ne_u16_e64 s[10:11], s51, v33
	v_bfrev_b32_e32 v34, 1
	s_and_saveexec_b64 s[42:43], s[10:11]
	s_cbranch_execz .LBB338_25
; %bb.22:                               ;   in Loop: Header=BB338_10 Depth=1
	v_and_b32_e32 v12, 0xffff, v33
	v_and_b32_e32 v35, 0x7f, v12
	v_cmp_ne_u32_e64 s[10:11], s52, v35
	v_mov_b32_e32 v34, 0x7f800001
	s_and_saveexec_b64 s[44:45], s[10:11]
	s_cbranch_execz .LBB338_24
; %bb.23:                               ;   in Loop: Header=BB338_10 Depth=1
	v_and_b32_e32 v34, 7, v12
	v_ffbh_u32_e32 v36, v34
	v_min_u32_e32 v39, 32, v36
	v_subrev_u32_e32 v36, 28, v39
	v_lshlrev_b64 v[36:37], v36, v[12:13]
	v_lshrrev_b32_e32 v38, 3, v35
	v_sub_u32_e32 v12, 29, v39
	v_and_b32_e32 v36, 7, v36
	v_cmp_gt_u32_e64 s[10:11], 8, v35
	v_cndmask_b32_e64 v12, v38, v12, s[10:11]
	v_cndmask_b32_e64 v34, v34, v36, s[10:11]
	v_lshlrev_b32_e32 v33, 24, v33
	v_lshlrev_b32_e32 v34, 20, v34
	v_and_b32_e32 v33, 0x80000000, v33
	v_lshl_add_u32 v12, v12, 23, v30
	v_or3_b32 v34, v33, v12, v34
.LBB338_24:                             ;   in Loop: Header=BB338_10 Depth=1
	s_or_b64 exec, exec, s[44:45]
.LBB338_25:                             ;   in Loop: Header=BB338_10 Depth=1
	s_or_b64 exec, exec, s[42:43]
.LBB338_26:                             ;   in Loop: Header=BB338_10 Depth=1
	s_or_b64 exec, exec, s[18:19]
	v_mul_f32_e32 v12, s49, v34
	v_and_b32_e32 v33, 0x7f800000, v12
	v_cmp_ne_u32_e64 s[10:11], s53, v33
                                        ; implicit-def: $vgpr33
	s_and_saveexec_b64 s[18:19], s[10:11]
	s_xor_b64 s[10:11], exec, s[18:19]
; %bb.27:                               ;   in Loop: Header=BB338_10 Depth=1
	v_bfe_u32 v33, v12, 16, 1
	v_add3_u32 v33, v12, v33, s54
                                        ; implicit-def: $vgpr12
; %bb.28:                               ;   in Loop: Header=BB338_10 Depth=1
	s_andn2_saveexec_b64 s[18:19], s[10:11]
; %bb.29:                               ;   in Loop: Header=BB338_10 Depth=1
	v_or_b32_e32 v33, 0x10000, v12
	v_cmp_eq_u32_sdwa s[10:11], v12, v1 src0_sel:WORD_0 src1_sel:DWORD
	v_cndmask_b32_e64 v33, v33, v12, s[10:11]
; %bb.30:                               ;   in Loop: Header=BB338_10 Depth=1
	s_or_b64 exec, exec, s[18:19]
	global_load_ubyte v34, v[8:9], off offset:128
	v_mov_b32_e32 v35, 0
	s_waitcnt vmcnt(0)
	v_cmp_ne_u16_e64 s[10:11], 0, v34
	s_and_saveexec_b64 s[18:19], s[10:11]
	s_cbranch_execz .LBB338_36
; %bb.31:                               ;   in Loop: Header=BB338_10 Depth=1
	v_cmp_ne_u16_e64 s[10:11], s51, v34
	v_bfrev_b32_e32 v35, 1
	s_and_saveexec_b64 s[42:43], s[10:11]
	s_cbranch_execz .LBB338_35
; %bb.32:                               ;   in Loop: Header=BB338_10 Depth=1
	v_and_b32_e32 v12, 0xffff, v34
	v_and_b32_e32 v36, 0x7f, v12
	v_cmp_ne_u32_e64 s[10:11], s52, v36
	v_mov_b32_e32 v35, 0x7f800001
	s_and_saveexec_b64 s[44:45], s[10:11]
	s_cbranch_execz .LBB338_34
; %bb.33:                               ;   in Loop: Header=BB338_10 Depth=1
	v_and_b32_e32 v35, 7, v12
	v_ffbh_u32_e32 v38, v35
	v_min_u32_e32 v40, 32, v38
	v_subrev_u32_e32 v38, 28, v40
	v_lshlrev_b64 v[38:39], v38, v[12:13]
	v_lshrrev_b32_e32 v37, 3, v36
	v_sub_u32_e32 v12, 29, v40
	v_and_b32_e32 v38, 7, v38
	v_cmp_gt_u32_e64 s[10:11], 8, v36
	v_cndmask_b32_e64 v12, v37, v12, s[10:11]
	v_cndmask_b32_e64 v35, v35, v38, s[10:11]
	v_lshlrev_b32_e32 v34, 24, v34
	v_lshlrev_b32_e32 v35, 20, v35
	v_and_b32_e32 v34, 0x80000000, v34
	v_lshl_add_u32 v12, v12, 23, v30
	v_or3_b32 v35, v34, v12, v35
.LBB338_34:                             ;   in Loop: Header=BB338_10 Depth=1
	s_or_b64 exec, exec, s[44:45]
.LBB338_35:                             ;   in Loop: Header=BB338_10 Depth=1
	s_or_b64 exec, exec, s[42:43]
.LBB338_36:                             ;   in Loop: Header=BB338_10 Depth=1
	s_or_b64 exec, exec, s[18:19]
	v_mul_f32_e32 v12, s49, v35
	v_and_b32_e32 v34, 0x7f800000, v12
	v_cmp_ne_u32_e64 s[10:11], s53, v34
                                        ; implicit-def: $vgpr34
	s_and_saveexec_b64 s[18:19], s[10:11]
	s_xor_b64 s[10:11], exec, s[18:19]
; %bb.37:                               ;   in Loop: Header=BB338_10 Depth=1
	v_bfe_u32 v34, v12, 16, 1
	v_add3_u32 v34, v12, v34, s54
                                        ; implicit-def: $vgpr12
; %bb.38:                               ;   in Loop: Header=BB338_10 Depth=1
	s_andn2_saveexec_b64 s[18:19], s[10:11]
; %bb.39:                               ;   in Loop: Header=BB338_10 Depth=1
	v_or_b32_e32 v34, 0x10000, v12
	v_cmp_eq_u32_sdwa s[10:11], v12, v1 src0_sel:WORD_0 src1_sel:DWORD
	v_cndmask_b32_e64 v34, v34, v12, s[10:11]
; %bb.40:                               ;   in Loop: Header=BB338_10 Depth=1
	s_or_b64 exec, exec, s[18:19]
	global_load_ubyte v35, v[8:9], off offset:136
	v_mov_b32_e32 v36, 0
	s_waitcnt vmcnt(0)
	v_cmp_ne_u16_e64 s[10:11], 0, v35
	s_and_saveexec_b64 s[18:19], s[10:11]
	s_cbranch_execz .LBB338_46
; %bb.41:                               ;   in Loop: Header=BB338_10 Depth=1
	v_cmp_ne_u16_e64 s[10:11], s51, v35
	v_bfrev_b32_e32 v36, 1
	s_and_saveexec_b64 s[42:43], s[10:11]
	s_cbranch_execz .LBB338_45
; %bb.42:                               ;   in Loop: Header=BB338_10 Depth=1
	v_and_b32_e32 v12, 0xffff, v35
	v_and_b32_e32 v37, 0x7f, v12
	v_cmp_ne_u32_e64 s[10:11], s52, v37
	v_mov_b32_e32 v36, 0x7f800001
	s_and_saveexec_b64 s[44:45], s[10:11]
	s_cbranch_execz .LBB338_44
; %bb.43:                               ;   in Loop: Header=BB338_10 Depth=1
	v_and_b32_e32 v36, 7, v12
	v_ffbh_u32_e32 v38, v36
	v_min_u32_e32 v41, 32, v38
	v_subrev_u32_e32 v38, 28, v41
	v_lshlrev_b64 v[38:39], v38, v[12:13]
	v_lshrrev_b32_e32 v40, 3, v37
	v_sub_u32_e32 v12, 29, v41
	v_and_b32_e32 v38, 7, v38
	v_cmp_gt_u32_e64 s[10:11], 8, v37
	v_cndmask_b32_e64 v12, v40, v12, s[10:11]
	v_cndmask_b32_e64 v36, v36, v38, s[10:11]
	v_lshlrev_b32_e32 v35, 24, v35
	v_lshlrev_b32_e32 v36, 20, v36
	v_and_b32_e32 v35, 0x80000000, v35
	v_lshl_add_u32 v12, v12, 23, v30
	v_or3_b32 v36, v35, v12, v36
.LBB338_44:                             ;   in Loop: Header=BB338_10 Depth=1
	s_or_b64 exec, exec, s[44:45]
.LBB338_45:                             ;   in Loop: Header=BB338_10 Depth=1
	s_or_b64 exec, exec, s[42:43]
.LBB338_46:                             ;   in Loop: Header=BB338_10 Depth=1
	s_or_b64 exec, exec, s[18:19]
	v_mul_f32_e32 v12, s49, v36
	v_and_b32_e32 v35, 0x7f800000, v12
	v_cmp_ne_u32_e64 s[10:11], s53, v35
                                        ; implicit-def: $vgpr35
	s_and_saveexec_b64 s[18:19], s[10:11]
	s_xor_b64 s[10:11], exec, s[18:19]
; %bb.47:                               ;   in Loop: Header=BB338_10 Depth=1
	v_bfe_u32 v35, v12, 16, 1
	v_add3_u32 v35, v12, v35, s54
                                        ; implicit-def: $vgpr12
; %bb.48:                               ;   in Loop: Header=BB338_10 Depth=1
	s_andn2_saveexec_b64 s[18:19], s[10:11]
; %bb.49:                               ;   in Loop: Header=BB338_10 Depth=1
	v_or_b32_e32 v35, 0x10000, v12
	v_cmp_eq_u32_sdwa s[10:11], v12, v1 src0_sel:WORD_0 src1_sel:DWORD
	v_cndmask_b32_e64 v35, v35, v12, s[10:11]
; %bb.50:                               ;   in Loop: Header=BB338_10 Depth=1
	s_or_b64 exec, exec, s[18:19]
	global_load_ubyte v36, v[8:9], off offset:256
	v_mov_b32_e32 v37, 0
	s_waitcnt vmcnt(0)
	v_cmp_ne_u16_e64 s[10:11], 0, v36
	s_and_saveexec_b64 s[18:19], s[10:11]
	s_cbranch_execz .LBB338_56
; %bb.51:                               ;   in Loop: Header=BB338_10 Depth=1
	v_cmp_ne_u16_e64 s[10:11], s51, v36
	v_bfrev_b32_e32 v37, 1
	s_and_saveexec_b64 s[42:43], s[10:11]
	s_cbranch_execz .LBB338_55
; %bb.52:                               ;   in Loop: Header=BB338_10 Depth=1
	v_and_b32_e32 v12, 0xffff, v36
	v_and_b32_e32 v38, 0x7f, v12
	v_cmp_ne_u32_e64 s[10:11], s52, v38
	v_mov_b32_e32 v37, 0x7f800001
	s_and_saveexec_b64 s[44:45], s[10:11]
	s_cbranch_execz .LBB338_54
; %bb.53:                               ;   in Loop: Header=BB338_10 Depth=1
	v_and_b32_e32 v37, 7, v12
	v_ffbh_u32_e32 v40, v37
	v_min_u32_e32 v42, 32, v40
	v_subrev_u32_e32 v40, 28, v42
	v_lshlrev_b64 v[40:41], v40, v[12:13]
	v_lshrrev_b32_e32 v39, 3, v38
	v_sub_u32_e32 v12, 29, v42
	v_and_b32_e32 v40, 7, v40
	v_cmp_gt_u32_e64 s[10:11], 8, v38
	v_cndmask_b32_e64 v12, v39, v12, s[10:11]
	v_cndmask_b32_e64 v37, v37, v40, s[10:11]
	v_lshlrev_b32_e32 v36, 24, v36
	v_lshlrev_b32_e32 v37, 20, v37
	v_and_b32_e32 v36, 0x80000000, v36
	v_lshl_add_u32 v12, v12, 23, v30
	v_or3_b32 v37, v36, v12, v37
.LBB338_54:                             ;   in Loop: Header=BB338_10 Depth=1
	s_or_b64 exec, exec, s[44:45]
.LBB338_55:                             ;   in Loop: Header=BB338_10 Depth=1
	s_or_b64 exec, exec, s[42:43]
.LBB338_56:                             ;   in Loop: Header=BB338_10 Depth=1
	s_or_b64 exec, exec, s[18:19]
	v_mul_f32_e32 v12, s49, v37
	v_and_b32_e32 v36, 0x7f800000, v12
	v_cmp_ne_u32_e64 s[10:11], s53, v36
                                        ; implicit-def: $vgpr36
	s_and_saveexec_b64 s[18:19], s[10:11]
	s_xor_b64 s[10:11], exec, s[18:19]
; %bb.57:                               ;   in Loop: Header=BB338_10 Depth=1
	v_bfe_u32 v36, v12, 16, 1
	v_add3_u32 v36, v12, v36, s54
                                        ; implicit-def: $vgpr12
; %bb.58:                               ;   in Loop: Header=BB338_10 Depth=1
	s_andn2_saveexec_b64 s[18:19], s[10:11]
; %bb.59:                               ;   in Loop: Header=BB338_10 Depth=1
	v_or_b32_e32 v36, 0x10000, v12
	v_cmp_eq_u32_sdwa s[10:11], v12, v1 src0_sel:WORD_0 src1_sel:DWORD
	v_cndmask_b32_e64 v36, v36, v12, s[10:11]
; %bb.60:                               ;   in Loop: Header=BB338_10 Depth=1
	s_or_b64 exec, exec, s[18:19]
	global_load_ubyte v37, v[8:9], off offset:264
	v_mov_b32_e32 v38, 0
	s_waitcnt vmcnt(0)
	v_cmp_ne_u16_e64 s[10:11], 0, v37
	s_and_saveexec_b64 s[18:19], s[10:11]
	s_cbranch_execz .LBB338_66
; %bb.61:                               ;   in Loop: Header=BB338_10 Depth=1
	v_cmp_ne_u16_e64 s[10:11], s51, v37
	v_bfrev_b32_e32 v38, 1
	s_and_saveexec_b64 s[42:43], s[10:11]
	s_cbranch_execz .LBB338_65
; %bb.62:                               ;   in Loop: Header=BB338_10 Depth=1
	v_and_b32_e32 v12, 0xffff, v37
	v_and_b32_e32 v39, 0x7f, v12
	v_cmp_ne_u32_e64 s[10:11], s52, v39
	v_mov_b32_e32 v38, 0x7f800001
	s_and_saveexec_b64 s[44:45], s[10:11]
	s_cbranch_execz .LBB338_64
; %bb.63:                               ;   in Loop: Header=BB338_10 Depth=1
	v_and_b32_e32 v38, 7, v12
	v_ffbh_u32_e32 v40, v38
	v_min_u32_e32 v43, 32, v40
	v_subrev_u32_e32 v40, 28, v43
	v_lshlrev_b64 v[40:41], v40, v[12:13]
	v_lshrrev_b32_e32 v42, 3, v39
	v_sub_u32_e32 v12, 29, v43
	v_and_b32_e32 v40, 7, v40
	v_cmp_gt_u32_e64 s[10:11], 8, v39
	v_cndmask_b32_e64 v12, v42, v12, s[10:11]
	v_cndmask_b32_e64 v38, v38, v40, s[10:11]
	v_lshlrev_b32_e32 v37, 24, v37
	v_lshlrev_b32_e32 v38, 20, v38
	v_and_b32_e32 v37, 0x80000000, v37
	v_lshl_add_u32 v12, v12, 23, v30
	v_or3_b32 v38, v37, v12, v38
.LBB338_64:                             ;   in Loop: Header=BB338_10 Depth=1
	s_or_b64 exec, exec, s[44:45]
.LBB338_65:                             ;   in Loop: Header=BB338_10 Depth=1
	s_or_b64 exec, exec, s[42:43]
.LBB338_66:                             ;   in Loop: Header=BB338_10 Depth=1
	s_or_b64 exec, exec, s[18:19]
	v_mul_f32_e32 v12, s49, v38
	v_and_b32_e32 v37, 0x7f800000, v12
	v_cmp_ne_u32_e64 s[10:11], s53, v37
                                        ; implicit-def: $vgpr37
	s_and_saveexec_b64 s[18:19], s[10:11]
	s_xor_b64 s[10:11], exec, s[18:19]
; %bb.67:                               ;   in Loop: Header=BB338_10 Depth=1
	v_bfe_u32 v37, v12, 16, 1
	v_add3_u32 v37, v12, v37, s54
                                        ; implicit-def: $vgpr12
; %bb.68:                               ;   in Loop: Header=BB338_10 Depth=1
	s_andn2_saveexec_b64 s[18:19], s[10:11]
; %bb.69:                               ;   in Loop: Header=BB338_10 Depth=1
	v_or_b32_e32 v37, 0x10000, v12
	v_cmp_eq_u32_sdwa s[10:11], v12, v1 src0_sel:WORD_0 src1_sel:DWORD
	v_cndmask_b32_e64 v37, v37, v12, s[10:11]
; %bb.70:                               ;   in Loop: Header=BB338_10 Depth=1
	s_or_b64 exec, exec, s[18:19]
	global_load_ubyte v38, v[8:9], off offset:384
	v_mov_b32_e32 v39, 0
	s_waitcnt vmcnt(0)
	v_cmp_ne_u16_e64 s[10:11], 0, v38
	s_and_saveexec_b64 s[18:19], s[10:11]
	s_cbranch_execz .LBB338_76
; %bb.71:                               ;   in Loop: Header=BB338_10 Depth=1
	v_cmp_ne_u16_e64 s[10:11], s51, v38
	v_bfrev_b32_e32 v39, 1
	s_and_saveexec_b64 s[42:43], s[10:11]
	s_cbranch_execz .LBB338_75
; %bb.72:                               ;   in Loop: Header=BB338_10 Depth=1
	v_and_b32_e32 v12, 0xffff, v38
	v_and_b32_e32 v40, 0x7f, v12
	v_cmp_ne_u32_e64 s[10:11], s52, v40
	v_mov_b32_e32 v39, 0x7f800001
	s_and_saveexec_b64 s[44:45], s[10:11]
	s_cbranch_execz .LBB338_74
; %bb.73:                               ;   in Loop: Header=BB338_10 Depth=1
	v_and_b32_e32 v39, 7, v12
	v_ffbh_u32_e32 v42, v39
	v_min_u32_e32 v44, 32, v42
	v_subrev_u32_e32 v42, 28, v44
	v_lshlrev_b64 v[42:43], v42, v[12:13]
	v_lshrrev_b32_e32 v41, 3, v40
	v_sub_u32_e32 v12, 29, v44
	v_and_b32_e32 v42, 7, v42
	v_cmp_gt_u32_e64 s[10:11], 8, v40
	v_cndmask_b32_e64 v12, v41, v12, s[10:11]
	v_cndmask_b32_e64 v39, v39, v42, s[10:11]
	v_lshlrev_b32_e32 v38, 24, v38
	v_lshlrev_b32_e32 v39, 20, v39
	v_and_b32_e32 v38, 0x80000000, v38
	v_lshl_add_u32 v12, v12, 23, v30
	v_or3_b32 v39, v38, v12, v39
.LBB338_74:                             ;   in Loop: Header=BB338_10 Depth=1
	s_or_b64 exec, exec, s[44:45]
.LBB338_75:                             ;   in Loop: Header=BB338_10 Depth=1
	s_or_b64 exec, exec, s[42:43]
.LBB338_76:                             ;   in Loop: Header=BB338_10 Depth=1
	s_or_b64 exec, exec, s[18:19]
	v_mul_f32_e32 v38, s49, v39
	v_and_b32_e32 v12, 0x7f800000, v38
	v_cmp_ne_u32_e64 s[10:11], s53, v12
                                        ; implicit-def: $vgpr12
	s_and_saveexec_b64 s[18:19], s[10:11]
	s_xor_b64 s[10:11], exec, s[18:19]
; %bb.77:                               ;   in Loop: Header=BB338_10 Depth=1
	v_bfe_u32 v12, v38, 16, 1
	v_add3_u32 v12, v38, v12, s54
                                        ; implicit-def: $vgpr38
; %bb.78:                               ;   in Loop: Header=BB338_10 Depth=1
	s_andn2_saveexec_b64 s[18:19], s[10:11]
; %bb.79:                               ;   in Loop: Header=BB338_10 Depth=1
	v_or_b32_e32 v12, 0x10000, v38
	v_cmp_eq_u32_sdwa s[10:11], v38, v1 src0_sel:WORD_0 src1_sel:DWORD
	v_cndmask_b32_e64 v12, v12, v38, s[10:11]
; %bb.80:                               ;   in Loop: Header=BB338_10 Depth=1
	s_or_b64 exec, exec, s[18:19]
	global_load_ubyte v9, v[8:9], off offset:392
	v_mov_b32_e32 v38, 0
	s_waitcnt vmcnt(0)
	v_cmp_ne_u16_e64 s[10:11], 0, v9
	s_and_saveexec_b64 s[18:19], s[10:11]
	s_cbranch_execz .LBB338_86
; %bb.81:                               ;   in Loop: Header=BB338_10 Depth=1
	v_cmp_ne_u16_e64 s[10:11], s51, v9
	v_bfrev_b32_e32 v38, 1
	s_and_saveexec_b64 s[42:43], s[10:11]
	s_cbranch_execz .LBB338_85
; %bb.82:                               ;   in Loop: Header=BB338_10 Depth=1
	v_and_b32_e32 v8, 0xffff, v9
	v_and_b32_e32 v39, 0x7f, v8
	v_cmp_ne_u32_e64 s[10:11], s52, v39
	v_mov_b32_e32 v38, 0x7f800001
	s_and_saveexec_b64 s[44:45], s[10:11]
	s_cbranch_execz .LBB338_84
; %bb.83:                               ;   in Loop: Header=BB338_10 Depth=1
	v_and_b32_e32 v38, 7, v8
	v_ffbh_u32_e32 v40, v38
	v_min_u32_e32 v43, 32, v40
	v_subrev_u32_e32 v40, 28, v43
	v_lshlrev_b64 v[40:41], v40, v[8:9]
	v_lshrrev_b32_e32 v42, 3, v39
	v_sub_u32_e32 v8, 29, v43
	v_and_b32_e32 v40, 7, v40
	v_cmp_gt_u32_e64 s[10:11], 8, v39
	v_cndmask_b32_e64 v8, v42, v8, s[10:11]
	v_cndmask_b32_e64 v38, v38, v40, s[10:11]
	v_lshlrev_b32_e32 v9, 24, v9
	v_lshlrev_b32_e32 v38, 20, v38
	v_and_b32_e32 v9, 0x80000000, v9
	v_lshl_add_u32 v8, v8, 23, v30
	v_or3_b32 v38, v9, v8, v38
.LBB338_84:                             ;   in Loop: Header=BB338_10 Depth=1
	s_or_b64 exec, exec, s[44:45]
.LBB338_85:                             ;   in Loop: Header=BB338_10 Depth=1
	s_or_b64 exec, exec, s[42:43]
.LBB338_86:                             ;   in Loop: Header=BB338_10 Depth=1
	s_or_b64 exec, exec, s[18:19]
	v_mul_f32_e32 v9, s49, v38
	v_and_b32_e32 v8, 0x7f800000, v9
	v_cmp_ne_u32_e64 s[10:11], s53, v8
                                        ; implicit-def: $vgpr8
	s_and_saveexec_b64 s[18:19], s[10:11]
	s_xor_b64 s[10:11], exec, s[18:19]
; %bb.87:                               ;   in Loop: Header=BB338_10 Depth=1
	v_bfe_u32 v8, v9, 16, 1
	v_add3_u32 v8, v9, v8, s54
                                        ; implicit-def: $vgpr9
; %bb.88:                               ;   in Loop: Header=BB338_10 Depth=1
	s_andn2_saveexec_b64 s[18:19], s[10:11]
; %bb.89:                               ;   in Loop: Header=BB338_10 Depth=1
	v_or_b32_e32 v8, 0x10000, v9
	v_cmp_eq_u32_sdwa s[10:11], v9, v1 src0_sel:WORD_0 src1_sel:DWORD
	v_cndmask_b32_e64 v8, v8, v9, s[10:11]
; %bb.90:                               ;   in Loop: Header=BB338_10 Depth=1
	s_or_b64 exec, exec, s[18:19]
	v_and_b32_e32 v33, 0xffff0000, v33
	v_and_b32_e32 v32, 0xffff0000, v32
	v_mul_f32_e32 v33, v15, v33
	v_and_b32_e32 v34, 0xffff0000, v34
	v_fmac_f32_e32 v33, v14, v32
	v_and_b32_e32 v35, 0xffff0000, v35
	v_fmac_f32_e32 v33, v18, v34
	;; [unrolled: 2-line block ×3, first 2 shown]
	v_and_b32_e32 v9, 0xffff0000, v12
	v_and_b32_e32 v12, 0xffff0000, v37
	v_fmac_f32_e32 v33, v20, v36
	v_fmac_f32_e32 v33, v21, v12
	v_and_b32_e32 v8, 0xffff0000, v8
	v_fmac_f32_e32 v33, v22, v9
	v_fmac_f32_e32 v33, v23, v8
	ds_bpermute_b32 v8, v25, v33
	s_waitcnt lgkmcnt(0)
	v_add_f32_e32 v8, v33, v8
	ds_bpermute_b32 v9, v26, v8
	s_waitcnt lgkmcnt(0)
	v_add_f32_e32 v8, v8, v9
	ds_bpermute_b32 v9, v27, v8
	s_and_saveexec_b64 s[18:19], vcc
	s_cbranch_execz .LBB338_9
; %bb.91:                               ;   in Loop: Header=BB338_10 Depth=1
	v_add_u32_e32 v12, s50, v28
	v_cvt_f32_i32_e32 v12, v12
	s_waitcnt lgkmcnt(0)
	v_add_f32_e32 v8, v8, v9
	v_cmp_gt_i32_e64 s[10:11], s29, v28
	v_max_f32_e32 v9, v24, v24
	v_mul_f32_e32 v12, s7, v12
	v_cndmask_b32_e64 v12, 0, v12, s[4:5]
	v_fmac_f32_e32 v12, s39, v8
	v_cndmask_b32_e64 v8, 0, v12, s[10:11]
	ds_write_b32 v29, v8
	v_max_f32_e32 v8, v9, v12
	v_cndmask_b32_e64 v24, v24, v8, s[10:11]
	s_branch .LBB338_9
.LBB338_92:
	s_or_b64 exec, exec, s[12:13]
.LBB338_93:
	s_or_b64 exec, exec, s[40:41]
	v_xor_b32_e32 v1, 32, v3
	v_cmp_lt_i32_e32 vcc, v1, v13
	v_cndmask_b32_e32 v1, v3, v1, vcc
	v_lshlrev_b32_e32 v5, 2, v1
	ds_bpermute_b32 v1, v5, v24
	v_xor_b32_e32 v4, 16, v3
	v_max_f32_e32 v2, v24, v24
	v_cmp_lt_i32_e32 vcc, v4, v13
	v_xor_b32_e32 v6, 8, v3
	s_waitcnt lgkmcnt(0)
	v_max_f32_e32 v1, v1, v1
	v_max_f32_e32 v1, v2, v1
	v_cndmask_b32_e32 v2, v3, v4, vcc
	v_lshlrev_b32_e32 v7, 2, v2
	ds_bpermute_b32 v2, v7, v1
	v_cmp_lt_i32_e32 vcc, v6, v13
	s_waitcnt lgkmcnt(0)
	v_max_f32_e32 v2, v2, v2
	v_max_f32_e32 v4, v1, v2
	v_cndmask_b32_e32 v1, v3, v6, vcc
	v_lshlrev_b32_e32 v8, 2, v1
	ds_bpermute_b32 v6, v8, v4
	v_and_b32_e32 v1, 63, v0
	v_cmp_eq_u32_e32 vcc, 0, v1
	v_lshlrev_b32_e32 v2, 2, v16
	s_and_saveexec_b64 s[4:5], vcc
	s_cbranch_execz .LBB338_95
; %bb.94:
	s_waitcnt lgkmcnt(0)
	v_max_f32_e32 v6, v6, v6
	v_max_f32_e32 v4, v4, v4
	;; [unrolled: 1-line block ×3, first 2 shown]
	ds_write_b32 v2, v4 offset:128
.LBB338_95:
	s_or_b64 exec, exec, s[4:5]
	v_cmp_gt_u32_e64 s[4:5], 2, v1
	v_mov_b32_e32 v4, 0xff7fffff
	s_waitcnt lgkmcnt(0)
	v_lshlrev_b32_e32 v6, 2, v1
	s_barrier
	s_and_saveexec_b64 s[10:11], s[4:5]
	s_cbranch_execz .LBB338_97
; %bb.96:
	ds_read_b32 v4, v6 offset:128
.LBB338_97:
	s_or_b64 exec, exec, s[10:11]
	v_xor_b32_e32 v9, 1, v3
	v_cmp_lt_i32_e64 s[10:11], v9, v13
	v_cndmask_b32_e64 v9, v3, v9, s[10:11]
	v_lshlrev_b32_e32 v9, 2, v9
	s_waitcnt lgkmcnt(0)
	ds_bpermute_b32 v12, v9, v4
	v_max_f32_e32 v4, v4, v4
	s_sub_i32 s7, s33, s16
	s_lshl_b32 s7, s7, 3
	s_add_i32 s7, s7, s46
	s_waitcnt lgkmcnt(0)
	v_max_f32_e32 v12, v12, v12
	v_max_f32_e32 v4, v4, v12
	v_lshlrev_b32_e32 v12, 2, v3
	v_and_b32_e32 v12, 0xffffff00, v12
	ds_bpermute_b32 v4, v12, v4
	s_min_i32 s40, s7, s29
	s_sub_i32 s7, s40, s46
	v_cmp_gt_i32_e64 s[10:11], s7, v0
	v_mov_b32_e32 v14, 0
	s_and_saveexec_b64 s[18:19], s[10:11]
	s_cbranch_execz .LBB338_101
; %bb.98:
	v_mov_b32_e32 v14, 0x90
	v_lshl_add_u32 v15, v0, 2, v14
	s_mov_b64 s[38:39], 0
	v_mov_b32_e32 v14, 0
	v_mov_b32_e32 v18, v0
.LBB338_99:                             ; =>This Inner Loop Header: Depth=1
	ds_read_b32 v19, v15
	v_add_u32_e32 v18, 0x80, v18
	v_cmp_le_i32_e64 s[12:13], s7, v18
	s_or_b64 s[38:39], s[12:13], s[38:39]
	s_waitcnt lgkmcnt(0)
	v_sub_f32_e32 v19, v19, v4
	v_mul_f32_e32 v19, 0x3fb8aa3b, v19
	v_exp_f32_e32 v19, v19
	ds_write_b32 v15, v19
	v_add_f32_e32 v14, v14, v19
	v_add_u32_e32 v15, 0x200, v15
	s_andn2_b64 exec, exec, s[38:39]
	s_cbranch_execnz .LBB338_99
; %bb.100:
	s_or_b64 exec, exec, s[38:39]
.LBB338_101:
	s_or_b64 exec, exec, s[18:19]
	ds_bpermute_b32 v5, v5, v14
	s_waitcnt lgkmcnt(0)
	v_add_f32_e32 v5, v14, v5
	ds_bpermute_b32 v7, v7, v5
	s_waitcnt lgkmcnt(0)
	v_add_f32_e32 v5, v5, v7
	ds_bpermute_b32 v7, v8, v5
	v_xor_b32_e32 v8, 4, v3
	v_cmp_lt_i32_e64 s[12:13], v8, v13
	v_cndmask_b32_e64 v8, v3, v8, s[12:13]
	v_lshlrev_b32_e32 v8, 2, v8
	s_waitcnt lgkmcnt(0)
	v_add_f32_e32 v5, v5, v7
	ds_bpermute_b32 v7, v8, v5
	v_xor_b32_e32 v8, 2, v3
	v_cmp_lt_i32_e64 s[12:13], v8, v13
	v_cndmask_b32_e64 v3, v3, v8, s[12:13]
	v_lshlrev_b32_e32 v3, 2, v3
	s_waitcnt lgkmcnt(0)
	v_add_f32_e32 v5, v5, v7
	ds_bpermute_b32 v3, v3, v5
	s_waitcnt lgkmcnt(0)
	v_add_f32_e32 v3, v5, v3
	ds_bpermute_b32 v5, v9, v3
	s_waitcnt lgkmcnt(0)
	v_add_f32_e32 v3, v3, v5
	s_and_saveexec_b64 s[12:13], vcc
	s_cbranch_execz .LBB338_103
; %bb.102:
	ds_write_b32 v2, v3 offset:136
.LBB338_103:
	s_or_b64 exec, exec, s[12:13]
	s_waitcnt lgkmcnt(0)
	s_barrier
	s_and_saveexec_b64 s[12:13], s[4:5]
	s_cbranch_execz .LBB338_105
; %bb.104:
	ds_read_b32 v3, v6 offset:136
.LBB338_105:
	s_or_b64 exec, exec, s[12:13]
	s_waitcnt lgkmcnt(0)
	ds_bpermute_b32 v2, v9, v3
	s_waitcnt lgkmcnt(0)
	v_add_f32_e32 v2, v3, v2
	ds_bpermute_b32 v5, v12, v2
	s_and_saveexec_b64 s[4:5], s[10:11]
	s_cbranch_execz .LBB338_118
; %bb.106:
	s_waitcnt lgkmcnt(0)
	v_add_f32_e32 v2, 0x358637bd, v5
	v_div_scale_f32 v3, s[10:11], v2, v2, 1.0
	v_rcp_f32_e32 v6, v3
	v_div_scale_f32 v7, vcc, 1.0, v2, 1.0
	s_movk_i32 s10, 0x7f
	v_fma_f32 v8, -v3, v6, 1.0
	v_fmac_f32_e32 v6, v8, v6
	v_mul_f32_e32 v8, v7, v6
	v_fma_f32 v9, -v3, v8, v7
	v_fmac_f32_e32 v8, v9, v6
	v_fma_f32 v3, -v3, v8, v7
	v_div_fmas_f32 v3, v3, v6, v8
	v_div_fixup_f32 v2, v3, v2, 1.0
	v_xad_u32 v3, v0, -1, s40
	v_subrev_u32_e32 v6, s46, v3
	v_cmp_lt_u32_e32 vcc, s10, v6
	s_mov_b64 s[12:13], -1
	v_mov_b32_e32 v3, v0
	s_and_saveexec_b64 s[10:11], vcc
	s_cbranch_execz .LBB338_115
; %bb.107:
	v_lshrrev_b32_e32 v6, 7, v6
	v_add_u32_e32 v8, -1, v6
	v_lshrrev_b32_e32 v7, 1, v8
	v_mov_b32_e32 v3, v2
	v_add_u32_e32 v7, 1, v7
	v_cmp_lt_u32_e32 vcc, 13, v8
	v_mov_b32_e32 v12, 0
	s_and_saveexec_b64 s[12:13], vcc
	s_cbranch_execz .LBB338_111
; %bb.108:
	v_mov_b32_e32 v9, 0x90
	v_and_b32_e32 v8, -8, v7
	v_lshl_add_u32 v9, v0, 2, v9
	s_mov_b32 s38, 0
	s_mov_b64 s[18:19], 0
.LBB338_109:                            ; =>This Inner Loop Header: Depth=1
	ds_read2st64_b32 v[12:13], v9 offset1:2
	ds_read2st64_b32 v[14:15], v9 offset0:4 offset1:6
	ds_read2st64_b32 v[18:19], v9 offset0:8 offset1:10
	;; [unrolled: 1-line block ×3, first 2 shown]
	v_add_u32_e32 v8, -8, v8
	s_waitcnt lgkmcnt(3)
	v_pk_mul_f32 v[12:13], v[2:3], v[12:13]
	s_waitcnt lgkmcnt(2)
	v_pk_mul_f32 v[14:15], v[2:3], v[14:15]
	ds_write2st64_b32 v9, v12, v13 offset1:2
	ds_write2st64_b32 v9, v14, v15 offset0:4 offset1:6
	ds_read2st64_b32 v[14:15], v9 offset0:16 offset1:18
	s_waitcnt lgkmcnt(4)
	v_pk_mul_f32 v[12:13], v[2:3], v[18:19]
	ds_write2st64_b32 v9, v12, v13 offset0:8 offset1:10
	s_waitcnt lgkmcnt(4)
	v_pk_mul_f32 v[12:13], v[2:3], v[20:21]
	ds_write2st64_b32 v9, v12, v13 offset0:12 offset1:14
	ds_read2st64_b32 v[12:13], v9 offset0:20 offset1:22
	s_waitcnt lgkmcnt(3)
	v_pk_mul_f32 v[14:15], v[2:3], v[14:15]
	ds_read2st64_b32 v[18:19], v9 offset0:24 offset1:26
	ds_write2st64_b32 v9, v14, v15 offset0:16 offset1:18
	ds_read2st64_b32 v[14:15], v9 offset0:28 offset1:30
	s_waitcnt lgkmcnt(3)
	v_pk_mul_f32 v[12:13], v[2:3], v[12:13]
	ds_write2st64_b32 v9, v12, v13 offset0:20 offset1:22
	s_waitcnt lgkmcnt(3)
	v_pk_mul_f32 v[12:13], v[2:3], v[18:19]
	ds_write2st64_b32 v9, v12, v13 offset0:24 offset1:26
	s_waitcnt lgkmcnt(2)
	v_pk_mul_f32 v[12:13], v[2:3], v[14:15]
	s_add_i32 s38, s38, 16
	v_cmp_eq_u32_e32 vcc, 0, v8
	ds_write2st64_b32 v9, v12, v13 offset0:28 offset1:30
	v_add_u32_e32 v9, 0x2000, v9
	s_or_b64 s[18:19], vcc, s[18:19]
	v_mov_b32_e32 v12, s38
	s_andn2_b64 exec, exec, s[18:19]
	s_cbranch_execnz .LBB338_109
; %bb.110:
	s_or_b64 exec, exec, s[18:19]
.LBB338_111:
	s_or_b64 exec, exec, s[12:13]
	v_and_b32_e32 v7, 7, v7
	v_cmp_ne_u32_e32 vcc, 0, v7
	s_and_saveexec_b64 s[12:13], vcc
	s_cbranch_execz .LBB338_114
; %bb.112:
	v_lshlrev_b32_e32 v8, 9, v12
	v_lshlrev_b32_e32 v9, 2, v0
	s_movk_i32 s18, 0x90
	v_add3_u32 v8, v8, v9, s18
	s_mov_b64 s[18:19], 0
.LBB338_113:                            ; =>This Inner Loop Header: Depth=1
	ds_read2st64_b32 v[12:13], v8 offset1:2
	v_add_u32_e32 v7, -1, v7
	v_cmp_eq_u32_e32 vcc, 0, v7
	s_or_b64 s[18:19], vcc, s[18:19]
	s_waitcnt lgkmcnt(0)
	v_pk_mul_f32 v[12:13], v[2:3], v[12:13]
	ds_write2st64_b32 v8, v12, v13 offset1:2
	v_add_u32_e32 v8, 0x400, v8
	s_andn2_b64 exec, exec, s[18:19]
	s_cbranch_execnz .LBB338_113
.LBB338_114:
	s_or_b64 exec, exec, s[12:13]
	v_add_u32_e32 v6, 1, v6
	v_and_b32_e32 v7, 0x3fffffe, v6
	v_cmp_ne_u32_e32 vcc, v6, v7
	v_lshl_add_u32 v3, v7, 7, v0
	s_orn2_b64 s[12:13], vcc, exec
.LBB338_115:
	s_or_b64 exec, exec, s[10:11]
	s_and_b64 exec, exec, s[12:13]
	s_cbranch_execz .LBB338_118
; %bb.116:
	v_mov_b32_e32 v6, 0x90
	v_lshl_add_u32 v6, v3, 2, v6
	s_mov_b64 s[10:11], 0
.LBB338_117:                            ; =>This Inner Loop Header: Depth=1
	ds_read_b32 v7, v6
	v_add_u32_e32 v3, 0x80, v3
	v_cmp_le_i32_e32 vcc, s7, v3
	s_or_b64 s[10:11], vcc, s[10:11]
	s_waitcnt lgkmcnt(0)
	v_mul_f32_e32 v7, v2, v7
	ds_write_b32 v6, v7
	v_add_u32_e32 v6, 0x200, v6
	s_andn2_b64 exec, exec, s[10:11]
	s_cbranch_execnz .LBB338_117
.LBB338_118:
	s_or_b64 exec, exec, s[4:5]
	s_mul_i32 s4, s25, s28
	v_cmp_eq_u32_e32 vcc, 0, v0
	s_mul_i32 s4, s4, s9
	s_waitcnt lgkmcnt(0)
	s_barrier
	s_and_saveexec_b64 s[10:11], vcc
	s_cbranch_execz .LBB338_120
; %bb.119:
	s_ashr_i32 s5, s4, 31
	s_lshl_b64 s[12:13], s[4:5], 2
	s_add_u32 s5, s22, s12
	s_mul_i32 s6, s25, s6
	s_addc_u32 s9, s23, s13
	s_ashr_i32 s7, s6, 31
	s_lshl_b64 s[6:7], s[6:7], 2
	s_add_u32 s5, s5, s6
	s_addc_u32 s19, s9, s7
	s_ashr_i32 s9, s8, 31
	s_lshl_b64 s[8:9], s[8:9], 2
	s_add_u32 s18, s5, s8
	s_addc_u32 s19, s19, s9
	s_add_u32 s5, s20, s12
	s_addc_u32 s12, s21, s13
	;; [unrolled: 2-line block ×3, first 2 shown]
	s_add_u32 s6, s5, s8
	v_mov_b32_e32 v2, 0
	s_addc_u32 s7, s7, s9
	global_store_dword v2, v4, s[18:19]
	global_store_dword v2, v5, s[6:7]
.LBB338_120:
	s_or_b64 exec, exec, s[10:11]
	v_mov_b32_e32 v18, 0
	s_and_saveexec_b64 s[6:7], s[2:3]
	s_cbranch_execz .LBB338_270
; %bb.121:
	s_ashr_i32 s2, s48, 31
	s_add_u32 s3, s36, s48
	s_mov_b32 s5, s17
	s_addc_u32 s2, s37, s2
	v_lshlrev_b32_e32 v2, 3, v1
	s_load_dword s17, s[14:15], 0x0
	s_add_i32 s47, s47, -1
	s_lshl_b64 s[8:9], s[34:35], 2
	v_mov_b32_e32 v3, s2
	v_add_co_u32_e32 v14, vcc, s3, v2
	v_mov_b32_e32 v2, 0x90
	s_add_u32 s8, s30, s8
	v_addc_co_u32_e32 v15, vcc, 0, v3, vcc
	v_lshl_add_u32 v20, v16, 5, v2
	v_lshlrev_b64 v[2:3], 2, v[10:11]
	s_addc_u32 s9, s31, s9
	s_mov_b32 s2, -1
	v_mov_b32_e32 v4, s9
	v_add_co_u32_e32 v16, vcc, s8, v2
	v_mov_b32_e32 v13, 0
	s_mov_b32 s3, 0xffffff
	v_add3_u32 v19, s46, v17, 7
	v_addc_co_u32_e32 v17, vcc, v4, v3, vcc
	s_mov_b64 s[8:9], 0
	s_mov_b32 s18, 0x7f800000
	s_movk_i32 s19, 0x7fff
	s_movk_i32 s20, 0x80
	;; [unrolled: 1-line block ×3, first 2 shown]
	v_bfrev_b32_e32 v11, 60
	v_mov_b32_e32 v18, 0
	s_branch .LBB338_123
.LBB338_122:                            ;   in Loop: Header=BB338_123 Depth=1
	s_or_b64 exec, exec, s[10:11]
	v_and_b32_e32 v7, 0xffff0000, v6
	v_and_b32_e32 v6, 0xffff0000, v8
	;; [unrolled: 1-line block ×8, first 2 shown]
	v_pk_add_f32 v[2:3], v[4:5], v[8:9]
	v_pk_add_f32 v[4:5], v[24:25], v[6:7]
	v_add_f32_e32 v2, v2, v3
	v_add_u32_e32 v10, 2, v10
	v_add_f32_e32 v2, v2, v4
	v_cmp_le_i32_e32 vcc, s33, v10
	v_add_f32_e32 v2, v2, v5
	s_or_b64 s[8:9], vcc, s[8:9]
	v_add_co_u32_e32 v16, vcc, 8, v16
	v_add_f32_e32 v18, v18, v2
	v_add_u32_e32 v19, 16, v19
	v_add_u32_e32 v20, 64, v20
	v_addc_co_u32_e32 v17, vcc, 0, v17, vcc
	s_andn2_b64 exec, exec, s[8:9]
	s_cbranch_execz .LBB338_269
.LBB338_123:                            ; =>This Inner Loop Header: Depth=1
	global_load_dword v12, v[16:17], off
	ds_read2_b64 v[6:9], v20 offset1:1
	ds_read2_b64 v[2:5], v20 offset0:2 offset1:3
                                        ; implicit-def: $vgpr24
	s_waitcnt lgkmcnt(0)
	v_and_b32_e32 v21, 0x7f800000, v6
	v_cmp_ne_u32_e32 vcc, s18, v21
	s_and_saveexec_b64 s[10:11], vcc
	s_xor_b64 s[10:11], exec, s[10:11]
; %bb.124:                              ;   in Loop: Header=BB338_123 Depth=1
	v_bfe_u32 v21, v6, 16, 1
	v_add3_u32 v24, v6, v21, s19
; %bb.125:                              ;   in Loop: Header=BB338_123 Depth=1
	s_andn2_saveexec_b64 s[10:11], s[10:11]
; %bb.126:                              ;   in Loop: Header=BB338_123 Depth=1
	v_or_b32_e32 v21, 0x10000, v6
	v_cmp_eq_u32_sdwa vcc, v6, v13 src0_sel:WORD_0 src1_sel:DWORD
	v_cndmask_b32_e32 v24, v21, v6, vcc
; %bb.127:                              ;   in Loop: Header=BB338_123 Depth=1
	s_or_b64 exec, exec, s[10:11]
	v_and_b32_e32 v6, 0x7f800000, v7
	v_cmp_ne_u32_e32 vcc, s18, v6
                                        ; implicit-def: $vgpr23
	s_and_saveexec_b64 s[10:11], vcc
	s_xor_b64 s[10:11], exec, s[10:11]
; %bb.128:                              ;   in Loop: Header=BB338_123 Depth=1
	v_bfe_u32 v6, v7, 16, 1
	v_add3_u32 v23, v7, v6, s19
; %bb.129:                              ;   in Loop: Header=BB338_123 Depth=1
	s_andn2_saveexec_b64 s[10:11], s[10:11]
; %bb.130:                              ;   in Loop: Header=BB338_123 Depth=1
	v_or_b32_e32 v6, 0x10000, v7
	v_cmp_eq_u32_sdwa vcc, v7, v13 src0_sel:WORD_0 src1_sel:DWORD
	v_cndmask_b32_e32 v23, v6, v7, vcc
; %bb.131:                              ;   in Loop: Header=BB338_123 Depth=1
	s_or_b64 exec, exec, s[10:11]
	v_and_b32_e32 v6, 0x7f800000, v8
	v_cmp_ne_u32_e32 vcc, s18, v6
                                        ; implicit-def: $vgpr22
	s_and_saveexec_b64 s[10:11], vcc
	s_xor_b64 s[10:11], exec, s[10:11]
; %bb.132:                              ;   in Loop: Header=BB338_123 Depth=1
	v_bfe_u32 v6, v8, 16, 1
	v_add3_u32 v22, v8, v6, s19
; %bb.133:                              ;   in Loop: Header=BB338_123 Depth=1
	s_andn2_saveexec_b64 s[10:11], s[10:11]
; %bb.134:                              ;   in Loop: Header=BB338_123 Depth=1
	v_or_b32_e32 v6, 0x10000, v8
	v_cmp_eq_u32_sdwa vcc, v8, v13 src0_sel:WORD_0 src1_sel:DWORD
	v_cndmask_b32_e32 v22, v6, v8, vcc
; %bb.135:                              ;   in Loop: Header=BB338_123 Depth=1
	s_or_b64 exec, exec, s[10:11]
	v_and_b32_e32 v6, 0x7f800000, v9
	v_cmp_ne_u32_e32 vcc, s18, v6
                                        ; implicit-def: $vgpr21
	s_and_saveexec_b64 s[10:11], vcc
	s_xor_b64 s[10:11], exec, s[10:11]
; %bb.136:                              ;   in Loop: Header=BB338_123 Depth=1
	v_bfe_u32 v6, v9, 16, 1
	v_add3_u32 v21, v9, v6, s19
                                        ; implicit-def: $vgpr6_vgpr7_vgpr8_vgpr9
; %bb.137:                              ;   in Loop: Header=BB338_123 Depth=1
	s_andn2_saveexec_b64 s[10:11], s[10:11]
; %bb.138:                              ;   in Loop: Header=BB338_123 Depth=1
	v_or_b32_e32 v6, 0x10000, v9
	v_cmp_eq_u32_sdwa vcc, v9, v13 src0_sel:WORD_0 src1_sel:DWORD
	v_cndmask_b32_e32 v21, v6, v9, vcc
; %bb.139:                              ;   in Loop: Header=BB338_123 Depth=1
	s_or_b64 exec, exec, s[10:11]
	v_and_b32_e32 v6, 0x7f800000, v2
	v_cmp_ne_u32_e32 vcc, s18, v6
                                        ; implicit-def: $vgpr9
	s_and_saveexec_b64 s[10:11], vcc
	s_xor_b64 s[10:11], exec, s[10:11]
; %bb.140:                              ;   in Loop: Header=BB338_123 Depth=1
	v_bfe_u32 v6, v2, 16, 1
	v_add3_u32 v9, v2, v6, s19
; %bb.141:                              ;   in Loop: Header=BB338_123 Depth=1
	s_andn2_saveexec_b64 s[10:11], s[10:11]
; %bb.142:                              ;   in Loop: Header=BB338_123 Depth=1
	v_or_b32_e32 v6, 0x10000, v2
	v_cmp_eq_u32_sdwa vcc, v2, v13 src0_sel:WORD_0 src1_sel:DWORD
	v_cndmask_b32_e32 v9, v6, v2, vcc
; %bb.143:                              ;   in Loop: Header=BB338_123 Depth=1
	s_or_b64 exec, exec, s[10:11]
	v_and_b32_e32 v2, 0x7f800000, v3
	v_cmp_ne_u32_e32 vcc, s18, v2
                                        ; implicit-def: $vgpr8
	s_and_saveexec_b64 s[10:11], vcc
	s_xor_b64 s[10:11], exec, s[10:11]
; %bb.144:                              ;   in Loop: Header=BB338_123 Depth=1
	v_bfe_u32 v2, v3, 16, 1
	v_add3_u32 v8, v3, v2, s19
; %bb.145:                              ;   in Loop: Header=BB338_123 Depth=1
	s_andn2_saveexec_b64 s[10:11], s[10:11]
; %bb.146:                              ;   in Loop: Header=BB338_123 Depth=1
	v_or_b32_e32 v2, 0x10000, v3
	v_cmp_eq_u32_sdwa vcc, v3, v13 src0_sel:WORD_0 src1_sel:DWORD
	v_cndmask_b32_e32 v8, v2, v3, vcc
; %bb.147:                              ;   in Loop: Header=BB338_123 Depth=1
	s_or_b64 exec, exec, s[10:11]
	v_and_b32_e32 v2, 0x7f800000, v4
	v_cmp_ne_u32_e32 vcc, s18, v2
                                        ; implicit-def: $vgpr7
	s_and_saveexec_b64 s[10:11], vcc
	s_xor_b64 s[10:11], exec, s[10:11]
; %bb.148:                              ;   in Loop: Header=BB338_123 Depth=1
	v_bfe_u32 v2, v4, 16, 1
	v_add3_u32 v7, v4, v2, s19
; %bb.149:                              ;   in Loop: Header=BB338_123 Depth=1
	s_andn2_saveexec_b64 s[10:11], s[10:11]
; %bb.150:                              ;   in Loop: Header=BB338_123 Depth=1
	v_or_b32_e32 v2, 0x10000, v4
	v_cmp_eq_u32_sdwa vcc, v4, v13 src0_sel:WORD_0 src1_sel:DWORD
	v_cndmask_b32_e32 v7, v2, v4, vcc
; %bb.151:                              ;   in Loop: Header=BB338_123 Depth=1
	s_or_b64 exec, exec, s[10:11]
	v_and_b32_e32 v2, 0x7f800000, v5
	v_cmp_ne_u32_e32 vcc, s18, v2
                                        ; implicit-def: $vgpr6
	s_and_saveexec_b64 s[10:11], vcc
	s_xor_b64 s[10:11], exec, s[10:11]
; %bb.152:                              ;   in Loop: Header=BB338_123 Depth=1
	v_bfe_u32 v2, v5, 16, 1
	v_add3_u32 v6, v5, v2, s19
                                        ; implicit-def: $vgpr2_vgpr3_vgpr4_vgpr5
; %bb.153:                              ;   in Loop: Header=BB338_123 Depth=1
	s_andn2_saveexec_b64 s[10:11], s[10:11]
; %bb.154:                              ;   in Loop: Header=BB338_123 Depth=1
	v_or_b32_e32 v2, 0x10000, v5
	v_cmp_eq_u32_sdwa vcc, v5, v13 src0_sel:WORD_0 src1_sel:DWORD
	v_cndmask_b32_e32 v6, v2, v5, vcc
; %bb.155:                              ;   in Loop: Header=BB338_123 Depth=1
	s_or_b64 exec, exec, s[10:11]
	s_waitcnt vmcnt(0)
	v_mad_i64_i32 v[2:3], s[10:11], v12, s5, v[14:15]
	global_load_dwordx2 v[2:3], v[2:3], off
	v_mov_b32_e32 v4, 0
	s_waitcnt vmcnt(0)
	v_cmp_ne_u16_sdwa s[12:13], v2, v13 src0_sel:BYTE_0 src1_sel:DWORD
	s_and_saveexec_b64 s[10:11], s[12:13]
	s_cbranch_execz .LBB338_161
; %bb.156:                              ;   in Loop: Header=BB338_123 Depth=1
	v_cmp_ne_u16_sdwa s[14:15], v2, s20 src0_sel:BYTE_0 src1_sel:DWORD
	v_bfrev_b32_e32 v4, 1
	s_and_saveexec_b64 s[12:13], s[14:15]
	s_cbranch_execz .LBB338_160
; %bb.157:                              ;   in Loop: Header=BB338_123 Depth=1
	v_and_b32_e32 v5, 0x7f, v2
	v_cmp_ne_u32_e32 vcc, s21, v5
	v_mov_b32_e32 v4, 0x7f800001
	s_and_saveexec_b64 s[14:15], vcc
	s_cbranch_execz .LBB338_159
; %bb.158:                              ;   in Loop: Header=BB338_123 Depth=1
	v_and_b32_e32 v4, 7, v2
	v_ffbh_u32_e32 v4, v4
	v_min_u32_e32 v4, 32, v4
	v_lshrrev_b32_e32 v12, 3, v5
	v_subrev_u32_e32 v25, 28, v4
	v_sub_u32_e32 v4, 29, v4
	v_cmp_gt_u32_e32 vcc, 8, v5
	v_cndmask_b32_e32 v12, v12, v4, vcc
	v_cndmask_b32_e32 v4, 0, v25, vcc
	v_lshlrev_b64 v[4:5], v4, v[2:3]
	v_lshlrev_b32_e32 v4, 20, v4
	v_lshlrev_b32_e32 v5, 24, v2
	v_and_b32_e32 v4, 0x700000, v4
	v_and_b32_e32 v5, 0x80000000, v5
	v_lshl_add_u32 v12, v12, 23, v11
	v_or3_b32 v4, v5, v12, v4
.LBB338_159:                            ;   in Loop: Header=BB338_123 Depth=1
	s_or_b64 exec, exec, s[14:15]
.LBB338_160:                            ;   in Loop: Header=BB338_123 Depth=1
	s_or_b64 exec, exec, s[12:13]
.LBB338_161:                            ;   in Loop: Header=BB338_123 Depth=1
	s_or_b64 exec, exec, s[10:11]
	v_mul_f32_e32 v4, s17, v4
	v_and_b32_e32 v5, 0x7f800000, v4
	v_cmp_ne_u32_e32 vcc, s18, v5
                                        ; implicit-def: $vgpr5
	s_and_saveexec_b64 s[10:11], vcc
	s_xor_b64 s[10:11], exec, s[10:11]
; %bb.162:                              ;   in Loop: Header=BB338_123 Depth=1
	v_bfe_u32 v5, v4, 16, 1
	v_add3_u32 v5, v4, v5, s19
                                        ; implicit-def: $vgpr4
; %bb.163:                              ;   in Loop: Header=BB338_123 Depth=1
	s_andn2_saveexec_b64 s[10:11], s[10:11]
; %bb.164:                              ;   in Loop: Header=BB338_123 Depth=1
	v_or_b32_e32 v5, 0x10000, v4
	v_cmp_eq_u32_sdwa vcc, v4, v13 src0_sel:WORD_0 src1_sel:DWORD
	v_cndmask_b32_e32 v5, v5, v4, vcc
; %bb.165:                              ;   in Loop: Header=BB338_123 Depth=1
	s_or_b64 exec, exec, s[10:11]
	v_lshrrev_b16_e32 v4, 8, v2
	v_cmp_ne_u16_e32 vcc, 0, v4
	v_mov_b32_e32 v12, 0
	s_and_saveexec_b64 s[10:11], vcc
	s_cbranch_execz .LBB338_171
; %bb.166:                              ;   in Loop: Header=BB338_123 Depth=1
	v_cmp_ne_u16_e32 vcc, s20, v4
	v_bfrev_b32_e32 v12, 1
	s_and_saveexec_b64 s[12:13], vcc
	s_cbranch_execz .LBB338_170
; %bb.167:                              ;   in Loop: Header=BB338_123 Depth=1
	v_and_b32_e32 v25, 0x7f, v4
	v_cmp_ne_u32_e32 vcc, s21, v25
	v_mov_b32_e32 v12, 0x7f800001
	s_and_saveexec_b64 s[14:15], vcc
	s_cbranch_execz .LBB338_169
; %bb.168:                              ;   in Loop: Header=BB338_123 Depth=1
	v_and_b32_e32 v12, 7, v4
	v_ffbh_u32_e32 v26, v12
	v_min_u32_e32 v29, 32, v26
	v_subrev_u32_e32 v26, 28, v29
	v_lshlrev_b64 v[26:27], v26, v[4:5]
	v_lshrrev_b32_e32 v28, 3, v25
	v_sub_u32_e32 v4, 29, v29
	v_and_b32_e32 v26, 7, v26
	v_cmp_gt_u32_e32 vcc, 8, v25
	v_cndmask_b32_e32 v4, v28, v4, vcc
	v_cndmask_b32_e32 v12, v12, v26, vcc
	v_lshlrev_b32_e32 v25, 16, v2
	v_lshlrev_b32_e32 v12, 20, v12
	v_and_b32_e32 v25, 0x80000000, v25
	v_lshl_add_u32 v4, v4, 23, v11
	v_or3_b32 v12, v25, v4, v12
.LBB338_169:                            ;   in Loop: Header=BB338_123 Depth=1
	s_or_b64 exec, exec, s[14:15]
.LBB338_170:                            ;   in Loop: Header=BB338_123 Depth=1
	s_or_b64 exec, exec, s[12:13]
.LBB338_171:                            ;   in Loop: Header=BB338_123 Depth=1
	s_or_b64 exec, exec, s[10:11]
	v_mul_f32_e32 v4, s17, v12
	v_and_b32_e32 v12, 0x7f800000, v4
	v_cmp_ne_u32_e32 vcc, s18, v12
                                        ; implicit-def: $vgpr25
	s_and_saveexec_b64 s[10:11], vcc
	s_xor_b64 s[10:11], exec, s[10:11]
; %bb.172:                              ;   in Loop: Header=BB338_123 Depth=1
	v_bfe_u32 v12, v4, 16, 1
	v_add3_u32 v25, v4, v12, s19
                                        ; implicit-def: $vgpr4
; %bb.173:                              ;   in Loop: Header=BB338_123 Depth=1
	s_andn2_saveexec_b64 s[10:11], s[10:11]
; %bb.174:                              ;   in Loop: Header=BB338_123 Depth=1
	v_or_b32_e32 v12, 0x10000, v4
	v_cmp_eq_u32_sdwa vcc, v4, v13 src0_sel:WORD_0 src1_sel:DWORD
	v_cndmask_b32_e32 v25, v12, v4, vcc
; %bb.175:                              ;   in Loop: Header=BB338_123 Depth=1
	s_or_b64 exec, exec, s[10:11]
	v_lshrrev_b32_e32 v4, 16, v2
	v_cmp_ne_u16_sdwa s[12:13], v4, v13 src0_sel:BYTE_0 src1_sel:DWORD
	v_mov_b32_e32 v12, 0
	s_and_saveexec_b64 s[10:11], s[12:13]
	s_cbranch_execz .LBB338_181
; %bb.176:                              ;   in Loop: Header=BB338_123 Depth=1
	v_cmp_ne_u16_sdwa s[14:15], v4, s20 src0_sel:BYTE_0 src1_sel:DWORD
	v_bfrev_b32_e32 v12, 1
	s_and_saveexec_b64 s[12:13], s[14:15]
	s_cbranch_execz .LBB338_180
; %bb.177:                              ;   in Loop: Header=BB338_123 Depth=1
	v_bfe_u32 v26, v2, 16, 7
	v_cmp_ne_u32_e32 vcc, s21, v26
	v_mov_b32_e32 v12, 0x7f800001
	s_and_saveexec_b64 s[14:15], vcc
	s_cbranch_execz .LBB338_179
; %bb.178:                              ;   in Loop: Header=BB338_123 Depth=1
	v_and_b32_e32 v12, 7, v4
	v_ffbh_u32_e32 v28, v12
	v_min_u32_e32 v30, 32, v28
	v_subrev_u32_e32 v28, 28, v30
	v_lshlrev_b64 v[28:29], v28, v[4:5]
	v_lshrrev_b32_e32 v27, 3, v26
	v_sub_u32_e32 v29, 29, v30
	v_and_b32_e32 v28, 7, v28
	v_cmp_gt_u32_e32 vcc, 8, v26
	v_cndmask_b32_e32 v26, v27, v29, vcc
	v_cndmask_b32_e32 v12, v12, v28, vcc
	v_lshlrev_b32_e32 v4, 24, v4
	v_lshlrev_b32_e32 v12, 20, v12
	v_and_b32_e32 v4, 0x80000000, v4
	v_lshl_add_u32 v26, v26, 23, v11
	v_or3_b32 v12, v4, v26, v12
.LBB338_179:                            ;   in Loop: Header=BB338_123 Depth=1
	s_or_b64 exec, exec, s[14:15]
.LBB338_180:                            ;   in Loop: Header=BB338_123 Depth=1
	s_or_b64 exec, exec, s[12:13]
.LBB338_181:                            ;   in Loop: Header=BB338_123 Depth=1
	s_or_b64 exec, exec, s[10:11]
	v_mul_f32_e32 v4, s17, v12
	v_and_b32_e32 v12, 0x7f800000, v4
	v_cmp_ne_u32_e32 vcc, s18, v12
                                        ; implicit-def: $vgpr26
	s_and_saveexec_b64 s[10:11], vcc
	s_xor_b64 s[10:11], exec, s[10:11]
; %bb.182:                              ;   in Loop: Header=BB338_123 Depth=1
	v_bfe_u32 v12, v4, 16, 1
	v_add3_u32 v26, v4, v12, s19
                                        ; implicit-def: $vgpr4
; %bb.183:                              ;   in Loop: Header=BB338_123 Depth=1
	s_andn2_saveexec_b64 s[10:11], s[10:11]
; %bb.184:                              ;   in Loop: Header=BB338_123 Depth=1
	v_or_b32_e32 v12, 0x10000, v4
	v_cmp_eq_u32_sdwa vcc, v4, v13 src0_sel:WORD_0 src1_sel:DWORD
	v_cndmask_b32_e32 v26, v12, v4, vcc
; %bb.185:                              ;   in Loop: Header=BB338_123 Depth=1
	s_or_b64 exec, exec, s[10:11]
	v_cmp_lt_u32_e32 vcc, s3, v2
	v_mov_b32_e32 v12, 0
	s_and_saveexec_b64 s[10:11], vcc
	s_cbranch_execz .LBB338_191
; %bb.186:                              ;   in Loop: Header=BB338_123 Depth=1
	v_lshrrev_b32_e32 v4, 24, v2
	v_cmp_ne_u32_e32 vcc, s20, v4
	v_bfrev_b32_e32 v12, 1
	s_and_saveexec_b64 s[12:13], vcc
	s_cbranch_execz .LBB338_190
; %bb.187:                              ;   in Loop: Header=BB338_123 Depth=1
	v_bfe_u32 v27, v2, 24, 7
	v_cmp_ne_u32_e32 vcc, s21, v27
	v_mov_b32_e32 v12, 0x7f800001
	s_and_saveexec_b64 s[14:15], vcc
	s_cbranch_execz .LBB338_189
; %bb.188:                              ;   in Loop: Header=BB338_123 Depth=1
	v_and_b32_e32 v12, 7, v4
	v_ffbh_u32_e32 v28, v12
	v_min_u32_e32 v31, 32, v28
	v_subrev_u32_e32 v28, 28, v31
	v_lshlrev_b64 v[28:29], v28, v[4:5]
	v_lshrrev_b32_e32 v30, 3, v27
	v_sub_u32_e32 v29, 29, v31
	v_and_b32_e32 v28, 7, v28
	v_cmp_gt_u32_e32 vcc, 8, v27
	v_cndmask_b32_e32 v27, v30, v29, vcc
	v_cndmask_b32_e32 v12, v12, v28, vcc
	v_lshlrev_b32_e32 v4, 24, v4
	v_lshlrev_b32_e32 v12, 20, v12
	v_and_b32_e32 v4, 0x80000000, v4
	v_lshl_add_u32 v27, v27, 23, v11
	v_or3_b32 v12, v4, v27, v12
.LBB338_189:                            ;   in Loop: Header=BB338_123 Depth=1
	s_or_b64 exec, exec, s[14:15]
.LBB338_190:                            ;   in Loop: Header=BB338_123 Depth=1
	s_or_b64 exec, exec, s[12:13]
.LBB338_191:                            ;   in Loop: Header=BB338_123 Depth=1
	s_or_b64 exec, exec, s[10:11]
	v_mul_f32_e32 v4, s17, v12
	v_and_b32_e32 v12, 0x7f800000, v4
	v_cmp_ne_u32_e32 vcc, s18, v12
                                        ; implicit-def: $vgpr27
	s_and_saveexec_b64 s[10:11], vcc
	s_xor_b64 s[10:11], exec, s[10:11]
; %bb.192:                              ;   in Loop: Header=BB338_123 Depth=1
	v_bfe_u32 v12, v4, 16, 1
	v_add3_u32 v27, v4, v12, s19
                                        ; implicit-def: $vgpr4
; %bb.193:                              ;   in Loop: Header=BB338_123 Depth=1
	s_andn2_saveexec_b64 s[10:11], s[10:11]
; %bb.194:                              ;   in Loop: Header=BB338_123 Depth=1
	v_or_b32_e32 v12, 0x10000, v4
	v_cmp_eq_u32_sdwa vcc, v4, v13 src0_sel:WORD_0 src1_sel:DWORD
	v_cndmask_b32_e32 v27, v12, v4, vcc
; %bb.195:                              ;   in Loop: Header=BB338_123 Depth=1
	s_or_b64 exec, exec, s[10:11]
	v_mov_b32_e32 v12, v3
	v_cmp_ne_u16_sdwa s[12:13], v3, v13 src0_sel:BYTE_0 src1_sel:DWORD
	v_mov_b32_e32 v4, 0
	s_and_saveexec_b64 s[10:11], s[12:13]
	s_cbranch_execz .LBB338_201
; %bb.196:                              ;   in Loop: Header=BB338_123 Depth=1
	v_cmp_ne_u16_sdwa s[14:15], v3, s20 src0_sel:BYTE_0 src1_sel:DWORD
	v_bfrev_b32_e32 v4, 1
	s_and_saveexec_b64 s[12:13], s[14:15]
	s_cbranch_execz .LBB338_200
; %bb.197:                              ;   in Loop: Header=BB338_123 Depth=1
	v_and_b32_e32 v28, 0x7f, v3
	v_cmp_ne_u32_e32 vcc, s21, v28
	v_mov_b32_e32 v4, 0x7f800001
	s_and_saveexec_b64 s[14:15], vcc
	s_cbranch_execz .LBB338_199
; %bb.198:                              ;   in Loop: Header=BB338_123 Depth=1
	v_and_b32_e32 v4, 7, v3
	v_ffbh_u32_e32 v4, v4
	v_min_u32_e32 v4, 32, v4
	v_subrev_u32_e32 v30, 28, v4
	v_cmp_gt_u32_e32 vcc, 8, v28
	v_lshrrev_b32_e32 v29, 3, v28
	v_sub_u32_e32 v4, 29, v4
	v_cndmask_b32_e32 v28, 0, v30, vcc
	v_cndmask_b32_e32 v4, v29, v4, vcc
	v_lshlrev_b64 v[28:29], v28, v[12:13]
	v_lshlrev_b32_e32 v28, 20, v28
	v_lshlrev_b32_e32 v29, 24, v12
	v_and_b32_e32 v28, 0x700000, v28
	v_and_b32_e32 v29, 0x80000000, v29
	v_lshl_add_u32 v4, v4, 23, v11
	v_or3_b32 v4, v29, v4, v28
.LBB338_199:                            ;   in Loop: Header=BB338_123 Depth=1
	s_or_b64 exec, exec, s[14:15]
.LBB338_200:                            ;   in Loop: Header=BB338_123 Depth=1
	s_or_b64 exec, exec, s[12:13]
.LBB338_201:                            ;   in Loop: Header=BB338_123 Depth=1
	s_or_b64 exec, exec, s[10:11]
	v_mul_f32_e32 v4, s17, v4
	v_and_b32_e32 v28, 0x7f800000, v4
	v_cmp_ne_u32_e32 vcc, s18, v28
                                        ; implicit-def: $vgpr28
	s_and_saveexec_b64 s[10:11], vcc
	s_xor_b64 s[10:11], exec, s[10:11]
; %bb.202:                              ;   in Loop: Header=BB338_123 Depth=1
	v_bfe_u32 v28, v4, 16, 1
	v_add3_u32 v28, v4, v28, s19
                                        ; implicit-def: $vgpr4
; %bb.203:                              ;   in Loop: Header=BB338_123 Depth=1
	s_andn2_saveexec_b64 s[10:11], s[10:11]
; %bb.204:                              ;   in Loop: Header=BB338_123 Depth=1
	v_or_b32_e32 v28, 0x10000, v4
	v_cmp_eq_u32_sdwa vcc, v4, v13 src0_sel:WORD_0 src1_sel:DWORD
	v_cndmask_b32_e32 v28, v28, v4, vcc
; %bb.205:                              ;   in Loop: Header=BB338_123 Depth=1
	s_or_b64 exec, exec, s[10:11]
	v_lshrrev_b16_e32 v4, 8, v12
	v_cmp_ne_u16_e32 vcc, 0, v4
	v_mov_b32_e32 v29, 0
	s_and_saveexec_b64 s[10:11], vcc
	s_cbranch_execz .LBB338_211
; %bb.206:                              ;   in Loop: Header=BB338_123 Depth=1
	v_cmp_ne_u16_e32 vcc, s20, v4
	v_bfrev_b32_e32 v29, 1
	s_and_saveexec_b64 s[12:13], vcc
	s_cbranch_execz .LBB338_210
; %bb.207:                              ;   in Loop: Header=BB338_123 Depth=1
	v_and_b32_e32 v30, 0x7f, v4
	v_cmp_ne_u32_e32 vcc, s21, v30
	v_mov_b32_e32 v29, 0x7f800001
	s_and_saveexec_b64 s[14:15], vcc
	s_cbranch_execz .LBB338_209
; %bb.208:                              ;   in Loop: Header=BB338_123 Depth=1
	v_and_b32_e32 v29, 7, v4
	v_ffbh_u32_e32 v32, v29
	v_min_u32_e32 v34, 32, v32
	v_subrev_u32_e32 v32, 28, v34
	v_lshlrev_b64 v[32:33], v32, v[4:5]
	v_lshrrev_b32_e32 v31, 3, v30
	v_sub_u32_e32 v4, 29, v34
	v_and_b32_e32 v32, 7, v32
	v_cmp_gt_u32_e32 vcc, 8, v30
	v_cndmask_b32_e32 v4, v31, v4, vcc
	v_cndmask_b32_e32 v29, v29, v32, vcc
	v_lshlrev_b32_e32 v12, 16, v12
	v_lshlrev_b32_e32 v29, 20, v29
	v_and_b32_e32 v12, 0x80000000, v12
	v_lshl_add_u32 v4, v4, 23, v11
	v_or3_b32 v29, v12, v4, v29
.LBB338_209:                            ;   in Loop: Header=BB338_123 Depth=1
	s_or_b64 exec, exec, s[14:15]
.LBB338_210:                            ;   in Loop: Header=BB338_123 Depth=1
	s_or_b64 exec, exec, s[12:13]
.LBB338_211:                            ;   in Loop: Header=BB338_123 Depth=1
	s_or_b64 exec, exec, s[10:11]
	v_mul_f32_e32 v4, s17, v29
	v_and_b32_e32 v12, 0x7f800000, v4
	v_cmp_ne_u32_e32 vcc, s18, v12
                                        ; implicit-def: $vgpr12
	s_and_saveexec_b64 s[10:11], vcc
	s_xor_b64 s[10:11], exec, s[10:11]
; %bb.212:                              ;   in Loop: Header=BB338_123 Depth=1
	v_bfe_u32 v12, v4, 16, 1
	v_add3_u32 v12, v4, v12, s19
                                        ; implicit-def: $vgpr4
; %bb.213:                              ;   in Loop: Header=BB338_123 Depth=1
	s_andn2_saveexec_b64 s[10:11], s[10:11]
; %bb.214:                              ;   in Loop: Header=BB338_123 Depth=1
	v_or_b32_e32 v12, 0x10000, v4
	v_cmp_eq_u32_sdwa vcc, v4, v13 src0_sel:WORD_0 src1_sel:DWORD
	v_cndmask_b32_e32 v12, v12, v4, vcc
; %bb.215:                              ;   in Loop: Header=BB338_123 Depth=1
	s_or_b64 exec, exec, s[10:11]
	v_lshrrev_b32_e32 v4, 16, v3
	v_cmp_ne_u16_sdwa s[12:13], v4, v13 src0_sel:BYTE_0 src1_sel:DWORD
	v_mov_b32_e32 v29, 0
	s_and_saveexec_b64 s[10:11], s[12:13]
	s_cbranch_execz .LBB338_221
; %bb.216:                              ;   in Loop: Header=BB338_123 Depth=1
	v_cmp_ne_u16_sdwa s[14:15], v4, s20 src0_sel:BYTE_0 src1_sel:DWORD
	v_bfrev_b32_e32 v29, 1
	s_and_saveexec_b64 s[12:13], s[14:15]
	s_cbranch_execz .LBB338_220
; %bb.217:                              ;   in Loop: Header=BB338_123 Depth=1
	v_bfe_u32 v30, v3, 16, 7
	v_cmp_ne_u32_e32 vcc, s21, v30
	v_mov_b32_e32 v29, 0x7f800001
	s_and_saveexec_b64 s[14:15], vcc
	s_cbranch_execz .LBB338_219
; %bb.218:                              ;   in Loop: Header=BB338_123 Depth=1
	v_and_b32_e32 v29, 7, v4
	v_ffbh_u32_e32 v32, v29
	v_min_u32_e32 v34, 32, v32
	v_subrev_u32_e32 v32, 28, v34
	v_lshlrev_b64 v[32:33], v32, v[4:5]
	v_lshrrev_b32_e32 v31, 3, v30
	v_sub_u32_e32 v33, 29, v34
	v_and_b32_e32 v32, 7, v32
	v_cmp_gt_u32_e32 vcc, 8, v30
	v_cndmask_b32_e32 v30, v31, v33, vcc
	v_cndmask_b32_e32 v29, v29, v32, vcc
	v_lshlrev_b32_e32 v4, 24, v4
	v_lshlrev_b32_e32 v29, 20, v29
	v_and_b32_e32 v4, 0x80000000, v4
	v_lshl_add_u32 v30, v30, 23, v11
	v_or3_b32 v29, v4, v30, v29
.LBB338_219:                            ;   in Loop: Header=BB338_123 Depth=1
	s_or_b64 exec, exec, s[14:15]
.LBB338_220:                            ;   in Loop: Header=BB338_123 Depth=1
	s_or_b64 exec, exec, s[12:13]
.LBB338_221:                            ;   in Loop: Header=BB338_123 Depth=1
	s_or_b64 exec, exec, s[10:11]
	v_mul_f32_e32 v29, s17, v29
	v_and_b32_e32 v4, 0x7f800000, v29
	v_cmp_ne_u32_e32 vcc, s18, v4
                                        ; implicit-def: $vgpr4
	s_and_saveexec_b64 s[10:11], vcc
	s_xor_b64 s[10:11], exec, s[10:11]
; %bb.222:                              ;   in Loop: Header=BB338_123 Depth=1
	v_bfe_u32 v4, v29, 16, 1
	v_add3_u32 v4, v29, v4, s19
                                        ; implicit-def: $vgpr29
; %bb.223:                              ;   in Loop: Header=BB338_123 Depth=1
	s_andn2_saveexec_b64 s[10:11], s[10:11]
; %bb.224:                              ;   in Loop: Header=BB338_123 Depth=1
	v_or_b32_e32 v4, 0x10000, v29
	v_cmp_eq_u32_sdwa vcc, v29, v13 src0_sel:WORD_0 src1_sel:DWORD
	v_cndmask_b32_e32 v4, v4, v29, vcc
; %bb.225:                              ;   in Loop: Header=BB338_123 Depth=1
	s_or_b64 exec, exec, s[10:11]
	v_cmp_lt_u64_e32 vcc, s[2:3], v[2:3]
	v_mov_b32_e32 v29, 0
	s_and_saveexec_b64 s[10:11], vcc
	s_cbranch_execz .LBB338_231
; %bb.226:                              ;   in Loop: Header=BB338_123 Depth=1
	v_lshrrev_b32_e32 v2, 24, v3
	v_cmp_ne_u32_e32 vcc, s20, v2
	v_bfrev_b32_e32 v29, 1
	s_and_saveexec_b64 s[12:13], vcc
	s_cbranch_execz .LBB338_230
; %bb.227:                              ;   in Loop: Header=BB338_123 Depth=1
	v_bfe_u32 v3, v3, 24, 7
	v_cmp_ne_u32_e32 vcc, s21, v3
	v_mov_b32_e32 v29, 0x7f800001
	s_and_saveexec_b64 s[14:15], vcc
	s_cbranch_execz .LBB338_229
; %bb.228:                              ;   in Loop: Header=BB338_123 Depth=1
	v_and_b32_e32 v29, 7, v2
	v_ffbh_u32_e32 v30, v29
	v_min_u32_e32 v33, 32, v30
	v_subrev_u32_e32 v30, 28, v33
	v_lshlrev_b64 v[30:31], v30, v[2:3]
	v_lshrrev_b32_e32 v32, 3, v3
	v_sub_u32_e32 v31, 29, v33
	v_and_b32_e32 v30, 7, v30
	v_cmp_gt_u32_e32 vcc, 8, v3
	v_cndmask_b32_e32 v3, v32, v31, vcc
	v_cndmask_b32_e32 v29, v29, v30, vcc
	v_lshlrev_b32_e32 v2, 24, v2
	v_lshlrev_b32_e32 v29, 20, v29
	v_and_b32_e32 v2, 0x80000000, v2
	v_lshl_add_u32 v3, v3, 23, v11
	v_or3_b32 v29, v2, v3, v29
.LBB338_229:                            ;   in Loop: Header=BB338_123 Depth=1
	s_or_b64 exec, exec, s[14:15]
.LBB338_230:                            ;   in Loop: Header=BB338_123 Depth=1
	s_or_b64 exec, exec, s[12:13]
.LBB338_231:                            ;   in Loop: Header=BB338_123 Depth=1
	s_or_b64 exec, exec, s[10:11]
	v_mul_f32_e32 v3, s17, v29
	v_and_b32_e32 v2, 0x7f800000, v3
	v_cmp_ne_u32_e32 vcc, s18, v2
                                        ; implicit-def: $vgpr2
	s_and_saveexec_b64 s[10:11], vcc
	s_xor_b64 s[10:11], exec, s[10:11]
; %bb.232:                              ;   in Loop: Header=BB338_123 Depth=1
	v_bfe_u32 v2, v3, 16, 1
	v_add3_u32 v2, v3, v2, s19
                                        ; implicit-def: $vgpr3
; %bb.233:                              ;   in Loop: Header=BB338_123 Depth=1
	s_andn2_saveexec_b64 s[10:11], s[10:11]
; %bb.234:                              ;   in Loop: Header=BB338_123 Depth=1
	v_or_b32_e32 v2, 0x10000, v3
	v_cmp_eq_u32_sdwa vcc, v3, v13 src0_sel:WORD_0 src1_sel:DWORD
	v_cndmask_b32_e32 v2, v2, v3, vcc
; %bb.235:                              ;   in Loop: Header=BB338_123 Depth=1
	s_or_b64 exec, exec, s[10:11]
	v_lshrrev_b32_e32 v12, 16, v12
	v_lshrrev_b32_e32 v28, 16, v28
	;; [unrolled: 1-line block ×8, first 2 shown]
	v_cmp_eq_u32_e32 vcc, s47, v10
	s_and_saveexec_b64 s[10:11], vcc
	s_cbranch_execz .LBB338_237
; %bb.236:                              ;   in Loop: Header=BB338_123 Depth=1
	v_add_u32_e32 v5, -7, v19
	v_cmp_gt_i32_e32 vcc, s29, v5
	v_add_u32_e32 v5, -6, v19
	v_cndmask_b32_e32 v3, 0, v3, vcc
	v_cmp_gt_i32_e32 vcc, s29, v5
	v_add_u32_e32 v5, -5, v19
	v_cndmask_b32_e32 v25, 0, v25, vcc
	;; [unrolled: 3-line block ×6, first 2 shown]
	v_cmp_gt_i32_e32 vcc, s29, v5
	v_cndmask_b32_e32 v4, 0, v4, vcc
	v_cmp_gt_i32_e32 vcc, s29, v19
	v_cndmask_b32_e32 v2, 0, v2, vcc
.LBB338_237:                            ;   in Loop: Header=BB338_123 Depth=1
	s_or_b64 exec, exec, s[10:11]
	v_and_b32_e32 v5, 0xffff0000, v24
	v_lshlrev_b32_e32 v3, 16, v3
	v_mul_f32_e32 v5, v5, v3
	v_and_b32_e32 v3, 0x7f800000, v5
	v_cmp_ne_u32_e32 vcc, s18, v3
                                        ; implicit-def: $vgpr3
	s_and_saveexec_b64 s[10:11], vcc
	s_xor_b64 s[10:11], exec, s[10:11]
; %bb.238:                              ;   in Loop: Header=BB338_123 Depth=1
	v_bfe_u32 v3, v5, 16, 1
	v_add3_u32 v3, v5, v3, s19
                                        ; implicit-def: $vgpr5
; %bb.239:                              ;   in Loop: Header=BB338_123 Depth=1
	s_andn2_saveexec_b64 s[10:11], s[10:11]
; %bb.240:                              ;   in Loop: Header=BB338_123 Depth=1
	v_or_b32_e32 v3, 0x10000, v5
	v_cmp_eq_u32_sdwa vcc, v5, v13 src0_sel:WORD_0 src1_sel:DWORD
	v_cndmask_b32_e32 v3, v3, v5, vcc
; %bb.241:                              ;   in Loop: Header=BB338_123 Depth=1
	s_or_b64 exec, exec, s[10:11]
	v_and_b32_e32 v5, 0xffff0000, v23
	v_lshlrev_b32_e32 v23, 16, v25
	v_mul_f32_e32 v23, v5, v23
	v_and_b32_e32 v5, 0x7f800000, v23
	v_cmp_ne_u32_e32 vcc, s18, v5
                                        ; implicit-def: $vgpr5
	s_and_saveexec_b64 s[10:11], vcc
	s_xor_b64 s[10:11], exec, s[10:11]
; %bb.242:                              ;   in Loop: Header=BB338_123 Depth=1
	v_bfe_u32 v5, v23, 16, 1
	v_add3_u32 v5, v23, v5, s19
                                        ; implicit-def: $vgpr23
; %bb.243:                              ;   in Loop: Header=BB338_123 Depth=1
	s_andn2_saveexec_b64 s[10:11], s[10:11]
; %bb.244:                              ;   in Loop: Header=BB338_123 Depth=1
	v_or_b32_e32 v5, 0x10000, v23
	v_cmp_eq_u32_sdwa vcc, v23, v13 src0_sel:WORD_0 src1_sel:DWORD
	v_cndmask_b32_e32 v5, v5, v23, vcc
; %bb.245:                              ;   in Loop: Header=BB338_123 Depth=1
	s_or_b64 exec, exec, s[10:11]
	v_and_b32_e32 v22, 0xffff0000, v22
	v_lshlrev_b32_e32 v23, 16, v26
	v_mul_f32_e32 v23, v22, v23
	v_and_b32_e32 v22, 0x7f800000, v23
	v_cmp_ne_u32_e32 vcc, s18, v22
                                        ; implicit-def: $vgpr22
	s_and_saveexec_b64 s[10:11], vcc
	s_xor_b64 s[10:11], exec, s[10:11]
; %bb.246:                              ;   in Loop: Header=BB338_123 Depth=1
	v_bfe_u32 v22, v23, 16, 1
	v_add3_u32 v22, v23, v22, s19
                                        ; implicit-def: $vgpr23
; %bb.247:                              ;   in Loop: Header=BB338_123 Depth=1
	s_andn2_saveexec_b64 s[10:11], s[10:11]
; %bb.248:                              ;   in Loop: Header=BB338_123 Depth=1
	v_or_b32_e32 v22, 0x10000, v23
	v_cmp_eq_u32_sdwa vcc, v23, v13 src0_sel:WORD_0 src1_sel:DWORD
	v_cndmask_b32_e32 v22, v22, v23, vcc
; %bb.249:                              ;   in Loop: Header=BB338_123 Depth=1
	s_or_b64 exec, exec, s[10:11]
	v_and_b32_e32 v21, 0xffff0000, v21
	v_lshlrev_b32_e32 v23, 16, v27
	v_mul_f32_e32 v23, v21, v23
	v_and_b32_e32 v21, 0x7f800000, v23
	v_cmp_ne_u32_e32 vcc, s18, v21
                                        ; implicit-def: $vgpr21
	s_and_saveexec_b64 s[10:11], vcc
	s_xor_b64 s[10:11], exec, s[10:11]
; %bb.250:                              ;   in Loop: Header=BB338_123 Depth=1
	v_bfe_u32 v21, v23, 16, 1
	v_add3_u32 v21, v23, v21, s19
                                        ; implicit-def: $vgpr23
; %bb.251:                              ;   in Loop: Header=BB338_123 Depth=1
	s_andn2_saveexec_b64 s[10:11], s[10:11]
; %bb.252:                              ;   in Loop: Header=BB338_123 Depth=1
	v_or_b32_e32 v21, 0x10000, v23
	v_cmp_eq_u32_sdwa vcc, v23, v13 src0_sel:WORD_0 src1_sel:DWORD
	v_cndmask_b32_e32 v21, v21, v23, vcc
; %bb.253:                              ;   in Loop: Header=BB338_123 Depth=1
	s_or_b64 exec, exec, s[10:11]
	v_and_b32_e32 v9, 0xffff0000, v9
	v_lshlrev_b32_e32 v23, 16, v28
	v_mul_f32_e32 v23, v9, v23
	v_and_b32_e32 v9, 0x7f800000, v23
	v_cmp_ne_u32_e32 vcc, s18, v9
                                        ; implicit-def: $vgpr9
	s_and_saveexec_b64 s[10:11], vcc
	s_xor_b64 s[10:11], exec, s[10:11]
; %bb.254:                              ;   in Loop: Header=BB338_123 Depth=1
	v_bfe_u32 v9, v23, 16, 1
	v_add3_u32 v9, v23, v9, s19
                                        ; implicit-def: $vgpr23
; %bb.255:                              ;   in Loop: Header=BB338_123 Depth=1
	s_andn2_saveexec_b64 s[10:11], s[10:11]
; %bb.256:                              ;   in Loop: Header=BB338_123 Depth=1
	v_or_b32_e32 v9, 0x10000, v23
	v_cmp_eq_u32_sdwa vcc, v23, v13 src0_sel:WORD_0 src1_sel:DWORD
	v_cndmask_b32_e32 v9, v9, v23, vcc
; %bb.257:                              ;   in Loop: Header=BB338_123 Depth=1
	s_or_b64 exec, exec, s[10:11]
	v_and_b32_e32 v8, 0xffff0000, v8
	v_lshlrev_b32_e32 v12, 16, v12
	v_mul_f32_e32 v12, v8, v12
	v_and_b32_e32 v8, 0x7f800000, v12
	v_cmp_ne_u32_e32 vcc, s18, v8
                                        ; implicit-def: $vgpr8
	s_and_saveexec_b64 s[10:11], vcc
	s_xor_b64 s[10:11], exec, s[10:11]
; %bb.258:                              ;   in Loop: Header=BB338_123 Depth=1
	v_bfe_u32 v8, v12, 16, 1
	v_add3_u32 v8, v12, v8, s19
                                        ; implicit-def: $vgpr12
; %bb.259:                              ;   in Loop: Header=BB338_123 Depth=1
	s_andn2_saveexec_b64 s[10:11], s[10:11]
; %bb.260:                              ;   in Loop: Header=BB338_123 Depth=1
	v_or_b32_e32 v8, 0x10000, v12
	v_cmp_eq_u32_sdwa vcc, v12, v13 src0_sel:WORD_0 src1_sel:DWORD
	v_cndmask_b32_e32 v8, v8, v12, vcc
; %bb.261:                              ;   in Loop: Header=BB338_123 Depth=1
	s_or_b64 exec, exec, s[10:11]
	v_and_b32_e32 v7, 0xffff0000, v7
	v_lshlrev_b32_e32 v4, 16, v4
	v_mul_f32_e32 v7, v7, v4
	v_and_b32_e32 v4, 0x7f800000, v7
	v_cmp_ne_u32_e32 vcc, s18, v4
                                        ; implicit-def: $vgpr4
	s_and_saveexec_b64 s[10:11], vcc
	s_xor_b64 s[10:11], exec, s[10:11]
; %bb.262:                              ;   in Loop: Header=BB338_123 Depth=1
	v_bfe_u32 v4, v7, 16, 1
	v_add3_u32 v4, v7, v4, s19
                                        ; implicit-def: $vgpr7
; %bb.263:                              ;   in Loop: Header=BB338_123 Depth=1
	s_andn2_saveexec_b64 s[10:11], s[10:11]
; %bb.264:                              ;   in Loop: Header=BB338_123 Depth=1
	v_or_b32_e32 v4, 0x10000, v7
	v_cmp_eq_u32_sdwa vcc, v7, v13 src0_sel:WORD_0 src1_sel:DWORD
	v_cndmask_b32_e32 v4, v4, v7, vcc
; %bb.265:                              ;   in Loop: Header=BB338_123 Depth=1
	s_or_b64 exec, exec, s[10:11]
	v_and_b32_e32 v6, 0xffff0000, v6
	v_lshlrev_b32_e32 v2, 16, v2
	v_mul_f32_e32 v2, v6, v2
	v_and_b32_e32 v6, 0x7f800000, v2
	v_cmp_ne_u32_e32 vcc, s18, v6
                                        ; implicit-def: $vgpr6
	s_and_saveexec_b64 s[10:11], vcc
	s_xor_b64 s[10:11], exec, s[10:11]
; %bb.266:                              ;   in Loop: Header=BB338_123 Depth=1
	v_bfe_u32 v6, v2, 16, 1
	v_add3_u32 v6, v2, v6, s19
                                        ; implicit-def: $vgpr2
; %bb.267:                              ;   in Loop: Header=BB338_123 Depth=1
	s_andn2_saveexec_b64 s[10:11], s[10:11]
	s_cbranch_execz .LBB338_122
; %bb.268:                              ;   in Loop: Header=BB338_123 Depth=1
	v_or_b32_e32 v6, 0x10000, v2
	v_cmp_eq_u32_sdwa vcc, v2, v13 src0_sel:WORD_0 src1_sel:DWORD
	v_cndmask_b32_e32 v6, v6, v2, vcc
	s_branch .LBB338_122
.LBB338_269:
	s_or_b64 exec, exec, s[8:9]
.LBB338_270:
	s_or_b64 exec, exec, s[6:7]
	v_and_b32_e32 v0, 0x3c0, v0
	v_cmp_eq_u32_e32 vcc, 64, v0
	s_barrier
	s_and_saveexec_b64 s[2:3], vcc
	s_cbranch_execz .LBB338_272
; %bb.271:
	v_mov_b32_e32 v0, 0x90
	v_lshl_add_u32 v0, v1, 2, v0
	ds_write_b32 v0, v18
.LBB338_272:
	s_or_b64 exec, exec, s[2:3]
	s_waitcnt lgkmcnt(0)
	s_barrier
	s_and_saveexec_b64 s[2:3], s[0:1]
	s_cbranch_execz .LBB338_274
; %bb.273:
	v_mov_b32_e32 v0, 0x90
	v_lshl_add_u32 v0, v1, 2, v0
	ds_read_b32 v0, v0
	s_waitcnt lgkmcnt(0)
	v_add_f32_e32 v18, v18, v0
.LBB338_274:
	s_or_b64 exec, exec, s[2:3]
	s_barrier
	s_and_saveexec_b64 s[2:3], s[0:1]
	s_cbranch_execz .LBB338_280
; %bb.275:
	s_mov_b32 s0, 0x7f800000
	v_and_b32_e32 v0, 0x7f800000, v18
	v_cmp_ne_u32_e32 vcc, s0, v0
                                        ; implicit-def: $vgpr0
	s_and_saveexec_b64 s[0:1], vcc
	s_xor_b64 s[0:1], exec, s[0:1]
; %bb.276:
	v_bfe_u32 v0, v18, 16, 1
	s_movk_i32 s2, 0x7fff
	v_add3_u32 v0, v18, v0, s2
                                        ; implicit-def: $vgpr18
; %bb.277:
	s_andn2_saveexec_b64 s[0:1], s[0:1]
; %bb.278:
	v_mov_b32_e32 v0, 0
	v_or_b32_e32 v2, 0x10000, v18
	v_cmp_eq_u32_sdwa vcc, v18, v0 src0_sel:WORD_0 src1_sel:DWORD
	v_cndmask_b32_e32 v0, v2, v18, vcc
; %bb.279:
	s_or_b64 exec, exec, s[0:1]
	s_lshl_b32 s0, s4, 6
	s_ashr_i32 s1, s0, 31
	s_lshl_b64 s[0:1], s[0:1], 1
	s_add_u32 s2, s26, s0
	s_mul_i32 s0, s25, s24
	s_addc_u32 s3, s27, s1
	s_ashr_i32 s1, s0, 31
	s_lshl_b64 s[0:1], s[0:1], 1
	s_add_u32 s2, s2, s0
	s_addc_u32 s3, s3, s1
	s_ashr_i32 s17, s16, 31
	s_lshl_b64 s[0:1], s[16:17], 1
	s_add_u32 s0, s2, s0
	s_addc_u32 s1, s3, s1
	v_lshlrev_b32_e32 v1, 1, v1
	global_store_short_d16_hi v1, v0, s[0:1]
.LBB338_280:
	s_endpgm
	.section	.rodata,"a",@progbits
	.p2align	6, 0x0
	.amdhsa_kernel _ZN4vllm25paged_attention_v2_kernelI14__hip_bfloat16hLi64ELi8ELi128ELNS_18Fp8KVCacheDataTypeE1ELb0ELi512EEEvPfS3_PT_PKS4_PKT0_SA_ifPKiSC_iPKfiiiSE_SE_iiiii
		.amdhsa_group_segment_fixed_size 144
		.amdhsa_private_segment_fixed_size 0
		.amdhsa_kernarg_size 400
		.amdhsa_user_sgpr_count 6
		.amdhsa_user_sgpr_private_segment_buffer 1
		.amdhsa_user_sgpr_dispatch_ptr 0
		.amdhsa_user_sgpr_queue_ptr 0
		.amdhsa_user_sgpr_kernarg_segment_ptr 1
		.amdhsa_user_sgpr_dispatch_id 0
		.amdhsa_user_sgpr_flat_scratch_init 0
		.amdhsa_user_sgpr_kernarg_preload_length 0
		.amdhsa_user_sgpr_kernarg_preload_offset 0
		.amdhsa_user_sgpr_private_segment_size 0
		.amdhsa_uses_dynamic_stack 0
		.amdhsa_system_sgpr_private_segment_wavefront_offset 0
		.amdhsa_system_sgpr_workgroup_id_x 1
		.amdhsa_system_sgpr_workgroup_id_y 1
		.amdhsa_system_sgpr_workgroup_id_z 1
		.amdhsa_system_sgpr_workgroup_info 0
		.amdhsa_system_vgpr_workitem_id 0
		.amdhsa_next_free_vgpr 45
		.amdhsa_next_free_sgpr 55
		.amdhsa_accum_offset 48
		.amdhsa_reserve_vcc 1
		.amdhsa_reserve_flat_scratch 0
		.amdhsa_float_round_mode_32 0
		.amdhsa_float_round_mode_16_64 0
		.amdhsa_float_denorm_mode_32 3
		.amdhsa_float_denorm_mode_16_64 3
		.amdhsa_dx10_clamp 1
		.amdhsa_ieee_mode 1
		.amdhsa_fp16_overflow 0
		.amdhsa_tg_split 0
		.amdhsa_exception_fp_ieee_invalid_op 0
		.amdhsa_exception_fp_denorm_src 0
		.amdhsa_exception_fp_ieee_div_zero 0
		.amdhsa_exception_fp_ieee_overflow 0
		.amdhsa_exception_fp_ieee_underflow 0
		.amdhsa_exception_fp_ieee_inexact 0
		.amdhsa_exception_int_div_zero 0
	.end_amdhsa_kernel
	.section	.text._ZN4vllm25paged_attention_v2_kernelI14__hip_bfloat16hLi64ELi8ELi128ELNS_18Fp8KVCacheDataTypeE1ELb0ELi512EEEvPfS3_PT_PKS4_PKT0_SA_ifPKiSC_iPKfiiiSE_SE_iiiii,"axG",@progbits,_ZN4vllm25paged_attention_v2_kernelI14__hip_bfloat16hLi64ELi8ELi128ELNS_18Fp8KVCacheDataTypeE1ELb0ELi512EEEvPfS3_PT_PKS4_PKT0_SA_ifPKiSC_iPKfiiiSE_SE_iiiii,comdat
.Lfunc_end338:
	.size	_ZN4vllm25paged_attention_v2_kernelI14__hip_bfloat16hLi64ELi8ELi128ELNS_18Fp8KVCacheDataTypeE1ELb0ELi512EEEvPfS3_PT_PKS4_PKT0_SA_ifPKiSC_iPKfiiiSE_SE_iiiii, .Lfunc_end338-_ZN4vllm25paged_attention_v2_kernelI14__hip_bfloat16hLi64ELi8ELi128ELNS_18Fp8KVCacheDataTypeE1ELb0ELi512EEEvPfS3_PT_PKS4_PKT0_SA_ifPKiSC_iPKfiiiSE_SE_iiiii
                                        ; -- End function
	.section	.AMDGPU.csdata,"",@progbits
; Kernel info:
; codeLenInByte = 8684
; NumSgprs: 59
; NumVgprs: 45
; NumAgprs: 0
; TotalNumVgprs: 45
; ScratchSize: 0
; MemoryBound: 0
; FloatMode: 240
; IeeeMode: 1
; LDSByteSize: 144 bytes/workgroup (compile time only)
; SGPRBlocks: 7
; VGPRBlocks: 5
; NumSGPRsForWavesPerEU: 59
; NumVGPRsForWavesPerEU: 45
; AccumOffset: 48
; Occupancy: 8
; WaveLimiterHint : 1
; COMPUTE_PGM_RSRC2:SCRATCH_EN: 0
; COMPUTE_PGM_RSRC2:USER_SGPR: 6
; COMPUTE_PGM_RSRC2:TRAP_HANDLER: 0
; COMPUTE_PGM_RSRC2:TGID_X_EN: 1
; COMPUTE_PGM_RSRC2:TGID_Y_EN: 1
; COMPUTE_PGM_RSRC2:TGID_Z_EN: 1
; COMPUTE_PGM_RSRC2:TIDIG_COMP_CNT: 0
; COMPUTE_PGM_RSRC3_GFX90A:ACCUM_OFFSET: 11
; COMPUTE_PGM_RSRC3_GFX90A:TG_SPLIT: 0
	.section	.text._ZN4vllm25paged_attention_v2_kernelI14__hip_bfloat16hLi80ELi8ELi128ELNS_18Fp8KVCacheDataTypeE1ELb0ELi512EEEvPfS3_PT_PKS4_PKT0_SA_ifPKiSC_iPKfiiiSE_SE_iiiii,"axG",@progbits,_ZN4vllm25paged_attention_v2_kernelI14__hip_bfloat16hLi80ELi8ELi128ELNS_18Fp8KVCacheDataTypeE1ELb0ELi512EEEvPfS3_PT_PKS4_PKT0_SA_ifPKiSC_iPKfiiiSE_SE_iiiii,comdat
	.protected	_ZN4vllm25paged_attention_v2_kernelI14__hip_bfloat16hLi80ELi8ELi128ELNS_18Fp8KVCacheDataTypeE1ELb0ELi512EEEvPfS3_PT_PKS4_PKT0_SA_ifPKiSC_iPKfiiiSE_SE_iiiii ; -- Begin function _ZN4vllm25paged_attention_v2_kernelI14__hip_bfloat16hLi80ELi8ELi128ELNS_18Fp8KVCacheDataTypeE1ELb0ELi512EEEvPfS3_PT_PKS4_PKT0_SA_ifPKiSC_iPKfiiiSE_SE_iiiii
	.globl	_ZN4vllm25paged_attention_v2_kernelI14__hip_bfloat16hLi80ELi8ELi128ELNS_18Fp8KVCacheDataTypeE1ELb0ELi512EEEvPfS3_PT_PKS4_PKT0_SA_ifPKiSC_iPKfiiiSE_SE_iiiii
	.p2align	8
	.type	_ZN4vllm25paged_attention_v2_kernelI14__hip_bfloat16hLi80ELi8ELi128ELNS_18Fp8KVCacheDataTypeE1ELb0ELi512EEEvPfS3_PT_PKS4_PKT0_SA_ifPKiSC_iPKfiiiSE_SE_iiiii,@function
_ZN4vllm25paged_attention_v2_kernelI14__hip_bfloat16hLi80ELi8ELi128ELNS_18Fp8KVCacheDataTypeE1ELb0ELi512EEEvPfS3_PT_PKS4_PKT0_SA_ifPKiSC_iPKfiiiSE_SE_iiiii: ; @_ZN4vllm25paged_attention_v2_kernelI14__hip_bfloat16hLi80ELi8ELi128ELNS_18Fp8KVCacheDataTypeE1ELb0ELi512EEEvPfS3_PT_PKS4_PKT0_SA_ifPKiSC_iPKfiiiSE_SE_iiiii
; %bb.0:
	s_load_dwordx2 s[0:1], s[4:5], 0x40
	s_mov_b32 s28, s7
	s_ashr_i32 s29, s7, 31
	s_lshl_b64 s[2:3], s[28:29], 2
	s_waitcnt lgkmcnt(0)
	s_add_u32 s0, s0, s2
	s_addc_u32 s1, s1, s3
	s_load_dword s33, s[0:1], 0x0
	s_lshl_b32 s29, s8, 9
	s_waitcnt lgkmcnt(0)
	s_cmp_ge_i32 s29, s33
	s_cbranch_scc1 .LBB339_424
; %bb.1:
	s_load_dword s9, s[4:5], 0x90
	s_load_dwordx2 s[38:39], s[4:5], 0x30
	s_waitcnt lgkmcnt(0)
	s_abs_i32 s2, s9
	s_abs_i32 s0, s38
	v_cvt_f32_u32_e32 v1, s0
	s_sub_i32 s3, 0, s0
	s_xor_b32 s1, s9, s38
	s_ashr_i32 s1, s1, 31
	v_rcp_iflag_f32_e32 v1, v1
	s_mov_b32 s38, 0
	v_mul_f32_e32 v1, 0x4f7ffffe, v1
	v_cvt_u32_f32_e32 v1, v1
	v_readfirstlane_b32 s7, v1
	s_mul_i32 s3, s3, s7
	s_mul_hi_u32 s3, s7, s3
	s_add_i32 s7, s7, s3
	s_mul_hi_u32 s3, s2, s7
	s_mul_i32 s7, s3, s0
	s_sub_i32 s2, s2, s7
	s_add_i32 s10, s3, 1
	s_sub_i32 s7, s2, s0
	s_cmp_ge_u32 s2, s0
	s_cselect_b32 s3, s10, s3
	s_cselect_b32 s2, s7, s2
	s_add_i32 s7, s3, 1
	s_cmp_ge_u32 s2, s0
	s_cselect_b32 s0, s7, s3
	s_xor_b32 s0, s0, s1
	s_sub_i32 s2, s0, s1
	s_abs_i32 s10, s2
	v_cvt_f32_u32_e32 v1, s10
	s_load_dwordx2 s[0:1], s[4:5], 0x50
	s_sub_i32 s3, 0, s10
	s_abs_i32 s11, s6
	v_rcp_iflag_f32_e32 v1, v1
	v_mul_f32_e32 v1, 0x4f7ffffe, v1
	v_cvt_u32_f32_e32 v1, v1
	v_readfirstlane_b32 s7, v1
	s_mul_i32 s3, s3, s7
	s_mul_hi_u32 s3, s7, s3
	s_add_i32 s7, s7, s3
	s_waitcnt lgkmcnt(0)
	s_cmp_eq_u64 s[0:1], 0
	s_mul_hi_u32 s12, s11, s7
	s_cbranch_scc1 .LBB339_3
; %bb.2:
	s_ashr_i32 s7, s6, 31
	s_lshl_b64 s[14:15], s[6:7], 2
	s_add_u32 s0, s0, s14
	s_addc_u32 s1, s1, s15
	s_load_dword s38, s[0:1], 0x0
.LBB339_3:
	s_load_dwordx4 s[16:19], s[4:5], 0x58
	s_movk_i32 s0, 0x50
	s_ashr_i32 s13, s6, 31
	s_ashr_i32 s14, s2, 31
	v_and_b32_e32 v2, 7, v0
	s_mul_i32 s24, s6, 0x50
	v_cmp_gt_u32_e64 s[0:1], s0, v0
	v_lshlrev_b32_e32 v1, 1, v0
	s_and_saveexec_b64 s[2:3], s[0:1]
	s_cbranch_execz .LBB339_5
; %bb.4:
	s_load_dwordx2 s[20:21], s[4:5], 0x18
	s_waitcnt lgkmcnt(0)
	s_mul_i32 s22, s28, s16
	s_ashr_i32 s23, s22, 31
	s_lshl_b64 s[22:23], s[22:23], 1
	v_lshrrev_b32_e32 v4, 2, v0
	s_add_u32 s7, s20, s22
	s_addc_u32 s15, s21, s23
	s_ashr_i32 s25, s24, 31
	s_lshl_b64 s[20:21], s[24:25], 1
	s_add_u32 s20, s7, s20
	s_addc_u32 s21, s15, s21
	global_load_ushort v3, v1, s[20:21]
	v_and_b32_e32 v4, 0xfe, v4
	v_mad_u32_u24 v4, v2, 20, v4
	s_waitcnt vmcnt(0)
	ds_write_b16 v4, v3
.LBB339_5:
	s_or_b64 exec, exec, s[2:3]
	s_add_i32 s2, s33, 7
	s_ashr_i32 s3, s2, 31
	s_lshr_b32 s3, s3, 29
	s_add_i32 s2, s2, s3
	s_lshl_b32 s7, s8, 6
	s_mul_i32 s3, s12, s10
	s_ashr_i32 s47, s2, 3
	s_add_i32 s2, s7, 64
	s_sub_i32 s3, s11, s3
	s_min_i32 s46, s2, s47
	s_xor_b32 s2, s13, s14
	s_add_i32 s11, s12, 1
	s_sub_i32 s13, s3, s10
	s_cmp_ge_u32 s3, s10
	s_cselect_b32 s11, s11, s12
	s_cselect_b32 s3, s13, s3
	s_add_i32 s12, s11, 1
	s_cmp_ge_u32 s3, s10
	s_load_dwordx2 s[30:31], s[4:5], 0x38
	s_load_dword s10, s[4:5], 0x48
	v_lshrrev_b32_e32 v16, 6, v0
	s_cselect_b32 s3, s12, s11
	s_xor_b32 s3, s3, s2
	v_or_b32_e32 v10, s7, v16
	s_waitcnt lgkmcnt(0)
	s_mul_i32 s34, s28, s10
	s_sub_i32 s16, s3, s2
	s_ashr_i32 s35, s34, 31
	v_cmp_gt_i32_e64 s[2:3], s46, v10
	v_cmp_le_i32_e32 vcc, s46, v10
	v_mbcnt_lo_u32_b32 v6, -1, 0
	s_barrier
	s_waitcnt lgkmcnt(0)
                                        ; implicit-def: $sgpr19
                                        ; implicit-def: $vgpr3
                                        ; implicit-def: $vgpr13
	s_and_saveexec_b64 s[10:11], vcc
	s_xor_b64 s[10:11], exec, s[10:11]
; %bb.6:
	v_mbcnt_hi_u32_b32 v3, -1, v6
	v_and_b32_e32 v2, 64, v3
	v_add_u32_e32 v13, 64, v2
	s_mov_b32 s19, 0xff7fffff
                                        ; implicit-def: $vgpr2
                                        ; implicit-def: $vgpr6
; %bb.7:
	s_or_saveexec_b64 s[40:41], s[10:11]
	s_load_dwordx4 s[20:23], s[4:5], 0x0
	s_load_dwordx2 s[26:27], s[4:5], 0x10
	s_load_dword s25, s[4:5], 0x98
	s_load_dwordx2 s[36:37], s[4:5], 0x28
	s_load_dwordx4 s[12:15], s[4:5], 0x68
	v_mov_b32_e32 v27, s19
	s_mul_i32 s16, s16, s18
	v_ashrrev_i32_e32 v11, 31, v10
	v_lshlrev_b32_e32 v19, 3, v16
	s_xor_b64 exec, exec, s[40:41]
	s_cbranch_execz .LBB339_113
; %bb.8:
	s_load_dwordx2 s[4:5], s[4:5], 0x20
	v_bfe_u32 v7, v0, 3, 3
	s_ashr_i32 s10, s16, 31
	v_lshlrev_b32_e32 v3, 4, v7
	v_mul_u32_u24_e32 v15, 20, v2
	s_waitcnt lgkmcnt(0)
	s_add_u32 s4, s4, s16
	ds_read2_b32 v[8:9], v15 offset1:1
	v_add_co_u32_e32 v4, vcc, s4, v3
	ds_read2_b32 v[12:13], v15 offset0:2 offset1:3
	ds_read_b32 v3, v15 offset:16
	s_addc_u32 s5, s5, s10
	v_mov_b32_e32 v5, s5
	v_addc_co_u32_e32 v5, vcc, 0, v5, vcc
	s_waitcnt lgkmcnt(0)
	v_lshlrev_b32_e32 v25, 16, v3
	v_and_b32_e32 v26, 0xffff0000, v3
	v_mbcnt_hi_u32_b32 v3, -1, v6
	v_and_b32_e32 v6, 64, v3
	v_lshlrev_b32_e32 v23, 16, v13
	v_and_b32_e32 v24, 0xffff0000, v13
	v_add_u32_e32 v13, 64, v6
	v_xor_b32_e32 v6, 4, v3
	v_cmp_lt_i32_e32 vcc, v6, v13
	v_cndmask_b32_e32 v6, v3, v6, vcc
	v_lshlrev_b32_e32 v28, 2, v6
	v_xor_b32_e32 v6, 2, v3
	v_cmp_lt_i32_e32 vcc, v6, v13
	v_cndmask_b32_e32 v6, v3, v6, vcc
	v_lshlrev_b32_e32 v29, 2, v6
	;; [unrolled: 4-line block ×3, first 2 shown]
	s_load_dword s49, s[12:13], 0x0
	s_sub_i32 s50, 1, s33
	v_lshlrev_b32_e32 v6, 2, v7
	s_lshl_b64 s[10:11], s[34:35], 2
	v_lshl_or_b32 v6, v16, 5, v6
	s_add_u32 s10, s30, s10
	v_add3_u32 v31, s29, v19, v7
	v_add_u32_e32 v32, 0xb0, v6
	v_lshlrev_b64 v[6:7], 2, v[10:11]
	s_addc_u32 s11, s31, s11
	v_lshlrev_b32_e32 v15, 16, v8
	v_and_b32_e32 v17, 0xffff0000, v8
	v_mov_b32_e32 v8, s11
	v_add_co_u32_e64 v6, s[10:11], s10, v6
	s_mov_b32 s48, s17
	v_mov_b32_e32 v14, 0
	v_lshlrev_b32_e32 v18, 16, v9
	v_and_b32_e32 v20, 0xffff0000, v9
	v_lshlrev_b32_e32 v21, 16, v12
	v_and_b32_e32 v22, 0xffff0000, v12
	v_cmp_eq_u32_e32 vcc, 0, v2
	v_cmp_neq_f32_e64 s[4:5], s38, 0
	v_addc_co_u32_e64 v7, s[10:11], v8, v7, s[10:11]
	s_mov_b64 s[12:13], 0
	v_mov_b32_e32 v27, 0xff7fffff
	s_movk_i32 s51, 0x80
	s_movk_i32 s52, 0x7f
	s_mov_b32 s53, 0x7f800000
	s_movk_i32 s54, 0x7fff
	v_bfrev_b32_e32 v33, 60
	v_mov_b32_e32 v34, v10
	s_branch .LBB339_10
.LBB339_9:                              ;   in Loop: Header=BB339_10 Depth=1
	s_or_b64 exec, exec, s[18:19]
	v_add_u32_e32 v34, 2, v34
	v_cmp_le_i32_e64 s[10:11], s46, v34
	s_or_b64 s[12:13], s[10:11], s[12:13]
	v_add_co_u32_e64 v6, s[10:11], 8, v6
	v_add_u32_e32 v31, 16, v31
	v_add_u32_e32 v32, 64, v32
	v_addc_co_u32_e64 v7, s[10:11], 0, v7, s[10:11]
	s_andn2_b64 exec, exec, s[12:13]
	s_cbranch_execz .LBB339_112
.LBB339_10:                             ; =>This Inner Loop Header: Depth=1
	global_load_dword v8, v[6:7], off
	v_mov_b32_e32 v36, 0
	s_waitcnt vmcnt(0) lgkmcnt(0)
	v_mad_i64_i32 v[8:9], s[10:11], v8, s48, v[4:5]
	v_add_co_u32_e64 v8, s[10:11], v8, v2
	v_addc_co_u32_e64 v9, s[10:11], 0, v9, s[10:11]
	global_load_ubyte v35, v[8:9], off
	s_waitcnt vmcnt(0)
	v_cmp_ne_u16_e64 s[10:11], 0, v35
	s_and_saveexec_b64 s[18:19], s[10:11]
	s_cbranch_execz .LBB339_16
; %bb.11:                               ;   in Loop: Header=BB339_10 Depth=1
	v_cmp_ne_u16_e64 s[10:11], s51, v35
	v_bfrev_b32_e32 v36, 1
	s_and_saveexec_b64 s[42:43], s[10:11]
	s_cbranch_execz .LBB339_15
; %bb.12:                               ;   in Loop: Header=BB339_10 Depth=1
	v_and_b32_e32 v12, 0xffff, v35
	v_and_b32_e32 v37, 0x7f, v12
	v_cmp_ne_u32_e64 s[10:11], s52, v37
	v_mov_b32_e32 v36, 0x7f800001
	s_and_saveexec_b64 s[44:45], s[10:11]
	s_cbranch_execz .LBB339_14
; %bb.13:                               ;   in Loop: Header=BB339_10 Depth=1
	v_and_b32_e32 v36, 7, v12
	v_ffbh_u32_e32 v38, v36
	v_min_u32_e32 v41, 32, v38
	v_subrev_u32_e32 v38, 28, v41
	v_lshlrev_b64 v[38:39], v38, v[12:13]
	v_lshrrev_b32_e32 v40, 3, v37
	v_sub_u32_e32 v12, 29, v41
	v_and_b32_e32 v38, 7, v38
	v_cmp_gt_u32_e64 s[10:11], 8, v37
	v_cndmask_b32_e64 v12, v40, v12, s[10:11]
	v_cndmask_b32_e64 v36, v36, v38, s[10:11]
	v_lshlrev_b32_e32 v35, 24, v35
	v_lshlrev_b32_e32 v36, 20, v36
	v_and_b32_e32 v35, 0x80000000, v35
	v_lshl_add_u32 v12, v12, 23, v33
	v_or3_b32 v36, v35, v12, v36
.LBB339_14:                             ;   in Loop: Header=BB339_10 Depth=1
	s_or_b64 exec, exec, s[44:45]
.LBB339_15:                             ;   in Loop: Header=BB339_10 Depth=1
	s_or_b64 exec, exec, s[42:43]
.LBB339_16:                             ;   in Loop: Header=BB339_10 Depth=1
	s_or_b64 exec, exec, s[18:19]
	s_waitcnt lgkmcnt(0)
	v_mul_f32_e32 v12, s49, v36
	v_and_b32_e32 v35, 0x7f800000, v12
	v_cmp_ne_u32_e64 s[10:11], s53, v35
                                        ; implicit-def: $vgpr35
	s_and_saveexec_b64 s[18:19], s[10:11]
	s_xor_b64 s[10:11], exec, s[18:19]
; %bb.17:                               ;   in Loop: Header=BB339_10 Depth=1
	v_bfe_u32 v35, v12, 16, 1
	v_add3_u32 v35, v12, v35, s54
                                        ; implicit-def: $vgpr12
; %bb.18:                               ;   in Loop: Header=BB339_10 Depth=1
	s_andn2_saveexec_b64 s[18:19], s[10:11]
; %bb.19:                               ;   in Loop: Header=BB339_10 Depth=1
	v_or_b32_e32 v35, 0x10000, v12
	v_cmp_eq_u32_sdwa s[10:11], v12, v14 src0_sel:WORD_0 src1_sel:DWORD
	v_cndmask_b32_e64 v35, v35, v12, s[10:11]
; %bb.20:                               ;   in Loop: Header=BB339_10 Depth=1
	s_or_b64 exec, exec, s[18:19]
	global_load_ubyte v36, v[8:9], off offset:8
	v_mov_b32_e32 v37, 0
	s_waitcnt vmcnt(0)
	v_cmp_ne_u16_e64 s[10:11], 0, v36
	s_and_saveexec_b64 s[18:19], s[10:11]
	s_cbranch_execz .LBB339_26
; %bb.21:                               ;   in Loop: Header=BB339_10 Depth=1
	v_cmp_ne_u16_e64 s[10:11], s51, v36
	v_bfrev_b32_e32 v37, 1
	s_and_saveexec_b64 s[42:43], s[10:11]
	s_cbranch_execz .LBB339_25
; %bb.22:                               ;   in Loop: Header=BB339_10 Depth=1
	v_and_b32_e32 v12, 0xffff, v36
	v_and_b32_e32 v38, 0x7f, v12
	v_cmp_ne_u32_e64 s[10:11], s52, v38
	v_mov_b32_e32 v37, 0x7f800001
	s_and_saveexec_b64 s[44:45], s[10:11]
	s_cbranch_execz .LBB339_24
; %bb.23:                               ;   in Loop: Header=BB339_10 Depth=1
	v_and_b32_e32 v37, 7, v12
	v_ffbh_u32_e32 v40, v37
	v_min_u32_e32 v42, 32, v40
	v_subrev_u32_e32 v40, 28, v42
	v_lshlrev_b64 v[40:41], v40, v[12:13]
	v_lshrrev_b32_e32 v39, 3, v38
	v_sub_u32_e32 v12, 29, v42
	v_and_b32_e32 v40, 7, v40
	v_cmp_gt_u32_e64 s[10:11], 8, v38
	v_cndmask_b32_e64 v12, v39, v12, s[10:11]
	v_cndmask_b32_e64 v37, v37, v40, s[10:11]
	v_lshlrev_b32_e32 v36, 24, v36
	v_lshlrev_b32_e32 v37, 20, v37
	v_and_b32_e32 v36, 0x80000000, v36
	v_lshl_add_u32 v12, v12, 23, v33
	v_or3_b32 v37, v36, v12, v37
.LBB339_24:                             ;   in Loop: Header=BB339_10 Depth=1
	s_or_b64 exec, exec, s[44:45]
.LBB339_25:                             ;   in Loop: Header=BB339_10 Depth=1
	s_or_b64 exec, exec, s[42:43]
.LBB339_26:                             ;   in Loop: Header=BB339_10 Depth=1
	s_or_b64 exec, exec, s[18:19]
	v_mul_f32_e32 v12, s49, v37
	v_and_b32_e32 v36, 0x7f800000, v12
	v_cmp_ne_u32_e64 s[10:11], s53, v36
                                        ; implicit-def: $vgpr36
	s_and_saveexec_b64 s[18:19], s[10:11]
	s_xor_b64 s[10:11], exec, s[18:19]
; %bb.27:                               ;   in Loop: Header=BB339_10 Depth=1
	v_bfe_u32 v36, v12, 16, 1
	v_add3_u32 v36, v12, v36, s54
                                        ; implicit-def: $vgpr12
; %bb.28:                               ;   in Loop: Header=BB339_10 Depth=1
	s_andn2_saveexec_b64 s[18:19], s[10:11]
; %bb.29:                               ;   in Loop: Header=BB339_10 Depth=1
	v_or_b32_e32 v36, 0x10000, v12
	v_cmp_eq_u32_sdwa s[10:11], v12, v14 src0_sel:WORD_0 src1_sel:DWORD
	v_cndmask_b32_e64 v36, v36, v12, s[10:11]
; %bb.30:                               ;   in Loop: Header=BB339_10 Depth=1
	s_or_b64 exec, exec, s[18:19]
	global_load_ubyte v37, v[8:9], off offset:128
	v_mov_b32_e32 v38, 0
	s_waitcnt vmcnt(0)
	v_cmp_ne_u16_e64 s[10:11], 0, v37
	s_and_saveexec_b64 s[18:19], s[10:11]
	s_cbranch_execz .LBB339_36
; %bb.31:                               ;   in Loop: Header=BB339_10 Depth=1
	v_cmp_ne_u16_e64 s[10:11], s51, v37
	v_bfrev_b32_e32 v38, 1
	s_and_saveexec_b64 s[42:43], s[10:11]
	s_cbranch_execz .LBB339_35
; %bb.32:                               ;   in Loop: Header=BB339_10 Depth=1
	v_and_b32_e32 v12, 0xffff, v37
	v_and_b32_e32 v39, 0x7f, v12
	v_cmp_ne_u32_e64 s[10:11], s52, v39
	v_mov_b32_e32 v38, 0x7f800001
	s_and_saveexec_b64 s[44:45], s[10:11]
	s_cbranch_execz .LBB339_34
; %bb.33:                               ;   in Loop: Header=BB339_10 Depth=1
	v_and_b32_e32 v38, 7, v12
	v_ffbh_u32_e32 v40, v38
	v_min_u32_e32 v43, 32, v40
	v_subrev_u32_e32 v40, 28, v43
	v_lshlrev_b64 v[40:41], v40, v[12:13]
	v_lshrrev_b32_e32 v42, 3, v39
	v_sub_u32_e32 v12, 29, v43
	v_and_b32_e32 v40, 7, v40
	v_cmp_gt_u32_e64 s[10:11], 8, v39
	v_cndmask_b32_e64 v12, v42, v12, s[10:11]
	v_cndmask_b32_e64 v38, v38, v40, s[10:11]
	v_lshlrev_b32_e32 v37, 24, v37
	v_lshlrev_b32_e32 v38, 20, v38
	v_and_b32_e32 v37, 0x80000000, v37
	v_lshl_add_u32 v12, v12, 23, v33
	v_or3_b32 v38, v37, v12, v38
.LBB339_34:                             ;   in Loop: Header=BB339_10 Depth=1
	s_or_b64 exec, exec, s[44:45]
.LBB339_35:                             ;   in Loop: Header=BB339_10 Depth=1
	s_or_b64 exec, exec, s[42:43]
.LBB339_36:                             ;   in Loop: Header=BB339_10 Depth=1
	s_or_b64 exec, exec, s[18:19]
	v_mul_f32_e32 v12, s49, v38
	v_and_b32_e32 v37, 0x7f800000, v12
	v_cmp_ne_u32_e64 s[10:11], s53, v37
                                        ; implicit-def: $vgpr37
	s_and_saveexec_b64 s[18:19], s[10:11]
	s_xor_b64 s[10:11], exec, s[18:19]
; %bb.37:                               ;   in Loop: Header=BB339_10 Depth=1
	v_bfe_u32 v37, v12, 16, 1
	v_add3_u32 v37, v12, v37, s54
                                        ; implicit-def: $vgpr12
; %bb.38:                               ;   in Loop: Header=BB339_10 Depth=1
	s_andn2_saveexec_b64 s[18:19], s[10:11]
; %bb.39:                               ;   in Loop: Header=BB339_10 Depth=1
	v_or_b32_e32 v37, 0x10000, v12
	v_cmp_eq_u32_sdwa s[10:11], v12, v14 src0_sel:WORD_0 src1_sel:DWORD
	v_cndmask_b32_e64 v37, v37, v12, s[10:11]
; %bb.40:                               ;   in Loop: Header=BB339_10 Depth=1
	s_or_b64 exec, exec, s[18:19]
	global_load_ubyte v38, v[8:9], off offset:136
	v_mov_b32_e32 v39, 0
	s_waitcnt vmcnt(0)
	v_cmp_ne_u16_e64 s[10:11], 0, v38
	s_and_saveexec_b64 s[18:19], s[10:11]
	s_cbranch_execz .LBB339_46
; %bb.41:                               ;   in Loop: Header=BB339_10 Depth=1
	v_cmp_ne_u16_e64 s[10:11], s51, v38
	v_bfrev_b32_e32 v39, 1
	s_and_saveexec_b64 s[42:43], s[10:11]
	s_cbranch_execz .LBB339_45
; %bb.42:                               ;   in Loop: Header=BB339_10 Depth=1
	v_and_b32_e32 v12, 0xffff, v38
	v_and_b32_e32 v40, 0x7f, v12
	v_cmp_ne_u32_e64 s[10:11], s52, v40
	v_mov_b32_e32 v39, 0x7f800001
	s_and_saveexec_b64 s[44:45], s[10:11]
	s_cbranch_execz .LBB339_44
; %bb.43:                               ;   in Loop: Header=BB339_10 Depth=1
	v_and_b32_e32 v39, 7, v12
	v_ffbh_u32_e32 v42, v39
	v_min_u32_e32 v44, 32, v42
	v_subrev_u32_e32 v42, 28, v44
	v_lshlrev_b64 v[42:43], v42, v[12:13]
	v_lshrrev_b32_e32 v41, 3, v40
	v_sub_u32_e32 v12, 29, v44
	v_and_b32_e32 v42, 7, v42
	v_cmp_gt_u32_e64 s[10:11], 8, v40
	v_cndmask_b32_e64 v12, v41, v12, s[10:11]
	v_cndmask_b32_e64 v39, v39, v42, s[10:11]
	v_lshlrev_b32_e32 v38, 24, v38
	v_lshlrev_b32_e32 v39, 20, v39
	v_and_b32_e32 v38, 0x80000000, v38
	v_lshl_add_u32 v12, v12, 23, v33
	v_or3_b32 v39, v38, v12, v39
.LBB339_44:                             ;   in Loop: Header=BB339_10 Depth=1
	s_or_b64 exec, exec, s[44:45]
.LBB339_45:                             ;   in Loop: Header=BB339_10 Depth=1
	s_or_b64 exec, exec, s[42:43]
.LBB339_46:                             ;   in Loop: Header=BB339_10 Depth=1
	s_or_b64 exec, exec, s[18:19]
	v_mul_f32_e32 v12, s49, v39
	v_and_b32_e32 v38, 0x7f800000, v12
	v_cmp_ne_u32_e64 s[10:11], s53, v38
                                        ; implicit-def: $vgpr38
	s_and_saveexec_b64 s[18:19], s[10:11]
	s_xor_b64 s[10:11], exec, s[18:19]
; %bb.47:                               ;   in Loop: Header=BB339_10 Depth=1
	v_bfe_u32 v38, v12, 16, 1
	v_add3_u32 v38, v12, v38, s54
                                        ; implicit-def: $vgpr12
; %bb.48:                               ;   in Loop: Header=BB339_10 Depth=1
	s_andn2_saveexec_b64 s[18:19], s[10:11]
; %bb.49:                               ;   in Loop: Header=BB339_10 Depth=1
	v_or_b32_e32 v38, 0x10000, v12
	v_cmp_eq_u32_sdwa s[10:11], v12, v14 src0_sel:WORD_0 src1_sel:DWORD
	v_cndmask_b32_e64 v38, v38, v12, s[10:11]
; %bb.50:                               ;   in Loop: Header=BB339_10 Depth=1
	s_or_b64 exec, exec, s[18:19]
	global_load_ubyte v39, v[8:9], off offset:256
	v_mov_b32_e32 v40, 0
	s_waitcnt vmcnt(0)
	v_cmp_ne_u16_e64 s[10:11], 0, v39
	s_and_saveexec_b64 s[18:19], s[10:11]
	s_cbranch_execz .LBB339_56
; %bb.51:                               ;   in Loop: Header=BB339_10 Depth=1
	v_cmp_ne_u16_e64 s[10:11], s51, v39
	v_bfrev_b32_e32 v40, 1
	s_and_saveexec_b64 s[42:43], s[10:11]
	s_cbranch_execz .LBB339_55
; %bb.52:                               ;   in Loop: Header=BB339_10 Depth=1
	v_and_b32_e32 v12, 0xffff, v39
	v_and_b32_e32 v41, 0x7f, v12
	v_cmp_ne_u32_e64 s[10:11], s52, v41
	v_mov_b32_e32 v40, 0x7f800001
	s_and_saveexec_b64 s[44:45], s[10:11]
	s_cbranch_execz .LBB339_54
; %bb.53:                               ;   in Loop: Header=BB339_10 Depth=1
	v_and_b32_e32 v40, 7, v12
	v_ffbh_u32_e32 v42, v40
	v_min_u32_e32 v45, 32, v42
	v_subrev_u32_e32 v42, 28, v45
	v_lshlrev_b64 v[42:43], v42, v[12:13]
	v_lshrrev_b32_e32 v44, 3, v41
	v_sub_u32_e32 v12, 29, v45
	v_and_b32_e32 v42, 7, v42
	v_cmp_gt_u32_e64 s[10:11], 8, v41
	v_cndmask_b32_e64 v12, v44, v12, s[10:11]
	v_cndmask_b32_e64 v40, v40, v42, s[10:11]
	v_lshlrev_b32_e32 v39, 24, v39
	v_lshlrev_b32_e32 v40, 20, v40
	v_and_b32_e32 v39, 0x80000000, v39
	v_lshl_add_u32 v12, v12, 23, v33
	v_or3_b32 v40, v39, v12, v40
.LBB339_54:                             ;   in Loop: Header=BB339_10 Depth=1
	s_or_b64 exec, exec, s[44:45]
.LBB339_55:                             ;   in Loop: Header=BB339_10 Depth=1
	s_or_b64 exec, exec, s[42:43]
.LBB339_56:                             ;   in Loop: Header=BB339_10 Depth=1
	s_or_b64 exec, exec, s[18:19]
	v_mul_f32_e32 v12, s49, v40
	v_and_b32_e32 v39, 0x7f800000, v12
	v_cmp_ne_u32_e64 s[10:11], s53, v39
                                        ; implicit-def: $vgpr39
	s_and_saveexec_b64 s[18:19], s[10:11]
	s_xor_b64 s[10:11], exec, s[18:19]
; %bb.57:                               ;   in Loop: Header=BB339_10 Depth=1
	v_bfe_u32 v39, v12, 16, 1
	v_add3_u32 v39, v12, v39, s54
                                        ; implicit-def: $vgpr12
; %bb.58:                               ;   in Loop: Header=BB339_10 Depth=1
	s_andn2_saveexec_b64 s[18:19], s[10:11]
; %bb.59:                               ;   in Loop: Header=BB339_10 Depth=1
	v_or_b32_e32 v39, 0x10000, v12
	v_cmp_eq_u32_sdwa s[10:11], v12, v14 src0_sel:WORD_0 src1_sel:DWORD
	v_cndmask_b32_e64 v39, v39, v12, s[10:11]
; %bb.60:                               ;   in Loop: Header=BB339_10 Depth=1
	s_or_b64 exec, exec, s[18:19]
	global_load_ubyte v40, v[8:9], off offset:264
	v_mov_b32_e32 v41, 0
	s_waitcnt vmcnt(0)
	v_cmp_ne_u16_e64 s[10:11], 0, v40
	s_and_saveexec_b64 s[18:19], s[10:11]
	s_cbranch_execz .LBB339_66
; %bb.61:                               ;   in Loop: Header=BB339_10 Depth=1
	v_cmp_ne_u16_e64 s[10:11], s51, v40
	v_bfrev_b32_e32 v41, 1
	s_and_saveexec_b64 s[42:43], s[10:11]
	s_cbranch_execz .LBB339_65
; %bb.62:                               ;   in Loop: Header=BB339_10 Depth=1
	v_and_b32_e32 v12, 0xffff, v40
	v_and_b32_e32 v42, 0x7f, v12
	v_cmp_ne_u32_e64 s[10:11], s52, v42
	v_mov_b32_e32 v41, 0x7f800001
	s_and_saveexec_b64 s[44:45], s[10:11]
	s_cbranch_execz .LBB339_64
; %bb.63:                               ;   in Loop: Header=BB339_10 Depth=1
	v_and_b32_e32 v41, 7, v12
	v_ffbh_u32_e32 v44, v41
	v_min_u32_e32 v46, 32, v44
	v_subrev_u32_e32 v44, 28, v46
	v_lshlrev_b64 v[44:45], v44, v[12:13]
	v_lshrrev_b32_e32 v43, 3, v42
	v_sub_u32_e32 v12, 29, v46
	v_and_b32_e32 v44, 7, v44
	v_cmp_gt_u32_e64 s[10:11], 8, v42
	v_cndmask_b32_e64 v12, v43, v12, s[10:11]
	v_cndmask_b32_e64 v41, v41, v44, s[10:11]
	v_lshlrev_b32_e32 v40, 24, v40
	v_lshlrev_b32_e32 v41, 20, v41
	v_and_b32_e32 v40, 0x80000000, v40
	v_lshl_add_u32 v12, v12, 23, v33
	v_or3_b32 v41, v40, v12, v41
.LBB339_64:                             ;   in Loop: Header=BB339_10 Depth=1
	s_or_b64 exec, exec, s[44:45]
.LBB339_65:                             ;   in Loop: Header=BB339_10 Depth=1
	s_or_b64 exec, exec, s[42:43]
.LBB339_66:                             ;   in Loop: Header=BB339_10 Depth=1
	s_or_b64 exec, exec, s[18:19]
	v_mul_f32_e32 v12, s49, v41
	v_and_b32_e32 v40, 0x7f800000, v12
	v_cmp_ne_u32_e64 s[10:11], s53, v40
                                        ; implicit-def: $vgpr40
	s_and_saveexec_b64 s[18:19], s[10:11]
	s_xor_b64 s[10:11], exec, s[18:19]
; %bb.67:                               ;   in Loop: Header=BB339_10 Depth=1
	v_bfe_u32 v40, v12, 16, 1
	v_add3_u32 v40, v12, v40, s54
                                        ; implicit-def: $vgpr12
; %bb.68:                               ;   in Loop: Header=BB339_10 Depth=1
	s_andn2_saveexec_b64 s[18:19], s[10:11]
; %bb.69:                               ;   in Loop: Header=BB339_10 Depth=1
	v_or_b32_e32 v40, 0x10000, v12
	v_cmp_eq_u32_sdwa s[10:11], v12, v14 src0_sel:WORD_0 src1_sel:DWORD
	v_cndmask_b32_e64 v40, v40, v12, s[10:11]
; %bb.70:                               ;   in Loop: Header=BB339_10 Depth=1
	s_or_b64 exec, exec, s[18:19]
	global_load_ubyte v41, v[8:9], off offset:384
	v_mov_b32_e32 v42, 0
	s_waitcnt vmcnt(0)
	v_cmp_ne_u16_e64 s[10:11], 0, v41
	s_and_saveexec_b64 s[18:19], s[10:11]
	s_cbranch_execz .LBB339_76
; %bb.71:                               ;   in Loop: Header=BB339_10 Depth=1
	v_cmp_ne_u16_e64 s[10:11], s51, v41
	v_bfrev_b32_e32 v42, 1
	s_and_saveexec_b64 s[42:43], s[10:11]
	s_cbranch_execz .LBB339_75
; %bb.72:                               ;   in Loop: Header=BB339_10 Depth=1
	v_and_b32_e32 v12, 0xffff, v41
	v_and_b32_e32 v43, 0x7f, v12
	v_cmp_ne_u32_e64 s[10:11], s52, v43
	v_mov_b32_e32 v42, 0x7f800001
	s_and_saveexec_b64 s[44:45], s[10:11]
	s_cbranch_execz .LBB339_74
; %bb.73:                               ;   in Loop: Header=BB339_10 Depth=1
	v_and_b32_e32 v42, 7, v12
	v_ffbh_u32_e32 v44, v42
	v_min_u32_e32 v47, 32, v44
	v_subrev_u32_e32 v44, 28, v47
	v_lshlrev_b64 v[44:45], v44, v[12:13]
	v_lshrrev_b32_e32 v46, 3, v43
	v_sub_u32_e32 v12, 29, v47
	v_and_b32_e32 v44, 7, v44
	v_cmp_gt_u32_e64 s[10:11], 8, v43
	v_cndmask_b32_e64 v12, v46, v12, s[10:11]
	v_cndmask_b32_e64 v42, v42, v44, s[10:11]
	v_lshlrev_b32_e32 v41, 24, v41
	v_lshlrev_b32_e32 v42, 20, v42
	v_and_b32_e32 v41, 0x80000000, v41
	v_lshl_add_u32 v12, v12, 23, v33
	v_or3_b32 v42, v41, v12, v42
.LBB339_74:                             ;   in Loop: Header=BB339_10 Depth=1
	s_or_b64 exec, exec, s[44:45]
.LBB339_75:                             ;   in Loop: Header=BB339_10 Depth=1
	s_or_b64 exec, exec, s[42:43]
.LBB339_76:                             ;   in Loop: Header=BB339_10 Depth=1
	s_or_b64 exec, exec, s[18:19]
	v_mul_f32_e32 v12, s49, v42
	v_and_b32_e32 v41, 0x7f800000, v12
	v_cmp_ne_u32_e64 s[10:11], s53, v41
                                        ; implicit-def: $vgpr41
	s_and_saveexec_b64 s[18:19], s[10:11]
	s_xor_b64 s[10:11], exec, s[18:19]
; %bb.77:                               ;   in Loop: Header=BB339_10 Depth=1
	v_bfe_u32 v41, v12, 16, 1
	v_add3_u32 v41, v12, v41, s54
                                        ; implicit-def: $vgpr12
; %bb.78:                               ;   in Loop: Header=BB339_10 Depth=1
	s_andn2_saveexec_b64 s[18:19], s[10:11]
; %bb.79:                               ;   in Loop: Header=BB339_10 Depth=1
	v_or_b32_e32 v41, 0x10000, v12
	v_cmp_eq_u32_sdwa s[10:11], v12, v14 src0_sel:WORD_0 src1_sel:DWORD
	v_cndmask_b32_e64 v41, v41, v12, s[10:11]
; %bb.80:                               ;   in Loop: Header=BB339_10 Depth=1
	s_or_b64 exec, exec, s[18:19]
	global_load_ubyte v42, v[8:9], off offset:392
	v_mov_b32_e32 v43, 0
	s_waitcnt vmcnt(0)
	v_cmp_ne_u16_e64 s[10:11], 0, v42
	s_and_saveexec_b64 s[18:19], s[10:11]
	s_cbranch_execz .LBB339_86
; %bb.81:                               ;   in Loop: Header=BB339_10 Depth=1
	v_cmp_ne_u16_e64 s[10:11], s51, v42
	v_bfrev_b32_e32 v43, 1
	s_and_saveexec_b64 s[42:43], s[10:11]
	s_cbranch_execz .LBB339_85
; %bb.82:                               ;   in Loop: Header=BB339_10 Depth=1
	v_and_b32_e32 v12, 0xffff, v42
	v_and_b32_e32 v44, 0x7f, v12
	v_cmp_ne_u32_e64 s[10:11], s52, v44
	v_mov_b32_e32 v43, 0x7f800001
	s_and_saveexec_b64 s[44:45], s[10:11]
	s_cbranch_execz .LBB339_84
; %bb.83:                               ;   in Loop: Header=BB339_10 Depth=1
	v_and_b32_e32 v43, 7, v12
	v_ffbh_u32_e32 v46, v43
	v_min_u32_e32 v48, 32, v46
	v_subrev_u32_e32 v46, 28, v48
	v_lshlrev_b64 v[46:47], v46, v[12:13]
	v_lshrrev_b32_e32 v45, 3, v44
	v_sub_u32_e32 v12, 29, v48
	v_and_b32_e32 v46, 7, v46
	v_cmp_gt_u32_e64 s[10:11], 8, v44
	v_cndmask_b32_e64 v12, v45, v12, s[10:11]
	v_cndmask_b32_e64 v43, v43, v46, s[10:11]
	v_lshlrev_b32_e32 v42, 24, v42
	v_lshlrev_b32_e32 v43, 20, v43
	v_and_b32_e32 v42, 0x80000000, v42
	v_lshl_add_u32 v12, v12, 23, v33
	v_or3_b32 v43, v42, v12, v43
.LBB339_84:                             ;   in Loop: Header=BB339_10 Depth=1
	s_or_b64 exec, exec, s[44:45]
.LBB339_85:                             ;   in Loop: Header=BB339_10 Depth=1
	s_or_b64 exec, exec, s[42:43]
.LBB339_86:                             ;   in Loop: Header=BB339_10 Depth=1
	s_or_b64 exec, exec, s[18:19]
	v_mul_f32_e32 v12, s49, v43
	v_and_b32_e32 v42, 0x7f800000, v12
	v_cmp_ne_u32_e64 s[10:11], s53, v42
                                        ; implicit-def: $vgpr42
	s_and_saveexec_b64 s[18:19], s[10:11]
	s_xor_b64 s[10:11], exec, s[18:19]
; %bb.87:                               ;   in Loop: Header=BB339_10 Depth=1
	v_bfe_u32 v42, v12, 16, 1
	v_add3_u32 v42, v12, v42, s54
                                        ; implicit-def: $vgpr12
; %bb.88:                               ;   in Loop: Header=BB339_10 Depth=1
	s_andn2_saveexec_b64 s[18:19], s[10:11]
; %bb.89:                               ;   in Loop: Header=BB339_10 Depth=1
	v_or_b32_e32 v42, 0x10000, v12
	v_cmp_eq_u32_sdwa s[10:11], v12, v14 src0_sel:WORD_0 src1_sel:DWORD
	v_cndmask_b32_e64 v42, v42, v12, s[10:11]
; %bb.90:                               ;   in Loop: Header=BB339_10 Depth=1
	s_or_b64 exec, exec, s[18:19]
	global_load_ubyte v43, v[8:9], off offset:512
	v_mov_b32_e32 v44, 0
	s_waitcnt vmcnt(0)
	v_cmp_ne_u16_e64 s[10:11], 0, v43
	s_and_saveexec_b64 s[18:19], s[10:11]
	s_cbranch_execz .LBB339_96
; %bb.91:                               ;   in Loop: Header=BB339_10 Depth=1
	v_cmp_ne_u16_e64 s[10:11], s51, v43
	v_bfrev_b32_e32 v44, 1
	s_and_saveexec_b64 s[42:43], s[10:11]
	s_cbranch_execz .LBB339_95
; %bb.92:                               ;   in Loop: Header=BB339_10 Depth=1
	v_and_b32_e32 v12, 0xffff, v43
	v_and_b32_e32 v45, 0x7f, v12
	v_cmp_ne_u32_e64 s[10:11], s52, v45
	v_mov_b32_e32 v44, 0x7f800001
	s_and_saveexec_b64 s[44:45], s[10:11]
	s_cbranch_execz .LBB339_94
; %bb.93:                               ;   in Loop: Header=BB339_10 Depth=1
	v_and_b32_e32 v44, 7, v12
	v_ffbh_u32_e32 v46, v44
	v_min_u32_e32 v49, 32, v46
	v_subrev_u32_e32 v46, 28, v49
	v_lshlrev_b64 v[46:47], v46, v[12:13]
	v_lshrrev_b32_e32 v48, 3, v45
	v_sub_u32_e32 v12, 29, v49
	v_and_b32_e32 v46, 7, v46
	v_cmp_gt_u32_e64 s[10:11], 8, v45
	v_cndmask_b32_e64 v12, v48, v12, s[10:11]
	v_cndmask_b32_e64 v44, v44, v46, s[10:11]
	v_lshlrev_b32_e32 v43, 24, v43
	v_lshlrev_b32_e32 v44, 20, v44
	v_and_b32_e32 v43, 0x80000000, v43
	v_lshl_add_u32 v12, v12, 23, v33
	v_or3_b32 v44, v43, v12, v44
.LBB339_94:                             ;   in Loop: Header=BB339_10 Depth=1
	s_or_b64 exec, exec, s[44:45]
.LBB339_95:                             ;   in Loop: Header=BB339_10 Depth=1
	s_or_b64 exec, exec, s[42:43]
.LBB339_96:                             ;   in Loop: Header=BB339_10 Depth=1
	s_or_b64 exec, exec, s[18:19]
	v_mul_f32_e32 v43, s49, v44
	v_and_b32_e32 v12, 0x7f800000, v43
	v_cmp_ne_u32_e64 s[10:11], s53, v12
                                        ; implicit-def: $vgpr12
	s_and_saveexec_b64 s[18:19], s[10:11]
	s_xor_b64 s[10:11], exec, s[18:19]
; %bb.97:                               ;   in Loop: Header=BB339_10 Depth=1
	v_bfe_u32 v12, v43, 16, 1
	v_add3_u32 v12, v43, v12, s54
                                        ; implicit-def: $vgpr43
; %bb.98:                               ;   in Loop: Header=BB339_10 Depth=1
	s_andn2_saveexec_b64 s[18:19], s[10:11]
; %bb.99:                               ;   in Loop: Header=BB339_10 Depth=1
	v_or_b32_e32 v12, 0x10000, v43
	v_cmp_eq_u32_sdwa s[10:11], v43, v14 src0_sel:WORD_0 src1_sel:DWORD
	v_cndmask_b32_e64 v12, v12, v43, s[10:11]
; %bb.100:                              ;   in Loop: Header=BB339_10 Depth=1
	s_or_b64 exec, exec, s[18:19]
	global_load_ubyte v9, v[8:9], off offset:520
	v_mov_b32_e32 v43, 0
	s_waitcnt vmcnt(0)
	v_cmp_ne_u16_e64 s[10:11], 0, v9
	s_and_saveexec_b64 s[18:19], s[10:11]
	s_cbranch_execz .LBB339_106
; %bb.101:                              ;   in Loop: Header=BB339_10 Depth=1
	v_cmp_ne_u16_e64 s[10:11], s51, v9
	v_bfrev_b32_e32 v43, 1
	s_and_saveexec_b64 s[42:43], s[10:11]
	s_cbranch_execz .LBB339_105
; %bb.102:                              ;   in Loop: Header=BB339_10 Depth=1
	v_and_b32_e32 v8, 0xffff, v9
	v_and_b32_e32 v44, 0x7f, v8
	v_cmp_ne_u32_e64 s[10:11], s52, v44
	v_mov_b32_e32 v43, 0x7f800001
	s_and_saveexec_b64 s[44:45], s[10:11]
	s_cbranch_execz .LBB339_104
; %bb.103:                              ;   in Loop: Header=BB339_10 Depth=1
	v_and_b32_e32 v43, 7, v8
	v_ffbh_u32_e32 v46, v43
	v_min_u32_e32 v48, 32, v46
	v_subrev_u32_e32 v46, 28, v48
	v_lshlrev_b64 v[46:47], v46, v[8:9]
	v_lshrrev_b32_e32 v45, 3, v44
	v_sub_u32_e32 v8, 29, v48
	v_and_b32_e32 v46, 7, v46
	v_cmp_gt_u32_e64 s[10:11], 8, v44
	v_cndmask_b32_e64 v8, v45, v8, s[10:11]
	v_cndmask_b32_e64 v43, v43, v46, s[10:11]
	v_lshlrev_b32_e32 v9, 24, v9
	v_lshlrev_b32_e32 v43, 20, v43
	v_and_b32_e32 v9, 0x80000000, v9
	v_lshl_add_u32 v8, v8, 23, v33
	v_or3_b32 v43, v9, v8, v43
.LBB339_104:                            ;   in Loop: Header=BB339_10 Depth=1
	s_or_b64 exec, exec, s[44:45]
.LBB339_105:                            ;   in Loop: Header=BB339_10 Depth=1
	s_or_b64 exec, exec, s[42:43]
.LBB339_106:                            ;   in Loop: Header=BB339_10 Depth=1
	s_or_b64 exec, exec, s[18:19]
	v_mul_f32_e32 v9, s49, v43
	v_and_b32_e32 v8, 0x7f800000, v9
	v_cmp_ne_u32_e64 s[10:11], s53, v8
                                        ; implicit-def: $vgpr8
	s_and_saveexec_b64 s[18:19], s[10:11]
	s_xor_b64 s[10:11], exec, s[18:19]
; %bb.107:                              ;   in Loop: Header=BB339_10 Depth=1
	v_bfe_u32 v8, v9, 16, 1
	v_add3_u32 v8, v9, v8, s54
                                        ; implicit-def: $vgpr9
; %bb.108:                              ;   in Loop: Header=BB339_10 Depth=1
	s_andn2_saveexec_b64 s[18:19], s[10:11]
; %bb.109:                              ;   in Loop: Header=BB339_10 Depth=1
	v_or_b32_e32 v8, 0x10000, v9
	v_cmp_eq_u32_sdwa s[10:11], v9, v14 src0_sel:WORD_0 src1_sel:DWORD
	v_cndmask_b32_e64 v8, v8, v9, s[10:11]
; %bb.110:                              ;   in Loop: Header=BB339_10 Depth=1
	s_or_b64 exec, exec, s[18:19]
	v_and_b32_e32 v36, 0xffff0000, v36
	v_and_b32_e32 v35, 0xffff0000, v35
	v_mul_f32_e32 v36, v17, v36
	v_and_b32_e32 v37, 0xffff0000, v37
	v_fmac_f32_e32 v36, v15, v35
	v_and_b32_e32 v38, 0xffff0000, v38
	v_fmac_f32_e32 v36, v18, v37
	;; [unrolled: 2-line block ×5, first 2 shown]
	v_and_b32_e32 v9, 0xffff0000, v12
	v_and_b32_e32 v12, 0xffff0000, v42
	v_fmac_f32_e32 v36, v23, v41
	v_fmac_f32_e32 v36, v24, v12
	v_and_b32_e32 v8, 0xffff0000, v8
	v_fmac_f32_e32 v36, v25, v9
	v_fmac_f32_e32 v36, v26, v8
	ds_bpermute_b32 v8, v28, v36
	s_waitcnt lgkmcnt(0)
	v_add_f32_e32 v8, v36, v8
	ds_bpermute_b32 v9, v29, v8
	s_waitcnt lgkmcnt(0)
	v_add_f32_e32 v8, v8, v9
	ds_bpermute_b32 v9, v30, v8
	s_and_saveexec_b64 s[18:19], vcc
	s_cbranch_execz .LBB339_9
; %bb.111:                              ;   in Loop: Header=BB339_10 Depth=1
	v_add_u32_e32 v12, s50, v31
	v_cvt_f32_i32_e32 v12, v12
	s_waitcnt lgkmcnt(0)
	v_add_f32_e32 v8, v8, v9
	v_cmp_gt_i32_e64 s[10:11], s33, v31
	v_max_f32_e32 v9, v27, v27
	v_mul_f32_e32 v12, s38, v12
	v_cndmask_b32_e64 v12, 0, v12, s[4:5]
	v_fmac_f32_e32 v12, s39, v8
	v_cndmask_b32_e64 v8, 0, v12, s[10:11]
	ds_write_b32 v32, v8
	v_max_f32_e32 v8, v9, v12
	v_cndmask_b32_e64 v27, v27, v8, s[10:11]
	s_branch .LBB339_9
.LBB339_112:
	s_or_b64 exec, exec, s[12:13]
.LBB339_113:
	s_or_b64 exec, exec, s[40:41]
	v_xor_b32_e32 v2, 32, v3
	v_cmp_lt_i32_e32 vcc, v2, v13
	v_cndmask_b32_e32 v2, v3, v2, vcc
	v_lshlrev_b32_e32 v5, 2, v2
	ds_bpermute_b32 v2, v5, v27
	v_xor_b32_e32 v6, 16, v3
	v_max_f32_e32 v4, v27, v27
	v_cmp_lt_i32_e32 vcc, v6, v13
	v_and_b32_e32 v15, 63, v0
	s_waitcnt lgkmcnt(0)
	v_max_f32_e32 v2, v2, v2
	v_max_f32_e32 v2, v4, v2
	v_cndmask_b32_e32 v4, v3, v6, vcc
	v_lshlrev_b32_e32 v7, 2, v4
	ds_bpermute_b32 v4, v7, v2
	v_xor_b32_e32 v6, 8, v3
	v_cmp_lt_i32_e32 vcc, v6, v13
	s_waitcnt lgkmcnt(0)
	v_max_f32_e32 v4, v4, v4
	v_max_f32_e32 v4, v2, v4
	v_cndmask_b32_e32 v2, v3, v6, vcc
	v_lshlrev_b32_e32 v8, 2, v2
	ds_bpermute_b32 v6, v8, v4
	v_cmp_eq_u32_e32 vcc, 0, v15
	v_lshlrev_b32_e32 v2, 2, v16
	s_and_saveexec_b64 s[4:5], vcc
	s_cbranch_execz .LBB339_115
; %bb.114:
	s_waitcnt lgkmcnt(0)
	v_max_f32_e32 v6, v6, v6
	v_max_f32_e32 v4, v4, v4
	;; [unrolled: 1-line block ×3, first 2 shown]
	ds_write_b32 v2, v4 offset:160
.LBB339_115:
	s_or_b64 exec, exec, s[4:5]
	v_cmp_gt_u32_e64 s[4:5], 2, v15
	v_mov_b32_e32 v4, 0xff7fffff
	s_waitcnt lgkmcnt(0)
	v_lshlrev_b32_e32 v6, 2, v15
	s_barrier
	s_and_saveexec_b64 s[10:11], s[4:5]
	s_cbranch_execz .LBB339_117
; %bb.116:
	ds_read_b32 v4, v6 offset:160
.LBB339_117:
	s_or_b64 exec, exec, s[10:11]
	v_xor_b32_e32 v9, 1, v3
	v_cmp_lt_i32_e64 s[10:11], v9, v13
	v_cndmask_b32_e64 v9, v3, v9, s[10:11]
	v_lshlrev_b32_e32 v9, 2, v9
	s_waitcnt lgkmcnt(0)
	ds_bpermute_b32 v12, v9, v4
	v_max_f32_e32 v4, v4, v4
	s_sub_i32 s7, s46, s7
	s_lshl_b32 s7, s7, 3
	s_add_i32 s7, s7, s29
	s_waitcnt lgkmcnt(0)
	v_max_f32_e32 v12, v12, v12
	v_max_f32_e32 v4, v4, v12
	v_lshlrev_b32_e32 v12, 2, v3
	v_and_b32_e32 v12, 0xffffff00, v12
	ds_bpermute_b32 v4, v12, v4
	s_min_i32 s40, s7, s33
	s_sub_i32 s7, s40, s29
	v_cmp_gt_i32_e64 s[10:11], s7, v0
	v_mov_b32_e32 v14, 0
	s_and_saveexec_b64 s[18:19], s[10:11]
	s_cbranch_execz .LBB339_121
; %bb.118:
	v_mov_b32_e32 v14, 0xb0
	v_lshl_add_u32 v17, v0, 2, v14
	s_mov_b64 s[38:39], 0
	v_mov_b32_e32 v14, 0
	v_mov_b32_e32 v18, v0
.LBB339_119:                            ; =>This Inner Loop Header: Depth=1
	ds_read_b32 v20, v17
	v_add_u32_e32 v18, 0x80, v18
	v_cmp_le_i32_e64 s[12:13], s7, v18
	s_or_b64 s[38:39], s[12:13], s[38:39]
	s_waitcnt lgkmcnt(0)
	v_sub_f32_e32 v20, v20, v4
	v_mul_f32_e32 v20, 0x3fb8aa3b, v20
	v_exp_f32_e32 v20, v20
	ds_write_b32 v17, v20
	v_add_f32_e32 v14, v14, v20
	v_add_u32_e32 v17, 0x200, v17
	s_andn2_b64 exec, exec, s[38:39]
	s_cbranch_execnz .LBB339_119
; %bb.120:
	s_or_b64 exec, exec, s[38:39]
.LBB339_121:
	s_or_b64 exec, exec, s[18:19]
	ds_bpermute_b32 v5, v5, v14
	s_waitcnt lgkmcnt(0)
	v_add_f32_e32 v5, v14, v5
	ds_bpermute_b32 v7, v7, v5
	s_waitcnt lgkmcnt(0)
	v_add_f32_e32 v5, v5, v7
	ds_bpermute_b32 v7, v8, v5
	v_xor_b32_e32 v8, 4, v3
	v_cmp_lt_i32_e64 s[12:13], v8, v13
	v_cndmask_b32_e64 v8, v3, v8, s[12:13]
	v_lshlrev_b32_e32 v8, 2, v8
	s_waitcnt lgkmcnt(0)
	v_add_f32_e32 v5, v5, v7
	ds_bpermute_b32 v7, v8, v5
	v_xor_b32_e32 v8, 2, v3
	v_cmp_lt_i32_e64 s[12:13], v8, v13
	v_cndmask_b32_e64 v3, v3, v8, s[12:13]
	v_lshlrev_b32_e32 v3, 2, v3
	s_waitcnt lgkmcnt(0)
	v_add_f32_e32 v5, v5, v7
	ds_bpermute_b32 v3, v3, v5
	s_waitcnt lgkmcnt(0)
	v_add_f32_e32 v3, v5, v3
	ds_bpermute_b32 v5, v9, v3
	s_waitcnt lgkmcnt(0)
	v_add_f32_e32 v3, v3, v5
	s_and_saveexec_b64 s[12:13], vcc
	s_cbranch_execz .LBB339_123
; %bb.122:
	ds_write_b32 v2, v3 offset:168
.LBB339_123:
	s_or_b64 exec, exec, s[12:13]
	s_waitcnt lgkmcnt(0)
	s_barrier
	s_and_saveexec_b64 s[12:13], s[4:5]
	s_cbranch_execz .LBB339_125
; %bb.124:
	ds_read_b32 v3, v6 offset:168
.LBB339_125:
	s_or_b64 exec, exec, s[12:13]
	s_waitcnt lgkmcnt(0)
	ds_bpermute_b32 v2, v9, v3
	s_waitcnt lgkmcnt(0)
	v_add_f32_e32 v2, v3, v2
	ds_bpermute_b32 v5, v12, v2
	s_and_saveexec_b64 s[4:5], s[10:11]
	s_cbranch_execz .LBB339_138
; %bb.126:
	s_waitcnt lgkmcnt(0)
	v_add_f32_e32 v2, 0x358637bd, v5
	v_div_scale_f32 v3, s[10:11], v2, v2, 1.0
	v_rcp_f32_e32 v6, v3
	v_div_scale_f32 v7, vcc, 1.0, v2, 1.0
	s_movk_i32 s10, 0x7f
	v_fma_f32 v8, -v3, v6, 1.0
	v_fmac_f32_e32 v6, v8, v6
	v_mul_f32_e32 v8, v7, v6
	v_fma_f32 v9, -v3, v8, v7
	v_fmac_f32_e32 v8, v9, v6
	v_fma_f32 v3, -v3, v8, v7
	v_div_fmas_f32 v3, v3, v6, v8
	v_div_fixup_f32 v2, v3, v2, 1.0
	v_xad_u32 v3, v0, -1, s40
	v_subrev_u32_e32 v6, s29, v3
	v_cmp_lt_u32_e32 vcc, s10, v6
	s_mov_b64 s[12:13], -1
	v_mov_b32_e32 v3, v0
	s_and_saveexec_b64 s[10:11], vcc
	s_cbranch_execz .LBB339_135
; %bb.127:
	v_lshrrev_b32_e32 v6, 7, v6
	v_add_u32_e32 v8, -1, v6
	v_lshrrev_b32_e32 v7, 1, v8
	v_mov_b32_e32 v3, v2
	v_add_u32_e32 v7, 1, v7
	v_cmp_lt_u32_e32 vcc, 13, v8
	v_mov_b32_e32 v12, 0
	s_and_saveexec_b64 s[12:13], vcc
	s_cbranch_execz .LBB339_131
; %bb.128:
	v_mov_b32_e32 v9, 0xb0
	v_and_b32_e32 v8, -8, v7
	v_lshl_add_u32 v9, v0, 2, v9
	s_mov_b32 s38, 0
	s_mov_b64 s[18:19], 0
.LBB339_129:                            ; =>This Inner Loop Header: Depth=1
	ds_read2st64_b32 v[12:13], v9 offset1:2
	ds_read2st64_b32 v[20:21], v9 offset0:4 offset1:6
	ds_read2st64_b32 v[22:23], v9 offset0:8 offset1:10
	;; [unrolled: 1-line block ×3, first 2 shown]
	v_add_u32_e32 v8, -8, v8
	s_waitcnt lgkmcnt(3)
	v_pk_mul_f32 v[12:13], v[2:3], v[12:13]
	s_waitcnt lgkmcnt(2)
	v_pk_mul_f32 v[20:21], v[2:3], v[20:21]
	ds_write2st64_b32 v9, v12, v13 offset1:2
	ds_write2st64_b32 v9, v20, v21 offset0:4 offset1:6
	ds_read2st64_b32 v[20:21], v9 offset0:16 offset1:18
	s_waitcnt lgkmcnt(4)
	v_pk_mul_f32 v[12:13], v[2:3], v[22:23]
	ds_write2st64_b32 v9, v12, v13 offset0:8 offset1:10
	s_waitcnt lgkmcnt(4)
	v_pk_mul_f32 v[12:13], v[2:3], v[24:25]
	ds_write2st64_b32 v9, v12, v13 offset0:12 offset1:14
	ds_read2st64_b32 v[12:13], v9 offset0:20 offset1:22
	s_waitcnt lgkmcnt(3)
	v_pk_mul_f32 v[20:21], v[2:3], v[20:21]
	ds_read2st64_b32 v[22:23], v9 offset0:24 offset1:26
	ds_write2st64_b32 v9, v20, v21 offset0:16 offset1:18
	ds_read2st64_b32 v[20:21], v9 offset0:28 offset1:30
	s_waitcnt lgkmcnt(3)
	v_pk_mul_f32 v[12:13], v[2:3], v[12:13]
	ds_write2st64_b32 v9, v12, v13 offset0:20 offset1:22
	s_waitcnt lgkmcnt(3)
	v_pk_mul_f32 v[12:13], v[2:3], v[22:23]
	ds_write2st64_b32 v9, v12, v13 offset0:24 offset1:26
	s_waitcnt lgkmcnt(2)
	v_pk_mul_f32 v[12:13], v[2:3], v[20:21]
	s_add_i32 s38, s38, 16
	v_cmp_eq_u32_e32 vcc, 0, v8
	ds_write2st64_b32 v9, v12, v13 offset0:28 offset1:30
	v_add_u32_e32 v9, 0x2000, v9
	s_or_b64 s[18:19], vcc, s[18:19]
	v_mov_b32_e32 v12, s38
	s_andn2_b64 exec, exec, s[18:19]
	s_cbranch_execnz .LBB339_129
; %bb.130:
	s_or_b64 exec, exec, s[18:19]
.LBB339_131:
	s_or_b64 exec, exec, s[12:13]
	v_and_b32_e32 v7, 7, v7
	v_cmp_ne_u32_e32 vcc, 0, v7
	s_and_saveexec_b64 s[12:13], vcc
	s_cbranch_execz .LBB339_134
; %bb.132:
	v_lshlrev_b32_e32 v8, 9, v12
	v_lshlrev_b32_e32 v9, 2, v0
	s_movk_i32 s18, 0xb0
	v_add3_u32 v8, v8, v9, s18
	s_mov_b64 s[18:19], 0
.LBB339_133:                            ; =>This Inner Loop Header: Depth=1
	ds_read2st64_b32 v[12:13], v8 offset1:2
	v_add_u32_e32 v7, -1, v7
	v_cmp_eq_u32_e32 vcc, 0, v7
	s_or_b64 s[18:19], vcc, s[18:19]
	s_waitcnt lgkmcnt(0)
	v_pk_mul_f32 v[12:13], v[2:3], v[12:13]
	ds_write2st64_b32 v8, v12, v13 offset1:2
	v_add_u32_e32 v8, 0x400, v8
	s_andn2_b64 exec, exec, s[18:19]
	s_cbranch_execnz .LBB339_133
.LBB339_134:
	s_or_b64 exec, exec, s[12:13]
	v_add_u32_e32 v6, 1, v6
	v_and_b32_e32 v7, 0x3fffffe, v6
	v_cmp_ne_u32_e32 vcc, v6, v7
	v_lshl_add_u32 v3, v7, 7, v0
	s_orn2_b64 s[12:13], vcc, exec
.LBB339_135:
	s_or_b64 exec, exec, s[10:11]
	s_and_b64 exec, exec, s[12:13]
	s_cbranch_execz .LBB339_138
; %bb.136:
	v_mov_b32_e32 v6, 0xb0
	v_lshl_add_u32 v6, v3, 2, v6
	s_mov_b64 s[10:11], 0
.LBB339_137:                            ; =>This Inner Loop Header: Depth=1
	ds_read_b32 v7, v6
	v_add_u32_e32 v3, 0x80, v3
	v_cmp_le_i32_e32 vcc, s7, v3
	s_or_b64 s[10:11], vcc, s[10:11]
	s_waitcnt lgkmcnt(0)
	v_mul_f32_e32 v7, v2, v7
	ds_write_b32 v6, v7
	v_add_u32_e32 v6, 0x200, v6
	s_andn2_b64 exec, exec, s[10:11]
	s_cbranch_execnz .LBB339_137
.LBB339_138:
	s_or_b64 exec, exec, s[4:5]
	s_mul_i32 s4, s25, s28
	v_cmp_eq_u32_e32 vcc, 0, v0
	s_mul_i32 s10, s4, s9
	s_waitcnt lgkmcnt(0)
	s_barrier
	s_and_saveexec_b64 s[4:5], vcc
	s_cbranch_execz .LBB339_140
; %bb.139:
	s_ashr_i32 s11, s10, 31
	s_lshl_b64 s[12:13], s[10:11], 2
	s_add_u32 s9, s22, s12
	s_mul_i32 s6, s25, s6
	s_addc_u32 s11, s23, s13
	s_ashr_i32 s7, s6, 31
	s_lshl_b64 s[6:7], s[6:7], 2
	s_add_u32 s22, s9, s6
	s_addc_u32 s11, s11, s7
	s_ashr_i32 s9, s8, 31
	s_lshl_b64 s[18:19], s[8:9], 2
	s_add_u32 s22, s22, s18
	s_addc_u32 s23, s11, s19
	s_add_u32 s9, s20, s12
	s_addc_u32 s11, s21, s13
	;; [unrolled: 2-line block ×3, first 2 shown]
	s_add_u32 s6, s6, s18
	v_mov_b32_e32 v2, 0
	s_addc_u32 s7, s7, s19
	global_store_dword v2, v4, s[22:23]
	global_store_dword v2, v5, s[6:7]
.LBB339_140:
	s_or_b64 exec, exec, s[4:5]
	v_mov_b32_e32 v13, 0
	v_mov_b32_e32 v2, v13
	s_and_saveexec_b64 s[6:7], s[2:3]
	s_cbranch_execz .LBB339_406
; %bb.141:
	s_ashr_i32 s2, s16, 31
	s_add_u32 s12, s36, s16
	s_addc_u32 s13, s37, s2
	v_or_b32_e32 v2, 64, v15
	s_movk_i32 s2, 0x50
	s_add_i32 s11, s47, -1
	s_load_dword s36, s[14:15], 0x0
	v_cmp_gt_u32_e32 vcc, s2, v2
	s_lshl_b64 s[2:3], s[34:35], 2
	v_lshlrev_b32_e32 v18, 3, v2
	v_mov_b32_e32 v2, 0xb0
	s_add_u32 s2, s30, s2
	v_lshl_add_u32 v22, v16, 5, v2
	v_lshlrev_b64 v[2:3], 2, v[10:11]
	s_addc_u32 s3, s31, s3
	s_mov_b32 s9, s17
	s_mov_b32 s16, -1
	v_mov_b32_e32 v17, 0
	v_mov_b32_e32 v4, s3
	v_add_co_u32_e64 v20, s[2:3], s2, v2
	s_mov_b32 s17, 0xffffff
	v_lshlrev_b32_e32 v14, 3, v15
	v_add3_u32 v19, s29, v19, 7
	v_addc_co_u32_e64 v21, s[2:3], v4, v3, s[2:3]
	s_mov_b64 s[14:15], 0
	s_mov_b32 s30, 0x7f800000
	s_movk_i32 s31, 0x7fff
	s_movk_i32 s34, 0x80
	;; [unrolled: 1-line block ×3, first 2 shown]
	v_bfrev_b32_e32 v11, 60
	v_mov_b32_e32 v12, v17
	v_mov_b32_e32 v13, v17
	s_branch .LBB339_144
.LBB339_142:                            ;   in Loop: Header=BB339_144 Depth=1
	s_or_b64 exec, exec, s[4:5]
	v_and_b32_e32 v27, 0xffff0000, v5
	v_and_b32_e32 v26, 0xffff0000, v9
	;; [unrolled: 1-line block ×6, first 2 shown]
	v_pk_add_f32 v[4:5], v[4:5], v[8:9]
	v_and_b32_e32 v25, 0xffff0000, v23
	v_and_b32_e32 v24, 0xffff0000, v16
	v_mov_b32_e32 v6, v5
	v_pk_add_f32 v[4:5], v[4:5], v[6:7]
	v_pk_add_f32 v[6:7], v[26:27], v[24:25]
	;; [unrolled: 1-line block ×3, first 2 shown]
	v_mov_b32_e32 v6, v7
	v_pk_add_f32 v[4:5], v[4:5], v[6:7]
	v_mov_b32_e32 v3, v4
	v_pk_add_f32 v[12:13], v[12:13], v[2:3]
.LBB339_143:                            ;   in Loop: Header=BB339_144 Depth=1
	s_or_b64 exec, exec, s[18:19]
	v_add_co_u32_e64 v20, s[2:3], 8, v20
	v_add_u32_e32 v10, 2, v10
	v_addc_co_u32_e64 v21, s[2:3], 0, v21, s[2:3]
	v_cmp_le_i32_e64 s[2:3], s46, v10
	v_add_u32_e32 v19, 16, v19
	v_add_u32_e32 v22, 64, v22
	s_or_b64 s[14:15], s[2:3], s[14:15]
	v_mov_b32_e32 v12, v2
	s_andn2_b64 exec, exec, s[14:15]
	s_cbranch_execz .LBB339_405
.LBB339_144:                            ; =>This Inner Loop Header: Depth=1
	global_load_dword v16, v[20:21], off
	ds_read2_b64 v[6:9], v22 offset1:1
	ds_read2_b64 v[2:5], v22 offset0:2 offset1:3
                                        ; implicit-def: $vgpr30
	s_waitcnt lgkmcnt(0)
	v_and_b32_e32 v23, 0x7f800000, v6
	v_cmp_ne_u32_e64 s[2:3], s30, v23
	s_and_saveexec_b64 s[4:5], s[2:3]
	s_xor_b64 s[2:3], exec, s[4:5]
; %bb.145:                              ;   in Loop: Header=BB339_144 Depth=1
	v_bfe_u32 v23, v6, 16, 1
	v_add3_u32 v30, v6, v23, s31
; %bb.146:                              ;   in Loop: Header=BB339_144 Depth=1
	s_andn2_saveexec_b64 s[4:5], s[2:3]
; %bb.147:                              ;   in Loop: Header=BB339_144 Depth=1
	v_or_b32_e32 v23, 0x10000, v6
	v_cmp_eq_u32_sdwa s[2:3], v6, v17 src0_sel:WORD_0 src1_sel:DWORD
	v_cndmask_b32_e64 v30, v23, v6, s[2:3]
; %bb.148:                              ;   in Loop: Header=BB339_144 Depth=1
	s_or_b64 exec, exec, s[4:5]
	v_and_b32_e32 v6, 0x7f800000, v7
	v_cmp_ne_u32_e64 s[2:3], s30, v6
                                        ; implicit-def: $vgpr29
	s_and_saveexec_b64 s[4:5], s[2:3]
	s_xor_b64 s[2:3], exec, s[4:5]
; %bb.149:                              ;   in Loop: Header=BB339_144 Depth=1
	v_bfe_u32 v6, v7, 16, 1
	v_add3_u32 v29, v7, v6, s31
; %bb.150:                              ;   in Loop: Header=BB339_144 Depth=1
	s_andn2_saveexec_b64 s[4:5], s[2:3]
; %bb.151:                              ;   in Loop: Header=BB339_144 Depth=1
	v_or_b32_e32 v6, 0x10000, v7
	v_cmp_eq_u32_sdwa s[2:3], v7, v17 src0_sel:WORD_0 src1_sel:DWORD
	v_cndmask_b32_e64 v29, v6, v7, s[2:3]
; %bb.152:                              ;   in Loop: Header=BB339_144 Depth=1
	s_or_b64 exec, exec, s[4:5]
	v_and_b32_e32 v6, 0x7f800000, v8
	v_cmp_ne_u32_e64 s[2:3], s30, v6
                                        ; implicit-def: $vgpr23
	s_and_saveexec_b64 s[4:5], s[2:3]
	s_xor_b64 s[2:3], exec, s[4:5]
; %bb.153:                              ;   in Loop: Header=BB339_144 Depth=1
	v_bfe_u32 v6, v8, 16, 1
	v_add3_u32 v23, v8, v6, s31
; %bb.154:                              ;   in Loop: Header=BB339_144 Depth=1
	s_andn2_saveexec_b64 s[4:5], s[2:3]
; %bb.155:                              ;   in Loop: Header=BB339_144 Depth=1
	v_or_b32_e32 v6, 0x10000, v8
	v_cmp_eq_u32_sdwa s[2:3], v8, v17 src0_sel:WORD_0 src1_sel:DWORD
	v_cndmask_b32_e64 v23, v6, v8, s[2:3]
; %bb.156:                              ;   in Loop: Header=BB339_144 Depth=1
	s_or_b64 exec, exec, s[4:5]
	v_and_b32_e32 v6, 0x7f800000, v9
	v_cmp_ne_u32_e64 s[2:3], s30, v6
                                        ; implicit-def: $vgpr24
	s_and_saveexec_b64 s[4:5], s[2:3]
	s_xor_b64 s[2:3], exec, s[4:5]
; %bb.157:                              ;   in Loop: Header=BB339_144 Depth=1
	v_bfe_u32 v6, v9, 16, 1
	v_add3_u32 v24, v9, v6, s31
                                        ; implicit-def: $vgpr6_vgpr7_vgpr8_vgpr9
; %bb.158:                              ;   in Loop: Header=BB339_144 Depth=1
	s_andn2_saveexec_b64 s[4:5], s[2:3]
; %bb.159:                              ;   in Loop: Header=BB339_144 Depth=1
	v_or_b32_e32 v6, 0x10000, v9
	v_cmp_eq_u32_sdwa s[2:3], v9, v17 src0_sel:WORD_0 src1_sel:DWORD
	v_cndmask_b32_e64 v24, v6, v9, s[2:3]
; %bb.160:                              ;   in Loop: Header=BB339_144 Depth=1
	s_or_b64 exec, exec, s[4:5]
	v_and_b32_e32 v6, 0x7f800000, v2
	v_cmp_ne_u32_e64 s[2:3], s30, v6
                                        ; implicit-def: $vgpr25
	s_and_saveexec_b64 s[4:5], s[2:3]
	s_xor_b64 s[2:3], exec, s[4:5]
; %bb.161:                              ;   in Loop: Header=BB339_144 Depth=1
	v_bfe_u32 v6, v2, 16, 1
	v_add3_u32 v25, v2, v6, s31
; %bb.162:                              ;   in Loop: Header=BB339_144 Depth=1
	s_andn2_saveexec_b64 s[4:5], s[2:3]
; %bb.163:                              ;   in Loop: Header=BB339_144 Depth=1
	v_or_b32_e32 v6, 0x10000, v2
	v_cmp_eq_u32_sdwa s[2:3], v2, v17 src0_sel:WORD_0 src1_sel:DWORD
	v_cndmask_b32_e64 v25, v6, v2, s[2:3]
; %bb.164:                              ;   in Loop: Header=BB339_144 Depth=1
	s_or_b64 exec, exec, s[4:5]
	v_and_b32_e32 v2, 0x7f800000, v3
	v_cmp_ne_u32_e64 s[2:3], s30, v2
                                        ; implicit-def: $vgpr26
	s_and_saveexec_b64 s[4:5], s[2:3]
	s_xor_b64 s[2:3], exec, s[4:5]
; %bb.165:                              ;   in Loop: Header=BB339_144 Depth=1
	v_bfe_u32 v2, v3, 16, 1
	v_add3_u32 v26, v3, v2, s31
; %bb.166:                              ;   in Loop: Header=BB339_144 Depth=1
	s_andn2_saveexec_b64 s[4:5], s[2:3]
; %bb.167:                              ;   in Loop: Header=BB339_144 Depth=1
	v_or_b32_e32 v2, 0x10000, v3
	v_cmp_eq_u32_sdwa s[2:3], v3, v17 src0_sel:WORD_0 src1_sel:DWORD
	v_cndmask_b32_e64 v26, v2, v3, s[2:3]
; %bb.168:                              ;   in Loop: Header=BB339_144 Depth=1
	s_or_b64 exec, exec, s[4:5]
	v_and_b32_e32 v2, 0x7f800000, v4
	v_cmp_ne_u32_e64 s[2:3], s30, v2
                                        ; implicit-def: $vgpr27
	s_and_saveexec_b64 s[4:5], s[2:3]
	s_xor_b64 s[2:3], exec, s[4:5]
; %bb.169:                              ;   in Loop: Header=BB339_144 Depth=1
	v_bfe_u32 v2, v4, 16, 1
	v_add3_u32 v27, v4, v2, s31
; %bb.170:                              ;   in Loop: Header=BB339_144 Depth=1
	s_andn2_saveexec_b64 s[4:5], s[2:3]
; %bb.171:                              ;   in Loop: Header=BB339_144 Depth=1
	v_or_b32_e32 v2, 0x10000, v4
	v_cmp_eq_u32_sdwa s[2:3], v4, v17 src0_sel:WORD_0 src1_sel:DWORD
	v_cndmask_b32_e64 v27, v2, v4, s[2:3]
; %bb.172:                              ;   in Loop: Header=BB339_144 Depth=1
	s_or_b64 exec, exec, s[4:5]
	v_and_b32_e32 v2, 0x7f800000, v5
	v_cmp_ne_u32_e64 s[2:3], s30, v2
                                        ; implicit-def: $vgpr28
	s_and_saveexec_b64 s[4:5], s[2:3]
	s_xor_b64 s[2:3], exec, s[4:5]
; %bb.173:                              ;   in Loop: Header=BB339_144 Depth=1
	v_bfe_u32 v2, v5, 16, 1
	v_add3_u32 v28, v5, v2, s31
                                        ; implicit-def: $vgpr2_vgpr3_vgpr4_vgpr5
; %bb.174:                              ;   in Loop: Header=BB339_144 Depth=1
	s_andn2_saveexec_b64 s[4:5], s[2:3]
; %bb.175:                              ;   in Loop: Header=BB339_144 Depth=1
	v_or_b32_e32 v2, 0x10000, v5
	v_cmp_eq_u32_sdwa s[2:3], v5, v17 src0_sel:WORD_0 src1_sel:DWORD
	v_cndmask_b32_e64 v28, v2, v5, s[2:3]
; %bb.176:                              ;   in Loop: Header=BB339_144 Depth=1
	s_or_b64 exec, exec, s[4:5]
	v_pk_mov_b32 v[2:3], s[12:13], s[12:13] op_sel:[0,1]
	s_waitcnt vmcnt(0)
	v_mad_i64_i32 v[4:5], s[2:3], v16, s9, v[2:3]
	v_add_co_u32_e64 v2, s[2:3], v4, v14
	v_addc_co_u32_e64 v3, s[2:3], 0, v5, s[2:3]
	global_load_dwordx2 v[2:3], v[2:3], off
	v_mov_b32_e32 v6, 0
	s_waitcnt vmcnt(0)
	v_cmp_ne_u16_sdwa s[2:3], v2, v17 src0_sel:BYTE_0 src1_sel:DWORD
	s_and_saveexec_b64 s[4:5], s[2:3]
	s_cbranch_execz .LBB339_182
; %bb.177:                              ;   in Loop: Header=BB339_144 Depth=1
	v_cmp_ne_u16_sdwa s[2:3], v2, s34 src0_sel:BYTE_0 src1_sel:DWORD
	v_bfrev_b32_e32 v6, 1
	s_and_saveexec_b64 s[18:19], s[2:3]
	s_cbranch_execz .LBB339_181
; %bb.178:                              ;   in Loop: Header=BB339_144 Depth=1
	v_and_b32_e32 v7, 0x7f, v2
	v_cmp_ne_u32_e64 s[2:3], s35, v7
	v_mov_b32_e32 v6, 0x7f800001
	s_and_saveexec_b64 s[20:21], s[2:3]
	s_cbranch_execz .LBB339_180
; %bb.179:                              ;   in Loop: Header=BB339_144 Depth=1
	v_and_b32_e32 v6, 7, v2
	v_ffbh_u32_e32 v6, v6
	v_min_u32_e32 v6, 32, v6
	v_lshrrev_b32_e32 v8, 3, v7
	v_subrev_u32_e32 v9, 28, v6
	v_sub_u32_e32 v6, 29, v6
	v_cmp_gt_u32_e64 s[2:3], 8, v7
	v_cndmask_b32_e64 v8, v8, v6, s[2:3]
	v_cndmask_b32_e64 v6, 0, v9, s[2:3]
	v_lshlrev_b64 v[6:7], v6, v[2:3]
	v_lshlrev_b32_e32 v6, 20, v6
	v_lshlrev_b32_e32 v7, 24, v2
	v_and_b32_e32 v6, 0x700000, v6
	v_and_b32_e32 v7, 0x80000000, v7
	v_lshl_add_u32 v8, v8, 23, v11
	v_or3_b32 v6, v7, v8, v6
.LBB339_180:                            ;   in Loop: Header=BB339_144 Depth=1
	s_or_b64 exec, exec, s[20:21]
.LBB339_181:                            ;   in Loop: Header=BB339_144 Depth=1
	s_or_b64 exec, exec, s[18:19]
.LBB339_182:                            ;   in Loop: Header=BB339_144 Depth=1
	s_or_b64 exec, exec, s[4:5]
	v_mul_f32_e32 v6, s36, v6
	v_and_b32_e32 v7, 0x7f800000, v6
	v_cmp_ne_u32_e64 s[2:3], s30, v7
                                        ; implicit-def: $vgpr8
	s_and_saveexec_b64 s[4:5], s[2:3]
	s_xor_b64 s[2:3], exec, s[4:5]
; %bb.183:                              ;   in Loop: Header=BB339_144 Depth=1
	v_bfe_u32 v7, v6, 16, 1
	v_add3_u32 v8, v6, v7, s31
                                        ; implicit-def: $vgpr6
; %bb.184:                              ;   in Loop: Header=BB339_144 Depth=1
	s_andn2_saveexec_b64 s[4:5], s[2:3]
; %bb.185:                              ;   in Loop: Header=BB339_144 Depth=1
	v_or_b32_e32 v7, 0x10000, v6
	v_cmp_eq_u32_sdwa s[2:3], v6, v17 src0_sel:WORD_0 src1_sel:DWORD
	v_cndmask_b32_e64 v8, v7, v6, s[2:3]
; %bb.186:                              ;   in Loop: Header=BB339_144 Depth=1
	s_or_b64 exec, exec, s[4:5]
	v_lshrrev_b16_e32 v6, 8, v2
	v_cmp_ne_u16_e64 s[2:3], 0, v6
	v_mov_b32_e32 v7, 0
	s_and_saveexec_b64 s[4:5], s[2:3]
	s_cbranch_execz .LBB339_192
; %bb.187:                              ;   in Loop: Header=BB339_144 Depth=1
	v_cmp_ne_u16_e64 s[2:3], s34, v6
	v_bfrev_b32_e32 v7, 1
	s_and_saveexec_b64 s[18:19], s[2:3]
	s_cbranch_execz .LBB339_191
; %bb.188:                              ;   in Loop: Header=BB339_144 Depth=1
	v_and_b32_e32 v9, 0x7f, v6
	v_cmp_ne_u32_e64 s[2:3], s35, v9
	v_mov_b32_e32 v7, 0x7f800001
	s_and_saveexec_b64 s[20:21], s[2:3]
	s_cbranch_execz .LBB339_190
; %bb.189:                              ;   in Loop: Header=BB339_144 Depth=1
	v_and_b32_e32 v16, 7, v6
	v_ffbh_u32_e32 v7, v16
	v_min_u32_e32 v32, 32, v7
	v_subrev_u32_e32 v7, 28, v32
	v_lshlrev_b64 v[6:7], v7, v[6:7]
	v_lshrrev_b32_e32 v31, 3, v9
	v_sub_u32_e32 v7, 29, v32
	v_and_b32_e32 v6, 7, v6
	v_cmp_gt_u32_e64 s[2:3], 8, v9
	v_cndmask_b32_e64 v7, v31, v7, s[2:3]
	v_cndmask_b32_e64 v6, v16, v6, s[2:3]
	v_lshlrev_b32_e32 v9, 16, v2
	v_lshlrev_b32_e32 v6, 20, v6
	v_and_b32_e32 v9, 0x80000000, v9
	v_lshl_add_u32 v7, v7, 23, v11
	v_or3_b32 v7, v9, v7, v6
.LBB339_190:                            ;   in Loop: Header=BB339_144 Depth=1
	s_or_b64 exec, exec, s[20:21]
.LBB339_191:                            ;   in Loop: Header=BB339_144 Depth=1
	s_or_b64 exec, exec, s[18:19]
.LBB339_192:                            ;   in Loop: Header=BB339_144 Depth=1
	s_or_b64 exec, exec, s[4:5]
	v_mul_f32_e32 v6, s36, v7
	v_and_b32_e32 v7, 0x7f800000, v6
	v_cmp_ne_u32_e64 s[2:3], s30, v7
                                        ; implicit-def: $vgpr9
	s_and_saveexec_b64 s[4:5], s[2:3]
	s_xor_b64 s[2:3], exec, s[4:5]
; %bb.193:                              ;   in Loop: Header=BB339_144 Depth=1
	v_bfe_u32 v7, v6, 16, 1
	v_add3_u32 v9, v6, v7, s31
                                        ; implicit-def: $vgpr6
; %bb.194:                              ;   in Loop: Header=BB339_144 Depth=1
	s_andn2_saveexec_b64 s[4:5], s[2:3]
; %bb.195:                              ;   in Loop: Header=BB339_144 Depth=1
	v_or_b32_e32 v7, 0x10000, v6
	v_cmp_eq_u32_sdwa s[2:3], v6, v17 src0_sel:WORD_0 src1_sel:DWORD
	v_cndmask_b32_e64 v9, v7, v6, s[2:3]
; %bb.196:                              ;   in Loop: Header=BB339_144 Depth=1
	s_or_b64 exec, exec, s[4:5]
	v_lshrrev_b32_e32 v6, 16, v2
	v_cmp_ne_u16_sdwa s[2:3], v6, v17 src0_sel:BYTE_0 src1_sel:DWORD
	v_mov_b32_e32 v7, 0
	s_and_saveexec_b64 s[4:5], s[2:3]
	s_cbranch_execz .LBB339_202
; %bb.197:                              ;   in Loop: Header=BB339_144 Depth=1
	v_cmp_ne_u16_sdwa s[2:3], v6, s34 src0_sel:BYTE_0 src1_sel:DWORD
	v_bfrev_b32_e32 v7, 1
	s_and_saveexec_b64 s[18:19], s[2:3]
	s_cbranch_execz .LBB339_201
; %bb.198:                              ;   in Loop: Header=BB339_144 Depth=1
	v_bfe_u32 v16, v2, 16, 7
	v_cmp_ne_u32_e64 s[2:3], s35, v16
	v_mov_b32_e32 v7, 0x7f800001
	s_and_saveexec_b64 s[20:21], s[2:3]
	s_cbranch_execz .LBB339_200
; %bb.199:                              ;   in Loop: Header=BB339_144 Depth=1
	v_and_b32_e32 v7, 7, v6
	v_ffbh_u32_e32 v32, v7
	v_min_u32_e32 v34, 32, v32
	v_subrev_u32_e32 v32, 28, v34
	v_lshlrev_b64 v[32:33], v32, v[6:7]
	v_lshrrev_b32_e32 v31, 3, v16
	v_sub_u32_e32 v33, 29, v34
	v_and_b32_e32 v32, 7, v32
	v_cmp_gt_u32_e64 s[2:3], 8, v16
	v_cndmask_b32_e64 v16, v31, v33, s[2:3]
	v_cndmask_b32_e64 v7, v7, v32, s[2:3]
	v_lshlrev_b32_e32 v6, 24, v6
	v_lshlrev_b32_e32 v7, 20, v7
	v_and_b32_e32 v6, 0x80000000, v6
	v_lshl_add_u32 v16, v16, 23, v11
	v_or3_b32 v7, v6, v16, v7
.LBB339_200:                            ;   in Loop: Header=BB339_144 Depth=1
	s_or_b64 exec, exec, s[20:21]
.LBB339_201:                            ;   in Loop: Header=BB339_144 Depth=1
	s_or_b64 exec, exec, s[18:19]
.LBB339_202:                            ;   in Loop: Header=BB339_144 Depth=1
	s_or_b64 exec, exec, s[4:5]
	v_mul_f32_e32 v6, s36, v7
	v_and_b32_e32 v7, 0x7f800000, v6
	v_cmp_ne_u32_e64 s[2:3], s30, v7
                                        ; implicit-def: $vgpr31
	s_and_saveexec_b64 s[4:5], s[2:3]
	s_xor_b64 s[2:3], exec, s[4:5]
; %bb.203:                              ;   in Loop: Header=BB339_144 Depth=1
	v_bfe_u32 v7, v6, 16, 1
	v_add3_u32 v31, v6, v7, s31
                                        ; implicit-def: $vgpr6
; %bb.204:                              ;   in Loop: Header=BB339_144 Depth=1
	s_andn2_saveexec_b64 s[4:5], s[2:3]
; %bb.205:                              ;   in Loop: Header=BB339_144 Depth=1
	v_or_b32_e32 v7, 0x10000, v6
	v_cmp_eq_u32_sdwa s[2:3], v6, v17 src0_sel:WORD_0 src1_sel:DWORD
	v_cndmask_b32_e64 v31, v7, v6, s[2:3]
; %bb.206:                              ;   in Loop: Header=BB339_144 Depth=1
	s_or_b64 exec, exec, s[4:5]
	v_cmp_lt_u32_e64 s[2:3], s17, v2
	v_mov_b32_e32 v7, 0
	s_and_saveexec_b64 s[4:5], s[2:3]
	s_cbranch_execz .LBB339_212
; %bb.207:                              ;   in Loop: Header=BB339_144 Depth=1
	v_lshrrev_b32_e32 v6, 24, v2
	v_cmp_ne_u32_e64 s[2:3], s34, v6
	v_bfrev_b32_e32 v7, 1
	s_and_saveexec_b64 s[18:19], s[2:3]
	s_cbranch_execz .LBB339_211
; %bb.208:                              ;   in Loop: Header=BB339_144 Depth=1
	v_bfe_u32 v16, v2, 24, 7
	v_cmp_ne_u32_e64 s[2:3], s35, v16
	v_mov_b32_e32 v7, 0x7f800001
	s_and_saveexec_b64 s[20:21], s[2:3]
	s_cbranch_execz .LBB339_210
; %bb.209:                              ;   in Loop: Header=BB339_144 Depth=1
	v_and_b32_e32 v7, 7, v6
	v_ffbh_u32_e32 v32, v7
	v_min_u32_e32 v35, 32, v32
	v_subrev_u32_e32 v32, 28, v35
	v_lshlrev_b64 v[32:33], v32, v[6:7]
	v_lshrrev_b32_e32 v34, 3, v16
	v_sub_u32_e32 v33, 29, v35
	v_and_b32_e32 v32, 7, v32
	v_cmp_gt_u32_e64 s[2:3], 8, v16
	v_cndmask_b32_e64 v16, v34, v33, s[2:3]
	v_cndmask_b32_e64 v7, v7, v32, s[2:3]
	v_lshlrev_b32_e32 v6, 24, v6
	v_lshlrev_b32_e32 v7, 20, v7
	v_and_b32_e32 v6, 0x80000000, v6
	v_lshl_add_u32 v16, v16, 23, v11
	v_or3_b32 v7, v6, v16, v7
.LBB339_210:                            ;   in Loop: Header=BB339_144 Depth=1
	s_or_b64 exec, exec, s[20:21]
.LBB339_211:                            ;   in Loop: Header=BB339_144 Depth=1
	s_or_b64 exec, exec, s[18:19]
.LBB339_212:                            ;   in Loop: Header=BB339_144 Depth=1
	s_or_b64 exec, exec, s[4:5]
	v_mul_f32_e32 v6, s36, v7
	v_and_b32_e32 v7, 0x7f800000, v6
	v_cmp_ne_u32_e64 s[2:3], s30, v7
                                        ; implicit-def: $vgpr32
	s_and_saveexec_b64 s[4:5], s[2:3]
	s_xor_b64 s[2:3], exec, s[4:5]
; %bb.213:                              ;   in Loop: Header=BB339_144 Depth=1
	v_bfe_u32 v7, v6, 16, 1
	v_add3_u32 v32, v6, v7, s31
                                        ; implicit-def: $vgpr6
; %bb.214:                              ;   in Loop: Header=BB339_144 Depth=1
	s_andn2_saveexec_b64 s[4:5], s[2:3]
; %bb.215:                              ;   in Loop: Header=BB339_144 Depth=1
	v_or_b32_e32 v7, 0x10000, v6
	v_cmp_eq_u32_sdwa s[2:3], v6, v17 src0_sel:WORD_0 src1_sel:DWORD
	v_cndmask_b32_e64 v32, v7, v6, s[2:3]
; %bb.216:                              ;   in Loop: Header=BB339_144 Depth=1
	s_or_b64 exec, exec, s[4:5]
	v_mov_b32_e32 v16, v3
	v_cmp_ne_u16_sdwa s[2:3], v3, v17 src0_sel:BYTE_0 src1_sel:DWORD
	v_mov_b32_e32 v6, 0
	s_and_saveexec_b64 s[4:5], s[2:3]
	s_cbranch_execz .LBB339_222
; %bb.217:                              ;   in Loop: Header=BB339_144 Depth=1
	v_cmp_ne_u16_sdwa s[2:3], v3, s34 src0_sel:BYTE_0 src1_sel:DWORD
	v_bfrev_b32_e32 v6, 1
	s_and_saveexec_b64 s[18:19], s[2:3]
	s_cbranch_execz .LBB339_221
; %bb.218:                              ;   in Loop: Header=BB339_144 Depth=1
	v_and_b32_e32 v7, 0x7f, v3
	v_cmp_ne_u32_e64 s[2:3], s35, v7
	v_mov_b32_e32 v6, 0x7f800001
	s_and_saveexec_b64 s[20:21], s[2:3]
	s_cbranch_execz .LBB339_220
; %bb.219:                              ;   in Loop: Header=BB339_144 Depth=1
	v_and_b32_e32 v6, 7, v3
	v_ffbh_u32_e32 v6, v6
	v_min_u32_e32 v6, 32, v6
	v_lshrrev_b32_e32 v33, 3, v7
	v_subrev_u32_e32 v34, 28, v6
	v_sub_u32_e32 v6, 29, v6
	v_cmp_gt_u32_e64 s[2:3], 8, v7
	v_cndmask_b32_e64 v33, v33, v6, s[2:3]
	v_cndmask_b32_e64 v6, 0, v34, s[2:3]
	v_lshlrev_b64 v[6:7], v6, v[16:17]
	v_lshlrev_b32_e32 v6, 20, v6
	v_lshlrev_b32_e32 v7, 24, v16
	v_and_b32_e32 v6, 0x700000, v6
	v_and_b32_e32 v7, 0x80000000, v7
	v_lshl_add_u32 v33, v33, 23, v11
	v_or3_b32 v6, v7, v33, v6
.LBB339_220:                            ;   in Loop: Header=BB339_144 Depth=1
	s_or_b64 exec, exec, s[20:21]
.LBB339_221:                            ;   in Loop: Header=BB339_144 Depth=1
	s_or_b64 exec, exec, s[18:19]
.LBB339_222:                            ;   in Loop: Header=BB339_144 Depth=1
	s_or_b64 exec, exec, s[4:5]
	v_mul_f32_e32 v6, s36, v6
	v_and_b32_e32 v7, 0x7f800000, v6
	v_cmp_ne_u32_e64 s[2:3], s30, v7
                                        ; implicit-def: $vgpr33
	s_and_saveexec_b64 s[4:5], s[2:3]
	s_xor_b64 s[2:3], exec, s[4:5]
; %bb.223:                              ;   in Loop: Header=BB339_144 Depth=1
	v_bfe_u32 v7, v6, 16, 1
	v_add3_u32 v33, v6, v7, s31
                                        ; implicit-def: $vgpr6
; %bb.224:                              ;   in Loop: Header=BB339_144 Depth=1
	s_andn2_saveexec_b64 s[4:5], s[2:3]
; %bb.225:                              ;   in Loop: Header=BB339_144 Depth=1
	v_or_b32_e32 v7, 0x10000, v6
	v_cmp_eq_u32_sdwa s[2:3], v6, v17 src0_sel:WORD_0 src1_sel:DWORD
	v_cndmask_b32_e64 v33, v7, v6, s[2:3]
; %bb.226:                              ;   in Loop: Header=BB339_144 Depth=1
	s_or_b64 exec, exec, s[4:5]
	v_lshrrev_b16_e32 v6, 8, v16
	v_cmp_ne_u16_e64 s[2:3], 0, v6
	v_mov_b32_e32 v7, 0
	s_and_saveexec_b64 s[4:5], s[2:3]
	s_cbranch_execz .LBB339_232
; %bb.227:                              ;   in Loop: Header=BB339_144 Depth=1
	v_cmp_ne_u16_e64 s[2:3], s34, v6
	v_bfrev_b32_e32 v7, 1
	s_and_saveexec_b64 s[18:19], s[2:3]
	s_cbranch_execz .LBB339_231
; %bb.228:                              ;   in Loop: Header=BB339_144 Depth=1
	v_and_b32_e32 v34, 0x7f, v6
	v_cmp_ne_u32_e64 s[2:3], s35, v34
	v_mov_b32_e32 v7, 0x7f800001
	s_and_saveexec_b64 s[20:21], s[2:3]
	s_cbranch_execz .LBB339_230
; %bb.229:                              ;   in Loop: Header=BB339_144 Depth=1
	v_and_b32_e32 v35, 7, v6
	v_ffbh_u32_e32 v7, v35
	v_min_u32_e32 v37, 32, v7
	v_subrev_u32_e32 v7, 28, v37
	v_lshlrev_b64 v[6:7], v7, v[6:7]
	v_lshrrev_b32_e32 v36, 3, v34
	v_sub_u32_e32 v7, 29, v37
	v_and_b32_e32 v6, 7, v6
	v_cmp_gt_u32_e64 s[2:3], 8, v34
	v_cndmask_b32_e64 v7, v36, v7, s[2:3]
	v_cndmask_b32_e64 v6, v35, v6, s[2:3]
	v_lshlrev_b32_e32 v16, 16, v16
	v_lshlrev_b32_e32 v6, 20, v6
	v_and_b32_e32 v16, 0x80000000, v16
	v_lshl_add_u32 v7, v7, 23, v11
	v_or3_b32 v7, v16, v7, v6
.LBB339_230:                            ;   in Loop: Header=BB339_144 Depth=1
	s_or_b64 exec, exec, s[20:21]
.LBB339_231:                            ;   in Loop: Header=BB339_144 Depth=1
	s_or_b64 exec, exec, s[18:19]
.LBB339_232:                            ;   in Loop: Header=BB339_144 Depth=1
	s_or_b64 exec, exec, s[4:5]
	v_mul_f32_e32 v6, s36, v7
	v_and_b32_e32 v7, 0x7f800000, v6
	v_cmp_ne_u32_e64 s[2:3], s30, v7
                                        ; implicit-def: $vgpr16
	s_and_saveexec_b64 s[4:5], s[2:3]
	s_xor_b64 s[2:3], exec, s[4:5]
; %bb.233:                              ;   in Loop: Header=BB339_144 Depth=1
	v_bfe_u32 v7, v6, 16, 1
	v_add3_u32 v16, v6, v7, s31
                                        ; implicit-def: $vgpr6
; %bb.234:                              ;   in Loop: Header=BB339_144 Depth=1
	s_andn2_saveexec_b64 s[4:5], s[2:3]
; %bb.235:                              ;   in Loop: Header=BB339_144 Depth=1
	v_or_b32_e32 v7, 0x10000, v6
	v_cmp_eq_u32_sdwa s[2:3], v6, v17 src0_sel:WORD_0 src1_sel:DWORD
	v_cndmask_b32_e64 v16, v7, v6, s[2:3]
; %bb.236:                              ;   in Loop: Header=BB339_144 Depth=1
	s_or_b64 exec, exec, s[4:5]
	v_lshrrev_b32_e32 v6, 16, v3
	v_cmp_ne_u16_sdwa s[2:3], v6, v17 src0_sel:BYTE_0 src1_sel:DWORD
	v_mov_b32_e32 v7, 0
	s_and_saveexec_b64 s[4:5], s[2:3]
	s_cbranch_execz .LBB339_242
; %bb.237:                              ;   in Loop: Header=BB339_144 Depth=1
	v_cmp_ne_u16_sdwa s[2:3], v6, s34 src0_sel:BYTE_0 src1_sel:DWORD
	v_bfrev_b32_e32 v7, 1
	s_and_saveexec_b64 s[18:19], s[2:3]
	s_cbranch_execz .LBB339_241
; %bb.238:                              ;   in Loop: Header=BB339_144 Depth=1
	v_bfe_u32 v34, v3, 16, 7
	v_cmp_ne_u32_e64 s[2:3], s35, v34
	v_mov_b32_e32 v7, 0x7f800001
	s_and_saveexec_b64 s[20:21], s[2:3]
	s_cbranch_execz .LBB339_240
; %bb.239:                              ;   in Loop: Header=BB339_144 Depth=1
	v_and_b32_e32 v7, 7, v6
	v_ffbh_u32_e32 v36, v7
	v_min_u32_e32 v38, 32, v36
	v_subrev_u32_e32 v36, 28, v38
	v_lshlrev_b64 v[36:37], v36, v[6:7]
	v_lshrrev_b32_e32 v35, 3, v34
	v_sub_u32_e32 v37, 29, v38
	v_and_b32_e32 v36, 7, v36
	v_cmp_gt_u32_e64 s[2:3], 8, v34
	v_cndmask_b32_e64 v34, v35, v37, s[2:3]
	v_cndmask_b32_e64 v7, v7, v36, s[2:3]
	v_lshlrev_b32_e32 v6, 24, v6
	v_lshlrev_b32_e32 v7, 20, v7
	v_and_b32_e32 v6, 0x80000000, v6
	v_lshl_add_u32 v34, v34, 23, v11
	v_or3_b32 v7, v6, v34, v7
.LBB339_240:                            ;   in Loop: Header=BB339_144 Depth=1
	s_or_b64 exec, exec, s[20:21]
.LBB339_241:                            ;   in Loop: Header=BB339_144 Depth=1
	s_or_b64 exec, exec, s[18:19]
.LBB339_242:                            ;   in Loop: Header=BB339_144 Depth=1
	s_or_b64 exec, exec, s[4:5]
	v_mul_f32_e32 v7, s36, v7
	v_and_b32_e32 v6, 0x7f800000, v7
	v_cmp_ne_u32_e64 s[2:3], s30, v6
                                        ; implicit-def: $vgpr6
	s_and_saveexec_b64 s[4:5], s[2:3]
	s_xor_b64 s[2:3], exec, s[4:5]
; %bb.243:                              ;   in Loop: Header=BB339_144 Depth=1
	v_bfe_u32 v6, v7, 16, 1
	v_add3_u32 v6, v7, v6, s31
                                        ; implicit-def: $vgpr7
; %bb.244:                              ;   in Loop: Header=BB339_144 Depth=1
	s_andn2_saveexec_b64 s[4:5], s[2:3]
; %bb.245:                              ;   in Loop: Header=BB339_144 Depth=1
	v_or_b32_e32 v6, 0x10000, v7
	v_cmp_eq_u32_sdwa s[2:3], v7, v17 src0_sel:WORD_0 src1_sel:DWORD
	v_cndmask_b32_e64 v6, v6, v7, s[2:3]
; %bb.246:                              ;   in Loop: Header=BB339_144 Depth=1
	s_or_b64 exec, exec, s[4:5]
	v_cmp_lt_u64_e64 s[2:3], s[16:17], v[2:3]
	v_mov_b32_e32 v7, 0
	s_and_saveexec_b64 s[4:5], s[2:3]
	s_cbranch_execz .LBB339_252
; %bb.247:                              ;   in Loop: Header=BB339_144 Depth=1
	v_lshrrev_b32_e32 v2, 24, v3
	v_cmp_ne_u32_e64 s[2:3], s34, v2
	v_bfrev_b32_e32 v7, 1
	s_and_saveexec_b64 s[18:19], s[2:3]
	s_cbranch_execz .LBB339_251
; %bb.248:                              ;   in Loop: Header=BB339_144 Depth=1
	v_bfe_u32 v3, v3, 24, 7
	v_cmp_ne_u32_e64 s[2:3], s35, v3
	v_mov_b32_e32 v7, 0x7f800001
	s_and_saveexec_b64 s[20:21], s[2:3]
	s_cbranch_execz .LBB339_250
; %bb.249:                              ;   in Loop: Header=BB339_144 Depth=1
	v_and_b32_e32 v7, 7, v2
	v_ffbh_u32_e32 v34, v7
	v_min_u32_e32 v37, 32, v34
	v_subrev_u32_e32 v34, 28, v37
	v_lshlrev_b64 v[34:35], v34, v[2:3]
	v_lshrrev_b32_e32 v36, 3, v3
	v_sub_u32_e32 v35, 29, v37
	v_and_b32_e32 v34, 7, v34
	v_cmp_gt_u32_e64 s[2:3], 8, v3
	v_cndmask_b32_e64 v3, v36, v35, s[2:3]
	v_cndmask_b32_e64 v7, v7, v34, s[2:3]
	v_lshlrev_b32_e32 v2, 24, v2
	v_lshlrev_b32_e32 v7, 20, v7
	v_and_b32_e32 v2, 0x80000000, v2
	v_lshl_add_u32 v3, v3, 23, v11
	v_or3_b32 v7, v2, v3, v7
.LBB339_250:                            ;   in Loop: Header=BB339_144 Depth=1
	s_or_b64 exec, exec, s[20:21]
.LBB339_251:                            ;   in Loop: Header=BB339_144 Depth=1
	s_or_b64 exec, exec, s[18:19]
.LBB339_252:                            ;   in Loop: Header=BB339_144 Depth=1
	s_or_b64 exec, exec, s[4:5]
	v_mul_f32_e32 v3, s36, v7
	v_and_b32_e32 v2, 0x7f800000, v3
	v_cmp_ne_u32_e64 s[2:3], s30, v2
                                        ; implicit-def: $vgpr2
	s_and_saveexec_b64 s[4:5], s[2:3]
	s_xor_b64 s[2:3], exec, s[4:5]
; %bb.253:                              ;   in Loop: Header=BB339_144 Depth=1
	v_bfe_u32 v2, v3, 16, 1
	v_add3_u32 v2, v3, v2, s31
                                        ; implicit-def: $vgpr3
; %bb.254:                              ;   in Loop: Header=BB339_144 Depth=1
	s_andn2_saveexec_b64 s[4:5], s[2:3]
; %bb.255:                              ;   in Loop: Header=BB339_144 Depth=1
	v_or_b32_e32 v2, 0x10000, v3
	v_cmp_eq_u32_sdwa s[2:3], v3, v17 src0_sel:WORD_0 src1_sel:DWORD
	v_cndmask_b32_e64 v2, v2, v3, s[2:3]
; %bb.256:                              ;   in Loop: Header=BB339_144 Depth=1
	s_or_b64 exec, exec, s[4:5]
	v_cmp_eq_u32_e64 s[2:3], s11, v10
	v_add_u32_e32 v7, -7, v19
	v_lshrrev_b32_e32 v34, 16, v16
	v_lshrrev_b32_e32 v33, 16, v33
	;; [unrolled: 1-line block ×8, first 2 shown]
	s_and_saveexec_b64 s[18:19], s[2:3]
	s_cbranch_execz .LBB339_258
; %bb.257:                              ;   in Loop: Header=BB339_144 Depth=1
	v_cmp_gt_i32_e64 s[4:5], s33, v7
	v_add_u32_e32 v8, -6, v19
	v_cndmask_b32_e64 v3, 0, v3, s[4:5]
	v_cmp_gt_i32_e64 s[4:5], s33, v8
	v_add_u32_e32 v8, -5, v19
	v_cndmask_b32_e64 v16, 0, v16, s[4:5]
	;; [unrolled: 3-line block ×6, first 2 shown]
	v_cmp_gt_i32_e64 s[4:5], s33, v8
	v_cndmask_b32_e64 v6, 0, v6, s[4:5]
	v_cmp_gt_i32_e64 s[4:5], s33, v19
	v_cndmask_b32_e64 v2, 0, v2, s[4:5]
.LBB339_258:                            ;   in Loop: Header=BB339_144 Depth=1
	s_or_b64 exec, exec, s[18:19]
	v_and_b32_e32 v8, 0xffff0000, v30
	v_lshlrev_b32_e32 v3, 16, v3
	v_mul_f32_e32 v9, v8, v3
	v_and_b32_e32 v3, 0x7f800000, v9
	v_cmp_ne_u32_e64 s[4:5], s30, v3
                                        ; implicit-def: $vgpr3
	s_and_saveexec_b64 s[18:19], s[4:5]
	s_xor_b64 s[4:5], exec, s[18:19]
; %bb.259:                              ;   in Loop: Header=BB339_144 Depth=1
	v_bfe_u32 v3, v9, 16, 1
	v_add3_u32 v3, v9, v3, s31
                                        ; implicit-def: $vgpr9
; %bb.260:                              ;   in Loop: Header=BB339_144 Depth=1
	s_andn2_saveexec_b64 s[18:19], s[4:5]
; %bb.261:                              ;   in Loop: Header=BB339_144 Depth=1
	v_or_b32_e32 v3, 0x10000, v9
	v_cmp_eq_u32_sdwa s[4:5], v9, v17 src0_sel:WORD_0 src1_sel:DWORD
	v_cndmask_b32_e64 v3, v3, v9, s[4:5]
; %bb.262:                              ;   in Loop: Header=BB339_144 Depth=1
	s_or_b64 exec, exec, s[18:19]
	v_and_b32_e32 v9, 0xffff0000, v29
	v_lshlrev_b32_e32 v16, 16, v16
	v_mul_f32_e32 v29, v9, v16
	v_and_b32_e32 v16, 0x7f800000, v29
	v_cmp_ne_u32_e64 s[4:5], s30, v16
                                        ; implicit-def: $vgpr16
	s_and_saveexec_b64 s[18:19], s[4:5]
	s_xor_b64 s[4:5], exec, s[18:19]
; %bb.263:                              ;   in Loop: Header=BB339_144 Depth=1
	v_bfe_u32 v16, v29, 16, 1
	v_add3_u32 v16, v29, v16, s31
                                        ; implicit-def: $vgpr29
; %bb.264:                              ;   in Loop: Header=BB339_144 Depth=1
	s_andn2_saveexec_b64 s[18:19], s[4:5]
; %bb.265:                              ;   in Loop: Header=BB339_144 Depth=1
	v_or_b32_e32 v16, 0x10000, v29
	v_cmp_eq_u32_sdwa s[4:5], v29, v17 src0_sel:WORD_0 src1_sel:DWORD
	v_cndmask_b32_e64 v16, v16, v29, s[4:5]
; %bb.266:                              ;   in Loop: Header=BB339_144 Depth=1
	s_or_b64 exec, exec, s[18:19]
	v_and_b32_e32 v23, 0xffff0000, v23
	v_lshlrev_b32_e32 v29, 16, v31
	v_mul_f32_e32 v30, v23, v29
	v_and_b32_e32 v29, 0x7f800000, v30
	v_cmp_ne_u32_e64 s[4:5], s30, v29
                                        ; implicit-def: $vgpr29
	s_and_saveexec_b64 s[18:19], s[4:5]
	s_xor_b64 s[4:5], exec, s[18:19]
; %bb.267:                              ;   in Loop: Header=BB339_144 Depth=1
	v_bfe_u32 v29, v30, 16, 1
	v_add3_u32 v29, v30, v29, s31
                                        ; implicit-def: $vgpr30
; %bb.268:                              ;   in Loop: Header=BB339_144 Depth=1
	s_andn2_saveexec_b64 s[18:19], s[4:5]
; %bb.269:                              ;   in Loop: Header=BB339_144 Depth=1
	v_or_b32_e32 v29, 0x10000, v30
	v_cmp_eq_u32_sdwa s[4:5], v30, v17 src0_sel:WORD_0 src1_sel:DWORD
	v_cndmask_b32_e64 v29, v29, v30, s[4:5]
; %bb.270:                              ;   in Loop: Header=BB339_144 Depth=1
	s_or_b64 exec, exec, s[18:19]
	v_and_b32_e32 v24, 0xffff0000, v24
	v_lshlrev_b32_e32 v30, 16, v32
	v_mul_f32_e32 v31, v24, v30
	v_and_b32_e32 v30, 0x7f800000, v31
	v_cmp_ne_u32_e64 s[4:5], s30, v30
                                        ; implicit-def: $vgpr30
	s_and_saveexec_b64 s[18:19], s[4:5]
	s_xor_b64 s[4:5], exec, s[18:19]
; %bb.271:                              ;   in Loop: Header=BB339_144 Depth=1
	v_bfe_u32 v30, v31, 16, 1
	v_add3_u32 v30, v31, v30, s31
                                        ; implicit-def: $vgpr31
; %bb.272:                              ;   in Loop: Header=BB339_144 Depth=1
	s_andn2_saveexec_b64 s[18:19], s[4:5]
; %bb.273:                              ;   in Loop: Header=BB339_144 Depth=1
	v_or_b32_e32 v30, 0x10000, v31
	v_cmp_eq_u32_sdwa s[4:5], v31, v17 src0_sel:WORD_0 src1_sel:DWORD
	v_cndmask_b32_e64 v30, v30, v31, s[4:5]
; %bb.274:                              ;   in Loop: Header=BB339_144 Depth=1
	s_or_b64 exec, exec, s[18:19]
	v_and_b32_e32 v25, 0xffff0000, v25
	v_lshlrev_b32_e32 v31, 16, v33
	v_mul_f32_e32 v32, v25, v31
	v_and_b32_e32 v31, 0x7f800000, v32
	v_cmp_ne_u32_e64 s[4:5], s30, v31
                                        ; implicit-def: $vgpr31
	s_and_saveexec_b64 s[18:19], s[4:5]
	s_xor_b64 s[4:5], exec, s[18:19]
; %bb.275:                              ;   in Loop: Header=BB339_144 Depth=1
	v_bfe_u32 v31, v32, 16, 1
	v_add3_u32 v31, v32, v31, s31
                                        ; implicit-def: $vgpr32
; %bb.276:                              ;   in Loop: Header=BB339_144 Depth=1
	s_andn2_saveexec_b64 s[18:19], s[4:5]
; %bb.277:                              ;   in Loop: Header=BB339_144 Depth=1
	v_or_b32_e32 v31, 0x10000, v32
	v_cmp_eq_u32_sdwa s[4:5], v32, v17 src0_sel:WORD_0 src1_sel:DWORD
	v_cndmask_b32_e64 v31, v31, v32, s[4:5]
; %bb.278:                              ;   in Loop: Header=BB339_144 Depth=1
	s_or_b64 exec, exec, s[18:19]
	v_and_b32_e32 v26, 0xffff0000, v26
	v_lshlrev_b32_e32 v32, 16, v34
	v_mul_f32_e32 v33, v26, v32
	v_and_b32_e32 v32, 0x7f800000, v33
	v_cmp_ne_u32_e64 s[4:5], s30, v32
                                        ; implicit-def: $vgpr32
	s_and_saveexec_b64 s[18:19], s[4:5]
	s_xor_b64 s[4:5], exec, s[18:19]
; %bb.279:                              ;   in Loop: Header=BB339_144 Depth=1
	v_bfe_u32 v32, v33, 16, 1
	v_add3_u32 v32, v33, v32, s31
                                        ; implicit-def: $vgpr33
; %bb.280:                              ;   in Loop: Header=BB339_144 Depth=1
	s_andn2_saveexec_b64 s[18:19], s[4:5]
; %bb.281:                              ;   in Loop: Header=BB339_144 Depth=1
	v_or_b32_e32 v32, 0x10000, v33
	v_cmp_eq_u32_sdwa s[4:5], v33, v17 src0_sel:WORD_0 src1_sel:DWORD
	v_cndmask_b32_e64 v32, v32, v33, s[4:5]
; %bb.282:                              ;   in Loop: Header=BB339_144 Depth=1
	s_or_b64 exec, exec, s[18:19]
	v_and_b32_e32 v27, 0xffff0000, v27
	v_lshlrev_b32_e32 v6, 16, v6
	v_mul_f32_e32 v33, v27, v6
	v_and_b32_e32 v6, 0x7f800000, v33
	v_cmp_ne_u32_e64 s[4:5], s30, v6
                                        ; implicit-def: $vgpr6
	s_and_saveexec_b64 s[18:19], s[4:5]
	s_xor_b64 s[4:5], exec, s[18:19]
; %bb.283:                              ;   in Loop: Header=BB339_144 Depth=1
	v_bfe_u32 v6, v33, 16, 1
	v_add3_u32 v6, v33, v6, s31
                                        ; implicit-def: $vgpr33
; %bb.284:                              ;   in Loop: Header=BB339_144 Depth=1
	s_andn2_saveexec_b64 s[18:19], s[4:5]
; %bb.285:                              ;   in Loop: Header=BB339_144 Depth=1
	v_or_b32_e32 v6, 0x10000, v33
	v_cmp_eq_u32_sdwa s[4:5], v33, v17 src0_sel:WORD_0 src1_sel:DWORD
	v_cndmask_b32_e64 v6, v6, v33, s[4:5]
; %bb.286:                              ;   in Loop: Header=BB339_144 Depth=1
	s_or_b64 exec, exec, s[18:19]
	v_and_b32_e32 v28, 0xffff0000, v28
	v_lshlrev_b32_e32 v2, 16, v2
	v_mul_f32_e32 v2, v28, v2
	v_and_b32_e32 v33, 0x7f800000, v2
	v_cmp_ne_u32_e64 s[4:5], s30, v33
                                        ; implicit-def: $vgpr33
	s_and_saveexec_b64 s[18:19], s[4:5]
	s_xor_b64 s[4:5], exec, s[18:19]
; %bb.287:                              ;   in Loop: Header=BB339_144 Depth=1
	v_bfe_u32 v33, v2, 16, 1
	v_add3_u32 v33, v2, v33, s31
                                        ; implicit-def: $vgpr2
; %bb.288:                              ;   in Loop: Header=BB339_144 Depth=1
	s_andn2_saveexec_b64 s[18:19], s[4:5]
; %bb.289:                              ;   in Loop: Header=BB339_144 Depth=1
	v_or_b32_e32 v33, 0x10000, v2
	v_cmp_eq_u32_sdwa s[4:5], v2, v17 src0_sel:WORD_0 src1_sel:DWORD
	v_cndmask_b32_e64 v33, v33, v2, s[4:5]
; %bb.290:                              ;   in Loop: Header=BB339_144 Depth=1
	s_or_b64 exec, exec, s[18:19]
	v_and_b32_e32 v34, 0xffff0000, v31
	v_and_b32_e32 v31, 0xffff0000, v30
	;; [unrolled: 1-line block ×5, first 2 shown]
	v_pk_add_f32 v[2:3], v[36:37], v[30:31]
	v_and_b32_e32 v33, 0xffff0000, v33
	v_and_b32_e32 v32, 0xffff0000, v32
	;; [unrolled: 1-line block ×3, first 2 shown]
	v_mov_b32_e32 v6, v3
	v_pk_add_f32 v[2:3], v[2:3], v[6:7]
	v_pk_add_f32 v[30:31], v[34:35], v[32:33]
	;; [unrolled: 1-line block ×3, first 2 shown]
	v_mov_b32_e32 v6, v31
	v_pk_add_f32 v[2:3], v[2:3], v[6:7]
	v_pk_add_f32 v[2:3], v[12:13], v[2:3]
	s_and_saveexec_b64 s[18:19], vcc
	s_cbranch_execz .LBB339_143
; %bb.291:                              ;   in Loop: Header=BB339_144 Depth=1
	v_add_co_u32_e64 v4, s[4:5], v4, v18
	v_addc_co_u32_e64 v5, s[4:5], 0, v5, s[4:5]
	global_load_dwordx2 v[4:5], v[4:5], off
	v_mov_b32_e32 v3, 0
	s_waitcnt vmcnt(0)
	v_cmp_ne_u16_sdwa s[4:5], v4, v17 src0_sel:BYTE_0 src1_sel:DWORD
	s_and_saveexec_b64 s[20:21], s[4:5]
	s_cbranch_execz .LBB339_297
; %bb.292:                              ;   in Loop: Header=BB339_144 Depth=1
	v_cmp_ne_u16_sdwa s[4:5], v4, s34 src0_sel:BYTE_0 src1_sel:DWORD
	v_bfrev_b32_e32 v3, 1
	s_and_saveexec_b64 s[22:23], s[4:5]
	s_cbranch_execz .LBB339_296
; %bb.293:                              ;   in Loop: Header=BB339_144 Depth=1
	v_and_b32_e32 v6, 0x7f, v4
	v_cmp_ne_u32_e64 s[4:5], s35, v6
	v_mov_b32_e32 v3, 0x7f800001
	s_and_saveexec_b64 s[28:29], s[4:5]
	s_cbranch_execz .LBB339_295
; %bb.294:                              ;   in Loop: Header=BB339_144 Depth=1
	v_and_b32_e32 v3, 7, v4
	v_ffbh_u32_e32 v3, v3
	v_min_u32_e32 v3, 32, v3
	v_subrev_u32_e32 v29, 28, v3
	v_cmp_gt_u32_e64 s[4:5], 8, v6
	v_lshrrev_b32_e32 v16, 3, v6
	v_cndmask_b32_e64 v6, 0, v29, s[4:5]
	v_sub_u32_e32 v3, 29, v3
	v_lshlrev_b64 v[30:31], v6, v[4:5]
	v_cndmask_b32_e64 v3, v16, v3, s[4:5]
	v_lshlrev_b32_e32 v6, 20, v30
	v_lshlrev_b32_e32 v16, 24, v4
	v_and_b32_e32 v6, 0x700000, v6
	v_and_b32_e32 v16, 0x80000000, v16
	v_lshl_add_u32 v3, v3, 23, v11
	v_or3_b32 v3, v16, v3, v6
.LBB339_295:                            ;   in Loop: Header=BB339_144 Depth=1
	s_or_b64 exec, exec, s[28:29]
.LBB339_296:                            ;   in Loop: Header=BB339_144 Depth=1
	s_or_b64 exec, exec, s[22:23]
.LBB339_297:                            ;   in Loop: Header=BB339_144 Depth=1
	s_or_b64 exec, exec, s[20:21]
	v_mul_f32_e32 v6, s36, v3
	v_and_b32_e32 v3, 0x7f800000, v6
	v_cmp_ne_u32_e64 s[4:5], s30, v3
                                        ; implicit-def: $vgpr3
	s_and_saveexec_b64 s[20:21], s[4:5]
	s_xor_b64 s[4:5], exec, s[20:21]
; %bb.298:                              ;   in Loop: Header=BB339_144 Depth=1
	v_bfe_u32 v3, v6, 16, 1
	v_add3_u32 v3, v6, v3, s31
                                        ; implicit-def: $vgpr6
; %bb.299:                              ;   in Loop: Header=BB339_144 Depth=1
	s_andn2_saveexec_b64 s[20:21], s[4:5]
; %bb.300:                              ;   in Loop: Header=BB339_144 Depth=1
	v_or_b32_e32 v3, 0x10000, v6
	v_cmp_eq_u32_sdwa s[4:5], v6, v17 src0_sel:WORD_0 src1_sel:DWORD
	v_cndmask_b32_e64 v3, v3, v6, s[4:5]
; %bb.301:                              ;   in Loop: Header=BB339_144 Depth=1
	s_or_b64 exec, exec, s[20:21]
	v_lshrrev_b16_e32 v6, 8, v4
	v_cmp_ne_u16_e64 s[4:5], 0, v6
	v_mov_b32_e32 v16, 0
	s_and_saveexec_b64 s[20:21], s[4:5]
	s_cbranch_execz .LBB339_307
; %bb.302:                              ;   in Loop: Header=BB339_144 Depth=1
	v_cmp_ne_u16_e64 s[4:5], s34, v6
	v_bfrev_b32_e32 v16, 1
	s_and_saveexec_b64 s[22:23], s[4:5]
	s_cbranch_execz .LBB339_306
; %bb.303:                              ;   in Loop: Header=BB339_144 Depth=1
	v_and_b32_e32 v29, 0x7f, v6
	v_cmp_ne_u32_e64 s[4:5], s35, v29
	v_mov_b32_e32 v16, 0x7f800001
	s_and_saveexec_b64 s[28:29], s[4:5]
	s_cbranch_execz .LBB339_305
; %bb.304:                              ;   in Loop: Header=BB339_144 Depth=1
	v_and_b32_e32 v16, 7, v6
	v_ffbh_u32_e32 v30, v16
	v_min_u32_e32 v33, 32, v30
	v_subrev_u32_e32 v30, 28, v33
	v_lshlrev_b64 v[30:31], v30, v[6:7]
	v_lshrrev_b32_e32 v32, 3, v29
	v_sub_u32_e32 v6, 29, v33
	v_and_b32_e32 v30, 7, v30
	v_cmp_gt_u32_e64 s[4:5], 8, v29
	v_cndmask_b32_e64 v6, v32, v6, s[4:5]
	v_cndmask_b32_e64 v16, v16, v30, s[4:5]
	v_lshlrev_b32_e32 v29, 16, v4
	v_lshlrev_b32_e32 v16, 20, v16
	v_and_b32_e32 v29, 0x80000000, v29
	v_lshl_add_u32 v6, v6, 23, v11
	v_or3_b32 v16, v29, v6, v16
.LBB339_305:                            ;   in Loop: Header=BB339_144 Depth=1
	s_or_b64 exec, exec, s[28:29]
.LBB339_306:                            ;   in Loop: Header=BB339_144 Depth=1
	s_or_b64 exec, exec, s[22:23]
.LBB339_307:                            ;   in Loop: Header=BB339_144 Depth=1
	s_or_b64 exec, exec, s[20:21]
	v_mul_f32_e32 v6, s36, v16
	v_and_b32_e32 v16, 0x7f800000, v6
	v_cmp_ne_u32_e64 s[4:5], s30, v16
                                        ; implicit-def: $vgpr29
	s_and_saveexec_b64 s[20:21], s[4:5]
	s_xor_b64 s[4:5], exec, s[20:21]
; %bb.308:                              ;   in Loop: Header=BB339_144 Depth=1
	v_bfe_u32 v16, v6, 16, 1
	v_add3_u32 v29, v6, v16, s31
                                        ; implicit-def: $vgpr6
; %bb.309:                              ;   in Loop: Header=BB339_144 Depth=1
	s_andn2_saveexec_b64 s[20:21], s[4:5]
; %bb.310:                              ;   in Loop: Header=BB339_144 Depth=1
	v_or_b32_e32 v16, 0x10000, v6
	v_cmp_eq_u32_sdwa s[4:5], v6, v17 src0_sel:WORD_0 src1_sel:DWORD
	v_cndmask_b32_e64 v29, v16, v6, s[4:5]
; %bb.311:                              ;   in Loop: Header=BB339_144 Depth=1
	s_or_b64 exec, exec, s[20:21]
	v_lshrrev_b32_e32 v6, 16, v4
	v_cmp_ne_u16_sdwa s[4:5], v6, v17 src0_sel:BYTE_0 src1_sel:DWORD
	v_mov_b32_e32 v16, 0
	s_and_saveexec_b64 s[20:21], s[4:5]
	s_cbranch_execz .LBB339_317
; %bb.312:                              ;   in Loop: Header=BB339_144 Depth=1
	v_cmp_ne_u16_sdwa s[4:5], v6, s34 src0_sel:BYTE_0 src1_sel:DWORD
	v_bfrev_b32_e32 v16, 1
	s_and_saveexec_b64 s[22:23], s[4:5]
	s_cbranch_execz .LBB339_316
; %bb.313:                              ;   in Loop: Header=BB339_144 Depth=1
	v_bfe_u32 v30, v4, 16, 7
	v_cmp_ne_u32_e64 s[4:5], s35, v30
	v_mov_b32_e32 v16, 0x7f800001
	s_and_saveexec_b64 s[28:29], s[4:5]
	s_cbranch_execz .LBB339_315
; %bb.314:                              ;   in Loop: Header=BB339_144 Depth=1
	v_and_b32_e32 v16, 7, v6
	v_ffbh_u32_e32 v32, v16
	v_min_u32_e32 v34, 32, v32
	v_subrev_u32_e32 v32, 28, v34
	v_lshlrev_b64 v[32:33], v32, v[6:7]
	v_lshrrev_b32_e32 v31, 3, v30
	v_sub_u32_e32 v33, 29, v34
	v_and_b32_e32 v32, 7, v32
	v_cmp_gt_u32_e64 s[4:5], 8, v30
	v_cndmask_b32_e64 v30, v31, v33, s[4:5]
	v_cndmask_b32_e64 v16, v16, v32, s[4:5]
	v_lshlrev_b32_e32 v6, 24, v6
	v_lshlrev_b32_e32 v16, 20, v16
	v_and_b32_e32 v6, 0x80000000, v6
	v_lshl_add_u32 v30, v30, 23, v11
	v_or3_b32 v16, v6, v30, v16
.LBB339_315:                            ;   in Loop: Header=BB339_144 Depth=1
	s_or_b64 exec, exec, s[28:29]
.LBB339_316:                            ;   in Loop: Header=BB339_144 Depth=1
	s_or_b64 exec, exec, s[22:23]
.LBB339_317:                            ;   in Loop: Header=BB339_144 Depth=1
	s_or_b64 exec, exec, s[20:21]
	v_mul_f32_e32 v6, s36, v16
	v_and_b32_e32 v16, 0x7f800000, v6
	v_cmp_ne_u32_e64 s[4:5], s30, v16
                                        ; implicit-def: $vgpr30
	s_and_saveexec_b64 s[20:21], s[4:5]
	s_xor_b64 s[4:5], exec, s[20:21]
; %bb.318:                              ;   in Loop: Header=BB339_144 Depth=1
	v_bfe_u32 v16, v6, 16, 1
	v_add3_u32 v30, v6, v16, s31
                                        ; implicit-def: $vgpr6
; %bb.319:                              ;   in Loop: Header=BB339_144 Depth=1
	s_andn2_saveexec_b64 s[20:21], s[4:5]
; %bb.320:                              ;   in Loop: Header=BB339_144 Depth=1
	v_or_b32_e32 v16, 0x10000, v6
	v_cmp_eq_u32_sdwa s[4:5], v6, v17 src0_sel:WORD_0 src1_sel:DWORD
	v_cndmask_b32_e64 v30, v16, v6, s[4:5]
; %bb.321:                              ;   in Loop: Header=BB339_144 Depth=1
	s_or_b64 exec, exec, s[20:21]
	v_cmp_lt_u32_e64 s[4:5], s17, v4
	v_mov_b32_e32 v16, 0
	s_and_saveexec_b64 s[20:21], s[4:5]
	s_cbranch_execz .LBB339_327
; %bb.322:                              ;   in Loop: Header=BB339_144 Depth=1
	v_lshrrev_b32_e32 v6, 24, v4
	v_cmp_ne_u32_e64 s[4:5], s34, v6
	v_bfrev_b32_e32 v16, 1
	s_and_saveexec_b64 s[22:23], s[4:5]
	s_cbranch_execz .LBB339_326
; %bb.323:                              ;   in Loop: Header=BB339_144 Depth=1
	v_bfe_u32 v31, v4, 24, 7
	v_cmp_ne_u32_e64 s[4:5], s35, v31
	v_mov_b32_e32 v16, 0x7f800001
	s_and_saveexec_b64 s[28:29], s[4:5]
	s_cbranch_execz .LBB339_325
; %bb.324:                              ;   in Loop: Header=BB339_144 Depth=1
	v_and_b32_e32 v16, 7, v6
	v_ffbh_u32_e32 v32, v16
	v_min_u32_e32 v35, 32, v32
	v_subrev_u32_e32 v32, 28, v35
	v_lshlrev_b64 v[32:33], v32, v[6:7]
	v_lshrrev_b32_e32 v34, 3, v31
	v_sub_u32_e32 v33, 29, v35
	v_and_b32_e32 v32, 7, v32
	v_cmp_gt_u32_e64 s[4:5], 8, v31
	v_cndmask_b32_e64 v31, v34, v33, s[4:5]
	v_cndmask_b32_e64 v16, v16, v32, s[4:5]
	v_lshlrev_b32_e32 v6, 24, v6
	v_lshlrev_b32_e32 v16, 20, v16
	v_and_b32_e32 v6, 0x80000000, v6
	v_lshl_add_u32 v31, v31, 23, v11
	v_or3_b32 v16, v6, v31, v16
.LBB339_325:                            ;   in Loop: Header=BB339_144 Depth=1
	s_or_b64 exec, exec, s[28:29]
.LBB339_326:                            ;   in Loop: Header=BB339_144 Depth=1
	s_or_b64 exec, exec, s[22:23]
.LBB339_327:                            ;   in Loop: Header=BB339_144 Depth=1
	s_or_b64 exec, exec, s[20:21]
	v_mul_f32_e32 v6, s36, v16
	v_and_b32_e32 v16, 0x7f800000, v6
	v_cmp_ne_u32_e64 s[4:5], s30, v16
                                        ; implicit-def: $vgpr31
	s_and_saveexec_b64 s[20:21], s[4:5]
	s_xor_b64 s[4:5], exec, s[20:21]
; %bb.328:                              ;   in Loop: Header=BB339_144 Depth=1
	v_bfe_u32 v16, v6, 16, 1
	v_add3_u32 v31, v6, v16, s31
                                        ; implicit-def: $vgpr6
; %bb.329:                              ;   in Loop: Header=BB339_144 Depth=1
	s_andn2_saveexec_b64 s[20:21], s[4:5]
; %bb.330:                              ;   in Loop: Header=BB339_144 Depth=1
	v_or_b32_e32 v16, 0x10000, v6
	v_cmp_eq_u32_sdwa s[4:5], v6, v17 src0_sel:WORD_0 src1_sel:DWORD
	v_cndmask_b32_e64 v31, v16, v6, s[4:5]
; %bb.331:                              ;   in Loop: Header=BB339_144 Depth=1
	s_or_b64 exec, exec, s[20:21]
	v_mov_b32_e32 v16, v5
	v_cmp_ne_u16_sdwa s[4:5], v5, v17 src0_sel:BYTE_0 src1_sel:DWORD
	v_mov_b32_e32 v6, 0
	s_and_saveexec_b64 s[20:21], s[4:5]
	s_cbranch_execz .LBB339_337
; %bb.332:                              ;   in Loop: Header=BB339_144 Depth=1
	v_cmp_ne_u16_sdwa s[4:5], v5, s34 src0_sel:BYTE_0 src1_sel:DWORD
	v_bfrev_b32_e32 v6, 1
	s_and_saveexec_b64 s[22:23], s[4:5]
	s_cbranch_execz .LBB339_336
; %bb.333:                              ;   in Loop: Header=BB339_144 Depth=1
	v_and_b32_e32 v32, 0x7f, v5
	v_cmp_ne_u32_e64 s[4:5], s35, v32
	v_mov_b32_e32 v6, 0x7f800001
	s_and_saveexec_b64 s[28:29], s[4:5]
	s_cbranch_execz .LBB339_335
; %bb.334:                              ;   in Loop: Header=BB339_144 Depth=1
	v_and_b32_e32 v6, 7, v5
	v_ffbh_u32_e32 v6, v6
	v_min_u32_e32 v6, 32, v6
	v_subrev_u32_e32 v34, 28, v6
	v_cmp_gt_u32_e64 s[4:5], 8, v32
	v_lshrrev_b32_e32 v33, 3, v32
	v_sub_u32_e32 v6, 29, v6
	v_cndmask_b32_e64 v32, 0, v34, s[4:5]
	v_cndmask_b32_e64 v6, v33, v6, s[4:5]
	v_lshlrev_b64 v[32:33], v32, v[16:17]
	v_lshlrev_b32_e32 v32, 20, v32
	v_lshlrev_b32_e32 v33, 24, v16
	v_and_b32_e32 v32, 0x700000, v32
	v_and_b32_e32 v33, 0x80000000, v33
	v_lshl_add_u32 v6, v6, 23, v11
	v_or3_b32 v6, v33, v6, v32
.LBB339_335:                            ;   in Loop: Header=BB339_144 Depth=1
	s_or_b64 exec, exec, s[28:29]
.LBB339_336:                            ;   in Loop: Header=BB339_144 Depth=1
	s_or_b64 exec, exec, s[22:23]
.LBB339_337:                            ;   in Loop: Header=BB339_144 Depth=1
	s_or_b64 exec, exec, s[20:21]
	v_mul_f32_e32 v6, s36, v6
	v_and_b32_e32 v32, 0x7f800000, v6
	v_cmp_ne_u32_e64 s[4:5], s30, v32
                                        ; implicit-def: $vgpr32
	s_and_saveexec_b64 s[20:21], s[4:5]
	s_xor_b64 s[4:5], exec, s[20:21]
; %bb.338:                              ;   in Loop: Header=BB339_144 Depth=1
	v_bfe_u32 v32, v6, 16, 1
	v_add3_u32 v32, v6, v32, s31
                                        ; implicit-def: $vgpr6
; %bb.339:                              ;   in Loop: Header=BB339_144 Depth=1
	s_andn2_saveexec_b64 s[20:21], s[4:5]
; %bb.340:                              ;   in Loop: Header=BB339_144 Depth=1
	v_or_b32_e32 v32, 0x10000, v6
	v_cmp_eq_u32_sdwa s[4:5], v6, v17 src0_sel:WORD_0 src1_sel:DWORD
	v_cndmask_b32_e64 v32, v32, v6, s[4:5]
; %bb.341:                              ;   in Loop: Header=BB339_144 Depth=1
	s_or_b64 exec, exec, s[20:21]
	v_lshrrev_b16_e32 v6, 8, v16
	v_cmp_ne_u16_e64 s[4:5], 0, v6
	v_mov_b32_e32 v33, 0
	s_and_saveexec_b64 s[20:21], s[4:5]
	s_cbranch_execz .LBB339_347
; %bb.342:                              ;   in Loop: Header=BB339_144 Depth=1
	v_cmp_ne_u16_e64 s[4:5], s34, v6
	v_bfrev_b32_e32 v33, 1
	s_and_saveexec_b64 s[22:23], s[4:5]
	s_cbranch_execz .LBB339_346
; %bb.343:                              ;   in Loop: Header=BB339_144 Depth=1
	v_and_b32_e32 v34, 0x7f, v6
	v_cmp_ne_u32_e64 s[4:5], s35, v34
	v_mov_b32_e32 v33, 0x7f800001
	s_and_saveexec_b64 s[28:29], s[4:5]
	s_cbranch_execz .LBB339_345
; %bb.344:                              ;   in Loop: Header=BB339_144 Depth=1
	v_and_b32_e32 v33, 7, v6
	v_ffbh_u32_e32 v36, v33
	v_min_u32_e32 v38, 32, v36
	v_subrev_u32_e32 v36, 28, v38
	v_lshlrev_b64 v[36:37], v36, v[6:7]
	v_lshrrev_b32_e32 v35, 3, v34
	v_sub_u32_e32 v6, 29, v38
	v_and_b32_e32 v36, 7, v36
	v_cmp_gt_u32_e64 s[4:5], 8, v34
	v_cndmask_b32_e64 v6, v35, v6, s[4:5]
	v_cndmask_b32_e64 v33, v33, v36, s[4:5]
	v_lshlrev_b32_e32 v16, 16, v16
	v_lshlrev_b32_e32 v33, 20, v33
	v_and_b32_e32 v16, 0x80000000, v16
	v_lshl_add_u32 v6, v6, 23, v11
	v_or3_b32 v33, v16, v6, v33
.LBB339_345:                            ;   in Loop: Header=BB339_144 Depth=1
	s_or_b64 exec, exec, s[28:29]
.LBB339_346:                            ;   in Loop: Header=BB339_144 Depth=1
	s_or_b64 exec, exec, s[22:23]
.LBB339_347:                            ;   in Loop: Header=BB339_144 Depth=1
	s_or_b64 exec, exec, s[20:21]
	v_mul_f32_e32 v6, s36, v33
	v_and_b32_e32 v16, 0x7f800000, v6
	v_cmp_ne_u32_e64 s[4:5], s30, v16
                                        ; implicit-def: $vgpr16
	s_and_saveexec_b64 s[20:21], s[4:5]
	s_xor_b64 s[4:5], exec, s[20:21]
; %bb.348:                              ;   in Loop: Header=BB339_144 Depth=1
	v_bfe_u32 v16, v6, 16, 1
	v_add3_u32 v16, v6, v16, s31
                                        ; implicit-def: $vgpr6
; %bb.349:                              ;   in Loop: Header=BB339_144 Depth=1
	s_andn2_saveexec_b64 s[20:21], s[4:5]
; %bb.350:                              ;   in Loop: Header=BB339_144 Depth=1
	v_or_b32_e32 v16, 0x10000, v6
	v_cmp_eq_u32_sdwa s[4:5], v6, v17 src0_sel:WORD_0 src1_sel:DWORD
	v_cndmask_b32_e64 v16, v16, v6, s[4:5]
; %bb.351:                              ;   in Loop: Header=BB339_144 Depth=1
	s_or_b64 exec, exec, s[20:21]
	v_lshrrev_b32_e32 v6, 16, v5
	v_cmp_ne_u16_sdwa s[4:5], v6, v17 src0_sel:BYTE_0 src1_sel:DWORD
	v_mov_b32_e32 v33, 0
	s_and_saveexec_b64 s[20:21], s[4:5]
	s_cbranch_execz .LBB339_357
; %bb.352:                              ;   in Loop: Header=BB339_144 Depth=1
	v_cmp_ne_u16_sdwa s[4:5], v6, s34 src0_sel:BYTE_0 src1_sel:DWORD
	v_bfrev_b32_e32 v33, 1
	s_and_saveexec_b64 s[22:23], s[4:5]
	s_cbranch_execz .LBB339_356
; %bb.353:                              ;   in Loop: Header=BB339_144 Depth=1
	v_bfe_u32 v34, v5, 16, 7
	v_cmp_ne_u32_e64 s[4:5], s35, v34
	v_mov_b32_e32 v33, 0x7f800001
	s_and_saveexec_b64 s[28:29], s[4:5]
	s_cbranch_execz .LBB339_355
; %bb.354:                              ;   in Loop: Header=BB339_144 Depth=1
	v_and_b32_e32 v33, 7, v6
	v_ffbh_u32_e32 v36, v33
	v_min_u32_e32 v38, 32, v36
	v_subrev_u32_e32 v36, 28, v38
	v_lshlrev_b64 v[36:37], v36, v[6:7]
	v_lshrrev_b32_e32 v35, 3, v34
	v_sub_u32_e32 v37, 29, v38
	v_and_b32_e32 v36, 7, v36
	v_cmp_gt_u32_e64 s[4:5], 8, v34
	v_cndmask_b32_e64 v34, v35, v37, s[4:5]
	v_cndmask_b32_e64 v33, v33, v36, s[4:5]
	v_lshlrev_b32_e32 v6, 24, v6
	v_lshlrev_b32_e32 v33, 20, v33
	v_and_b32_e32 v6, 0x80000000, v6
	v_lshl_add_u32 v34, v34, 23, v11
	v_or3_b32 v33, v6, v34, v33
.LBB339_355:                            ;   in Loop: Header=BB339_144 Depth=1
	s_or_b64 exec, exec, s[28:29]
.LBB339_356:                            ;   in Loop: Header=BB339_144 Depth=1
	s_or_b64 exec, exec, s[22:23]
.LBB339_357:                            ;   in Loop: Header=BB339_144 Depth=1
	s_or_b64 exec, exec, s[20:21]
	v_mul_f32_e32 v33, s36, v33
	v_and_b32_e32 v6, 0x7f800000, v33
	v_cmp_ne_u32_e64 s[4:5], s30, v6
                                        ; implicit-def: $vgpr6
	s_and_saveexec_b64 s[20:21], s[4:5]
	s_xor_b64 s[4:5], exec, s[20:21]
; %bb.358:                              ;   in Loop: Header=BB339_144 Depth=1
	v_bfe_u32 v6, v33, 16, 1
	v_add3_u32 v6, v33, v6, s31
                                        ; implicit-def: $vgpr33
; %bb.359:                              ;   in Loop: Header=BB339_144 Depth=1
	s_andn2_saveexec_b64 s[20:21], s[4:5]
; %bb.360:                              ;   in Loop: Header=BB339_144 Depth=1
	v_or_b32_e32 v6, 0x10000, v33
	v_cmp_eq_u32_sdwa s[4:5], v33, v17 src0_sel:WORD_0 src1_sel:DWORD
	v_cndmask_b32_e64 v6, v6, v33, s[4:5]
; %bb.361:                              ;   in Loop: Header=BB339_144 Depth=1
	s_or_b64 exec, exec, s[20:21]
	v_cmp_lt_u64_e64 s[4:5], s[16:17], v[4:5]
	v_mov_b32_e32 v33, 0
	s_and_saveexec_b64 s[20:21], s[4:5]
	s_cbranch_execz .LBB339_367
; %bb.362:                              ;   in Loop: Header=BB339_144 Depth=1
	v_lshrrev_b32_e32 v4, 24, v5
	v_cmp_ne_u32_e64 s[4:5], s34, v4
	v_bfrev_b32_e32 v33, 1
	s_and_saveexec_b64 s[22:23], s[4:5]
	s_cbranch_execz .LBB339_366
; %bb.363:                              ;   in Loop: Header=BB339_144 Depth=1
	v_bfe_u32 v5, v5, 24, 7
	v_cmp_ne_u32_e64 s[4:5], s35, v5
	v_mov_b32_e32 v33, 0x7f800001
	s_and_saveexec_b64 s[28:29], s[4:5]
	s_cbranch_execz .LBB339_365
; %bb.364:                              ;   in Loop: Header=BB339_144 Depth=1
	v_and_b32_e32 v33, 7, v4
	v_ffbh_u32_e32 v34, v33
	v_min_u32_e32 v37, 32, v34
	v_subrev_u32_e32 v34, 28, v37
	v_lshlrev_b64 v[34:35], v34, v[4:5]
	v_lshrrev_b32_e32 v36, 3, v5
	v_sub_u32_e32 v35, 29, v37
	v_and_b32_e32 v34, 7, v34
	v_cmp_gt_u32_e64 s[4:5], 8, v5
	v_cndmask_b32_e64 v5, v36, v35, s[4:5]
	v_cndmask_b32_e64 v33, v33, v34, s[4:5]
	v_lshlrev_b32_e32 v4, 24, v4
	v_lshlrev_b32_e32 v33, 20, v33
	v_and_b32_e32 v4, 0x80000000, v4
	v_lshl_add_u32 v5, v5, 23, v11
	v_or3_b32 v33, v4, v5, v33
.LBB339_365:                            ;   in Loop: Header=BB339_144 Depth=1
	s_or_b64 exec, exec, s[28:29]
.LBB339_366:                            ;   in Loop: Header=BB339_144 Depth=1
	s_or_b64 exec, exec, s[22:23]
.LBB339_367:                            ;   in Loop: Header=BB339_144 Depth=1
	s_or_b64 exec, exec, s[20:21]
	v_mul_f32_e32 v4, s36, v33
	v_and_b32_e32 v5, 0x7f800000, v4
	v_cmp_ne_u32_e64 s[4:5], s30, v5
                                        ; implicit-def: $vgpr33
	s_and_saveexec_b64 s[20:21], s[4:5]
	s_xor_b64 s[4:5], exec, s[20:21]
; %bb.368:                              ;   in Loop: Header=BB339_144 Depth=1
	v_bfe_u32 v5, v4, 16, 1
	v_add3_u32 v33, v4, v5, s31
                                        ; implicit-def: $vgpr4
; %bb.369:                              ;   in Loop: Header=BB339_144 Depth=1
	s_andn2_saveexec_b64 s[20:21], s[4:5]
; %bb.370:                              ;   in Loop: Header=BB339_144 Depth=1
	v_or_b32_e32 v5, 0x10000, v4
	v_cmp_eq_u32_sdwa s[4:5], v4, v17 src0_sel:WORD_0 src1_sel:DWORD
	v_cndmask_b32_e64 v33, v5, v4, s[4:5]
; %bb.371:                              ;   in Loop: Header=BB339_144 Depth=1
	s_or_b64 exec, exec, s[20:21]
	v_lshrrev_b32_e32 v16, 16, v16
	v_lshrrev_b32_e32 v32, 16, v32
	;; [unrolled: 1-line block ×8, first 2 shown]
	s_and_saveexec_b64 s[4:5], s[2:3]
	s_cbranch_execz .LBB339_373
; %bb.372:                              ;   in Loop: Header=BB339_144 Depth=1
	v_cmp_gt_i32_e64 s[2:3], s33, v7
	v_add_u32_e32 v6, -6, v19
	v_cndmask_b32_e64 v4, 0, v4, s[2:3]
	v_cmp_gt_i32_e64 s[2:3], s33, v6
	v_add_u32_e32 v6, -5, v19
	v_cndmask_b32_e64 v29, 0, v29, s[2:3]
	;; [unrolled: 3-line block ×6, first 2 shown]
	v_cmp_gt_i32_e64 s[2:3], s33, v6
	v_cndmask_b32_e64 v5, 0, v5, s[2:3]
	v_cmp_gt_i32_e64 s[2:3], s33, v19
	v_cndmask_b32_e64 v3, 0, v3, s[2:3]
.LBB339_373:                            ;   in Loop: Header=BB339_144 Depth=1
	s_or_b64 exec, exec, s[4:5]
	v_lshlrev_b32_e32 v4, 16, v4
	v_mul_f32_e32 v6, v8, v4
	v_and_b32_e32 v4, 0x7f800000, v6
	v_cmp_ne_u32_e64 s[2:3], s30, v4
                                        ; implicit-def: $vgpr4
	s_and_saveexec_b64 s[4:5], s[2:3]
	s_xor_b64 s[2:3], exec, s[4:5]
; %bb.374:                              ;   in Loop: Header=BB339_144 Depth=1
	v_bfe_u32 v4, v6, 16, 1
	v_add3_u32 v4, v6, v4, s31
                                        ; implicit-def: $vgpr6
; %bb.375:                              ;   in Loop: Header=BB339_144 Depth=1
	s_andn2_saveexec_b64 s[4:5], s[2:3]
; %bb.376:                              ;   in Loop: Header=BB339_144 Depth=1
	v_or_b32_e32 v4, 0x10000, v6
	v_cmp_eq_u32_sdwa s[2:3], v6, v17 src0_sel:WORD_0 src1_sel:DWORD
	v_cndmask_b32_e64 v4, v4, v6, s[2:3]
; %bb.377:                              ;   in Loop: Header=BB339_144 Depth=1
	s_or_b64 exec, exec, s[4:5]
	v_lshlrev_b32_e32 v6, 16, v29
	v_mul_f32_e32 v7, v9, v6
	v_and_b32_e32 v6, 0x7f800000, v7
	v_cmp_ne_u32_e64 s[2:3], s30, v6
                                        ; implicit-def: $vgpr6
	s_and_saveexec_b64 s[4:5], s[2:3]
	s_xor_b64 s[2:3], exec, s[4:5]
; %bb.378:                              ;   in Loop: Header=BB339_144 Depth=1
	v_bfe_u32 v6, v7, 16, 1
	v_add3_u32 v6, v7, v6, s31
                                        ; implicit-def: $vgpr7
; %bb.379:                              ;   in Loop: Header=BB339_144 Depth=1
	s_andn2_saveexec_b64 s[4:5], s[2:3]
; %bb.380:                              ;   in Loop: Header=BB339_144 Depth=1
	v_or_b32_e32 v6, 0x10000, v7
	v_cmp_eq_u32_sdwa s[2:3], v7, v17 src0_sel:WORD_0 src1_sel:DWORD
	v_cndmask_b32_e64 v6, v6, v7, s[2:3]
; %bb.381:                              ;   in Loop: Header=BB339_144 Depth=1
	s_or_b64 exec, exec, s[4:5]
	v_lshlrev_b32_e32 v7, 16, v30
	v_mul_f32_e32 v8, v23, v7
	v_and_b32_e32 v7, 0x7f800000, v8
	v_cmp_ne_u32_e64 s[2:3], s30, v7
                                        ; implicit-def: $vgpr7
	s_and_saveexec_b64 s[4:5], s[2:3]
	s_xor_b64 s[2:3], exec, s[4:5]
; %bb.382:                              ;   in Loop: Header=BB339_144 Depth=1
	v_bfe_u32 v7, v8, 16, 1
	v_add3_u32 v7, v8, v7, s31
                                        ; implicit-def: $vgpr8
; %bb.383:                              ;   in Loop: Header=BB339_144 Depth=1
	s_andn2_saveexec_b64 s[4:5], s[2:3]
; %bb.384:                              ;   in Loop: Header=BB339_144 Depth=1
	v_or_b32_e32 v7, 0x10000, v8
	v_cmp_eq_u32_sdwa s[2:3], v8, v17 src0_sel:WORD_0 src1_sel:DWORD
	v_cndmask_b32_e64 v7, v7, v8, s[2:3]
; %bb.385:                              ;   in Loop: Header=BB339_144 Depth=1
	s_or_b64 exec, exec, s[4:5]
	v_lshlrev_b32_e32 v8, 16, v31
	v_mul_f32_e32 v9, v24, v8
	v_and_b32_e32 v8, 0x7f800000, v9
	v_cmp_ne_u32_e64 s[2:3], s30, v8
                                        ; implicit-def: $vgpr8
	s_and_saveexec_b64 s[4:5], s[2:3]
	s_xor_b64 s[2:3], exec, s[4:5]
; %bb.386:                              ;   in Loop: Header=BB339_144 Depth=1
	v_bfe_u32 v8, v9, 16, 1
	v_add3_u32 v8, v9, v8, s31
                                        ; implicit-def: $vgpr9
; %bb.387:                              ;   in Loop: Header=BB339_144 Depth=1
	s_andn2_saveexec_b64 s[4:5], s[2:3]
; %bb.388:                              ;   in Loop: Header=BB339_144 Depth=1
	v_or_b32_e32 v8, 0x10000, v9
	v_cmp_eq_u32_sdwa s[2:3], v9, v17 src0_sel:WORD_0 src1_sel:DWORD
	v_cndmask_b32_e64 v8, v8, v9, s[2:3]
; %bb.389:                              ;   in Loop: Header=BB339_144 Depth=1
	s_or_b64 exec, exec, s[4:5]
	v_lshlrev_b32_e32 v9, 16, v32
	v_mul_f32_e32 v23, v25, v9
	v_and_b32_e32 v9, 0x7f800000, v23
	v_cmp_ne_u32_e64 s[2:3], s30, v9
                                        ; implicit-def: $vgpr9
	s_and_saveexec_b64 s[4:5], s[2:3]
	s_xor_b64 s[2:3], exec, s[4:5]
; %bb.390:                              ;   in Loop: Header=BB339_144 Depth=1
	v_bfe_u32 v9, v23, 16, 1
	v_add3_u32 v9, v23, v9, s31
                                        ; implicit-def: $vgpr23
; %bb.391:                              ;   in Loop: Header=BB339_144 Depth=1
	s_andn2_saveexec_b64 s[4:5], s[2:3]
; %bb.392:                              ;   in Loop: Header=BB339_144 Depth=1
	v_or_b32_e32 v9, 0x10000, v23
	v_cmp_eq_u32_sdwa s[2:3], v23, v17 src0_sel:WORD_0 src1_sel:DWORD
	v_cndmask_b32_e64 v9, v9, v23, s[2:3]
; %bb.393:                              ;   in Loop: Header=BB339_144 Depth=1
	s_or_b64 exec, exec, s[4:5]
	v_lshlrev_b32_e32 v16, 16, v16
	v_mul_f32_e32 v23, v26, v16
	v_and_b32_e32 v16, 0x7f800000, v23
	v_cmp_ne_u32_e64 s[2:3], s30, v16
                                        ; implicit-def: $vgpr16
	s_and_saveexec_b64 s[4:5], s[2:3]
	s_xor_b64 s[2:3], exec, s[4:5]
; %bb.394:                              ;   in Loop: Header=BB339_144 Depth=1
	v_bfe_u32 v16, v23, 16, 1
	v_add3_u32 v16, v23, v16, s31
                                        ; implicit-def: $vgpr23
; %bb.395:                              ;   in Loop: Header=BB339_144 Depth=1
	s_andn2_saveexec_b64 s[4:5], s[2:3]
; %bb.396:                              ;   in Loop: Header=BB339_144 Depth=1
	v_or_b32_e32 v16, 0x10000, v23
	v_cmp_eq_u32_sdwa s[2:3], v23, v17 src0_sel:WORD_0 src1_sel:DWORD
	v_cndmask_b32_e64 v16, v16, v23, s[2:3]
; %bb.397:                              ;   in Loop: Header=BB339_144 Depth=1
	s_or_b64 exec, exec, s[4:5]
	v_lshlrev_b32_e32 v5, 16, v5
	v_mul_f32_e32 v23, v27, v5
	v_and_b32_e32 v5, 0x7f800000, v23
	v_cmp_ne_u32_e64 s[2:3], s30, v5
                                        ; implicit-def: $vgpr5
	s_and_saveexec_b64 s[4:5], s[2:3]
	s_xor_b64 s[2:3], exec, s[4:5]
; %bb.398:                              ;   in Loop: Header=BB339_144 Depth=1
	v_bfe_u32 v5, v23, 16, 1
	v_add3_u32 v5, v23, v5, s31
                                        ; implicit-def: $vgpr23
; %bb.399:                              ;   in Loop: Header=BB339_144 Depth=1
	s_andn2_saveexec_b64 s[4:5], s[2:3]
; %bb.400:                              ;   in Loop: Header=BB339_144 Depth=1
	v_or_b32_e32 v5, 0x10000, v23
	v_cmp_eq_u32_sdwa s[2:3], v23, v17 src0_sel:WORD_0 src1_sel:DWORD
	v_cndmask_b32_e64 v5, v5, v23, s[2:3]
; %bb.401:                              ;   in Loop: Header=BB339_144 Depth=1
	s_or_b64 exec, exec, s[4:5]
	v_lshlrev_b32_e32 v3, 16, v3
	v_mul_f32_e32 v3, v28, v3
	v_and_b32_e32 v23, 0x7f800000, v3
	v_cmp_ne_u32_e64 s[2:3], s30, v23
                                        ; implicit-def: $vgpr23
	s_and_saveexec_b64 s[4:5], s[2:3]
	s_xor_b64 s[2:3], exec, s[4:5]
; %bb.402:                              ;   in Loop: Header=BB339_144 Depth=1
	v_bfe_u32 v23, v3, 16, 1
	v_add3_u32 v23, v3, v23, s31
                                        ; implicit-def: $vgpr3
; %bb.403:                              ;   in Loop: Header=BB339_144 Depth=1
	s_andn2_saveexec_b64 s[4:5], s[2:3]
	s_cbranch_execz .LBB339_142
; %bb.404:                              ;   in Loop: Header=BB339_144 Depth=1
	v_or_b32_e32 v23, 0x10000, v3
	v_cmp_eq_u32_sdwa s[2:3], v3, v17 src0_sel:WORD_0 src1_sel:DWORD
	v_cndmask_b32_e64 v23, v23, v3, s[2:3]
	s_branch .LBB339_142
.LBB339_405:
	s_or_b64 exec, exec, s[14:15]
.LBB339_406:
	s_or_b64 exec, exec, s[6:7]
	v_and_b32_e32 v3, 0x3c0, v0
	v_cmp_eq_u32_e32 vcc, 64, v3
	s_barrier
	s_and_saveexec_b64 s[2:3], vcc
	s_cbranch_execz .LBB339_409
; %bb.407:
	v_mov_b32_e32 v3, 0xb0
	v_lshl_add_u32 v4, v15, 2, v3
	ds_write_b32 v4, v2
	s_and_b64 exec, exec, s[0:1]
	s_cbranch_execz .LBB339_409
; %bb.408:
	v_lshl_add_u32 v3, v0, 2, v3
	ds_write_b32 v3, v13
.LBB339_409:
	s_or_b64 exec, exec, s[2:3]
	v_cmp_gt_u32_e32 vcc, 64, v0
	v_or_b32_e32 v3, 64, v0
	s_waitcnt lgkmcnt(0)
	s_barrier
	s_and_saveexec_b64 s[2:3], vcc
	s_cbranch_execz .LBB339_413
; %bb.410:
	v_mov_b32_e32 v4, 0xb0
	v_lshl_add_u32 v4, v0, 2, v4
	ds_read_b32 v0, v4
	s_movk_i32 s0, 0x50
	v_cmp_gt_u32_e64 s[0:1], s0, v3
	s_and_saveexec_b64 s[4:5], s[0:1]
	s_cbranch_execz .LBB339_412
; %bb.411:
	ds_read_b32 v4, v4 offset:256
	s_waitcnt lgkmcnt(0)
	v_add_f32_e32 v13, v13, v4
.LBB339_412:
	s_or_b64 exec, exec, s[4:5]
	s_waitcnt lgkmcnt(0)
	v_add_f32_e32 v2, v2, v0
.LBB339_413:
	s_or_b64 exec, exec, s[2:3]
	s_barrier
	s_and_saveexec_b64 s[0:1], vcc
	s_cbranch_execz .LBB339_424
; %bb.414:
	s_mov_b32 s0, 0x7f800000
	v_and_b32_e32 v0, 0x7f800000, v2
	v_cmp_ne_u32_e32 vcc, s0, v0
                                        ; implicit-def: $vgpr0
	s_and_saveexec_b64 s[0:1], vcc
	s_xor_b64 s[0:1], exec, s[0:1]
; %bb.415:
	v_bfe_u32 v0, v2, 16, 1
	s_movk_i32 s2, 0x7fff
	v_add3_u32 v0, v2, v0, s2
                                        ; implicit-def: $vgpr2
; %bb.416:
	s_andn2_saveexec_b64 s[0:1], s[0:1]
; %bb.417:
	v_mov_b32_e32 v0, 0
	v_or_b32_e32 v4, 0x10000, v2
	v_cmp_eq_u32_sdwa vcc, v2, v0 src0_sel:WORD_0 src1_sel:DWORD
	v_cndmask_b32_e32 v0, v4, v2, vcc
; %bb.418:
	s_or_b64 exec, exec, s[0:1]
	s_mul_i32 s0, s10, 0x50
	s_ashr_i32 s1, s0, 31
	s_lshl_b64 s[0:1], s[0:1], 1
	s_add_u32 s3, s26, s0
	s_mul_i32 s0, s25, s24
	s_addc_u32 s4, s27, s1
	s_ashr_i32 s1, s0, 31
	s_lshl_b64 s[0:1], s[0:1], 1
	s_add_u32 s3, s3, s0
	s_mul_i32 s0, s8, 0x50
	s_addc_u32 s4, s4, s1
	s_ashr_i32 s1, s0, 31
	s_lshl_b64 s[0:1], s[0:1], 1
	s_movk_i32 s2, 0x50
	s_add_u32 s0, s3, s0
	s_addc_u32 s1, s4, s1
	v_cmp_gt_u32_e32 vcc, s2, v3
	global_store_short_d16_hi v1, v0, s[0:1]
	s_and_b64 exec, exec, vcc
	s_cbranch_execz .LBB339_424
; %bb.419:
	v_mov_b32_e32 v2, s1
	v_add_co_u32_e32 v0, vcc, s0, v1
	v_addc_co_u32_e32 v1, vcc, 0, v2, vcc
	s_mov_b32 s0, 0x7f800000
	v_and_b32_e32 v2, 0x7f800000, v13
	v_cmp_ne_u32_e32 vcc, s0, v2
                                        ; implicit-def: $vgpr2
	s_and_saveexec_b64 s[0:1], vcc
	s_xor_b64 s[0:1], exec, s[0:1]
; %bb.420:
	v_bfe_u32 v2, v13, 16, 1
	s_movk_i32 s2, 0x7fff
	v_add3_u32 v2, v13, v2, s2
                                        ; implicit-def: $vgpr13
; %bb.421:
	s_andn2_saveexec_b64 s[0:1], s[0:1]
; %bb.422:
	v_mov_b32_e32 v2, 0
	v_or_b32_e32 v3, 0x10000, v13
	v_cmp_eq_u32_sdwa vcc, v13, v2 src0_sel:WORD_0 src1_sel:DWORD
	v_cndmask_b32_e32 v2, v3, v13, vcc
; %bb.423:
	s_or_b64 exec, exec, s[0:1]
	global_store_short_d16_hi v[0:1], v2, off offset:128
.LBB339_424:
	s_endpgm
	.section	.rodata,"a",@progbits
	.p2align	6, 0x0
	.amdhsa_kernel _ZN4vllm25paged_attention_v2_kernelI14__hip_bfloat16hLi80ELi8ELi128ELNS_18Fp8KVCacheDataTypeE1ELb0ELi512EEEvPfS3_PT_PKS4_PKT0_SA_ifPKiSC_iPKfiiiSE_SE_iiiii
		.amdhsa_group_segment_fixed_size 176
		.amdhsa_private_segment_fixed_size 0
		.amdhsa_kernarg_size 400
		.amdhsa_user_sgpr_count 6
		.amdhsa_user_sgpr_private_segment_buffer 1
		.amdhsa_user_sgpr_dispatch_ptr 0
		.amdhsa_user_sgpr_queue_ptr 0
		.amdhsa_user_sgpr_kernarg_segment_ptr 1
		.amdhsa_user_sgpr_dispatch_id 0
		.amdhsa_user_sgpr_flat_scratch_init 0
		.amdhsa_user_sgpr_kernarg_preload_length 0
		.amdhsa_user_sgpr_kernarg_preload_offset 0
		.amdhsa_user_sgpr_private_segment_size 0
		.amdhsa_uses_dynamic_stack 0
		.amdhsa_system_sgpr_private_segment_wavefront_offset 0
		.amdhsa_system_sgpr_workgroup_id_x 1
		.amdhsa_system_sgpr_workgroup_id_y 1
		.amdhsa_system_sgpr_workgroup_id_z 1
		.amdhsa_system_sgpr_workgroup_info 0
		.amdhsa_system_vgpr_workitem_id 0
		.amdhsa_next_free_vgpr 50
		.amdhsa_next_free_sgpr 55
		.amdhsa_accum_offset 52
		.amdhsa_reserve_vcc 1
		.amdhsa_reserve_flat_scratch 0
		.amdhsa_float_round_mode_32 0
		.amdhsa_float_round_mode_16_64 0
		.amdhsa_float_denorm_mode_32 3
		.amdhsa_float_denorm_mode_16_64 3
		.amdhsa_dx10_clamp 1
		.amdhsa_ieee_mode 1
		.amdhsa_fp16_overflow 0
		.amdhsa_tg_split 0
		.amdhsa_exception_fp_ieee_invalid_op 0
		.amdhsa_exception_fp_denorm_src 0
		.amdhsa_exception_fp_ieee_div_zero 0
		.amdhsa_exception_fp_ieee_overflow 0
		.amdhsa_exception_fp_ieee_underflow 0
		.amdhsa_exception_fp_ieee_inexact 0
		.amdhsa_exception_int_div_zero 0
	.end_amdhsa_kernel
	.section	.text._ZN4vllm25paged_attention_v2_kernelI14__hip_bfloat16hLi80ELi8ELi128ELNS_18Fp8KVCacheDataTypeE1ELb0ELi512EEEvPfS3_PT_PKS4_PKT0_SA_ifPKiSC_iPKfiiiSE_SE_iiiii,"axG",@progbits,_ZN4vllm25paged_attention_v2_kernelI14__hip_bfloat16hLi80ELi8ELi128ELNS_18Fp8KVCacheDataTypeE1ELb0ELi512EEEvPfS3_PT_PKS4_PKT0_SA_ifPKiSC_iPKfiiiSE_SE_iiiii,comdat
.Lfunc_end339:
	.size	_ZN4vllm25paged_attention_v2_kernelI14__hip_bfloat16hLi80ELi8ELi128ELNS_18Fp8KVCacheDataTypeE1ELb0ELi512EEEvPfS3_PT_PKS4_PKT0_SA_ifPKiSC_iPKfiiiSE_SE_iiiii, .Lfunc_end339-_ZN4vllm25paged_attention_v2_kernelI14__hip_bfloat16hLi80ELi8ELi128ELNS_18Fp8KVCacheDataTypeE1ELb0ELi512EEEvPfS3_PT_PKS4_PKT0_SA_ifPKiSC_iPKfiiiSE_SE_iiiii
                                        ; -- End function
	.section	.AMDGPU.csdata,"",@progbits
; Kernel info:
; codeLenInByte = 13040
; NumSgprs: 59
; NumVgprs: 50
; NumAgprs: 0
; TotalNumVgprs: 50
; ScratchSize: 0
; MemoryBound: 0
; FloatMode: 240
; IeeeMode: 1
; LDSByteSize: 176 bytes/workgroup (compile time only)
; SGPRBlocks: 7
; VGPRBlocks: 6
; NumSGPRsForWavesPerEU: 59
; NumVGPRsForWavesPerEU: 50
; AccumOffset: 52
; Occupancy: 8
; WaveLimiterHint : 1
; COMPUTE_PGM_RSRC2:SCRATCH_EN: 0
; COMPUTE_PGM_RSRC2:USER_SGPR: 6
; COMPUTE_PGM_RSRC2:TRAP_HANDLER: 0
; COMPUTE_PGM_RSRC2:TGID_X_EN: 1
; COMPUTE_PGM_RSRC2:TGID_Y_EN: 1
; COMPUTE_PGM_RSRC2:TGID_Z_EN: 1
; COMPUTE_PGM_RSRC2:TIDIG_COMP_CNT: 0
; COMPUTE_PGM_RSRC3_GFX90A:ACCUM_OFFSET: 12
; COMPUTE_PGM_RSRC3_GFX90A:TG_SPLIT: 0
	.section	.text._ZN4vllm25paged_attention_v2_kernelI14__hip_bfloat16hLi96ELi8ELi128ELNS_18Fp8KVCacheDataTypeE1ELb0ELi512EEEvPfS3_PT_PKS4_PKT0_SA_ifPKiSC_iPKfiiiSE_SE_iiiii,"axG",@progbits,_ZN4vllm25paged_attention_v2_kernelI14__hip_bfloat16hLi96ELi8ELi128ELNS_18Fp8KVCacheDataTypeE1ELb0ELi512EEEvPfS3_PT_PKS4_PKT0_SA_ifPKiSC_iPKfiiiSE_SE_iiiii,comdat
	.protected	_ZN4vllm25paged_attention_v2_kernelI14__hip_bfloat16hLi96ELi8ELi128ELNS_18Fp8KVCacheDataTypeE1ELb0ELi512EEEvPfS3_PT_PKS4_PKT0_SA_ifPKiSC_iPKfiiiSE_SE_iiiii ; -- Begin function _ZN4vllm25paged_attention_v2_kernelI14__hip_bfloat16hLi96ELi8ELi128ELNS_18Fp8KVCacheDataTypeE1ELb0ELi512EEEvPfS3_PT_PKS4_PKT0_SA_ifPKiSC_iPKfiiiSE_SE_iiiii
	.globl	_ZN4vllm25paged_attention_v2_kernelI14__hip_bfloat16hLi96ELi8ELi128ELNS_18Fp8KVCacheDataTypeE1ELb0ELi512EEEvPfS3_PT_PKS4_PKT0_SA_ifPKiSC_iPKfiiiSE_SE_iiiii
	.p2align	8
	.type	_ZN4vllm25paged_attention_v2_kernelI14__hip_bfloat16hLi96ELi8ELi128ELNS_18Fp8KVCacheDataTypeE1ELb0ELi512EEEvPfS3_PT_PKS4_PKT0_SA_ifPKiSC_iPKfiiiSE_SE_iiiii,@function
_ZN4vllm25paged_attention_v2_kernelI14__hip_bfloat16hLi96ELi8ELi128ELNS_18Fp8KVCacheDataTypeE1ELb0ELi512EEEvPfS3_PT_PKS4_PKT0_SA_ifPKiSC_iPKfiiiSE_SE_iiiii: ; @_ZN4vllm25paged_attention_v2_kernelI14__hip_bfloat16hLi96ELi8ELi128ELNS_18Fp8KVCacheDataTypeE1ELb0ELi512EEEvPfS3_PT_PKS4_PKT0_SA_ifPKiSC_iPKfiiiSE_SE_iiiii
; %bb.0:
	s_load_dwordx2 s[0:1], s[4:5], 0x40
	s_mov_b32 s28, s7
	s_ashr_i32 s29, s7, 31
	s_lshl_b64 s[2:3], s[28:29], 2
	s_waitcnt lgkmcnt(0)
	s_add_u32 s0, s0, s2
	s_addc_u32 s1, s1, s3
	s_load_dword s33, s[0:1], 0x0
	s_lshl_b32 s29, s8, 9
	s_waitcnt lgkmcnt(0)
	s_cmp_ge_i32 s29, s33
	s_cbranch_scc1 .LBB340_444
; %bb.1:
	s_load_dword s9, s[4:5], 0x90
	s_load_dwordx2 s[38:39], s[4:5], 0x30
	s_waitcnt lgkmcnt(0)
	s_abs_i32 s2, s9
	s_abs_i32 s0, s38
	v_cvt_f32_u32_e32 v1, s0
	s_sub_i32 s3, 0, s0
	s_xor_b32 s1, s9, s38
	s_ashr_i32 s1, s1, 31
	v_rcp_iflag_f32_e32 v1, v1
	s_mov_b32 s38, 0
	v_mul_f32_e32 v1, 0x4f7ffffe, v1
	v_cvt_u32_f32_e32 v1, v1
	v_readfirstlane_b32 s7, v1
	s_mul_i32 s3, s3, s7
	s_mul_hi_u32 s3, s7, s3
	s_add_i32 s7, s7, s3
	s_mul_hi_u32 s3, s2, s7
	s_mul_i32 s7, s3, s0
	s_sub_i32 s2, s2, s7
	s_add_i32 s10, s3, 1
	s_sub_i32 s7, s2, s0
	s_cmp_ge_u32 s2, s0
	s_cselect_b32 s3, s10, s3
	s_cselect_b32 s2, s7, s2
	s_add_i32 s7, s3, 1
	s_cmp_ge_u32 s2, s0
	s_cselect_b32 s0, s7, s3
	s_xor_b32 s0, s0, s1
	s_sub_i32 s2, s0, s1
	s_abs_i32 s10, s2
	v_cvt_f32_u32_e32 v1, s10
	s_load_dwordx2 s[0:1], s[4:5], 0x50
	s_sub_i32 s3, 0, s10
	s_abs_i32 s11, s6
	v_rcp_iflag_f32_e32 v1, v1
	v_mul_f32_e32 v1, 0x4f7ffffe, v1
	v_cvt_u32_f32_e32 v1, v1
	v_readfirstlane_b32 s7, v1
	s_mul_i32 s3, s3, s7
	s_mul_hi_u32 s3, s7, s3
	s_add_i32 s7, s7, s3
	s_waitcnt lgkmcnt(0)
	s_cmp_eq_u64 s[0:1], 0
	s_mul_hi_u32 s12, s11, s7
	s_cbranch_scc1 .LBB340_3
; %bb.2:
	s_ashr_i32 s7, s6, 31
	s_lshl_b64 s[14:15], s[6:7], 2
	s_add_u32 s0, s0, s14
	s_addc_u32 s1, s1, s15
	s_load_dword s38, s[0:1], 0x0
.LBB340_3:
	s_load_dwordx4 s[16:19], s[4:5], 0x58
	s_movk_i32 s0, 0x60
	s_ashr_i32 s13, s6, 31
	s_ashr_i32 s14, s2, 31
	v_and_b32_e32 v2, 7, v0
	s_mul_i32 s24, s6, 0x60
	v_cmp_gt_u32_e64 s[0:1], s0, v0
	v_lshlrev_b32_e32 v1, 1, v0
	s_and_saveexec_b64 s[2:3], s[0:1]
	s_cbranch_execz .LBB340_5
; %bb.4:
	s_load_dwordx2 s[20:21], s[4:5], 0x18
	s_waitcnt lgkmcnt(0)
	s_mul_i32 s22, s28, s16
	s_ashr_i32 s23, s22, 31
	s_lshl_b64 s[22:23], s[22:23], 1
	v_lshrrev_b32_e32 v4, 2, v0
	s_add_u32 s7, s20, s22
	s_addc_u32 s15, s21, s23
	s_ashr_i32 s25, s24, 31
	s_lshl_b64 s[20:21], s[24:25], 1
	s_add_u32 s20, s7, s20
	s_addc_u32 s21, s15, s21
	global_load_ushort v3, v1, s[20:21]
	v_and_b32_e32 v4, 0xfe, v4
	v_mad_u32_u24 v4, v2, 24, v4
	s_waitcnt vmcnt(0)
	ds_write_b16 v4, v3
.LBB340_5:
	s_or_b64 exec, exec, s[2:3]
	s_add_i32 s2, s33, 7
	s_ashr_i32 s3, s2, 31
	s_lshr_b32 s3, s3, 29
	s_add_i32 s2, s2, s3
	s_lshl_b32 s7, s8, 6
	s_mul_i32 s3, s12, s10
	s_ashr_i32 s47, s2, 3
	s_add_i32 s2, s7, 64
	s_sub_i32 s3, s11, s3
	s_min_i32 s46, s2, s47
	s_xor_b32 s2, s13, s14
	s_add_i32 s11, s12, 1
	s_sub_i32 s13, s3, s10
	s_cmp_ge_u32 s3, s10
	s_cselect_b32 s11, s11, s12
	s_cselect_b32 s3, s13, s3
	s_add_i32 s12, s11, 1
	s_cmp_ge_u32 s3, s10
	s_load_dwordx2 s[30:31], s[4:5], 0x38
	s_load_dword s10, s[4:5], 0x48
	v_lshrrev_b32_e32 v16, 6, v0
	s_cselect_b32 s3, s12, s11
	s_xor_b32 s3, s3, s2
	v_or_b32_e32 v10, s7, v16
	s_waitcnt lgkmcnt(0)
	s_mul_i32 s34, s28, s10
	s_sub_i32 s16, s3, s2
	s_ashr_i32 s35, s34, 31
	v_cmp_gt_i32_e64 s[2:3], s46, v10
	v_cmp_le_i32_e32 vcc, s46, v10
	v_mbcnt_lo_u32_b32 v6, -1, 0
	s_barrier
	s_waitcnt lgkmcnt(0)
                                        ; implicit-def: $sgpr19
                                        ; implicit-def: $vgpr3
                                        ; implicit-def: $vgpr13
	s_and_saveexec_b64 s[10:11], vcc
	s_xor_b64 s[10:11], exec, s[10:11]
; %bb.6:
	v_mbcnt_hi_u32_b32 v3, -1, v6
	v_and_b32_e32 v2, 64, v3
	v_add_u32_e32 v13, 64, v2
	s_mov_b32 s19, 0xff7fffff
                                        ; implicit-def: $vgpr2
                                        ; implicit-def: $vgpr6
; %bb.7:
	s_or_saveexec_b64 s[40:41], s[10:11]
	s_load_dwordx4 s[20:23], s[4:5], 0x0
	s_load_dwordx2 s[26:27], s[4:5], 0x10
	s_load_dword s25, s[4:5], 0x98
	s_load_dwordx2 s[36:37], s[4:5], 0x28
	s_load_dwordx4 s[12:15], s[4:5], 0x68
	v_mov_b32_e32 v29, s19
	s_mul_i32 s16, s16, s18
	v_ashrrev_i32_e32 v11, 31, v10
	v_lshlrev_b32_e32 v19, 3, v16
	s_xor_b64 exec, exec, s[40:41]
	s_cbranch_execz .LBB340_133
; %bb.8:
	s_load_dwordx2 s[4:5], s[4:5], 0x20
	v_bfe_u32 v7, v0, 3, 3
	s_ashr_i32 s10, s16, 31
	v_lshlrev_b32_e32 v3, 4, v7
	v_mul_u32_u24_e32 v8, 24, v2
	s_waitcnt lgkmcnt(0)
	s_add_u32 s4, s4, s16
	s_addc_u32 s5, s5, s10
	v_add_co_u32_e32 v4, vcc, s4, v3
	v_mbcnt_hi_u32_b32 v3, -1, v6
	v_mov_b32_e32 v5, s5
	v_and_b32_e32 v6, 64, v3
	v_addc_co_u32_e32 v5, vcc, 0, v5, vcc
	v_add_u32_e32 v13, 64, v6
	v_xor_b32_e32 v6, 4, v3
	v_cmp_lt_i32_e32 vcc, v6, v13
	v_cndmask_b32_e32 v6, v3, v6, vcc
	v_lshlrev_b32_e32 v30, 2, v6
	v_xor_b32_e32 v6, 2, v3
	v_cmp_lt_i32_e32 vcc, v6, v13
	v_cndmask_b32_e32 v6, v3, v6, vcc
	v_lshlrev_b32_e32 v31, 2, v6
	v_xor_b32_e32 v6, 1, v3
	ds_read2_b64 v[22:25], v8 offset1:1
	ds_read_b64 v[8:9], v8 offset:16
	v_cmp_lt_i32_e32 vcc, v6, v13
	v_cndmask_b32_e32 v6, v3, v6, vcc
	v_lshlrev_b32_e32 v32, 2, v6
	s_load_dword s49, s[12:13], 0x0
	s_sub_i32 s50, 1, s33
	v_lshlrev_b32_e32 v6, 2, v7
	s_lshl_b64 s[10:11], s[34:35], 2
	v_lshl_or_b32 v6, v16, 5, v6
	s_add_u32 s10, s30, s10
	v_add3_u32 v33, s29, v19, v7
	v_add_u32_e32 v34, 0xd0, v6
	v_lshlrev_b64 v[6:7], 2, v[10:11]
	s_addc_u32 s11, s31, s11
	s_waitcnt lgkmcnt(0)
	v_lshlrev_b32_e32 v15, 16, v22
	v_and_b32_e32 v17, 0xffff0000, v22
	v_lshlrev_b32_e32 v18, 16, v23
	v_and_b32_e32 v20, 0xffff0000, v23
	;; [unrolled: 2-line block ×5, first 2 shown]
	v_mov_b32_e32 v8, s11
	v_add_co_u32_e64 v6, s[10:11], s10, v6
	s_mov_b32 s48, s17
	v_mov_b32_e32 v14, 0
	v_lshlrev_b32_e32 v27, 16, v9
	v_and_b32_e32 v28, 0xffff0000, v9
	v_cmp_eq_u32_e32 vcc, 0, v2
	v_cmp_neq_f32_e64 s[4:5], s38, 0
	v_addc_co_u32_e64 v7, s[10:11], v8, v7, s[10:11]
	s_mov_b64 s[12:13], 0
	v_mov_b32_e32 v29, 0xff7fffff
	s_movk_i32 s51, 0x80
	s_movk_i32 s52, 0x7f
	s_mov_b32 s53, 0x7f800000
	s_movk_i32 s54, 0x7fff
	v_bfrev_b32_e32 v35, 60
	v_mov_b32_e32 v36, v10
	s_branch .LBB340_10
.LBB340_9:                              ;   in Loop: Header=BB340_10 Depth=1
	s_or_b64 exec, exec, s[18:19]
	v_add_u32_e32 v36, 2, v36
	v_cmp_le_i32_e64 s[10:11], s46, v36
	s_or_b64 s[12:13], s[10:11], s[12:13]
	v_add_co_u32_e64 v6, s[10:11], 8, v6
	v_add_u32_e32 v33, 16, v33
	v_add_u32_e32 v34, 64, v34
	v_addc_co_u32_e64 v7, s[10:11], 0, v7, s[10:11]
	s_andn2_b64 exec, exec, s[12:13]
	s_cbranch_execz .LBB340_132
.LBB340_10:                             ; =>This Inner Loop Header: Depth=1
	global_load_dword v8, v[6:7], off
	v_mov_b32_e32 v38, 0
	s_waitcnt vmcnt(0) lgkmcnt(0)
	v_mad_i64_i32 v[8:9], s[10:11], v8, s48, v[4:5]
	v_add_co_u32_e64 v8, s[10:11], v8, v2
	v_addc_co_u32_e64 v9, s[10:11], 0, v9, s[10:11]
	global_load_ubyte v37, v[8:9], off
	s_waitcnt vmcnt(0)
	v_cmp_ne_u16_e64 s[10:11], 0, v37
	s_and_saveexec_b64 s[18:19], s[10:11]
	s_cbranch_execz .LBB340_16
; %bb.11:                               ;   in Loop: Header=BB340_10 Depth=1
	v_cmp_ne_u16_e64 s[10:11], s51, v37
	v_bfrev_b32_e32 v38, 1
	s_and_saveexec_b64 s[42:43], s[10:11]
	s_cbranch_execz .LBB340_15
; %bb.12:                               ;   in Loop: Header=BB340_10 Depth=1
	v_and_b32_e32 v12, 0xffff, v37
	v_and_b32_e32 v39, 0x7f, v12
	v_cmp_ne_u32_e64 s[10:11], s52, v39
	v_mov_b32_e32 v38, 0x7f800001
	s_and_saveexec_b64 s[44:45], s[10:11]
	s_cbranch_execz .LBB340_14
; %bb.13:                               ;   in Loop: Header=BB340_10 Depth=1
	v_and_b32_e32 v38, 7, v12
	v_ffbh_u32_e32 v40, v38
	v_min_u32_e32 v43, 32, v40
	v_subrev_u32_e32 v40, 28, v43
	v_lshlrev_b64 v[40:41], v40, v[12:13]
	v_lshrrev_b32_e32 v42, 3, v39
	v_sub_u32_e32 v12, 29, v43
	v_and_b32_e32 v40, 7, v40
	v_cmp_gt_u32_e64 s[10:11], 8, v39
	v_cndmask_b32_e64 v12, v42, v12, s[10:11]
	v_cndmask_b32_e64 v38, v38, v40, s[10:11]
	v_lshlrev_b32_e32 v37, 24, v37
	v_lshlrev_b32_e32 v38, 20, v38
	v_and_b32_e32 v37, 0x80000000, v37
	v_lshl_add_u32 v12, v12, 23, v35
	v_or3_b32 v38, v37, v12, v38
.LBB340_14:                             ;   in Loop: Header=BB340_10 Depth=1
	s_or_b64 exec, exec, s[44:45]
.LBB340_15:                             ;   in Loop: Header=BB340_10 Depth=1
	s_or_b64 exec, exec, s[42:43]
.LBB340_16:                             ;   in Loop: Header=BB340_10 Depth=1
	s_or_b64 exec, exec, s[18:19]
	v_mul_f32_e32 v12, s49, v38
	v_and_b32_e32 v37, 0x7f800000, v12
	v_cmp_ne_u32_e64 s[10:11], s53, v37
                                        ; implicit-def: $vgpr37
	s_and_saveexec_b64 s[18:19], s[10:11]
	s_xor_b64 s[10:11], exec, s[18:19]
; %bb.17:                               ;   in Loop: Header=BB340_10 Depth=1
	v_bfe_u32 v37, v12, 16, 1
	v_add3_u32 v37, v12, v37, s54
                                        ; implicit-def: $vgpr12
; %bb.18:                               ;   in Loop: Header=BB340_10 Depth=1
	s_andn2_saveexec_b64 s[18:19], s[10:11]
; %bb.19:                               ;   in Loop: Header=BB340_10 Depth=1
	v_or_b32_e32 v37, 0x10000, v12
	v_cmp_eq_u32_sdwa s[10:11], v12, v14 src0_sel:WORD_0 src1_sel:DWORD
	v_cndmask_b32_e64 v37, v37, v12, s[10:11]
; %bb.20:                               ;   in Loop: Header=BB340_10 Depth=1
	s_or_b64 exec, exec, s[18:19]
	global_load_ubyte v38, v[8:9], off offset:8
	v_mov_b32_e32 v39, 0
	s_waitcnt vmcnt(0)
	v_cmp_ne_u16_e64 s[10:11], 0, v38
	s_and_saveexec_b64 s[18:19], s[10:11]
	s_cbranch_execz .LBB340_26
; %bb.21:                               ;   in Loop: Header=BB340_10 Depth=1
	v_cmp_ne_u16_e64 s[10:11], s51, v38
	v_bfrev_b32_e32 v39, 1
	s_and_saveexec_b64 s[42:43], s[10:11]
	s_cbranch_execz .LBB340_25
; %bb.22:                               ;   in Loop: Header=BB340_10 Depth=1
	v_and_b32_e32 v12, 0xffff, v38
	v_and_b32_e32 v40, 0x7f, v12
	v_cmp_ne_u32_e64 s[10:11], s52, v40
	v_mov_b32_e32 v39, 0x7f800001
	s_and_saveexec_b64 s[44:45], s[10:11]
	s_cbranch_execz .LBB340_24
; %bb.23:                               ;   in Loop: Header=BB340_10 Depth=1
	v_and_b32_e32 v39, 7, v12
	v_ffbh_u32_e32 v42, v39
	v_min_u32_e32 v44, 32, v42
	v_subrev_u32_e32 v42, 28, v44
	v_lshlrev_b64 v[42:43], v42, v[12:13]
	v_lshrrev_b32_e32 v41, 3, v40
	v_sub_u32_e32 v12, 29, v44
	v_and_b32_e32 v42, 7, v42
	v_cmp_gt_u32_e64 s[10:11], 8, v40
	v_cndmask_b32_e64 v12, v41, v12, s[10:11]
	v_cndmask_b32_e64 v39, v39, v42, s[10:11]
	v_lshlrev_b32_e32 v38, 24, v38
	v_lshlrev_b32_e32 v39, 20, v39
	v_and_b32_e32 v38, 0x80000000, v38
	v_lshl_add_u32 v12, v12, 23, v35
	v_or3_b32 v39, v38, v12, v39
.LBB340_24:                             ;   in Loop: Header=BB340_10 Depth=1
	s_or_b64 exec, exec, s[44:45]
.LBB340_25:                             ;   in Loop: Header=BB340_10 Depth=1
	s_or_b64 exec, exec, s[42:43]
.LBB340_26:                             ;   in Loop: Header=BB340_10 Depth=1
	s_or_b64 exec, exec, s[18:19]
	v_mul_f32_e32 v12, s49, v39
	v_and_b32_e32 v38, 0x7f800000, v12
	v_cmp_ne_u32_e64 s[10:11], s53, v38
                                        ; implicit-def: $vgpr38
	s_and_saveexec_b64 s[18:19], s[10:11]
	s_xor_b64 s[10:11], exec, s[18:19]
; %bb.27:                               ;   in Loop: Header=BB340_10 Depth=1
	v_bfe_u32 v38, v12, 16, 1
	v_add3_u32 v38, v12, v38, s54
                                        ; implicit-def: $vgpr12
; %bb.28:                               ;   in Loop: Header=BB340_10 Depth=1
	s_andn2_saveexec_b64 s[18:19], s[10:11]
; %bb.29:                               ;   in Loop: Header=BB340_10 Depth=1
	v_or_b32_e32 v38, 0x10000, v12
	v_cmp_eq_u32_sdwa s[10:11], v12, v14 src0_sel:WORD_0 src1_sel:DWORD
	v_cndmask_b32_e64 v38, v38, v12, s[10:11]
; %bb.30:                               ;   in Loop: Header=BB340_10 Depth=1
	s_or_b64 exec, exec, s[18:19]
	global_load_ubyte v39, v[8:9], off offset:128
	v_mov_b32_e32 v40, 0
	s_waitcnt vmcnt(0)
	v_cmp_ne_u16_e64 s[10:11], 0, v39
	s_and_saveexec_b64 s[18:19], s[10:11]
	s_cbranch_execz .LBB340_36
; %bb.31:                               ;   in Loop: Header=BB340_10 Depth=1
	v_cmp_ne_u16_e64 s[10:11], s51, v39
	v_bfrev_b32_e32 v40, 1
	s_and_saveexec_b64 s[42:43], s[10:11]
	s_cbranch_execz .LBB340_35
; %bb.32:                               ;   in Loop: Header=BB340_10 Depth=1
	v_and_b32_e32 v12, 0xffff, v39
	v_and_b32_e32 v41, 0x7f, v12
	v_cmp_ne_u32_e64 s[10:11], s52, v41
	v_mov_b32_e32 v40, 0x7f800001
	s_and_saveexec_b64 s[44:45], s[10:11]
	s_cbranch_execz .LBB340_34
; %bb.33:                               ;   in Loop: Header=BB340_10 Depth=1
	v_and_b32_e32 v40, 7, v12
	v_ffbh_u32_e32 v42, v40
	v_min_u32_e32 v45, 32, v42
	v_subrev_u32_e32 v42, 28, v45
	v_lshlrev_b64 v[42:43], v42, v[12:13]
	v_lshrrev_b32_e32 v44, 3, v41
	v_sub_u32_e32 v12, 29, v45
	v_and_b32_e32 v42, 7, v42
	v_cmp_gt_u32_e64 s[10:11], 8, v41
	v_cndmask_b32_e64 v12, v44, v12, s[10:11]
	v_cndmask_b32_e64 v40, v40, v42, s[10:11]
	v_lshlrev_b32_e32 v39, 24, v39
	v_lshlrev_b32_e32 v40, 20, v40
	v_and_b32_e32 v39, 0x80000000, v39
	v_lshl_add_u32 v12, v12, 23, v35
	v_or3_b32 v40, v39, v12, v40
.LBB340_34:                             ;   in Loop: Header=BB340_10 Depth=1
	s_or_b64 exec, exec, s[44:45]
.LBB340_35:                             ;   in Loop: Header=BB340_10 Depth=1
	s_or_b64 exec, exec, s[42:43]
.LBB340_36:                             ;   in Loop: Header=BB340_10 Depth=1
	s_or_b64 exec, exec, s[18:19]
	v_mul_f32_e32 v12, s49, v40
	v_and_b32_e32 v39, 0x7f800000, v12
	v_cmp_ne_u32_e64 s[10:11], s53, v39
                                        ; implicit-def: $vgpr39
	s_and_saveexec_b64 s[18:19], s[10:11]
	s_xor_b64 s[10:11], exec, s[18:19]
; %bb.37:                               ;   in Loop: Header=BB340_10 Depth=1
	v_bfe_u32 v39, v12, 16, 1
	v_add3_u32 v39, v12, v39, s54
                                        ; implicit-def: $vgpr12
; %bb.38:                               ;   in Loop: Header=BB340_10 Depth=1
	s_andn2_saveexec_b64 s[18:19], s[10:11]
; %bb.39:                               ;   in Loop: Header=BB340_10 Depth=1
	v_or_b32_e32 v39, 0x10000, v12
	v_cmp_eq_u32_sdwa s[10:11], v12, v14 src0_sel:WORD_0 src1_sel:DWORD
	v_cndmask_b32_e64 v39, v39, v12, s[10:11]
; %bb.40:                               ;   in Loop: Header=BB340_10 Depth=1
	s_or_b64 exec, exec, s[18:19]
	global_load_ubyte v40, v[8:9], off offset:136
	v_mov_b32_e32 v41, 0
	s_waitcnt vmcnt(0)
	v_cmp_ne_u16_e64 s[10:11], 0, v40
	s_and_saveexec_b64 s[18:19], s[10:11]
	s_cbranch_execz .LBB340_46
; %bb.41:                               ;   in Loop: Header=BB340_10 Depth=1
	v_cmp_ne_u16_e64 s[10:11], s51, v40
	v_bfrev_b32_e32 v41, 1
	s_and_saveexec_b64 s[42:43], s[10:11]
	s_cbranch_execz .LBB340_45
; %bb.42:                               ;   in Loop: Header=BB340_10 Depth=1
	v_and_b32_e32 v12, 0xffff, v40
	v_and_b32_e32 v42, 0x7f, v12
	v_cmp_ne_u32_e64 s[10:11], s52, v42
	v_mov_b32_e32 v41, 0x7f800001
	s_and_saveexec_b64 s[44:45], s[10:11]
	s_cbranch_execz .LBB340_44
; %bb.43:                               ;   in Loop: Header=BB340_10 Depth=1
	v_and_b32_e32 v41, 7, v12
	v_ffbh_u32_e32 v44, v41
	v_min_u32_e32 v46, 32, v44
	v_subrev_u32_e32 v44, 28, v46
	v_lshlrev_b64 v[44:45], v44, v[12:13]
	v_lshrrev_b32_e32 v43, 3, v42
	v_sub_u32_e32 v12, 29, v46
	v_and_b32_e32 v44, 7, v44
	v_cmp_gt_u32_e64 s[10:11], 8, v42
	v_cndmask_b32_e64 v12, v43, v12, s[10:11]
	v_cndmask_b32_e64 v41, v41, v44, s[10:11]
	v_lshlrev_b32_e32 v40, 24, v40
	v_lshlrev_b32_e32 v41, 20, v41
	v_and_b32_e32 v40, 0x80000000, v40
	v_lshl_add_u32 v12, v12, 23, v35
	v_or3_b32 v41, v40, v12, v41
.LBB340_44:                             ;   in Loop: Header=BB340_10 Depth=1
	s_or_b64 exec, exec, s[44:45]
.LBB340_45:                             ;   in Loop: Header=BB340_10 Depth=1
	s_or_b64 exec, exec, s[42:43]
.LBB340_46:                             ;   in Loop: Header=BB340_10 Depth=1
	s_or_b64 exec, exec, s[18:19]
	v_mul_f32_e32 v12, s49, v41
	v_and_b32_e32 v40, 0x7f800000, v12
	v_cmp_ne_u32_e64 s[10:11], s53, v40
                                        ; implicit-def: $vgpr40
	s_and_saveexec_b64 s[18:19], s[10:11]
	s_xor_b64 s[10:11], exec, s[18:19]
; %bb.47:                               ;   in Loop: Header=BB340_10 Depth=1
	v_bfe_u32 v40, v12, 16, 1
	v_add3_u32 v40, v12, v40, s54
                                        ; implicit-def: $vgpr12
; %bb.48:                               ;   in Loop: Header=BB340_10 Depth=1
	s_andn2_saveexec_b64 s[18:19], s[10:11]
; %bb.49:                               ;   in Loop: Header=BB340_10 Depth=1
	v_or_b32_e32 v40, 0x10000, v12
	v_cmp_eq_u32_sdwa s[10:11], v12, v14 src0_sel:WORD_0 src1_sel:DWORD
	v_cndmask_b32_e64 v40, v40, v12, s[10:11]
; %bb.50:                               ;   in Loop: Header=BB340_10 Depth=1
	s_or_b64 exec, exec, s[18:19]
	global_load_ubyte v41, v[8:9], off offset:256
	v_mov_b32_e32 v42, 0
	s_waitcnt vmcnt(0)
	v_cmp_ne_u16_e64 s[10:11], 0, v41
	s_and_saveexec_b64 s[18:19], s[10:11]
	s_cbranch_execz .LBB340_56
; %bb.51:                               ;   in Loop: Header=BB340_10 Depth=1
	v_cmp_ne_u16_e64 s[10:11], s51, v41
	v_bfrev_b32_e32 v42, 1
	s_and_saveexec_b64 s[42:43], s[10:11]
	s_cbranch_execz .LBB340_55
; %bb.52:                               ;   in Loop: Header=BB340_10 Depth=1
	v_and_b32_e32 v12, 0xffff, v41
	v_and_b32_e32 v43, 0x7f, v12
	v_cmp_ne_u32_e64 s[10:11], s52, v43
	v_mov_b32_e32 v42, 0x7f800001
	s_and_saveexec_b64 s[44:45], s[10:11]
	s_cbranch_execz .LBB340_54
; %bb.53:                               ;   in Loop: Header=BB340_10 Depth=1
	v_and_b32_e32 v42, 7, v12
	v_ffbh_u32_e32 v44, v42
	v_min_u32_e32 v47, 32, v44
	v_subrev_u32_e32 v44, 28, v47
	v_lshlrev_b64 v[44:45], v44, v[12:13]
	v_lshrrev_b32_e32 v46, 3, v43
	v_sub_u32_e32 v12, 29, v47
	v_and_b32_e32 v44, 7, v44
	v_cmp_gt_u32_e64 s[10:11], 8, v43
	v_cndmask_b32_e64 v12, v46, v12, s[10:11]
	v_cndmask_b32_e64 v42, v42, v44, s[10:11]
	v_lshlrev_b32_e32 v41, 24, v41
	v_lshlrev_b32_e32 v42, 20, v42
	v_and_b32_e32 v41, 0x80000000, v41
	v_lshl_add_u32 v12, v12, 23, v35
	v_or3_b32 v42, v41, v12, v42
.LBB340_54:                             ;   in Loop: Header=BB340_10 Depth=1
	s_or_b64 exec, exec, s[44:45]
.LBB340_55:                             ;   in Loop: Header=BB340_10 Depth=1
	s_or_b64 exec, exec, s[42:43]
.LBB340_56:                             ;   in Loop: Header=BB340_10 Depth=1
	s_or_b64 exec, exec, s[18:19]
	v_mul_f32_e32 v12, s49, v42
	v_and_b32_e32 v41, 0x7f800000, v12
	v_cmp_ne_u32_e64 s[10:11], s53, v41
                                        ; implicit-def: $vgpr41
	s_and_saveexec_b64 s[18:19], s[10:11]
	s_xor_b64 s[10:11], exec, s[18:19]
; %bb.57:                               ;   in Loop: Header=BB340_10 Depth=1
	v_bfe_u32 v41, v12, 16, 1
	v_add3_u32 v41, v12, v41, s54
                                        ; implicit-def: $vgpr12
; %bb.58:                               ;   in Loop: Header=BB340_10 Depth=1
	s_andn2_saveexec_b64 s[18:19], s[10:11]
; %bb.59:                               ;   in Loop: Header=BB340_10 Depth=1
	v_or_b32_e32 v41, 0x10000, v12
	v_cmp_eq_u32_sdwa s[10:11], v12, v14 src0_sel:WORD_0 src1_sel:DWORD
	v_cndmask_b32_e64 v41, v41, v12, s[10:11]
; %bb.60:                               ;   in Loop: Header=BB340_10 Depth=1
	s_or_b64 exec, exec, s[18:19]
	global_load_ubyte v42, v[8:9], off offset:264
	v_mov_b32_e32 v43, 0
	s_waitcnt vmcnt(0)
	v_cmp_ne_u16_e64 s[10:11], 0, v42
	s_and_saveexec_b64 s[18:19], s[10:11]
	s_cbranch_execz .LBB340_66
; %bb.61:                               ;   in Loop: Header=BB340_10 Depth=1
	v_cmp_ne_u16_e64 s[10:11], s51, v42
	v_bfrev_b32_e32 v43, 1
	s_and_saveexec_b64 s[42:43], s[10:11]
	s_cbranch_execz .LBB340_65
; %bb.62:                               ;   in Loop: Header=BB340_10 Depth=1
	v_and_b32_e32 v12, 0xffff, v42
	v_and_b32_e32 v44, 0x7f, v12
	v_cmp_ne_u32_e64 s[10:11], s52, v44
	v_mov_b32_e32 v43, 0x7f800001
	s_and_saveexec_b64 s[44:45], s[10:11]
	s_cbranch_execz .LBB340_64
; %bb.63:                               ;   in Loop: Header=BB340_10 Depth=1
	v_and_b32_e32 v43, 7, v12
	v_ffbh_u32_e32 v46, v43
	v_min_u32_e32 v48, 32, v46
	v_subrev_u32_e32 v46, 28, v48
	v_lshlrev_b64 v[46:47], v46, v[12:13]
	v_lshrrev_b32_e32 v45, 3, v44
	v_sub_u32_e32 v12, 29, v48
	v_and_b32_e32 v46, 7, v46
	v_cmp_gt_u32_e64 s[10:11], 8, v44
	v_cndmask_b32_e64 v12, v45, v12, s[10:11]
	v_cndmask_b32_e64 v43, v43, v46, s[10:11]
	v_lshlrev_b32_e32 v42, 24, v42
	v_lshlrev_b32_e32 v43, 20, v43
	v_and_b32_e32 v42, 0x80000000, v42
	v_lshl_add_u32 v12, v12, 23, v35
	v_or3_b32 v43, v42, v12, v43
.LBB340_64:                             ;   in Loop: Header=BB340_10 Depth=1
	s_or_b64 exec, exec, s[44:45]
.LBB340_65:                             ;   in Loop: Header=BB340_10 Depth=1
	s_or_b64 exec, exec, s[42:43]
.LBB340_66:                             ;   in Loop: Header=BB340_10 Depth=1
	s_or_b64 exec, exec, s[18:19]
	v_mul_f32_e32 v12, s49, v43
	v_and_b32_e32 v42, 0x7f800000, v12
	v_cmp_ne_u32_e64 s[10:11], s53, v42
                                        ; implicit-def: $vgpr42
	s_and_saveexec_b64 s[18:19], s[10:11]
	s_xor_b64 s[10:11], exec, s[18:19]
; %bb.67:                               ;   in Loop: Header=BB340_10 Depth=1
	v_bfe_u32 v42, v12, 16, 1
	v_add3_u32 v42, v12, v42, s54
                                        ; implicit-def: $vgpr12
; %bb.68:                               ;   in Loop: Header=BB340_10 Depth=1
	s_andn2_saveexec_b64 s[18:19], s[10:11]
; %bb.69:                               ;   in Loop: Header=BB340_10 Depth=1
	v_or_b32_e32 v42, 0x10000, v12
	v_cmp_eq_u32_sdwa s[10:11], v12, v14 src0_sel:WORD_0 src1_sel:DWORD
	v_cndmask_b32_e64 v42, v42, v12, s[10:11]
; %bb.70:                               ;   in Loop: Header=BB340_10 Depth=1
	s_or_b64 exec, exec, s[18:19]
	global_load_ubyte v43, v[8:9], off offset:384
	v_mov_b32_e32 v44, 0
	s_waitcnt vmcnt(0)
	v_cmp_ne_u16_e64 s[10:11], 0, v43
	s_and_saveexec_b64 s[18:19], s[10:11]
	s_cbranch_execz .LBB340_76
; %bb.71:                               ;   in Loop: Header=BB340_10 Depth=1
	v_cmp_ne_u16_e64 s[10:11], s51, v43
	v_bfrev_b32_e32 v44, 1
	s_and_saveexec_b64 s[42:43], s[10:11]
	s_cbranch_execz .LBB340_75
; %bb.72:                               ;   in Loop: Header=BB340_10 Depth=1
	v_and_b32_e32 v12, 0xffff, v43
	v_and_b32_e32 v45, 0x7f, v12
	v_cmp_ne_u32_e64 s[10:11], s52, v45
	v_mov_b32_e32 v44, 0x7f800001
	s_and_saveexec_b64 s[44:45], s[10:11]
	s_cbranch_execz .LBB340_74
; %bb.73:                               ;   in Loop: Header=BB340_10 Depth=1
	v_and_b32_e32 v44, 7, v12
	v_ffbh_u32_e32 v46, v44
	v_min_u32_e32 v49, 32, v46
	v_subrev_u32_e32 v46, 28, v49
	v_lshlrev_b64 v[46:47], v46, v[12:13]
	v_lshrrev_b32_e32 v48, 3, v45
	v_sub_u32_e32 v12, 29, v49
	v_and_b32_e32 v46, 7, v46
	v_cmp_gt_u32_e64 s[10:11], 8, v45
	v_cndmask_b32_e64 v12, v48, v12, s[10:11]
	v_cndmask_b32_e64 v44, v44, v46, s[10:11]
	v_lshlrev_b32_e32 v43, 24, v43
	v_lshlrev_b32_e32 v44, 20, v44
	v_and_b32_e32 v43, 0x80000000, v43
	v_lshl_add_u32 v12, v12, 23, v35
	v_or3_b32 v44, v43, v12, v44
.LBB340_74:                             ;   in Loop: Header=BB340_10 Depth=1
	s_or_b64 exec, exec, s[44:45]
.LBB340_75:                             ;   in Loop: Header=BB340_10 Depth=1
	s_or_b64 exec, exec, s[42:43]
.LBB340_76:                             ;   in Loop: Header=BB340_10 Depth=1
	s_or_b64 exec, exec, s[18:19]
	v_mul_f32_e32 v12, s49, v44
	v_and_b32_e32 v43, 0x7f800000, v12
	v_cmp_ne_u32_e64 s[10:11], s53, v43
                                        ; implicit-def: $vgpr43
	s_and_saveexec_b64 s[18:19], s[10:11]
	s_xor_b64 s[10:11], exec, s[18:19]
; %bb.77:                               ;   in Loop: Header=BB340_10 Depth=1
	v_bfe_u32 v43, v12, 16, 1
	v_add3_u32 v43, v12, v43, s54
                                        ; implicit-def: $vgpr12
; %bb.78:                               ;   in Loop: Header=BB340_10 Depth=1
	s_andn2_saveexec_b64 s[18:19], s[10:11]
; %bb.79:                               ;   in Loop: Header=BB340_10 Depth=1
	v_or_b32_e32 v43, 0x10000, v12
	v_cmp_eq_u32_sdwa s[10:11], v12, v14 src0_sel:WORD_0 src1_sel:DWORD
	v_cndmask_b32_e64 v43, v43, v12, s[10:11]
; %bb.80:                               ;   in Loop: Header=BB340_10 Depth=1
	s_or_b64 exec, exec, s[18:19]
	global_load_ubyte v44, v[8:9], off offset:392
	v_mov_b32_e32 v45, 0
	s_waitcnt vmcnt(0)
	v_cmp_ne_u16_e64 s[10:11], 0, v44
	s_and_saveexec_b64 s[18:19], s[10:11]
	s_cbranch_execz .LBB340_86
; %bb.81:                               ;   in Loop: Header=BB340_10 Depth=1
	v_cmp_ne_u16_e64 s[10:11], s51, v44
	v_bfrev_b32_e32 v45, 1
	s_and_saveexec_b64 s[42:43], s[10:11]
	s_cbranch_execz .LBB340_85
; %bb.82:                               ;   in Loop: Header=BB340_10 Depth=1
	v_and_b32_e32 v12, 0xffff, v44
	v_and_b32_e32 v46, 0x7f, v12
	v_cmp_ne_u32_e64 s[10:11], s52, v46
	v_mov_b32_e32 v45, 0x7f800001
	s_and_saveexec_b64 s[44:45], s[10:11]
	s_cbranch_execz .LBB340_84
; %bb.83:                               ;   in Loop: Header=BB340_10 Depth=1
	v_and_b32_e32 v45, 7, v12
	v_ffbh_u32_e32 v48, v45
	v_min_u32_e32 v50, 32, v48
	v_subrev_u32_e32 v48, 28, v50
	v_lshlrev_b64 v[48:49], v48, v[12:13]
	v_lshrrev_b32_e32 v47, 3, v46
	v_sub_u32_e32 v12, 29, v50
	v_and_b32_e32 v48, 7, v48
	v_cmp_gt_u32_e64 s[10:11], 8, v46
	v_cndmask_b32_e64 v12, v47, v12, s[10:11]
	v_cndmask_b32_e64 v45, v45, v48, s[10:11]
	v_lshlrev_b32_e32 v44, 24, v44
	v_lshlrev_b32_e32 v45, 20, v45
	v_and_b32_e32 v44, 0x80000000, v44
	v_lshl_add_u32 v12, v12, 23, v35
	v_or3_b32 v45, v44, v12, v45
.LBB340_84:                             ;   in Loop: Header=BB340_10 Depth=1
	s_or_b64 exec, exec, s[44:45]
.LBB340_85:                             ;   in Loop: Header=BB340_10 Depth=1
	s_or_b64 exec, exec, s[42:43]
.LBB340_86:                             ;   in Loop: Header=BB340_10 Depth=1
	s_or_b64 exec, exec, s[18:19]
	v_mul_f32_e32 v12, s49, v45
	v_and_b32_e32 v44, 0x7f800000, v12
	v_cmp_ne_u32_e64 s[10:11], s53, v44
                                        ; implicit-def: $vgpr44
	s_and_saveexec_b64 s[18:19], s[10:11]
	s_xor_b64 s[10:11], exec, s[18:19]
; %bb.87:                               ;   in Loop: Header=BB340_10 Depth=1
	v_bfe_u32 v44, v12, 16, 1
	v_add3_u32 v44, v12, v44, s54
                                        ; implicit-def: $vgpr12
; %bb.88:                               ;   in Loop: Header=BB340_10 Depth=1
	s_andn2_saveexec_b64 s[18:19], s[10:11]
; %bb.89:                               ;   in Loop: Header=BB340_10 Depth=1
	v_or_b32_e32 v44, 0x10000, v12
	v_cmp_eq_u32_sdwa s[10:11], v12, v14 src0_sel:WORD_0 src1_sel:DWORD
	v_cndmask_b32_e64 v44, v44, v12, s[10:11]
; %bb.90:                               ;   in Loop: Header=BB340_10 Depth=1
	s_or_b64 exec, exec, s[18:19]
	global_load_ubyte v45, v[8:9], off offset:512
	v_mov_b32_e32 v46, 0
	s_waitcnt vmcnt(0)
	v_cmp_ne_u16_e64 s[10:11], 0, v45
	s_and_saveexec_b64 s[18:19], s[10:11]
	s_cbranch_execz .LBB340_96
; %bb.91:                               ;   in Loop: Header=BB340_10 Depth=1
	v_cmp_ne_u16_e64 s[10:11], s51, v45
	v_bfrev_b32_e32 v46, 1
	s_and_saveexec_b64 s[42:43], s[10:11]
	s_cbranch_execz .LBB340_95
; %bb.92:                               ;   in Loop: Header=BB340_10 Depth=1
	v_and_b32_e32 v12, 0xffff, v45
	v_and_b32_e32 v47, 0x7f, v12
	v_cmp_ne_u32_e64 s[10:11], s52, v47
	v_mov_b32_e32 v46, 0x7f800001
	s_and_saveexec_b64 s[44:45], s[10:11]
	s_cbranch_execz .LBB340_94
; %bb.93:                               ;   in Loop: Header=BB340_10 Depth=1
	v_and_b32_e32 v46, 7, v12
	v_ffbh_u32_e32 v48, v46
	v_min_u32_e32 v51, 32, v48
	v_subrev_u32_e32 v48, 28, v51
	v_lshlrev_b64 v[48:49], v48, v[12:13]
	v_lshrrev_b32_e32 v50, 3, v47
	v_sub_u32_e32 v12, 29, v51
	v_and_b32_e32 v48, 7, v48
	v_cmp_gt_u32_e64 s[10:11], 8, v47
	v_cndmask_b32_e64 v12, v50, v12, s[10:11]
	v_cndmask_b32_e64 v46, v46, v48, s[10:11]
	v_lshlrev_b32_e32 v45, 24, v45
	v_lshlrev_b32_e32 v46, 20, v46
	v_and_b32_e32 v45, 0x80000000, v45
	v_lshl_add_u32 v12, v12, 23, v35
	v_or3_b32 v46, v45, v12, v46
.LBB340_94:                             ;   in Loop: Header=BB340_10 Depth=1
	s_or_b64 exec, exec, s[44:45]
.LBB340_95:                             ;   in Loop: Header=BB340_10 Depth=1
	s_or_b64 exec, exec, s[42:43]
.LBB340_96:                             ;   in Loop: Header=BB340_10 Depth=1
	s_or_b64 exec, exec, s[18:19]
	v_mul_f32_e32 v12, s49, v46
	v_and_b32_e32 v45, 0x7f800000, v12
	v_cmp_ne_u32_e64 s[10:11], s53, v45
                                        ; implicit-def: $vgpr45
	s_and_saveexec_b64 s[18:19], s[10:11]
	s_xor_b64 s[10:11], exec, s[18:19]
; %bb.97:                               ;   in Loop: Header=BB340_10 Depth=1
	v_bfe_u32 v45, v12, 16, 1
	v_add3_u32 v45, v12, v45, s54
                                        ; implicit-def: $vgpr12
; %bb.98:                               ;   in Loop: Header=BB340_10 Depth=1
	s_andn2_saveexec_b64 s[18:19], s[10:11]
; %bb.99:                               ;   in Loop: Header=BB340_10 Depth=1
	v_or_b32_e32 v45, 0x10000, v12
	v_cmp_eq_u32_sdwa s[10:11], v12, v14 src0_sel:WORD_0 src1_sel:DWORD
	v_cndmask_b32_e64 v45, v45, v12, s[10:11]
; %bb.100:                              ;   in Loop: Header=BB340_10 Depth=1
	s_or_b64 exec, exec, s[18:19]
	global_load_ubyte v46, v[8:9], off offset:520
	v_mov_b32_e32 v47, 0
	s_waitcnt vmcnt(0)
	v_cmp_ne_u16_e64 s[10:11], 0, v46
	s_and_saveexec_b64 s[18:19], s[10:11]
	s_cbranch_execz .LBB340_106
; %bb.101:                              ;   in Loop: Header=BB340_10 Depth=1
	v_cmp_ne_u16_e64 s[10:11], s51, v46
	v_bfrev_b32_e32 v47, 1
	s_and_saveexec_b64 s[42:43], s[10:11]
	s_cbranch_execz .LBB340_105
; %bb.102:                              ;   in Loop: Header=BB340_10 Depth=1
	v_and_b32_e32 v12, 0xffff, v46
	v_and_b32_e32 v48, 0x7f, v12
	v_cmp_ne_u32_e64 s[10:11], s52, v48
	v_mov_b32_e32 v47, 0x7f800001
	s_and_saveexec_b64 s[44:45], s[10:11]
	s_cbranch_execz .LBB340_104
; %bb.103:                              ;   in Loop: Header=BB340_10 Depth=1
	v_and_b32_e32 v47, 7, v12
	v_ffbh_u32_e32 v50, v47
	v_min_u32_e32 v52, 32, v50
	v_subrev_u32_e32 v50, 28, v52
	v_lshlrev_b64 v[50:51], v50, v[12:13]
	v_lshrrev_b32_e32 v49, 3, v48
	v_sub_u32_e32 v12, 29, v52
	v_and_b32_e32 v50, 7, v50
	v_cmp_gt_u32_e64 s[10:11], 8, v48
	v_cndmask_b32_e64 v12, v49, v12, s[10:11]
	v_cndmask_b32_e64 v47, v47, v50, s[10:11]
	v_lshlrev_b32_e32 v46, 24, v46
	v_lshlrev_b32_e32 v47, 20, v47
	v_and_b32_e32 v46, 0x80000000, v46
	v_lshl_add_u32 v12, v12, 23, v35
	v_or3_b32 v47, v46, v12, v47
.LBB340_104:                            ;   in Loop: Header=BB340_10 Depth=1
	s_or_b64 exec, exec, s[44:45]
.LBB340_105:                            ;   in Loop: Header=BB340_10 Depth=1
	s_or_b64 exec, exec, s[42:43]
.LBB340_106:                            ;   in Loop: Header=BB340_10 Depth=1
	s_or_b64 exec, exec, s[18:19]
	v_mul_f32_e32 v12, s49, v47
	v_and_b32_e32 v46, 0x7f800000, v12
	v_cmp_ne_u32_e64 s[10:11], s53, v46
                                        ; implicit-def: $vgpr46
	s_and_saveexec_b64 s[18:19], s[10:11]
	s_xor_b64 s[10:11], exec, s[18:19]
; %bb.107:                              ;   in Loop: Header=BB340_10 Depth=1
	v_bfe_u32 v46, v12, 16, 1
	v_add3_u32 v46, v12, v46, s54
                                        ; implicit-def: $vgpr12
; %bb.108:                              ;   in Loop: Header=BB340_10 Depth=1
	s_andn2_saveexec_b64 s[18:19], s[10:11]
; %bb.109:                              ;   in Loop: Header=BB340_10 Depth=1
	v_or_b32_e32 v46, 0x10000, v12
	v_cmp_eq_u32_sdwa s[10:11], v12, v14 src0_sel:WORD_0 src1_sel:DWORD
	v_cndmask_b32_e64 v46, v46, v12, s[10:11]
; %bb.110:                              ;   in Loop: Header=BB340_10 Depth=1
	s_or_b64 exec, exec, s[18:19]
	global_load_ubyte v47, v[8:9], off offset:640
	v_mov_b32_e32 v48, 0
	s_waitcnt vmcnt(0)
	v_cmp_ne_u16_e64 s[10:11], 0, v47
	s_and_saveexec_b64 s[18:19], s[10:11]
	s_cbranch_execz .LBB340_116
; %bb.111:                              ;   in Loop: Header=BB340_10 Depth=1
	v_cmp_ne_u16_e64 s[10:11], s51, v47
	v_bfrev_b32_e32 v48, 1
	s_and_saveexec_b64 s[42:43], s[10:11]
	s_cbranch_execz .LBB340_115
; %bb.112:                              ;   in Loop: Header=BB340_10 Depth=1
	v_and_b32_e32 v12, 0xffff, v47
	v_and_b32_e32 v49, 0x7f, v12
	v_cmp_ne_u32_e64 s[10:11], s52, v49
	v_mov_b32_e32 v48, 0x7f800001
	s_and_saveexec_b64 s[44:45], s[10:11]
	s_cbranch_execz .LBB340_114
; %bb.113:                              ;   in Loop: Header=BB340_10 Depth=1
	v_and_b32_e32 v48, 7, v12
	v_ffbh_u32_e32 v50, v48
	v_min_u32_e32 v53, 32, v50
	v_subrev_u32_e32 v50, 28, v53
	v_lshlrev_b64 v[50:51], v50, v[12:13]
	v_lshrrev_b32_e32 v52, 3, v49
	v_sub_u32_e32 v12, 29, v53
	v_and_b32_e32 v50, 7, v50
	v_cmp_gt_u32_e64 s[10:11], 8, v49
	v_cndmask_b32_e64 v12, v52, v12, s[10:11]
	v_cndmask_b32_e64 v48, v48, v50, s[10:11]
	v_lshlrev_b32_e32 v47, 24, v47
	v_lshlrev_b32_e32 v48, 20, v48
	v_and_b32_e32 v47, 0x80000000, v47
	v_lshl_add_u32 v12, v12, 23, v35
	v_or3_b32 v48, v47, v12, v48
.LBB340_114:                            ;   in Loop: Header=BB340_10 Depth=1
	s_or_b64 exec, exec, s[44:45]
.LBB340_115:                            ;   in Loop: Header=BB340_10 Depth=1
	s_or_b64 exec, exec, s[42:43]
.LBB340_116:                            ;   in Loop: Header=BB340_10 Depth=1
	s_or_b64 exec, exec, s[18:19]
	v_mul_f32_e32 v47, s49, v48
	v_and_b32_e32 v12, 0x7f800000, v47
	v_cmp_ne_u32_e64 s[10:11], s53, v12
                                        ; implicit-def: $vgpr12
	s_and_saveexec_b64 s[18:19], s[10:11]
	s_xor_b64 s[10:11], exec, s[18:19]
; %bb.117:                              ;   in Loop: Header=BB340_10 Depth=1
	v_bfe_u32 v12, v47, 16, 1
	v_add3_u32 v12, v47, v12, s54
                                        ; implicit-def: $vgpr47
; %bb.118:                              ;   in Loop: Header=BB340_10 Depth=1
	s_andn2_saveexec_b64 s[18:19], s[10:11]
; %bb.119:                              ;   in Loop: Header=BB340_10 Depth=1
	v_or_b32_e32 v12, 0x10000, v47
	v_cmp_eq_u32_sdwa s[10:11], v47, v14 src0_sel:WORD_0 src1_sel:DWORD
	v_cndmask_b32_e64 v12, v12, v47, s[10:11]
; %bb.120:                              ;   in Loop: Header=BB340_10 Depth=1
	s_or_b64 exec, exec, s[18:19]
	global_load_ubyte v9, v[8:9], off offset:648
	v_mov_b32_e32 v47, 0
	s_waitcnt vmcnt(0)
	v_cmp_ne_u16_e64 s[10:11], 0, v9
	s_and_saveexec_b64 s[18:19], s[10:11]
	s_cbranch_execz .LBB340_126
; %bb.121:                              ;   in Loop: Header=BB340_10 Depth=1
	v_cmp_ne_u16_e64 s[10:11], s51, v9
	v_bfrev_b32_e32 v47, 1
	s_and_saveexec_b64 s[42:43], s[10:11]
	s_cbranch_execz .LBB340_125
; %bb.122:                              ;   in Loop: Header=BB340_10 Depth=1
	v_and_b32_e32 v8, 0xffff, v9
	v_and_b32_e32 v48, 0x7f, v8
	v_cmp_ne_u32_e64 s[10:11], s52, v48
	v_mov_b32_e32 v47, 0x7f800001
	s_and_saveexec_b64 s[44:45], s[10:11]
	s_cbranch_execz .LBB340_124
; %bb.123:                              ;   in Loop: Header=BB340_10 Depth=1
	v_and_b32_e32 v47, 7, v8
	v_ffbh_u32_e32 v50, v47
	v_min_u32_e32 v52, 32, v50
	v_subrev_u32_e32 v50, 28, v52
	v_lshlrev_b64 v[50:51], v50, v[8:9]
	v_lshrrev_b32_e32 v49, 3, v48
	v_sub_u32_e32 v8, 29, v52
	v_and_b32_e32 v50, 7, v50
	v_cmp_gt_u32_e64 s[10:11], 8, v48
	v_cndmask_b32_e64 v8, v49, v8, s[10:11]
	v_cndmask_b32_e64 v47, v47, v50, s[10:11]
	v_lshlrev_b32_e32 v9, 24, v9
	v_lshlrev_b32_e32 v47, 20, v47
	v_and_b32_e32 v9, 0x80000000, v9
	v_lshl_add_u32 v8, v8, 23, v35
	v_or3_b32 v47, v9, v8, v47
.LBB340_124:                            ;   in Loop: Header=BB340_10 Depth=1
	s_or_b64 exec, exec, s[44:45]
.LBB340_125:                            ;   in Loop: Header=BB340_10 Depth=1
	s_or_b64 exec, exec, s[42:43]
.LBB340_126:                            ;   in Loop: Header=BB340_10 Depth=1
	s_or_b64 exec, exec, s[18:19]
	v_mul_f32_e32 v9, s49, v47
	v_and_b32_e32 v8, 0x7f800000, v9
	v_cmp_ne_u32_e64 s[10:11], s53, v8
                                        ; implicit-def: $vgpr8
	s_and_saveexec_b64 s[18:19], s[10:11]
	s_xor_b64 s[10:11], exec, s[18:19]
; %bb.127:                              ;   in Loop: Header=BB340_10 Depth=1
	v_bfe_u32 v8, v9, 16, 1
	v_add3_u32 v8, v9, v8, s54
                                        ; implicit-def: $vgpr9
; %bb.128:                              ;   in Loop: Header=BB340_10 Depth=1
	s_andn2_saveexec_b64 s[18:19], s[10:11]
; %bb.129:                              ;   in Loop: Header=BB340_10 Depth=1
	v_or_b32_e32 v8, 0x10000, v9
	v_cmp_eq_u32_sdwa s[10:11], v9, v14 src0_sel:WORD_0 src1_sel:DWORD
	v_cndmask_b32_e64 v8, v8, v9, s[10:11]
; %bb.130:                              ;   in Loop: Header=BB340_10 Depth=1
	s_or_b64 exec, exec, s[18:19]
	v_and_b32_e32 v38, 0xffff0000, v38
	v_and_b32_e32 v37, 0xffff0000, v37
	v_mul_f32_e32 v38, v17, v38
	v_and_b32_e32 v39, 0xffff0000, v39
	v_fmac_f32_e32 v38, v15, v37
	v_and_b32_e32 v40, 0xffff0000, v40
	v_fmac_f32_e32 v38, v18, v39
	;; [unrolled: 2-line block ×7, first 2 shown]
	v_and_b32_e32 v9, 0xffff0000, v12
	v_and_b32_e32 v12, 0xffff0000, v46
	v_fmac_f32_e32 v38, v25, v45
	v_fmac_f32_e32 v38, v26, v12
	v_and_b32_e32 v8, 0xffff0000, v8
	v_fmac_f32_e32 v38, v27, v9
	v_fmac_f32_e32 v38, v28, v8
	ds_bpermute_b32 v8, v30, v38
	s_waitcnt lgkmcnt(0)
	v_add_f32_e32 v8, v38, v8
	ds_bpermute_b32 v9, v31, v8
	s_waitcnt lgkmcnt(0)
	v_add_f32_e32 v8, v8, v9
	ds_bpermute_b32 v9, v32, v8
	s_and_saveexec_b64 s[18:19], vcc
	s_cbranch_execz .LBB340_9
; %bb.131:                              ;   in Loop: Header=BB340_10 Depth=1
	v_add_u32_e32 v12, s50, v33
	v_cvt_f32_i32_e32 v12, v12
	s_waitcnt lgkmcnt(0)
	v_add_f32_e32 v8, v8, v9
	v_cmp_gt_i32_e64 s[10:11], s33, v33
	v_max_f32_e32 v9, v29, v29
	v_mul_f32_e32 v12, s38, v12
	v_cndmask_b32_e64 v12, 0, v12, s[4:5]
	v_fmac_f32_e32 v12, s39, v8
	v_cndmask_b32_e64 v8, 0, v12, s[10:11]
	ds_write_b32 v34, v8
	v_max_f32_e32 v8, v9, v12
	v_cndmask_b32_e64 v29, v29, v8, s[10:11]
	s_branch .LBB340_9
.LBB340_132:
	s_or_b64 exec, exec, s[12:13]
.LBB340_133:
	s_or_b64 exec, exec, s[40:41]
	v_xor_b32_e32 v2, 32, v3
	v_cmp_lt_i32_e32 vcc, v2, v13
	v_cndmask_b32_e32 v2, v3, v2, vcc
	v_lshlrev_b32_e32 v5, 2, v2
	ds_bpermute_b32 v2, v5, v29
	v_xor_b32_e32 v6, 16, v3
	v_max_f32_e32 v4, v29, v29
	v_cmp_lt_i32_e32 vcc, v6, v13
	v_and_b32_e32 v15, 63, v0
	s_waitcnt lgkmcnt(0)
	v_max_f32_e32 v2, v2, v2
	v_max_f32_e32 v2, v4, v2
	v_cndmask_b32_e32 v4, v3, v6, vcc
	v_lshlrev_b32_e32 v7, 2, v4
	ds_bpermute_b32 v4, v7, v2
	v_xor_b32_e32 v6, 8, v3
	v_cmp_lt_i32_e32 vcc, v6, v13
	s_waitcnt lgkmcnt(0)
	v_max_f32_e32 v4, v4, v4
	v_max_f32_e32 v4, v2, v4
	v_cndmask_b32_e32 v2, v3, v6, vcc
	v_lshlrev_b32_e32 v8, 2, v2
	ds_bpermute_b32 v6, v8, v4
	v_cmp_eq_u32_e32 vcc, 0, v15
	v_lshlrev_b32_e32 v2, 2, v16
	s_and_saveexec_b64 s[4:5], vcc
	s_cbranch_execz .LBB340_135
; %bb.134:
	s_waitcnt lgkmcnt(0)
	v_max_f32_e32 v6, v6, v6
	v_max_f32_e32 v4, v4, v4
	;; [unrolled: 1-line block ×3, first 2 shown]
	ds_write_b32 v2, v4 offset:192
.LBB340_135:
	s_or_b64 exec, exec, s[4:5]
	v_cmp_gt_u32_e64 s[4:5], 2, v15
	v_mov_b32_e32 v4, 0xff7fffff
	s_waitcnt lgkmcnt(0)
	v_lshlrev_b32_e32 v6, 2, v15
	s_barrier
	s_and_saveexec_b64 s[10:11], s[4:5]
	s_cbranch_execz .LBB340_137
; %bb.136:
	ds_read_b32 v4, v6 offset:192
.LBB340_137:
	s_or_b64 exec, exec, s[10:11]
	v_xor_b32_e32 v9, 1, v3
	v_cmp_lt_i32_e64 s[10:11], v9, v13
	v_cndmask_b32_e64 v9, v3, v9, s[10:11]
	v_lshlrev_b32_e32 v9, 2, v9
	s_waitcnt lgkmcnt(0)
	ds_bpermute_b32 v12, v9, v4
	v_max_f32_e32 v4, v4, v4
	s_sub_i32 s7, s46, s7
	s_lshl_b32 s7, s7, 3
	s_add_i32 s7, s7, s29
	s_waitcnt lgkmcnt(0)
	v_max_f32_e32 v12, v12, v12
	v_max_f32_e32 v4, v4, v12
	v_lshlrev_b32_e32 v12, 2, v3
	v_and_b32_e32 v12, 0xffffff00, v12
	ds_bpermute_b32 v4, v12, v4
	s_min_i32 s40, s7, s33
	s_sub_i32 s7, s40, s29
	v_cmp_gt_i32_e64 s[10:11], s7, v0
	v_mov_b32_e32 v14, 0
	s_and_saveexec_b64 s[18:19], s[10:11]
	s_cbranch_execz .LBB340_141
; %bb.138:
	v_mov_b32_e32 v14, 0xd0
	v_lshl_add_u32 v17, v0, 2, v14
	s_mov_b64 s[38:39], 0
	v_mov_b32_e32 v14, 0
	v_mov_b32_e32 v18, v0
.LBB340_139:                            ; =>This Inner Loop Header: Depth=1
	ds_read_b32 v20, v17
	v_add_u32_e32 v18, 0x80, v18
	v_cmp_le_i32_e64 s[12:13], s7, v18
	s_or_b64 s[38:39], s[12:13], s[38:39]
	s_waitcnt lgkmcnt(0)
	v_sub_f32_e32 v20, v20, v4
	v_mul_f32_e32 v20, 0x3fb8aa3b, v20
	v_exp_f32_e32 v20, v20
	ds_write_b32 v17, v20
	v_add_f32_e32 v14, v14, v20
	v_add_u32_e32 v17, 0x200, v17
	s_andn2_b64 exec, exec, s[38:39]
	s_cbranch_execnz .LBB340_139
; %bb.140:
	s_or_b64 exec, exec, s[38:39]
.LBB340_141:
	s_or_b64 exec, exec, s[18:19]
	ds_bpermute_b32 v5, v5, v14
	s_waitcnt lgkmcnt(0)
	v_add_f32_e32 v5, v14, v5
	ds_bpermute_b32 v7, v7, v5
	s_waitcnt lgkmcnt(0)
	v_add_f32_e32 v5, v5, v7
	ds_bpermute_b32 v7, v8, v5
	v_xor_b32_e32 v8, 4, v3
	v_cmp_lt_i32_e64 s[12:13], v8, v13
	v_cndmask_b32_e64 v8, v3, v8, s[12:13]
	v_lshlrev_b32_e32 v8, 2, v8
	s_waitcnt lgkmcnt(0)
	v_add_f32_e32 v5, v5, v7
	ds_bpermute_b32 v7, v8, v5
	v_xor_b32_e32 v8, 2, v3
	v_cmp_lt_i32_e64 s[12:13], v8, v13
	v_cndmask_b32_e64 v3, v3, v8, s[12:13]
	v_lshlrev_b32_e32 v3, 2, v3
	s_waitcnt lgkmcnt(0)
	v_add_f32_e32 v5, v5, v7
	ds_bpermute_b32 v3, v3, v5
	s_waitcnt lgkmcnt(0)
	v_add_f32_e32 v3, v5, v3
	ds_bpermute_b32 v5, v9, v3
	s_waitcnt lgkmcnt(0)
	v_add_f32_e32 v3, v3, v5
	s_and_saveexec_b64 s[12:13], vcc
	s_cbranch_execz .LBB340_143
; %bb.142:
	ds_write_b32 v2, v3 offset:200
.LBB340_143:
	s_or_b64 exec, exec, s[12:13]
	s_waitcnt lgkmcnt(0)
	s_barrier
	s_and_saveexec_b64 s[12:13], s[4:5]
	s_cbranch_execz .LBB340_145
; %bb.144:
	ds_read_b32 v3, v6 offset:200
.LBB340_145:
	s_or_b64 exec, exec, s[12:13]
	s_waitcnt lgkmcnt(0)
	ds_bpermute_b32 v2, v9, v3
	s_waitcnt lgkmcnt(0)
	v_add_f32_e32 v2, v3, v2
	ds_bpermute_b32 v5, v12, v2
	s_and_saveexec_b64 s[4:5], s[10:11]
	s_cbranch_execz .LBB340_158
; %bb.146:
	s_waitcnt lgkmcnt(0)
	v_add_f32_e32 v2, 0x358637bd, v5
	v_div_scale_f32 v3, s[10:11], v2, v2, 1.0
	v_rcp_f32_e32 v6, v3
	v_div_scale_f32 v7, vcc, 1.0, v2, 1.0
	s_movk_i32 s10, 0x7f
	v_fma_f32 v8, -v3, v6, 1.0
	v_fmac_f32_e32 v6, v8, v6
	v_mul_f32_e32 v8, v7, v6
	v_fma_f32 v9, -v3, v8, v7
	v_fmac_f32_e32 v8, v9, v6
	v_fma_f32 v3, -v3, v8, v7
	v_div_fmas_f32 v3, v3, v6, v8
	v_div_fixup_f32 v2, v3, v2, 1.0
	v_xad_u32 v3, v0, -1, s40
	v_subrev_u32_e32 v6, s29, v3
	v_cmp_lt_u32_e32 vcc, s10, v6
	s_mov_b64 s[12:13], -1
	v_mov_b32_e32 v3, v0
	s_and_saveexec_b64 s[10:11], vcc
	s_cbranch_execz .LBB340_155
; %bb.147:
	v_lshrrev_b32_e32 v6, 7, v6
	v_add_u32_e32 v8, -1, v6
	v_lshrrev_b32_e32 v7, 1, v8
	v_mov_b32_e32 v3, v2
	v_add_u32_e32 v7, 1, v7
	v_cmp_lt_u32_e32 vcc, 13, v8
	v_mov_b32_e32 v12, 0
	s_and_saveexec_b64 s[12:13], vcc
	s_cbranch_execz .LBB340_151
; %bb.148:
	v_mov_b32_e32 v9, 0xd0
	v_and_b32_e32 v8, -8, v7
	v_lshl_add_u32 v9, v0, 2, v9
	s_mov_b32 s38, 0
	s_mov_b64 s[18:19], 0
.LBB340_149:                            ; =>This Inner Loop Header: Depth=1
	ds_read2st64_b32 v[12:13], v9 offset1:2
	ds_read2st64_b32 v[20:21], v9 offset0:4 offset1:6
	ds_read2st64_b32 v[22:23], v9 offset0:8 offset1:10
	ds_read2st64_b32 v[24:25], v9 offset0:12 offset1:14
	v_add_u32_e32 v8, -8, v8
	s_waitcnt lgkmcnt(3)
	v_pk_mul_f32 v[12:13], v[2:3], v[12:13]
	s_waitcnt lgkmcnt(2)
	v_pk_mul_f32 v[20:21], v[2:3], v[20:21]
	ds_write2st64_b32 v9, v12, v13 offset1:2
	ds_write2st64_b32 v9, v20, v21 offset0:4 offset1:6
	ds_read2st64_b32 v[20:21], v9 offset0:16 offset1:18
	s_waitcnt lgkmcnt(4)
	v_pk_mul_f32 v[12:13], v[2:3], v[22:23]
	ds_write2st64_b32 v9, v12, v13 offset0:8 offset1:10
	s_waitcnt lgkmcnt(4)
	v_pk_mul_f32 v[12:13], v[2:3], v[24:25]
	ds_write2st64_b32 v9, v12, v13 offset0:12 offset1:14
	ds_read2st64_b32 v[12:13], v9 offset0:20 offset1:22
	s_waitcnt lgkmcnt(3)
	v_pk_mul_f32 v[20:21], v[2:3], v[20:21]
	ds_read2st64_b32 v[22:23], v9 offset0:24 offset1:26
	ds_write2st64_b32 v9, v20, v21 offset0:16 offset1:18
	ds_read2st64_b32 v[20:21], v9 offset0:28 offset1:30
	s_waitcnt lgkmcnt(3)
	v_pk_mul_f32 v[12:13], v[2:3], v[12:13]
	ds_write2st64_b32 v9, v12, v13 offset0:20 offset1:22
	s_waitcnt lgkmcnt(3)
	v_pk_mul_f32 v[12:13], v[2:3], v[22:23]
	ds_write2st64_b32 v9, v12, v13 offset0:24 offset1:26
	s_waitcnt lgkmcnt(2)
	v_pk_mul_f32 v[12:13], v[2:3], v[20:21]
	s_add_i32 s38, s38, 16
	v_cmp_eq_u32_e32 vcc, 0, v8
	ds_write2st64_b32 v9, v12, v13 offset0:28 offset1:30
	v_add_u32_e32 v9, 0x2000, v9
	s_or_b64 s[18:19], vcc, s[18:19]
	v_mov_b32_e32 v12, s38
	s_andn2_b64 exec, exec, s[18:19]
	s_cbranch_execnz .LBB340_149
; %bb.150:
	s_or_b64 exec, exec, s[18:19]
.LBB340_151:
	s_or_b64 exec, exec, s[12:13]
	v_and_b32_e32 v7, 7, v7
	v_cmp_ne_u32_e32 vcc, 0, v7
	s_and_saveexec_b64 s[12:13], vcc
	s_cbranch_execz .LBB340_154
; %bb.152:
	v_lshlrev_b32_e32 v8, 9, v12
	v_lshlrev_b32_e32 v9, 2, v0
	s_movk_i32 s18, 0xd0
	v_add3_u32 v8, v8, v9, s18
	s_mov_b64 s[18:19], 0
.LBB340_153:                            ; =>This Inner Loop Header: Depth=1
	ds_read2st64_b32 v[12:13], v8 offset1:2
	v_add_u32_e32 v7, -1, v7
	v_cmp_eq_u32_e32 vcc, 0, v7
	s_or_b64 s[18:19], vcc, s[18:19]
	s_waitcnt lgkmcnt(0)
	v_pk_mul_f32 v[12:13], v[2:3], v[12:13]
	ds_write2st64_b32 v8, v12, v13 offset1:2
	v_add_u32_e32 v8, 0x400, v8
	s_andn2_b64 exec, exec, s[18:19]
	s_cbranch_execnz .LBB340_153
.LBB340_154:
	s_or_b64 exec, exec, s[12:13]
	v_add_u32_e32 v6, 1, v6
	v_and_b32_e32 v7, 0x3fffffe, v6
	v_cmp_ne_u32_e32 vcc, v6, v7
	v_lshl_add_u32 v3, v7, 7, v0
	s_orn2_b64 s[12:13], vcc, exec
.LBB340_155:
	s_or_b64 exec, exec, s[10:11]
	s_and_b64 exec, exec, s[12:13]
	s_cbranch_execz .LBB340_158
; %bb.156:
	v_mov_b32_e32 v6, 0xd0
	v_lshl_add_u32 v6, v3, 2, v6
	s_mov_b64 s[10:11], 0
.LBB340_157:                            ; =>This Inner Loop Header: Depth=1
	ds_read_b32 v7, v6
	v_add_u32_e32 v3, 0x80, v3
	v_cmp_le_i32_e32 vcc, s7, v3
	s_or_b64 s[10:11], vcc, s[10:11]
	s_waitcnt lgkmcnt(0)
	v_mul_f32_e32 v7, v2, v7
	ds_write_b32 v6, v7
	v_add_u32_e32 v6, 0x200, v6
	s_andn2_b64 exec, exec, s[10:11]
	s_cbranch_execnz .LBB340_157
.LBB340_158:
	s_or_b64 exec, exec, s[4:5]
	s_mul_i32 s4, s25, s28
	v_cmp_eq_u32_e32 vcc, 0, v0
	s_mul_i32 s10, s4, s9
	s_waitcnt lgkmcnt(0)
	s_barrier
	s_and_saveexec_b64 s[4:5], vcc
	s_cbranch_execz .LBB340_160
; %bb.159:
	s_ashr_i32 s11, s10, 31
	s_lshl_b64 s[12:13], s[10:11], 2
	s_add_u32 s9, s22, s12
	s_mul_i32 s6, s25, s6
	s_addc_u32 s11, s23, s13
	s_ashr_i32 s7, s6, 31
	s_lshl_b64 s[6:7], s[6:7], 2
	s_add_u32 s22, s9, s6
	s_addc_u32 s11, s11, s7
	s_ashr_i32 s9, s8, 31
	s_lshl_b64 s[18:19], s[8:9], 2
	s_add_u32 s22, s22, s18
	s_addc_u32 s23, s11, s19
	s_add_u32 s9, s20, s12
	s_addc_u32 s11, s21, s13
	;; [unrolled: 2-line block ×3, first 2 shown]
	s_add_u32 s6, s6, s18
	v_mov_b32_e32 v2, 0
	s_addc_u32 s7, s7, s19
	global_store_dword v2, v4, s[22:23]
	global_store_dword v2, v5, s[6:7]
.LBB340_160:
	s_or_b64 exec, exec, s[4:5]
	v_mov_b32_e32 v13, 0
	v_mov_b32_e32 v2, v13
	s_and_saveexec_b64 s[6:7], s[2:3]
	s_cbranch_execz .LBB340_426
; %bb.161:
	s_ashr_i32 s2, s16, 31
	s_add_u32 s12, s36, s16
	s_addc_u32 s13, s37, s2
	v_or_b32_e32 v2, 64, v15
	s_movk_i32 s2, 0x60
	s_add_i32 s11, s47, -1
	s_load_dword s36, s[14:15], 0x0
	v_cmp_gt_u32_e32 vcc, s2, v2
	s_lshl_b64 s[2:3], s[34:35], 2
	v_lshlrev_b32_e32 v18, 3, v2
	v_mov_b32_e32 v2, 0xd0
	s_add_u32 s2, s30, s2
	v_lshl_add_u32 v22, v16, 5, v2
	v_lshlrev_b64 v[2:3], 2, v[10:11]
	s_addc_u32 s3, s31, s3
	s_mov_b32 s9, s17
	s_mov_b32 s16, -1
	v_mov_b32_e32 v17, 0
	v_mov_b32_e32 v4, s3
	v_add_co_u32_e64 v20, s[2:3], s2, v2
	s_mov_b32 s17, 0xffffff
	v_lshlrev_b32_e32 v14, 3, v15
	v_add3_u32 v19, s29, v19, 7
	v_addc_co_u32_e64 v21, s[2:3], v4, v3, s[2:3]
	s_mov_b64 s[14:15], 0
	s_mov_b32 s30, 0x7f800000
	s_movk_i32 s31, 0x7fff
	s_movk_i32 s34, 0x80
	;; [unrolled: 1-line block ×3, first 2 shown]
	v_bfrev_b32_e32 v11, 60
	v_mov_b32_e32 v12, v17
	v_mov_b32_e32 v13, v17
	s_branch .LBB340_164
.LBB340_162:                            ;   in Loop: Header=BB340_164 Depth=1
	s_or_b64 exec, exec, s[4:5]
	v_and_b32_e32 v27, 0xffff0000, v5
	v_and_b32_e32 v26, 0xffff0000, v9
	;; [unrolled: 1-line block ×6, first 2 shown]
	v_pk_add_f32 v[4:5], v[4:5], v[8:9]
	v_and_b32_e32 v25, 0xffff0000, v23
	v_and_b32_e32 v24, 0xffff0000, v16
	v_mov_b32_e32 v6, v5
	v_pk_add_f32 v[4:5], v[4:5], v[6:7]
	v_pk_add_f32 v[6:7], v[26:27], v[24:25]
	;; [unrolled: 1-line block ×3, first 2 shown]
	v_mov_b32_e32 v6, v7
	v_pk_add_f32 v[4:5], v[4:5], v[6:7]
	v_mov_b32_e32 v3, v4
	v_pk_add_f32 v[12:13], v[12:13], v[2:3]
.LBB340_163:                            ;   in Loop: Header=BB340_164 Depth=1
	s_or_b64 exec, exec, s[18:19]
	v_add_co_u32_e64 v20, s[2:3], 8, v20
	v_add_u32_e32 v10, 2, v10
	v_addc_co_u32_e64 v21, s[2:3], 0, v21, s[2:3]
	v_cmp_le_i32_e64 s[2:3], s46, v10
	v_add_u32_e32 v19, 16, v19
	v_add_u32_e32 v22, 64, v22
	s_or_b64 s[14:15], s[2:3], s[14:15]
	v_mov_b32_e32 v12, v2
	s_andn2_b64 exec, exec, s[14:15]
	s_cbranch_execz .LBB340_425
.LBB340_164:                            ; =>This Inner Loop Header: Depth=1
	global_load_dword v16, v[20:21], off
	ds_read2_b64 v[6:9], v22 offset1:1
	ds_read2_b64 v[2:5], v22 offset0:2 offset1:3
                                        ; implicit-def: $vgpr30
	s_waitcnt lgkmcnt(0)
	v_and_b32_e32 v23, 0x7f800000, v6
	v_cmp_ne_u32_e64 s[2:3], s30, v23
	s_and_saveexec_b64 s[4:5], s[2:3]
	s_xor_b64 s[2:3], exec, s[4:5]
; %bb.165:                              ;   in Loop: Header=BB340_164 Depth=1
	v_bfe_u32 v23, v6, 16, 1
	v_add3_u32 v30, v6, v23, s31
; %bb.166:                              ;   in Loop: Header=BB340_164 Depth=1
	s_andn2_saveexec_b64 s[4:5], s[2:3]
; %bb.167:                              ;   in Loop: Header=BB340_164 Depth=1
	v_or_b32_e32 v23, 0x10000, v6
	v_cmp_eq_u32_sdwa s[2:3], v6, v17 src0_sel:WORD_0 src1_sel:DWORD
	v_cndmask_b32_e64 v30, v23, v6, s[2:3]
; %bb.168:                              ;   in Loop: Header=BB340_164 Depth=1
	s_or_b64 exec, exec, s[4:5]
	v_and_b32_e32 v6, 0x7f800000, v7
	v_cmp_ne_u32_e64 s[2:3], s30, v6
                                        ; implicit-def: $vgpr29
	s_and_saveexec_b64 s[4:5], s[2:3]
	s_xor_b64 s[2:3], exec, s[4:5]
; %bb.169:                              ;   in Loop: Header=BB340_164 Depth=1
	v_bfe_u32 v6, v7, 16, 1
	v_add3_u32 v29, v7, v6, s31
; %bb.170:                              ;   in Loop: Header=BB340_164 Depth=1
	s_andn2_saveexec_b64 s[4:5], s[2:3]
; %bb.171:                              ;   in Loop: Header=BB340_164 Depth=1
	v_or_b32_e32 v6, 0x10000, v7
	v_cmp_eq_u32_sdwa s[2:3], v7, v17 src0_sel:WORD_0 src1_sel:DWORD
	v_cndmask_b32_e64 v29, v6, v7, s[2:3]
; %bb.172:                              ;   in Loop: Header=BB340_164 Depth=1
	s_or_b64 exec, exec, s[4:5]
	v_and_b32_e32 v6, 0x7f800000, v8
	v_cmp_ne_u32_e64 s[2:3], s30, v6
                                        ; implicit-def: $vgpr23
	s_and_saveexec_b64 s[4:5], s[2:3]
	s_xor_b64 s[2:3], exec, s[4:5]
; %bb.173:                              ;   in Loop: Header=BB340_164 Depth=1
	v_bfe_u32 v6, v8, 16, 1
	v_add3_u32 v23, v8, v6, s31
; %bb.174:                              ;   in Loop: Header=BB340_164 Depth=1
	s_andn2_saveexec_b64 s[4:5], s[2:3]
; %bb.175:                              ;   in Loop: Header=BB340_164 Depth=1
	v_or_b32_e32 v6, 0x10000, v8
	v_cmp_eq_u32_sdwa s[2:3], v8, v17 src0_sel:WORD_0 src1_sel:DWORD
	v_cndmask_b32_e64 v23, v6, v8, s[2:3]
; %bb.176:                              ;   in Loop: Header=BB340_164 Depth=1
	s_or_b64 exec, exec, s[4:5]
	v_and_b32_e32 v6, 0x7f800000, v9
	v_cmp_ne_u32_e64 s[2:3], s30, v6
                                        ; implicit-def: $vgpr24
	s_and_saveexec_b64 s[4:5], s[2:3]
	s_xor_b64 s[2:3], exec, s[4:5]
; %bb.177:                              ;   in Loop: Header=BB340_164 Depth=1
	v_bfe_u32 v6, v9, 16, 1
	v_add3_u32 v24, v9, v6, s31
                                        ; implicit-def: $vgpr6_vgpr7_vgpr8_vgpr9
; %bb.178:                              ;   in Loop: Header=BB340_164 Depth=1
	s_andn2_saveexec_b64 s[4:5], s[2:3]
; %bb.179:                              ;   in Loop: Header=BB340_164 Depth=1
	v_or_b32_e32 v6, 0x10000, v9
	v_cmp_eq_u32_sdwa s[2:3], v9, v17 src0_sel:WORD_0 src1_sel:DWORD
	v_cndmask_b32_e64 v24, v6, v9, s[2:3]
; %bb.180:                              ;   in Loop: Header=BB340_164 Depth=1
	s_or_b64 exec, exec, s[4:5]
	v_and_b32_e32 v6, 0x7f800000, v2
	v_cmp_ne_u32_e64 s[2:3], s30, v6
                                        ; implicit-def: $vgpr25
	s_and_saveexec_b64 s[4:5], s[2:3]
	s_xor_b64 s[2:3], exec, s[4:5]
; %bb.181:                              ;   in Loop: Header=BB340_164 Depth=1
	v_bfe_u32 v6, v2, 16, 1
	v_add3_u32 v25, v2, v6, s31
; %bb.182:                              ;   in Loop: Header=BB340_164 Depth=1
	s_andn2_saveexec_b64 s[4:5], s[2:3]
; %bb.183:                              ;   in Loop: Header=BB340_164 Depth=1
	v_or_b32_e32 v6, 0x10000, v2
	v_cmp_eq_u32_sdwa s[2:3], v2, v17 src0_sel:WORD_0 src1_sel:DWORD
	v_cndmask_b32_e64 v25, v6, v2, s[2:3]
; %bb.184:                              ;   in Loop: Header=BB340_164 Depth=1
	s_or_b64 exec, exec, s[4:5]
	v_and_b32_e32 v2, 0x7f800000, v3
	v_cmp_ne_u32_e64 s[2:3], s30, v2
                                        ; implicit-def: $vgpr26
	s_and_saveexec_b64 s[4:5], s[2:3]
	s_xor_b64 s[2:3], exec, s[4:5]
; %bb.185:                              ;   in Loop: Header=BB340_164 Depth=1
	v_bfe_u32 v2, v3, 16, 1
	v_add3_u32 v26, v3, v2, s31
; %bb.186:                              ;   in Loop: Header=BB340_164 Depth=1
	s_andn2_saveexec_b64 s[4:5], s[2:3]
; %bb.187:                              ;   in Loop: Header=BB340_164 Depth=1
	v_or_b32_e32 v2, 0x10000, v3
	v_cmp_eq_u32_sdwa s[2:3], v3, v17 src0_sel:WORD_0 src1_sel:DWORD
	v_cndmask_b32_e64 v26, v2, v3, s[2:3]
; %bb.188:                              ;   in Loop: Header=BB340_164 Depth=1
	s_or_b64 exec, exec, s[4:5]
	v_and_b32_e32 v2, 0x7f800000, v4
	v_cmp_ne_u32_e64 s[2:3], s30, v2
                                        ; implicit-def: $vgpr27
	s_and_saveexec_b64 s[4:5], s[2:3]
	s_xor_b64 s[2:3], exec, s[4:5]
; %bb.189:                              ;   in Loop: Header=BB340_164 Depth=1
	v_bfe_u32 v2, v4, 16, 1
	v_add3_u32 v27, v4, v2, s31
; %bb.190:                              ;   in Loop: Header=BB340_164 Depth=1
	s_andn2_saveexec_b64 s[4:5], s[2:3]
; %bb.191:                              ;   in Loop: Header=BB340_164 Depth=1
	v_or_b32_e32 v2, 0x10000, v4
	v_cmp_eq_u32_sdwa s[2:3], v4, v17 src0_sel:WORD_0 src1_sel:DWORD
	v_cndmask_b32_e64 v27, v2, v4, s[2:3]
; %bb.192:                              ;   in Loop: Header=BB340_164 Depth=1
	s_or_b64 exec, exec, s[4:5]
	v_and_b32_e32 v2, 0x7f800000, v5
	v_cmp_ne_u32_e64 s[2:3], s30, v2
                                        ; implicit-def: $vgpr28
	s_and_saveexec_b64 s[4:5], s[2:3]
	s_xor_b64 s[2:3], exec, s[4:5]
; %bb.193:                              ;   in Loop: Header=BB340_164 Depth=1
	v_bfe_u32 v2, v5, 16, 1
	v_add3_u32 v28, v5, v2, s31
                                        ; implicit-def: $vgpr2_vgpr3_vgpr4_vgpr5
; %bb.194:                              ;   in Loop: Header=BB340_164 Depth=1
	s_andn2_saveexec_b64 s[4:5], s[2:3]
; %bb.195:                              ;   in Loop: Header=BB340_164 Depth=1
	v_or_b32_e32 v2, 0x10000, v5
	v_cmp_eq_u32_sdwa s[2:3], v5, v17 src0_sel:WORD_0 src1_sel:DWORD
	v_cndmask_b32_e64 v28, v2, v5, s[2:3]
; %bb.196:                              ;   in Loop: Header=BB340_164 Depth=1
	s_or_b64 exec, exec, s[4:5]
	v_pk_mov_b32 v[2:3], s[12:13], s[12:13] op_sel:[0,1]
	s_waitcnt vmcnt(0)
	v_mad_i64_i32 v[4:5], s[2:3], v16, s9, v[2:3]
	v_add_co_u32_e64 v2, s[2:3], v4, v14
	v_addc_co_u32_e64 v3, s[2:3], 0, v5, s[2:3]
	global_load_dwordx2 v[2:3], v[2:3], off
	v_mov_b32_e32 v6, 0
	s_waitcnt vmcnt(0)
	v_cmp_ne_u16_sdwa s[2:3], v2, v17 src0_sel:BYTE_0 src1_sel:DWORD
	s_and_saveexec_b64 s[4:5], s[2:3]
	s_cbranch_execz .LBB340_202
; %bb.197:                              ;   in Loop: Header=BB340_164 Depth=1
	v_cmp_ne_u16_sdwa s[2:3], v2, s34 src0_sel:BYTE_0 src1_sel:DWORD
	v_bfrev_b32_e32 v6, 1
	s_and_saveexec_b64 s[18:19], s[2:3]
	s_cbranch_execz .LBB340_201
; %bb.198:                              ;   in Loop: Header=BB340_164 Depth=1
	v_and_b32_e32 v7, 0x7f, v2
	v_cmp_ne_u32_e64 s[2:3], s35, v7
	v_mov_b32_e32 v6, 0x7f800001
	s_and_saveexec_b64 s[20:21], s[2:3]
	s_cbranch_execz .LBB340_200
; %bb.199:                              ;   in Loop: Header=BB340_164 Depth=1
	v_and_b32_e32 v6, 7, v2
	v_ffbh_u32_e32 v6, v6
	v_min_u32_e32 v6, 32, v6
	v_lshrrev_b32_e32 v8, 3, v7
	v_subrev_u32_e32 v9, 28, v6
	v_sub_u32_e32 v6, 29, v6
	v_cmp_gt_u32_e64 s[2:3], 8, v7
	v_cndmask_b32_e64 v8, v8, v6, s[2:3]
	v_cndmask_b32_e64 v6, 0, v9, s[2:3]
	v_lshlrev_b64 v[6:7], v6, v[2:3]
	v_lshlrev_b32_e32 v6, 20, v6
	v_lshlrev_b32_e32 v7, 24, v2
	v_and_b32_e32 v6, 0x700000, v6
	v_and_b32_e32 v7, 0x80000000, v7
	v_lshl_add_u32 v8, v8, 23, v11
	v_or3_b32 v6, v7, v8, v6
.LBB340_200:                            ;   in Loop: Header=BB340_164 Depth=1
	s_or_b64 exec, exec, s[20:21]
.LBB340_201:                            ;   in Loop: Header=BB340_164 Depth=1
	s_or_b64 exec, exec, s[18:19]
.LBB340_202:                            ;   in Loop: Header=BB340_164 Depth=1
	s_or_b64 exec, exec, s[4:5]
	v_mul_f32_e32 v6, s36, v6
	v_and_b32_e32 v7, 0x7f800000, v6
	v_cmp_ne_u32_e64 s[2:3], s30, v7
                                        ; implicit-def: $vgpr8
	s_and_saveexec_b64 s[4:5], s[2:3]
	s_xor_b64 s[2:3], exec, s[4:5]
; %bb.203:                              ;   in Loop: Header=BB340_164 Depth=1
	v_bfe_u32 v7, v6, 16, 1
	v_add3_u32 v8, v6, v7, s31
                                        ; implicit-def: $vgpr6
; %bb.204:                              ;   in Loop: Header=BB340_164 Depth=1
	s_andn2_saveexec_b64 s[4:5], s[2:3]
; %bb.205:                              ;   in Loop: Header=BB340_164 Depth=1
	v_or_b32_e32 v7, 0x10000, v6
	v_cmp_eq_u32_sdwa s[2:3], v6, v17 src0_sel:WORD_0 src1_sel:DWORD
	v_cndmask_b32_e64 v8, v7, v6, s[2:3]
; %bb.206:                              ;   in Loop: Header=BB340_164 Depth=1
	s_or_b64 exec, exec, s[4:5]
	v_lshrrev_b16_e32 v6, 8, v2
	v_cmp_ne_u16_e64 s[2:3], 0, v6
	v_mov_b32_e32 v7, 0
	s_and_saveexec_b64 s[4:5], s[2:3]
	s_cbranch_execz .LBB340_212
; %bb.207:                              ;   in Loop: Header=BB340_164 Depth=1
	v_cmp_ne_u16_e64 s[2:3], s34, v6
	v_bfrev_b32_e32 v7, 1
	s_and_saveexec_b64 s[18:19], s[2:3]
	s_cbranch_execz .LBB340_211
; %bb.208:                              ;   in Loop: Header=BB340_164 Depth=1
	v_and_b32_e32 v9, 0x7f, v6
	v_cmp_ne_u32_e64 s[2:3], s35, v9
	v_mov_b32_e32 v7, 0x7f800001
	s_and_saveexec_b64 s[20:21], s[2:3]
	s_cbranch_execz .LBB340_210
; %bb.209:                              ;   in Loop: Header=BB340_164 Depth=1
	v_and_b32_e32 v16, 7, v6
	v_ffbh_u32_e32 v7, v16
	v_min_u32_e32 v32, 32, v7
	v_subrev_u32_e32 v7, 28, v32
	v_lshlrev_b64 v[6:7], v7, v[6:7]
	v_lshrrev_b32_e32 v31, 3, v9
	v_sub_u32_e32 v7, 29, v32
	v_and_b32_e32 v6, 7, v6
	v_cmp_gt_u32_e64 s[2:3], 8, v9
	v_cndmask_b32_e64 v7, v31, v7, s[2:3]
	v_cndmask_b32_e64 v6, v16, v6, s[2:3]
	v_lshlrev_b32_e32 v9, 16, v2
	v_lshlrev_b32_e32 v6, 20, v6
	v_and_b32_e32 v9, 0x80000000, v9
	v_lshl_add_u32 v7, v7, 23, v11
	v_or3_b32 v7, v9, v7, v6
.LBB340_210:                            ;   in Loop: Header=BB340_164 Depth=1
	s_or_b64 exec, exec, s[20:21]
.LBB340_211:                            ;   in Loop: Header=BB340_164 Depth=1
	s_or_b64 exec, exec, s[18:19]
.LBB340_212:                            ;   in Loop: Header=BB340_164 Depth=1
	s_or_b64 exec, exec, s[4:5]
	v_mul_f32_e32 v6, s36, v7
	v_and_b32_e32 v7, 0x7f800000, v6
	v_cmp_ne_u32_e64 s[2:3], s30, v7
                                        ; implicit-def: $vgpr9
	s_and_saveexec_b64 s[4:5], s[2:3]
	s_xor_b64 s[2:3], exec, s[4:5]
; %bb.213:                              ;   in Loop: Header=BB340_164 Depth=1
	v_bfe_u32 v7, v6, 16, 1
	v_add3_u32 v9, v6, v7, s31
                                        ; implicit-def: $vgpr6
; %bb.214:                              ;   in Loop: Header=BB340_164 Depth=1
	s_andn2_saveexec_b64 s[4:5], s[2:3]
; %bb.215:                              ;   in Loop: Header=BB340_164 Depth=1
	v_or_b32_e32 v7, 0x10000, v6
	v_cmp_eq_u32_sdwa s[2:3], v6, v17 src0_sel:WORD_0 src1_sel:DWORD
	v_cndmask_b32_e64 v9, v7, v6, s[2:3]
; %bb.216:                              ;   in Loop: Header=BB340_164 Depth=1
	s_or_b64 exec, exec, s[4:5]
	v_lshrrev_b32_e32 v6, 16, v2
	v_cmp_ne_u16_sdwa s[2:3], v6, v17 src0_sel:BYTE_0 src1_sel:DWORD
	v_mov_b32_e32 v7, 0
	s_and_saveexec_b64 s[4:5], s[2:3]
	s_cbranch_execz .LBB340_222
; %bb.217:                              ;   in Loop: Header=BB340_164 Depth=1
	v_cmp_ne_u16_sdwa s[2:3], v6, s34 src0_sel:BYTE_0 src1_sel:DWORD
	v_bfrev_b32_e32 v7, 1
	s_and_saveexec_b64 s[18:19], s[2:3]
	s_cbranch_execz .LBB340_221
; %bb.218:                              ;   in Loop: Header=BB340_164 Depth=1
	v_bfe_u32 v16, v2, 16, 7
	v_cmp_ne_u32_e64 s[2:3], s35, v16
	v_mov_b32_e32 v7, 0x7f800001
	s_and_saveexec_b64 s[20:21], s[2:3]
	s_cbranch_execz .LBB340_220
; %bb.219:                              ;   in Loop: Header=BB340_164 Depth=1
	v_and_b32_e32 v7, 7, v6
	v_ffbh_u32_e32 v32, v7
	v_min_u32_e32 v34, 32, v32
	v_subrev_u32_e32 v32, 28, v34
	v_lshlrev_b64 v[32:33], v32, v[6:7]
	v_lshrrev_b32_e32 v31, 3, v16
	v_sub_u32_e32 v33, 29, v34
	v_and_b32_e32 v32, 7, v32
	v_cmp_gt_u32_e64 s[2:3], 8, v16
	v_cndmask_b32_e64 v16, v31, v33, s[2:3]
	v_cndmask_b32_e64 v7, v7, v32, s[2:3]
	v_lshlrev_b32_e32 v6, 24, v6
	v_lshlrev_b32_e32 v7, 20, v7
	v_and_b32_e32 v6, 0x80000000, v6
	v_lshl_add_u32 v16, v16, 23, v11
	v_or3_b32 v7, v6, v16, v7
.LBB340_220:                            ;   in Loop: Header=BB340_164 Depth=1
	s_or_b64 exec, exec, s[20:21]
.LBB340_221:                            ;   in Loop: Header=BB340_164 Depth=1
	s_or_b64 exec, exec, s[18:19]
.LBB340_222:                            ;   in Loop: Header=BB340_164 Depth=1
	s_or_b64 exec, exec, s[4:5]
	v_mul_f32_e32 v6, s36, v7
	v_and_b32_e32 v7, 0x7f800000, v6
	v_cmp_ne_u32_e64 s[2:3], s30, v7
                                        ; implicit-def: $vgpr31
	s_and_saveexec_b64 s[4:5], s[2:3]
	s_xor_b64 s[2:3], exec, s[4:5]
; %bb.223:                              ;   in Loop: Header=BB340_164 Depth=1
	v_bfe_u32 v7, v6, 16, 1
	v_add3_u32 v31, v6, v7, s31
                                        ; implicit-def: $vgpr6
; %bb.224:                              ;   in Loop: Header=BB340_164 Depth=1
	s_andn2_saveexec_b64 s[4:5], s[2:3]
; %bb.225:                              ;   in Loop: Header=BB340_164 Depth=1
	v_or_b32_e32 v7, 0x10000, v6
	v_cmp_eq_u32_sdwa s[2:3], v6, v17 src0_sel:WORD_0 src1_sel:DWORD
	v_cndmask_b32_e64 v31, v7, v6, s[2:3]
; %bb.226:                              ;   in Loop: Header=BB340_164 Depth=1
	s_or_b64 exec, exec, s[4:5]
	v_cmp_lt_u32_e64 s[2:3], s17, v2
	v_mov_b32_e32 v7, 0
	s_and_saveexec_b64 s[4:5], s[2:3]
	s_cbranch_execz .LBB340_232
; %bb.227:                              ;   in Loop: Header=BB340_164 Depth=1
	v_lshrrev_b32_e32 v6, 24, v2
	v_cmp_ne_u32_e64 s[2:3], s34, v6
	v_bfrev_b32_e32 v7, 1
	s_and_saveexec_b64 s[18:19], s[2:3]
	s_cbranch_execz .LBB340_231
; %bb.228:                              ;   in Loop: Header=BB340_164 Depth=1
	v_bfe_u32 v16, v2, 24, 7
	v_cmp_ne_u32_e64 s[2:3], s35, v16
	v_mov_b32_e32 v7, 0x7f800001
	s_and_saveexec_b64 s[20:21], s[2:3]
	s_cbranch_execz .LBB340_230
; %bb.229:                              ;   in Loop: Header=BB340_164 Depth=1
	v_and_b32_e32 v7, 7, v6
	v_ffbh_u32_e32 v32, v7
	v_min_u32_e32 v35, 32, v32
	v_subrev_u32_e32 v32, 28, v35
	v_lshlrev_b64 v[32:33], v32, v[6:7]
	v_lshrrev_b32_e32 v34, 3, v16
	v_sub_u32_e32 v33, 29, v35
	v_and_b32_e32 v32, 7, v32
	v_cmp_gt_u32_e64 s[2:3], 8, v16
	v_cndmask_b32_e64 v16, v34, v33, s[2:3]
	v_cndmask_b32_e64 v7, v7, v32, s[2:3]
	v_lshlrev_b32_e32 v6, 24, v6
	v_lshlrev_b32_e32 v7, 20, v7
	v_and_b32_e32 v6, 0x80000000, v6
	v_lshl_add_u32 v16, v16, 23, v11
	v_or3_b32 v7, v6, v16, v7
.LBB340_230:                            ;   in Loop: Header=BB340_164 Depth=1
	s_or_b64 exec, exec, s[20:21]
.LBB340_231:                            ;   in Loop: Header=BB340_164 Depth=1
	s_or_b64 exec, exec, s[18:19]
.LBB340_232:                            ;   in Loop: Header=BB340_164 Depth=1
	s_or_b64 exec, exec, s[4:5]
	v_mul_f32_e32 v6, s36, v7
	v_and_b32_e32 v7, 0x7f800000, v6
	v_cmp_ne_u32_e64 s[2:3], s30, v7
                                        ; implicit-def: $vgpr32
	s_and_saveexec_b64 s[4:5], s[2:3]
	s_xor_b64 s[2:3], exec, s[4:5]
; %bb.233:                              ;   in Loop: Header=BB340_164 Depth=1
	v_bfe_u32 v7, v6, 16, 1
	v_add3_u32 v32, v6, v7, s31
                                        ; implicit-def: $vgpr6
; %bb.234:                              ;   in Loop: Header=BB340_164 Depth=1
	s_andn2_saveexec_b64 s[4:5], s[2:3]
; %bb.235:                              ;   in Loop: Header=BB340_164 Depth=1
	v_or_b32_e32 v7, 0x10000, v6
	v_cmp_eq_u32_sdwa s[2:3], v6, v17 src0_sel:WORD_0 src1_sel:DWORD
	v_cndmask_b32_e64 v32, v7, v6, s[2:3]
; %bb.236:                              ;   in Loop: Header=BB340_164 Depth=1
	s_or_b64 exec, exec, s[4:5]
	v_mov_b32_e32 v16, v3
	v_cmp_ne_u16_sdwa s[2:3], v3, v17 src0_sel:BYTE_0 src1_sel:DWORD
	v_mov_b32_e32 v6, 0
	s_and_saveexec_b64 s[4:5], s[2:3]
	s_cbranch_execz .LBB340_242
; %bb.237:                              ;   in Loop: Header=BB340_164 Depth=1
	v_cmp_ne_u16_sdwa s[2:3], v3, s34 src0_sel:BYTE_0 src1_sel:DWORD
	v_bfrev_b32_e32 v6, 1
	s_and_saveexec_b64 s[18:19], s[2:3]
	s_cbranch_execz .LBB340_241
; %bb.238:                              ;   in Loop: Header=BB340_164 Depth=1
	v_and_b32_e32 v7, 0x7f, v3
	v_cmp_ne_u32_e64 s[2:3], s35, v7
	v_mov_b32_e32 v6, 0x7f800001
	s_and_saveexec_b64 s[20:21], s[2:3]
	s_cbranch_execz .LBB340_240
; %bb.239:                              ;   in Loop: Header=BB340_164 Depth=1
	v_and_b32_e32 v6, 7, v3
	v_ffbh_u32_e32 v6, v6
	v_min_u32_e32 v6, 32, v6
	v_lshrrev_b32_e32 v33, 3, v7
	v_subrev_u32_e32 v34, 28, v6
	v_sub_u32_e32 v6, 29, v6
	v_cmp_gt_u32_e64 s[2:3], 8, v7
	v_cndmask_b32_e64 v33, v33, v6, s[2:3]
	v_cndmask_b32_e64 v6, 0, v34, s[2:3]
	v_lshlrev_b64 v[6:7], v6, v[16:17]
	v_lshlrev_b32_e32 v6, 20, v6
	v_lshlrev_b32_e32 v7, 24, v16
	v_and_b32_e32 v6, 0x700000, v6
	v_and_b32_e32 v7, 0x80000000, v7
	v_lshl_add_u32 v33, v33, 23, v11
	v_or3_b32 v6, v7, v33, v6
.LBB340_240:                            ;   in Loop: Header=BB340_164 Depth=1
	s_or_b64 exec, exec, s[20:21]
.LBB340_241:                            ;   in Loop: Header=BB340_164 Depth=1
	s_or_b64 exec, exec, s[18:19]
.LBB340_242:                            ;   in Loop: Header=BB340_164 Depth=1
	s_or_b64 exec, exec, s[4:5]
	v_mul_f32_e32 v6, s36, v6
	v_and_b32_e32 v7, 0x7f800000, v6
	v_cmp_ne_u32_e64 s[2:3], s30, v7
                                        ; implicit-def: $vgpr33
	s_and_saveexec_b64 s[4:5], s[2:3]
	s_xor_b64 s[2:3], exec, s[4:5]
; %bb.243:                              ;   in Loop: Header=BB340_164 Depth=1
	v_bfe_u32 v7, v6, 16, 1
	v_add3_u32 v33, v6, v7, s31
                                        ; implicit-def: $vgpr6
; %bb.244:                              ;   in Loop: Header=BB340_164 Depth=1
	s_andn2_saveexec_b64 s[4:5], s[2:3]
; %bb.245:                              ;   in Loop: Header=BB340_164 Depth=1
	v_or_b32_e32 v7, 0x10000, v6
	v_cmp_eq_u32_sdwa s[2:3], v6, v17 src0_sel:WORD_0 src1_sel:DWORD
	v_cndmask_b32_e64 v33, v7, v6, s[2:3]
; %bb.246:                              ;   in Loop: Header=BB340_164 Depth=1
	s_or_b64 exec, exec, s[4:5]
	v_lshrrev_b16_e32 v6, 8, v16
	v_cmp_ne_u16_e64 s[2:3], 0, v6
	v_mov_b32_e32 v7, 0
	s_and_saveexec_b64 s[4:5], s[2:3]
	s_cbranch_execz .LBB340_252
; %bb.247:                              ;   in Loop: Header=BB340_164 Depth=1
	v_cmp_ne_u16_e64 s[2:3], s34, v6
	v_bfrev_b32_e32 v7, 1
	s_and_saveexec_b64 s[18:19], s[2:3]
	s_cbranch_execz .LBB340_251
; %bb.248:                              ;   in Loop: Header=BB340_164 Depth=1
	v_and_b32_e32 v34, 0x7f, v6
	v_cmp_ne_u32_e64 s[2:3], s35, v34
	v_mov_b32_e32 v7, 0x7f800001
	s_and_saveexec_b64 s[20:21], s[2:3]
	s_cbranch_execz .LBB340_250
; %bb.249:                              ;   in Loop: Header=BB340_164 Depth=1
	v_and_b32_e32 v35, 7, v6
	v_ffbh_u32_e32 v7, v35
	v_min_u32_e32 v37, 32, v7
	v_subrev_u32_e32 v7, 28, v37
	v_lshlrev_b64 v[6:7], v7, v[6:7]
	v_lshrrev_b32_e32 v36, 3, v34
	v_sub_u32_e32 v7, 29, v37
	v_and_b32_e32 v6, 7, v6
	v_cmp_gt_u32_e64 s[2:3], 8, v34
	v_cndmask_b32_e64 v7, v36, v7, s[2:3]
	v_cndmask_b32_e64 v6, v35, v6, s[2:3]
	v_lshlrev_b32_e32 v16, 16, v16
	v_lshlrev_b32_e32 v6, 20, v6
	v_and_b32_e32 v16, 0x80000000, v16
	v_lshl_add_u32 v7, v7, 23, v11
	v_or3_b32 v7, v16, v7, v6
.LBB340_250:                            ;   in Loop: Header=BB340_164 Depth=1
	s_or_b64 exec, exec, s[20:21]
.LBB340_251:                            ;   in Loop: Header=BB340_164 Depth=1
	s_or_b64 exec, exec, s[18:19]
.LBB340_252:                            ;   in Loop: Header=BB340_164 Depth=1
	s_or_b64 exec, exec, s[4:5]
	v_mul_f32_e32 v6, s36, v7
	v_and_b32_e32 v7, 0x7f800000, v6
	v_cmp_ne_u32_e64 s[2:3], s30, v7
                                        ; implicit-def: $vgpr16
	s_and_saveexec_b64 s[4:5], s[2:3]
	s_xor_b64 s[2:3], exec, s[4:5]
; %bb.253:                              ;   in Loop: Header=BB340_164 Depth=1
	v_bfe_u32 v7, v6, 16, 1
	v_add3_u32 v16, v6, v7, s31
                                        ; implicit-def: $vgpr6
; %bb.254:                              ;   in Loop: Header=BB340_164 Depth=1
	s_andn2_saveexec_b64 s[4:5], s[2:3]
; %bb.255:                              ;   in Loop: Header=BB340_164 Depth=1
	v_or_b32_e32 v7, 0x10000, v6
	v_cmp_eq_u32_sdwa s[2:3], v6, v17 src0_sel:WORD_0 src1_sel:DWORD
	v_cndmask_b32_e64 v16, v7, v6, s[2:3]
; %bb.256:                              ;   in Loop: Header=BB340_164 Depth=1
	s_or_b64 exec, exec, s[4:5]
	v_lshrrev_b32_e32 v6, 16, v3
	v_cmp_ne_u16_sdwa s[2:3], v6, v17 src0_sel:BYTE_0 src1_sel:DWORD
	v_mov_b32_e32 v7, 0
	s_and_saveexec_b64 s[4:5], s[2:3]
	s_cbranch_execz .LBB340_262
; %bb.257:                              ;   in Loop: Header=BB340_164 Depth=1
	v_cmp_ne_u16_sdwa s[2:3], v6, s34 src0_sel:BYTE_0 src1_sel:DWORD
	v_bfrev_b32_e32 v7, 1
	s_and_saveexec_b64 s[18:19], s[2:3]
	s_cbranch_execz .LBB340_261
; %bb.258:                              ;   in Loop: Header=BB340_164 Depth=1
	v_bfe_u32 v34, v3, 16, 7
	v_cmp_ne_u32_e64 s[2:3], s35, v34
	v_mov_b32_e32 v7, 0x7f800001
	s_and_saveexec_b64 s[20:21], s[2:3]
	s_cbranch_execz .LBB340_260
; %bb.259:                              ;   in Loop: Header=BB340_164 Depth=1
	v_and_b32_e32 v7, 7, v6
	v_ffbh_u32_e32 v36, v7
	v_min_u32_e32 v38, 32, v36
	v_subrev_u32_e32 v36, 28, v38
	v_lshlrev_b64 v[36:37], v36, v[6:7]
	v_lshrrev_b32_e32 v35, 3, v34
	v_sub_u32_e32 v37, 29, v38
	v_and_b32_e32 v36, 7, v36
	v_cmp_gt_u32_e64 s[2:3], 8, v34
	v_cndmask_b32_e64 v34, v35, v37, s[2:3]
	v_cndmask_b32_e64 v7, v7, v36, s[2:3]
	v_lshlrev_b32_e32 v6, 24, v6
	v_lshlrev_b32_e32 v7, 20, v7
	v_and_b32_e32 v6, 0x80000000, v6
	v_lshl_add_u32 v34, v34, 23, v11
	v_or3_b32 v7, v6, v34, v7
.LBB340_260:                            ;   in Loop: Header=BB340_164 Depth=1
	s_or_b64 exec, exec, s[20:21]
.LBB340_261:                            ;   in Loop: Header=BB340_164 Depth=1
	s_or_b64 exec, exec, s[18:19]
.LBB340_262:                            ;   in Loop: Header=BB340_164 Depth=1
	s_or_b64 exec, exec, s[4:5]
	v_mul_f32_e32 v7, s36, v7
	v_and_b32_e32 v6, 0x7f800000, v7
	v_cmp_ne_u32_e64 s[2:3], s30, v6
                                        ; implicit-def: $vgpr6
	s_and_saveexec_b64 s[4:5], s[2:3]
	s_xor_b64 s[2:3], exec, s[4:5]
; %bb.263:                              ;   in Loop: Header=BB340_164 Depth=1
	v_bfe_u32 v6, v7, 16, 1
	v_add3_u32 v6, v7, v6, s31
                                        ; implicit-def: $vgpr7
; %bb.264:                              ;   in Loop: Header=BB340_164 Depth=1
	s_andn2_saveexec_b64 s[4:5], s[2:3]
; %bb.265:                              ;   in Loop: Header=BB340_164 Depth=1
	v_or_b32_e32 v6, 0x10000, v7
	v_cmp_eq_u32_sdwa s[2:3], v7, v17 src0_sel:WORD_0 src1_sel:DWORD
	v_cndmask_b32_e64 v6, v6, v7, s[2:3]
; %bb.266:                              ;   in Loop: Header=BB340_164 Depth=1
	s_or_b64 exec, exec, s[4:5]
	v_cmp_lt_u64_e64 s[2:3], s[16:17], v[2:3]
	v_mov_b32_e32 v7, 0
	s_and_saveexec_b64 s[4:5], s[2:3]
	s_cbranch_execz .LBB340_272
; %bb.267:                              ;   in Loop: Header=BB340_164 Depth=1
	v_lshrrev_b32_e32 v2, 24, v3
	v_cmp_ne_u32_e64 s[2:3], s34, v2
	v_bfrev_b32_e32 v7, 1
	s_and_saveexec_b64 s[18:19], s[2:3]
	s_cbranch_execz .LBB340_271
; %bb.268:                              ;   in Loop: Header=BB340_164 Depth=1
	v_bfe_u32 v3, v3, 24, 7
	v_cmp_ne_u32_e64 s[2:3], s35, v3
	v_mov_b32_e32 v7, 0x7f800001
	s_and_saveexec_b64 s[20:21], s[2:3]
	s_cbranch_execz .LBB340_270
; %bb.269:                              ;   in Loop: Header=BB340_164 Depth=1
	v_and_b32_e32 v7, 7, v2
	v_ffbh_u32_e32 v34, v7
	v_min_u32_e32 v37, 32, v34
	v_subrev_u32_e32 v34, 28, v37
	v_lshlrev_b64 v[34:35], v34, v[2:3]
	v_lshrrev_b32_e32 v36, 3, v3
	v_sub_u32_e32 v35, 29, v37
	v_and_b32_e32 v34, 7, v34
	v_cmp_gt_u32_e64 s[2:3], 8, v3
	v_cndmask_b32_e64 v3, v36, v35, s[2:3]
	v_cndmask_b32_e64 v7, v7, v34, s[2:3]
	v_lshlrev_b32_e32 v2, 24, v2
	v_lshlrev_b32_e32 v7, 20, v7
	v_and_b32_e32 v2, 0x80000000, v2
	v_lshl_add_u32 v3, v3, 23, v11
	v_or3_b32 v7, v2, v3, v7
.LBB340_270:                            ;   in Loop: Header=BB340_164 Depth=1
	s_or_b64 exec, exec, s[20:21]
.LBB340_271:                            ;   in Loop: Header=BB340_164 Depth=1
	s_or_b64 exec, exec, s[18:19]
.LBB340_272:                            ;   in Loop: Header=BB340_164 Depth=1
	s_or_b64 exec, exec, s[4:5]
	v_mul_f32_e32 v3, s36, v7
	v_and_b32_e32 v2, 0x7f800000, v3
	v_cmp_ne_u32_e64 s[2:3], s30, v2
                                        ; implicit-def: $vgpr2
	s_and_saveexec_b64 s[4:5], s[2:3]
	s_xor_b64 s[2:3], exec, s[4:5]
; %bb.273:                              ;   in Loop: Header=BB340_164 Depth=1
	v_bfe_u32 v2, v3, 16, 1
	v_add3_u32 v2, v3, v2, s31
                                        ; implicit-def: $vgpr3
; %bb.274:                              ;   in Loop: Header=BB340_164 Depth=1
	s_andn2_saveexec_b64 s[4:5], s[2:3]
; %bb.275:                              ;   in Loop: Header=BB340_164 Depth=1
	v_or_b32_e32 v2, 0x10000, v3
	v_cmp_eq_u32_sdwa s[2:3], v3, v17 src0_sel:WORD_0 src1_sel:DWORD
	v_cndmask_b32_e64 v2, v2, v3, s[2:3]
; %bb.276:                              ;   in Loop: Header=BB340_164 Depth=1
	s_or_b64 exec, exec, s[4:5]
	v_cmp_eq_u32_e64 s[2:3], s11, v10
	v_add_u32_e32 v7, -7, v19
	v_lshrrev_b32_e32 v34, 16, v16
	v_lshrrev_b32_e32 v33, 16, v33
	;; [unrolled: 1-line block ×8, first 2 shown]
	s_and_saveexec_b64 s[18:19], s[2:3]
	s_cbranch_execz .LBB340_278
; %bb.277:                              ;   in Loop: Header=BB340_164 Depth=1
	v_cmp_gt_i32_e64 s[4:5], s33, v7
	v_add_u32_e32 v8, -6, v19
	v_cndmask_b32_e64 v3, 0, v3, s[4:5]
	v_cmp_gt_i32_e64 s[4:5], s33, v8
	v_add_u32_e32 v8, -5, v19
	v_cndmask_b32_e64 v16, 0, v16, s[4:5]
	;; [unrolled: 3-line block ×6, first 2 shown]
	v_cmp_gt_i32_e64 s[4:5], s33, v8
	v_cndmask_b32_e64 v6, 0, v6, s[4:5]
	v_cmp_gt_i32_e64 s[4:5], s33, v19
	v_cndmask_b32_e64 v2, 0, v2, s[4:5]
.LBB340_278:                            ;   in Loop: Header=BB340_164 Depth=1
	s_or_b64 exec, exec, s[18:19]
	v_and_b32_e32 v8, 0xffff0000, v30
	v_lshlrev_b32_e32 v3, 16, v3
	v_mul_f32_e32 v9, v8, v3
	v_and_b32_e32 v3, 0x7f800000, v9
	v_cmp_ne_u32_e64 s[4:5], s30, v3
                                        ; implicit-def: $vgpr3
	s_and_saveexec_b64 s[18:19], s[4:5]
	s_xor_b64 s[4:5], exec, s[18:19]
; %bb.279:                              ;   in Loop: Header=BB340_164 Depth=1
	v_bfe_u32 v3, v9, 16, 1
	v_add3_u32 v3, v9, v3, s31
                                        ; implicit-def: $vgpr9
; %bb.280:                              ;   in Loop: Header=BB340_164 Depth=1
	s_andn2_saveexec_b64 s[18:19], s[4:5]
; %bb.281:                              ;   in Loop: Header=BB340_164 Depth=1
	v_or_b32_e32 v3, 0x10000, v9
	v_cmp_eq_u32_sdwa s[4:5], v9, v17 src0_sel:WORD_0 src1_sel:DWORD
	v_cndmask_b32_e64 v3, v3, v9, s[4:5]
; %bb.282:                              ;   in Loop: Header=BB340_164 Depth=1
	s_or_b64 exec, exec, s[18:19]
	v_and_b32_e32 v9, 0xffff0000, v29
	v_lshlrev_b32_e32 v16, 16, v16
	v_mul_f32_e32 v29, v9, v16
	v_and_b32_e32 v16, 0x7f800000, v29
	v_cmp_ne_u32_e64 s[4:5], s30, v16
                                        ; implicit-def: $vgpr16
	s_and_saveexec_b64 s[18:19], s[4:5]
	s_xor_b64 s[4:5], exec, s[18:19]
; %bb.283:                              ;   in Loop: Header=BB340_164 Depth=1
	v_bfe_u32 v16, v29, 16, 1
	v_add3_u32 v16, v29, v16, s31
                                        ; implicit-def: $vgpr29
; %bb.284:                              ;   in Loop: Header=BB340_164 Depth=1
	s_andn2_saveexec_b64 s[18:19], s[4:5]
; %bb.285:                              ;   in Loop: Header=BB340_164 Depth=1
	v_or_b32_e32 v16, 0x10000, v29
	v_cmp_eq_u32_sdwa s[4:5], v29, v17 src0_sel:WORD_0 src1_sel:DWORD
	v_cndmask_b32_e64 v16, v16, v29, s[4:5]
; %bb.286:                              ;   in Loop: Header=BB340_164 Depth=1
	s_or_b64 exec, exec, s[18:19]
	v_and_b32_e32 v23, 0xffff0000, v23
	v_lshlrev_b32_e32 v29, 16, v31
	v_mul_f32_e32 v30, v23, v29
	v_and_b32_e32 v29, 0x7f800000, v30
	v_cmp_ne_u32_e64 s[4:5], s30, v29
                                        ; implicit-def: $vgpr29
	s_and_saveexec_b64 s[18:19], s[4:5]
	s_xor_b64 s[4:5], exec, s[18:19]
; %bb.287:                              ;   in Loop: Header=BB340_164 Depth=1
	v_bfe_u32 v29, v30, 16, 1
	v_add3_u32 v29, v30, v29, s31
                                        ; implicit-def: $vgpr30
; %bb.288:                              ;   in Loop: Header=BB340_164 Depth=1
	s_andn2_saveexec_b64 s[18:19], s[4:5]
; %bb.289:                              ;   in Loop: Header=BB340_164 Depth=1
	v_or_b32_e32 v29, 0x10000, v30
	v_cmp_eq_u32_sdwa s[4:5], v30, v17 src0_sel:WORD_0 src1_sel:DWORD
	v_cndmask_b32_e64 v29, v29, v30, s[4:5]
; %bb.290:                              ;   in Loop: Header=BB340_164 Depth=1
	s_or_b64 exec, exec, s[18:19]
	v_and_b32_e32 v24, 0xffff0000, v24
	v_lshlrev_b32_e32 v30, 16, v32
	v_mul_f32_e32 v31, v24, v30
	v_and_b32_e32 v30, 0x7f800000, v31
	v_cmp_ne_u32_e64 s[4:5], s30, v30
                                        ; implicit-def: $vgpr30
	s_and_saveexec_b64 s[18:19], s[4:5]
	s_xor_b64 s[4:5], exec, s[18:19]
; %bb.291:                              ;   in Loop: Header=BB340_164 Depth=1
	v_bfe_u32 v30, v31, 16, 1
	v_add3_u32 v30, v31, v30, s31
                                        ; implicit-def: $vgpr31
; %bb.292:                              ;   in Loop: Header=BB340_164 Depth=1
	s_andn2_saveexec_b64 s[18:19], s[4:5]
; %bb.293:                              ;   in Loop: Header=BB340_164 Depth=1
	v_or_b32_e32 v30, 0x10000, v31
	v_cmp_eq_u32_sdwa s[4:5], v31, v17 src0_sel:WORD_0 src1_sel:DWORD
	v_cndmask_b32_e64 v30, v30, v31, s[4:5]
; %bb.294:                              ;   in Loop: Header=BB340_164 Depth=1
	s_or_b64 exec, exec, s[18:19]
	v_and_b32_e32 v25, 0xffff0000, v25
	v_lshlrev_b32_e32 v31, 16, v33
	v_mul_f32_e32 v32, v25, v31
	v_and_b32_e32 v31, 0x7f800000, v32
	v_cmp_ne_u32_e64 s[4:5], s30, v31
                                        ; implicit-def: $vgpr31
	s_and_saveexec_b64 s[18:19], s[4:5]
	s_xor_b64 s[4:5], exec, s[18:19]
; %bb.295:                              ;   in Loop: Header=BB340_164 Depth=1
	v_bfe_u32 v31, v32, 16, 1
	v_add3_u32 v31, v32, v31, s31
                                        ; implicit-def: $vgpr32
; %bb.296:                              ;   in Loop: Header=BB340_164 Depth=1
	s_andn2_saveexec_b64 s[18:19], s[4:5]
; %bb.297:                              ;   in Loop: Header=BB340_164 Depth=1
	v_or_b32_e32 v31, 0x10000, v32
	v_cmp_eq_u32_sdwa s[4:5], v32, v17 src0_sel:WORD_0 src1_sel:DWORD
	v_cndmask_b32_e64 v31, v31, v32, s[4:5]
; %bb.298:                              ;   in Loop: Header=BB340_164 Depth=1
	s_or_b64 exec, exec, s[18:19]
	v_and_b32_e32 v26, 0xffff0000, v26
	v_lshlrev_b32_e32 v32, 16, v34
	v_mul_f32_e32 v33, v26, v32
	v_and_b32_e32 v32, 0x7f800000, v33
	v_cmp_ne_u32_e64 s[4:5], s30, v32
                                        ; implicit-def: $vgpr32
	s_and_saveexec_b64 s[18:19], s[4:5]
	s_xor_b64 s[4:5], exec, s[18:19]
; %bb.299:                              ;   in Loop: Header=BB340_164 Depth=1
	v_bfe_u32 v32, v33, 16, 1
	v_add3_u32 v32, v33, v32, s31
                                        ; implicit-def: $vgpr33
; %bb.300:                              ;   in Loop: Header=BB340_164 Depth=1
	s_andn2_saveexec_b64 s[18:19], s[4:5]
; %bb.301:                              ;   in Loop: Header=BB340_164 Depth=1
	v_or_b32_e32 v32, 0x10000, v33
	v_cmp_eq_u32_sdwa s[4:5], v33, v17 src0_sel:WORD_0 src1_sel:DWORD
	v_cndmask_b32_e64 v32, v32, v33, s[4:5]
; %bb.302:                              ;   in Loop: Header=BB340_164 Depth=1
	s_or_b64 exec, exec, s[18:19]
	v_and_b32_e32 v27, 0xffff0000, v27
	v_lshlrev_b32_e32 v6, 16, v6
	v_mul_f32_e32 v33, v27, v6
	v_and_b32_e32 v6, 0x7f800000, v33
	v_cmp_ne_u32_e64 s[4:5], s30, v6
                                        ; implicit-def: $vgpr6
	s_and_saveexec_b64 s[18:19], s[4:5]
	s_xor_b64 s[4:5], exec, s[18:19]
; %bb.303:                              ;   in Loop: Header=BB340_164 Depth=1
	v_bfe_u32 v6, v33, 16, 1
	v_add3_u32 v6, v33, v6, s31
                                        ; implicit-def: $vgpr33
; %bb.304:                              ;   in Loop: Header=BB340_164 Depth=1
	s_andn2_saveexec_b64 s[18:19], s[4:5]
; %bb.305:                              ;   in Loop: Header=BB340_164 Depth=1
	v_or_b32_e32 v6, 0x10000, v33
	v_cmp_eq_u32_sdwa s[4:5], v33, v17 src0_sel:WORD_0 src1_sel:DWORD
	v_cndmask_b32_e64 v6, v6, v33, s[4:5]
; %bb.306:                              ;   in Loop: Header=BB340_164 Depth=1
	s_or_b64 exec, exec, s[18:19]
	v_and_b32_e32 v28, 0xffff0000, v28
	v_lshlrev_b32_e32 v2, 16, v2
	v_mul_f32_e32 v2, v28, v2
	v_and_b32_e32 v33, 0x7f800000, v2
	v_cmp_ne_u32_e64 s[4:5], s30, v33
                                        ; implicit-def: $vgpr33
	s_and_saveexec_b64 s[18:19], s[4:5]
	s_xor_b64 s[4:5], exec, s[18:19]
; %bb.307:                              ;   in Loop: Header=BB340_164 Depth=1
	v_bfe_u32 v33, v2, 16, 1
	v_add3_u32 v33, v2, v33, s31
                                        ; implicit-def: $vgpr2
; %bb.308:                              ;   in Loop: Header=BB340_164 Depth=1
	s_andn2_saveexec_b64 s[18:19], s[4:5]
; %bb.309:                              ;   in Loop: Header=BB340_164 Depth=1
	v_or_b32_e32 v33, 0x10000, v2
	v_cmp_eq_u32_sdwa s[4:5], v2, v17 src0_sel:WORD_0 src1_sel:DWORD
	v_cndmask_b32_e64 v33, v33, v2, s[4:5]
; %bb.310:                              ;   in Loop: Header=BB340_164 Depth=1
	s_or_b64 exec, exec, s[18:19]
	v_and_b32_e32 v34, 0xffff0000, v31
	v_and_b32_e32 v31, 0xffff0000, v30
	;; [unrolled: 1-line block ×5, first 2 shown]
	v_pk_add_f32 v[2:3], v[36:37], v[30:31]
	v_and_b32_e32 v33, 0xffff0000, v33
	v_and_b32_e32 v32, 0xffff0000, v32
	;; [unrolled: 1-line block ×3, first 2 shown]
	v_mov_b32_e32 v6, v3
	v_pk_add_f32 v[2:3], v[2:3], v[6:7]
	v_pk_add_f32 v[30:31], v[34:35], v[32:33]
	;; [unrolled: 1-line block ×3, first 2 shown]
	v_mov_b32_e32 v6, v31
	v_pk_add_f32 v[2:3], v[2:3], v[6:7]
	v_pk_add_f32 v[2:3], v[12:13], v[2:3]
	s_and_saveexec_b64 s[18:19], vcc
	s_cbranch_execz .LBB340_163
; %bb.311:                              ;   in Loop: Header=BB340_164 Depth=1
	v_add_co_u32_e64 v4, s[4:5], v4, v18
	v_addc_co_u32_e64 v5, s[4:5], 0, v5, s[4:5]
	global_load_dwordx2 v[4:5], v[4:5], off
	v_mov_b32_e32 v3, 0
	s_waitcnt vmcnt(0)
	v_cmp_ne_u16_sdwa s[4:5], v4, v17 src0_sel:BYTE_0 src1_sel:DWORD
	s_and_saveexec_b64 s[20:21], s[4:5]
	s_cbranch_execz .LBB340_317
; %bb.312:                              ;   in Loop: Header=BB340_164 Depth=1
	v_cmp_ne_u16_sdwa s[4:5], v4, s34 src0_sel:BYTE_0 src1_sel:DWORD
	v_bfrev_b32_e32 v3, 1
	s_and_saveexec_b64 s[22:23], s[4:5]
	s_cbranch_execz .LBB340_316
; %bb.313:                              ;   in Loop: Header=BB340_164 Depth=1
	v_and_b32_e32 v6, 0x7f, v4
	v_cmp_ne_u32_e64 s[4:5], s35, v6
	v_mov_b32_e32 v3, 0x7f800001
	s_and_saveexec_b64 s[28:29], s[4:5]
	s_cbranch_execz .LBB340_315
; %bb.314:                              ;   in Loop: Header=BB340_164 Depth=1
	v_and_b32_e32 v3, 7, v4
	v_ffbh_u32_e32 v3, v3
	v_min_u32_e32 v3, 32, v3
	v_subrev_u32_e32 v29, 28, v3
	v_cmp_gt_u32_e64 s[4:5], 8, v6
	v_lshrrev_b32_e32 v16, 3, v6
	v_cndmask_b32_e64 v6, 0, v29, s[4:5]
	v_sub_u32_e32 v3, 29, v3
	v_lshlrev_b64 v[30:31], v6, v[4:5]
	v_cndmask_b32_e64 v3, v16, v3, s[4:5]
	v_lshlrev_b32_e32 v6, 20, v30
	v_lshlrev_b32_e32 v16, 24, v4
	v_and_b32_e32 v6, 0x700000, v6
	v_and_b32_e32 v16, 0x80000000, v16
	v_lshl_add_u32 v3, v3, 23, v11
	v_or3_b32 v3, v16, v3, v6
.LBB340_315:                            ;   in Loop: Header=BB340_164 Depth=1
	s_or_b64 exec, exec, s[28:29]
.LBB340_316:                            ;   in Loop: Header=BB340_164 Depth=1
	s_or_b64 exec, exec, s[22:23]
.LBB340_317:                            ;   in Loop: Header=BB340_164 Depth=1
	s_or_b64 exec, exec, s[20:21]
	v_mul_f32_e32 v6, s36, v3
	v_and_b32_e32 v3, 0x7f800000, v6
	v_cmp_ne_u32_e64 s[4:5], s30, v3
                                        ; implicit-def: $vgpr3
	s_and_saveexec_b64 s[20:21], s[4:5]
	s_xor_b64 s[4:5], exec, s[20:21]
; %bb.318:                              ;   in Loop: Header=BB340_164 Depth=1
	v_bfe_u32 v3, v6, 16, 1
	v_add3_u32 v3, v6, v3, s31
                                        ; implicit-def: $vgpr6
; %bb.319:                              ;   in Loop: Header=BB340_164 Depth=1
	s_andn2_saveexec_b64 s[20:21], s[4:5]
; %bb.320:                              ;   in Loop: Header=BB340_164 Depth=1
	v_or_b32_e32 v3, 0x10000, v6
	v_cmp_eq_u32_sdwa s[4:5], v6, v17 src0_sel:WORD_0 src1_sel:DWORD
	v_cndmask_b32_e64 v3, v3, v6, s[4:5]
; %bb.321:                              ;   in Loop: Header=BB340_164 Depth=1
	s_or_b64 exec, exec, s[20:21]
	v_lshrrev_b16_e32 v6, 8, v4
	v_cmp_ne_u16_e64 s[4:5], 0, v6
	v_mov_b32_e32 v16, 0
	s_and_saveexec_b64 s[20:21], s[4:5]
	s_cbranch_execz .LBB340_327
; %bb.322:                              ;   in Loop: Header=BB340_164 Depth=1
	v_cmp_ne_u16_e64 s[4:5], s34, v6
	v_bfrev_b32_e32 v16, 1
	s_and_saveexec_b64 s[22:23], s[4:5]
	s_cbranch_execz .LBB340_326
; %bb.323:                              ;   in Loop: Header=BB340_164 Depth=1
	v_and_b32_e32 v29, 0x7f, v6
	v_cmp_ne_u32_e64 s[4:5], s35, v29
	v_mov_b32_e32 v16, 0x7f800001
	s_and_saveexec_b64 s[28:29], s[4:5]
	s_cbranch_execz .LBB340_325
; %bb.324:                              ;   in Loop: Header=BB340_164 Depth=1
	v_and_b32_e32 v16, 7, v6
	v_ffbh_u32_e32 v30, v16
	v_min_u32_e32 v33, 32, v30
	v_subrev_u32_e32 v30, 28, v33
	v_lshlrev_b64 v[30:31], v30, v[6:7]
	v_lshrrev_b32_e32 v32, 3, v29
	v_sub_u32_e32 v6, 29, v33
	v_and_b32_e32 v30, 7, v30
	v_cmp_gt_u32_e64 s[4:5], 8, v29
	v_cndmask_b32_e64 v6, v32, v6, s[4:5]
	v_cndmask_b32_e64 v16, v16, v30, s[4:5]
	v_lshlrev_b32_e32 v29, 16, v4
	v_lshlrev_b32_e32 v16, 20, v16
	v_and_b32_e32 v29, 0x80000000, v29
	v_lshl_add_u32 v6, v6, 23, v11
	v_or3_b32 v16, v29, v6, v16
.LBB340_325:                            ;   in Loop: Header=BB340_164 Depth=1
	s_or_b64 exec, exec, s[28:29]
.LBB340_326:                            ;   in Loop: Header=BB340_164 Depth=1
	s_or_b64 exec, exec, s[22:23]
.LBB340_327:                            ;   in Loop: Header=BB340_164 Depth=1
	s_or_b64 exec, exec, s[20:21]
	v_mul_f32_e32 v6, s36, v16
	v_and_b32_e32 v16, 0x7f800000, v6
	v_cmp_ne_u32_e64 s[4:5], s30, v16
                                        ; implicit-def: $vgpr29
	s_and_saveexec_b64 s[20:21], s[4:5]
	s_xor_b64 s[4:5], exec, s[20:21]
; %bb.328:                              ;   in Loop: Header=BB340_164 Depth=1
	v_bfe_u32 v16, v6, 16, 1
	v_add3_u32 v29, v6, v16, s31
                                        ; implicit-def: $vgpr6
; %bb.329:                              ;   in Loop: Header=BB340_164 Depth=1
	s_andn2_saveexec_b64 s[20:21], s[4:5]
; %bb.330:                              ;   in Loop: Header=BB340_164 Depth=1
	v_or_b32_e32 v16, 0x10000, v6
	v_cmp_eq_u32_sdwa s[4:5], v6, v17 src0_sel:WORD_0 src1_sel:DWORD
	v_cndmask_b32_e64 v29, v16, v6, s[4:5]
; %bb.331:                              ;   in Loop: Header=BB340_164 Depth=1
	s_or_b64 exec, exec, s[20:21]
	v_lshrrev_b32_e32 v6, 16, v4
	v_cmp_ne_u16_sdwa s[4:5], v6, v17 src0_sel:BYTE_0 src1_sel:DWORD
	v_mov_b32_e32 v16, 0
	s_and_saveexec_b64 s[20:21], s[4:5]
	s_cbranch_execz .LBB340_337
; %bb.332:                              ;   in Loop: Header=BB340_164 Depth=1
	v_cmp_ne_u16_sdwa s[4:5], v6, s34 src0_sel:BYTE_0 src1_sel:DWORD
	v_bfrev_b32_e32 v16, 1
	s_and_saveexec_b64 s[22:23], s[4:5]
	s_cbranch_execz .LBB340_336
; %bb.333:                              ;   in Loop: Header=BB340_164 Depth=1
	v_bfe_u32 v30, v4, 16, 7
	v_cmp_ne_u32_e64 s[4:5], s35, v30
	v_mov_b32_e32 v16, 0x7f800001
	s_and_saveexec_b64 s[28:29], s[4:5]
	s_cbranch_execz .LBB340_335
; %bb.334:                              ;   in Loop: Header=BB340_164 Depth=1
	v_and_b32_e32 v16, 7, v6
	v_ffbh_u32_e32 v32, v16
	v_min_u32_e32 v34, 32, v32
	v_subrev_u32_e32 v32, 28, v34
	v_lshlrev_b64 v[32:33], v32, v[6:7]
	v_lshrrev_b32_e32 v31, 3, v30
	v_sub_u32_e32 v33, 29, v34
	v_and_b32_e32 v32, 7, v32
	v_cmp_gt_u32_e64 s[4:5], 8, v30
	v_cndmask_b32_e64 v30, v31, v33, s[4:5]
	v_cndmask_b32_e64 v16, v16, v32, s[4:5]
	v_lshlrev_b32_e32 v6, 24, v6
	v_lshlrev_b32_e32 v16, 20, v16
	v_and_b32_e32 v6, 0x80000000, v6
	v_lshl_add_u32 v30, v30, 23, v11
	v_or3_b32 v16, v6, v30, v16
.LBB340_335:                            ;   in Loop: Header=BB340_164 Depth=1
	s_or_b64 exec, exec, s[28:29]
.LBB340_336:                            ;   in Loop: Header=BB340_164 Depth=1
	s_or_b64 exec, exec, s[22:23]
.LBB340_337:                            ;   in Loop: Header=BB340_164 Depth=1
	s_or_b64 exec, exec, s[20:21]
	v_mul_f32_e32 v6, s36, v16
	v_and_b32_e32 v16, 0x7f800000, v6
	v_cmp_ne_u32_e64 s[4:5], s30, v16
                                        ; implicit-def: $vgpr30
	s_and_saveexec_b64 s[20:21], s[4:5]
	s_xor_b64 s[4:5], exec, s[20:21]
; %bb.338:                              ;   in Loop: Header=BB340_164 Depth=1
	v_bfe_u32 v16, v6, 16, 1
	v_add3_u32 v30, v6, v16, s31
                                        ; implicit-def: $vgpr6
; %bb.339:                              ;   in Loop: Header=BB340_164 Depth=1
	s_andn2_saveexec_b64 s[20:21], s[4:5]
; %bb.340:                              ;   in Loop: Header=BB340_164 Depth=1
	v_or_b32_e32 v16, 0x10000, v6
	v_cmp_eq_u32_sdwa s[4:5], v6, v17 src0_sel:WORD_0 src1_sel:DWORD
	v_cndmask_b32_e64 v30, v16, v6, s[4:5]
; %bb.341:                              ;   in Loop: Header=BB340_164 Depth=1
	s_or_b64 exec, exec, s[20:21]
	v_cmp_lt_u32_e64 s[4:5], s17, v4
	v_mov_b32_e32 v16, 0
	s_and_saveexec_b64 s[20:21], s[4:5]
	s_cbranch_execz .LBB340_347
; %bb.342:                              ;   in Loop: Header=BB340_164 Depth=1
	v_lshrrev_b32_e32 v6, 24, v4
	v_cmp_ne_u32_e64 s[4:5], s34, v6
	v_bfrev_b32_e32 v16, 1
	s_and_saveexec_b64 s[22:23], s[4:5]
	s_cbranch_execz .LBB340_346
; %bb.343:                              ;   in Loop: Header=BB340_164 Depth=1
	v_bfe_u32 v31, v4, 24, 7
	v_cmp_ne_u32_e64 s[4:5], s35, v31
	v_mov_b32_e32 v16, 0x7f800001
	s_and_saveexec_b64 s[28:29], s[4:5]
	s_cbranch_execz .LBB340_345
; %bb.344:                              ;   in Loop: Header=BB340_164 Depth=1
	v_and_b32_e32 v16, 7, v6
	v_ffbh_u32_e32 v32, v16
	v_min_u32_e32 v35, 32, v32
	v_subrev_u32_e32 v32, 28, v35
	v_lshlrev_b64 v[32:33], v32, v[6:7]
	v_lshrrev_b32_e32 v34, 3, v31
	v_sub_u32_e32 v33, 29, v35
	v_and_b32_e32 v32, 7, v32
	v_cmp_gt_u32_e64 s[4:5], 8, v31
	v_cndmask_b32_e64 v31, v34, v33, s[4:5]
	v_cndmask_b32_e64 v16, v16, v32, s[4:5]
	v_lshlrev_b32_e32 v6, 24, v6
	v_lshlrev_b32_e32 v16, 20, v16
	v_and_b32_e32 v6, 0x80000000, v6
	v_lshl_add_u32 v31, v31, 23, v11
	v_or3_b32 v16, v6, v31, v16
.LBB340_345:                            ;   in Loop: Header=BB340_164 Depth=1
	s_or_b64 exec, exec, s[28:29]
.LBB340_346:                            ;   in Loop: Header=BB340_164 Depth=1
	s_or_b64 exec, exec, s[22:23]
.LBB340_347:                            ;   in Loop: Header=BB340_164 Depth=1
	s_or_b64 exec, exec, s[20:21]
	v_mul_f32_e32 v6, s36, v16
	v_and_b32_e32 v16, 0x7f800000, v6
	v_cmp_ne_u32_e64 s[4:5], s30, v16
                                        ; implicit-def: $vgpr31
	s_and_saveexec_b64 s[20:21], s[4:5]
	s_xor_b64 s[4:5], exec, s[20:21]
; %bb.348:                              ;   in Loop: Header=BB340_164 Depth=1
	v_bfe_u32 v16, v6, 16, 1
	v_add3_u32 v31, v6, v16, s31
                                        ; implicit-def: $vgpr6
; %bb.349:                              ;   in Loop: Header=BB340_164 Depth=1
	s_andn2_saveexec_b64 s[20:21], s[4:5]
; %bb.350:                              ;   in Loop: Header=BB340_164 Depth=1
	v_or_b32_e32 v16, 0x10000, v6
	v_cmp_eq_u32_sdwa s[4:5], v6, v17 src0_sel:WORD_0 src1_sel:DWORD
	v_cndmask_b32_e64 v31, v16, v6, s[4:5]
; %bb.351:                              ;   in Loop: Header=BB340_164 Depth=1
	s_or_b64 exec, exec, s[20:21]
	v_mov_b32_e32 v16, v5
	v_cmp_ne_u16_sdwa s[4:5], v5, v17 src0_sel:BYTE_0 src1_sel:DWORD
	v_mov_b32_e32 v6, 0
	s_and_saveexec_b64 s[20:21], s[4:5]
	s_cbranch_execz .LBB340_357
; %bb.352:                              ;   in Loop: Header=BB340_164 Depth=1
	v_cmp_ne_u16_sdwa s[4:5], v5, s34 src0_sel:BYTE_0 src1_sel:DWORD
	v_bfrev_b32_e32 v6, 1
	s_and_saveexec_b64 s[22:23], s[4:5]
	s_cbranch_execz .LBB340_356
; %bb.353:                              ;   in Loop: Header=BB340_164 Depth=1
	v_and_b32_e32 v32, 0x7f, v5
	v_cmp_ne_u32_e64 s[4:5], s35, v32
	v_mov_b32_e32 v6, 0x7f800001
	s_and_saveexec_b64 s[28:29], s[4:5]
	s_cbranch_execz .LBB340_355
; %bb.354:                              ;   in Loop: Header=BB340_164 Depth=1
	v_and_b32_e32 v6, 7, v5
	v_ffbh_u32_e32 v6, v6
	v_min_u32_e32 v6, 32, v6
	v_subrev_u32_e32 v34, 28, v6
	v_cmp_gt_u32_e64 s[4:5], 8, v32
	v_lshrrev_b32_e32 v33, 3, v32
	v_sub_u32_e32 v6, 29, v6
	v_cndmask_b32_e64 v32, 0, v34, s[4:5]
	v_cndmask_b32_e64 v6, v33, v6, s[4:5]
	v_lshlrev_b64 v[32:33], v32, v[16:17]
	v_lshlrev_b32_e32 v32, 20, v32
	v_lshlrev_b32_e32 v33, 24, v16
	v_and_b32_e32 v32, 0x700000, v32
	v_and_b32_e32 v33, 0x80000000, v33
	v_lshl_add_u32 v6, v6, 23, v11
	v_or3_b32 v6, v33, v6, v32
.LBB340_355:                            ;   in Loop: Header=BB340_164 Depth=1
	s_or_b64 exec, exec, s[28:29]
.LBB340_356:                            ;   in Loop: Header=BB340_164 Depth=1
	s_or_b64 exec, exec, s[22:23]
.LBB340_357:                            ;   in Loop: Header=BB340_164 Depth=1
	s_or_b64 exec, exec, s[20:21]
	v_mul_f32_e32 v6, s36, v6
	v_and_b32_e32 v32, 0x7f800000, v6
	v_cmp_ne_u32_e64 s[4:5], s30, v32
                                        ; implicit-def: $vgpr32
	s_and_saveexec_b64 s[20:21], s[4:5]
	s_xor_b64 s[4:5], exec, s[20:21]
; %bb.358:                              ;   in Loop: Header=BB340_164 Depth=1
	v_bfe_u32 v32, v6, 16, 1
	v_add3_u32 v32, v6, v32, s31
                                        ; implicit-def: $vgpr6
; %bb.359:                              ;   in Loop: Header=BB340_164 Depth=1
	s_andn2_saveexec_b64 s[20:21], s[4:5]
; %bb.360:                              ;   in Loop: Header=BB340_164 Depth=1
	v_or_b32_e32 v32, 0x10000, v6
	v_cmp_eq_u32_sdwa s[4:5], v6, v17 src0_sel:WORD_0 src1_sel:DWORD
	v_cndmask_b32_e64 v32, v32, v6, s[4:5]
; %bb.361:                              ;   in Loop: Header=BB340_164 Depth=1
	s_or_b64 exec, exec, s[20:21]
	v_lshrrev_b16_e32 v6, 8, v16
	v_cmp_ne_u16_e64 s[4:5], 0, v6
	v_mov_b32_e32 v33, 0
	s_and_saveexec_b64 s[20:21], s[4:5]
	s_cbranch_execz .LBB340_367
; %bb.362:                              ;   in Loop: Header=BB340_164 Depth=1
	v_cmp_ne_u16_e64 s[4:5], s34, v6
	v_bfrev_b32_e32 v33, 1
	s_and_saveexec_b64 s[22:23], s[4:5]
	s_cbranch_execz .LBB340_366
; %bb.363:                              ;   in Loop: Header=BB340_164 Depth=1
	v_and_b32_e32 v34, 0x7f, v6
	v_cmp_ne_u32_e64 s[4:5], s35, v34
	v_mov_b32_e32 v33, 0x7f800001
	s_and_saveexec_b64 s[28:29], s[4:5]
	s_cbranch_execz .LBB340_365
; %bb.364:                              ;   in Loop: Header=BB340_164 Depth=1
	v_and_b32_e32 v33, 7, v6
	v_ffbh_u32_e32 v36, v33
	v_min_u32_e32 v38, 32, v36
	v_subrev_u32_e32 v36, 28, v38
	v_lshlrev_b64 v[36:37], v36, v[6:7]
	v_lshrrev_b32_e32 v35, 3, v34
	v_sub_u32_e32 v6, 29, v38
	v_and_b32_e32 v36, 7, v36
	v_cmp_gt_u32_e64 s[4:5], 8, v34
	v_cndmask_b32_e64 v6, v35, v6, s[4:5]
	v_cndmask_b32_e64 v33, v33, v36, s[4:5]
	v_lshlrev_b32_e32 v16, 16, v16
	v_lshlrev_b32_e32 v33, 20, v33
	v_and_b32_e32 v16, 0x80000000, v16
	v_lshl_add_u32 v6, v6, 23, v11
	v_or3_b32 v33, v16, v6, v33
.LBB340_365:                            ;   in Loop: Header=BB340_164 Depth=1
	s_or_b64 exec, exec, s[28:29]
.LBB340_366:                            ;   in Loop: Header=BB340_164 Depth=1
	s_or_b64 exec, exec, s[22:23]
.LBB340_367:                            ;   in Loop: Header=BB340_164 Depth=1
	s_or_b64 exec, exec, s[20:21]
	v_mul_f32_e32 v6, s36, v33
	v_and_b32_e32 v16, 0x7f800000, v6
	v_cmp_ne_u32_e64 s[4:5], s30, v16
                                        ; implicit-def: $vgpr16
	s_and_saveexec_b64 s[20:21], s[4:5]
	s_xor_b64 s[4:5], exec, s[20:21]
; %bb.368:                              ;   in Loop: Header=BB340_164 Depth=1
	v_bfe_u32 v16, v6, 16, 1
	v_add3_u32 v16, v6, v16, s31
                                        ; implicit-def: $vgpr6
; %bb.369:                              ;   in Loop: Header=BB340_164 Depth=1
	s_andn2_saveexec_b64 s[20:21], s[4:5]
; %bb.370:                              ;   in Loop: Header=BB340_164 Depth=1
	v_or_b32_e32 v16, 0x10000, v6
	v_cmp_eq_u32_sdwa s[4:5], v6, v17 src0_sel:WORD_0 src1_sel:DWORD
	v_cndmask_b32_e64 v16, v16, v6, s[4:5]
; %bb.371:                              ;   in Loop: Header=BB340_164 Depth=1
	s_or_b64 exec, exec, s[20:21]
	v_lshrrev_b32_e32 v6, 16, v5
	v_cmp_ne_u16_sdwa s[4:5], v6, v17 src0_sel:BYTE_0 src1_sel:DWORD
	v_mov_b32_e32 v33, 0
	s_and_saveexec_b64 s[20:21], s[4:5]
	s_cbranch_execz .LBB340_377
; %bb.372:                              ;   in Loop: Header=BB340_164 Depth=1
	v_cmp_ne_u16_sdwa s[4:5], v6, s34 src0_sel:BYTE_0 src1_sel:DWORD
	v_bfrev_b32_e32 v33, 1
	s_and_saveexec_b64 s[22:23], s[4:5]
	s_cbranch_execz .LBB340_376
; %bb.373:                              ;   in Loop: Header=BB340_164 Depth=1
	v_bfe_u32 v34, v5, 16, 7
	v_cmp_ne_u32_e64 s[4:5], s35, v34
	v_mov_b32_e32 v33, 0x7f800001
	s_and_saveexec_b64 s[28:29], s[4:5]
	s_cbranch_execz .LBB340_375
; %bb.374:                              ;   in Loop: Header=BB340_164 Depth=1
	v_and_b32_e32 v33, 7, v6
	v_ffbh_u32_e32 v36, v33
	v_min_u32_e32 v38, 32, v36
	v_subrev_u32_e32 v36, 28, v38
	v_lshlrev_b64 v[36:37], v36, v[6:7]
	v_lshrrev_b32_e32 v35, 3, v34
	v_sub_u32_e32 v37, 29, v38
	v_and_b32_e32 v36, 7, v36
	v_cmp_gt_u32_e64 s[4:5], 8, v34
	v_cndmask_b32_e64 v34, v35, v37, s[4:5]
	v_cndmask_b32_e64 v33, v33, v36, s[4:5]
	v_lshlrev_b32_e32 v6, 24, v6
	v_lshlrev_b32_e32 v33, 20, v33
	v_and_b32_e32 v6, 0x80000000, v6
	v_lshl_add_u32 v34, v34, 23, v11
	v_or3_b32 v33, v6, v34, v33
.LBB340_375:                            ;   in Loop: Header=BB340_164 Depth=1
	s_or_b64 exec, exec, s[28:29]
.LBB340_376:                            ;   in Loop: Header=BB340_164 Depth=1
	s_or_b64 exec, exec, s[22:23]
.LBB340_377:                            ;   in Loop: Header=BB340_164 Depth=1
	s_or_b64 exec, exec, s[20:21]
	v_mul_f32_e32 v33, s36, v33
	v_and_b32_e32 v6, 0x7f800000, v33
	v_cmp_ne_u32_e64 s[4:5], s30, v6
                                        ; implicit-def: $vgpr6
	s_and_saveexec_b64 s[20:21], s[4:5]
	s_xor_b64 s[4:5], exec, s[20:21]
; %bb.378:                              ;   in Loop: Header=BB340_164 Depth=1
	v_bfe_u32 v6, v33, 16, 1
	v_add3_u32 v6, v33, v6, s31
                                        ; implicit-def: $vgpr33
; %bb.379:                              ;   in Loop: Header=BB340_164 Depth=1
	s_andn2_saveexec_b64 s[20:21], s[4:5]
; %bb.380:                              ;   in Loop: Header=BB340_164 Depth=1
	v_or_b32_e32 v6, 0x10000, v33
	v_cmp_eq_u32_sdwa s[4:5], v33, v17 src0_sel:WORD_0 src1_sel:DWORD
	v_cndmask_b32_e64 v6, v6, v33, s[4:5]
; %bb.381:                              ;   in Loop: Header=BB340_164 Depth=1
	s_or_b64 exec, exec, s[20:21]
	v_cmp_lt_u64_e64 s[4:5], s[16:17], v[4:5]
	v_mov_b32_e32 v33, 0
	s_and_saveexec_b64 s[20:21], s[4:5]
	s_cbranch_execz .LBB340_387
; %bb.382:                              ;   in Loop: Header=BB340_164 Depth=1
	v_lshrrev_b32_e32 v4, 24, v5
	v_cmp_ne_u32_e64 s[4:5], s34, v4
	v_bfrev_b32_e32 v33, 1
	s_and_saveexec_b64 s[22:23], s[4:5]
	s_cbranch_execz .LBB340_386
; %bb.383:                              ;   in Loop: Header=BB340_164 Depth=1
	v_bfe_u32 v5, v5, 24, 7
	v_cmp_ne_u32_e64 s[4:5], s35, v5
	v_mov_b32_e32 v33, 0x7f800001
	s_and_saveexec_b64 s[28:29], s[4:5]
	s_cbranch_execz .LBB340_385
; %bb.384:                              ;   in Loop: Header=BB340_164 Depth=1
	v_and_b32_e32 v33, 7, v4
	v_ffbh_u32_e32 v34, v33
	v_min_u32_e32 v37, 32, v34
	v_subrev_u32_e32 v34, 28, v37
	v_lshlrev_b64 v[34:35], v34, v[4:5]
	v_lshrrev_b32_e32 v36, 3, v5
	v_sub_u32_e32 v35, 29, v37
	v_and_b32_e32 v34, 7, v34
	v_cmp_gt_u32_e64 s[4:5], 8, v5
	v_cndmask_b32_e64 v5, v36, v35, s[4:5]
	v_cndmask_b32_e64 v33, v33, v34, s[4:5]
	v_lshlrev_b32_e32 v4, 24, v4
	v_lshlrev_b32_e32 v33, 20, v33
	v_and_b32_e32 v4, 0x80000000, v4
	v_lshl_add_u32 v5, v5, 23, v11
	v_or3_b32 v33, v4, v5, v33
.LBB340_385:                            ;   in Loop: Header=BB340_164 Depth=1
	s_or_b64 exec, exec, s[28:29]
.LBB340_386:                            ;   in Loop: Header=BB340_164 Depth=1
	s_or_b64 exec, exec, s[22:23]
.LBB340_387:                            ;   in Loop: Header=BB340_164 Depth=1
	s_or_b64 exec, exec, s[20:21]
	v_mul_f32_e32 v4, s36, v33
	v_and_b32_e32 v5, 0x7f800000, v4
	v_cmp_ne_u32_e64 s[4:5], s30, v5
                                        ; implicit-def: $vgpr33
	s_and_saveexec_b64 s[20:21], s[4:5]
	s_xor_b64 s[4:5], exec, s[20:21]
; %bb.388:                              ;   in Loop: Header=BB340_164 Depth=1
	v_bfe_u32 v5, v4, 16, 1
	v_add3_u32 v33, v4, v5, s31
                                        ; implicit-def: $vgpr4
; %bb.389:                              ;   in Loop: Header=BB340_164 Depth=1
	s_andn2_saveexec_b64 s[20:21], s[4:5]
; %bb.390:                              ;   in Loop: Header=BB340_164 Depth=1
	v_or_b32_e32 v5, 0x10000, v4
	v_cmp_eq_u32_sdwa s[4:5], v4, v17 src0_sel:WORD_0 src1_sel:DWORD
	v_cndmask_b32_e64 v33, v5, v4, s[4:5]
; %bb.391:                              ;   in Loop: Header=BB340_164 Depth=1
	s_or_b64 exec, exec, s[20:21]
	v_lshrrev_b32_e32 v16, 16, v16
	v_lshrrev_b32_e32 v32, 16, v32
	;; [unrolled: 1-line block ×8, first 2 shown]
	s_and_saveexec_b64 s[4:5], s[2:3]
	s_cbranch_execz .LBB340_393
; %bb.392:                              ;   in Loop: Header=BB340_164 Depth=1
	v_cmp_gt_i32_e64 s[2:3], s33, v7
	v_add_u32_e32 v6, -6, v19
	v_cndmask_b32_e64 v4, 0, v4, s[2:3]
	v_cmp_gt_i32_e64 s[2:3], s33, v6
	v_add_u32_e32 v6, -5, v19
	v_cndmask_b32_e64 v29, 0, v29, s[2:3]
	;; [unrolled: 3-line block ×6, first 2 shown]
	v_cmp_gt_i32_e64 s[2:3], s33, v6
	v_cndmask_b32_e64 v5, 0, v5, s[2:3]
	v_cmp_gt_i32_e64 s[2:3], s33, v19
	v_cndmask_b32_e64 v3, 0, v3, s[2:3]
.LBB340_393:                            ;   in Loop: Header=BB340_164 Depth=1
	s_or_b64 exec, exec, s[4:5]
	v_lshlrev_b32_e32 v4, 16, v4
	v_mul_f32_e32 v6, v8, v4
	v_and_b32_e32 v4, 0x7f800000, v6
	v_cmp_ne_u32_e64 s[2:3], s30, v4
                                        ; implicit-def: $vgpr4
	s_and_saveexec_b64 s[4:5], s[2:3]
	s_xor_b64 s[2:3], exec, s[4:5]
; %bb.394:                              ;   in Loop: Header=BB340_164 Depth=1
	v_bfe_u32 v4, v6, 16, 1
	v_add3_u32 v4, v6, v4, s31
                                        ; implicit-def: $vgpr6
; %bb.395:                              ;   in Loop: Header=BB340_164 Depth=1
	s_andn2_saveexec_b64 s[4:5], s[2:3]
; %bb.396:                              ;   in Loop: Header=BB340_164 Depth=1
	v_or_b32_e32 v4, 0x10000, v6
	v_cmp_eq_u32_sdwa s[2:3], v6, v17 src0_sel:WORD_0 src1_sel:DWORD
	v_cndmask_b32_e64 v4, v4, v6, s[2:3]
; %bb.397:                              ;   in Loop: Header=BB340_164 Depth=1
	s_or_b64 exec, exec, s[4:5]
	v_lshlrev_b32_e32 v6, 16, v29
	v_mul_f32_e32 v7, v9, v6
	v_and_b32_e32 v6, 0x7f800000, v7
	v_cmp_ne_u32_e64 s[2:3], s30, v6
                                        ; implicit-def: $vgpr6
	s_and_saveexec_b64 s[4:5], s[2:3]
	s_xor_b64 s[2:3], exec, s[4:5]
; %bb.398:                              ;   in Loop: Header=BB340_164 Depth=1
	v_bfe_u32 v6, v7, 16, 1
	v_add3_u32 v6, v7, v6, s31
                                        ; implicit-def: $vgpr7
; %bb.399:                              ;   in Loop: Header=BB340_164 Depth=1
	s_andn2_saveexec_b64 s[4:5], s[2:3]
; %bb.400:                              ;   in Loop: Header=BB340_164 Depth=1
	v_or_b32_e32 v6, 0x10000, v7
	v_cmp_eq_u32_sdwa s[2:3], v7, v17 src0_sel:WORD_0 src1_sel:DWORD
	v_cndmask_b32_e64 v6, v6, v7, s[2:3]
; %bb.401:                              ;   in Loop: Header=BB340_164 Depth=1
	s_or_b64 exec, exec, s[4:5]
	v_lshlrev_b32_e32 v7, 16, v30
	v_mul_f32_e32 v8, v23, v7
	v_and_b32_e32 v7, 0x7f800000, v8
	v_cmp_ne_u32_e64 s[2:3], s30, v7
                                        ; implicit-def: $vgpr7
	s_and_saveexec_b64 s[4:5], s[2:3]
	s_xor_b64 s[2:3], exec, s[4:5]
; %bb.402:                              ;   in Loop: Header=BB340_164 Depth=1
	v_bfe_u32 v7, v8, 16, 1
	v_add3_u32 v7, v8, v7, s31
                                        ; implicit-def: $vgpr8
; %bb.403:                              ;   in Loop: Header=BB340_164 Depth=1
	s_andn2_saveexec_b64 s[4:5], s[2:3]
; %bb.404:                              ;   in Loop: Header=BB340_164 Depth=1
	v_or_b32_e32 v7, 0x10000, v8
	v_cmp_eq_u32_sdwa s[2:3], v8, v17 src0_sel:WORD_0 src1_sel:DWORD
	v_cndmask_b32_e64 v7, v7, v8, s[2:3]
; %bb.405:                              ;   in Loop: Header=BB340_164 Depth=1
	s_or_b64 exec, exec, s[4:5]
	v_lshlrev_b32_e32 v8, 16, v31
	v_mul_f32_e32 v9, v24, v8
	v_and_b32_e32 v8, 0x7f800000, v9
	v_cmp_ne_u32_e64 s[2:3], s30, v8
                                        ; implicit-def: $vgpr8
	s_and_saveexec_b64 s[4:5], s[2:3]
	s_xor_b64 s[2:3], exec, s[4:5]
; %bb.406:                              ;   in Loop: Header=BB340_164 Depth=1
	v_bfe_u32 v8, v9, 16, 1
	v_add3_u32 v8, v9, v8, s31
                                        ; implicit-def: $vgpr9
; %bb.407:                              ;   in Loop: Header=BB340_164 Depth=1
	s_andn2_saveexec_b64 s[4:5], s[2:3]
; %bb.408:                              ;   in Loop: Header=BB340_164 Depth=1
	v_or_b32_e32 v8, 0x10000, v9
	v_cmp_eq_u32_sdwa s[2:3], v9, v17 src0_sel:WORD_0 src1_sel:DWORD
	v_cndmask_b32_e64 v8, v8, v9, s[2:3]
; %bb.409:                              ;   in Loop: Header=BB340_164 Depth=1
	s_or_b64 exec, exec, s[4:5]
	v_lshlrev_b32_e32 v9, 16, v32
	v_mul_f32_e32 v23, v25, v9
	v_and_b32_e32 v9, 0x7f800000, v23
	v_cmp_ne_u32_e64 s[2:3], s30, v9
                                        ; implicit-def: $vgpr9
	s_and_saveexec_b64 s[4:5], s[2:3]
	s_xor_b64 s[2:3], exec, s[4:5]
; %bb.410:                              ;   in Loop: Header=BB340_164 Depth=1
	v_bfe_u32 v9, v23, 16, 1
	v_add3_u32 v9, v23, v9, s31
                                        ; implicit-def: $vgpr23
; %bb.411:                              ;   in Loop: Header=BB340_164 Depth=1
	s_andn2_saveexec_b64 s[4:5], s[2:3]
; %bb.412:                              ;   in Loop: Header=BB340_164 Depth=1
	v_or_b32_e32 v9, 0x10000, v23
	v_cmp_eq_u32_sdwa s[2:3], v23, v17 src0_sel:WORD_0 src1_sel:DWORD
	v_cndmask_b32_e64 v9, v9, v23, s[2:3]
; %bb.413:                              ;   in Loop: Header=BB340_164 Depth=1
	s_or_b64 exec, exec, s[4:5]
	v_lshlrev_b32_e32 v16, 16, v16
	v_mul_f32_e32 v23, v26, v16
	v_and_b32_e32 v16, 0x7f800000, v23
	v_cmp_ne_u32_e64 s[2:3], s30, v16
                                        ; implicit-def: $vgpr16
	s_and_saveexec_b64 s[4:5], s[2:3]
	s_xor_b64 s[2:3], exec, s[4:5]
; %bb.414:                              ;   in Loop: Header=BB340_164 Depth=1
	v_bfe_u32 v16, v23, 16, 1
	v_add3_u32 v16, v23, v16, s31
                                        ; implicit-def: $vgpr23
; %bb.415:                              ;   in Loop: Header=BB340_164 Depth=1
	s_andn2_saveexec_b64 s[4:5], s[2:3]
; %bb.416:                              ;   in Loop: Header=BB340_164 Depth=1
	v_or_b32_e32 v16, 0x10000, v23
	v_cmp_eq_u32_sdwa s[2:3], v23, v17 src0_sel:WORD_0 src1_sel:DWORD
	v_cndmask_b32_e64 v16, v16, v23, s[2:3]
; %bb.417:                              ;   in Loop: Header=BB340_164 Depth=1
	s_or_b64 exec, exec, s[4:5]
	v_lshlrev_b32_e32 v5, 16, v5
	v_mul_f32_e32 v23, v27, v5
	v_and_b32_e32 v5, 0x7f800000, v23
	v_cmp_ne_u32_e64 s[2:3], s30, v5
                                        ; implicit-def: $vgpr5
	s_and_saveexec_b64 s[4:5], s[2:3]
	s_xor_b64 s[2:3], exec, s[4:5]
; %bb.418:                              ;   in Loop: Header=BB340_164 Depth=1
	v_bfe_u32 v5, v23, 16, 1
	v_add3_u32 v5, v23, v5, s31
                                        ; implicit-def: $vgpr23
; %bb.419:                              ;   in Loop: Header=BB340_164 Depth=1
	s_andn2_saveexec_b64 s[4:5], s[2:3]
; %bb.420:                              ;   in Loop: Header=BB340_164 Depth=1
	v_or_b32_e32 v5, 0x10000, v23
	v_cmp_eq_u32_sdwa s[2:3], v23, v17 src0_sel:WORD_0 src1_sel:DWORD
	v_cndmask_b32_e64 v5, v5, v23, s[2:3]
; %bb.421:                              ;   in Loop: Header=BB340_164 Depth=1
	s_or_b64 exec, exec, s[4:5]
	v_lshlrev_b32_e32 v3, 16, v3
	v_mul_f32_e32 v3, v28, v3
	v_and_b32_e32 v23, 0x7f800000, v3
	v_cmp_ne_u32_e64 s[2:3], s30, v23
                                        ; implicit-def: $vgpr23
	s_and_saveexec_b64 s[4:5], s[2:3]
	s_xor_b64 s[2:3], exec, s[4:5]
; %bb.422:                              ;   in Loop: Header=BB340_164 Depth=1
	v_bfe_u32 v23, v3, 16, 1
	v_add3_u32 v23, v3, v23, s31
                                        ; implicit-def: $vgpr3
; %bb.423:                              ;   in Loop: Header=BB340_164 Depth=1
	s_andn2_saveexec_b64 s[4:5], s[2:3]
	s_cbranch_execz .LBB340_162
; %bb.424:                              ;   in Loop: Header=BB340_164 Depth=1
	v_or_b32_e32 v23, 0x10000, v3
	v_cmp_eq_u32_sdwa s[2:3], v3, v17 src0_sel:WORD_0 src1_sel:DWORD
	v_cndmask_b32_e64 v23, v23, v3, s[2:3]
	s_branch .LBB340_162
.LBB340_425:
	s_or_b64 exec, exec, s[14:15]
.LBB340_426:
	s_or_b64 exec, exec, s[6:7]
	v_and_b32_e32 v3, 0x3c0, v0
	v_cmp_eq_u32_e32 vcc, 64, v3
	s_barrier
	s_and_saveexec_b64 s[2:3], vcc
	s_cbranch_execz .LBB340_429
; %bb.427:
	v_mov_b32_e32 v3, 0xd0
	v_lshl_add_u32 v4, v15, 2, v3
	ds_write_b32 v4, v2
	s_and_b64 exec, exec, s[0:1]
	s_cbranch_execz .LBB340_429
; %bb.428:
	v_lshl_add_u32 v3, v0, 2, v3
	ds_write_b32 v3, v13
.LBB340_429:
	s_or_b64 exec, exec, s[2:3]
	v_cmp_gt_u32_e32 vcc, 64, v0
	v_or_b32_e32 v3, 64, v0
	s_waitcnt lgkmcnt(0)
	s_barrier
	s_and_saveexec_b64 s[2:3], vcc
	s_cbranch_execz .LBB340_433
; %bb.430:
	v_mov_b32_e32 v4, 0xd0
	v_lshl_add_u32 v4, v0, 2, v4
	ds_read_b32 v0, v4
	s_movk_i32 s0, 0x60
	v_cmp_gt_u32_e64 s[0:1], s0, v3
	s_and_saveexec_b64 s[4:5], s[0:1]
	s_cbranch_execz .LBB340_432
; %bb.431:
	ds_read_b32 v4, v4 offset:256
	s_waitcnt lgkmcnt(0)
	v_add_f32_e32 v13, v13, v4
.LBB340_432:
	s_or_b64 exec, exec, s[4:5]
	s_waitcnt lgkmcnt(0)
	v_add_f32_e32 v2, v2, v0
.LBB340_433:
	s_or_b64 exec, exec, s[2:3]
	s_barrier
	s_and_saveexec_b64 s[0:1], vcc
	s_cbranch_execz .LBB340_444
; %bb.434:
	s_mov_b32 s0, 0x7f800000
	v_and_b32_e32 v0, 0x7f800000, v2
	v_cmp_ne_u32_e32 vcc, s0, v0
                                        ; implicit-def: $vgpr0
	s_and_saveexec_b64 s[0:1], vcc
	s_xor_b64 s[0:1], exec, s[0:1]
; %bb.435:
	v_bfe_u32 v0, v2, 16, 1
	s_movk_i32 s2, 0x7fff
	v_add3_u32 v0, v2, v0, s2
                                        ; implicit-def: $vgpr2
; %bb.436:
	s_andn2_saveexec_b64 s[0:1], s[0:1]
; %bb.437:
	v_mov_b32_e32 v0, 0
	v_or_b32_e32 v4, 0x10000, v2
	v_cmp_eq_u32_sdwa vcc, v2, v0 src0_sel:WORD_0 src1_sel:DWORD
	v_cndmask_b32_e32 v0, v4, v2, vcc
; %bb.438:
	s_or_b64 exec, exec, s[0:1]
	s_mul_i32 s0, s10, 0x60
	s_ashr_i32 s1, s0, 31
	s_lshl_b64 s[0:1], s[0:1], 1
	s_add_u32 s3, s26, s0
	s_mul_i32 s0, s25, s24
	s_addc_u32 s4, s27, s1
	s_ashr_i32 s1, s0, 31
	s_lshl_b64 s[0:1], s[0:1], 1
	s_add_u32 s3, s3, s0
	s_mul_i32 s0, s8, 0x60
	s_addc_u32 s4, s4, s1
	s_ashr_i32 s1, s0, 31
	s_lshl_b64 s[0:1], s[0:1], 1
	s_movk_i32 s2, 0x60
	s_add_u32 s0, s3, s0
	s_addc_u32 s1, s4, s1
	v_cmp_gt_u32_e32 vcc, s2, v3
	global_store_short_d16_hi v1, v0, s[0:1]
	s_and_b64 exec, exec, vcc
	s_cbranch_execz .LBB340_444
; %bb.439:
	v_mov_b32_e32 v2, s1
	v_add_co_u32_e32 v0, vcc, s0, v1
	v_addc_co_u32_e32 v1, vcc, 0, v2, vcc
	s_mov_b32 s0, 0x7f800000
	v_and_b32_e32 v2, 0x7f800000, v13
	v_cmp_ne_u32_e32 vcc, s0, v2
                                        ; implicit-def: $vgpr2
	s_and_saveexec_b64 s[0:1], vcc
	s_xor_b64 s[0:1], exec, s[0:1]
; %bb.440:
	v_bfe_u32 v2, v13, 16, 1
	s_movk_i32 s2, 0x7fff
	v_add3_u32 v2, v13, v2, s2
                                        ; implicit-def: $vgpr13
; %bb.441:
	s_andn2_saveexec_b64 s[0:1], s[0:1]
; %bb.442:
	v_mov_b32_e32 v2, 0
	v_or_b32_e32 v3, 0x10000, v13
	v_cmp_eq_u32_sdwa vcc, v13, v2 src0_sel:WORD_0 src1_sel:DWORD
	v_cndmask_b32_e32 v2, v3, v13, vcc
; %bb.443:
	s_or_b64 exec, exec, s[0:1]
	global_store_short_d16_hi v[0:1], v2, off offset:128
.LBB340_444:
	s_endpgm
	.section	.rodata,"a",@progbits
	.p2align	6, 0x0
	.amdhsa_kernel _ZN4vllm25paged_attention_v2_kernelI14__hip_bfloat16hLi96ELi8ELi128ELNS_18Fp8KVCacheDataTypeE1ELb0ELi512EEEvPfS3_PT_PKS4_PKT0_SA_ifPKiSC_iPKfiiiSE_SE_iiiii
		.amdhsa_group_segment_fixed_size 208
		.amdhsa_private_segment_fixed_size 0
		.amdhsa_kernarg_size 400
		.amdhsa_user_sgpr_count 6
		.amdhsa_user_sgpr_private_segment_buffer 1
		.amdhsa_user_sgpr_dispatch_ptr 0
		.amdhsa_user_sgpr_queue_ptr 0
		.amdhsa_user_sgpr_kernarg_segment_ptr 1
		.amdhsa_user_sgpr_dispatch_id 0
		.amdhsa_user_sgpr_flat_scratch_init 0
		.amdhsa_user_sgpr_kernarg_preload_length 0
		.amdhsa_user_sgpr_kernarg_preload_offset 0
		.amdhsa_user_sgpr_private_segment_size 0
		.amdhsa_uses_dynamic_stack 0
		.amdhsa_system_sgpr_private_segment_wavefront_offset 0
		.amdhsa_system_sgpr_workgroup_id_x 1
		.amdhsa_system_sgpr_workgroup_id_y 1
		.amdhsa_system_sgpr_workgroup_id_z 1
		.amdhsa_system_sgpr_workgroup_info 0
		.amdhsa_system_vgpr_workitem_id 0
		.amdhsa_next_free_vgpr 54
		.amdhsa_next_free_sgpr 55
		.amdhsa_accum_offset 56
		.amdhsa_reserve_vcc 1
		.amdhsa_reserve_flat_scratch 0
		.amdhsa_float_round_mode_32 0
		.amdhsa_float_round_mode_16_64 0
		.amdhsa_float_denorm_mode_32 3
		.amdhsa_float_denorm_mode_16_64 3
		.amdhsa_dx10_clamp 1
		.amdhsa_ieee_mode 1
		.amdhsa_fp16_overflow 0
		.amdhsa_tg_split 0
		.amdhsa_exception_fp_ieee_invalid_op 0
		.amdhsa_exception_fp_denorm_src 0
		.amdhsa_exception_fp_ieee_div_zero 0
		.amdhsa_exception_fp_ieee_overflow 0
		.amdhsa_exception_fp_ieee_underflow 0
		.amdhsa_exception_fp_ieee_inexact 0
		.amdhsa_exception_int_div_zero 0
	.end_amdhsa_kernel
	.section	.text._ZN4vllm25paged_attention_v2_kernelI14__hip_bfloat16hLi96ELi8ELi128ELNS_18Fp8KVCacheDataTypeE1ELb0ELi512EEEvPfS3_PT_PKS4_PKT0_SA_ifPKiSC_iPKfiiiSE_SE_iiiii,"axG",@progbits,_ZN4vllm25paged_attention_v2_kernelI14__hip_bfloat16hLi96ELi8ELi128ELNS_18Fp8KVCacheDataTypeE1ELb0ELi512EEEvPfS3_PT_PKS4_PKT0_SA_ifPKiSC_iPKfiiiSE_SE_iiiii,comdat
.Lfunc_end340:
	.size	_ZN4vllm25paged_attention_v2_kernelI14__hip_bfloat16hLi96ELi8ELi128ELNS_18Fp8KVCacheDataTypeE1ELb0ELi512EEEvPfS3_PT_PKS4_PKT0_SA_ifPKiSC_iPKfiiiSE_SE_iiiii, .Lfunc_end340-_ZN4vllm25paged_attention_v2_kernelI14__hip_bfloat16hLi96ELi8ELi128ELNS_18Fp8KVCacheDataTypeE1ELb0ELi512EEEvPfS3_PT_PKS4_PKT0_SA_ifPKiSC_iPKfiiiSE_SE_iiiii
                                        ; -- End function
	.section	.AMDGPU.csdata,"",@progbits
; Kernel info:
; codeLenInByte = 13608
; NumSgprs: 59
; NumVgprs: 54
; NumAgprs: 0
; TotalNumVgprs: 54
; ScratchSize: 0
; MemoryBound: 0
; FloatMode: 240
; IeeeMode: 1
; LDSByteSize: 208 bytes/workgroup (compile time only)
; SGPRBlocks: 7
; VGPRBlocks: 6
; NumSGPRsForWavesPerEU: 59
; NumVGPRsForWavesPerEU: 54
; AccumOffset: 56
; Occupancy: 8
; WaveLimiterHint : 1
; COMPUTE_PGM_RSRC2:SCRATCH_EN: 0
; COMPUTE_PGM_RSRC2:USER_SGPR: 6
; COMPUTE_PGM_RSRC2:TRAP_HANDLER: 0
; COMPUTE_PGM_RSRC2:TGID_X_EN: 1
; COMPUTE_PGM_RSRC2:TGID_Y_EN: 1
; COMPUTE_PGM_RSRC2:TGID_Z_EN: 1
; COMPUTE_PGM_RSRC2:TIDIG_COMP_CNT: 0
; COMPUTE_PGM_RSRC3_GFX90A:ACCUM_OFFSET: 13
; COMPUTE_PGM_RSRC3_GFX90A:TG_SPLIT: 0
	.section	.text._ZN4vllm25paged_attention_v2_kernelI14__hip_bfloat16hLi112ELi8ELi128ELNS_18Fp8KVCacheDataTypeE1ELb0ELi512EEEvPfS3_PT_PKS4_PKT0_SA_ifPKiSC_iPKfiiiSE_SE_iiiii,"axG",@progbits,_ZN4vllm25paged_attention_v2_kernelI14__hip_bfloat16hLi112ELi8ELi128ELNS_18Fp8KVCacheDataTypeE1ELb0ELi512EEEvPfS3_PT_PKS4_PKT0_SA_ifPKiSC_iPKfiiiSE_SE_iiiii,comdat
	.protected	_ZN4vllm25paged_attention_v2_kernelI14__hip_bfloat16hLi112ELi8ELi128ELNS_18Fp8KVCacheDataTypeE1ELb0ELi512EEEvPfS3_PT_PKS4_PKT0_SA_ifPKiSC_iPKfiiiSE_SE_iiiii ; -- Begin function _ZN4vllm25paged_attention_v2_kernelI14__hip_bfloat16hLi112ELi8ELi128ELNS_18Fp8KVCacheDataTypeE1ELb0ELi512EEEvPfS3_PT_PKS4_PKT0_SA_ifPKiSC_iPKfiiiSE_SE_iiiii
	.globl	_ZN4vllm25paged_attention_v2_kernelI14__hip_bfloat16hLi112ELi8ELi128ELNS_18Fp8KVCacheDataTypeE1ELb0ELi512EEEvPfS3_PT_PKS4_PKT0_SA_ifPKiSC_iPKfiiiSE_SE_iiiii
	.p2align	8
	.type	_ZN4vllm25paged_attention_v2_kernelI14__hip_bfloat16hLi112ELi8ELi128ELNS_18Fp8KVCacheDataTypeE1ELb0ELi512EEEvPfS3_PT_PKS4_PKT0_SA_ifPKiSC_iPKfiiiSE_SE_iiiii,@function
_ZN4vllm25paged_attention_v2_kernelI14__hip_bfloat16hLi112ELi8ELi128ELNS_18Fp8KVCacheDataTypeE1ELb0ELi512EEEvPfS3_PT_PKS4_PKT0_SA_ifPKiSC_iPKfiiiSE_SE_iiiii: ; @_ZN4vllm25paged_attention_v2_kernelI14__hip_bfloat16hLi112ELi8ELi128ELNS_18Fp8KVCacheDataTypeE1ELb0ELi512EEEvPfS3_PT_PKS4_PKT0_SA_ifPKiSC_iPKfiiiSE_SE_iiiii
; %bb.0:
	s_load_dwordx2 s[0:1], s[4:5], 0x40
	s_mov_b32 s28, s7
	s_ashr_i32 s29, s7, 31
	s_lshl_b64 s[2:3], s[28:29], 2
	s_waitcnt lgkmcnt(0)
	s_add_u32 s0, s0, s2
	s_addc_u32 s1, s1, s3
	s_load_dword s33, s[0:1], 0x0
	s_lshl_b32 s29, s8, 9
	s_waitcnt lgkmcnt(0)
	s_cmp_ge_i32 s29, s33
	s_cbranch_scc1 .LBB341_464
; %bb.1:
	s_load_dword s9, s[4:5], 0x90
	s_load_dwordx2 s[38:39], s[4:5], 0x30
	s_waitcnt lgkmcnt(0)
	s_abs_i32 s2, s9
	s_abs_i32 s0, s38
	v_cvt_f32_u32_e32 v1, s0
	s_sub_i32 s3, 0, s0
	s_xor_b32 s1, s9, s38
	s_ashr_i32 s1, s1, 31
	v_rcp_iflag_f32_e32 v1, v1
	s_mov_b32 s38, 0
	v_mul_f32_e32 v1, 0x4f7ffffe, v1
	v_cvt_u32_f32_e32 v1, v1
	v_readfirstlane_b32 s7, v1
	s_mul_i32 s3, s3, s7
	s_mul_hi_u32 s3, s7, s3
	s_add_i32 s7, s7, s3
	s_mul_hi_u32 s3, s2, s7
	s_mul_i32 s7, s3, s0
	s_sub_i32 s2, s2, s7
	s_add_i32 s10, s3, 1
	s_sub_i32 s7, s2, s0
	s_cmp_ge_u32 s2, s0
	s_cselect_b32 s3, s10, s3
	s_cselect_b32 s2, s7, s2
	s_add_i32 s7, s3, 1
	s_cmp_ge_u32 s2, s0
	s_cselect_b32 s0, s7, s3
	s_xor_b32 s0, s0, s1
	s_sub_i32 s2, s0, s1
	s_abs_i32 s10, s2
	v_cvt_f32_u32_e32 v1, s10
	s_load_dwordx2 s[0:1], s[4:5], 0x50
	s_sub_i32 s3, 0, s10
	s_abs_i32 s11, s6
	v_rcp_iflag_f32_e32 v1, v1
	v_mul_f32_e32 v1, 0x4f7ffffe, v1
	v_cvt_u32_f32_e32 v1, v1
	v_readfirstlane_b32 s7, v1
	s_mul_i32 s3, s3, s7
	s_mul_hi_u32 s3, s7, s3
	s_add_i32 s7, s7, s3
	s_waitcnt lgkmcnt(0)
	s_cmp_eq_u64 s[0:1], 0
	s_mul_hi_u32 s12, s11, s7
	s_cbranch_scc1 .LBB341_3
; %bb.2:
	s_ashr_i32 s7, s6, 31
	s_lshl_b64 s[14:15], s[6:7], 2
	s_add_u32 s0, s0, s14
	s_addc_u32 s1, s1, s15
	s_load_dword s38, s[0:1], 0x0
.LBB341_3:
	s_load_dwordx4 s[16:19], s[4:5], 0x58
	s_movk_i32 s0, 0x70
	s_ashr_i32 s13, s6, 31
	s_ashr_i32 s14, s2, 31
	v_and_b32_e32 v2, 7, v0
	s_mul_i32 s24, s6, 0x70
	v_cmp_gt_u32_e64 s[0:1], s0, v0
	v_lshlrev_b32_e32 v1, 1, v0
	s_and_saveexec_b64 s[2:3], s[0:1]
	s_cbranch_execz .LBB341_5
; %bb.4:
	s_load_dwordx2 s[20:21], s[4:5], 0x18
	s_waitcnt lgkmcnt(0)
	s_mul_i32 s22, s28, s16
	s_ashr_i32 s23, s22, 31
	s_lshl_b64 s[22:23], s[22:23], 1
	v_lshrrev_b32_e32 v4, 2, v0
	s_add_u32 s7, s20, s22
	s_addc_u32 s15, s21, s23
	s_ashr_i32 s25, s24, 31
	s_lshl_b64 s[20:21], s[24:25], 1
	s_add_u32 s20, s7, s20
	s_addc_u32 s21, s15, s21
	global_load_ushort v3, v1, s[20:21]
	v_and_b32_e32 v4, 0xfe, v4
	v_mad_u32_u24 v4, v2, 28, v4
	s_waitcnt vmcnt(0)
	ds_write_b16 v4, v3
.LBB341_5:
	s_or_b64 exec, exec, s[2:3]
	s_add_i32 s2, s33, 7
	s_ashr_i32 s3, s2, 31
	s_lshr_b32 s3, s3, 29
	s_add_i32 s2, s2, s3
	s_lshl_b32 s7, s8, 6
	s_mul_i32 s3, s12, s10
	s_ashr_i32 s47, s2, 3
	s_add_i32 s2, s7, 64
	s_sub_i32 s3, s11, s3
	s_min_i32 s46, s2, s47
	s_xor_b32 s2, s13, s14
	s_add_i32 s11, s12, 1
	s_sub_i32 s13, s3, s10
	s_cmp_ge_u32 s3, s10
	s_cselect_b32 s11, s11, s12
	s_cselect_b32 s3, s13, s3
	s_add_i32 s12, s11, 1
	s_cmp_ge_u32 s3, s10
	s_load_dwordx2 s[30:31], s[4:5], 0x38
	s_load_dword s10, s[4:5], 0x48
	v_lshrrev_b32_e32 v16, 6, v0
	s_cselect_b32 s3, s12, s11
	s_xor_b32 s3, s3, s2
	v_or_b32_e32 v10, s7, v16
	s_waitcnt lgkmcnt(0)
	s_mul_i32 s34, s28, s10
	s_sub_i32 s16, s3, s2
	s_ashr_i32 s35, s34, 31
	v_cmp_gt_i32_e64 s[2:3], s46, v10
	v_cmp_le_i32_e32 vcc, s46, v10
	v_mbcnt_lo_u32_b32 v6, -1, 0
	s_barrier
	s_waitcnt lgkmcnt(0)
                                        ; implicit-def: $sgpr19
                                        ; implicit-def: $vgpr3
                                        ; implicit-def: $vgpr13
	s_and_saveexec_b64 s[10:11], vcc
	s_xor_b64 s[10:11], exec, s[10:11]
; %bb.6:
	v_mbcnt_hi_u32_b32 v3, -1, v6
	v_and_b32_e32 v2, 64, v3
	v_add_u32_e32 v13, 64, v2
	s_mov_b32 s19, 0xff7fffff
                                        ; implicit-def: $vgpr2
                                        ; implicit-def: $vgpr6
; %bb.7:
	s_or_saveexec_b64 s[40:41], s[10:11]
	s_load_dwordx4 s[20:23], s[4:5], 0x0
	s_load_dwordx2 s[26:27], s[4:5], 0x10
	s_load_dword s25, s[4:5], 0x98
	s_load_dwordx2 s[36:37], s[4:5], 0x28
	s_load_dwordx4 s[12:15], s[4:5], 0x68
	v_mov_b32_e32 v31, s19
	s_mul_i32 s16, s16, s18
	v_ashrrev_i32_e32 v11, 31, v10
	v_lshlrev_b32_e32 v19, 3, v16
	s_xor_b64 exec, exec, s[40:41]
	s_cbranch_execz .LBB341_153
; %bb.8:
	s_load_dwordx2 s[4:5], s[4:5], 0x20
	v_bfe_u32 v7, v0, 3, 3
	s_ashr_i32 s10, s16, 31
	v_lshlrev_b32_e32 v3, 4, v7
	v_mul_u32_u24_e32 v15, 28, v2
	s_waitcnt lgkmcnt(0)
	s_add_u32 s4, s4, s16
	ds_read2_b32 v[8:9], v15 offset1:1
	v_add_co_u32_e32 v4, vcc, s4, v3
	ds_read2_b32 v[12:13], v15 offset0:2 offset1:3
	ds_read2_b32 v[28:29], v15 offset0:4 offset1:5
	ds_read_b32 v3, v15 offset:24
	s_addc_u32 s5, s5, s10
	v_mov_b32_e32 v5, s5
	v_addc_co_u32_e32 v5, vcc, 0, v5, vcc
	s_waitcnt lgkmcnt(1)
	v_lshlrev_b32_e32 v25, 16, v28
	v_and_b32_e32 v26, 0xffff0000, v28
	v_lshlrev_b32_e32 v27, 16, v29
	v_and_b32_e32 v28, 0xffff0000, v29
	s_waitcnt lgkmcnt(0)
	v_lshlrev_b32_e32 v29, 16, v3
	v_and_b32_e32 v30, 0xffff0000, v3
	v_mbcnt_hi_u32_b32 v3, -1, v6
	v_and_b32_e32 v6, 64, v3
	v_lshlrev_b32_e32 v23, 16, v13
	v_and_b32_e32 v24, 0xffff0000, v13
	v_add_u32_e32 v13, 64, v6
	v_xor_b32_e32 v6, 4, v3
	v_cmp_lt_i32_e32 vcc, v6, v13
	v_cndmask_b32_e32 v6, v3, v6, vcc
	v_lshlrev_b32_e32 v32, 2, v6
	v_xor_b32_e32 v6, 2, v3
	v_cmp_lt_i32_e32 vcc, v6, v13
	v_cndmask_b32_e32 v6, v3, v6, vcc
	v_lshlrev_b32_e32 v33, 2, v6
	;; [unrolled: 4-line block ×3, first 2 shown]
	s_load_dword s49, s[12:13], 0x0
	s_sub_i32 s50, 1, s33
	v_lshlrev_b32_e32 v6, 2, v7
	s_lshl_b64 s[10:11], s[34:35], 2
	v_lshl_or_b32 v6, v16, 5, v6
	s_add_u32 s10, s30, s10
	v_add3_u32 v35, s29, v19, v7
	v_add_u32_e32 v36, 0xf0, v6
	v_lshlrev_b64 v[6:7], 2, v[10:11]
	s_addc_u32 s11, s31, s11
	v_lshlrev_b32_e32 v15, 16, v8
	v_and_b32_e32 v17, 0xffff0000, v8
	v_mov_b32_e32 v8, s11
	v_add_co_u32_e64 v6, s[10:11], s10, v6
	s_mov_b32 s48, s17
	v_mov_b32_e32 v14, 0
	v_lshlrev_b32_e32 v18, 16, v9
	v_and_b32_e32 v20, 0xffff0000, v9
	v_lshlrev_b32_e32 v21, 16, v12
	v_and_b32_e32 v22, 0xffff0000, v12
	v_cmp_eq_u32_e32 vcc, 0, v2
	v_cmp_neq_f32_e64 s[4:5], s38, 0
	v_addc_co_u32_e64 v7, s[10:11], v8, v7, s[10:11]
	s_mov_b64 s[12:13], 0
	v_mov_b32_e32 v31, 0xff7fffff
	s_movk_i32 s51, 0x80
	s_movk_i32 s52, 0x7f
	s_mov_b32 s53, 0x7f800000
	s_movk_i32 s54, 0x7fff
	v_bfrev_b32_e32 v37, 60
	v_mov_b32_e32 v38, v10
	s_branch .LBB341_10
.LBB341_9:                              ;   in Loop: Header=BB341_10 Depth=1
	s_or_b64 exec, exec, s[18:19]
	v_add_u32_e32 v38, 2, v38
	v_cmp_le_i32_e64 s[10:11], s46, v38
	s_or_b64 s[12:13], s[10:11], s[12:13]
	v_add_co_u32_e64 v6, s[10:11], 8, v6
	v_add_u32_e32 v35, 16, v35
	v_add_u32_e32 v36, 64, v36
	v_addc_co_u32_e64 v7, s[10:11], 0, v7, s[10:11]
	s_andn2_b64 exec, exec, s[12:13]
	s_cbranch_execz .LBB341_152
.LBB341_10:                             ; =>This Inner Loop Header: Depth=1
	global_load_dword v8, v[6:7], off
	v_mov_b32_e32 v40, 0
	s_waitcnt vmcnt(0) lgkmcnt(0)
	v_mad_i64_i32 v[8:9], s[10:11], v8, s48, v[4:5]
	v_add_co_u32_e64 v8, s[10:11], v8, v2
	v_addc_co_u32_e64 v9, s[10:11], 0, v9, s[10:11]
	global_load_ubyte v39, v[8:9], off
	s_waitcnt vmcnt(0)
	v_cmp_ne_u16_e64 s[10:11], 0, v39
	s_and_saveexec_b64 s[18:19], s[10:11]
	s_cbranch_execz .LBB341_16
; %bb.11:                               ;   in Loop: Header=BB341_10 Depth=1
	v_cmp_ne_u16_e64 s[10:11], s51, v39
	v_bfrev_b32_e32 v40, 1
	s_and_saveexec_b64 s[42:43], s[10:11]
	s_cbranch_execz .LBB341_15
; %bb.12:                               ;   in Loop: Header=BB341_10 Depth=1
	v_and_b32_e32 v12, 0xffff, v39
	v_and_b32_e32 v41, 0x7f, v12
	v_cmp_ne_u32_e64 s[10:11], s52, v41
	v_mov_b32_e32 v40, 0x7f800001
	s_and_saveexec_b64 s[44:45], s[10:11]
	s_cbranch_execz .LBB341_14
; %bb.13:                               ;   in Loop: Header=BB341_10 Depth=1
	v_and_b32_e32 v40, 7, v12
	v_ffbh_u32_e32 v42, v40
	v_min_u32_e32 v45, 32, v42
	v_subrev_u32_e32 v42, 28, v45
	v_lshlrev_b64 v[42:43], v42, v[12:13]
	v_lshrrev_b32_e32 v44, 3, v41
	v_sub_u32_e32 v12, 29, v45
	v_and_b32_e32 v42, 7, v42
	v_cmp_gt_u32_e64 s[10:11], 8, v41
	v_cndmask_b32_e64 v12, v44, v12, s[10:11]
	v_cndmask_b32_e64 v40, v40, v42, s[10:11]
	v_lshlrev_b32_e32 v39, 24, v39
	v_lshlrev_b32_e32 v40, 20, v40
	v_and_b32_e32 v39, 0x80000000, v39
	v_lshl_add_u32 v12, v12, 23, v37
	v_or3_b32 v40, v39, v12, v40
.LBB341_14:                             ;   in Loop: Header=BB341_10 Depth=1
	s_or_b64 exec, exec, s[44:45]
.LBB341_15:                             ;   in Loop: Header=BB341_10 Depth=1
	s_or_b64 exec, exec, s[42:43]
.LBB341_16:                             ;   in Loop: Header=BB341_10 Depth=1
	s_or_b64 exec, exec, s[18:19]
	s_waitcnt lgkmcnt(0)
	v_mul_f32_e32 v12, s49, v40
	v_and_b32_e32 v39, 0x7f800000, v12
	v_cmp_ne_u32_e64 s[10:11], s53, v39
                                        ; implicit-def: $vgpr39
	s_and_saveexec_b64 s[18:19], s[10:11]
	s_xor_b64 s[10:11], exec, s[18:19]
; %bb.17:                               ;   in Loop: Header=BB341_10 Depth=1
	v_bfe_u32 v39, v12, 16, 1
	v_add3_u32 v39, v12, v39, s54
                                        ; implicit-def: $vgpr12
; %bb.18:                               ;   in Loop: Header=BB341_10 Depth=1
	s_andn2_saveexec_b64 s[18:19], s[10:11]
; %bb.19:                               ;   in Loop: Header=BB341_10 Depth=1
	v_or_b32_e32 v39, 0x10000, v12
	v_cmp_eq_u32_sdwa s[10:11], v12, v14 src0_sel:WORD_0 src1_sel:DWORD
	v_cndmask_b32_e64 v39, v39, v12, s[10:11]
; %bb.20:                               ;   in Loop: Header=BB341_10 Depth=1
	s_or_b64 exec, exec, s[18:19]
	global_load_ubyte v40, v[8:9], off offset:8
	v_mov_b32_e32 v41, 0
	s_waitcnt vmcnt(0)
	v_cmp_ne_u16_e64 s[10:11], 0, v40
	s_and_saveexec_b64 s[18:19], s[10:11]
	s_cbranch_execz .LBB341_26
; %bb.21:                               ;   in Loop: Header=BB341_10 Depth=1
	v_cmp_ne_u16_e64 s[10:11], s51, v40
	v_bfrev_b32_e32 v41, 1
	s_and_saveexec_b64 s[42:43], s[10:11]
	s_cbranch_execz .LBB341_25
; %bb.22:                               ;   in Loop: Header=BB341_10 Depth=1
	v_and_b32_e32 v12, 0xffff, v40
	v_and_b32_e32 v42, 0x7f, v12
	v_cmp_ne_u32_e64 s[10:11], s52, v42
	v_mov_b32_e32 v41, 0x7f800001
	s_and_saveexec_b64 s[44:45], s[10:11]
	s_cbranch_execz .LBB341_24
; %bb.23:                               ;   in Loop: Header=BB341_10 Depth=1
	v_and_b32_e32 v41, 7, v12
	v_ffbh_u32_e32 v44, v41
	v_min_u32_e32 v46, 32, v44
	v_subrev_u32_e32 v44, 28, v46
	v_lshlrev_b64 v[44:45], v44, v[12:13]
	v_lshrrev_b32_e32 v43, 3, v42
	v_sub_u32_e32 v12, 29, v46
	v_and_b32_e32 v44, 7, v44
	v_cmp_gt_u32_e64 s[10:11], 8, v42
	v_cndmask_b32_e64 v12, v43, v12, s[10:11]
	v_cndmask_b32_e64 v41, v41, v44, s[10:11]
	v_lshlrev_b32_e32 v40, 24, v40
	v_lshlrev_b32_e32 v41, 20, v41
	v_and_b32_e32 v40, 0x80000000, v40
	v_lshl_add_u32 v12, v12, 23, v37
	v_or3_b32 v41, v40, v12, v41
.LBB341_24:                             ;   in Loop: Header=BB341_10 Depth=1
	s_or_b64 exec, exec, s[44:45]
.LBB341_25:                             ;   in Loop: Header=BB341_10 Depth=1
	s_or_b64 exec, exec, s[42:43]
.LBB341_26:                             ;   in Loop: Header=BB341_10 Depth=1
	s_or_b64 exec, exec, s[18:19]
	v_mul_f32_e32 v12, s49, v41
	v_and_b32_e32 v40, 0x7f800000, v12
	v_cmp_ne_u32_e64 s[10:11], s53, v40
                                        ; implicit-def: $vgpr40
	s_and_saveexec_b64 s[18:19], s[10:11]
	s_xor_b64 s[10:11], exec, s[18:19]
; %bb.27:                               ;   in Loop: Header=BB341_10 Depth=1
	v_bfe_u32 v40, v12, 16, 1
	v_add3_u32 v40, v12, v40, s54
                                        ; implicit-def: $vgpr12
; %bb.28:                               ;   in Loop: Header=BB341_10 Depth=1
	s_andn2_saveexec_b64 s[18:19], s[10:11]
; %bb.29:                               ;   in Loop: Header=BB341_10 Depth=1
	v_or_b32_e32 v40, 0x10000, v12
	v_cmp_eq_u32_sdwa s[10:11], v12, v14 src0_sel:WORD_0 src1_sel:DWORD
	v_cndmask_b32_e64 v40, v40, v12, s[10:11]
; %bb.30:                               ;   in Loop: Header=BB341_10 Depth=1
	s_or_b64 exec, exec, s[18:19]
	global_load_ubyte v41, v[8:9], off offset:128
	v_mov_b32_e32 v42, 0
	s_waitcnt vmcnt(0)
	v_cmp_ne_u16_e64 s[10:11], 0, v41
	s_and_saveexec_b64 s[18:19], s[10:11]
	s_cbranch_execz .LBB341_36
; %bb.31:                               ;   in Loop: Header=BB341_10 Depth=1
	v_cmp_ne_u16_e64 s[10:11], s51, v41
	v_bfrev_b32_e32 v42, 1
	s_and_saveexec_b64 s[42:43], s[10:11]
	s_cbranch_execz .LBB341_35
; %bb.32:                               ;   in Loop: Header=BB341_10 Depth=1
	v_and_b32_e32 v12, 0xffff, v41
	v_and_b32_e32 v43, 0x7f, v12
	v_cmp_ne_u32_e64 s[10:11], s52, v43
	v_mov_b32_e32 v42, 0x7f800001
	s_and_saveexec_b64 s[44:45], s[10:11]
	s_cbranch_execz .LBB341_34
; %bb.33:                               ;   in Loop: Header=BB341_10 Depth=1
	v_and_b32_e32 v42, 7, v12
	v_ffbh_u32_e32 v44, v42
	v_min_u32_e32 v47, 32, v44
	v_subrev_u32_e32 v44, 28, v47
	v_lshlrev_b64 v[44:45], v44, v[12:13]
	v_lshrrev_b32_e32 v46, 3, v43
	v_sub_u32_e32 v12, 29, v47
	v_and_b32_e32 v44, 7, v44
	v_cmp_gt_u32_e64 s[10:11], 8, v43
	v_cndmask_b32_e64 v12, v46, v12, s[10:11]
	v_cndmask_b32_e64 v42, v42, v44, s[10:11]
	v_lshlrev_b32_e32 v41, 24, v41
	v_lshlrev_b32_e32 v42, 20, v42
	v_and_b32_e32 v41, 0x80000000, v41
	v_lshl_add_u32 v12, v12, 23, v37
	v_or3_b32 v42, v41, v12, v42
.LBB341_34:                             ;   in Loop: Header=BB341_10 Depth=1
	s_or_b64 exec, exec, s[44:45]
.LBB341_35:                             ;   in Loop: Header=BB341_10 Depth=1
	s_or_b64 exec, exec, s[42:43]
.LBB341_36:                             ;   in Loop: Header=BB341_10 Depth=1
	s_or_b64 exec, exec, s[18:19]
	v_mul_f32_e32 v12, s49, v42
	v_and_b32_e32 v41, 0x7f800000, v12
	v_cmp_ne_u32_e64 s[10:11], s53, v41
                                        ; implicit-def: $vgpr41
	s_and_saveexec_b64 s[18:19], s[10:11]
	s_xor_b64 s[10:11], exec, s[18:19]
; %bb.37:                               ;   in Loop: Header=BB341_10 Depth=1
	v_bfe_u32 v41, v12, 16, 1
	v_add3_u32 v41, v12, v41, s54
                                        ; implicit-def: $vgpr12
; %bb.38:                               ;   in Loop: Header=BB341_10 Depth=1
	s_andn2_saveexec_b64 s[18:19], s[10:11]
; %bb.39:                               ;   in Loop: Header=BB341_10 Depth=1
	v_or_b32_e32 v41, 0x10000, v12
	v_cmp_eq_u32_sdwa s[10:11], v12, v14 src0_sel:WORD_0 src1_sel:DWORD
	v_cndmask_b32_e64 v41, v41, v12, s[10:11]
; %bb.40:                               ;   in Loop: Header=BB341_10 Depth=1
	s_or_b64 exec, exec, s[18:19]
	global_load_ubyte v42, v[8:9], off offset:136
	v_mov_b32_e32 v43, 0
	s_waitcnt vmcnt(0)
	v_cmp_ne_u16_e64 s[10:11], 0, v42
	s_and_saveexec_b64 s[18:19], s[10:11]
	s_cbranch_execz .LBB341_46
; %bb.41:                               ;   in Loop: Header=BB341_10 Depth=1
	v_cmp_ne_u16_e64 s[10:11], s51, v42
	v_bfrev_b32_e32 v43, 1
	s_and_saveexec_b64 s[42:43], s[10:11]
	s_cbranch_execz .LBB341_45
; %bb.42:                               ;   in Loop: Header=BB341_10 Depth=1
	v_and_b32_e32 v12, 0xffff, v42
	v_and_b32_e32 v44, 0x7f, v12
	v_cmp_ne_u32_e64 s[10:11], s52, v44
	v_mov_b32_e32 v43, 0x7f800001
	s_and_saveexec_b64 s[44:45], s[10:11]
	s_cbranch_execz .LBB341_44
; %bb.43:                               ;   in Loop: Header=BB341_10 Depth=1
	v_and_b32_e32 v43, 7, v12
	v_ffbh_u32_e32 v46, v43
	v_min_u32_e32 v48, 32, v46
	v_subrev_u32_e32 v46, 28, v48
	v_lshlrev_b64 v[46:47], v46, v[12:13]
	v_lshrrev_b32_e32 v45, 3, v44
	v_sub_u32_e32 v12, 29, v48
	v_and_b32_e32 v46, 7, v46
	v_cmp_gt_u32_e64 s[10:11], 8, v44
	v_cndmask_b32_e64 v12, v45, v12, s[10:11]
	v_cndmask_b32_e64 v43, v43, v46, s[10:11]
	v_lshlrev_b32_e32 v42, 24, v42
	v_lshlrev_b32_e32 v43, 20, v43
	v_and_b32_e32 v42, 0x80000000, v42
	v_lshl_add_u32 v12, v12, 23, v37
	v_or3_b32 v43, v42, v12, v43
.LBB341_44:                             ;   in Loop: Header=BB341_10 Depth=1
	s_or_b64 exec, exec, s[44:45]
.LBB341_45:                             ;   in Loop: Header=BB341_10 Depth=1
	s_or_b64 exec, exec, s[42:43]
.LBB341_46:                             ;   in Loop: Header=BB341_10 Depth=1
	s_or_b64 exec, exec, s[18:19]
	v_mul_f32_e32 v12, s49, v43
	v_and_b32_e32 v42, 0x7f800000, v12
	v_cmp_ne_u32_e64 s[10:11], s53, v42
                                        ; implicit-def: $vgpr42
	s_and_saveexec_b64 s[18:19], s[10:11]
	s_xor_b64 s[10:11], exec, s[18:19]
; %bb.47:                               ;   in Loop: Header=BB341_10 Depth=1
	v_bfe_u32 v42, v12, 16, 1
	v_add3_u32 v42, v12, v42, s54
                                        ; implicit-def: $vgpr12
; %bb.48:                               ;   in Loop: Header=BB341_10 Depth=1
	s_andn2_saveexec_b64 s[18:19], s[10:11]
; %bb.49:                               ;   in Loop: Header=BB341_10 Depth=1
	v_or_b32_e32 v42, 0x10000, v12
	v_cmp_eq_u32_sdwa s[10:11], v12, v14 src0_sel:WORD_0 src1_sel:DWORD
	v_cndmask_b32_e64 v42, v42, v12, s[10:11]
; %bb.50:                               ;   in Loop: Header=BB341_10 Depth=1
	s_or_b64 exec, exec, s[18:19]
	global_load_ubyte v43, v[8:9], off offset:256
	v_mov_b32_e32 v44, 0
	s_waitcnt vmcnt(0)
	v_cmp_ne_u16_e64 s[10:11], 0, v43
	s_and_saveexec_b64 s[18:19], s[10:11]
	s_cbranch_execz .LBB341_56
; %bb.51:                               ;   in Loop: Header=BB341_10 Depth=1
	v_cmp_ne_u16_e64 s[10:11], s51, v43
	v_bfrev_b32_e32 v44, 1
	s_and_saveexec_b64 s[42:43], s[10:11]
	s_cbranch_execz .LBB341_55
; %bb.52:                               ;   in Loop: Header=BB341_10 Depth=1
	v_and_b32_e32 v12, 0xffff, v43
	v_and_b32_e32 v45, 0x7f, v12
	v_cmp_ne_u32_e64 s[10:11], s52, v45
	v_mov_b32_e32 v44, 0x7f800001
	s_and_saveexec_b64 s[44:45], s[10:11]
	s_cbranch_execz .LBB341_54
; %bb.53:                               ;   in Loop: Header=BB341_10 Depth=1
	v_and_b32_e32 v44, 7, v12
	v_ffbh_u32_e32 v46, v44
	v_min_u32_e32 v49, 32, v46
	v_subrev_u32_e32 v46, 28, v49
	v_lshlrev_b64 v[46:47], v46, v[12:13]
	v_lshrrev_b32_e32 v48, 3, v45
	v_sub_u32_e32 v12, 29, v49
	v_and_b32_e32 v46, 7, v46
	v_cmp_gt_u32_e64 s[10:11], 8, v45
	v_cndmask_b32_e64 v12, v48, v12, s[10:11]
	v_cndmask_b32_e64 v44, v44, v46, s[10:11]
	v_lshlrev_b32_e32 v43, 24, v43
	v_lshlrev_b32_e32 v44, 20, v44
	v_and_b32_e32 v43, 0x80000000, v43
	v_lshl_add_u32 v12, v12, 23, v37
	v_or3_b32 v44, v43, v12, v44
.LBB341_54:                             ;   in Loop: Header=BB341_10 Depth=1
	s_or_b64 exec, exec, s[44:45]
.LBB341_55:                             ;   in Loop: Header=BB341_10 Depth=1
	s_or_b64 exec, exec, s[42:43]
.LBB341_56:                             ;   in Loop: Header=BB341_10 Depth=1
	s_or_b64 exec, exec, s[18:19]
	v_mul_f32_e32 v12, s49, v44
	v_and_b32_e32 v43, 0x7f800000, v12
	v_cmp_ne_u32_e64 s[10:11], s53, v43
                                        ; implicit-def: $vgpr43
	s_and_saveexec_b64 s[18:19], s[10:11]
	s_xor_b64 s[10:11], exec, s[18:19]
; %bb.57:                               ;   in Loop: Header=BB341_10 Depth=1
	v_bfe_u32 v43, v12, 16, 1
	v_add3_u32 v43, v12, v43, s54
                                        ; implicit-def: $vgpr12
; %bb.58:                               ;   in Loop: Header=BB341_10 Depth=1
	s_andn2_saveexec_b64 s[18:19], s[10:11]
; %bb.59:                               ;   in Loop: Header=BB341_10 Depth=1
	v_or_b32_e32 v43, 0x10000, v12
	v_cmp_eq_u32_sdwa s[10:11], v12, v14 src0_sel:WORD_0 src1_sel:DWORD
	v_cndmask_b32_e64 v43, v43, v12, s[10:11]
; %bb.60:                               ;   in Loop: Header=BB341_10 Depth=1
	s_or_b64 exec, exec, s[18:19]
	global_load_ubyte v44, v[8:9], off offset:264
	v_mov_b32_e32 v45, 0
	s_waitcnt vmcnt(0)
	v_cmp_ne_u16_e64 s[10:11], 0, v44
	s_and_saveexec_b64 s[18:19], s[10:11]
	s_cbranch_execz .LBB341_66
; %bb.61:                               ;   in Loop: Header=BB341_10 Depth=1
	v_cmp_ne_u16_e64 s[10:11], s51, v44
	v_bfrev_b32_e32 v45, 1
	s_and_saveexec_b64 s[42:43], s[10:11]
	s_cbranch_execz .LBB341_65
; %bb.62:                               ;   in Loop: Header=BB341_10 Depth=1
	v_and_b32_e32 v12, 0xffff, v44
	v_and_b32_e32 v46, 0x7f, v12
	v_cmp_ne_u32_e64 s[10:11], s52, v46
	v_mov_b32_e32 v45, 0x7f800001
	s_and_saveexec_b64 s[44:45], s[10:11]
	s_cbranch_execz .LBB341_64
; %bb.63:                               ;   in Loop: Header=BB341_10 Depth=1
	v_and_b32_e32 v45, 7, v12
	v_ffbh_u32_e32 v48, v45
	v_min_u32_e32 v50, 32, v48
	v_subrev_u32_e32 v48, 28, v50
	v_lshlrev_b64 v[48:49], v48, v[12:13]
	v_lshrrev_b32_e32 v47, 3, v46
	v_sub_u32_e32 v12, 29, v50
	v_and_b32_e32 v48, 7, v48
	v_cmp_gt_u32_e64 s[10:11], 8, v46
	v_cndmask_b32_e64 v12, v47, v12, s[10:11]
	v_cndmask_b32_e64 v45, v45, v48, s[10:11]
	v_lshlrev_b32_e32 v44, 24, v44
	v_lshlrev_b32_e32 v45, 20, v45
	v_and_b32_e32 v44, 0x80000000, v44
	v_lshl_add_u32 v12, v12, 23, v37
	v_or3_b32 v45, v44, v12, v45
.LBB341_64:                             ;   in Loop: Header=BB341_10 Depth=1
	s_or_b64 exec, exec, s[44:45]
.LBB341_65:                             ;   in Loop: Header=BB341_10 Depth=1
	s_or_b64 exec, exec, s[42:43]
.LBB341_66:                             ;   in Loop: Header=BB341_10 Depth=1
	s_or_b64 exec, exec, s[18:19]
	v_mul_f32_e32 v12, s49, v45
	v_and_b32_e32 v44, 0x7f800000, v12
	v_cmp_ne_u32_e64 s[10:11], s53, v44
                                        ; implicit-def: $vgpr44
	s_and_saveexec_b64 s[18:19], s[10:11]
	s_xor_b64 s[10:11], exec, s[18:19]
; %bb.67:                               ;   in Loop: Header=BB341_10 Depth=1
	v_bfe_u32 v44, v12, 16, 1
	v_add3_u32 v44, v12, v44, s54
                                        ; implicit-def: $vgpr12
; %bb.68:                               ;   in Loop: Header=BB341_10 Depth=1
	s_andn2_saveexec_b64 s[18:19], s[10:11]
; %bb.69:                               ;   in Loop: Header=BB341_10 Depth=1
	v_or_b32_e32 v44, 0x10000, v12
	v_cmp_eq_u32_sdwa s[10:11], v12, v14 src0_sel:WORD_0 src1_sel:DWORD
	v_cndmask_b32_e64 v44, v44, v12, s[10:11]
; %bb.70:                               ;   in Loop: Header=BB341_10 Depth=1
	s_or_b64 exec, exec, s[18:19]
	global_load_ubyte v45, v[8:9], off offset:384
	v_mov_b32_e32 v46, 0
	s_waitcnt vmcnt(0)
	v_cmp_ne_u16_e64 s[10:11], 0, v45
	s_and_saveexec_b64 s[18:19], s[10:11]
	s_cbranch_execz .LBB341_76
; %bb.71:                               ;   in Loop: Header=BB341_10 Depth=1
	v_cmp_ne_u16_e64 s[10:11], s51, v45
	v_bfrev_b32_e32 v46, 1
	s_and_saveexec_b64 s[42:43], s[10:11]
	s_cbranch_execz .LBB341_75
; %bb.72:                               ;   in Loop: Header=BB341_10 Depth=1
	v_and_b32_e32 v12, 0xffff, v45
	v_and_b32_e32 v47, 0x7f, v12
	v_cmp_ne_u32_e64 s[10:11], s52, v47
	v_mov_b32_e32 v46, 0x7f800001
	s_and_saveexec_b64 s[44:45], s[10:11]
	s_cbranch_execz .LBB341_74
; %bb.73:                               ;   in Loop: Header=BB341_10 Depth=1
	v_and_b32_e32 v46, 7, v12
	v_ffbh_u32_e32 v48, v46
	v_min_u32_e32 v51, 32, v48
	v_subrev_u32_e32 v48, 28, v51
	v_lshlrev_b64 v[48:49], v48, v[12:13]
	v_lshrrev_b32_e32 v50, 3, v47
	v_sub_u32_e32 v12, 29, v51
	v_and_b32_e32 v48, 7, v48
	v_cmp_gt_u32_e64 s[10:11], 8, v47
	v_cndmask_b32_e64 v12, v50, v12, s[10:11]
	v_cndmask_b32_e64 v46, v46, v48, s[10:11]
	v_lshlrev_b32_e32 v45, 24, v45
	v_lshlrev_b32_e32 v46, 20, v46
	v_and_b32_e32 v45, 0x80000000, v45
	v_lshl_add_u32 v12, v12, 23, v37
	v_or3_b32 v46, v45, v12, v46
.LBB341_74:                             ;   in Loop: Header=BB341_10 Depth=1
	s_or_b64 exec, exec, s[44:45]
.LBB341_75:                             ;   in Loop: Header=BB341_10 Depth=1
	s_or_b64 exec, exec, s[42:43]
.LBB341_76:                             ;   in Loop: Header=BB341_10 Depth=1
	s_or_b64 exec, exec, s[18:19]
	v_mul_f32_e32 v12, s49, v46
	v_and_b32_e32 v45, 0x7f800000, v12
	v_cmp_ne_u32_e64 s[10:11], s53, v45
                                        ; implicit-def: $vgpr45
	s_and_saveexec_b64 s[18:19], s[10:11]
	s_xor_b64 s[10:11], exec, s[18:19]
; %bb.77:                               ;   in Loop: Header=BB341_10 Depth=1
	v_bfe_u32 v45, v12, 16, 1
	v_add3_u32 v45, v12, v45, s54
                                        ; implicit-def: $vgpr12
; %bb.78:                               ;   in Loop: Header=BB341_10 Depth=1
	s_andn2_saveexec_b64 s[18:19], s[10:11]
; %bb.79:                               ;   in Loop: Header=BB341_10 Depth=1
	v_or_b32_e32 v45, 0x10000, v12
	v_cmp_eq_u32_sdwa s[10:11], v12, v14 src0_sel:WORD_0 src1_sel:DWORD
	v_cndmask_b32_e64 v45, v45, v12, s[10:11]
; %bb.80:                               ;   in Loop: Header=BB341_10 Depth=1
	s_or_b64 exec, exec, s[18:19]
	global_load_ubyte v46, v[8:9], off offset:392
	v_mov_b32_e32 v47, 0
	s_waitcnt vmcnt(0)
	v_cmp_ne_u16_e64 s[10:11], 0, v46
	s_and_saveexec_b64 s[18:19], s[10:11]
	s_cbranch_execz .LBB341_86
; %bb.81:                               ;   in Loop: Header=BB341_10 Depth=1
	v_cmp_ne_u16_e64 s[10:11], s51, v46
	v_bfrev_b32_e32 v47, 1
	s_and_saveexec_b64 s[42:43], s[10:11]
	s_cbranch_execz .LBB341_85
; %bb.82:                               ;   in Loop: Header=BB341_10 Depth=1
	v_and_b32_e32 v12, 0xffff, v46
	v_and_b32_e32 v48, 0x7f, v12
	v_cmp_ne_u32_e64 s[10:11], s52, v48
	v_mov_b32_e32 v47, 0x7f800001
	s_and_saveexec_b64 s[44:45], s[10:11]
	s_cbranch_execz .LBB341_84
; %bb.83:                               ;   in Loop: Header=BB341_10 Depth=1
	v_and_b32_e32 v47, 7, v12
	v_ffbh_u32_e32 v50, v47
	v_min_u32_e32 v52, 32, v50
	v_subrev_u32_e32 v50, 28, v52
	v_lshlrev_b64 v[50:51], v50, v[12:13]
	v_lshrrev_b32_e32 v49, 3, v48
	v_sub_u32_e32 v12, 29, v52
	v_and_b32_e32 v50, 7, v50
	v_cmp_gt_u32_e64 s[10:11], 8, v48
	v_cndmask_b32_e64 v12, v49, v12, s[10:11]
	v_cndmask_b32_e64 v47, v47, v50, s[10:11]
	v_lshlrev_b32_e32 v46, 24, v46
	v_lshlrev_b32_e32 v47, 20, v47
	v_and_b32_e32 v46, 0x80000000, v46
	v_lshl_add_u32 v12, v12, 23, v37
	v_or3_b32 v47, v46, v12, v47
.LBB341_84:                             ;   in Loop: Header=BB341_10 Depth=1
	s_or_b64 exec, exec, s[44:45]
.LBB341_85:                             ;   in Loop: Header=BB341_10 Depth=1
	s_or_b64 exec, exec, s[42:43]
.LBB341_86:                             ;   in Loop: Header=BB341_10 Depth=1
	s_or_b64 exec, exec, s[18:19]
	v_mul_f32_e32 v12, s49, v47
	v_and_b32_e32 v46, 0x7f800000, v12
	v_cmp_ne_u32_e64 s[10:11], s53, v46
                                        ; implicit-def: $vgpr46
	s_and_saveexec_b64 s[18:19], s[10:11]
	s_xor_b64 s[10:11], exec, s[18:19]
; %bb.87:                               ;   in Loop: Header=BB341_10 Depth=1
	v_bfe_u32 v46, v12, 16, 1
	v_add3_u32 v46, v12, v46, s54
                                        ; implicit-def: $vgpr12
; %bb.88:                               ;   in Loop: Header=BB341_10 Depth=1
	s_andn2_saveexec_b64 s[18:19], s[10:11]
; %bb.89:                               ;   in Loop: Header=BB341_10 Depth=1
	v_or_b32_e32 v46, 0x10000, v12
	v_cmp_eq_u32_sdwa s[10:11], v12, v14 src0_sel:WORD_0 src1_sel:DWORD
	v_cndmask_b32_e64 v46, v46, v12, s[10:11]
; %bb.90:                               ;   in Loop: Header=BB341_10 Depth=1
	s_or_b64 exec, exec, s[18:19]
	global_load_ubyte v47, v[8:9], off offset:512
	v_mov_b32_e32 v48, 0
	s_waitcnt vmcnt(0)
	v_cmp_ne_u16_e64 s[10:11], 0, v47
	s_and_saveexec_b64 s[18:19], s[10:11]
	s_cbranch_execz .LBB341_96
; %bb.91:                               ;   in Loop: Header=BB341_10 Depth=1
	v_cmp_ne_u16_e64 s[10:11], s51, v47
	v_bfrev_b32_e32 v48, 1
	s_and_saveexec_b64 s[42:43], s[10:11]
	s_cbranch_execz .LBB341_95
; %bb.92:                               ;   in Loop: Header=BB341_10 Depth=1
	v_and_b32_e32 v12, 0xffff, v47
	v_and_b32_e32 v49, 0x7f, v12
	v_cmp_ne_u32_e64 s[10:11], s52, v49
	v_mov_b32_e32 v48, 0x7f800001
	s_and_saveexec_b64 s[44:45], s[10:11]
	s_cbranch_execz .LBB341_94
; %bb.93:                               ;   in Loop: Header=BB341_10 Depth=1
	v_and_b32_e32 v48, 7, v12
	v_ffbh_u32_e32 v50, v48
	v_min_u32_e32 v53, 32, v50
	v_subrev_u32_e32 v50, 28, v53
	v_lshlrev_b64 v[50:51], v50, v[12:13]
	v_lshrrev_b32_e32 v52, 3, v49
	v_sub_u32_e32 v12, 29, v53
	v_and_b32_e32 v50, 7, v50
	v_cmp_gt_u32_e64 s[10:11], 8, v49
	v_cndmask_b32_e64 v12, v52, v12, s[10:11]
	v_cndmask_b32_e64 v48, v48, v50, s[10:11]
	v_lshlrev_b32_e32 v47, 24, v47
	v_lshlrev_b32_e32 v48, 20, v48
	v_and_b32_e32 v47, 0x80000000, v47
	v_lshl_add_u32 v12, v12, 23, v37
	v_or3_b32 v48, v47, v12, v48
.LBB341_94:                             ;   in Loop: Header=BB341_10 Depth=1
	s_or_b64 exec, exec, s[44:45]
.LBB341_95:                             ;   in Loop: Header=BB341_10 Depth=1
	s_or_b64 exec, exec, s[42:43]
.LBB341_96:                             ;   in Loop: Header=BB341_10 Depth=1
	s_or_b64 exec, exec, s[18:19]
	v_mul_f32_e32 v12, s49, v48
	v_and_b32_e32 v47, 0x7f800000, v12
	v_cmp_ne_u32_e64 s[10:11], s53, v47
                                        ; implicit-def: $vgpr47
	s_and_saveexec_b64 s[18:19], s[10:11]
	s_xor_b64 s[10:11], exec, s[18:19]
; %bb.97:                               ;   in Loop: Header=BB341_10 Depth=1
	v_bfe_u32 v47, v12, 16, 1
	v_add3_u32 v47, v12, v47, s54
                                        ; implicit-def: $vgpr12
; %bb.98:                               ;   in Loop: Header=BB341_10 Depth=1
	s_andn2_saveexec_b64 s[18:19], s[10:11]
; %bb.99:                               ;   in Loop: Header=BB341_10 Depth=1
	v_or_b32_e32 v47, 0x10000, v12
	v_cmp_eq_u32_sdwa s[10:11], v12, v14 src0_sel:WORD_0 src1_sel:DWORD
	v_cndmask_b32_e64 v47, v47, v12, s[10:11]
; %bb.100:                              ;   in Loop: Header=BB341_10 Depth=1
	s_or_b64 exec, exec, s[18:19]
	global_load_ubyte v48, v[8:9], off offset:520
	v_mov_b32_e32 v49, 0
	s_waitcnt vmcnt(0)
	v_cmp_ne_u16_e64 s[10:11], 0, v48
	s_and_saveexec_b64 s[18:19], s[10:11]
	s_cbranch_execz .LBB341_106
; %bb.101:                              ;   in Loop: Header=BB341_10 Depth=1
	v_cmp_ne_u16_e64 s[10:11], s51, v48
	v_bfrev_b32_e32 v49, 1
	s_and_saveexec_b64 s[42:43], s[10:11]
	s_cbranch_execz .LBB341_105
; %bb.102:                              ;   in Loop: Header=BB341_10 Depth=1
	v_and_b32_e32 v12, 0xffff, v48
	v_and_b32_e32 v50, 0x7f, v12
	v_cmp_ne_u32_e64 s[10:11], s52, v50
	v_mov_b32_e32 v49, 0x7f800001
	s_and_saveexec_b64 s[44:45], s[10:11]
	s_cbranch_execz .LBB341_104
; %bb.103:                              ;   in Loop: Header=BB341_10 Depth=1
	v_and_b32_e32 v49, 7, v12
	v_ffbh_u32_e32 v52, v49
	v_min_u32_e32 v54, 32, v52
	v_subrev_u32_e32 v52, 28, v54
	v_lshlrev_b64 v[52:53], v52, v[12:13]
	v_lshrrev_b32_e32 v51, 3, v50
	v_sub_u32_e32 v12, 29, v54
	v_and_b32_e32 v52, 7, v52
	v_cmp_gt_u32_e64 s[10:11], 8, v50
	v_cndmask_b32_e64 v12, v51, v12, s[10:11]
	v_cndmask_b32_e64 v49, v49, v52, s[10:11]
	v_lshlrev_b32_e32 v48, 24, v48
	v_lshlrev_b32_e32 v49, 20, v49
	v_and_b32_e32 v48, 0x80000000, v48
	v_lshl_add_u32 v12, v12, 23, v37
	v_or3_b32 v49, v48, v12, v49
.LBB341_104:                            ;   in Loop: Header=BB341_10 Depth=1
	s_or_b64 exec, exec, s[44:45]
.LBB341_105:                            ;   in Loop: Header=BB341_10 Depth=1
	s_or_b64 exec, exec, s[42:43]
.LBB341_106:                            ;   in Loop: Header=BB341_10 Depth=1
	s_or_b64 exec, exec, s[18:19]
	v_mul_f32_e32 v12, s49, v49
	v_and_b32_e32 v48, 0x7f800000, v12
	v_cmp_ne_u32_e64 s[10:11], s53, v48
                                        ; implicit-def: $vgpr48
	s_and_saveexec_b64 s[18:19], s[10:11]
	s_xor_b64 s[10:11], exec, s[18:19]
; %bb.107:                              ;   in Loop: Header=BB341_10 Depth=1
	v_bfe_u32 v48, v12, 16, 1
	v_add3_u32 v48, v12, v48, s54
                                        ; implicit-def: $vgpr12
; %bb.108:                              ;   in Loop: Header=BB341_10 Depth=1
	s_andn2_saveexec_b64 s[18:19], s[10:11]
; %bb.109:                              ;   in Loop: Header=BB341_10 Depth=1
	v_or_b32_e32 v48, 0x10000, v12
	v_cmp_eq_u32_sdwa s[10:11], v12, v14 src0_sel:WORD_0 src1_sel:DWORD
	v_cndmask_b32_e64 v48, v48, v12, s[10:11]
; %bb.110:                              ;   in Loop: Header=BB341_10 Depth=1
	s_or_b64 exec, exec, s[18:19]
	global_load_ubyte v49, v[8:9], off offset:640
	v_mov_b32_e32 v50, 0
	s_waitcnt vmcnt(0)
	v_cmp_ne_u16_e64 s[10:11], 0, v49
	s_and_saveexec_b64 s[18:19], s[10:11]
	s_cbranch_execz .LBB341_116
; %bb.111:                              ;   in Loop: Header=BB341_10 Depth=1
	v_cmp_ne_u16_e64 s[10:11], s51, v49
	v_bfrev_b32_e32 v50, 1
	s_and_saveexec_b64 s[42:43], s[10:11]
	s_cbranch_execz .LBB341_115
; %bb.112:                              ;   in Loop: Header=BB341_10 Depth=1
	v_and_b32_e32 v12, 0xffff, v49
	v_and_b32_e32 v51, 0x7f, v12
	v_cmp_ne_u32_e64 s[10:11], s52, v51
	v_mov_b32_e32 v50, 0x7f800001
	s_and_saveexec_b64 s[44:45], s[10:11]
	s_cbranch_execz .LBB341_114
; %bb.113:                              ;   in Loop: Header=BB341_10 Depth=1
	v_and_b32_e32 v50, 7, v12
	v_ffbh_u32_e32 v52, v50
	v_min_u32_e32 v55, 32, v52
	v_subrev_u32_e32 v52, 28, v55
	v_lshlrev_b64 v[52:53], v52, v[12:13]
	v_lshrrev_b32_e32 v54, 3, v51
	v_sub_u32_e32 v12, 29, v55
	v_and_b32_e32 v52, 7, v52
	v_cmp_gt_u32_e64 s[10:11], 8, v51
	v_cndmask_b32_e64 v12, v54, v12, s[10:11]
	v_cndmask_b32_e64 v50, v50, v52, s[10:11]
	v_lshlrev_b32_e32 v49, 24, v49
	v_lshlrev_b32_e32 v50, 20, v50
	v_and_b32_e32 v49, 0x80000000, v49
	v_lshl_add_u32 v12, v12, 23, v37
	v_or3_b32 v50, v49, v12, v50
.LBB341_114:                            ;   in Loop: Header=BB341_10 Depth=1
	s_or_b64 exec, exec, s[44:45]
.LBB341_115:                            ;   in Loop: Header=BB341_10 Depth=1
	s_or_b64 exec, exec, s[42:43]
.LBB341_116:                            ;   in Loop: Header=BB341_10 Depth=1
	s_or_b64 exec, exec, s[18:19]
	v_mul_f32_e32 v12, s49, v50
	v_and_b32_e32 v49, 0x7f800000, v12
	v_cmp_ne_u32_e64 s[10:11], s53, v49
                                        ; implicit-def: $vgpr49
	s_and_saveexec_b64 s[18:19], s[10:11]
	s_xor_b64 s[10:11], exec, s[18:19]
; %bb.117:                              ;   in Loop: Header=BB341_10 Depth=1
	v_bfe_u32 v49, v12, 16, 1
	v_add3_u32 v49, v12, v49, s54
                                        ; implicit-def: $vgpr12
; %bb.118:                              ;   in Loop: Header=BB341_10 Depth=1
	s_andn2_saveexec_b64 s[18:19], s[10:11]
; %bb.119:                              ;   in Loop: Header=BB341_10 Depth=1
	v_or_b32_e32 v49, 0x10000, v12
	v_cmp_eq_u32_sdwa s[10:11], v12, v14 src0_sel:WORD_0 src1_sel:DWORD
	v_cndmask_b32_e64 v49, v49, v12, s[10:11]
; %bb.120:                              ;   in Loop: Header=BB341_10 Depth=1
	s_or_b64 exec, exec, s[18:19]
	global_load_ubyte v50, v[8:9], off offset:648
	v_mov_b32_e32 v51, 0
	s_waitcnt vmcnt(0)
	v_cmp_ne_u16_e64 s[10:11], 0, v50
	s_and_saveexec_b64 s[18:19], s[10:11]
	s_cbranch_execz .LBB341_126
; %bb.121:                              ;   in Loop: Header=BB341_10 Depth=1
	v_cmp_ne_u16_e64 s[10:11], s51, v50
	v_bfrev_b32_e32 v51, 1
	s_and_saveexec_b64 s[42:43], s[10:11]
	s_cbranch_execz .LBB341_125
; %bb.122:                              ;   in Loop: Header=BB341_10 Depth=1
	v_and_b32_e32 v12, 0xffff, v50
	v_and_b32_e32 v52, 0x7f, v12
	v_cmp_ne_u32_e64 s[10:11], s52, v52
	v_mov_b32_e32 v51, 0x7f800001
	s_and_saveexec_b64 s[44:45], s[10:11]
	s_cbranch_execz .LBB341_124
; %bb.123:                              ;   in Loop: Header=BB341_10 Depth=1
	v_and_b32_e32 v51, 7, v12
	v_ffbh_u32_e32 v54, v51
	v_min_u32_e32 v56, 32, v54
	v_subrev_u32_e32 v54, 28, v56
	v_lshlrev_b64 v[54:55], v54, v[12:13]
	v_lshrrev_b32_e32 v53, 3, v52
	v_sub_u32_e32 v12, 29, v56
	v_and_b32_e32 v54, 7, v54
	v_cmp_gt_u32_e64 s[10:11], 8, v52
	v_cndmask_b32_e64 v12, v53, v12, s[10:11]
	v_cndmask_b32_e64 v51, v51, v54, s[10:11]
	v_lshlrev_b32_e32 v50, 24, v50
	v_lshlrev_b32_e32 v51, 20, v51
	v_and_b32_e32 v50, 0x80000000, v50
	v_lshl_add_u32 v12, v12, 23, v37
	v_or3_b32 v51, v50, v12, v51
.LBB341_124:                            ;   in Loop: Header=BB341_10 Depth=1
	s_or_b64 exec, exec, s[44:45]
.LBB341_125:                            ;   in Loop: Header=BB341_10 Depth=1
	s_or_b64 exec, exec, s[42:43]
.LBB341_126:                            ;   in Loop: Header=BB341_10 Depth=1
	s_or_b64 exec, exec, s[18:19]
	v_mul_f32_e32 v12, s49, v51
	v_and_b32_e32 v50, 0x7f800000, v12
	v_cmp_ne_u32_e64 s[10:11], s53, v50
                                        ; implicit-def: $vgpr50
	s_and_saveexec_b64 s[18:19], s[10:11]
	s_xor_b64 s[10:11], exec, s[18:19]
; %bb.127:                              ;   in Loop: Header=BB341_10 Depth=1
	v_bfe_u32 v50, v12, 16, 1
	v_add3_u32 v50, v12, v50, s54
                                        ; implicit-def: $vgpr12
; %bb.128:                              ;   in Loop: Header=BB341_10 Depth=1
	s_andn2_saveexec_b64 s[18:19], s[10:11]
; %bb.129:                              ;   in Loop: Header=BB341_10 Depth=1
	v_or_b32_e32 v50, 0x10000, v12
	v_cmp_eq_u32_sdwa s[10:11], v12, v14 src0_sel:WORD_0 src1_sel:DWORD
	v_cndmask_b32_e64 v50, v50, v12, s[10:11]
; %bb.130:                              ;   in Loop: Header=BB341_10 Depth=1
	s_or_b64 exec, exec, s[18:19]
	global_load_ubyte v51, v[8:9], off offset:768
	v_mov_b32_e32 v52, 0
	s_waitcnt vmcnt(0)
	v_cmp_ne_u16_e64 s[10:11], 0, v51
	s_and_saveexec_b64 s[18:19], s[10:11]
	s_cbranch_execz .LBB341_136
; %bb.131:                              ;   in Loop: Header=BB341_10 Depth=1
	v_cmp_ne_u16_e64 s[10:11], s51, v51
	v_bfrev_b32_e32 v52, 1
	s_and_saveexec_b64 s[42:43], s[10:11]
	s_cbranch_execz .LBB341_135
; %bb.132:                              ;   in Loop: Header=BB341_10 Depth=1
	v_and_b32_e32 v12, 0xffff, v51
	v_and_b32_e32 v53, 0x7f, v12
	v_cmp_ne_u32_e64 s[10:11], s52, v53
	v_mov_b32_e32 v52, 0x7f800001
	s_and_saveexec_b64 s[44:45], s[10:11]
	s_cbranch_execz .LBB341_134
; %bb.133:                              ;   in Loop: Header=BB341_10 Depth=1
	v_and_b32_e32 v52, 7, v12
	v_ffbh_u32_e32 v54, v52
	v_min_u32_e32 v57, 32, v54
	v_subrev_u32_e32 v54, 28, v57
	v_lshlrev_b64 v[54:55], v54, v[12:13]
	v_lshrrev_b32_e32 v56, 3, v53
	v_sub_u32_e32 v12, 29, v57
	v_and_b32_e32 v54, 7, v54
	v_cmp_gt_u32_e64 s[10:11], 8, v53
	v_cndmask_b32_e64 v12, v56, v12, s[10:11]
	v_cndmask_b32_e64 v52, v52, v54, s[10:11]
	v_lshlrev_b32_e32 v51, 24, v51
	v_lshlrev_b32_e32 v52, 20, v52
	v_and_b32_e32 v51, 0x80000000, v51
	v_lshl_add_u32 v12, v12, 23, v37
	v_or3_b32 v52, v51, v12, v52
.LBB341_134:                            ;   in Loop: Header=BB341_10 Depth=1
	s_or_b64 exec, exec, s[44:45]
.LBB341_135:                            ;   in Loop: Header=BB341_10 Depth=1
	s_or_b64 exec, exec, s[42:43]
.LBB341_136:                            ;   in Loop: Header=BB341_10 Depth=1
	s_or_b64 exec, exec, s[18:19]
	v_mul_f32_e32 v51, s49, v52
	v_and_b32_e32 v12, 0x7f800000, v51
	v_cmp_ne_u32_e64 s[10:11], s53, v12
                                        ; implicit-def: $vgpr12
	s_and_saveexec_b64 s[18:19], s[10:11]
	s_xor_b64 s[10:11], exec, s[18:19]
; %bb.137:                              ;   in Loop: Header=BB341_10 Depth=1
	v_bfe_u32 v12, v51, 16, 1
	v_add3_u32 v12, v51, v12, s54
                                        ; implicit-def: $vgpr51
; %bb.138:                              ;   in Loop: Header=BB341_10 Depth=1
	s_andn2_saveexec_b64 s[18:19], s[10:11]
; %bb.139:                              ;   in Loop: Header=BB341_10 Depth=1
	v_or_b32_e32 v12, 0x10000, v51
	v_cmp_eq_u32_sdwa s[10:11], v51, v14 src0_sel:WORD_0 src1_sel:DWORD
	v_cndmask_b32_e64 v12, v12, v51, s[10:11]
; %bb.140:                              ;   in Loop: Header=BB341_10 Depth=1
	s_or_b64 exec, exec, s[18:19]
	global_load_ubyte v9, v[8:9], off offset:776
	v_mov_b32_e32 v51, 0
	s_waitcnt vmcnt(0)
	v_cmp_ne_u16_e64 s[10:11], 0, v9
	s_and_saveexec_b64 s[18:19], s[10:11]
	s_cbranch_execz .LBB341_146
; %bb.141:                              ;   in Loop: Header=BB341_10 Depth=1
	v_cmp_ne_u16_e64 s[10:11], s51, v9
	v_bfrev_b32_e32 v51, 1
	s_and_saveexec_b64 s[42:43], s[10:11]
	s_cbranch_execz .LBB341_145
; %bb.142:                              ;   in Loop: Header=BB341_10 Depth=1
	v_and_b32_e32 v8, 0xffff, v9
	v_and_b32_e32 v52, 0x7f, v8
	v_cmp_ne_u32_e64 s[10:11], s52, v52
	v_mov_b32_e32 v51, 0x7f800001
	s_and_saveexec_b64 s[44:45], s[10:11]
	s_cbranch_execz .LBB341_144
; %bb.143:                              ;   in Loop: Header=BB341_10 Depth=1
	v_and_b32_e32 v51, 7, v8
	v_ffbh_u32_e32 v54, v51
	v_min_u32_e32 v56, 32, v54
	v_subrev_u32_e32 v54, 28, v56
	v_lshlrev_b64 v[54:55], v54, v[8:9]
	v_lshrrev_b32_e32 v53, 3, v52
	v_sub_u32_e32 v8, 29, v56
	v_and_b32_e32 v54, 7, v54
	v_cmp_gt_u32_e64 s[10:11], 8, v52
	v_cndmask_b32_e64 v8, v53, v8, s[10:11]
	v_cndmask_b32_e64 v51, v51, v54, s[10:11]
	v_lshlrev_b32_e32 v9, 24, v9
	v_lshlrev_b32_e32 v51, 20, v51
	v_and_b32_e32 v9, 0x80000000, v9
	v_lshl_add_u32 v8, v8, 23, v37
	v_or3_b32 v51, v9, v8, v51
.LBB341_144:                            ;   in Loop: Header=BB341_10 Depth=1
	s_or_b64 exec, exec, s[44:45]
.LBB341_145:                            ;   in Loop: Header=BB341_10 Depth=1
	s_or_b64 exec, exec, s[42:43]
.LBB341_146:                            ;   in Loop: Header=BB341_10 Depth=1
	s_or_b64 exec, exec, s[18:19]
	v_mul_f32_e32 v9, s49, v51
	v_and_b32_e32 v8, 0x7f800000, v9
	v_cmp_ne_u32_e64 s[10:11], s53, v8
                                        ; implicit-def: $vgpr8
	s_and_saveexec_b64 s[18:19], s[10:11]
	s_xor_b64 s[10:11], exec, s[18:19]
; %bb.147:                              ;   in Loop: Header=BB341_10 Depth=1
	v_bfe_u32 v8, v9, 16, 1
	v_add3_u32 v8, v9, v8, s54
                                        ; implicit-def: $vgpr9
; %bb.148:                              ;   in Loop: Header=BB341_10 Depth=1
	s_andn2_saveexec_b64 s[18:19], s[10:11]
; %bb.149:                              ;   in Loop: Header=BB341_10 Depth=1
	v_or_b32_e32 v8, 0x10000, v9
	v_cmp_eq_u32_sdwa s[10:11], v9, v14 src0_sel:WORD_0 src1_sel:DWORD
	v_cndmask_b32_e64 v8, v8, v9, s[10:11]
; %bb.150:                              ;   in Loop: Header=BB341_10 Depth=1
	s_or_b64 exec, exec, s[18:19]
	v_and_b32_e32 v40, 0xffff0000, v40
	v_and_b32_e32 v39, 0xffff0000, v39
	v_mul_f32_e32 v40, v17, v40
	v_and_b32_e32 v41, 0xffff0000, v41
	v_fmac_f32_e32 v40, v15, v39
	v_and_b32_e32 v42, 0xffff0000, v42
	v_fmac_f32_e32 v40, v18, v41
	;; [unrolled: 2-line block ×9, first 2 shown]
	v_and_b32_e32 v9, 0xffff0000, v12
	v_and_b32_e32 v12, 0xffff0000, v50
	v_fmac_f32_e32 v40, v27, v49
	v_fmac_f32_e32 v40, v28, v12
	v_and_b32_e32 v8, 0xffff0000, v8
	v_fmac_f32_e32 v40, v29, v9
	v_fmac_f32_e32 v40, v30, v8
	ds_bpermute_b32 v8, v32, v40
	s_waitcnt lgkmcnt(0)
	v_add_f32_e32 v8, v40, v8
	ds_bpermute_b32 v9, v33, v8
	s_waitcnt lgkmcnt(0)
	v_add_f32_e32 v8, v8, v9
	ds_bpermute_b32 v9, v34, v8
	s_and_saveexec_b64 s[18:19], vcc
	s_cbranch_execz .LBB341_9
; %bb.151:                              ;   in Loop: Header=BB341_10 Depth=1
	v_add_u32_e32 v12, s50, v35
	v_cvt_f32_i32_e32 v12, v12
	s_waitcnt lgkmcnt(0)
	v_add_f32_e32 v8, v8, v9
	v_cmp_gt_i32_e64 s[10:11], s33, v35
	v_max_f32_e32 v9, v31, v31
	v_mul_f32_e32 v12, s38, v12
	v_cndmask_b32_e64 v12, 0, v12, s[4:5]
	v_fmac_f32_e32 v12, s39, v8
	v_cndmask_b32_e64 v8, 0, v12, s[10:11]
	ds_write_b32 v36, v8
	v_max_f32_e32 v8, v9, v12
	v_cndmask_b32_e64 v31, v31, v8, s[10:11]
	s_branch .LBB341_9
.LBB341_152:
	s_or_b64 exec, exec, s[12:13]
.LBB341_153:
	s_or_b64 exec, exec, s[40:41]
	v_xor_b32_e32 v2, 32, v3
	v_cmp_lt_i32_e32 vcc, v2, v13
	v_cndmask_b32_e32 v2, v3, v2, vcc
	v_lshlrev_b32_e32 v5, 2, v2
	ds_bpermute_b32 v2, v5, v31
	v_xor_b32_e32 v6, 16, v3
	v_max_f32_e32 v4, v31, v31
	v_cmp_lt_i32_e32 vcc, v6, v13
	v_and_b32_e32 v15, 63, v0
	s_waitcnt lgkmcnt(0)
	v_max_f32_e32 v2, v2, v2
	v_max_f32_e32 v2, v4, v2
	v_cndmask_b32_e32 v4, v3, v6, vcc
	v_lshlrev_b32_e32 v7, 2, v4
	ds_bpermute_b32 v4, v7, v2
	v_xor_b32_e32 v6, 8, v3
	v_cmp_lt_i32_e32 vcc, v6, v13
	s_waitcnt lgkmcnt(0)
	v_max_f32_e32 v4, v4, v4
	v_max_f32_e32 v4, v2, v4
	v_cndmask_b32_e32 v2, v3, v6, vcc
	v_lshlrev_b32_e32 v8, 2, v2
	ds_bpermute_b32 v6, v8, v4
	v_cmp_eq_u32_e32 vcc, 0, v15
	v_lshlrev_b32_e32 v2, 2, v16
	s_and_saveexec_b64 s[4:5], vcc
	s_cbranch_execz .LBB341_155
; %bb.154:
	s_waitcnt lgkmcnt(0)
	v_max_f32_e32 v6, v6, v6
	v_max_f32_e32 v4, v4, v4
	v_max_f32_e32 v4, v4, v6
	ds_write_b32 v2, v4 offset:224
.LBB341_155:
	s_or_b64 exec, exec, s[4:5]
	v_cmp_gt_u32_e64 s[4:5], 2, v15
	v_mov_b32_e32 v4, 0xff7fffff
	s_waitcnt lgkmcnt(0)
	v_lshlrev_b32_e32 v6, 2, v15
	s_barrier
	s_and_saveexec_b64 s[10:11], s[4:5]
	s_cbranch_execz .LBB341_157
; %bb.156:
	ds_read_b32 v4, v6 offset:224
.LBB341_157:
	s_or_b64 exec, exec, s[10:11]
	v_xor_b32_e32 v9, 1, v3
	v_cmp_lt_i32_e64 s[10:11], v9, v13
	v_cndmask_b32_e64 v9, v3, v9, s[10:11]
	v_lshlrev_b32_e32 v9, 2, v9
	s_waitcnt lgkmcnt(0)
	ds_bpermute_b32 v12, v9, v4
	v_max_f32_e32 v4, v4, v4
	s_sub_i32 s7, s46, s7
	s_lshl_b32 s7, s7, 3
	s_add_i32 s7, s7, s29
	s_waitcnt lgkmcnt(0)
	v_max_f32_e32 v12, v12, v12
	v_max_f32_e32 v4, v4, v12
	v_lshlrev_b32_e32 v12, 2, v3
	v_and_b32_e32 v12, 0xffffff00, v12
	ds_bpermute_b32 v4, v12, v4
	s_min_i32 s40, s7, s33
	s_sub_i32 s7, s40, s29
	v_cmp_gt_i32_e64 s[10:11], s7, v0
	v_mov_b32_e32 v14, 0
	s_and_saveexec_b64 s[18:19], s[10:11]
	s_cbranch_execz .LBB341_161
; %bb.158:
	v_mov_b32_e32 v14, 0xf0
	v_lshl_add_u32 v17, v0, 2, v14
	s_mov_b64 s[38:39], 0
	v_mov_b32_e32 v14, 0
	v_mov_b32_e32 v18, v0
.LBB341_159:                            ; =>This Inner Loop Header: Depth=1
	ds_read_b32 v20, v17
	v_add_u32_e32 v18, 0x80, v18
	v_cmp_le_i32_e64 s[12:13], s7, v18
	s_or_b64 s[38:39], s[12:13], s[38:39]
	s_waitcnt lgkmcnt(0)
	v_sub_f32_e32 v20, v20, v4
	v_mul_f32_e32 v20, 0x3fb8aa3b, v20
	v_exp_f32_e32 v20, v20
	ds_write_b32 v17, v20
	v_add_f32_e32 v14, v14, v20
	v_add_u32_e32 v17, 0x200, v17
	s_andn2_b64 exec, exec, s[38:39]
	s_cbranch_execnz .LBB341_159
; %bb.160:
	s_or_b64 exec, exec, s[38:39]
.LBB341_161:
	s_or_b64 exec, exec, s[18:19]
	ds_bpermute_b32 v5, v5, v14
	s_waitcnt lgkmcnt(0)
	v_add_f32_e32 v5, v14, v5
	ds_bpermute_b32 v7, v7, v5
	s_waitcnt lgkmcnt(0)
	v_add_f32_e32 v5, v5, v7
	ds_bpermute_b32 v7, v8, v5
	v_xor_b32_e32 v8, 4, v3
	v_cmp_lt_i32_e64 s[12:13], v8, v13
	v_cndmask_b32_e64 v8, v3, v8, s[12:13]
	v_lshlrev_b32_e32 v8, 2, v8
	s_waitcnt lgkmcnt(0)
	v_add_f32_e32 v5, v5, v7
	ds_bpermute_b32 v7, v8, v5
	v_xor_b32_e32 v8, 2, v3
	v_cmp_lt_i32_e64 s[12:13], v8, v13
	v_cndmask_b32_e64 v3, v3, v8, s[12:13]
	v_lshlrev_b32_e32 v3, 2, v3
	s_waitcnt lgkmcnt(0)
	v_add_f32_e32 v5, v5, v7
	ds_bpermute_b32 v3, v3, v5
	s_waitcnt lgkmcnt(0)
	v_add_f32_e32 v3, v5, v3
	ds_bpermute_b32 v5, v9, v3
	s_waitcnt lgkmcnt(0)
	v_add_f32_e32 v3, v3, v5
	s_and_saveexec_b64 s[12:13], vcc
	s_cbranch_execz .LBB341_163
; %bb.162:
	ds_write_b32 v2, v3 offset:232
.LBB341_163:
	s_or_b64 exec, exec, s[12:13]
	s_waitcnt lgkmcnt(0)
	s_barrier
	s_and_saveexec_b64 s[12:13], s[4:5]
	s_cbranch_execz .LBB341_165
; %bb.164:
	ds_read_b32 v3, v6 offset:232
.LBB341_165:
	s_or_b64 exec, exec, s[12:13]
	s_waitcnt lgkmcnt(0)
	ds_bpermute_b32 v2, v9, v3
	s_waitcnt lgkmcnt(0)
	v_add_f32_e32 v2, v3, v2
	ds_bpermute_b32 v5, v12, v2
	s_and_saveexec_b64 s[4:5], s[10:11]
	s_cbranch_execz .LBB341_178
; %bb.166:
	s_waitcnt lgkmcnt(0)
	v_add_f32_e32 v2, 0x358637bd, v5
	v_div_scale_f32 v3, s[10:11], v2, v2, 1.0
	v_rcp_f32_e32 v6, v3
	v_div_scale_f32 v7, vcc, 1.0, v2, 1.0
	s_movk_i32 s10, 0x7f
	v_fma_f32 v8, -v3, v6, 1.0
	v_fmac_f32_e32 v6, v8, v6
	v_mul_f32_e32 v8, v7, v6
	v_fma_f32 v9, -v3, v8, v7
	v_fmac_f32_e32 v8, v9, v6
	v_fma_f32 v3, -v3, v8, v7
	v_div_fmas_f32 v3, v3, v6, v8
	v_div_fixup_f32 v2, v3, v2, 1.0
	v_xad_u32 v3, v0, -1, s40
	v_subrev_u32_e32 v6, s29, v3
	v_cmp_lt_u32_e32 vcc, s10, v6
	s_mov_b64 s[12:13], -1
	v_mov_b32_e32 v3, v0
	s_and_saveexec_b64 s[10:11], vcc
	s_cbranch_execz .LBB341_175
; %bb.167:
	v_lshrrev_b32_e32 v6, 7, v6
	v_add_u32_e32 v8, -1, v6
	v_lshrrev_b32_e32 v7, 1, v8
	v_mov_b32_e32 v3, v2
	v_add_u32_e32 v7, 1, v7
	v_cmp_lt_u32_e32 vcc, 13, v8
	v_mov_b32_e32 v12, 0
	s_and_saveexec_b64 s[12:13], vcc
	s_cbranch_execz .LBB341_171
; %bb.168:
	v_mov_b32_e32 v9, 0xf0
	v_and_b32_e32 v8, -8, v7
	v_lshl_add_u32 v9, v0, 2, v9
	s_mov_b32 s38, 0
	s_mov_b64 s[18:19], 0
.LBB341_169:                            ; =>This Inner Loop Header: Depth=1
	ds_read2st64_b32 v[12:13], v9 offset1:2
	ds_read2st64_b32 v[20:21], v9 offset0:4 offset1:6
	ds_read2st64_b32 v[22:23], v9 offset0:8 offset1:10
	;; [unrolled: 1-line block ×3, first 2 shown]
	v_add_u32_e32 v8, -8, v8
	s_waitcnt lgkmcnt(3)
	v_pk_mul_f32 v[12:13], v[2:3], v[12:13]
	s_waitcnt lgkmcnt(2)
	v_pk_mul_f32 v[20:21], v[2:3], v[20:21]
	ds_write2st64_b32 v9, v12, v13 offset1:2
	ds_write2st64_b32 v9, v20, v21 offset0:4 offset1:6
	ds_read2st64_b32 v[20:21], v9 offset0:16 offset1:18
	s_waitcnt lgkmcnt(4)
	v_pk_mul_f32 v[12:13], v[2:3], v[22:23]
	ds_write2st64_b32 v9, v12, v13 offset0:8 offset1:10
	s_waitcnt lgkmcnt(4)
	v_pk_mul_f32 v[12:13], v[2:3], v[24:25]
	ds_write2st64_b32 v9, v12, v13 offset0:12 offset1:14
	ds_read2st64_b32 v[12:13], v9 offset0:20 offset1:22
	s_waitcnt lgkmcnt(3)
	v_pk_mul_f32 v[20:21], v[2:3], v[20:21]
	ds_read2st64_b32 v[22:23], v9 offset0:24 offset1:26
	ds_write2st64_b32 v9, v20, v21 offset0:16 offset1:18
	ds_read2st64_b32 v[20:21], v9 offset0:28 offset1:30
	s_waitcnt lgkmcnt(3)
	v_pk_mul_f32 v[12:13], v[2:3], v[12:13]
	ds_write2st64_b32 v9, v12, v13 offset0:20 offset1:22
	s_waitcnt lgkmcnt(3)
	v_pk_mul_f32 v[12:13], v[2:3], v[22:23]
	ds_write2st64_b32 v9, v12, v13 offset0:24 offset1:26
	s_waitcnt lgkmcnt(2)
	v_pk_mul_f32 v[12:13], v[2:3], v[20:21]
	s_add_i32 s38, s38, 16
	v_cmp_eq_u32_e32 vcc, 0, v8
	ds_write2st64_b32 v9, v12, v13 offset0:28 offset1:30
	v_add_u32_e32 v9, 0x2000, v9
	s_or_b64 s[18:19], vcc, s[18:19]
	v_mov_b32_e32 v12, s38
	s_andn2_b64 exec, exec, s[18:19]
	s_cbranch_execnz .LBB341_169
; %bb.170:
	s_or_b64 exec, exec, s[18:19]
.LBB341_171:
	s_or_b64 exec, exec, s[12:13]
	v_and_b32_e32 v7, 7, v7
	v_cmp_ne_u32_e32 vcc, 0, v7
	s_and_saveexec_b64 s[12:13], vcc
	s_cbranch_execz .LBB341_174
; %bb.172:
	v_lshlrev_b32_e32 v8, 9, v12
	v_lshlrev_b32_e32 v9, 2, v0
	s_movk_i32 s18, 0xf0
	v_add3_u32 v8, v8, v9, s18
	s_mov_b64 s[18:19], 0
.LBB341_173:                            ; =>This Inner Loop Header: Depth=1
	ds_read2st64_b32 v[12:13], v8 offset1:2
	v_add_u32_e32 v7, -1, v7
	v_cmp_eq_u32_e32 vcc, 0, v7
	s_or_b64 s[18:19], vcc, s[18:19]
	s_waitcnt lgkmcnt(0)
	v_pk_mul_f32 v[12:13], v[2:3], v[12:13]
	ds_write2st64_b32 v8, v12, v13 offset1:2
	v_add_u32_e32 v8, 0x400, v8
	s_andn2_b64 exec, exec, s[18:19]
	s_cbranch_execnz .LBB341_173
.LBB341_174:
	s_or_b64 exec, exec, s[12:13]
	v_add_u32_e32 v6, 1, v6
	v_and_b32_e32 v7, 0x3fffffe, v6
	v_cmp_ne_u32_e32 vcc, v6, v7
	v_lshl_add_u32 v3, v7, 7, v0
	s_orn2_b64 s[12:13], vcc, exec
.LBB341_175:
	s_or_b64 exec, exec, s[10:11]
	s_and_b64 exec, exec, s[12:13]
	s_cbranch_execz .LBB341_178
; %bb.176:
	v_mov_b32_e32 v6, 0xf0
	v_lshl_add_u32 v6, v3, 2, v6
	s_mov_b64 s[10:11], 0
.LBB341_177:                            ; =>This Inner Loop Header: Depth=1
	ds_read_b32 v7, v6
	v_add_u32_e32 v3, 0x80, v3
	v_cmp_le_i32_e32 vcc, s7, v3
	s_or_b64 s[10:11], vcc, s[10:11]
	s_waitcnt lgkmcnt(0)
	v_mul_f32_e32 v7, v2, v7
	ds_write_b32 v6, v7
	v_add_u32_e32 v6, 0x200, v6
	s_andn2_b64 exec, exec, s[10:11]
	s_cbranch_execnz .LBB341_177
.LBB341_178:
	s_or_b64 exec, exec, s[4:5]
	s_mul_i32 s4, s25, s28
	v_cmp_eq_u32_e32 vcc, 0, v0
	s_mul_i32 s10, s4, s9
	s_waitcnt lgkmcnt(0)
	s_barrier
	s_and_saveexec_b64 s[4:5], vcc
	s_cbranch_execz .LBB341_180
; %bb.179:
	s_ashr_i32 s11, s10, 31
	s_lshl_b64 s[12:13], s[10:11], 2
	s_add_u32 s9, s22, s12
	s_mul_i32 s6, s25, s6
	s_addc_u32 s11, s23, s13
	s_ashr_i32 s7, s6, 31
	s_lshl_b64 s[6:7], s[6:7], 2
	s_add_u32 s22, s9, s6
	s_addc_u32 s11, s11, s7
	s_ashr_i32 s9, s8, 31
	s_lshl_b64 s[18:19], s[8:9], 2
	s_add_u32 s22, s22, s18
	s_addc_u32 s23, s11, s19
	s_add_u32 s9, s20, s12
	s_addc_u32 s11, s21, s13
	;; [unrolled: 2-line block ×3, first 2 shown]
	s_add_u32 s6, s6, s18
	v_mov_b32_e32 v2, 0
	s_addc_u32 s7, s7, s19
	global_store_dword v2, v4, s[22:23]
	global_store_dword v2, v5, s[6:7]
.LBB341_180:
	s_or_b64 exec, exec, s[4:5]
	v_mov_b32_e32 v13, 0
	v_mov_b32_e32 v2, v13
	s_and_saveexec_b64 s[6:7], s[2:3]
	s_cbranch_execz .LBB341_446
; %bb.181:
	s_ashr_i32 s2, s16, 31
	s_add_u32 s12, s36, s16
	s_addc_u32 s13, s37, s2
	v_or_b32_e32 v2, 64, v15
	s_movk_i32 s2, 0x70
	s_add_i32 s11, s47, -1
	s_load_dword s36, s[14:15], 0x0
	v_cmp_gt_u32_e32 vcc, s2, v2
	s_lshl_b64 s[2:3], s[34:35], 2
	v_lshlrev_b32_e32 v18, 3, v2
	v_mov_b32_e32 v2, 0xf0
	s_add_u32 s2, s30, s2
	v_lshl_add_u32 v22, v16, 5, v2
	v_lshlrev_b64 v[2:3], 2, v[10:11]
	s_addc_u32 s3, s31, s3
	s_mov_b32 s9, s17
	s_mov_b32 s16, -1
	v_mov_b32_e32 v17, 0
	v_mov_b32_e32 v4, s3
	v_add_co_u32_e64 v20, s[2:3], s2, v2
	s_mov_b32 s17, 0xffffff
	v_lshlrev_b32_e32 v14, 3, v15
	v_add3_u32 v19, s29, v19, 7
	v_addc_co_u32_e64 v21, s[2:3], v4, v3, s[2:3]
	s_mov_b64 s[14:15], 0
	s_mov_b32 s30, 0x7f800000
	s_movk_i32 s31, 0x7fff
	s_movk_i32 s34, 0x80
	;; [unrolled: 1-line block ×3, first 2 shown]
	v_bfrev_b32_e32 v11, 60
	v_mov_b32_e32 v12, v17
	v_mov_b32_e32 v13, v17
	s_branch .LBB341_184
.LBB341_182:                            ;   in Loop: Header=BB341_184 Depth=1
	s_or_b64 exec, exec, s[4:5]
	v_and_b32_e32 v27, 0xffff0000, v5
	v_and_b32_e32 v26, 0xffff0000, v9
	;; [unrolled: 1-line block ×6, first 2 shown]
	v_pk_add_f32 v[4:5], v[4:5], v[8:9]
	v_and_b32_e32 v25, 0xffff0000, v23
	v_and_b32_e32 v24, 0xffff0000, v16
	v_mov_b32_e32 v6, v5
	v_pk_add_f32 v[4:5], v[4:5], v[6:7]
	v_pk_add_f32 v[6:7], v[26:27], v[24:25]
	;; [unrolled: 1-line block ×3, first 2 shown]
	v_mov_b32_e32 v6, v7
	v_pk_add_f32 v[4:5], v[4:5], v[6:7]
	v_mov_b32_e32 v3, v4
	v_pk_add_f32 v[12:13], v[12:13], v[2:3]
.LBB341_183:                            ;   in Loop: Header=BB341_184 Depth=1
	s_or_b64 exec, exec, s[18:19]
	v_add_co_u32_e64 v20, s[2:3], 8, v20
	v_add_u32_e32 v10, 2, v10
	v_addc_co_u32_e64 v21, s[2:3], 0, v21, s[2:3]
	v_cmp_le_i32_e64 s[2:3], s46, v10
	v_add_u32_e32 v19, 16, v19
	v_add_u32_e32 v22, 64, v22
	s_or_b64 s[14:15], s[2:3], s[14:15]
	v_mov_b32_e32 v12, v2
	s_andn2_b64 exec, exec, s[14:15]
	s_cbranch_execz .LBB341_445
.LBB341_184:                            ; =>This Inner Loop Header: Depth=1
	global_load_dword v16, v[20:21], off
	ds_read2_b64 v[6:9], v22 offset1:1
	ds_read2_b64 v[2:5], v22 offset0:2 offset1:3
                                        ; implicit-def: $vgpr30
	s_waitcnt lgkmcnt(0)
	v_and_b32_e32 v23, 0x7f800000, v6
	v_cmp_ne_u32_e64 s[2:3], s30, v23
	s_and_saveexec_b64 s[4:5], s[2:3]
	s_xor_b64 s[2:3], exec, s[4:5]
; %bb.185:                              ;   in Loop: Header=BB341_184 Depth=1
	v_bfe_u32 v23, v6, 16, 1
	v_add3_u32 v30, v6, v23, s31
; %bb.186:                              ;   in Loop: Header=BB341_184 Depth=1
	s_andn2_saveexec_b64 s[4:5], s[2:3]
; %bb.187:                              ;   in Loop: Header=BB341_184 Depth=1
	v_or_b32_e32 v23, 0x10000, v6
	v_cmp_eq_u32_sdwa s[2:3], v6, v17 src0_sel:WORD_0 src1_sel:DWORD
	v_cndmask_b32_e64 v30, v23, v6, s[2:3]
; %bb.188:                              ;   in Loop: Header=BB341_184 Depth=1
	s_or_b64 exec, exec, s[4:5]
	v_and_b32_e32 v6, 0x7f800000, v7
	v_cmp_ne_u32_e64 s[2:3], s30, v6
                                        ; implicit-def: $vgpr29
	s_and_saveexec_b64 s[4:5], s[2:3]
	s_xor_b64 s[2:3], exec, s[4:5]
; %bb.189:                              ;   in Loop: Header=BB341_184 Depth=1
	v_bfe_u32 v6, v7, 16, 1
	v_add3_u32 v29, v7, v6, s31
; %bb.190:                              ;   in Loop: Header=BB341_184 Depth=1
	s_andn2_saveexec_b64 s[4:5], s[2:3]
; %bb.191:                              ;   in Loop: Header=BB341_184 Depth=1
	v_or_b32_e32 v6, 0x10000, v7
	v_cmp_eq_u32_sdwa s[2:3], v7, v17 src0_sel:WORD_0 src1_sel:DWORD
	v_cndmask_b32_e64 v29, v6, v7, s[2:3]
; %bb.192:                              ;   in Loop: Header=BB341_184 Depth=1
	s_or_b64 exec, exec, s[4:5]
	v_and_b32_e32 v6, 0x7f800000, v8
	v_cmp_ne_u32_e64 s[2:3], s30, v6
                                        ; implicit-def: $vgpr23
	s_and_saveexec_b64 s[4:5], s[2:3]
	s_xor_b64 s[2:3], exec, s[4:5]
; %bb.193:                              ;   in Loop: Header=BB341_184 Depth=1
	v_bfe_u32 v6, v8, 16, 1
	v_add3_u32 v23, v8, v6, s31
; %bb.194:                              ;   in Loop: Header=BB341_184 Depth=1
	s_andn2_saveexec_b64 s[4:5], s[2:3]
; %bb.195:                              ;   in Loop: Header=BB341_184 Depth=1
	v_or_b32_e32 v6, 0x10000, v8
	v_cmp_eq_u32_sdwa s[2:3], v8, v17 src0_sel:WORD_0 src1_sel:DWORD
	v_cndmask_b32_e64 v23, v6, v8, s[2:3]
; %bb.196:                              ;   in Loop: Header=BB341_184 Depth=1
	s_or_b64 exec, exec, s[4:5]
	v_and_b32_e32 v6, 0x7f800000, v9
	v_cmp_ne_u32_e64 s[2:3], s30, v6
                                        ; implicit-def: $vgpr24
	s_and_saveexec_b64 s[4:5], s[2:3]
	s_xor_b64 s[2:3], exec, s[4:5]
; %bb.197:                              ;   in Loop: Header=BB341_184 Depth=1
	v_bfe_u32 v6, v9, 16, 1
	v_add3_u32 v24, v9, v6, s31
                                        ; implicit-def: $vgpr6_vgpr7_vgpr8_vgpr9
; %bb.198:                              ;   in Loop: Header=BB341_184 Depth=1
	s_andn2_saveexec_b64 s[4:5], s[2:3]
; %bb.199:                              ;   in Loop: Header=BB341_184 Depth=1
	v_or_b32_e32 v6, 0x10000, v9
	v_cmp_eq_u32_sdwa s[2:3], v9, v17 src0_sel:WORD_0 src1_sel:DWORD
	v_cndmask_b32_e64 v24, v6, v9, s[2:3]
; %bb.200:                              ;   in Loop: Header=BB341_184 Depth=1
	s_or_b64 exec, exec, s[4:5]
	v_and_b32_e32 v6, 0x7f800000, v2
	v_cmp_ne_u32_e64 s[2:3], s30, v6
                                        ; implicit-def: $vgpr25
	s_and_saveexec_b64 s[4:5], s[2:3]
	s_xor_b64 s[2:3], exec, s[4:5]
; %bb.201:                              ;   in Loop: Header=BB341_184 Depth=1
	v_bfe_u32 v6, v2, 16, 1
	v_add3_u32 v25, v2, v6, s31
; %bb.202:                              ;   in Loop: Header=BB341_184 Depth=1
	s_andn2_saveexec_b64 s[4:5], s[2:3]
; %bb.203:                              ;   in Loop: Header=BB341_184 Depth=1
	v_or_b32_e32 v6, 0x10000, v2
	v_cmp_eq_u32_sdwa s[2:3], v2, v17 src0_sel:WORD_0 src1_sel:DWORD
	v_cndmask_b32_e64 v25, v6, v2, s[2:3]
; %bb.204:                              ;   in Loop: Header=BB341_184 Depth=1
	s_or_b64 exec, exec, s[4:5]
	v_and_b32_e32 v2, 0x7f800000, v3
	v_cmp_ne_u32_e64 s[2:3], s30, v2
                                        ; implicit-def: $vgpr26
	s_and_saveexec_b64 s[4:5], s[2:3]
	s_xor_b64 s[2:3], exec, s[4:5]
; %bb.205:                              ;   in Loop: Header=BB341_184 Depth=1
	v_bfe_u32 v2, v3, 16, 1
	v_add3_u32 v26, v3, v2, s31
; %bb.206:                              ;   in Loop: Header=BB341_184 Depth=1
	s_andn2_saveexec_b64 s[4:5], s[2:3]
; %bb.207:                              ;   in Loop: Header=BB341_184 Depth=1
	v_or_b32_e32 v2, 0x10000, v3
	v_cmp_eq_u32_sdwa s[2:3], v3, v17 src0_sel:WORD_0 src1_sel:DWORD
	v_cndmask_b32_e64 v26, v2, v3, s[2:3]
; %bb.208:                              ;   in Loop: Header=BB341_184 Depth=1
	s_or_b64 exec, exec, s[4:5]
	v_and_b32_e32 v2, 0x7f800000, v4
	v_cmp_ne_u32_e64 s[2:3], s30, v2
                                        ; implicit-def: $vgpr27
	s_and_saveexec_b64 s[4:5], s[2:3]
	s_xor_b64 s[2:3], exec, s[4:5]
; %bb.209:                              ;   in Loop: Header=BB341_184 Depth=1
	v_bfe_u32 v2, v4, 16, 1
	v_add3_u32 v27, v4, v2, s31
; %bb.210:                              ;   in Loop: Header=BB341_184 Depth=1
	s_andn2_saveexec_b64 s[4:5], s[2:3]
; %bb.211:                              ;   in Loop: Header=BB341_184 Depth=1
	v_or_b32_e32 v2, 0x10000, v4
	v_cmp_eq_u32_sdwa s[2:3], v4, v17 src0_sel:WORD_0 src1_sel:DWORD
	v_cndmask_b32_e64 v27, v2, v4, s[2:3]
; %bb.212:                              ;   in Loop: Header=BB341_184 Depth=1
	s_or_b64 exec, exec, s[4:5]
	v_and_b32_e32 v2, 0x7f800000, v5
	v_cmp_ne_u32_e64 s[2:3], s30, v2
                                        ; implicit-def: $vgpr28
	s_and_saveexec_b64 s[4:5], s[2:3]
	s_xor_b64 s[2:3], exec, s[4:5]
; %bb.213:                              ;   in Loop: Header=BB341_184 Depth=1
	v_bfe_u32 v2, v5, 16, 1
	v_add3_u32 v28, v5, v2, s31
                                        ; implicit-def: $vgpr2_vgpr3_vgpr4_vgpr5
; %bb.214:                              ;   in Loop: Header=BB341_184 Depth=1
	s_andn2_saveexec_b64 s[4:5], s[2:3]
; %bb.215:                              ;   in Loop: Header=BB341_184 Depth=1
	v_or_b32_e32 v2, 0x10000, v5
	v_cmp_eq_u32_sdwa s[2:3], v5, v17 src0_sel:WORD_0 src1_sel:DWORD
	v_cndmask_b32_e64 v28, v2, v5, s[2:3]
; %bb.216:                              ;   in Loop: Header=BB341_184 Depth=1
	s_or_b64 exec, exec, s[4:5]
	v_pk_mov_b32 v[2:3], s[12:13], s[12:13] op_sel:[0,1]
	s_waitcnt vmcnt(0)
	v_mad_i64_i32 v[4:5], s[2:3], v16, s9, v[2:3]
	v_add_co_u32_e64 v2, s[2:3], v4, v14
	v_addc_co_u32_e64 v3, s[2:3], 0, v5, s[2:3]
	global_load_dwordx2 v[2:3], v[2:3], off
	v_mov_b32_e32 v6, 0
	s_waitcnt vmcnt(0)
	v_cmp_ne_u16_sdwa s[2:3], v2, v17 src0_sel:BYTE_0 src1_sel:DWORD
	s_and_saveexec_b64 s[4:5], s[2:3]
	s_cbranch_execz .LBB341_222
; %bb.217:                              ;   in Loop: Header=BB341_184 Depth=1
	v_cmp_ne_u16_sdwa s[2:3], v2, s34 src0_sel:BYTE_0 src1_sel:DWORD
	v_bfrev_b32_e32 v6, 1
	s_and_saveexec_b64 s[18:19], s[2:3]
	s_cbranch_execz .LBB341_221
; %bb.218:                              ;   in Loop: Header=BB341_184 Depth=1
	v_and_b32_e32 v7, 0x7f, v2
	v_cmp_ne_u32_e64 s[2:3], s35, v7
	v_mov_b32_e32 v6, 0x7f800001
	s_and_saveexec_b64 s[20:21], s[2:3]
	s_cbranch_execz .LBB341_220
; %bb.219:                              ;   in Loop: Header=BB341_184 Depth=1
	v_and_b32_e32 v6, 7, v2
	v_ffbh_u32_e32 v6, v6
	v_min_u32_e32 v6, 32, v6
	v_lshrrev_b32_e32 v8, 3, v7
	v_subrev_u32_e32 v9, 28, v6
	v_sub_u32_e32 v6, 29, v6
	v_cmp_gt_u32_e64 s[2:3], 8, v7
	v_cndmask_b32_e64 v8, v8, v6, s[2:3]
	v_cndmask_b32_e64 v6, 0, v9, s[2:3]
	v_lshlrev_b64 v[6:7], v6, v[2:3]
	v_lshlrev_b32_e32 v6, 20, v6
	v_lshlrev_b32_e32 v7, 24, v2
	v_and_b32_e32 v6, 0x700000, v6
	v_and_b32_e32 v7, 0x80000000, v7
	v_lshl_add_u32 v8, v8, 23, v11
	v_or3_b32 v6, v7, v8, v6
.LBB341_220:                            ;   in Loop: Header=BB341_184 Depth=1
	s_or_b64 exec, exec, s[20:21]
.LBB341_221:                            ;   in Loop: Header=BB341_184 Depth=1
	s_or_b64 exec, exec, s[18:19]
.LBB341_222:                            ;   in Loop: Header=BB341_184 Depth=1
	s_or_b64 exec, exec, s[4:5]
	v_mul_f32_e32 v6, s36, v6
	v_and_b32_e32 v7, 0x7f800000, v6
	v_cmp_ne_u32_e64 s[2:3], s30, v7
                                        ; implicit-def: $vgpr8
	s_and_saveexec_b64 s[4:5], s[2:3]
	s_xor_b64 s[2:3], exec, s[4:5]
; %bb.223:                              ;   in Loop: Header=BB341_184 Depth=1
	v_bfe_u32 v7, v6, 16, 1
	v_add3_u32 v8, v6, v7, s31
                                        ; implicit-def: $vgpr6
; %bb.224:                              ;   in Loop: Header=BB341_184 Depth=1
	s_andn2_saveexec_b64 s[4:5], s[2:3]
; %bb.225:                              ;   in Loop: Header=BB341_184 Depth=1
	v_or_b32_e32 v7, 0x10000, v6
	v_cmp_eq_u32_sdwa s[2:3], v6, v17 src0_sel:WORD_0 src1_sel:DWORD
	v_cndmask_b32_e64 v8, v7, v6, s[2:3]
; %bb.226:                              ;   in Loop: Header=BB341_184 Depth=1
	s_or_b64 exec, exec, s[4:5]
	v_lshrrev_b16_e32 v6, 8, v2
	v_cmp_ne_u16_e64 s[2:3], 0, v6
	v_mov_b32_e32 v7, 0
	s_and_saveexec_b64 s[4:5], s[2:3]
	s_cbranch_execz .LBB341_232
; %bb.227:                              ;   in Loop: Header=BB341_184 Depth=1
	v_cmp_ne_u16_e64 s[2:3], s34, v6
	v_bfrev_b32_e32 v7, 1
	s_and_saveexec_b64 s[18:19], s[2:3]
	s_cbranch_execz .LBB341_231
; %bb.228:                              ;   in Loop: Header=BB341_184 Depth=1
	v_and_b32_e32 v9, 0x7f, v6
	v_cmp_ne_u32_e64 s[2:3], s35, v9
	v_mov_b32_e32 v7, 0x7f800001
	s_and_saveexec_b64 s[20:21], s[2:3]
	s_cbranch_execz .LBB341_230
; %bb.229:                              ;   in Loop: Header=BB341_184 Depth=1
	v_and_b32_e32 v16, 7, v6
	v_ffbh_u32_e32 v7, v16
	v_min_u32_e32 v32, 32, v7
	v_subrev_u32_e32 v7, 28, v32
	v_lshlrev_b64 v[6:7], v7, v[6:7]
	v_lshrrev_b32_e32 v31, 3, v9
	v_sub_u32_e32 v7, 29, v32
	v_and_b32_e32 v6, 7, v6
	v_cmp_gt_u32_e64 s[2:3], 8, v9
	v_cndmask_b32_e64 v7, v31, v7, s[2:3]
	v_cndmask_b32_e64 v6, v16, v6, s[2:3]
	v_lshlrev_b32_e32 v9, 16, v2
	v_lshlrev_b32_e32 v6, 20, v6
	v_and_b32_e32 v9, 0x80000000, v9
	v_lshl_add_u32 v7, v7, 23, v11
	v_or3_b32 v7, v9, v7, v6
.LBB341_230:                            ;   in Loop: Header=BB341_184 Depth=1
	s_or_b64 exec, exec, s[20:21]
.LBB341_231:                            ;   in Loop: Header=BB341_184 Depth=1
	s_or_b64 exec, exec, s[18:19]
.LBB341_232:                            ;   in Loop: Header=BB341_184 Depth=1
	s_or_b64 exec, exec, s[4:5]
	v_mul_f32_e32 v6, s36, v7
	v_and_b32_e32 v7, 0x7f800000, v6
	v_cmp_ne_u32_e64 s[2:3], s30, v7
                                        ; implicit-def: $vgpr9
	s_and_saveexec_b64 s[4:5], s[2:3]
	s_xor_b64 s[2:3], exec, s[4:5]
; %bb.233:                              ;   in Loop: Header=BB341_184 Depth=1
	v_bfe_u32 v7, v6, 16, 1
	v_add3_u32 v9, v6, v7, s31
                                        ; implicit-def: $vgpr6
; %bb.234:                              ;   in Loop: Header=BB341_184 Depth=1
	s_andn2_saveexec_b64 s[4:5], s[2:3]
; %bb.235:                              ;   in Loop: Header=BB341_184 Depth=1
	v_or_b32_e32 v7, 0x10000, v6
	v_cmp_eq_u32_sdwa s[2:3], v6, v17 src0_sel:WORD_0 src1_sel:DWORD
	v_cndmask_b32_e64 v9, v7, v6, s[2:3]
; %bb.236:                              ;   in Loop: Header=BB341_184 Depth=1
	s_or_b64 exec, exec, s[4:5]
	v_lshrrev_b32_e32 v6, 16, v2
	v_cmp_ne_u16_sdwa s[2:3], v6, v17 src0_sel:BYTE_0 src1_sel:DWORD
	v_mov_b32_e32 v7, 0
	s_and_saveexec_b64 s[4:5], s[2:3]
	s_cbranch_execz .LBB341_242
; %bb.237:                              ;   in Loop: Header=BB341_184 Depth=1
	v_cmp_ne_u16_sdwa s[2:3], v6, s34 src0_sel:BYTE_0 src1_sel:DWORD
	v_bfrev_b32_e32 v7, 1
	s_and_saveexec_b64 s[18:19], s[2:3]
	s_cbranch_execz .LBB341_241
; %bb.238:                              ;   in Loop: Header=BB341_184 Depth=1
	v_bfe_u32 v16, v2, 16, 7
	v_cmp_ne_u32_e64 s[2:3], s35, v16
	v_mov_b32_e32 v7, 0x7f800001
	s_and_saveexec_b64 s[20:21], s[2:3]
	s_cbranch_execz .LBB341_240
; %bb.239:                              ;   in Loop: Header=BB341_184 Depth=1
	v_and_b32_e32 v7, 7, v6
	v_ffbh_u32_e32 v32, v7
	v_min_u32_e32 v34, 32, v32
	v_subrev_u32_e32 v32, 28, v34
	v_lshlrev_b64 v[32:33], v32, v[6:7]
	v_lshrrev_b32_e32 v31, 3, v16
	v_sub_u32_e32 v33, 29, v34
	v_and_b32_e32 v32, 7, v32
	v_cmp_gt_u32_e64 s[2:3], 8, v16
	v_cndmask_b32_e64 v16, v31, v33, s[2:3]
	v_cndmask_b32_e64 v7, v7, v32, s[2:3]
	v_lshlrev_b32_e32 v6, 24, v6
	v_lshlrev_b32_e32 v7, 20, v7
	v_and_b32_e32 v6, 0x80000000, v6
	v_lshl_add_u32 v16, v16, 23, v11
	v_or3_b32 v7, v6, v16, v7
.LBB341_240:                            ;   in Loop: Header=BB341_184 Depth=1
	s_or_b64 exec, exec, s[20:21]
.LBB341_241:                            ;   in Loop: Header=BB341_184 Depth=1
	s_or_b64 exec, exec, s[18:19]
.LBB341_242:                            ;   in Loop: Header=BB341_184 Depth=1
	s_or_b64 exec, exec, s[4:5]
	v_mul_f32_e32 v6, s36, v7
	v_and_b32_e32 v7, 0x7f800000, v6
	v_cmp_ne_u32_e64 s[2:3], s30, v7
                                        ; implicit-def: $vgpr31
	s_and_saveexec_b64 s[4:5], s[2:3]
	s_xor_b64 s[2:3], exec, s[4:5]
; %bb.243:                              ;   in Loop: Header=BB341_184 Depth=1
	v_bfe_u32 v7, v6, 16, 1
	v_add3_u32 v31, v6, v7, s31
                                        ; implicit-def: $vgpr6
; %bb.244:                              ;   in Loop: Header=BB341_184 Depth=1
	s_andn2_saveexec_b64 s[4:5], s[2:3]
; %bb.245:                              ;   in Loop: Header=BB341_184 Depth=1
	v_or_b32_e32 v7, 0x10000, v6
	v_cmp_eq_u32_sdwa s[2:3], v6, v17 src0_sel:WORD_0 src1_sel:DWORD
	v_cndmask_b32_e64 v31, v7, v6, s[2:3]
; %bb.246:                              ;   in Loop: Header=BB341_184 Depth=1
	s_or_b64 exec, exec, s[4:5]
	v_cmp_lt_u32_e64 s[2:3], s17, v2
	v_mov_b32_e32 v7, 0
	s_and_saveexec_b64 s[4:5], s[2:3]
	s_cbranch_execz .LBB341_252
; %bb.247:                              ;   in Loop: Header=BB341_184 Depth=1
	v_lshrrev_b32_e32 v6, 24, v2
	v_cmp_ne_u32_e64 s[2:3], s34, v6
	v_bfrev_b32_e32 v7, 1
	s_and_saveexec_b64 s[18:19], s[2:3]
	s_cbranch_execz .LBB341_251
; %bb.248:                              ;   in Loop: Header=BB341_184 Depth=1
	v_bfe_u32 v16, v2, 24, 7
	v_cmp_ne_u32_e64 s[2:3], s35, v16
	v_mov_b32_e32 v7, 0x7f800001
	s_and_saveexec_b64 s[20:21], s[2:3]
	s_cbranch_execz .LBB341_250
; %bb.249:                              ;   in Loop: Header=BB341_184 Depth=1
	v_and_b32_e32 v7, 7, v6
	v_ffbh_u32_e32 v32, v7
	v_min_u32_e32 v35, 32, v32
	v_subrev_u32_e32 v32, 28, v35
	v_lshlrev_b64 v[32:33], v32, v[6:7]
	v_lshrrev_b32_e32 v34, 3, v16
	v_sub_u32_e32 v33, 29, v35
	v_and_b32_e32 v32, 7, v32
	v_cmp_gt_u32_e64 s[2:3], 8, v16
	v_cndmask_b32_e64 v16, v34, v33, s[2:3]
	v_cndmask_b32_e64 v7, v7, v32, s[2:3]
	v_lshlrev_b32_e32 v6, 24, v6
	v_lshlrev_b32_e32 v7, 20, v7
	v_and_b32_e32 v6, 0x80000000, v6
	v_lshl_add_u32 v16, v16, 23, v11
	v_or3_b32 v7, v6, v16, v7
.LBB341_250:                            ;   in Loop: Header=BB341_184 Depth=1
	s_or_b64 exec, exec, s[20:21]
.LBB341_251:                            ;   in Loop: Header=BB341_184 Depth=1
	s_or_b64 exec, exec, s[18:19]
.LBB341_252:                            ;   in Loop: Header=BB341_184 Depth=1
	s_or_b64 exec, exec, s[4:5]
	v_mul_f32_e32 v6, s36, v7
	v_and_b32_e32 v7, 0x7f800000, v6
	v_cmp_ne_u32_e64 s[2:3], s30, v7
                                        ; implicit-def: $vgpr32
	s_and_saveexec_b64 s[4:5], s[2:3]
	s_xor_b64 s[2:3], exec, s[4:5]
; %bb.253:                              ;   in Loop: Header=BB341_184 Depth=1
	v_bfe_u32 v7, v6, 16, 1
	v_add3_u32 v32, v6, v7, s31
                                        ; implicit-def: $vgpr6
; %bb.254:                              ;   in Loop: Header=BB341_184 Depth=1
	s_andn2_saveexec_b64 s[4:5], s[2:3]
; %bb.255:                              ;   in Loop: Header=BB341_184 Depth=1
	v_or_b32_e32 v7, 0x10000, v6
	v_cmp_eq_u32_sdwa s[2:3], v6, v17 src0_sel:WORD_0 src1_sel:DWORD
	v_cndmask_b32_e64 v32, v7, v6, s[2:3]
; %bb.256:                              ;   in Loop: Header=BB341_184 Depth=1
	s_or_b64 exec, exec, s[4:5]
	v_mov_b32_e32 v16, v3
	v_cmp_ne_u16_sdwa s[2:3], v3, v17 src0_sel:BYTE_0 src1_sel:DWORD
	v_mov_b32_e32 v6, 0
	s_and_saveexec_b64 s[4:5], s[2:3]
	s_cbranch_execz .LBB341_262
; %bb.257:                              ;   in Loop: Header=BB341_184 Depth=1
	v_cmp_ne_u16_sdwa s[2:3], v3, s34 src0_sel:BYTE_0 src1_sel:DWORD
	v_bfrev_b32_e32 v6, 1
	s_and_saveexec_b64 s[18:19], s[2:3]
	s_cbranch_execz .LBB341_261
; %bb.258:                              ;   in Loop: Header=BB341_184 Depth=1
	v_and_b32_e32 v7, 0x7f, v3
	v_cmp_ne_u32_e64 s[2:3], s35, v7
	v_mov_b32_e32 v6, 0x7f800001
	s_and_saveexec_b64 s[20:21], s[2:3]
	s_cbranch_execz .LBB341_260
; %bb.259:                              ;   in Loop: Header=BB341_184 Depth=1
	v_and_b32_e32 v6, 7, v3
	v_ffbh_u32_e32 v6, v6
	v_min_u32_e32 v6, 32, v6
	v_lshrrev_b32_e32 v33, 3, v7
	v_subrev_u32_e32 v34, 28, v6
	v_sub_u32_e32 v6, 29, v6
	v_cmp_gt_u32_e64 s[2:3], 8, v7
	v_cndmask_b32_e64 v33, v33, v6, s[2:3]
	v_cndmask_b32_e64 v6, 0, v34, s[2:3]
	v_lshlrev_b64 v[6:7], v6, v[16:17]
	v_lshlrev_b32_e32 v6, 20, v6
	v_lshlrev_b32_e32 v7, 24, v16
	v_and_b32_e32 v6, 0x700000, v6
	v_and_b32_e32 v7, 0x80000000, v7
	v_lshl_add_u32 v33, v33, 23, v11
	v_or3_b32 v6, v7, v33, v6
.LBB341_260:                            ;   in Loop: Header=BB341_184 Depth=1
	s_or_b64 exec, exec, s[20:21]
.LBB341_261:                            ;   in Loop: Header=BB341_184 Depth=1
	s_or_b64 exec, exec, s[18:19]
.LBB341_262:                            ;   in Loop: Header=BB341_184 Depth=1
	s_or_b64 exec, exec, s[4:5]
	v_mul_f32_e32 v6, s36, v6
	v_and_b32_e32 v7, 0x7f800000, v6
	v_cmp_ne_u32_e64 s[2:3], s30, v7
                                        ; implicit-def: $vgpr33
	s_and_saveexec_b64 s[4:5], s[2:3]
	s_xor_b64 s[2:3], exec, s[4:5]
; %bb.263:                              ;   in Loop: Header=BB341_184 Depth=1
	v_bfe_u32 v7, v6, 16, 1
	v_add3_u32 v33, v6, v7, s31
                                        ; implicit-def: $vgpr6
; %bb.264:                              ;   in Loop: Header=BB341_184 Depth=1
	s_andn2_saveexec_b64 s[4:5], s[2:3]
; %bb.265:                              ;   in Loop: Header=BB341_184 Depth=1
	v_or_b32_e32 v7, 0x10000, v6
	v_cmp_eq_u32_sdwa s[2:3], v6, v17 src0_sel:WORD_0 src1_sel:DWORD
	v_cndmask_b32_e64 v33, v7, v6, s[2:3]
; %bb.266:                              ;   in Loop: Header=BB341_184 Depth=1
	s_or_b64 exec, exec, s[4:5]
	v_lshrrev_b16_e32 v6, 8, v16
	v_cmp_ne_u16_e64 s[2:3], 0, v6
	v_mov_b32_e32 v7, 0
	s_and_saveexec_b64 s[4:5], s[2:3]
	s_cbranch_execz .LBB341_272
; %bb.267:                              ;   in Loop: Header=BB341_184 Depth=1
	v_cmp_ne_u16_e64 s[2:3], s34, v6
	v_bfrev_b32_e32 v7, 1
	s_and_saveexec_b64 s[18:19], s[2:3]
	s_cbranch_execz .LBB341_271
; %bb.268:                              ;   in Loop: Header=BB341_184 Depth=1
	v_and_b32_e32 v34, 0x7f, v6
	v_cmp_ne_u32_e64 s[2:3], s35, v34
	v_mov_b32_e32 v7, 0x7f800001
	s_and_saveexec_b64 s[20:21], s[2:3]
	s_cbranch_execz .LBB341_270
; %bb.269:                              ;   in Loop: Header=BB341_184 Depth=1
	v_and_b32_e32 v35, 7, v6
	v_ffbh_u32_e32 v7, v35
	v_min_u32_e32 v37, 32, v7
	v_subrev_u32_e32 v7, 28, v37
	v_lshlrev_b64 v[6:7], v7, v[6:7]
	v_lshrrev_b32_e32 v36, 3, v34
	v_sub_u32_e32 v7, 29, v37
	v_and_b32_e32 v6, 7, v6
	v_cmp_gt_u32_e64 s[2:3], 8, v34
	v_cndmask_b32_e64 v7, v36, v7, s[2:3]
	v_cndmask_b32_e64 v6, v35, v6, s[2:3]
	v_lshlrev_b32_e32 v16, 16, v16
	v_lshlrev_b32_e32 v6, 20, v6
	v_and_b32_e32 v16, 0x80000000, v16
	v_lshl_add_u32 v7, v7, 23, v11
	v_or3_b32 v7, v16, v7, v6
.LBB341_270:                            ;   in Loop: Header=BB341_184 Depth=1
	s_or_b64 exec, exec, s[20:21]
.LBB341_271:                            ;   in Loop: Header=BB341_184 Depth=1
	s_or_b64 exec, exec, s[18:19]
.LBB341_272:                            ;   in Loop: Header=BB341_184 Depth=1
	s_or_b64 exec, exec, s[4:5]
	v_mul_f32_e32 v6, s36, v7
	v_and_b32_e32 v7, 0x7f800000, v6
	v_cmp_ne_u32_e64 s[2:3], s30, v7
                                        ; implicit-def: $vgpr16
	s_and_saveexec_b64 s[4:5], s[2:3]
	s_xor_b64 s[2:3], exec, s[4:5]
; %bb.273:                              ;   in Loop: Header=BB341_184 Depth=1
	v_bfe_u32 v7, v6, 16, 1
	v_add3_u32 v16, v6, v7, s31
                                        ; implicit-def: $vgpr6
; %bb.274:                              ;   in Loop: Header=BB341_184 Depth=1
	s_andn2_saveexec_b64 s[4:5], s[2:3]
; %bb.275:                              ;   in Loop: Header=BB341_184 Depth=1
	v_or_b32_e32 v7, 0x10000, v6
	v_cmp_eq_u32_sdwa s[2:3], v6, v17 src0_sel:WORD_0 src1_sel:DWORD
	v_cndmask_b32_e64 v16, v7, v6, s[2:3]
; %bb.276:                              ;   in Loop: Header=BB341_184 Depth=1
	s_or_b64 exec, exec, s[4:5]
	v_lshrrev_b32_e32 v6, 16, v3
	v_cmp_ne_u16_sdwa s[2:3], v6, v17 src0_sel:BYTE_0 src1_sel:DWORD
	v_mov_b32_e32 v7, 0
	s_and_saveexec_b64 s[4:5], s[2:3]
	s_cbranch_execz .LBB341_282
; %bb.277:                              ;   in Loop: Header=BB341_184 Depth=1
	v_cmp_ne_u16_sdwa s[2:3], v6, s34 src0_sel:BYTE_0 src1_sel:DWORD
	v_bfrev_b32_e32 v7, 1
	s_and_saveexec_b64 s[18:19], s[2:3]
	s_cbranch_execz .LBB341_281
; %bb.278:                              ;   in Loop: Header=BB341_184 Depth=1
	v_bfe_u32 v34, v3, 16, 7
	v_cmp_ne_u32_e64 s[2:3], s35, v34
	v_mov_b32_e32 v7, 0x7f800001
	s_and_saveexec_b64 s[20:21], s[2:3]
	s_cbranch_execz .LBB341_280
; %bb.279:                              ;   in Loop: Header=BB341_184 Depth=1
	v_and_b32_e32 v7, 7, v6
	v_ffbh_u32_e32 v36, v7
	v_min_u32_e32 v38, 32, v36
	v_subrev_u32_e32 v36, 28, v38
	v_lshlrev_b64 v[36:37], v36, v[6:7]
	v_lshrrev_b32_e32 v35, 3, v34
	v_sub_u32_e32 v37, 29, v38
	v_and_b32_e32 v36, 7, v36
	v_cmp_gt_u32_e64 s[2:3], 8, v34
	v_cndmask_b32_e64 v34, v35, v37, s[2:3]
	v_cndmask_b32_e64 v7, v7, v36, s[2:3]
	v_lshlrev_b32_e32 v6, 24, v6
	v_lshlrev_b32_e32 v7, 20, v7
	v_and_b32_e32 v6, 0x80000000, v6
	v_lshl_add_u32 v34, v34, 23, v11
	v_or3_b32 v7, v6, v34, v7
.LBB341_280:                            ;   in Loop: Header=BB341_184 Depth=1
	s_or_b64 exec, exec, s[20:21]
.LBB341_281:                            ;   in Loop: Header=BB341_184 Depth=1
	s_or_b64 exec, exec, s[18:19]
.LBB341_282:                            ;   in Loop: Header=BB341_184 Depth=1
	s_or_b64 exec, exec, s[4:5]
	v_mul_f32_e32 v7, s36, v7
	v_and_b32_e32 v6, 0x7f800000, v7
	v_cmp_ne_u32_e64 s[2:3], s30, v6
                                        ; implicit-def: $vgpr6
	s_and_saveexec_b64 s[4:5], s[2:3]
	s_xor_b64 s[2:3], exec, s[4:5]
; %bb.283:                              ;   in Loop: Header=BB341_184 Depth=1
	v_bfe_u32 v6, v7, 16, 1
	v_add3_u32 v6, v7, v6, s31
                                        ; implicit-def: $vgpr7
; %bb.284:                              ;   in Loop: Header=BB341_184 Depth=1
	s_andn2_saveexec_b64 s[4:5], s[2:3]
; %bb.285:                              ;   in Loop: Header=BB341_184 Depth=1
	v_or_b32_e32 v6, 0x10000, v7
	v_cmp_eq_u32_sdwa s[2:3], v7, v17 src0_sel:WORD_0 src1_sel:DWORD
	v_cndmask_b32_e64 v6, v6, v7, s[2:3]
; %bb.286:                              ;   in Loop: Header=BB341_184 Depth=1
	s_or_b64 exec, exec, s[4:5]
	v_cmp_lt_u64_e64 s[2:3], s[16:17], v[2:3]
	v_mov_b32_e32 v7, 0
	s_and_saveexec_b64 s[4:5], s[2:3]
	s_cbranch_execz .LBB341_292
; %bb.287:                              ;   in Loop: Header=BB341_184 Depth=1
	v_lshrrev_b32_e32 v2, 24, v3
	v_cmp_ne_u32_e64 s[2:3], s34, v2
	v_bfrev_b32_e32 v7, 1
	s_and_saveexec_b64 s[18:19], s[2:3]
	s_cbranch_execz .LBB341_291
; %bb.288:                              ;   in Loop: Header=BB341_184 Depth=1
	v_bfe_u32 v3, v3, 24, 7
	v_cmp_ne_u32_e64 s[2:3], s35, v3
	v_mov_b32_e32 v7, 0x7f800001
	s_and_saveexec_b64 s[20:21], s[2:3]
	s_cbranch_execz .LBB341_290
; %bb.289:                              ;   in Loop: Header=BB341_184 Depth=1
	v_and_b32_e32 v7, 7, v2
	v_ffbh_u32_e32 v34, v7
	v_min_u32_e32 v37, 32, v34
	v_subrev_u32_e32 v34, 28, v37
	v_lshlrev_b64 v[34:35], v34, v[2:3]
	v_lshrrev_b32_e32 v36, 3, v3
	v_sub_u32_e32 v35, 29, v37
	v_and_b32_e32 v34, 7, v34
	v_cmp_gt_u32_e64 s[2:3], 8, v3
	v_cndmask_b32_e64 v3, v36, v35, s[2:3]
	v_cndmask_b32_e64 v7, v7, v34, s[2:3]
	v_lshlrev_b32_e32 v2, 24, v2
	v_lshlrev_b32_e32 v7, 20, v7
	v_and_b32_e32 v2, 0x80000000, v2
	v_lshl_add_u32 v3, v3, 23, v11
	v_or3_b32 v7, v2, v3, v7
.LBB341_290:                            ;   in Loop: Header=BB341_184 Depth=1
	s_or_b64 exec, exec, s[20:21]
.LBB341_291:                            ;   in Loop: Header=BB341_184 Depth=1
	s_or_b64 exec, exec, s[18:19]
.LBB341_292:                            ;   in Loop: Header=BB341_184 Depth=1
	s_or_b64 exec, exec, s[4:5]
	v_mul_f32_e32 v3, s36, v7
	v_and_b32_e32 v2, 0x7f800000, v3
	v_cmp_ne_u32_e64 s[2:3], s30, v2
                                        ; implicit-def: $vgpr2
	s_and_saveexec_b64 s[4:5], s[2:3]
	s_xor_b64 s[2:3], exec, s[4:5]
; %bb.293:                              ;   in Loop: Header=BB341_184 Depth=1
	v_bfe_u32 v2, v3, 16, 1
	v_add3_u32 v2, v3, v2, s31
                                        ; implicit-def: $vgpr3
; %bb.294:                              ;   in Loop: Header=BB341_184 Depth=1
	s_andn2_saveexec_b64 s[4:5], s[2:3]
; %bb.295:                              ;   in Loop: Header=BB341_184 Depth=1
	v_or_b32_e32 v2, 0x10000, v3
	v_cmp_eq_u32_sdwa s[2:3], v3, v17 src0_sel:WORD_0 src1_sel:DWORD
	v_cndmask_b32_e64 v2, v2, v3, s[2:3]
; %bb.296:                              ;   in Loop: Header=BB341_184 Depth=1
	s_or_b64 exec, exec, s[4:5]
	v_cmp_eq_u32_e64 s[2:3], s11, v10
	v_add_u32_e32 v7, -7, v19
	v_lshrrev_b32_e32 v34, 16, v16
	v_lshrrev_b32_e32 v33, 16, v33
	;; [unrolled: 1-line block ×8, first 2 shown]
	s_and_saveexec_b64 s[18:19], s[2:3]
	s_cbranch_execz .LBB341_298
; %bb.297:                              ;   in Loop: Header=BB341_184 Depth=1
	v_cmp_gt_i32_e64 s[4:5], s33, v7
	v_add_u32_e32 v8, -6, v19
	v_cndmask_b32_e64 v3, 0, v3, s[4:5]
	v_cmp_gt_i32_e64 s[4:5], s33, v8
	v_add_u32_e32 v8, -5, v19
	v_cndmask_b32_e64 v16, 0, v16, s[4:5]
	v_cmp_gt_i32_e64 s[4:5], s33, v8
	v_add_u32_e32 v8, -4, v19
	v_cndmask_b32_e64 v31, 0, v31, s[4:5]
	v_cmp_gt_i32_e64 s[4:5], s33, v8
	v_add_u32_e32 v8, -3, v19
	v_cndmask_b32_e64 v32, 0, v32, s[4:5]
	v_cmp_gt_i32_e64 s[4:5], s33, v8
	v_add_u32_e32 v8, -2, v19
	v_cndmask_b32_e64 v33, 0, v33, s[4:5]
	v_cmp_gt_i32_e64 s[4:5], s33, v8
	v_add_u32_e32 v8, -1, v19
	v_cndmask_b32_e64 v34, 0, v34, s[4:5]
	v_cmp_gt_i32_e64 s[4:5], s33, v8
	v_cndmask_b32_e64 v6, 0, v6, s[4:5]
	v_cmp_gt_i32_e64 s[4:5], s33, v19
	v_cndmask_b32_e64 v2, 0, v2, s[4:5]
.LBB341_298:                            ;   in Loop: Header=BB341_184 Depth=1
	s_or_b64 exec, exec, s[18:19]
	v_and_b32_e32 v8, 0xffff0000, v30
	v_lshlrev_b32_e32 v3, 16, v3
	v_mul_f32_e32 v9, v8, v3
	v_and_b32_e32 v3, 0x7f800000, v9
	v_cmp_ne_u32_e64 s[4:5], s30, v3
                                        ; implicit-def: $vgpr3
	s_and_saveexec_b64 s[18:19], s[4:5]
	s_xor_b64 s[4:5], exec, s[18:19]
; %bb.299:                              ;   in Loop: Header=BB341_184 Depth=1
	v_bfe_u32 v3, v9, 16, 1
	v_add3_u32 v3, v9, v3, s31
                                        ; implicit-def: $vgpr9
; %bb.300:                              ;   in Loop: Header=BB341_184 Depth=1
	s_andn2_saveexec_b64 s[18:19], s[4:5]
; %bb.301:                              ;   in Loop: Header=BB341_184 Depth=1
	v_or_b32_e32 v3, 0x10000, v9
	v_cmp_eq_u32_sdwa s[4:5], v9, v17 src0_sel:WORD_0 src1_sel:DWORD
	v_cndmask_b32_e64 v3, v3, v9, s[4:5]
; %bb.302:                              ;   in Loop: Header=BB341_184 Depth=1
	s_or_b64 exec, exec, s[18:19]
	v_and_b32_e32 v9, 0xffff0000, v29
	v_lshlrev_b32_e32 v16, 16, v16
	v_mul_f32_e32 v29, v9, v16
	v_and_b32_e32 v16, 0x7f800000, v29
	v_cmp_ne_u32_e64 s[4:5], s30, v16
                                        ; implicit-def: $vgpr16
	s_and_saveexec_b64 s[18:19], s[4:5]
	s_xor_b64 s[4:5], exec, s[18:19]
; %bb.303:                              ;   in Loop: Header=BB341_184 Depth=1
	v_bfe_u32 v16, v29, 16, 1
	v_add3_u32 v16, v29, v16, s31
                                        ; implicit-def: $vgpr29
; %bb.304:                              ;   in Loop: Header=BB341_184 Depth=1
	s_andn2_saveexec_b64 s[18:19], s[4:5]
; %bb.305:                              ;   in Loop: Header=BB341_184 Depth=1
	v_or_b32_e32 v16, 0x10000, v29
	v_cmp_eq_u32_sdwa s[4:5], v29, v17 src0_sel:WORD_0 src1_sel:DWORD
	v_cndmask_b32_e64 v16, v16, v29, s[4:5]
; %bb.306:                              ;   in Loop: Header=BB341_184 Depth=1
	s_or_b64 exec, exec, s[18:19]
	v_and_b32_e32 v23, 0xffff0000, v23
	v_lshlrev_b32_e32 v29, 16, v31
	v_mul_f32_e32 v30, v23, v29
	v_and_b32_e32 v29, 0x7f800000, v30
	v_cmp_ne_u32_e64 s[4:5], s30, v29
                                        ; implicit-def: $vgpr29
	s_and_saveexec_b64 s[18:19], s[4:5]
	s_xor_b64 s[4:5], exec, s[18:19]
; %bb.307:                              ;   in Loop: Header=BB341_184 Depth=1
	v_bfe_u32 v29, v30, 16, 1
	v_add3_u32 v29, v30, v29, s31
                                        ; implicit-def: $vgpr30
; %bb.308:                              ;   in Loop: Header=BB341_184 Depth=1
	s_andn2_saveexec_b64 s[18:19], s[4:5]
; %bb.309:                              ;   in Loop: Header=BB341_184 Depth=1
	v_or_b32_e32 v29, 0x10000, v30
	v_cmp_eq_u32_sdwa s[4:5], v30, v17 src0_sel:WORD_0 src1_sel:DWORD
	v_cndmask_b32_e64 v29, v29, v30, s[4:5]
; %bb.310:                              ;   in Loop: Header=BB341_184 Depth=1
	s_or_b64 exec, exec, s[18:19]
	v_and_b32_e32 v24, 0xffff0000, v24
	v_lshlrev_b32_e32 v30, 16, v32
	v_mul_f32_e32 v31, v24, v30
	v_and_b32_e32 v30, 0x7f800000, v31
	v_cmp_ne_u32_e64 s[4:5], s30, v30
                                        ; implicit-def: $vgpr30
	s_and_saveexec_b64 s[18:19], s[4:5]
	s_xor_b64 s[4:5], exec, s[18:19]
; %bb.311:                              ;   in Loop: Header=BB341_184 Depth=1
	v_bfe_u32 v30, v31, 16, 1
	v_add3_u32 v30, v31, v30, s31
                                        ; implicit-def: $vgpr31
; %bb.312:                              ;   in Loop: Header=BB341_184 Depth=1
	s_andn2_saveexec_b64 s[18:19], s[4:5]
; %bb.313:                              ;   in Loop: Header=BB341_184 Depth=1
	v_or_b32_e32 v30, 0x10000, v31
	v_cmp_eq_u32_sdwa s[4:5], v31, v17 src0_sel:WORD_0 src1_sel:DWORD
	v_cndmask_b32_e64 v30, v30, v31, s[4:5]
; %bb.314:                              ;   in Loop: Header=BB341_184 Depth=1
	s_or_b64 exec, exec, s[18:19]
	v_and_b32_e32 v25, 0xffff0000, v25
	v_lshlrev_b32_e32 v31, 16, v33
	v_mul_f32_e32 v32, v25, v31
	v_and_b32_e32 v31, 0x7f800000, v32
	v_cmp_ne_u32_e64 s[4:5], s30, v31
                                        ; implicit-def: $vgpr31
	s_and_saveexec_b64 s[18:19], s[4:5]
	s_xor_b64 s[4:5], exec, s[18:19]
; %bb.315:                              ;   in Loop: Header=BB341_184 Depth=1
	v_bfe_u32 v31, v32, 16, 1
	v_add3_u32 v31, v32, v31, s31
                                        ; implicit-def: $vgpr32
; %bb.316:                              ;   in Loop: Header=BB341_184 Depth=1
	s_andn2_saveexec_b64 s[18:19], s[4:5]
; %bb.317:                              ;   in Loop: Header=BB341_184 Depth=1
	v_or_b32_e32 v31, 0x10000, v32
	v_cmp_eq_u32_sdwa s[4:5], v32, v17 src0_sel:WORD_0 src1_sel:DWORD
	v_cndmask_b32_e64 v31, v31, v32, s[4:5]
; %bb.318:                              ;   in Loop: Header=BB341_184 Depth=1
	s_or_b64 exec, exec, s[18:19]
	v_and_b32_e32 v26, 0xffff0000, v26
	v_lshlrev_b32_e32 v32, 16, v34
	v_mul_f32_e32 v33, v26, v32
	v_and_b32_e32 v32, 0x7f800000, v33
	v_cmp_ne_u32_e64 s[4:5], s30, v32
                                        ; implicit-def: $vgpr32
	s_and_saveexec_b64 s[18:19], s[4:5]
	s_xor_b64 s[4:5], exec, s[18:19]
; %bb.319:                              ;   in Loop: Header=BB341_184 Depth=1
	v_bfe_u32 v32, v33, 16, 1
	v_add3_u32 v32, v33, v32, s31
                                        ; implicit-def: $vgpr33
; %bb.320:                              ;   in Loop: Header=BB341_184 Depth=1
	s_andn2_saveexec_b64 s[18:19], s[4:5]
; %bb.321:                              ;   in Loop: Header=BB341_184 Depth=1
	v_or_b32_e32 v32, 0x10000, v33
	v_cmp_eq_u32_sdwa s[4:5], v33, v17 src0_sel:WORD_0 src1_sel:DWORD
	v_cndmask_b32_e64 v32, v32, v33, s[4:5]
; %bb.322:                              ;   in Loop: Header=BB341_184 Depth=1
	s_or_b64 exec, exec, s[18:19]
	v_and_b32_e32 v27, 0xffff0000, v27
	v_lshlrev_b32_e32 v6, 16, v6
	v_mul_f32_e32 v33, v27, v6
	v_and_b32_e32 v6, 0x7f800000, v33
	v_cmp_ne_u32_e64 s[4:5], s30, v6
                                        ; implicit-def: $vgpr6
	s_and_saveexec_b64 s[18:19], s[4:5]
	s_xor_b64 s[4:5], exec, s[18:19]
; %bb.323:                              ;   in Loop: Header=BB341_184 Depth=1
	v_bfe_u32 v6, v33, 16, 1
	v_add3_u32 v6, v33, v6, s31
                                        ; implicit-def: $vgpr33
; %bb.324:                              ;   in Loop: Header=BB341_184 Depth=1
	s_andn2_saveexec_b64 s[18:19], s[4:5]
; %bb.325:                              ;   in Loop: Header=BB341_184 Depth=1
	v_or_b32_e32 v6, 0x10000, v33
	v_cmp_eq_u32_sdwa s[4:5], v33, v17 src0_sel:WORD_0 src1_sel:DWORD
	v_cndmask_b32_e64 v6, v6, v33, s[4:5]
; %bb.326:                              ;   in Loop: Header=BB341_184 Depth=1
	s_or_b64 exec, exec, s[18:19]
	v_and_b32_e32 v28, 0xffff0000, v28
	v_lshlrev_b32_e32 v2, 16, v2
	v_mul_f32_e32 v2, v28, v2
	v_and_b32_e32 v33, 0x7f800000, v2
	v_cmp_ne_u32_e64 s[4:5], s30, v33
                                        ; implicit-def: $vgpr33
	s_and_saveexec_b64 s[18:19], s[4:5]
	s_xor_b64 s[4:5], exec, s[18:19]
; %bb.327:                              ;   in Loop: Header=BB341_184 Depth=1
	v_bfe_u32 v33, v2, 16, 1
	v_add3_u32 v33, v2, v33, s31
                                        ; implicit-def: $vgpr2
; %bb.328:                              ;   in Loop: Header=BB341_184 Depth=1
	s_andn2_saveexec_b64 s[18:19], s[4:5]
; %bb.329:                              ;   in Loop: Header=BB341_184 Depth=1
	v_or_b32_e32 v33, 0x10000, v2
	v_cmp_eq_u32_sdwa s[4:5], v2, v17 src0_sel:WORD_0 src1_sel:DWORD
	v_cndmask_b32_e64 v33, v33, v2, s[4:5]
; %bb.330:                              ;   in Loop: Header=BB341_184 Depth=1
	s_or_b64 exec, exec, s[18:19]
	v_and_b32_e32 v34, 0xffff0000, v31
	v_and_b32_e32 v31, 0xffff0000, v30
	;; [unrolled: 1-line block ×5, first 2 shown]
	v_pk_add_f32 v[2:3], v[36:37], v[30:31]
	v_and_b32_e32 v33, 0xffff0000, v33
	v_and_b32_e32 v32, 0xffff0000, v32
	;; [unrolled: 1-line block ×3, first 2 shown]
	v_mov_b32_e32 v6, v3
	v_pk_add_f32 v[2:3], v[2:3], v[6:7]
	v_pk_add_f32 v[30:31], v[34:35], v[32:33]
	;; [unrolled: 1-line block ×3, first 2 shown]
	v_mov_b32_e32 v6, v31
	v_pk_add_f32 v[2:3], v[2:3], v[6:7]
	v_pk_add_f32 v[2:3], v[12:13], v[2:3]
	s_and_saveexec_b64 s[18:19], vcc
	s_cbranch_execz .LBB341_183
; %bb.331:                              ;   in Loop: Header=BB341_184 Depth=1
	v_add_co_u32_e64 v4, s[4:5], v4, v18
	v_addc_co_u32_e64 v5, s[4:5], 0, v5, s[4:5]
	global_load_dwordx2 v[4:5], v[4:5], off
	v_mov_b32_e32 v3, 0
	s_waitcnt vmcnt(0)
	v_cmp_ne_u16_sdwa s[4:5], v4, v17 src0_sel:BYTE_0 src1_sel:DWORD
	s_and_saveexec_b64 s[20:21], s[4:5]
	s_cbranch_execz .LBB341_337
; %bb.332:                              ;   in Loop: Header=BB341_184 Depth=1
	v_cmp_ne_u16_sdwa s[4:5], v4, s34 src0_sel:BYTE_0 src1_sel:DWORD
	v_bfrev_b32_e32 v3, 1
	s_and_saveexec_b64 s[22:23], s[4:5]
	s_cbranch_execz .LBB341_336
; %bb.333:                              ;   in Loop: Header=BB341_184 Depth=1
	v_and_b32_e32 v6, 0x7f, v4
	v_cmp_ne_u32_e64 s[4:5], s35, v6
	v_mov_b32_e32 v3, 0x7f800001
	s_and_saveexec_b64 s[28:29], s[4:5]
	s_cbranch_execz .LBB341_335
; %bb.334:                              ;   in Loop: Header=BB341_184 Depth=1
	v_and_b32_e32 v3, 7, v4
	v_ffbh_u32_e32 v3, v3
	v_min_u32_e32 v3, 32, v3
	v_subrev_u32_e32 v29, 28, v3
	v_cmp_gt_u32_e64 s[4:5], 8, v6
	v_lshrrev_b32_e32 v16, 3, v6
	v_cndmask_b32_e64 v6, 0, v29, s[4:5]
	v_sub_u32_e32 v3, 29, v3
	v_lshlrev_b64 v[30:31], v6, v[4:5]
	v_cndmask_b32_e64 v3, v16, v3, s[4:5]
	v_lshlrev_b32_e32 v6, 20, v30
	v_lshlrev_b32_e32 v16, 24, v4
	v_and_b32_e32 v6, 0x700000, v6
	v_and_b32_e32 v16, 0x80000000, v16
	v_lshl_add_u32 v3, v3, 23, v11
	v_or3_b32 v3, v16, v3, v6
.LBB341_335:                            ;   in Loop: Header=BB341_184 Depth=1
	s_or_b64 exec, exec, s[28:29]
.LBB341_336:                            ;   in Loop: Header=BB341_184 Depth=1
	s_or_b64 exec, exec, s[22:23]
.LBB341_337:                            ;   in Loop: Header=BB341_184 Depth=1
	s_or_b64 exec, exec, s[20:21]
	v_mul_f32_e32 v6, s36, v3
	v_and_b32_e32 v3, 0x7f800000, v6
	v_cmp_ne_u32_e64 s[4:5], s30, v3
                                        ; implicit-def: $vgpr3
	s_and_saveexec_b64 s[20:21], s[4:5]
	s_xor_b64 s[4:5], exec, s[20:21]
; %bb.338:                              ;   in Loop: Header=BB341_184 Depth=1
	v_bfe_u32 v3, v6, 16, 1
	v_add3_u32 v3, v6, v3, s31
                                        ; implicit-def: $vgpr6
; %bb.339:                              ;   in Loop: Header=BB341_184 Depth=1
	s_andn2_saveexec_b64 s[20:21], s[4:5]
; %bb.340:                              ;   in Loop: Header=BB341_184 Depth=1
	v_or_b32_e32 v3, 0x10000, v6
	v_cmp_eq_u32_sdwa s[4:5], v6, v17 src0_sel:WORD_0 src1_sel:DWORD
	v_cndmask_b32_e64 v3, v3, v6, s[4:5]
; %bb.341:                              ;   in Loop: Header=BB341_184 Depth=1
	s_or_b64 exec, exec, s[20:21]
	v_lshrrev_b16_e32 v6, 8, v4
	v_cmp_ne_u16_e64 s[4:5], 0, v6
	v_mov_b32_e32 v16, 0
	s_and_saveexec_b64 s[20:21], s[4:5]
	s_cbranch_execz .LBB341_347
; %bb.342:                              ;   in Loop: Header=BB341_184 Depth=1
	v_cmp_ne_u16_e64 s[4:5], s34, v6
	v_bfrev_b32_e32 v16, 1
	s_and_saveexec_b64 s[22:23], s[4:5]
	s_cbranch_execz .LBB341_346
; %bb.343:                              ;   in Loop: Header=BB341_184 Depth=1
	v_and_b32_e32 v29, 0x7f, v6
	v_cmp_ne_u32_e64 s[4:5], s35, v29
	v_mov_b32_e32 v16, 0x7f800001
	s_and_saveexec_b64 s[28:29], s[4:5]
	s_cbranch_execz .LBB341_345
; %bb.344:                              ;   in Loop: Header=BB341_184 Depth=1
	v_and_b32_e32 v16, 7, v6
	v_ffbh_u32_e32 v30, v16
	v_min_u32_e32 v33, 32, v30
	v_subrev_u32_e32 v30, 28, v33
	v_lshlrev_b64 v[30:31], v30, v[6:7]
	v_lshrrev_b32_e32 v32, 3, v29
	v_sub_u32_e32 v6, 29, v33
	v_and_b32_e32 v30, 7, v30
	v_cmp_gt_u32_e64 s[4:5], 8, v29
	v_cndmask_b32_e64 v6, v32, v6, s[4:5]
	v_cndmask_b32_e64 v16, v16, v30, s[4:5]
	v_lshlrev_b32_e32 v29, 16, v4
	v_lshlrev_b32_e32 v16, 20, v16
	v_and_b32_e32 v29, 0x80000000, v29
	v_lshl_add_u32 v6, v6, 23, v11
	v_or3_b32 v16, v29, v6, v16
.LBB341_345:                            ;   in Loop: Header=BB341_184 Depth=1
	s_or_b64 exec, exec, s[28:29]
.LBB341_346:                            ;   in Loop: Header=BB341_184 Depth=1
	s_or_b64 exec, exec, s[22:23]
.LBB341_347:                            ;   in Loop: Header=BB341_184 Depth=1
	s_or_b64 exec, exec, s[20:21]
	v_mul_f32_e32 v6, s36, v16
	v_and_b32_e32 v16, 0x7f800000, v6
	v_cmp_ne_u32_e64 s[4:5], s30, v16
                                        ; implicit-def: $vgpr29
	s_and_saveexec_b64 s[20:21], s[4:5]
	s_xor_b64 s[4:5], exec, s[20:21]
; %bb.348:                              ;   in Loop: Header=BB341_184 Depth=1
	v_bfe_u32 v16, v6, 16, 1
	v_add3_u32 v29, v6, v16, s31
                                        ; implicit-def: $vgpr6
; %bb.349:                              ;   in Loop: Header=BB341_184 Depth=1
	s_andn2_saveexec_b64 s[20:21], s[4:5]
; %bb.350:                              ;   in Loop: Header=BB341_184 Depth=1
	v_or_b32_e32 v16, 0x10000, v6
	v_cmp_eq_u32_sdwa s[4:5], v6, v17 src0_sel:WORD_0 src1_sel:DWORD
	v_cndmask_b32_e64 v29, v16, v6, s[4:5]
; %bb.351:                              ;   in Loop: Header=BB341_184 Depth=1
	s_or_b64 exec, exec, s[20:21]
	v_lshrrev_b32_e32 v6, 16, v4
	v_cmp_ne_u16_sdwa s[4:5], v6, v17 src0_sel:BYTE_0 src1_sel:DWORD
	v_mov_b32_e32 v16, 0
	s_and_saveexec_b64 s[20:21], s[4:5]
	s_cbranch_execz .LBB341_357
; %bb.352:                              ;   in Loop: Header=BB341_184 Depth=1
	v_cmp_ne_u16_sdwa s[4:5], v6, s34 src0_sel:BYTE_0 src1_sel:DWORD
	v_bfrev_b32_e32 v16, 1
	s_and_saveexec_b64 s[22:23], s[4:5]
	s_cbranch_execz .LBB341_356
; %bb.353:                              ;   in Loop: Header=BB341_184 Depth=1
	v_bfe_u32 v30, v4, 16, 7
	v_cmp_ne_u32_e64 s[4:5], s35, v30
	v_mov_b32_e32 v16, 0x7f800001
	s_and_saveexec_b64 s[28:29], s[4:5]
	s_cbranch_execz .LBB341_355
; %bb.354:                              ;   in Loop: Header=BB341_184 Depth=1
	v_and_b32_e32 v16, 7, v6
	v_ffbh_u32_e32 v32, v16
	v_min_u32_e32 v34, 32, v32
	v_subrev_u32_e32 v32, 28, v34
	v_lshlrev_b64 v[32:33], v32, v[6:7]
	v_lshrrev_b32_e32 v31, 3, v30
	v_sub_u32_e32 v33, 29, v34
	v_and_b32_e32 v32, 7, v32
	v_cmp_gt_u32_e64 s[4:5], 8, v30
	v_cndmask_b32_e64 v30, v31, v33, s[4:5]
	v_cndmask_b32_e64 v16, v16, v32, s[4:5]
	v_lshlrev_b32_e32 v6, 24, v6
	v_lshlrev_b32_e32 v16, 20, v16
	v_and_b32_e32 v6, 0x80000000, v6
	v_lshl_add_u32 v30, v30, 23, v11
	v_or3_b32 v16, v6, v30, v16
.LBB341_355:                            ;   in Loop: Header=BB341_184 Depth=1
	s_or_b64 exec, exec, s[28:29]
.LBB341_356:                            ;   in Loop: Header=BB341_184 Depth=1
	s_or_b64 exec, exec, s[22:23]
.LBB341_357:                            ;   in Loop: Header=BB341_184 Depth=1
	s_or_b64 exec, exec, s[20:21]
	v_mul_f32_e32 v6, s36, v16
	v_and_b32_e32 v16, 0x7f800000, v6
	v_cmp_ne_u32_e64 s[4:5], s30, v16
                                        ; implicit-def: $vgpr30
	s_and_saveexec_b64 s[20:21], s[4:5]
	s_xor_b64 s[4:5], exec, s[20:21]
; %bb.358:                              ;   in Loop: Header=BB341_184 Depth=1
	v_bfe_u32 v16, v6, 16, 1
	v_add3_u32 v30, v6, v16, s31
                                        ; implicit-def: $vgpr6
; %bb.359:                              ;   in Loop: Header=BB341_184 Depth=1
	s_andn2_saveexec_b64 s[20:21], s[4:5]
; %bb.360:                              ;   in Loop: Header=BB341_184 Depth=1
	v_or_b32_e32 v16, 0x10000, v6
	v_cmp_eq_u32_sdwa s[4:5], v6, v17 src0_sel:WORD_0 src1_sel:DWORD
	v_cndmask_b32_e64 v30, v16, v6, s[4:5]
; %bb.361:                              ;   in Loop: Header=BB341_184 Depth=1
	s_or_b64 exec, exec, s[20:21]
	v_cmp_lt_u32_e64 s[4:5], s17, v4
	v_mov_b32_e32 v16, 0
	s_and_saveexec_b64 s[20:21], s[4:5]
	s_cbranch_execz .LBB341_367
; %bb.362:                              ;   in Loop: Header=BB341_184 Depth=1
	v_lshrrev_b32_e32 v6, 24, v4
	v_cmp_ne_u32_e64 s[4:5], s34, v6
	v_bfrev_b32_e32 v16, 1
	s_and_saveexec_b64 s[22:23], s[4:5]
	s_cbranch_execz .LBB341_366
; %bb.363:                              ;   in Loop: Header=BB341_184 Depth=1
	v_bfe_u32 v31, v4, 24, 7
	v_cmp_ne_u32_e64 s[4:5], s35, v31
	v_mov_b32_e32 v16, 0x7f800001
	s_and_saveexec_b64 s[28:29], s[4:5]
	s_cbranch_execz .LBB341_365
; %bb.364:                              ;   in Loop: Header=BB341_184 Depth=1
	v_and_b32_e32 v16, 7, v6
	v_ffbh_u32_e32 v32, v16
	v_min_u32_e32 v35, 32, v32
	v_subrev_u32_e32 v32, 28, v35
	v_lshlrev_b64 v[32:33], v32, v[6:7]
	v_lshrrev_b32_e32 v34, 3, v31
	v_sub_u32_e32 v33, 29, v35
	v_and_b32_e32 v32, 7, v32
	v_cmp_gt_u32_e64 s[4:5], 8, v31
	v_cndmask_b32_e64 v31, v34, v33, s[4:5]
	v_cndmask_b32_e64 v16, v16, v32, s[4:5]
	v_lshlrev_b32_e32 v6, 24, v6
	v_lshlrev_b32_e32 v16, 20, v16
	v_and_b32_e32 v6, 0x80000000, v6
	v_lshl_add_u32 v31, v31, 23, v11
	v_or3_b32 v16, v6, v31, v16
.LBB341_365:                            ;   in Loop: Header=BB341_184 Depth=1
	s_or_b64 exec, exec, s[28:29]
.LBB341_366:                            ;   in Loop: Header=BB341_184 Depth=1
	s_or_b64 exec, exec, s[22:23]
.LBB341_367:                            ;   in Loop: Header=BB341_184 Depth=1
	s_or_b64 exec, exec, s[20:21]
	v_mul_f32_e32 v6, s36, v16
	v_and_b32_e32 v16, 0x7f800000, v6
	v_cmp_ne_u32_e64 s[4:5], s30, v16
                                        ; implicit-def: $vgpr31
	s_and_saveexec_b64 s[20:21], s[4:5]
	s_xor_b64 s[4:5], exec, s[20:21]
; %bb.368:                              ;   in Loop: Header=BB341_184 Depth=1
	v_bfe_u32 v16, v6, 16, 1
	v_add3_u32 v31, v6, v16, s31
                                        ; implicit-def: $vgpr6
; %bb.369:                              ;   in Loop: Header=BB341_184 Depth=1
	s_andn2_saveexec_b64 s[20:21], s[4:5]
; %bb.370:                              ;   in Loop: Header=BB341_184 Depth=1
	v_or_b32_e32 v16, 0x10000, v6
	v_cmp_eq_u32_sdwa s[4:5], v6, v17 src0_sel:WORD_0 src1_sel:DWORD
	v_cndmask_b32_e64 v31, v16, v6, s[4:5]
; %bb.371:                              ;   in Loop: Header=BB341_184 Depth=1
	s_or_b64 exec, exec, s[20:21]
	v_mov_b32_e32 v16, v5
	v_cmp_ne_u16_sdwa s[4:5], v5, v17 src0_sel:BYTE_0 src1_sel:DWORD
	v_mov_b32_e32 v6, 0
	s_and_saveexec_b64 s[20:21], s[4:5]
	s_cbranch_execz .LBB341_377
; %bb.372:                              ;   in Loop: Header=BB341_184 Depth=1
	v_cmp_ne_u16_sdwa s[4:5], v5, s34 src0_sel:BYTE_0 src1_sel:DWORD
	v_bfrev_b32_e32 v6, 1
	s_and_saveexec_b64 s[22:23], s[4:5]
	s_cbranch_execz .LBB341_376
; %bb.373:                              ;   in Loop: Header=BB341_184 Depth=1
	v_and_b32_e32 v32, 0x7f, v5
	v_cmp_ne_u32_e64 s[4:5], s35, v32
	v_mov_b32_e32 v6, 0x7f800001
	s_and_saveexec_b64 s[28:29], s[4:5]
	s_cbranch_execz .LBB341_375
; %bb.374:                              ;   in Loop: Header=BB341_184 Depth=1
	v_and_b32_e32 v6, 7, v5
	v_ffbh_u32_e32 v6, v6
	v_min_u32_e32 v6, 32, v6
	v_subrev_u32_e32 v34, 28, v6
	v_cmp_gt_u32_e64 s[4:5], 8, v32
	v_lshrrev_b32_e32 v33, 3, v32
	v_sub_u32_e32 v6, 29, v6
	v_cndmask_b32_e64 v32, 0, v34, s[4:5]
	v_cndmask_b32_e64 v6, v33, v6, s[4:5]
	v_lshlrev_b64 v[32:33], v32, v[16:17]
	v_lshlrev_b32_e32 v32, 20, v32
	v_lshlrev_b32_e32 v33, 24, v16
	v_and_b32_e32 v32, 0x700000, v32
	v_and_b32_e32 v33, 0x80000000, v33
	v_lshl_add_u32 v6, v6, 23, v11
	v_or3_b32 v6, v33, v6, v32
.LBB341_375:                            ;   in Loop: Header=BB341_184 Depth=1
	s_or_b64 exec, exec, s[28:29]
.LBB341_376:                            ;   in Loop: Header=BB341_184 Depth=1
	s_or_b64 exec, exec, s[22:23]
.LBB341_377:                            ;   in Loop: Header=BB341_184 Depth=1
	s_or_b64 exec, exec, s[20:21]
	v_mul_f32_e32 v6, s36, v6
	v_and_b32_e32 v32, 0x7f800000, v6
	v_cmp_ne_u32_e64 s[4:5], s30, v32
                                        ; implicit-def: $vgpr32
	s_and_saveexec_b64 s[20:21], s[4:5]
	s_xor_b64 s[4:5], exec, s[20:21]
; %bb.378:                              ;   in Loop: Header=BB341_184 Depth=1
	v_bfe_u32 v32, v6, 16, 1
	v_add3_u32 v32, v6, v32, s31
                                        ; implicit-def: $vgpr6
; %bb.379:                              ;   in Loop: Header=BB341_184 Depth=1
	s_andn2_saveexec_b64 s[20:21], s[4:5]
; %bb.380:                              ;   in Loop: Header=BB341_184 Depth=1
	v_or_b32_e32 v32, 0x10000, v6
	v_cmp_eq_u32_sdwa s[4:5], v6, v17 src0_sel:WORD_0 src1_sel:DWORD
	v_cndmask_b32_e64 v32, v32, v6, s[4:5]
; %bb.381:                              ;   in Loop: Header=BB341_184 Depth=1
	s_or_b64 exec, exec, s[20:21]
	v_lshrrev_b16_e32 v6, 8, v16
	v_cmp_ne_u16_e64 s[4:5], 0, v6
	v_mov_b32_e32 v33, 0
	s_and_saveexec_b64 s[20:21], s[4:5]
	s_cbranch_execz .LBB341_387
; %bb.382:                              ;   in Loop: Header=BB341_184 Depth=1
	v_cmp_ne_u16_e64 s[4:5], s34, v6
	v_bfrev_b32_e32 v33, 1
	s_and_saveexec_b64 s[22:23], s[4:5]
	s_cbranch_execz .LBB341_386
; %bb.383:                              ;   in Loop: Header=BB341_184 Depth=1
	v_and_b32_e32 v34, 0x7f, v6
	v_cmp_ne_u32_e64 s[4:5], s35, v34
	v_mov_b32_e32 v33, 0x7f800001
	s_and_saveexec_b64 s[28:29], s[4:5]
	s_cbranch_execz .LBB341_385
; %bb.384:                              ;   in Loop: Header=BB341_184 Depth=1
	v_and_b32_e32 v33, 7, v6
	v_ffbh_u32_e32 v36, v33
	v_min_u32_e32 v38, 32, v36
	v_subrev_u32_e32 v36, 28, v38
	v_lshlrev_b64 v[36:37], v36, v[6:7]
	v_lshrrev_b32_e32 v35, 3, v34
	v_sub_u32_e32 v6, 29, v38
	v_and_b32_e32 v36, 7, v36
	v_cmp_gt_u32_e64 s[4:5], 8, v34
	v_cndmask_b32_e64 v6, v35, v6, s[4:5]
	v_cndmask_b32_e64 v33, v33, v36, s[4:5]
	v_lshlrev_b32_e32 v16, 16, v16
	v_lshlrev_b32_e32 v33, 20, v33
	v_and_b32_e32 v16, 0x80000000, v16
	v_lshl_add_u32 v6, v6, 23, v11
	v_or3_b32 v33, v16, v6, v33
.LBB341_385:                            ;   in Loop: Header=BB341_184 Depth=1
	s_or_b64 exec, exec, s[28:29]
.LBB341_386:                            ;   in Loop: Header=BB341_184 Depth=1
	s_or_b64 exec, exec, s[22:23]
.LBB341_387:                            ;   in Loop: Header=BB341_184 Depth=1
	s_or_b64 exec, exec, s[20:21]
	v_mul_f32_e32 v6, s36, v33
	v_and_b32_e32 v16, 0x7f800000, v6
	v_cmp_ne_u32_e64 s[4:5], s30, v16
                                        ; implicit-def: $vgpr16
	s_and_saveexec_b64 s[20:21], s[4:5]
	s_xor_b64 s[4:5], exec, s[20:21]
; %bb.388:                              ;   in Loop: Header=BB341_184 Depth=1
	v_bfe_u32 v16, v6, 16, 1
	v_add3_u32 v16, v6, v16, s31
                                        ; implicit-def: $vgpr6
; %bb.389:                              ;   in Loop: Header=BB341_184 Depth=1
	s_andn2_saveexec_b64 s[20:21], s[4:5]
; %bb.390:                              ;   in Loop: Header=BB341_184 Depth=1
	v_or_b32_e32 v16, 0x10000, v6
	v_cmp_eq_u32_sdwa s[4:5], v6, v17 src0_sel:WORD_0 src1_sel:DWORD
	v_cndmask_b32_e64 v16, v16, v6, s[4:5]
; %bb.391:                              ;   in Loop: Header=BB341_184 Depth=1
	s_or_b64 exec, exec, s[20:21]
	v_lshrrev_b32_e32 v6, 16, v5
	v_cmp_ne_u16_sdwa s[4:5], v6, v17 src0_sel:BYTE_0 src1_sel:DWORD
	v_mov_b32_e32 v33, 0
	s_and_saveexec_b64 s[20:21], s[4:5]
	s_cbranch_execz .LBB341_397
; %bb.392:                              ;   in Loop: Header=BB341_184 Depth=1
	v_cmp_ne_u16_sdwa s[4:5], v6, s34 src0_sel:BYTE_0 src1_sel:DWORD
	v_bfrev_b32_e32 v33, 1
	s_and_saveexec_b64 s[22:23], s[4:5]
	s_cbranch_execz .LBB341_396
; %bb.393:                              ;   in Loop: Header=BB341_184 Depth=1
	v_bfe_u32 v34, v5, 16, 7
	v_cmp_ne_u32_e64 s[4:5], s35, v34
	v_mov_b32_e32 v33, 0x7f800001
	s_and_saveexec_b64 s[28:29], s[4:5]
	s_cbranch_execz .LBB341_395
; %bb.394:                              ;   in Loop: Header=BB341_184 Depth=1
	v_and_b32_e32 v33, 7, v6
	v_ffbh_u32_e32 v36, v33
	v_min_u32_e32 v38, 32, v36
	v_subrev_u32_e32 v36, 28, v38
	v_lshlrev_b64 v[36:37], v36, v[6:7]
	v_lshrrev_b32_e32 v35, 3, v34
	v_sub_u32_e32 v37, 29, v38
	v_and_b32_e32 v36, 7, v36
	v_cmp_gt_u32_e64 s[4:5], 8, v34
	v_cndmask_b32_e64 v34, v35, v37, s[4:5]
	v_cndmask_b32_e64 v33, v33, v36, s[4:5]
	v_lshlrev_b32_e32 v6, 24, v6
	v_lshlrev_b32_e32 v33, 20, v33
	v_and_b32_e32 v6, 0x80000000, v6
	v_lshl_add_u32 v34, v34, 23, v11
	v_or3_b32 v33, v6, v34, v33
.LBB341_395:                            ;   in Loop: Header=BB341_184 Depth=1
	s_or_b64 exec, exec, s[28:29]
.LBB341_396:                            ;   in Loop: Header=BB341_184 Depth=1
	s_or_b64 exec, exec, s[22:23]
.LBB341_397:                            ;   in Loop: Header=BB341_184 Depth=1
	s_or_b64 exec, exec, s[20:21]
	v_mul_f32_e32 v33, s36, v33
	v_and_b32_e32 v6, 0x7f800000, v33
	v_cmp_ne_u32_e64 s[4:5], s30, v6
                                        ; implicit-def: $vgpr6
	s_and_saveexec_b64 s[20:21], s[4:5]
	s_xor_b64 s[4:5], exec, s[20:21]
; %bb.398:                              ;   in Loop: Header=BB341_184 Depth=1
	v_bfe_u32 v6, v33, 16, 1
	v_add3_u32 v6, v33, v6, s31
                                        ; implicit-def: $vgpr33
; %bb.399:                              ;   in Loop: Header=BB341_184 Depth=1
	s_andn2_saveexec_b64 s[20:21], s[4:5]
; %bb.400:                              ;   in Loop: Header=BB341_184 Depth=1
	v_or_b32_e32 v6, 0x10000, v33
	v_cmp_eq_u32_sdwa s[4:5], v33, v17 src0_sel:WORD_0 src1_sel:DWORD
	v_cndmask_b32_e64 v6, v6, v33, s[4:5]
; %bb.401:                              ;   in Loop: Header=BB341_184 Depth=1
	s_or_b64 exec, exec, s[20:21]
	v_cmp_lt_u64_e64 s[4:5], s[16:17], v[4:5]
	v_mov_b32_e32 v33, 0
	s_and_saveexec_b64 s[20:21], s[4:5]
	s_cbranch_execz .LBB341_407
; %bb.402:                              ;   in Loop: Header=BB341_184 Depth=1
	v_lshrrev_b32_e32 v4, 24, v5
	v_cmp_ne_u32_e64 s[4:5], s34, v4
	v_bfrev_b32_e32 v33, 1
	s_and_saveexec_b64 s[22:23], s[4:5]
	s_cbranch_execz .LBB341_406
; %bb.403:                              ;   in Loop: Header=BB341_184 Depth=1
	v_bfe_u32 v5, v5, 24, 7
	v_cmp_ne_u32_e64 s[4:5], s35, v5
	v_mov_b32_e32 v33, 0x7f800001
	s_and_saveexec_b64 s[28:29], s[4:5]
	s_cbranch_execz .LBB341_405
; %bb.404:                              ;   in Loop: Header=BB341_184 Depth=1
	v_and_b32_e32 v33, 7, v4
	v_ffbh_u32_e32 v34, v33
	v_min_u32_e32 v37, 32, v34
	v_subrev_u32_e32 v34, 28, v37
	v_lshlrev_b64 v[34:35], v34, v[4:5]
	v_lshrrev_b32_e32 v36, 3, v5
	v_sub_u32_e32 v35, 29, v37
	v_and_b32_e32 v34, 7, v34
	v_cmp_gt_u32_e64 s[4:5], 8, v5
	v_cndmask_b32_e64 v5, v36, v35, s[4:5]
	v_cndmask_b32_e64 v33, v33, v34, s[4:5]
	v_lshlrev_b32_e32 v4, 24, v4
	v_lshlrev_b32_e32 v33, 20, v33
	v_and_b32_e32 v4, 0x80000000, v4
	v_lshl_add_u32 v5, v5, 23, v11
	v_or3_b32 v33, v4, v5, v33
.LBB341_405:                            ;   in Loop: Header=BB341_184 Depth=1
	s_or_b64 exec, exec, s[28:29]
.LBB341_406:                            ;   in Loop: Header=BB341_184 Depth=1
	s_or_b64 exec, exec, s[22:23]
.LBB341_407:                            ;   in Loop: Header=BB341_184 Depth=1
	s_or_b64 exec, exec, s[20:21]
	v_mul_f32_e32 v4, s36, v33
	v_and_b32_e32 v5, 0x7f800000, v4
	v_cmp_ne_u32_e64 s[4:5], s30, v5
                                        ; implicit-def: $vgpr33
	s_and_saveexec_b64 s[20:21], s[4:5]
	s_xor_b64 s[4:5], exec, s[20:21]
; %bb.408:                              ;   in Loop: Header=BB341_184 Depth=1
	v_bfe_u32 v5, v4, 16, 1
	v_add3_u32 v33, v4, v5, s31
                                        ; implicit-def: $vgpr4
; %bb.409:                              ;   in Loop: Header=BB341_184 Depth=1
	s_andn2_saveexec_b64 s[20:21], s[4:5]
; %bb.410:                              ;   in Loop: Header=BB341_184 Depth=1
	v_or_b32_e32 v5, 0x10000, v4
	v_cmp_eq_u32_sdwa s[4:5], v4, v17 src0_sel:WORD_0 src1_sel:DWORD
	v_cndmask_b32_e64 v33, v5, v4, s[4:5]
; %bb.411:                              ;   in Loop: Header=BB341_184 Depth=1
	s_or_b64 exec, exec, s[20:21]
	v_lshrrev_b32_e32 v16, 16, v16
	v_lshrrev_b32_e32 v32, 16, v32
	;; [unrolled: 1-line block ×8, first 2 shown]
	s_and_saveexec_b64 s[4:5], s[2:3]
	s_cbranch_execz .LBB341_413
; %bb.412:                              ;   in Loop: Header=BB341_184 Depth=1
	v_cmp_gt_i32_e64 s[2:3], s33, v7
	v_add_u32_e32 v6, -6, v19
	v_cndmask_b32_e64 v4, 0, v4, s[2:3]
	v_cmp_gt_i32_e64 s[2:3], s33, v6
	v_add_u32_e32 v6, -5, v19
	v_cndmask_b32_e64 v29, 0, v29, s[2:3]
	;; [unrolled: 3-line block ×6, first 2 shown]
	v_cmp_gt_i32_e64 s[2:3], s33, v6
	v_cndmask_b32_e64 v5, 0, v5, s[2:3]
	v_cmp_gt_i32_e64 s[2:3], s33, v19
	v_cndmask_b32_e64 v3, 0, v3, s[2:3]
.LBB341_413:                            ;   in Loop: Header=BB341_184 Depth=1
	s_or_b64 exec, exec, s[4:5]
	v_lshlrev_b32_e32 v4, 16, v4
	v_mul_f32_e32 v6, v8, v4
	v_and_b32_e32 v4, 0x7f800000, v6
	v_cmp_ne_u32_e64 s[2:3], s30, v4
                                        ; implicit-def: $vgpr4
	s_and_saveexec_b64 s[4:5], s[2:3]
	s_xor_b64 s[2:3], exec, s[4:5]
; %bb.414:                              ;   in Loop: Header=BB341_184 Depth=1
	v_bfe_u32 v4, v6, 16, 1
	v_add3_u32 v4, v6, v4, s31
                                        ; implicit-def: $vgpr6
; %bb.415:                              ;   in Loop: Header=BB341_184 Depth=1
	s_andn2_saveexec_b64 s[4:5], s[2:3]
; %bb.416:                              ;   in Loop: Header=BB341_184 Depth=1
	v_or_b32_e32 v4, 0x10000, v6
	v_cmp_eq_u32_sdwa s[2:3], v6, v17 src0_sel:WORD_0 src1_sel:DWORD
	v_cndmask_b32_e64 v4, v4, v6, s[2:3]
; %bb.417:                              ;   in Loop: Header=BB341_184 Depth=1
	s_or_b64 exec, exec, s[4:5]
	v_lshlrev_b32_e32 v6, 16, v29
	v_mul_f32_e32 v7, v9, v6
	v_and_b32_e32 v6, 0x7f800000, v7
	v_cmp_ne_u32_e64 s[2:3], s30, v6
                                        ; implicit-def: $vgpr6
	s_and_saveexec_b64 s[4:5], s[2:3]
	s_xor_b64 s[2:3], exec, s[4:5]
; %bb.418:                              ;   in Loop: Header=BB341_184 Depth=1
	v_bfe_u32 v6, v7, 16, 1
	v_add3_u32 v6, v7, v6, s31
                                        ; implicit-def: $vgpr7
; %bb.419:                              ;   in Loop: Header=BB341_184 Depth=1
	s_andn2_saveexec_b64 s[4:5], s[2:3]
; %bb.420:                              ;   in Loop: Header=BB341_184 Depth=1
	v_or_b32_e32 v6, 0x10000, v7
	v_cmp_eq_u32_sdwa s[2:3], v7, v17 src0_sel:WORD_0 src1_sel:DWORD
	v_cndmask_b32_e64 v6, v6, v7, s[2:3]
; %bb.421:                              ;   in Loop: Header=BB341_184 Depth=1
	s_or_b64 exec, exec, s[4:5]
	v_lshlrev_b32_e32 v7, 16, v30
	v_mul_f32_e32 v8, v23, v7
	v_and_b32_e32 v7, 0x7f800000, v8
	v_cmp_ne_u32_e64 s[2:3], s30, v7
                                        ; implicit-def: $vgpr7
	s_and_saveexec_b64 s[4:5], s[2:3]
	s_xor_b64 s[2:3], exec, s[4:5]
; %bb.422:                              ;   in Loop: Header=BB341_184 Depth=1
	v_bfe_u32 v7, v8, 16, 1
	v_add3_u32 v7, v8, v7, s31
                                        ; implicit-def: $vgpr8
; %bb.423:                              ;   in Loop: Header=BB341_184 Depth=1
	s_andn2_saveexec_b64 s[4:5], s[2:3]
; %bb.424:                              ;   in Loop: Header=BB341_184 Depth=1
	v_or_b32_e32 v7, 0x10000, v8
	v_cmp_eq_u32_sdwa s[2:3], v8, v17 src0_sel:WORD_0 src1_sel:DWORD
	v_cndmask_b32_e64 v7, v7, v8, s[2:3]
; %bb.425:                              ;   in Loop: Header=BB341_184 Depth=1
	s_or_b64 exec, exec, s[4:5]
	v_lshlrev_b32_e32 v8, 16, v31
	v_mul_f32_e32 v9, v24, v8
	v_and_b32_e32 v8, 0x7f800000, v9
	v_cmp_ne_u32_e64 s[2:3], s30, v8
                                        ; implicit-def: $vgpr8
	s_and_saveexec_b64 s[4:5], s[2:3]
	s_xor_b64 s[2:3], exec, s[4:5]
; %bb.426:                              ;   in Loop: Header=BB341_184 Depth=1
	v_bfe_u32 v8, v9, 16, 1
	v_add3_u32 v8, v9, v8, s31
                                        ; implicit-def: $vgpr9
; %bb.427:                              ;   in Loop: Header=BB341_184 Depth=1
	s_andn2_saveexec_b64 s[4:5], s[2:3]
; %bb.428:                              ;   in Loop: Header=BB341_184 Depth=1
	v_or_b32_e32 v8, 0x10000, v9
	v_cmp_eq_u32_sdwa s[2:3], v9, v17 src0_sel:WORD_0 src1_sel:DWORD
	v_cndmask_b32_e64 v8, v8, v9, s[2:3]
; %bb.429:                              ;   in Loop: Header=BB341_184 Depth=1
	s_or_b64 exec, exec, s[4:5]
	v_lshlrev_b32_e32 v9, 16, v32
	v_mul_f32_e32 v23, v25, v9
	v_and_b32_e32 v9, 0x7f800000, v23
	v_cmp_ne_u32_e64 s[2:3], s30, v9
                                        ; implicit-def: $vgpr9
	s_and_saveexec_b64 s[4:5], s[2:3]
	s_xor_b64 s[2:3], exec, s[4:5]
; %bb.430:                              ;   in Loop: Header=BB341_184 Depth=1
	v_bfe_u32 v9, v23, 16, 1
	v_add3_u32 v9, v23, v9, s31
                                        ; implicit-def: $vgpr23
; %bb.431:                              ;   in Loop: Header=BB341_184 Depth=1
	s_andn2_saveexec_b64 s[4:5], s[2:3]
; %bb.432:                              ;   in Loop: Header=BB341_184 Depth=1
	v_or_b32_e32 v9, 0x10000, v23
	v_cmp_eq_u32_sdwa s[2:3], v23, v17 src0_sel:WORD_0 src1_sel:DWORD
	v_cndmask_b32_e64 v9, v9, v23, s[2:3]
; %bb.433:                              ;   in Loop: Header=BB341_184 Depth=1
	s_or_b64 exec, exec, s[4:5]
	v_lshlrev_b32_e32 v16, 16, v16
	v_mul_f32_e32 v23, v26, v16
	v_and_b32_e32 v16, 0x7f800000, v23
	v_cmp_ne_u32_e64 s[2:3], s30, v16
                                        ; implicit-def: $vgpr16
	s_and_saveexec_b64 s[4:5], s[2:3]
	s_xor_b64 s[2:3], exec, s[4:5]
; %bb.434:                              ;   in Loop: Header=BB341_184 Depth=1
	v_bfe_u32 v16, v23, 16, 1
	v_add3_u32 v16, v23, v16, s31
                                        ; implicit-def: $vgpr23
; %bb.435:                              ;   in Loop: Header=BB341_184 Depth=1
	s_andn2_saveexec_b64 s[4:5], s[2:3]
; %bb.436:                              ;   in Loop: Header=BB341_184 Depth=1
	v_or_b32_e32 v16, 0x10000, v23
	v_cmp_eq_u32_sdwa s[2:3], v23, v17 src0_sel:WORD_0 src1_sel:DWORD
	v_cndmask_b32_e64 v16, v16, v23, s[2:3]
; %bb.437:                              ;   in Loop: Header=BB341_184 Depth=1
	s_or_b64 exec, exec, s[4:5]
	v_lshlrev_b32_e32 v5, 16, v5
	v_mul_f32_e32 v23, v27, v5
	v_and_b32_e32 v5, 0x7f800000, v23
	v_cmp_ne_u32_e64 s[2:3], s30, v5
                                        ; implicit-def: $vgpr5
	s_and_saveexec_b64 s[4:5], s[2:3]
	s_xor_b64 s[2:3], exec, s[4:5]
; %bb.438:                              ;   in Loop: Header=BB341_184 Depth=1
	v_bfe_u32 v5, v23, 16, 1
	v_add3_u32 v5, v23, v5, s31
                                        ; implicit-def: $vgpr23
; %bb.439:                              ;   in Loop: Header=BB341_184 Depth=1
	s_andn2_saveexec_b64 s[4:5], s[2:3]
; %bb.440:                              ;   in Loop: Header=BB341_184 Depth=1
	v_or_b32_e32 v5, 0x10000, v23
	v_cmp_eq_u32_sdwa s[2:3], v23, v17 src0_sel:WORD_0 src1_sel:DWORD
	v_cndmask_b32_e64 v5, v5, v23, s[2:3]
; %bb.441:                              ;   in Loop: Header=BB341_184 Depth=1
	s_or_b64 exec, exec, s[4:5]
	v_lshlrev_b32_e32 v3, 16, v3
	v_mul_f32_e32 v3, v28, v3
	v_and_b32_e32 v23, 0x7f800000, v3
	v_cmp_ne_u32_e64 s[2:3], s30, v23
                                        ; implicit-def: $vgpr23
	s_and_saveexec_b64 s[4:5], s[2:3]
	s_xor_b64 s[2:3], exec, s[4:5]
; %bb.442:                              ;   in Loop: Header=BB341_184 Depth=1
	v_bfe_u32 v23, v3, 16, 1
	v_add3_u32 v23, v3, v23, s31
                                        ; implicit-def: $vgpr3
; %bb.443:                              ;   in Loop: Header=BB341_184 Depth=1
	s_andn2_saveexec_b64 s[4:5], s[2:3]
	s_cbranch_execz .LBB341_182
; %bb.444:                              ;   in Loop: Header=BB341_184 Depth=1
	v_or_b32_e32 v23, 0x10000, v3
	v_cmp_eq_u32_sdwa s[2:3], v3, v17 src0_sel:WORD_0 src1_sel:DWORD
	v_cndmask_b32_e64 v23, v23, v3, s[2:3]
	s_branch .LBB341_182
.LBB341_445:
	s_or_b64 exec, exec, s[14:15]
.LBB341_446:
	s_or_b64 exec, exec, s[6:7]
	v_and_b32_e32 v3, 0x3c0, v0
	v_cmp_eq_u32_e32 vcc, 64, v3
	s_barrier
	s_and_saveexec_b64 s[2:3], vcc
	s_cbranch_execz .LBB341_449
; %bb.447:
	v_mov_b32_e32 v3, 0xf0
	v_lshl_add_u32 v4, v15, 2, v3
	ds_write_b32 v4, v2
	s_and_b64 exec, exec, s[0:1]
	s_cbranch_execz .LBB341_449
; %bb.448:
	v_lshl_add_u32 v3, v0, 2, v3
	ds_write_b32 v3, v13
.LBB341_449:
	s_or_b64 exec, exec, s[2:3]
	v_cmp_gt_u32_e32 vcc, 64, v0
	v_or_b32_e32 v3, 64, v0
	s_waitcnt lgkmcnt(0)
	s_barrier
	s_and_saveexec_b64 s[2:3], vcc
	s_cbranch_execz .LBB341_453
; %bb.450:
	v_mov_b32_e32 v4, 0xf0
	v_lshl_add_u32 v4, v0, 2, v4
	ds_read_b32 v0, v4
	s_movk_i32 s0, 0x70
	v_cmp_gt_u32_e64 s[0:1], s0, v3
	s_and_saveexec_b64 s[4:5], s[0:1]
	s_cbranch_execz .LBB341_452
; %bb.451:
	ds_read_b32 v4, v4 offset:256
	s_waitcnt lgkmcnt(0)
	v_add_f32_e32 v13, v13, v4
.LBB341_452:
	s_or_b64 exec, exec, s[4:5]
	s_waitcnt lgkmcnt(0)
	v_add_f32_e32 v2, v2, v0
.LBB341_453:
	s_or_b64 exec, exec, s[2:3]
	s_barrier
	s_and_saveexec_b64 s[0:1], vcc
	s_cbranch_execz .LBB341_464
; %bb.454:
	s_mov_b32 s0, 0x7f800000
	v_and_b32_e32 v0, 0x7f800000, v2
	v_cmp_ne_u32_e32 vcc, s0, v0
                                        ; implicit-def: $vgpr0
	s_and_saveexec_b64 s[0:1], vcc
	s_xor_b64 s[0:1], exec, s[0:1]
; %bb.455:
	v_bfe_u32 v0, v2, 16, 1
	s_movk_i32 s2, 0x7fff
	v_add3_u32 v0, v2, v0, s2
                                        ; implicit-def: $vgpr2
; %bb.456:
	s_andn2_saveexec_b64 s[0:1], s[0:1]
; %bb.457:
	v_mov_b32_e32 v0, 0
	v_or_b32_e32 v4, 0x10000, v2
	v_cmp_eq_u32_sdwa vcc, v2, v0 src0_sel:WORD_0 src1_sel:DWORD
	v_cndmask_b32_e32 v0, v4, v2, vcc
; %bb.458:
	s_or_b64 exec, exec, s[0:1]
	s_mul_i32 s0, s10, 0x70
	s_ashr_i32 s1, s0, 31
	s_lshl_b64 s[0:1], s[0:1], 1
	s_add_u32 s3, s26, s0
	s_mul_i32 s0, s25, s24
	s_addc_u32 s4, s27, s1
	s_ashr_i32 s1, s0, 31
	s_lshl_b64 s[0:1], s[0:1], 1
	s_add_u32 s3, s3, s0
	s_mul_i32 s0, s8, 0x70
	s_addc_u32 s4, s4, s1
	s_ashr_i32 s1, s0, 31
	s_lshl_b64 s[0:1], s[0:1], 1
	s_movk_i32 s2, 0x70
	s_add_u32 s0, s3, s0
	s_addc_u32 s1, s4, s1
	v_cmp_gt_u32_e32 vcc, s2, v3
	global_store_short_d16_hi v1, v0, s[0:1]
	s_and_b64 exec, exec, vcc
	s_cbranch_execz .LBB341_464
; %bb.459:
	v_mov_b32_e32 v2, s1
	v_add_co_u32_e32 v0, vcc, s0, v1
	v_addc_co_u32_e32 v1, vcc, 0, v2, vcc
	s_mov_b32 s0, 0x7f800000
	v_and_b32_e32 v2, 0x7f800000, v13
	v_cmp_ne_u32_e32 vcc, s0, v2
                                        ; implicit-def: $vgpr2
	s_and_saveexec_b64 s[0:1], vcc
	s_xor_b64 s[0:1], exec, s[0:1]
; %bb.460:
	v_bfe_u32 v2, v13, 16, 1
	s_movk_i32 s2, 0x7fff
	v_add3_u32 v2, v13, v2, s2
                                        ; implicit-def: $vgpr13
; %bb.461:
	s_andn2_saveexec_b64 s[0:1], s[0:1]
; %bb.462:
	v_mov_b32_e32 v2, 0
	v_or_b32_e32 v3, 0x10000, v13
	v_cmp_eq_u32_sdwa vcc, v13, v2 src0_sel:WORD_0 src1_sel:DWORD
	v_cndmask_b32_e32 v2, v3, v13, vcc
; %bb.463:
	s_or_b64 exec, exec, s[0:1]
	global_store_short_d16_hi v[0:1], v2, off offset:128
.LBB341_464:
	s_endpgm
	.section	.rodata,"a",@progbits
	.p2align	6, 0x0
	.amdhsa_kernel _ZN4vllm25paged_attention_v2_kernelI14__hip_bfloat16hLi112ELi8ELi128ELNS_18Fp8KVCacheDataTypeE1ELb0ELi512EEEvPfS3_PT_PKS4_PKT0_SA_ifPKiSC_iPKfiiiSE_SE_iiiii
		.amdhsa_group_segment_fixed_size 240
		.amdhsa_private_segment_fixed_size 0
		.amdhsa_kernarg_size 400
		.amdhsa_user_sgpr_count 6
		.amdhsa_user_sgpr_private_segment_buffer 1
		.amdhsa_user_sgpr_dispatch_ptr 0
		.amdhsa_user_sgpr_queue_ptr 0
		.amdhsa_user_sgpr_kernarg_segment_ptr 1
		.amdhsa_user_sgpr_dispatch_id 0
		.amdhsa_user_sgpr_flat_scratch_init 0
		.amdhsa_user_sgpr_kernarg_preload_length 0
		.amdhsa_user_sgpr_kernarg_preload_offset 0
		.amdhsa_user_sgpr_private_segment_size 0
		.amdhsa_uses_dynamic_stack 0
		.amdhsa_system_sgpr_private_segment_wavefront_offset 0
		.amdhsa_system_sgpr_workgroup_id_x 1
		.amdhsa_system_sgpr_workgroup_id_y 1
		.amdhsa_system_sgpr_workgroup_id_z 1
		.amdhsa_system_sgpr_workgroup_info 0
		.amdhsa_system_vgpr_workitem_id 0
		.amdhsa_next_free_vgpr 58
		.amdhsa_next_free_sgpr 55
		.amdhsa_accum_offset 60
		.amdhsa_reserve_vcc 1
		.amdhsa_reserve_flat_scratch 0
		.amdhsa_float_round_mode_32 0
		.amdhsa_float_round_mode_16_64 0
		.amdhsa_float_denorm_mode_32 3
		.amdhsa_float_denorm_mode_16_64 3
		.amdhsa_dx10_clamp 1
		.amdhsa_ieee_mode 1
		.amdhsa_fp16_overflow 0
		.amdhsa_tg_split 0
		.amdhsa_exception_fp_ieee_invalid_op 0
		.amdhsa_exception_fp_denorm_src 0
		.amdhsa_exception_fp_ieee_div_zero 0
		.amdhsa_exception_fp_ieee_overflow 0
		.amdhsa_exception_fp_ieee_underflow 0
		.amdhsa_exception_fp_ieee_inexact 0
		.amdhsa_exception_int_div_zero 0
	.end_amdhsa_kernel
	.section	.text._ZN4vllm25paged_attention_v2_kernelI14__hip_bfloat16hLi112ELi8ELi128ELNS_18Fp8KVCacheDataTypeE1ELb0ELi512EEEvPfS3_PT_PKS4_PKT0_SA_ifPKiSC_iPKfiiiSE_SE_iiiii,"axG",@progbits,_ZN4vllm25paged_attention_v2_kernelI14__hip_bfloat16hLi112ELi8ELi128ELNS_18Fp8KVCacheDataTypeE1ELb0ELi512EEEvPfS3_PT_PKS4_PKT0_SA_ifPKiSC_iPKfiiiSE_SE_iiiii,comdat
.Lfunc_end341:
	.size	_ZN4vllm25paged_attention_v2_kernelI14__hip_bfloat16hLi112ELi8ELi128ELNS_18Fp8KVCacheDataTypeE1ELb0ELi512EEEvPfS3_PT_PKS4_PKT0_SA_ifPKiSC_iPKfiiiSE_SE_iiiii, .Lfunc_end341-_ZN4vllm25paged_attention_v2_kernelI14__hip_bfloat16hLi112ELi8ELi128ELNS_18Fp8KVCacheDataTypeE1ELb0ELi512EEEvPfS3_PT_PKS4_PKT0_SA_ifPKiSC_iPKfiiiSE_SE_iiiii
                                        ; -- End function
	.section	.AMDGPU.csdata,"",@progbits
; Kernel info:
; codeLenInByte = 14212
; NumSgprs: 59
; NumVgprs: 58
; NumAgprs: 0
; TotalNumVgprs: 58
; ScratchSize: 0
; MemoryBound: 0
; FloatMode: 240
; IeeeMode: 1
; LDSByteSize: 240 bytes/workgroup (compile time only)
; SGPRBlocks: 7
; VGPRBlocks: 7
; NumSGPRsForWavesPerEU: 59
; NumVGPRsForWavesPerEU: 58
; AccumOffset: 60
; Occupancy: 8
; WaveLimiterHint : 1
; COMPUTE_PGM_RSRC2:SCRATCH_EN: 0
; COMPUTE_PGM_RSRC2:USER_SGPR: 6
; COMPUTE_PGM_RSRC2:TRAP_HANDLER: 0
; COMPUTE_PGM_RSRC2:TGID_X_EN: 1
; COMPUTE_PGM_RSRC2:TGID_Y_EN: 1
; COMPUTE_PGM_RSRC2:TGID_Z_EN: 1
; COMPUTE_PGM_RSRC2:TIDIG_COMP_CNT: 0
; COMPUTE_PGM_RSRC3_GFX90A:ACCUM_OFFSET: 14
; COMPUTE_PGM_RSRC3_GFX90A:TG_SPLIT: 0
	.section	.text._ZN4vllm25paged_attention_v2_kernelI14__hip_bfloat16hLi120ELi8ELi128ELNS_18Fp8KVCacheDataTypeE1ELb0ELi512EEEvPfS3_PT_PKS4_PKT0_SA_ifPKiSC_iPKfiiiSE_SE_iiiii,"axG",@progbits,_ZN4vllm25paged_attention_v2_kernelI14__hip_bfloat16hLi120ELi8ELi128ELNS_18Fp8KVCacheDataTypeE1ELb0ELi512EEEvPfS3_PT_PKS4_PKT0_SA_ifPKiSC_iPKfiiiSE_SE_iiiii,comdat
	.protected	_ZN4vllm25paged_attention_v2_kernelI14__hip_bfloat16hLi120ELi8ELi128ELNS_18Fp8KVCacheDataTypeE1ELb0ELi512EEEvPfS3_PT_PKS4_PKT0_SA_ifPKiSC_iPKfiiiSE_SE_iiiii ; -- Begin function _ZN4vllm25paged_attention_v2_kernelI14__hip_bfloat16hLi120ELi8ELi128ELNS_18Fp8KVCacheDataTypeE1ELb0ELi512EEEvPfS3_PT_PKS4_PKT0_SA_ifPKiSC_iPKfiiiSE_SE_iiiii
	.globl	_ZN4vllm25paged_attention_v2_kernelI14__hip_bfloat16hLi120ELi8ELi128ELNS_18Fp8KVCacheDataTypeE1ELb0ELi512EEEvPfS3_PT_PKS4_PKT0_SA_ifPKiSC_iPKfiiiSE_SE_iiiii
	.p2align	8
	.type	_ZN4vllm25paged_attention_v2_kernelI14__hip_bfloat16hLi120ELi8ELi128ELNS_18Fp8KVCacheDataTypeE1ELb0ELi512EEEvPfS3_PT_PKS4_PKT0_SA_ifPKiSC_iPKfiiiSE_SE_iiiii,@function
_ZN4vllm25paged_attention_v2_kernelI14__hip_bfloat16hLi120ELi8ELi128ELNS_18Fp8KVCacheDataTypeE1ELb0ELi512EEEvPfS3_PT_PKS4_PKT0_SA_ifPKiSC_iPKfiiiSE_SE_iiiii: ; @_ZN4vllm25paged_attention_v2_kernelI14__hip_bfloat16hLi120ELi8ELi128ELNS_18Fp8KVCacheDataTypeE1ELb0ELi512EEEvPfS3_PT_PKS4_PKT0_SA_ifPKiSC_iPKfiiiSE_SE_iiiii
; %bb.0:
	s_load_dwordx2 s[0:1], s[4:5], 0x40
	s_mov_b32 s28, s7
	s_ashr_i32 s29, s7, 31
	s_lshl_b64 s[2:3], s[28:29], 2
	s_waitcnt lgkmcnt(0)
	s_add_u32 s0, s0, s2
	s_addc_u32 s1, s1, s3
	s_load_dword s33, s[0:1], 0x0
	s_lshl_b32 s29, s8, 9
	s_waitcnt lgkmcnt(0)
	s_cmp_ge_i32 s29, s33
	s_cbranch_scc1 .LBB342_474
; %bb.1:
	s_load_dword s9, s[4:5], 0x90
	s_load_dwordx2 s[38:39], s[4:5], 0x30
	s_waitcnt lgkmcnt(0)
	s_abs_i32 s2, s9
	s_abs_i32 s0, s38
	v_cvt_f32_u32_e32 v1, s0
	s_sub_i32 s3, 0, s0
	s_xor_b32 s1, s9, s38
	s_ashr_i32 s1, s1, 31
	v_rcp_iflag_f32_e32 v1, v1
	s_mov_b32 s38, 0
	v_mul_f32_e32 v1, 0x4f7ffffe, v1
	v_cvt_u32_f32_e32 v1, v1
	v_readfirstlane_b32 s7, v1
	s_mul_i32 s3, s3, s7
	s_mul_hi_u32 s3, s7, s3
	s_add_i32 s7, s7, s3
	s_mul_hi_u32 s3, s2, s7
	s_mul_i32 s7, s3, s0
	s_sub_i32 s2, s2, s7
	s_add_i32 s10, s3, 1
	s_sub_i32 s7, s2, s0
	s_cmp_ge_u32 s2, s0
	s_cselect_b32 s3, s10, s3
	s_cselect_b32 s2, s7, s2
	s_add_i32 s7, s3, 1
	s_cmp_ge_u32 s2, s0
	s_cselect_b32 s0, s7, s3
	s_xor_b32 s0, s0, s1
	s_sub_i32 s2, s0, s1
	s_abs_i32 s10, s2
	v_cvt_f32_u32_e32 v1, s10
	s_load_dwordx2 s[0:1], s[4:5], 0x50
	s_sub_i32 s3, 0, s10
	s_abs_i32 s11, s6
	v_rcp_iflag_f32_e32 v1, v1
	v_mul_f32_e32 v1, 0x4f7ffffe, v1
	v_cvt_u32_f32_e32 v1, v1
	v_readfirstlane_b32 s7, v1
	s_mul_i32 s3, s3, s7
	s_mul_hi_u32 s3, s7, s3
	s_add_i32 s7, s7, s3
	s_waitcnt lgkmcnt(0)
	s_cmp_eq_u64 s[0:1], 0
	s_mul_hi_u32 s12, s11, s7
	s_cbranch_scc1 .LBB342_3
; %bb.2:
	s_ashr_i32 s7, s6, 31
	s_lshl_b64 s[14:15], s[6:7], 2
	s_add_u32 s0, s0, s14
	s_addc_u32 s1, s1, s15
	s_load_dword s38, s[0:1], 0x0
.LBB342_3:
	s_load_dwordx4 s[16:19], s[4:5], 0x58
	s_movk_i32 s0, 0x78
	s_ashr_i32 s13, s6, 31
	s_ashr_i32 s14, s2, 31
	v_and_b32_e32 v2, 7, v0
	s_mul_i32 s24, s6, 0x78
	v_cmp_gt_u32_e64 s[0:1], s0, v0
	v_lshlrev_b32_e32 v1, 1, v0
	s_and_saveexec_b64 s[2:3], s[0:1]
	s_cbranch_execz .LBB342_5
; %bb.4:
	s_load_dwordx2 s[20:21], s[4:5], 0x18
	s_waitcnt lgkmcnt(0)
	s_mul_i32 s22, s28, s16
	s_ashr_i32 s23, s22, 31
	s_lshl_b64 s[22:23], s[22:23], 1
	v_lshrrev_b32_e32 v4, 2, v0
	s_add_u32 s7, s20, s22
	s_addc_u32 s15, s21, s23
	s_ashr_i32 s25, s24, 31
	s_lshl_b64 s[20:21], s[24:25], 1
	s_add_u32 s20, s7, s20
	s_addc_u32 s21, s15, s21
	global_load_ushort v3, v1, s[20:21]
	v_and_b32_e32 v4, 0xfe, v4
	v_mad_u32_u24 v4, v2, 30, v4
	s_waitcnt vmcnt(0)
	ds_write_b16 v4, v3
.LBB342_5:
	s_or_b64 exec, exec, s[2:3]
	s_add_i32 s2, s33, 7
	s_ashr_i32 s3, s2, 31
	s_lshr_b32 s3, s3, 29
	s_add_i32 s2, s2, s3
	s_lshl_b32 s7, s8, 6
	s_mul_i32 s3, s12, s10
	s_ashr_i32 s47, s2, 3
	s_add_i32 s2, s7, 64
	s_sub_i32 s3, s11, s3
	s_min_i32 s46, s2, s47
	s_xor_b32 s2, s13, s14
	s_add_i32 s11, s12, 1
	s_sub_i32 s13, s3, s10
	s_cmp_ge_u32 s3, s10
	s_cselect_b32 s11, s11, s12
	s_cselect_b32 s3, s13, s3
	s_add_i32 s12, s11, 1
	s_cmp_ge_u32 s3, s10
	s_load_dwordx2 s[30:31], s[4:5], 0x38
	s_load_dword s10, s[4:5], 0x48
	v_lshrrev_b32_e32 v16, 6, v0
	s_cselect_b32 s3, s12, s11
	s_xor_b32 s3, s3, s2
	v_or_b32_e32 v10, s7, v16
	s_waitcnt lgkmcnt(0)
	s_mul_i32 s34, s28, s10
	s_sub_i32 s16, s3, s2
	s_ashr_i32 s35, s34, 31
	v_cmp_gt_i32_e64 s[2:3], s46, v10
	v_cmp_le_i32_e32 vcc, s46, v10
	v_mbcnt_lo_u32_b32 v6, -1, 0
	s_barrier
	s_waitcnt lgkmcnt(0)
                                        ; implicit-def: $sgpr19
                                        ; implicit-def: $vgpr3
                                        ; implicit-def: $vgpr13
	s_and_saveexec_b64 s[10:11], vcc
	s_xor_b64 s[10:11], exec, s[10:11]
; %bb.6:
	v_mbcnt_hi_u32_b32 v3, -1, v6
	v_and_b32_e32 v2, 64, v3
	v_add_u32_e32 v13, 64, v2
	s_mov_b32 s19, 0xff7fffff
                                        ; implicit-def: $vgpr2
                                        ; implicit-def: $vgpr6
; %bb.7:
	s_or_saveexec_b64 s[40:41], s[10:11]
	s_load_dwordx4 s[20:23], s[4:5], 0x0
	s_load_dwordx2 s[26:27], s[4:5], 0x10
	s_load_dword s25, s[4:5], 0x98
	s_load_dwordx2 s[36:37], s[4:5], 0x28
	s_load_dwordx4 s[12:15], s[4:5], 0x68
	v_mov_b32_e32 v32, s19
	s_mul_i32 s16, s16, s18
	v_ashrrev_i32_e32 v11, 31, v10
	v_lshlrev_b32_e32 v19, 3, v16
	s_xor_b64 exec, exec, s[40:41]
	s_cbranch_execz .LBB342_163
; %bb.8:
	s_load_dwordx2 s[4:5], s[4:5], 0x20
	v_bfe_u32 v7, v0, 3, 3
	s_ashr_i32 s10, s16, 31
	v_lshlrev_b32_e32 v3, 4, v7
	v_mul_u32_u24_e32 v8, 30, v2
	s_waitcnt lgkmcnt(0)
	s_add_u32 s4, s4, s16
	ds_read_b128 v[22:25], v8
	v_add_co_u32_e32 v4, vcc, s4, v3
	ds_read_b96 v[28:30], v8 offset:16
	ds_read_u16 v3, v8 offset:28
	s_addc_u32 s5, s5, s10
	v_mov_b32_e32 v5, s5
	v_addc_co_u32_e32 v5, vcc, 0, v5, vcc
	s_waitcnt lgkmcnt(0)
	v_lshlrev_b32_e32 v31, 16, v3
	v_mbcnt_hi_u32_b32 v3, -1, v6
	v_and_b32_e32 v6, 64, v3
	v_add_u32_e32 v13, 64, v6
	v_xor_b32_e32 v6, 4, v3
	v_cmp_lt_i32_e32 vcc, v6, v13
	v_cndmask_b32_e32 v6, v3, v6, vcc
	v_lshlrev_b32_e32 v33, 2, v6
	v_xor_b32_e32 v6, 2, v3
	v_cmp_lt_i32_e32 vcc, v6, v13
	v_cndmask_b32_e32 v6, v3, v6, vcc
	v_lshlrev_b32_e32 v34, 2, v6
	;; [unrolled: 4-line block ×3, first 2 shown]
	s_load_dword s49, s[12:13], 0x0
	s_sub_i32 s50, 1, s33
	v_lshlrev_b32_e32 v6, 2, v7
	s_lshl_b64 s[10:11], s[34:35], 2
	v_lshl_or_b32 v6, v16, 5, v6
	s_add_u32 s10, s30, s10
	v_add3_u32 v36, s29, v19, v7
	v_add_u32_e32 v37, 0x100, v6
	v_lshlrev_b64 v[6:7], 2, v[10:11]
	s_addc_u32 s11, s31, s11
	v_mov_b32_e32 v8, s11
	v_add_co_u32_e64 v6, s[10:11], s10, v6
	s_mov_b32 s48, s17
	v_mov_b32_e32 v14, 0
	v_lshlrev_b32_e32 v15, 16, v22
	v_and_b32_e32 v17, 0xffff0000, v22
	v_lshlrev_b32_e32 v18, 16, v23
	v_and_b32_e32 v20, 0xffff0000, v23
	;; [unrolled: 2-line block ×7, first 2 shown]
	v_cmp_eq_u32_e32 vcc, 0, v2
	v_cmp_neq_f32_e64 s[4:5], s38, 0
	v_addc_co_u32_e64 v7, s[10:11], v8, v7, s[10:11]
	s_mov_b64 s[12:13], 0
	v_mov_b32_e32 v32, 0xff7fffff
	s_movk_i32 s51, 0x80
	s_movk_i32 s52, 0x7f
	s_mov_b32 s53, 0x7f800000
	s_movk_i32 s54, 0x7fff
	v_bfrev_b32_e32 v38, 60
	v_mov_b32_e32 v39, v10
	s_branch .LBB342_10
.LBB342_9:                              ;   in Loop: Header=BB342_10 Depth=1
	s_or_b64 exec, exec, s[18:19]
	v_add_u32_e32 v39, 2, v39
	v_cmp_le_i32_e64 s[10:11], s46, v39
	s_or_b64 s[12:13], s[10:11], s[12:13]
	v_add_co_u32_e64 v6, s[10:11], 8, v6
	v_add_u32_e32 v36, 16, v36
	v_add_u32_e32 v37, 64, v37
	v_addc_co_u32_e64 v7, s[10:11], 0, v7, s[10:11]
	s_andn2_b64 exec, exec, s[12:13]
	s_cbranch_execz .LBB342_162
.LBB342_10:                             ; =>This Inner Loop Header: Depth=1
	global_load_dword v8, v[6:7], off
	v_mov_b32_e32 v41, 0
	s_waitcnt vmcnt(0) lgkmcnt(0)
	v_mad_i64_i32 v[8:9], s[10:11], v8, s48, v[4:5]
	v_add_co_u32_e64 v8, s[10:11], v8, v2
	v_addc_co_u32_e64 v9, s[10:11], 0, v9, s[10:11]
	global_load_ubyte v40, v[8:9], off
	s_waitcnt vmcnt(0)
	v_cmp_ne_u16_e64 s[10:11], 0, v40
	s_and_saveexec_b64 s[18:19], s[10:11]
	s_cbranch_execz .LBB342_16
; %bb.11:                               ;   in Loop: Header=BB342_10 Depth=1
	v_cmp_ne_u16_e64 s[10:11], s51, v40
	v_bfrev_b32_e32 v41, 1
	s_and_saveexec_b64 s[42:43], s[10:11]
	s_cbranch_execz .LBB342_15
; %bb.12:                               ;   in Loop: Header=BB342_10 Depth=1
	v_and_b32_e32 v12, 0xffff, v40
	v_and_b32_e32 v42, 0x7f, v12
	v_cmp_ne_u32_e64 s[10:11], s52, v42
	v_mov_b32_e32 v41, 0x7f800001
	s_and_saveexec_b64 s[44:45], s[10:11]
	s_cbranch_execz .LBB342_14
; %bb.13:                               ;   in Loop: Header=BB342_10 Depth=1
	v_and_b32_e32 v41, 7, v12
	v_ffbh_u32_e32 v44, v41
	v_min_u32_e32 v46, 32, v44
	v_subrev_u32_e32 v44, 28, v46
	v_lshlrev_b64 v[44:45], v44, v[12:13]
	v_lshrrev_b32_e32 v43, 3, v42
	v_sub_u32_e32 v12, 29, v46
	v_and_b32_e32 v44, 7, v44
	v_cmp_gt_u32_e64 s[10:11], 8, v42
	v_cndmask_b32_e64 v12, v43, v12, s[10:11]
	v_cndmask_b32_e64 v41, v41, v44, s[10:11]
	v_lshlrev_b32_e32 v40, 24, v40
	v_lshlrev_b32_e32 v41, 20, v41
	v_and_b32_e32 v40, 0x80000000, v40
	v_lshl_add_u32 v12, v12, 23, v38
	v_or3_b32 v41, v40, v12, v41
.LBB342_14:                             ;   in Loop: Header=BB342_10 Depth=1
	s_or_b64 exec, exec, s[44:45]
.LBB342_15:                             ;   in Loop: Header=BB342_10 Depth=1
	s_or_b64 exec, exec, s[42:43]
.LBB342_16:                             ;   in Loop: Header=BB342_10 Depth=1
	s_or_b64 exec, exec, s[18:19]
	s_waitcnt lgkmcnt(0)
	v_mul_f32_e32 v12, s49, v41
	v_and_b32_e32 v40, 0x7f800000, v12
	v_cmp_ne_u32_e64 s[10:11], s53, v40
                                        ; implicit-def: $vgpr40
	s_and_saveexec_b64 s[18:19], s[10:11]
	s_xor_b64 s[10:11], exec, s[18:19]
; %bb.17:                               ;   in Loop: Header=BB342_10 Depth=1
	v_bfe_u32 v40, v12, 16, 1
	v_add3_u32 v40, v12, v40, s54
                                        ; implicit-def: $vgpr12
; %bb.18:                               ;   in Loop: Header=BB342_10 Depth=1
	s_andn2_saveexec_b64 s[18:19], s[10:11]
; %bb.19:                               ;   in Loop: Header=BB342_10 Depth=1
	v_or_b32_e32 v40, 0x10000, v12
	v_cmp_eq_u32_sdwa s[10:11], v12, v14 src0_sel:WORD_0 src1_sel:DWORD
	v_cndmask_b32_e64 v40, v40, v12, s[10:11]
; %bb.20:                               ;   in Loop: Header=BB342_10 Depth=1
	s_or_b64 exec, exec, s[18:19]
	global_load_ubyte v41, v[8:9], off offset:8
	v_mov_b32_e32 v42, 0
	s_waitcnt vmcnt(0)
	v_cmp_ne_u16_e64 s[10:11], 0, v41
	s_and_saveexec_b64 s[18:19], s[10:11]
	s_cbranch_execz .LBB342_26
; %bb.21:                               ;   in Loop: Header=BB342_10 Depth=1
	v_cmp_ne_u16_e64 s[10:11], s51, v41
	v_bfrev_b32_e32 v42, 1
	s_and_saveexec_b64 s[42:43], s[10:11]
	s_cbranch_execz .LBB342_25
; %bb.22:                               ;   in Loop: Header=BB342_10 Depth=1
	v_and_b32_e32 v12, 0xffff, v41
	v_and_b32_e32 v43, 0x7f, v12
	v_cmp_ne_u32_e64 s[10:11], s52, v43
	v_mov_b32_e32 v42, 0x7f800001
	s_and_saveexec_b64 s[44:45], s[10:11]
	s_cbranch_execz .LBB342_24
; %bb.23:                               ;   in Loop: Header=BB342_10 Depth=1
	v_and_b32_e32 v42, 7, v12
	v_ffbh_u32_e32 v44, v42
	v_min_u32_e32 v47, 32, v44
	v_subrev_u32_e32 v44, 28, v47
	v_lshlrev_b64 v[44:45], v44, v[12:13]
	v_lshrrev_b32_e32 v46, 3, v43
	v_sub_u32_e32 v12, 29, v47
	v_and_b32_e32 v44, 7, v44
	v_cmp_gt_u32_e64 s[10:11], 8, v43
	v_cndmask_b32_e64 v12, v46, v12, s[10:11]
	v_cndmask_b32_e64 v42, v42, v44, s[10:11]
	v_lshlrev_b32_e32 v41, 24, v41
	v_lshlrev_b32_e32 v42, 20, v42
	v_and_b32_e32 v41, 0x80000000, v41
	v_lshl_add_u32 v12, v12, 23, v38
	v_or3_b32 v42, v41, v12, v42
.LBB342_24:                             ;   in Loop: Header=BB342_10 Depth=1
	s_or_b64 exec, exec, s[44:45]
.LBB342_25:                             ;   in Loop: Header=BB342_10 Depth=1
	s_or_b64 exec, exec, s[42:43]
.LBB342_26:                             ;   in Loop: Header=BB342_10 Depth=1
	s_or_b64 exec, exec, s[18:19]
	v_mul_f32_e32 v12, s49, v42
	v_and_b32_e32 v41, 0x7f800000, v12
	v_cmp_ne_u32_e64 s[10:11], s53, v41
                                        ; implicit-def: $vgpr41
	s_and_saveexec_b64 s[18:19], s[10:11]
	s_xor_b64 s[10:11], exec, s[18:19]
; %bb.27:                               ;   in Loop: Header=BB342_10 Depth=1
	v_bfe_u32 v41, v12, 16, 1
	v_add3_u32 v41, v12, v41, s54
                                        ; implicit-def: $vgpr12
; %bb.28:                               ;   in Loop: Header=BB342_10 Depth=1
	s_andn2_saveexec_b64 s[18:19], s[10:11]
; %bb.29:                               ;   in Loop: Header=BB342_10 Depth=1
	v_or_b32_e32 v41, 0x10000, v12
	v_cmp_eq_u32_sdwa s[10:11], v12, v14 src0_sel:WORD_0 src1_sel:DWORD
	v_cndmask_b32_e64 v41, v41, v12, s[10:11]
; %bb.30:                               ;   in Loop: Header=BB342_10 Depth=1
	s_or_b64 exec, exec, s[18:19]
	global_load_ubyte v42, v[8:9], off offset:128
	v_mov_b32_e32 v43, 0
	s_waitcnt vmcnt(0)
	v_cmp_ne_u16_e64 s[10:11], 0, v42
	s_and_saveexec_b64 s[18:19], s[10:11]
	s_cbranch_execz .LBB342_36
; %bb.31:                               ;   in Loop: Header=BB342_10 Depth=1
	v_cmp_ne_u16_e64 s[10:11], s51, v42
	v_bfrev_b32_e32 v43, 1
	s_and_saveexec_b64 s[42:43], s[10:11]
	s_cbranch_execz .LBB342_35
; %bb.32:                               ;   in Loop: Header=BB342_10 Depth=1
	v_and_b32_e32 v12, 0xffff, v42
	v_and_b32_e32 v44, 0x7f, v12
	v_cmp_ne_u32_e64 s[10:11], s52, v44
	v_mov_b32_e32 v43, 0x7f800001
	s_and_saveexec_b64 s[44:45], s[10:11]
	s_cbranch_execz .LBB342_34
; %bb.33:                               ;   in Loop: Header=BB342_10 Depth=1
	v_and_b32_e32 v43, 7, v12
	v_ffbh_u32_e32 v46, v43
	v_min_u32_e32 v48, 32, v46
	v_subrev_u32_e32 v46, 28, v48
	v_lshlrev_b64 v[46:47], v46, v[12:13]
	v_lshrrev_b32_e32 v45, 3, v44
	v_sub_u32_e32 v12, 29, v48
	v_and_b32_e32 v46, 7, v46
	v_cmp_gt_u32_e64 s[10:11], 8, v44
	v_cndmask_b32_e64 v12, v45, v12, s[10:11]
	v_cndmask_b32_e64 v43, v43, v46, s[10:11]
	v_lshlrev_b32_e32 v42, 24, v42
	v_lshlrev_b32_e32 v43, 20, v43
	v_and_b32_e32 v42, 0x80000000, v42
	v_lshl_add_u32 v12, v12, 23, v38
	v_or3_b32 v43, v42, v12, v43
.LBB342_34:                             ;   in Loop: Header=BB342_10 Depth=1
	s_or_b64 exec, exec, s[44:45]
.LBB342_35:                             ;   in Loop: Header=BB342_10 Depth=1
	s_or_b64 exec, exec, s[42:43]
.LBB342_36:                             ;   in Loop: Header=BB342_10 Depth=1
	s_or_b64 exec, exec, s[18:19]
	v_mul_f32_e32 v12, s49, v43
	v_and_b32_e32 v42, 0x7f800000, v12
	v_cmp_ne_u32_e64 s[10:11], s53, v42
                                        ; implicit-def: $vgpr42
	s_and_saveexec_b64 s[18:19], s[10:11]
	s_xor_b64 s[10:11], exec, s[18:19]
; %bb.37:                               ;   in Loop: Header=BB342_10 Depth=1
	v_bfe_u32 v42, v12, 16, 1
	v_add3_u32 v42, v12, v42, s54
                                        ; implicit-def: $vgpr12
; %bb.38:                               ;   in Loop: Header=BB342_10 Depth=1
	s_andn2_saveexec_b64 s[18:19], s[10:11]
; %bb.39:                               ;   in Loop: Header=BB342_10 Depth=1
	v_or_b32_e32 v42, 0x10000, v12
	v_cmp_eq_u32_sdwa s[10:11], v12, v14 src0_sel:WORD_0 src1_sel:DWORD
	v_cndmask_b32_e64 v42, v42, v12, s[10:11]
; %bb.40:                               ;   in Loop: Header=BB342_10 Depth=1
	s_or_b64 exec, exec, s[18:19]
	global_load_ubyte v43, v[8:9], off offset:136
	v_mov_b32_e32 v44, 0
	s_waitcnt vmcnt(0)
	v_cmp_ne_u16_e64 s[10:11], 0, v43
	s_and_saveexec_b64 s[18:19], s[10:11]
	s_cbranch_execz .LBB342_46
; %bb.41:                               ;   in Loop: Header=BB342_10 Depth=1
	v_cmp_ne_u16_e64 s[10:11], s51, v43
	v_bfrev_b32_e32 v44, 1
	s_and_saveexec_b64 s[42:43], s[10:11]
	s_cbranch_execz .LBB342_45
; %bb.42:                               ;   in Loop: Header=BB342_10 Depth=1
	v_and_b32_e32 v12, 0xffff, v43
	v_and_b32_e32 v45, 0x7f, v12
	v_cmp_ne_u32_e64 s[10:11], s52, v45
	v_mov_b32_e32 v44, 0x7f800001
	s_and_saveexec_b64 s[44:45], s[10:11]
	s_cbranch_execz .LBB342_44
; %bb.43:                               ;   in Loop: Header=BB342_10 Depth=1
	v_and_b32_e32 v44, 7, v12
	v_ffbh_u32_e32 v46, v44
	v_min_u32_e32 v49, 32, v46
	v_subrev_u32_e32 v46, 28, v49
	v_lshlrev_b64 v[46:47], v46, v[12:13]
	v_lshrrev_b32_e32 v48, 3, v45
	v_sub_u32_e32 v12, 29, v49
	v_and_b32_e32 v46, 7, v46
	v_cmp_gt_u32_e64 s[10:11], 8, v45
	v_cndmask_b32_e64 v12, v48, v12, s[10:11]
	v_cndmask_b32_e64 v44, v44, v46, s[10:11]
	v_lshlrev_b32_e32 v43, 24, v43
	v_lshlrev_b32_e32 v44, 20, v44
	v_and_b32_e32 v43, 0x80000000, v43
	v_lshl_add_u32 v12, v12, 23, v38
	v_or3_b32 v44, v43, v12, v44
.LBB342_44:                             ;   in Loop: Header=BB342_10 Depth=1
	s_or_b64 exec, exec, s[44:45]
.LBB342_45:                             ;   in Loop: Header=BB342_10 Depth=1
	s_or_b64 exec, exec, s[42:43]
.LBB342_46:                             ;   in Loop: Header=BB342_10 Depth=1
	s_or_b64 exec, exec, s[18:19]
	v_mul_f32_e32 v12, s49, v44
	v_and_b32_e32 v43, 0x7f800000, v12
	v_cmp_ne_u32_e64 s[10:11], s53, v43
                                        ; implicit-def: $vgpr43
	s_and_saveexec_b64 s[18:19], s[10:11]
	s_xor_b64 s[10:11], exec, s[18:19]
; %bb.47:                               ;   in Loop: Header=BB342_10 Depth=1
	v_bfe_u32 v43, v12, 16, 1
	v_add3_u32 v43, v12, v43, s54
                                        ; implicit-def: $vgpr12
; %bb.48:                               ;   in Loop: Header=BB342_10 Depth=1
	s_andn2_saveexec_b64 s[18:19], s[10:11]
; %bb.49:                               ;   in Loop: Header=BB342_10 Depth=1
	v_or_b32_e32 v43, 0x10000, v12
	v_cmp_eq_u32_sdwa s[10:11], v12, v14 src0_sel:WORD_0 src1_sel:DWORD
	v_cndmask_b32_e64 v43, v43, v12, s[10:11]
; %bb.50:                               ;   in Loop: Header=BB342_10 Depth=1
	s_or_b64 exec, exec, s[18:19]
	global_load_ubyte v44, v[8:9], off offset:256
	v_mov_b32_e32 v45, 0
	s_waitcnt vmcnt(0)
	v_cmp_ne_u16_e64 s[10:11], 0, v44
	s_and_saveexec_b64 s[18:19], s[10:11]
	s_cbranch_execz .LBB342_56
; %bb.51:                               ;   in Loop: Header=BB342_10 Depth=1
	v_cmp_ne_u16_e64 s[10:11], s51, v44
	v_bfrev_b32_e32 v45, 1
	s_and_saveexec_b64 s[42:43], s[10:11]
	s_cbranch_execz .LBB342_55
; %bb.52:                               ;   in Loop: Header=BB342_10 Depth=1
	v_and_b32_e32 v12, 0xffff, v44
	v_and_b32_e32 v46, 0x7f, v12
	v_cmp_ne_u32_e64 s[10:11], s52, v46
	v_mov_b32_e32 v45, 0x7f800001
	s_and_saveexec_b64 s[44:45], s[10:11]
	s_cbranch_execz .LBB342_54
; %bb.53:                               ;   in Loop: Header=BB342_10 Depth=1
	v_and_b32_e32 v45, 7, v12
	v_ffbh_u32_e32 v48, v45
	v_min_u32_e32 v50, 32, v48
	v_subrev_u32_e32 v48, 28, v50
	v_lshlrev_b64 v[48:49], v48, v[12:13]
	v_lshrrev_b32_e32 v47, 3, v46
	v_sub_u32_e32 v12, 29, v50
	v_and_b32_e32 v48, 7, v48
	v_cmp_gt_u32_e64 s[10:11], 8, v46
	v_cndmask_b32_e64 v12, v47, v12, s[10:11]
	v_cndmask_b32_e64 v45, v45, v48, s[10:11]
	v_lshlrev_b32_e32 v44, 24, v44
	v_lshlrev_b32_e32 v45, 20, v45
	v_and_b32_e32 v44, 0x80000000, v44
	v_lshl_add_u32 v12, v12, 23, v38
	v_or3_b32 v45, v44, v12, v45
.LBB342_54:                             ;   in Loop: Header=BB342_10 Depth=1
	s_or_b64 exec, exec, s[44:45]
.LBB342_55:                             ;   in Loop: Header=BB342_10 Depth=1
	s_or_b64 exec, exec, s[42:43]
.LBB342_56:                             ;   in Loop: Header=BB342_10 Depth=1
	s_or_b64 exec, exec, s[18:19]
	v_mul_f32_e32 v12, s49, v45
	v_and_b32_e32 v44, 0x7f800000, v12
	v_cmp_ne_u32_e64 s[10:11], s53, v44
                                        ; implicit-def: $vgpr44
	s_and_saveexec_b64 s[18:19], s[10:11]
	s_xor_b64 s[10:11], exec, s[18:19]
; %bb.57:                               ;   in Loop: Header=BB342_10 Depth=1
	v_bfe_u32 v44, v12, 16, 1
	v_add3_u32 v44, v12, v44, s54
                                        ; implicit-def: $vgpr12
; %bb.58:                               ;   in Loop: Header=BB342_10 Depth=1
	s_andn2_saveexec_b64 s[18:19], s[10:11]
; %bb.59:                               ;   in Loop: Header=BB342_10 Depth=1
	v_or_b32_e32 v44, 0x10000, v12
	v_cmp_eq_u32_sdwa s[10:11], v12, v14 src0_sel:WORD_0 src1_sel:DWORD
	v_cndmask_b32_e64 v44, v44, v12, s[10:11]
; %bb.60:                               ;   in Loop: Header=BB342_10 Depth=1
	s_or_b64 exec, exec, s[18:19]
	global_load_ubyte v45, v[8:9], off offset:264
	v_mov_b32_e32 v46, 0
	s_waitcnt vmcnt(0)
	v_cmp_ne_u16_e64 s[10:11], 0, v45
	s_and_saveexec_b64 s[18:19], s[10:11]
	s_cbranch_execz .LBB342_66
; %bb.61:                               ;   in Loop: Header=BB342_10 Depth=1
	v_cmp_ne_u16_e64 s[10:11], s51, v45
	v_bfrev_b32_e32 v46, 1
	s_and_saveexec_b64 s[42:43], s[10:11]
	s_cbranch_execz .LBB342_65
; %bb.62:                               ;   in Loop: Header=BB342_10 Depth=1
	v_and_b32_e32 v12, 0xffff, v45
	v_and_b32_e32 v47, 0x7f, v12
	v_cmp_ne_u32_e64 s[10:11], s52, v47
	v_mov_b32_e32 v46, 0x7f800001
	s_and_saveexec_b64 s[44:45], s[10:11]
	s_cbranch_execz .LBB342_64
; %bb.63:                               ;   in Loop: Header=BB342_10 Depth=1
	v_and_b32_e32 v46, 7, v12
	v_ffbh_u32_e32 v48, v46
	v_min_u32_e32 v51, 32, v48
	v_subrev_u32_e32 v48, 28, v51
	v_lshlrev_b64 v[48:49], v48, v[12:13]
	v_lshrrev_b32_e32 v50, 3, v47
	v_sub_u32_e32 v12, 29, v51
	v_and_b32_e32 v48, 7, v48
	v_cmp_gt_u32_e64 s[10:11], 8, v47
	v_cndmask_b32_e64 v12, v50, v12, s[10:11]
	v_cndmask_b32_e64 v46, v46, v48, s[10:11]
	v_lshlrev_b32_e32 v45, 24, v45
	v_lshlrev_b32_e32 v46, 20, v46
	v_and_b32_e32 v45, 0x80000000, v45
	v_lshl_add_u32 v12, v12, 23, v38
	v_or3_b32 v46, v45, v12, v46
.LBB342_64:                             ;   in Loop: Header=BB342_10 Depth=1
	s_or_b64 exec, exec, s[44:45]
.LBB342_65:                             ;   in Loop: Header=BB342_10 Depth=1
	s_or_b64 exec, exec, s[42:43]
.LBB342_66:                             ;   in Loop: Header=BB342_10 Depth=1
	s_or_b64 exec, exec, s[18:19]
	v_mul_f32_e32 v12, s49, v46
	v_and_b32_e32 v45, 0x7f800000, v12
	v_cmp_ne_u32_e64 s[10:11], s53, v45
                                        ; implicit-def: $vgpr45
	s_and_saveexec_b64 s[18:19], s[10:11]
	s_xor_b64 s[10:11], exec, s[18:19]
; %bb.67:                               ;   in Loop: Header=BB342_10 Depth=1
	v_bfe_u32 v45, v12, 16, 1
	v_add3_u32 v45, v12, v45, s54
                                        ; implicit-def: $vgpr12
; %bb.68:                               ;   in Loop: Header=BB342_10 Depth=1
	s_andn2_saveexec_b64 s[18:19], s[10:11]
; %bb.69:                               ;   in Loop: Header=BB342_10 Depth=1
	v_or_b32_e32 v45, 0x10000, v12
	v_cmp_eq_u32_sdwa s[10:11], v12, v14 src0_sel:WORD_0 src1_sel:DWORD
	v_cndmask_b32_e64 v45, v45, v12, s[10:11]
; %bb.70:                               ;   in Loop: Header=BB342_10 Depth=1
	s_or_b64 exec, exec, s[18:19]
	global_load_ubyte v46, v[8:9], off offset:384
	v_mov_b32_e32 v47, 0
	s_waitcnt vmcnt(0)
	v_cmp_ne_u16_e64 s[10:11], 0, v46
	s_and_saveexec_b64 s[18:19], s[10:11]
	s_cbranch_execz .LBB342_76
; %bb.71:                               ;   in Loop: Header=BB342_10 Depth=1
	v_cmp_ne_u16_e64 s[10:11], s51, v46
	v_bfrev_b32_e32 v47, 1
	s_and_saveexec_b64 s[42:43], s[10:11]
	s_cbranch_execz .LBB342_75
; %bb.72:                               ;   in Loop: Header=BB342_10 Depth=1
	v_and_b32_e32 v12, 0xffff, v46
	v_and_b32_e32 v48, 0x7f, v12
	v_cmp_ne_u32_e64 s[10:11], s52, v48
	v_mov_b32_e32 v47, 0x7f800001
	s_and_saveexec_b64 s[44:45], s[10:11]
	s_cbranch_execz .LBB342_74
; %bb.73:                               ;   in Loop: Header=BB342_10 Depth=1
	v_and_b32_e32 v47, 7, v12
	v_ffbh_u32_e32 v50, v47
	v_min_u32_e32 v52, 32, v50
	v_subrev_u32_e32 v50, 28, v52
	v_lshlrev_b64 v[50:51], v50, v[12:13]
	v_lshrrev_b32_e32 v49, 3, v48
	v_sub_u32_e32 v12, 29, v52
	v_and_b32_e32 v50, 7, v50
	v_cmp_gt_u32_e64 s[10:11], 8, v48
	v_cndmask_b32_e64 v12, v49, v12, s[10:11]
	v_cndmask_b32_e64 v47, v47, v50, s[10:11]
	v_lshlrev_b32_e32 v46, 24, v46
	v_lshlrev_b32_e32 v47, 20, v47
	v_and_b32_e32 v46, 0x80000000, v46
	v_lshl_add_u32 v12, v12, 23, v38
	v_or3_b32 v47, v46, v12, v47
.LBB342_74:                             ;   in Loop: Header=BB342_10 Depth=1
	s_or_b64 exec, exec, s[44:45]
.LBB342_75:                             ;   in Loop: Header=BB342_10 Depth=1
	s_or_b64 exec, exec, s[42:43]
.LBB342_76:                             ;   in Loop: Header=BB342_10 Depth=1
	s_or_b64 exec, exec, s[18:19]
	v_mul_f32_e32 v12, s49, v47
	v_and_b32_e32 v46, 0x7f800000, v12
	v_cmp_ne_u32_e64 s[10:11], s53, v46
                                        ; implicit-def: $vgpr46
	s_and_saveexec_b64 s[18:19], s[10:11]
	s_xor_b64 s[10:11], exec, s[18:19]
; %bb.77:                               ;   in Loop: Header=BB342_10 Depth=1
	v_bfe_u32 v46, v12, 16, 1
	v_add3_u32 v46, v12, v46, s54
                                        ; implicit-def: $vgpr12
; %bb.78:                               ;   in Loop: Header=BB342_10 Depth=1
	s_andn2_saveexec_b64 s[18:19], s[10:11]
; %bb.79:                               ;   in Loop: Header=BB342_10 Depth=1
	v_or_b32_e32 v46, 0x10000, v12
	v_cmp_eq_u32_sdwa s[10:11], v12, v14 src0_sel:WORD_0 src1_sel:DWORD
	v_cndmask_b32_e64 v46, v46, v12, s[10:11]
; %bb.80:                               ;   in Loop: Header=BB342_10 Depth=1
	s_or_b64 exec, exec, s[18:19]
	global_load_ubyte v47, v[8:9], off offset:392
	v_mov_b32_e32 v48, 0
	s_waitcnt vmcnt(0)
	v_cmp_ne_u16_e64 s[10:11], 0, v47
	s_and_saveexec_b64 s[18:19], s[10:11]
	s_cbranch_execz .LBB342_86
; %bb.81:                               ;   in Loop: Header=BB342_10 Depth=1
	v_cmp_ne_u16_e64 s[10:11], s51, v47
	v_bfrev_b32_e32 v48, 1
	s_and_saveexec_b64 s[42:43], s[10:11]
	s_cbranch_execz .LBB342_85
; %bb.82:                               ;   in Loop: Header=BB342_10 Depth=1
	v_and_b32_e32 v12, 0xffff, v47
	v_and_b32_e32 v49, 0x7f, v12
	v_cmp_ne_u32_e64 s[10:11], s52, v49
	v_mov_b32_e32 v48, 0x7f800001
	s_and_saveexec_b64 s[44:45], s[10:11]
	s_cbranch_execz .LBB342_84
; %bb.83:                               ;   in Loop: Header=BB342_10 Depth=1
	v_and_b32_e32 v48, 7, v12
	v_ffbh_u32_e32 v50, v48
	v_min_u32_e32 v53, 32, v50
	v_subrev_u32_e32 v50, 28, v53
	v_lshlrev_b64 v[50:51], v50, v[12:13]
	v_lshrrev_b32_e32 v52, 3, v49
	v_sub_u32_e32 v12, 29, v53
	v_and_b32_e32 v50, 7, v50
	v_cmp_gt_u32_e64 s[10:11], 8, v49
	v_cndmask_b32_e64 v12, v52, v12, s[10:11]
	v_cndmask_b32_e64 v48, v48, v50, s[10:11]
	v_lshlrev_b32_e32 v47, 24, v47
	v_lshlrev_b32_e32 v48, 20, v48
	v_and_b32_e32 v47, 0x80000000, v47
	v_lshl_add_u32 v12, v12, 23, v38
	v_or3_b32 v48, v47, v12, v48
.LBB342_84:                             ;   in Loop: Header=BB342_10 Depth=1
	s_or_b64 exec, exec, s[44:45]
.LBB342_85:                             ;   in Loop: Header=BB342_10 Depth=1
	s_or_b64 exec, exec, s[42:43]
.LBB342_86:                             ;   in Loop: Header=BB342_10 Depth=1
	s_or_b64 exec, exec, s[18:19]
	v_mul_f32_e32 v12, s49, v48
	v_and_b32_e32 v47, 0x7f800000, v12
	v_cmp_ne_u32_e64 s[10:11], s53, v47
                                        ; implicit-def: $vgpr47
	s_and_saveexec_b64 s[18:19], s[10:11]
	s_xor_b64 s[10:11], exec, s[18:19]
; %bb.87:                               ;   in Loop: Header=BB342_10 Depth=1
	v_bfe_u32 v47, v12, 16, 1
	v_add3_u32 v47, v12, v47, s54
                                        ; implicit-def: $vgpr12
; %bb.88:                               ;   in Loop: Header=BB342_10 Depth=1
	s_andn2_saveexec_b64 s[18:19], s[10:11]
; %bb.89:                               ;   in Loop: Header=BB342_10 Depth=1
	v_or_b32_e32 v47, 0x10000, v12
	v_cmp_eq_u32_sdwa s[10:11], v12, v14 src0_sel:WORD_0 src1_sel:DWORD
	v_cndmask_b32_e64 v47, v47, v12, s[10:11]
; %bb.90:                               ;   in Loop: Header=BB342_10 Depth=1
	s_or_b64 exec, exec, s[18:19]
	global_load_ubyte v48, v[8:9], off offset:512
	v_mov_b32_e32 v49, 0
	s_waitcnt vmcnt(0)
	v_cmp_ne_u16_e64 s[10:11], 0, v48
	s_and_saveexec_b64 s[18:19], s[10:11]
	s_cbranch_execz .LBB342_96
; %bb.91:                               ;   in Loop: Header=BB342_10 Depth=1
	v_cmp_ne_u16_e64 s[10:11], s51, v48
	v_bfrev_b32_e32 v49, 1
	s_and_saveexec_b64 s[42:43], s[10:11]
	s_cbranch_execz .LBB342_95
; %bb.92:                               ;   in Loop: Header=BB342_10 Depth=1
	v_and_b32_e32 v12, 0xffff, v48
	v_and_b32_e32 v50, 0x7f, v12
	v_cmp_ne_u32_e64 s[10:11], s52, v50
	v_mov_b32_e32 v49, 0x7f800001
	s_and_saveexec_b64 s[44:45], s[10:11]
	s_cbranch_execz .LBB342_94
; %bb.93:                               ;   in Loop: Header=BB342_10 Depth=1
	v_and_b32_e32 v49, 7, v12
	v_ffbh_u32_e32 v52, v49
	v_min_u32_e32 v54, 32, v52
	v_subrev_u32_e32 v52, 28, v54
	v_lshlrev_b64 v[52:53], v52, v[12:13]
	v_lshrrev_b32_e32 v51, 3, v50
	v_sub_u32_e32 v12, 29, v54
	v_and_b32_e32 v52, 7, v52
	v_cmp_gt_u32_e64 s[10:11], 8, v50
	v_cndmask_b32_e64 v12, v51, v12, s[10:11]
	v_cndmask_b32_e64 v49, v49, v52, s[10:11]
	v_lshlrev_b32_e32 v48, 24, v48
	v_lshlrev_b32_e32 v49, 20, v49
	v_and_b32_e32 v48, 0x80000000, v48
	v_lshl_add_u32 v12, v12, 23, v38
	v_or3_b32 v49, v48, v12, v49
.LBB342_94:                             ;   in Loop: Header=BB342_10 Depth=1
	s_or_b64 exec, exec, s[44:45]
.LBB342_95:                             ;   in Loop: Header=BB342_10 Depth=1
	s_or_b64 exec, exec, s[42:43]
.LBB342_96:                             ;   in Loop: Header=BB342_10 Depth=1
	s_or_b64 exec, exec, s[18:19]
	v_mul_f32_e32 v12, s49, v49
	v_and_b32_e32 v48, 0x7f800000, v12
	v_cmp_ne_u32_e64 s[10:11], s53, v48
                                        ; implicit-def: $vgpr48
	s_and_saveexec_b64 s[18:19], s[10:11]
	s_xor_b64 s[10:11], exec, s[18:19]
; %bb.97:                               ;   in Loop: Header=BB342_10 Depth=1
	v_bfe_u32 v48, v12, 16, 1
	v_add3_u32 v48, v12, v48, s54
                                        ; implicit-def: $vgpr12
; %bb.98:                               ;   in Loop: Header=BB342_10 Depth=1
	s_andn2_saveexec_b64 s[18:19], s[10:11]
; %bb.99:                               ;   in Loop: Header=BB342_10 Depth=1
	v_or_b32_e32 v48, 0x10000, v12
	v_cmp_eq_u32_sdwa s[10:11], v12, v14 src0_sel:WORD_0 src1_sel:DWORD
	v_cndmask_b32_e64 v48, v48, v12, s[10:11]
; %bb.100:                              ;   in Loop: Header=BB342_10 Depth=1
	s_or_b64 exec, exec, s[18:19]
	global_load_ubyte v49, v[8:9], off offset:520
	v_mov_b32_e32 v50, 0
	s_waitcnt vmcnt(0)
	v_cmp_ne_u16_e64 s[10:11], 0, v49
	s_and_saveexec_b64 s[18:19], s[10:11]
	s_cbranch_execz .LBB342_106
; %bb.101:                              ;   in Loop: Header=BB342_10 Depth=1
	v_cmp_ne_u16_e64 s[10:11], s51, v49
	v_bfrev_b32_e32 v50, 1
	s_and_saveexec_b64 s[42:43], s[10:11]
	s_cbranch_execz .LBB342_105
; %bb.102:                              ;   in Loop: Header=BB342_10 Depth=1
	v_and_b32_e32 v12, 0xffff, v49
	v_and_b32_e32 v51, 0x7f, v12
	v_cmp_ne_u32_e64 s[10:11], s52, v51
	v_mov_b32_e32 v50, 0x7f800001
	s_and_saveexec_b64 s[44:45], s[10:11]
	s_cbranch_execz .LBB342_104
; %bb.103:                              ;   in Loop: Header=BB342_10 Depth=1
	v_and_b32_e32 v50, 7, v12
	v_ffbh_u32_e32 v52, v50
	v_min_u32_e32 v55, 32, v52
	v_subrev_u32_e32 v52, 28, v55
	v_lshlrev_b64 v[52:53], v52, v[12:13]
	v_lshrrev_b32_e32 v54, 3, v51
	v_sub_u32_e32 v12, 29, v55
	v_and_b32_e32 v52, 7, v52
	v_cmp_gt_u32_e64 s[10:11], 8, v51
	v_cndmask_b32_e64 v12, v54, v12, s[10:11]
	v_cndmask_b32_e64 v50, v50, v52, s[10:11]
	v_lshlrev_b32_e32 v49, 24, v49
	v_lshlrev_b32_e32 v50, 20, v50
	v_and_b32_e32 v49, 0x80000000, v49
	v_lshl_add_u32 v12, v12, 23, v38
	v_or3_b32 v50, v49, v12, v50
.LBB342_104:                            ;   in Loop: Header=BB342_10 Depth=1
	s_or_b64 exec, exec, s[44:45]
.LBB342_105:                            ;   in Loop: Header=BB342_10 Depth=1
	s_or_b64 exec, exec, s[42:43]
.LBB342_106:                            ;   in Loop: Header=BB342_10 Depth=1
	s_or_b64 exec, exec, s[18:19]
	v_mul_f32_e32 v12, s49, v50
	v_and_b32_e32 v49, 0x7f800000, v12
	v_cmp_ne_u32_e64 s[10:11], s53, v49
                                        ; implicit-def: $vgpr49
	s_and_saveexec_b64 s[18:19], s[10:11]
	s_xor_b64 s[10:11], exec, s[18:19]
; %bb.107:                              ;   in Loop: Header=BB342_10 Depth=1
	v_bfe_u32 v49, v12, 16, 1
	v_add3_u32 v49, v12, v49, s54
                                        ; implicit-def: $vgpr12
; %bb.108:                              ;   in Loop: Header=BB342_10 Depth=1
	s_andn2_saveexec_b64 s[18:19], s[10:11]
; %bb.109:                              ;   in Loop: Header=BB342_10 Depth=1
	v_or_b32_e32 v49, 0x10000, v12
	v_cmp_eq_u32_sdwa s[10:11], v12, v14 src0_sel:WORD_0 src1_sel:DWORD
	v_cndmask_b32_e64 v49, v49, v12, s[10:11]
; %bb.110:                              ;   in Loop: Header=BB342_10 Depth=1
	s_or_b64 exec, exec, s[18:19]
	global_load_ubyte v50, v[8:9], off offset:640
	v_mov_b32_e32 v51, 0
	s_waitcnt vmcnt(0)
	v_cmp_ne_u16_e64 s[10:11], 0, v50
	s_and_saveexec_b64 s[18:19], s[10:11]
	s_cbranch_execz .LBB342_116
; %bb.111:                              ;   in Loop: Header=BB342_10 Depth=1
	v_cmp_ne_u16_e64 s[10:11], s51, v50
	v_bfrev_b32_e32 v51, 1
	s_and_saveexec_b64 s[42:43], s[10:11]
	s_cbranch_execz .LBB342_115
; %bb.112:                              ;   in Loop: Header=BB342_10 Depth=1
	v_and_b32_e32 v12, 0xffff, v50
	v_and_b32_e32 v52, 0x7f, v12
	v_cmp_ne_u32_e64 s[10:11], s52, v52
	v_mov_b32_e32 v51, 0x7f800001
	s_and_saveexec_b64 s[44:45], s[10:11]
	s_cbranch_execz .LBB342_114
; %bb.113:                              ;   in Loop: Header=BB342_10 Depth=1
	v_and_b32_e32 v51, 7, v12
	v_ffbh_u32_e32 v54, v51
	v_min_u32_e32 v56, 32, v54
	v_subrev_u32_e32 v54, 28, v56
	v_lshlrev_b64 v[54:55], v54, v[12:13]
	v_lshrrev_b32_e32 v53, 3, v52
	v_sub_u32_e32 v12, 29, v56
	v_and_b32_e32 v54, 7, v54
	v_cmp_gt_u32_e64 s[10:11], 8, v52
	v_cndmask_b32_e64 v12, v53, v12, s[10:11]
	v_cndmask_b32_e64 v51, v51, v54, s[10:11]
	v_lshlrev_b32_e32 v50, 24, v50
	v_lshlrev_b32_e32 v51, 20, v51
	v_and_b32_e32 v50, 0x80000000, v50
	v_lshl_add_u32 v12, v12, 23, v38
	v_or3_b32 v51, v50, v12, v51
.LBB342_114:                            ;   in Loop: Header=BB342_10 Depth=1
	s_or_b64 exec, exec, s[44:45]
.LBB342_115:                            ;   in Loop: Header=BB342_10 Depth=1
	s_or_b64 exec, exec, s[42:43]
.LBB342_116:                            ;   in Loop: Header=BB342_10 Depth=1
	s_or_b64 exec, exec, s[18:19]
	v_mul_f32_e32 v12, s49, v51
	v_and_b32_e32 v50, 0x7f800000, v12
	v_cmp_ne_u32_e64 s[10:11], s53, v50
                                        ; implicit-def: $vgpr50
	s_and_saveexec_b64 s[18:19], s[10:11]
	s_xor_b64 s[10:11], exec, s[18:19]
; %bb.117:                              ;   in Loop: Header=BB342_10 Depth=1
	v_bfe_u32 v50, v12, 16, 1
	v_add3_u32 v50, v12, v50, s54
                                        ; implicit-def: $vgpr12
; %bb.118:                              ;   in Loop: Header=BB342_10 Depth=1
	s_andn2_saveexec_b64 s[18:19], s[10:11]
; %bb.119:                              ;   in Loop: Header=BB342_10 Depth=1
	v_or_b32_e32 v50, 0x10000, v12
	v_cmp_eq_u32_sdwa s[10:11], v12, v14 src0_sel:WORD_0 src1_sel:DWORD
	v_cndmask_b32_e64 v50, v50, v12, s[10:11]
; %bb.120:                              ;   in Loop: Header=BB342_10 Depth=1
	s_or_b64 exec, exec, s[18:19]
	global_load_ubyte v51, v[8:9], off offset:648
	v_mov_b32_e32 v52, 0
	s_waitcnt vmcnt(0)
	v_cmp_ne_u16_e64 s[10:11], 0, v51
	s_and_saveexec_b64 s[18:19], s[10:11]
	s_cbranch_execz .LBB342_126
; %bb.121:                              ;   in Loop: Header=BB342_10 Depth=1
	v_cmp_ne_u16_e64 s[10:11], s51, v51
	v_bfrev_b32_e32 v52, 1
	s_and_saveexec_b64 s[42:43], s[10:11]
	s_cbranch_execz .LBB342_125
; %bb.122:                              ;   in Loop: Header=BB342_10 Depth=1
	v_and_b32_e32 v12, 0xffff, v51
	v_and_b32_e32 v53, 0x7f, v12
	v_cmp_ne_u32_e64 s[10:11], s52, v53
	v_mov_b32_e32 v52, 0x7f800001
	s_and_saveexec_b64 s[44:45], s[10:11]
	s_cbranch_execz .LBB342_124
; %bb.123:                              ;   in Loop: Header=BB342_10 Depth=1
	v_and_b32_e32 v52, 7, v12
	v_ffbh_u32_e32 v54, v52
	v_min_u32_e32 v57, 32, v54
	v_subrev_u32_e32 v54, 28, v57
	v_lshlrev_b64 v[54:55], v54, v[12:13]
	v_lshrrev_b32_e32 v56, 3, v53
	v_sub_u32_e32 v12, 29, v57
	v_and_b32_e32 v54, 7, v54
	v_cmp_gt_u32_e64 s[10:11], 8, v53
	v_cndmask_b32_e64 v12, v56, v12, s[10:11]
	v_cndmask_b32_e64 v52, v52, v54, s[10:11]
	v_lshlrev_b32_e32 v51, 24, v51
	v_lshlrev_b32_e32 v52, 20, v52
	v_and_b32_e32 v51, 0x80000000, v51
	v_lshl_add_u32 v12, v12, 23, v38
	v_or3_b32 v52, v51, v12, v52
.LBB342_124:                            ;   in Loop: Header=BB342_10 Depth=1
	s_or_b64 exec, exec, s[44:45]
.LBB342_125:                            ;   in Loop: Header=BB342_10 Depth=1
	s_or_b64 exec, exec, s[42:43]
.LBB342_126:                            ;   in Loop: Header=BB342_10 Depth=1
	s_or_b64 exec, exec, s[18:19]
	v_mul_f32_e32 v12, s49, v52
	v_and_b32_e32 v51, 0x7f800000, v12
	v_cmp_ne_u32_e64 s[10:11], s53, v51
                                        ; implicit-def: $vgpr51
	s_and_saveexec_b64 s[18:19], s[10:11]
	s_xor_b64 s[10:11], exec, s[18:19]
; %bb.127:                              ;   in Loop: Header=BB342_10 Depth=1
	v_bfe_u32 v51, v12, 16, 1
	v_add3_u32 v51, v12, v51, s54
                                        ; implicit-def: $vgpr12
; %bb.128:                              ;   in Loop: Header=BB342_10 Depth=1
	s_andn2_saveexec_b64 s[18:19], s[10:11]
; %bb.129:                              ;   in Loop: Header=BB342_10 Depth=1
	v_or_b32_e32 v51, 0x10000, v12
	v_cmp_eq_u32_sdwa s[10:11], v12, v14 src0_sel:WORD_0 src1_sel:DWORD
	v_cndmask_b32_e64 v51, v51, v12, s[10:11]
; %bb.130:                              ;   in Loop: Header=BB342_10 Depth=1
	s_or_b64 exec, exec, s[18:19]
	global_load_ubyte v52, v[8:9], off offset:768
	v_mov_b32_e32 v53, 0
	s_waitcnt vmcnt(0)
	v_cmp_ne_u16_e64 s[10:11], 0, v52
	s_and_saveexec_b64 s[18:19], s[10:11]
	s_cbranch_execz .LBB342_136
; %bb.131:                              ;   in Loop: Header=BB342_10 Depth=1
	v_cmp_ne_u16_e64 s[10:11], s51, v52
	v_bfrev_b32_e32 v53, 1
	s_and_saveexec_b64 s[42:43], s[10:11]
	s_cbranch_execz .LBB342_135
; %bb.132:                              ;   in Loop: Header=BB342_10 Depth=1
	v_and_b32_e32 v12, 0xffff, v52
	v_and_b32_e32 v54, 0x7f, v12
	v_cmp_ne_u32_e64 s[10:11], s52, v54
	v_mov_b32_e32 v53, 0x7f800001
	s_and_saveexec_b64 s[44:45], s[10:11]
	s_cbranch_execz .LBB342_134
; %bb.133:                              ;   in Loop: Header=BB342_10 Depth=1
	v_and_b32_e32 v53, 7, v12
	v_ffbh_u32_e32 v56, v53
	v_min_u32_e32 v58, 32, v56
	v_subrev_u32_e32 v56, 28, v58
	v_lshlrev_b64 v[56:57], v56, v[12:13]
	v_lshrrev_b32_e32 v55, 3, v54
	v_sub_u32_e32 v12, 29, v58
	v_and_b32_e32 v56, 7, v56
	v_cmp_gt_u32_e64 s[10:11], 8, v54
	v_cndmask_b32_e64 v12, v55, v12, s[10:11]
	v_cndmask_b32_e64 v53, v53, v56, s[10:11]
	v_lshlrev_b32_e32 v52, 24, v52
	v_lshlrev_b32_e32 v53, 20, v53
	v_and_b32_e32 v52, 0x80000000, v52
	v_lshl_add_u32 v12, v12, 23, v38
	v_or3_b32 v53, v52, v12, v53
.LBB342_134:                            ;   in Loop: Header=BB342_10 Depth=1
	s_or_b64 exec, exec, s[44:45]
.LBB342_135:                            ;   in Loop: Header=BB342_10 Depth=1
	s_or_b64 exec, exec, s[42:43]
.LBB342_136:                            ;   in Loop: Header=BB342_10 Depth=1
	s_or_b64 exec, exec, s[18:19]
	v_mul_f32_e32 v12, s49, v53
	v_and_b32_e32 v52, 0x7f800000, v12
	v_cmp_ne_u32_e64 s[10:11], s53, v52
                                        ; implicit-def: $vgpr52
	s_and_saveexec_b64 s[18:19], s[10:11]
	s_xor_b64 s[10:11], exec, s[18:19]
; %bb.137:                              ;   in Loop: Header=BB342_10 Depth=1
	v_bfe_u32 v52, v12, 16, 1
	v_add3_u32 v52, v12, v52, s54
                                        ; implicit-def: $vgpr12
; %bb.138:                              ;   in Loop: Header=BB342_10 Depth=1
	s_andn2_saveexec_b64 s[18:19], s[10:11]
; %bb.139:                              ;   in Loop: Header=BB342_10 Depth=1
	v_or_b32_e32 v52, 0x10000, v12
	v_cmp_eq_u32_sdwa s[10:11], v12, v14 src0_sel:WORD_0 src1_sel:DWORD
	v_cndmask_b32_e64 v52, v52, v12, s[10:11]
; %bb.140:                              ;   in Loop: Header=BB342_10 Depth=1
	s_or_b64 exec, exec, s[18:19]
	global_load_ubyte v53, v[8:9], off offset:776
	v_mov_b32_e32 v54, 0
	s_waitcnt vmcnt(0)
	v_cmp_ne_u16_e64 s[10:11], 0, v53
	s_and_saveexec_b64 s[18:19], s[10:11]
	s_cbranch_execz .LBB342_146
; %bb.141:                              ;   in Loop: Header=BB342_10 Depth=1
	v_cmp_ne_u16_e64 s[10:11], s51, v53
	v_bfrev_b32_e32 v54, 1
	s_and_saveexec_b64 s[42:43], s[10:11]
	s_cbranch_execz .LBB342_145
; %bb.142:                              ;   in Loop: Header=BB342_10 Depth=1
	v_and_b32_e32 v12, 0xffff, v53
	v_and_b32_e32 v55, 0x7f, v12
	v_cmp_ne_u32_e64 s[10:11], s52, v55
	v_mov_b32_e32 v54, 0x7f800001
	s_and_saveexec_b64 s[44:45], s[10:11]
	s_cbranch_execz .LBB342_144
; %bb.143:                              ;   in Loop: Header=BB342_10 Depth=1
	v_and_b32_e32 v54, 7, v12
	v_ffbh_u32_e32 v56, v54
	v_min_u32_e32 v59, 32, v56
	v_subrev_u32_e32 v56, 28, v59
	v_lshlrev_b64 v[56:57], v56, v[12:13]
	v_lshrrev_b32_e32 v58, 3, v55
	v_sub_u32_e32 v12, 29, v59
	v_and_b32_e32 v56, 7, v56
	v_cmp_gt_u32_e64 s[10:11], 8, v55
	v_cndmask_b32_e64 v12, v58, v12, s[10:11]
	v_cndmask_b32_e64 v54, v54, v56, s[10:11]
	v_lshlrev_b32_e32 v53, 24, v53
	v_lshlrev_b32_e32 v54, 20, v54
	v_and_b32_e32 v53, 0x80000000, v53
	v_lshl_add_u32 v12, v12, 23, v38
	v_or3_b32 v54, v53, v12, v54
.LBB342_144:                            ;   in Loop: Header=BB342_10 Depth=1
	s_or_b64 exec, exec, s[44:45]
.LBB342_145:                            ;   in Loop: Header=BB342_10 Depth=1
	s_or_b64 exec, exec, s[42:43]
.LBB342_146:                            ;   in Loop: Header=BB342_10 Depth=1
	s_or_b64 exec, exec, s[18:19]
	v_mul_f32_e32 v53, s49, v54
	v_and_b32_e32 v12, 0x7f800000, v53
	v_cmp_ne_u32_e64 s[10:11], s53, v12
                                        ; implicit-def: $vgpr12
	s_and_saveexec_b64 s[18:19], s[10:11]
	s_xor_b64 s[10:11], exec, s[18:19]
; %bb.147:                              ;   in Loop: Header=BB342_10 Depth=1
	v_bfe_u32 v12, v53, 16, 1
	v_add3_u32 v12, v53, v12, s54
                                        ; implicit-def: $vgpr53
; %bb.148:                              ;   in Loop: Header=BB342_10 Depth=1
	s_andn2_saveexec_b64 s[18:19], s[10:11]
; %bb.149:                              ;   in Loop: Header=BB342_10 Depth=1
	v_or_b32_e32 v12, 0x10000, v53
	v_cmp_eq_u32_sdwa s[10:11], v53, v14 src0_sel:WORD_0 src1_sel:DWORD
	v_cndmask_b32_e64 v12, v12, v53, s[10:11]
; %bb.150:                              ;   in Loop: Header=BB342_10 Depth=1
	s_or_b64 exec, exec, s[18:19]
	global_load_ubyte v9, v[8:9], off offset:896
	v_mov_b32_e32 v53, 0
	s_waitcnt vmcnt(0)
	v_cmp_ne_u16_e64 s[10:11], 0, v9
	s_and_saveexec_b64 s[18:19], s[10:11]
	s_cbranch_execz .LBB342_156
; %bb.151:                              ;   in Loop: Header=BB342_10 Depth=1
	v_cmp_ne_u16_e64 s[10:11], s51, v9
	v_bfrev_b32_e32 v53, 1
	s_and_saveexec_b64 s[42:43], s[10:11]
	s_cbranch_execz .LBB342_155
; %bb.152:                              ;   in Loop: Header=BB342_10 Depth=1
	v_and_b32_e32 v8, 0xffff, v9
	v_and_b32_e32 v54, 0x7f, v8
	v_cmp_ne_u32_e64 s[10:11], s52, v54
	v_mov_b32_e32 v53, 0x7f800001
	s_and_saveexec_b64 s[44:45], s[10:11]
	s_cbranch_execz .LBB342_154
; %bb.153:                              ;   in Loop: Header=BB342_10 Depth=1
	v_and_b32_e32 v53, 7, v8
	v_ffbh_u32_e32 v56, v53
	v_min_u32_e32 v58, 32, v56
	v_subrev_u32_e32 v56, 28, v58
	v_lshlrev_b64 v[56:57], v56, v[8:9]
	v_lshrrev_b32_e32 v55, 3, v54
	v_sub_u32_e32 v8, 29, v58
	v_and_b32_e32 v56, 7, v56
	v_cmp_gt_u32_e64 s[10:11], 8, v54
	v_cndmask_b32_e64 v8, v55, v8, s[10:11]
	v_cndmask_b32_e64 v53, v53, v56, s[10:11]
	v_lshlrev_b32_e32 v9, 24, v9
	v_lshlrev_b32_e32 v53, 20, v53
	v_and_b32_e32 v9, 0x80000000, v9
	v_lshl_add_u32 v8, v8, 23, v38
	v_or3_b32 v53, v9, v8, v53
.LBB342_154:                            ;   in Loop: Header=BB342_10 Depth=1
	s_or_b64 exec, exec, s[44:45]
.LBB342_155:                            ;   in Loop: Header=BB342_10 Depth=1
	s_or_b64 exec, exec, s[42:43]
.LBB342_156:                            ;   in Loop: Header=BB342_10 Depth=1
	s_or_b64 exec, exec, s[18:19]
	v_mul_f32_e32 v9, s49, v53
	v_and_b32_e32 v8, 0x7f800000, v9
	v_cmp_ne_u32_e64 s[10:11], s53, v8
                                        ; implicit-def: $vgpr8
	s_and_saveexec_b64 s[18:19], s[10:11]
	s_xor_b64 s[10:11], exec, s[18:19]
; %bb.157:                              ;   in Loop: Header=BB342_10 Depth=1
	v_bfe_u32 v8, v9, 16, 1
	v_add3_u32 v8, v9, v8, s54
                                        ; implicit-def: $vgpr9
; %bb.158:                              ;   in Loop: Header=BB342_10 Depth=1
	s_andn2_saveexec_b64 s[18:19], s[10:11]
; %bb.159:                              ;   in Loop: Header=BB342_10 Depth=1
	v_or_b32_e32 v8, 0x10000, v9
	v_cmp_eq_u32_sdwa s[10:11], v9, v14 src0_sel:WORD_0 src1_sel:DWORD
	v_cndmask_b32_e64 v8, v8, v9, s[10:11]
; %bb.160:                              ;   in Loop: Header=BB342_10 Depth=1
	s_or_b64 exec, exec, s[18:19]
	v_and_b32_e32 v41, 0xffff0000, v41
	v_and_b32_e32 v40, 0xffff0000, v40
	v_mul_f32_e32 v41, v17, v41
	v_and_b32_e32 v42, 0xffff0000, v42
	v_fmac_f32_e32 v41, v15, v40
	v_and_b32_e32 v43, 0xffff0000, v43
	v_fmac_f32_e32 v41, v18, v42
	;; [unrolled: 2-line block ×10, first 2 shown]
	v_and_b32_e32 v9, 0xffff0000, v12
	v_and_b32_e32 v12, 0xffff0000, v52
	v_fmac_f32_e32 v41, v28, v51
	v_fmac_f32_e32 v41, v29, v12
	v_and_b32_e32 v8, 0xffff0000, v8
	v_fmac_f32_e32 v41, v30, v9
	v_fmac_f32_e32 v41, v31, v8
	ds_bpermute_b32 v8, v33, v41
	s_waitcnt lgkmcnt(0)
	v_add_f32_e32 v8, v41, v8
	ds_bpermute_b32 v9, v34, v8
	s_waitcnt lgkmcnt(0)
	v_add_f32_e32 v8, v8, v9
	ds_bpermute_b32 v9, v35, v8
	s_and_saveexec_b64 s[18:19], vcc
	s_cbranch_execz .LBB342_9
; %bb.161:                              ;   in Loop: Header=BB342_10 Depth=1
	v_add_u32_e32 v12, s50, v36
	v_cvt_f32_i32_e32 v12, v12
	s_waitcnt lgkmcnt(0)
	v_add_f32_e32 v8, v8, v9
	v_cmp_gt_i32_e64 s[10:11], s33, v36
	v_max_f32_e32 v9, v32, v32
	v_mul_f32_e32 v12, s38, v12
	v_cndmask_b32_e64 v12, 0, v12, s[4:5]
	v_fmac_f32_e32 v12, s39, v8
	v_cndmask_b32_e64 v8, 0, v12, s[10:11]
	ds_write_b32 v37, v8
	v_max_f32_e32 v8, v9, v12
	v_cndmask_b32_e64 v32, v32, v8, s[10:11]
	s_branch .LBB342_9
.LBB342_162:
	s_or_b64 exec, exec, s[12:13]
.LBB342_163:
	s_or_b64 exec, exec, s[40:41]
	v_xor_b32_e32 v2, 32, v3
	v_cmp_lt_i32_e32 vcc, v2, v13
	v_cndmask_b32_e32 v2, v3, v2, vcc
	v_lshlrev_b32_e32 v5, 2, v2
	ds_bpermute_b32 v2, v5, v32
	v_xor_b32_e32 v6, 16, v3
	v_max_f32_e32 v4, v32, v32
	v_cmp_lt_i32_e32 vcc, v6, v13
	v_and_b32_e32 v15, 63, v0
	s_waitcnt lgkmcnt(0)
	v_max_f32_e32 v2, v2, v2
	v_max_f32_e32 v2, v4, v2
	v_cndmask_b32_e32 v4, v3, v6, vcc
	v_lshlrev_b32_e32 v7, 2, v4
	ds_bpermute_b32 v4, v7, v2
	v_xor_b32_e32 v6, 8, v3
	v_cmp_lt_i32_e32 vcc, v6, v13
	s_waitcnt lgkmcnt(0)
	v_max_f32_e32 v4, v4, v4
	v_max_f32_e32 v4, v2, v4
	v_cndmask_b32_e32 v2, v3, v6, vcc
	v_lshlrev_b32_e32 v8, 2, v2
	ds_bpermute_b32 v6, v8, v4
	v_cmp_eq_u32_e32 vcc, 0, v15
	v_lshlrev_b32_e32 v2, 2, v16
	s_and_saveexec_b64 s[4:5], vcc
	s_cbranch_execz .LBB342_165
; %bb.164:
	s_waitcnt lgkmcnt(0)
	v_max_f32_e32 v6, v6, v6
	v_max_f32_e32 v4, v4, v4
	;; [unrolled: 1-line block ×3, first 2 shown]
	ds_write_b32 v2, v4 offset:240
.LBB342_165:
	s_or_b64 exec, exec, s[4:5]
	v_cmp_gt_u32_e64 s[4:5], 2, v15
	v_mov_b32_e32 v4, 0xff7fffff
	s_waitcnt lgkmcnt(0)
	v_lshlrev_b32_e32 v6, 2, v15
	s_barrier
	s_and_saveexec_b64 s[10:11], s[4:5]
	s_cbranch_execz .LBB342_167
; %bb.166:
	ds_read_b32 v4, v6 offset:240
.LBB342_167:
	s_or_b64 exec, exec, s[10:11]
	v_xor_b32_e32 v9, 1, v3
	v_cmp_lt_i32_e64 s[10:11], v9, v13
	v_cndmask_b32_e64 v9, v3, v9, s[10:11]
	v_lshlrev_b32_e32 v9, 2, v9
	s_waitcnt lgkmcnt(0)
	ds_bpermute_b32 v12, v9, v4
	v_max_f32_e32 v4, v4, v4
	s_sub_i32 s7, s46, s7
	s_lshl_b32 s7, s7, 3
	s_add_i32 s7, s7, s29
	s_waitcnt lgkmcnt(0)
	v_max_f32_e32 v12, v12, v12
	v_max_f32_e32 v4, v4, v12
	v_lshlrev_b32_e32 v12, 2, v3
	v_and_b32_e32 v12, 0xffffff00, v12
	ds_bpermute_b32 v4, v12, v4
	s_min_i32 s40, s7, s33
	s_sub_i32 s7, s40, s29
	v_cmp_gt_i32_e64 s[10:11], s7, v0
	v_mov_b32_e32 v14, 0
	s_and_saveexec_b64 s[18:19], s[10:11]
	s_cbranch_execz .LBB342_171
; %bb.168:
	v_mov_b32_e32 v14, 0x100
	v_lshl_add_u32 v17, v0, 2, v14
	s_mov_b64 s[38:39], 0
	v_mov_b32_e32 v14, 0
	v_mov_b32_e32 v18, v0
.LBB342_169:                            ; =>This Inner Loop Header: Depth=1
	ds_read_b32 v20, v17
	v_add_u32_e32 v18, 0x80, v18
	v_cmp_le_i32_e64 s[12:13], s7, v18
	s_or_b64 s[38:39], s[12:13], s[38:39]
	s_waitcnt lgkmcnt(0)
	v_sub_f32_e32 v20, v20, v4
	v_mul_f32_e32 v20, 0x3fb8aa3b, v20
	v_exp_f32_e32 v20, v20
	ds_write_b32 v17, v20
	v_add_f32_e32 v14, v14, v20
	v_add_u32_e32 v17, 0x200, v17
	s_andn2_b64 exec, exec, s[38:39]
	s_cbranch_execnz .LBB342_169
; %bb.170:
	s_or_b64 exec, exec, s[38:39]
.LBB342_171:
	s_or_b64 exec, exec, s[18:19]
	ds_bpermute_b32 v5, v5, v14
	s_waitcnt lgkmcnt(0)
	v_add_f32_e32 v5, v14, v5
	ds_bpermute_b32 v7, v7, v5
	s_waitcnt lgkmcnt(0)
	v_add_f32_e32 v5, v5, v7
	ds_bpermute_b32 v7, v8, v5
	v_xor_b32_e32 v8, 4, v3
	v_cmp_lt_i32_e64 s[12:13], v8, v13
	v_cndmask_b32_e64 v8, v3, v8, s[12:13]
	v_lshlrev_b32_e32 v8, 2, v8
	s_waitcnt lgkmcnt(0)
	v_add_f32_e32 v5, v5, v7
	ds_bpermute_b32 v7, v8, v5
	v_xor_b32_e32 v8, 2, v3
	v_cmp_lt_i32_e64 s[12:13], v8, v13
	v_cndmask_b32_e64 v3, v3, v8, s[12:13]
	v_lshlrev_b32_e32 v3, 2, v3
	s_waitcnt lgkmcnt(0)
	v_add_f32_e32 v5, v5, v7
	ds_bpermute_b32 v3, v3, v5
	s_waitcnt lgkmcnt(0)
	v_add_f32_e32 v3, v5, v3
	ds_bpermute_b32 v5, v9, v3
	s_waitcnt lgkmcnt(0)
	v_add_f32_e32 v3, v3, v5
	s_and_saveexec_b64 s[12:13], vcc
	s_cbranch_execz .LBB342_173
; %bb.172:
	ds_write_b32 v2, v3 offset:248
.LBB342_173:
	s_or_b64 exec, exec, s[12:13]
	s_waitcnt lgkmcnt(0)
	s_barrier
	s_and_saveexec_b64 s[12:13], s[4:5]
	s_cbranch_execz .LBB342_175
; %bb.174:
	ds_read_b32 v3, v6 offset:248
.LBB342_175:
	s_or_b64 exec, exec, s[12:13]
	s_waitcnt lgkmcnt(0)
	ds_bpermute_b32 v2, v9, v3
	s_waitcnt lgkmcnt(0)
	v_add_f32_e32 v2, v3, v2
	ds_bpermute_b32 v5, v12, v2
	s_and_saveexec_b64 s[4:5], s[10:11]
	s_cbranch_execz .LBB342_188
; %bb.176:
	s_waitcnt lgkmcnt(0)
	v_add_f32_e32 v2, 0x358637bd, v5
	v_div_scale_f32 v3, s[10:11], v2, v2, 1.0
	v_rcp_f32_e32 v6, v3
	v_div_scale_f32 v7, vcc, 1.0, v2, 1.0
	s_movk_i32 s10, 0x7f
	v_fma_f32 v8, -v3, v6, 1.0
	v_fmac_f32_e32 v6, v8, v6
	v_mul_f32_e32 v8, v7, v6
	v_fma_f32 v9, -v3, v8, v7
	v_fmac_f32_e32 v8, v9, v6
	v_fma_f32 v3, -v3, v8, v7
	v_div_fmas_f32 v3, v3, v6, v8
	v_div_fixup_f32 v2, v3, v2, 1.0
	v_xad_u32 v3, v0, -1, s40
	v_subrev_u32_e32 v6, s29, v3
	v_cmp_lt_u32_e32 vcc, s10, v6
	s_mov_b64 s[12:13], -1
	v_mov_b32_e32 v3, v0
	s_and_saveexec_b64 s[10:11], vcc
	s_cbranch_execz .LBB342_185
; %bb.177:
	v_lshrrev_b32_e32 v6, 7, v6
	v_add_u32_e32 v8, -1, v6
	v_lshrrev_b32_e32 v7, 1, v8
	v_mov_b32_e32 v3, v2
	v_add_u32_e32 v7, 1, v7
	v_cmp_lt_u32_e32 vcc, 13, v8
	v_mov_b32_e32 v12, 0
	s_and_saveexec_b64 s[12:13], vcc
	s_cbranch_execz .LBB342_181
; %bb.178:
	v_mov_b32_e32 v9, 0x100
	v_and_b32_e32 v8, -8, v7
	v_lshl_add_u32 v9, v0, 2, v9
	s_mov_b32 s38, 0
	s_mov_b64 s[18:19], 0
.LBB342_179:                            ; =>This Inner Loop Header: Depth=1
	ds_read2st64_b32 v[12:13], v9 offset1:2
	ds_read2st64_b32 v[20:21], v9 offset0:4 offset1:6
	ds_read2st64_b32 v[22:23], v9 offset0:8 offset1:10
	;; [unrolled: 1-line block ×3, first 2 shown]
	v_add_u32_e32 v8, -8, v8
	s_waitcnt lgkmcnt(3)
	v_pk_mul_f32 v[12:13], v[2:3], v[12:13]
	s_waitcnt lgkmcnt(2)
	v_pk_mul_f32 v[20:21], v[2:3], v[20:21]
	ds_write2st64_b32 v9, v12, v13 offset1:2
	ds_write2st64_b32 v9, v20, v21 offset0:4 offset1:6
	ds_read2st64_b32 v[20:21], v9 offset0:16 offset1:18
	s_waitcnt lgkmcnt(4)
	v_pk_mul_f32 v[12:13], v[2:3], v[22:23]
	ds_write2st64_b32 v9, v12, v13 offset0:8 offset1:10
	s_waitcnt lgkmcnt(4)
	v_pk_mul_f32 v[12:13], v[2:3], v[24:25]
	ds_write2st64_b32 v9, v12, v13 offset0:12 offset1:14
	ds_read2st64_b32 v[12:13], v9 offset0:20 offset1:22
	s_waitcnt lgkmcnt(3)
	v_pk_mul_f32 v[20:21], v[2:3], v[20:21]
	ds_read2st64_b32 v[22:23], v9 offset0:24 offset1:26
	ds_write2st64_b32 v9, v20, v21 offset0:16 offset1:18
	ds_read2st64_b32 v[20:21], v9 offset0:28 offset1:30
	s_waitcnt lgkmcnt(3)
	v_pk_mul_f32 v[12:13], v[2:3], v[12:13]
	ds_write2st64_b32 v9, v12, v13 offset0:20 offset1:22
	s_waitcnt lgkmcnt(3)
	v_pk_mul_f32 v[12:13], v[2:3], v[22:23]
	ds_write2st64_b32 v9, v12, v13 offset0:24 offset1:26
	s_waitcnt lgkmcnt(2)
	v_pk_mul_f32 v[12:13], v[2:3], v[20:21]
	s_add_i32 s38, s38, 16
	v_cmp_eq_u32_e32 vcc, 0, v8
	ds_write2st64_b32 v9, v12, v13 offset0:28 offset1:30
	v_add_u32_e32 v9, 0x2000, v9
	s_or_b64 s[18:19], vcc, s[18:19]
	v_mov_b32_e32 v12, s38
	s_andn2_b64 exec, exec, s[18:19]
	s_cbranch_execnz .LBB342_179
; %bb.180:
	s_or_b64 exec, exec, s[18:19]
.LBB342_181:
	s_or_b64 exec, exec, s[12:13]
	v_and_b32_e32 v7, 7, v7
	v_cmp_ne_u32_e32 vcc, 0, v7
	s_and_saveexec_b64 s[12:13], vcc
	s_cbranch_execz .LBB342_184
; %bb.182:
	v_lshlrev_b32_e32 v8, 9, v12
	v_lshlrev_b32_e32 v9, 2, v0
	s_movk_i32 s18, 0x100
	v_add3_u32 v8, v8, v9, s18
	s_mov_b64 s[18:19], 0
.LBB342_183:                            ; =>This Inner Loop Header: Depth=1
	ds_read2st64_b32 v[12:13], v8 offset1:2
	v_add_u32_e32 v7, -1, v7
	v_cmp_eq_u32_e32 vcc, 0, v7
	s_or_b64 s[18:19], vcc, s[18:19]
	s_waitcnt lgkmcnt(0)
	v_pk_mul_f32 v[12:13], v[2:3], v[12:13]
	ds_write2st64_b32 v8, v12, v13 offset1:2
	v_add_u32_e32 v8, 0x400, v8
	s_andn2_b64 exec, exec, s[18:19]
	s_cbranch_execnz .LBB342_183
.LBB342_184:
	s_or_b64 exec, exec, s[12:13]
	v_add_u32_e32 v6, 1, v6
	v_and_b32_e32 v7, 0x3fffffe, v6
	v_cmp_ne_u32_e32 vcc, v6, v7
	v_lshl_add_u32 v3, v7, 7, v0
	s_orn2_b64 s[12:13], vcc, exec
.LBB342_185:
	s_or_b64 exec, exec, s[10:11]
	s_and_b64 exec, exec, s[12:13]
	s_cbranch_execz .LBB342_188
; %bb.186:
	v_mov_b32_e32 v6, 0x100
	v_lshl_add_u32 v6, v3, 2, v6
	s_mov_b64 s[10:11], 0
.LBB342_187:                            ; =>This Inner Loop Header: Depth=1
	ds_read_b32 v7, v6
	v_add_u32_e32 v3, 0x80, v3
	v_cmp_le_i32_e32 vcc, s7, v3
	s_or_b64 s[10:11], vcc, s[10:11]
	s_waitcnt lgkmcnt(0)
	v_mul_f32_e32 v7, v2, v7
	ds_write_b32 v6, v7
	v_add_u32_e32 v6, 0x200, v6
	s_andn2_b64 exec, exec, s[10:11]
	s_cbranch_execnz .LBB342_187
.LBB342_188:
	s_or_b64 exec, exec, s[4:5]
	s_mul_i32 s4, s25, s28
	v_cmp_eq_u32_e32 vcc, 0, v0
	s_mul_i32 s10, s4, s9
	s_waitcnt lgkmcnt(0)
	s_barrier
	s_and_saveexec_b64 s[4:5], vcc
	s_cbranch_execz .LBB342_190
; %bb.189:
	s_ashr_i32 s11, s10, 31
	s_lshl_b64 s[12:13], s[10:11], 2
	s_add_u32 s9, s22, s12
	s_mul_i32 s6, s25, s6
	s_addc_u32 s11, s23, s13
	s_ashr_i32 s7, s6, 31
	s_lshl_b64 s[6:7], s[6:7], 2
	s_add_u32 s22, s9, s6
	s_addc_u32 s11, s11, s7
	s_ashr_i32 s9, s8, 31
	s_lshl_b64 s[18:19], s[8:9], 2
	s_add_u32 s22, s22, s18
	s_addc_u32 s23, s11, s19
	s_add_u32 s9, s20, s12
	s_addc_u32 s11, s21, s13
	;; [unrolled: 2-line block ×3, first 2 shown]
	s_add_u32 s6, s6, s18
	v_mov_b32_e32 v2, 0
	s_addc_u32 s7, s7, s19
	global_store_dword v2, v4, s[22:23]
	global_store_dword v2, v5, s[6:7]
.LBB342_190:
	s_or_b64 exec, exec, s[4:5]
	v_mov_b32_e32 v13, 0
	v_mov_b32_e32 v2, v13
	s_and_saveexec_b64 s[6:7], s[2:3]
	s_cbranch_execz .LBB342_456
; %bb.191:
	s_ashr_i32 s2, s16, 31
	s_add_u32 s12, s36, s16
	s_addc_u32 s13, s37, s2
	v_or_b32_e32 v2, 64, v15
	s_movk_i32 s2, 0x78
	s_add_i32 s11, s47, -1
	s_load_dword s36, s[14:15], 0x0
	v_cmp_gt_u32_e32 vcc, s2, v2
	s_lshl_b64 s[2:3], s[34:35], 2
	v_lshlrev_b32_e32 v18, 3, v2
	v_mov_b32_e32 v2, 0x100
	s_add_u32 s2, s30, s2
	v_lshl_add_u32 v22, v16, 5, v2
	v_lshlrev_b64 v[2:3], 2, v[10:11]
	s_addc_u32 s3, s31, s3
	s_mov_b32 s9, s17
	s_mov_b32 s16, -1
	v_mov_b32_e32 v17, 0
	v_mov_b32_e32 v4, s3
	v_add_co_u32_e64 v20, s[2:3], s2, v2
	s_mov_b32 s17, 0xffffff
	v_lshlrev_b32_e32 v14, 3, v15
	v_add3_u32 v19, s29, v19, 7
	v_addc_co_u32_e64 v21, s[2:3], v4, v3, s[2:3]
	s_mov_b64 s[14:15], 0
	s_mov_b32 s30, 0x7f800000
	s_movk_i32 s31, 0x7fff
	s_movk_i32 s34, 0x80
	;; [unrolled: 1-line block ×3, first 2 shown]
	v_bfrev_b32_e32 v11, 60
	v_mov_b32_e32 v12, v17
	v_mov_b32_e32 v13, v17
	s_branch .LBB342_194
.LBB342_192:                            ;   in Loop: Header=BB342_194 Depth=1
	s_or_b64 exec, exec, s[4:5]
	v_and_b32_e32 v27, 0xffff0000, v5
	v_and_b32_e32 v26, 0xffff0000, v9
	;; [unrolled: 1-line block ×6, first 2 shown]
	v_pk_add_f32 v[4:5], v[4:5], v[8:9]
	v_and_b32_e32 v25, 0xffff0000, v23
	v_and_b32_e32 v24, 0xffff0000, v16
	v_mov_b32_e32 v6, v5
	v_pk_add_f32 v[4:5], v[4:5], v[6:7]
	v_pk_add_f32 v[6:7], v[26:27], v[24:25]
	;; [unrolled: 1-line block ×3, first 2 shown]
	v_mov_b32_e32 v6, v7
	v_pk_add_f32 v[4:5], v[4:5], v[6:7]
	v_mov_b32_e32 v3, v4
	v_pk_add_f32 v[12:13], v[12:13], v[2:3]
.LBB342_193:                            ;   in Loop: Header=BB342_194 Depth=1
	s_or_b64 exec, exec, s[18:19]
	v_add_co_u32_e64 v20, s[2:3], 8, v20
	v_add_u32_e32 v10, 2, v10
	v_addc_co_u32_e64 v21, s[2:3], 0, v21, s[2:3]
	v_cmp_le_i32_e64 s[2:3], s46, v10
	v_add_u32_e32 v19, 16, v19
	v_add_u32_e32 v22, 64, v22
	s_or_b64 s[14:15], s[2:3], s[14:15]
	v_mov_b32_e32 v12, v2
	s_andn2_b64 exec, exec, s[14:15]
	s_cbranch_execz .LBB342_455
.LBB342_194:                            ; =>This Inner Loop Header: Depth=1
	global_load_dword v16, v[20:21], off
	ds_read2_b64 v[6:9], v22 offset1:1
	ds_read2_b64 v[2:5], v22 offset0:2 offset1:3
                                        ; implicit-def: $vgpr30
	s_waitcnt lgkmcnt(0)
	v_and_b32_e32 v23, 0x7f800000, v6
	v_cmp_ne_u32_e64 s[2:3], s30, v23
	s_and_saveexec_b64 s[4:5], s[2:3]
	s_xor_b64 s[2:3], exec, s[4:5]
; %bb.195:                              ;   in Loop: Header=BB342_194 Depth=1
	v_bfe_u32 v23, v6, 16, 1
	v_add3_u32 v30, v6, v23, s31
; %bb.196:                              ;   in Loop: Header=BB342_194 Depth=1
	s_andn2_saveexec_b64 s[4:5], s[2:3]
; %bb.197:                              ;   in Loop: Header=BB342_194 Depth=1
	v_or_b32_e32 v23, 0x10000, v6
	v_cmp_eq_u32_sdwa s[2:3], v6, v17 src0_sel:WORD_0 src1_sel:DWORD
	v_cndmask_b32_e64 v30, v23, v6, s[2:3]
; %bb.198:                              ;   in Loop: Header=BB342_194 Depth=1
	s_or_b64 exec, exec, s[4:5]
	v_and_b32_e32 v6, 0x7f800000, v7
	v_cmp_ne_u32_e64 s[2:3], s30, v6
                                        ; implicit-def: $vgpr29
	s_and_saveexec_b64 s[4:5], s[2:3]
	s_xor_b64 s[2:3], exec, s[4:5]
; %bb.199:                              ;   in Loop: Header=BB342_194 Depth=1
	v_bfe_u32 v6, v7, 16, 1
	v_add3_u32 v29, v7, v6, s31
; %bb.200:                              ;   in Loop: Header=BB342_194 Depth=1
	s_andn2_saveexec_b64 s[4:5], s[2:3]
; %bb.201:                              ;   in Loop: Header=BB342_194 Depth=1
	v_or_b32_e32 v6, 0x10000, v7
	v_cmp_eq_u32_sdwa s[2:3], v7, v17 src0_sel:WORD_0 src1_sel:DWORD
	v_cndmask_b32_e64 v29, v6, v7, s[2:3]
; %bb.202:                              ;   in Loop: Header=BB342_194 Depth=1
	s_or_b64 exec, exec, s[4:5]
	v_and_b32_e32 v6, 0x7f800000, v8
	v_cmp_ne_u32_e64 s[2:3], s30, v6
                                        ; implicit-def: $vgpr23
	s_and_saveexec_b64 s[4:5], s[2:3]
	s_xor_b64 s[2:3], exec, s[4:5]
; %bb.203:                              ;   in Loop: Header=BB342_194 Depth=1
	v_bfe_u32 v6, v8, 16, 1
	v_add3_u32 v23, v8, v6, s31
; %bb.204:                              ;   in Loop: Header=BB342_194 Depth=1
	s_andn2_saveexec_b64 s[4:5], s[2:3]
; %bb.205:                              ;   in Loop: Header=BB342_194 Depth=1
	v_or_b32_e32 v6, 0x10000, v8
	v_cmp_eq_u32_sdwa s[2:3], v8, v17 src0_sel:WORD_0 src1_sel:DWORD
	v_cndmask_b32_e64 v23, v6, v8, s[2:3]
; %bb.206:                              ;   in Loop: Header=BB342_194 Depth=1
	s_or_b64 exec, exec, s[4:5]
	v_and_b32_e32 v6, 0x7f800000, v9
	v_cmp_ne_u32_e64 s[2:3], s30, v6
                                        ; implicit-def: $vgpr24
	s_and_saveexec_b64 s[4:5], s[2:3]
	s_xor_b64 s[2:3], exec, s[4:5]
; %bb.207:                              ;   in Loop: Header=BB342_194 Depth=1
	v_bfe_u32 v6, v9, 16, 1
	v_add3_u32 v24, v9, v6, s31
                                        ; implicit-def: $vgpr6_vgpr7_vgpr8_vgpr9
; %bb.208:                              ;   in Loop: Header=BB342_194 Depth=1
	s_andn2_saveexec_b64 s[4:5], s[2:3]
; %bb.209:                              ;   in Loop: Header=BB342_194 Depth=1
	v_or_b32_e32 v6, 0x10000, v9
	v_cmp_eq_u32_sdwa s[2:3], v9, v17 src0_sel:WORD_0 src1_sel:DWORD
	v_cndmask_b32_e64 v24, v6, v9, s[2:3]
; %bb.210:                              ;   in Loop: Header=BB342_194 Depth=1
	s_or_b64 exec, exec, s[4:5]
	v_and_b32_e32 v6, 0x7f800000, v2
	v_cmp_ne_u32_e64 s[2:3], s30, v6
                                        ; implicit-def: $vgpr25
	s_and_saveexec_b64 s[4:5], s[2:3]
	s_xor_b64 s[2:3], exec, s[4:5]
; %bb.211:                              ;   in Loop: Header=BB342_194 Depth=1
	v_bfe_u32 v6, v2, 16, 1
	v_add3_u32 v25, v2, v6, s31
; %bb.212:                              ;   in Loop: Header=BB342_194 Depth=1
	s_andn2_saveexec_b64 s[4:5], s[2:3]
; %bb.213:                              ;   in Loop: Header=BB342_194 Depth=1
	v_or_b32_e32 v6, 0x10000, v2
	v_cmp_eq_u32_sdwa s[2:3], v2, v17 src0_sel:WORD_0 src1_sel:DWORD
	v_cndmask_b32_e64 v25, v6, v2, s[2:3]
; %bb.214:                              ;   in Loop: Header=BB342_194 Depth=1
	s_or_b64 exec, exec, s[4:5]
	v_and_b32_e32 v2, 0x7f800000, v3
	v_cmp_ne_u32_e64 s[2:3], s30, v2
                                        ; implicit-def: $vgpr26
	s_and_saveexec_b64 s[4:5], s[2:3]
	s_xor_b64 s[2:3], exec, s[4:5]
; %bb.215:                              ;   in Loop: Header=BB342_194 Depth=1
	v_bfe_u32 v2, v3, 16, 1
	v_add3_u32 v26, v3, v2, s31
; %bb.216:                              ;   in Loop: Header=BB342_194 Depth=1
	s_andn2_saveexec_b64 s[4:5], s[2:3]
; %bb.217:                              ;   in Loop: Header=BB342_194 Depth=1
	v_or_b32_e32 v2, 0x10000, v3
	v_cmp_eq_u32_sdwa s[2:3], v3, v17 src0_sel:WORD_0 src1_sel:DWORD
	v_cndmask_b32_e64 v26, v2, v3, s[2:3]
; %bb.218:                              ;   in Loop: Header=BB342_194 Depth=1
	s_or_b64 exec, exec, s[4:5]
	v_and_b32_e32 v2, 0x7f800000, v4
	v_cmp_ne_u32_e64 s[2:3], s30, v2
                                        ; implicit-def: $vgpr27
	s_and_saveexec_b64 s[4:5], s[2:3]
	s_xor_b64 s[2:3], exec, s[4:5]
; %bb.219:                              ;   in Loop: Header=BB342_194 Depth=1
	v_bfe_u32 v2, v4, 16, 1
	v_add3_u32 v27, v4, v2, s31
; %bb.220:                              ;   in Loop: Header=BB342_194 Depth=1
	s_andn2_saveexec_b64 s[4:5], s[2:3]
; %bb.221:                              ;   in Loop: Header=BB342_194 Depth=1
	v_or_b32_e32 v2, 0x10000, v4
	v_cmp_eq_u32_sdwa s[2:3], v4, v17 src0_sel:WORD_0 src1_sel:DWORD
	v_cndmask_b32_e64 v27, v2, v4, s[2:3]
; %bb.222:                              ;   in Loop: Header=BB342_194 Depth=1
	s_or_b64 exec, exec, s[4:5]
	v_and_b32_e32 v2, 0x7f800000, v5
	v_cmp_ne_u32_e64 s[2:3], s30, v2
                                        ; implicit-def: $vgpr28
	s_and_saveexec_b64 s[4:5], s[2:3]
	s_xor_b64 s[2:3], exec, s[4:5]
; %bb.223:                              ;   in Loop: Header=BB342_194 Depth=1
	v_bfe_u32 v2, v5, 16, 1
	v_add3_u32 v28, v5, v2, s31
                                        ; implicit-def: $vgpr2_vgpr3_vgpr4_vgpr5
; %bb.224:                              ;   in Loop: Header=BB342_194 Depth=1
	s_andn2_saveexec_b64 s[4:5], s[2:3]
; %bb.225:                              ;   in Loop: Header=BB342_194 Depth=1
	v_or_b32_e32 v2, 0x10000, v5
	v_cmp_eq_u32_sdwa s[2:3], v5, v17 src0_sel:WORD_0 src1_sel:DWORD
	v_cndmask_b32_e64 v28, v2, v5, s[2:3]
; %bb.226:                              ;   in Loop: Header=BB342_194 Depth=1
	s_or_b64 exec, exec, s[4:5]
	v_pk_mov_b32 v[2:3], s[12:13], s[12:13] op_sel:[0,1]
	s_waitcnt vmcnt(0)
	v_mad_i64_i32 v[4:5], s[2:3], v16, s9, v[2:3]
	v_add_co_u32_e64 v2, s[2:3], v4, v14
	v_addc_co_u32_e64 v3, s[2:3], 0, v5, s[2:3]
	global_load_dwordx2 v[2:3], v[2:3], off
	v_mov_b32_e32 v6, 0
	s_waitcnt vmcnt(0)
	v_cmp_ne_u16_sdwa s[2:3], v2, v17 src0_sel:BYTE_0 src1_sel:DWORD
	s_and_saveexec_b64 s[4:5], s[2:3]
	s_cbranch_execz .LBB342_232
; %bb.227:                              ;   in Loop: Header=BB342_194 Depth=1
	v_cmp_ne_u16_sdwa s[2:3], v2, s34 src0_sel:BYTE_0 src1_sel:DWORD
	v_bfrev_b32_e32 v6, 1
	s_and_saveexec_b64 s[18:19], s[2:3]
	s_cbranch_execz .LBB342_231
; %bb.228:                              ;   in Loop: Header=BB342_194 Depth=1
	v_and_b32_e32 v7, 0x7f, v2
	v_cmp_ne_u32_e64 s[2:3], s35, v7
	v_mov_b32_e32 v6, 0x7f800001
	s_and_saveexec_b64 s[20:21], s[2:3]
	s_cbranch_execz .LBB342_230
; %bb.229:                              ;   in Loop: Header=BB342_194 Depth=1
	v_and_b32_e32 v6, 7, v2
	v_ffbh_u32_e32 v6, v6
	v_min_u32_e32 v6, 32, v6
	v_lshrrev_b32_e32 v8, 3, v7
	v_subrev_u32_e32 v9, 28, v6
	v_sub_u32_e32 v6, 29, v6
	v_cmp_gt_u32_e64 s[2:3], 8, v7
	v_cndmask_b32_e64 v8, v8, v6, s[2:3]
	v_cndmask_b32_e64 v6, 0, v9, s[2:3]
	v_lshlrev_b64 v[6:7], v6, v[2:3]
	v_lshlrev_b32_e32 v6, 20, v6
	v_lshlrev_b32_e32 v7, 24, v2
	v_and_b32_e32 v6, 0x700000, v6
	v_and_b32_e32 v7, 0x80000000, v7
	v_lshl_add_u32 v8, v8, 23, v11
	v_or3_b32 v6, v7, v8, v6
.LBB342_230:                            ;   in Loop: Header=BB342_194 Depth=1
	s_or_b64 exec, exec, s[20:21]
.LBB342_231:                            ;   in Loop: Header=BB342_194 Depth=1
	s_or_b64 exec, exec, s[18:19]
.LBB342_232:                            ;   in Loop: Header=BB342_194 Depth=1
	s_or_b64 exec, exec, s[4:5]
	v_mul_f32_e32 v6, s36, v6
	v_and_b32_e32 v7, 0x7f800000, v6
	v_cmp_ne_u32_e64 s[2:3], s30, v7
                                        ; implicit-def: $vgpr8
	s_and_saveexec_b64 s[4:5], s[2:3]
	s_xor_b64 s[2:3], exec, s[4:5]
; %bb.233:                              ;   in Loop: Header=BB342_194 Depth=1
	v_bfe_u32 v7, v6, 16, 1
	v_add3_u32 v8, v6, v7, s31
                                        ; implicit-def: $vgpr6
; %bb.234:                              ;   in Loop: Header=BB342_194 Depth=1
	s_andn2_saveexec_b64 s[4:5], s[2:3]
; %bb.235:                              ;   in Loop: Header=BB342_194 Depth=1
	v_or_b32_e32 v7, 0x10000, v6
	v_cmp_eq_u32_sdwa s[2:3], v6, v17 src0_sel:WORD_0 src1_sel:DWORD
	v_cndmask_b32_e64 v8, v7, v6, s[2:3]
; %bb.236:                              ;   in Loop: Header=BB342_194 Depth=1
	s_or_b64 exec, exec, s[4:5]
	v_lshrrev_b16_e32 v6, 8, v2
	v_cmp_ne_u16_e64 s[2:3], 0, v6
	v_mov_b32_e32 v7, 0
	s_and_saveexec_b64 s[4:5], s[2:3]
	s_cbranch_execz .LBB342_242
; %bb.237:                              ;   in Loop: Header=BB342_194 Depth=1
	v_cmp_ne_u16_e64 s[2:3], s34, v6
	v_bfrev_b32_e32 v7, 1
	s_and_saveexec_b64 s[18:19], s[2:3]
	s_cbranch_execz .LBB342_241
; %bb.238:                              ;   in Loop: Header=BB342_194 Depth=1
	v_and_b32_e32 v9, 0x7f, v6
	v_cmp_ne_u32_e64 s[2:3], s35, v9
	v_mov_b32_e32 v7, 0x7f800001
	s_and_saveexec_b64 s[20:21], s[2:3]
	s_cbranch_execz .LBB342_240
; %bb.239:                              ;   in Loop: Header=BB342_194 Depth=1
	v_and_b32_e32 v16, 7, v6
	v_ffbh_u32_e32 v7, v16
	v_min_u32_e32 v32, 32, v7
	v_subrev_u32_e32 v7, 28, v32
	v_lshlrev_b64 v[6:7], v7, v[6:7]
	v_lshrrev_b32_e32 v31, 3, v9
	v_sub_u32_e32 v7, 29, v32
	v_and_b32_e32 v6, 7, v6
	v_cmp_gt_u32_e64 s[2:3], 8, v9
	v_cndmask_b32_e64 v7, v31, v7, s[2:3]
	v_cndmask_b32_e64 v6, v16, v6, s[2:3]
	v_lshlrev_b32_e32 v9, 16, v2
	v_lshlrev_b32_e32 v6, 20, v6
	v_and_b32_e32 v9, 0x80000000, v9
	v_lshl_add_u32 v7, v7, 23, v11
	v_or3_b32 v7, v9, v7, v6
.LBB342_240:                            ;   in Loop: Header=BB342_194 Depth=1
	s_or_b64 exec, exec, s[20:21]
.LBB342_241:                            ;   in Loop: Header=BB342_194 Depth=1
	s_or_b64 exec, exec, s[18:19]
.LBB342_242:                            ;   in Loop: Header=BB342_194 Depth=1
	s_or_b64 exec, exec, s[4:5]
	v_mul_f32_e32 v6, s36, v7
	v_and_b32_e32 v7, 0x7f800000, v6
	v_cmp_ne_u32_e64 s[2:3], s30, v7
                                        ; implicit-def: $vgpr9
	s_and_saveexec_b64 s[4:5], s[2:3]
	s_xor_b64 s[2:3], exec, s[4:5]
; %bb.243:                              ;   in Loop: Header=BB342_194 Depth=1
	v_bfe_u32 v7, v6, 16, 1
	v_add3_u32 v9, v6, v7, s31
                                        ; implicit-def: $vgpr6
; %bb.244:                              ;   in Loop: Header=BB342_194 Depth=1
	s_andn2_saveexec_b64 s[4:5], s[2:3]
; %bb.245:                              ;   in Loop: Header=BB342_194 Depth=1
	v_or_b32_e32 v7, 0x10000, v6
	v_cmp_eq_u32_sdwa s[2:3], v6, v17 src0_sel:WORD_0 src1_sel:DWORD
	v_cndmask_b32_e64 v9, v7, v6, s[2:3]
; %bb.246:                              ;   in Loop: Header=BB342_194 Depth=1
	s_or_b64 exec, exec, s[4:5]
	v_lshrrev_b32_e32 v6, 16, v2
	v_cmp_ne_u16_sdwa s[2:3], v6, v17 src0_sel:BYTE_0 src1_sel:DWORD
	v_mov_b32_e32 v7, 0
	s_and_saveexec_b64 s[4:5], s[2:3]
	s_cbranch_execz .LBB342_252
; %bb.247:                              ;   in Loop: Header=BB342_194 Depth=1
	v_cmp_ne_u16_sdwa s[2:3], v6, s34 src0_sel:BYTE_0 src1_sel:DWORD
	v_bfrev_b32_e32 v7, 1
	s_and_saveexec_b64 s[18:19], s[2:3]
	s_cbranch_execz .LBB342_251
; %bb.248:                              ;   in Loop: Header=BB342_194 Depth=1
	v_bfe_u32 v16, v2, 16, 7
	v_cmp_ne_u32_e64 s[2:3], s35, v16
	v_mov_b32_e32 v7, 0x7f800001
	s_and_saveexec_b64 s[20:21], s[2:3]
	s_cbranch_execz .LBB342_250
; %bb.249:                              ;   in Loop: Header=BB342_194 Depth=1
	v_and_b32_e32 v7, 7, v6
	v_ffbh_u32_e32 v32, v7
	v_min_u32_e32 v34, 32, v32
	v_subrev_u32_e32 v32, 28, v34
	v_lshlrev_b64 v[32:33], v32, v[6:7]
	v_lshrrev_b32_e32 v31, 3, v16
	v_sub_u32_e32 v33, 29, v34
	v_and_b32_e32 v32, 7, v32
	v_cmp_gt_u32_e64 s[2:3], 8, v16
	v_cndmask_b32_e64 v16, v31, v33, s[2:3]
	v_cndmask_b32_e64 v7, v7, v32, s[2:3]
	v_lshlrev_b32_e32 v6, 24, v6
	v_lshlrev_b32_e32 v7, 20, v7
	v_and_b32_e32 v6, 0x80000000, v6
	v_lshl_add_u32 v16, v16, 23, v11
	v_or3_b32 v7, v6, v16, v7
.LBB342_250:                            ;   in Loop: Header=BB342_194 Depth=1
	s_or_b64 exec, exec, s[20:21]
.LBB342_251:                            ;   in Loop: Header=BB342_194 Depth=1
	s_or_b64 exec, exec, s[18:19]
.LBB342_252:                            ;   in Loop: Header=BB342_194 Depth=1
	s_or_b64 exec, exec, s[4:5]
	v_mul_f32_e32 v6, s36, v7
	v_and_b32_e32 v7, 0x7f800000, v6
	v_cmp_ne_u32_e64 s[2:3], s30, v7
                                        ; implicit-def: $vgpr31
	s_and_saveexec_b64 s[4:5], s[2:3]
	s_xor_b64 s[2:3], exec, s[4:5]
; %bb.253:                              ;   in Loop: Header=BB342_194 Depth=1
	v_bfe_u32 v7, v6, 16, 1
	v_add3_u32 v31, v6, v7, s31
                                        ; implicit-def: $vgpr6
; %bb.254:                              ;   in Loop: Header=BB342_194 Depth=1
	s_andn2_saveexec_b64 s[4:5], s[2:3]
; %bb.255:                              ;   in Loop: Header=BB342_194 Depth=1
	v_or_b32_e32 v7, 0x10000, v6
	v_cmp_eq_u32_sdwa s[2:3], v6, v17 src0_sel:WORD_0 src1_sel:DWORD
	v_cndmask_b32_e64 v31, v7, v6, s[2:3]
; %bb.256:                              ;   in Loop: Header=BB342_194 Depth=1
	s_or_b64 exec, exec, s[4:5]
	v_cmp_lt_u32_e64 s[2:3], s17, v2
	v_mov_b32_e32 v7, 0
	s_and_saveexec_b64 s[4:5], s[2:3]
	s_cbranch_execz .LBB342_262
; %bb.257:                              ;   in Loop: Header=BB342_194 Depth=1
	v_lshrrev_b32_e32 v6, 24, v2
	v_cmp_ne_u32_e64 s[2:3], s34, v6
	v_bfrev_b32_e32 v7, 1
	s_and_saveexec_b64 s[18:19], s[2:3]
	s_cbranch_execz .LBB342_261
; %bb.258:                              ;   in Loop: Header=BB342_194 Depth=1
	v_bfe_u32 v16, v2, 24, 7
	v_cmp_ne_u32_e64 s[2:3], s35, v16
	v_mov_b32_e32 v7, 0x7f800001
	s_and_saveexec_b64 s[20:21], s[2:3]
	s_cbranch_execz .LBB342_260
; %bb.259:                              ;   in Loop: Header=BB342_194 Depth=1
	v_and_b32_e32 v7, 7, v6
	v_ffbh_u32_e32 v32, v7
	v_min_u32_e32 v35, 32, v32
	v_subrev_u32_e32 v32, 28, v35
	v_lshlrev_b64 v[32:33], v32, v[6:7]
	v_lshrrev_b32_e32 v34, 3, v16
	v_sub_u32_e32 v33, 29, v35
	v_and_b32_e32 v32, 7, v32
	v_cmp_gt_u32_e64 s[2:3], 8, v16
	v_cndmask_b32_e64 v16, v34, v33, s[2:3]
	v_cndmask_b32_e64 v7, v7, v32, s[2:3]
	v_lshlrev_b32_e32 v6, 24, v6
	v_lshlrev_b32_e32 v7, 20, v7
	v_and_b32_e32 v6, 0x80000000, v6
	v_lshl_add_u32 v16, v16, 23, v11
	v_or3_b32 v7, v6, v16, v7
.LBB342_260:                            ;   in Loop: Header=BB342_194 Depth=1
	s_or_b64 exec, exec, s[20:21]
.LBB342_261:                            ;   in Loop: Header=BB342_194 Depth=1
	s_or_b64 exec, exec, s[18:19]
.LBB342_262:                            ;   in Loop: Header=BB342_194 Depth=1
	s_or_b64 exec, exec, s[4:5]
	v_mul_f32_e32 v6, s36, v7
	v_and_b32_e32 v7, 0x7f800000, v6
	v_cmp_ne_u32_e64 s[2:3], s30, v7
                                        ; implicit-def: $vgpr32
	s_and_saveexec_b64 s[4:5], s[2:3]
	s_xor_b64 s[2:3], exec, s[4:5]
; %bb.263:                              ;   in Loop: Header=BB342_194 Depth=1
	v_bfe_u32 v7, v6, 16, 1
	v_add3_u32 v32, v6, v7, s31
                                        ; implicit-def: $vgpr6
; %bb.264:                              ;   in Loop: Header=BB342_194 Depth=1
	s_andn2_saveexec_b64 s[4:5], s[2:3]
; %bb.265:                              ;   in Loop: Header=BB342_194 Depth=1
	v_or_b32_e32 v7, 0x10000, v6
	v_cmp_eq_u32_sdwa s[2:3], v6, v17 src0_sel:WORD_0 src1_sel:DWORD
	v_cndmask_b32_e64 v32, v7, v6, s[2:3]
; %bb.266:                              ;   in Loop: Header=BB342_194 Depth=1
	s_or_b64 exec, exec, s[4:5]
	v_mov_b32_e32 v16, v3
	v_cmp_ne_u16_sdwa s[2:3], v3, v17 src0_sel:BYTE_0 src1_sel:DWORD
	v_mov_b32_e32 v6, 0
	s_and_saveexec_b64 s[4:5], s[2:3]
	s_cbranch_execz .LBB342_272
; %bb.267:                              ;   in Loop: Header=BB342_194 Depth=1
	v_cmp_ne_u16_sdwa s[2:3], v3, s34 src0_sel:BYTE_0 src1_sel:DWORD
	v_bfrev_b32_e32 v6, 1
	s_and_saveexec_b64 s[18:19], s[2:3]
	s_cbranch_execz .LBB342_271
; %bb.268:                              ;   in Loop: Header=BB342_194 Depth=1
	v_and_b32_e32 v7, 0x7f, v3
	v_cmp_ne_u32_e64 s[2:3], s35, v7
	v_mov_b32_e32 v6, 0x7f800001
	s_and_saveexec_b64 s[20:21], s[2:3]
	s_cbranch_execz .LBB342_270
; %bb.269:                              ;   in Loop: Header=BB342_194 Depth=1
	v_and_b32_e32 v6, 7, v3
	v_ffbh_u32_e32 v6, v6
	v_min_u32_e32 v6, 32, v6
	v_lshrrev_b32_e32 v33, 3, v7
	v_subrev_u32_e32 v34, 28, v6
	v_sub_u32_e32 v6, 29, v6
	v_cmp_gt_u32_e64 s[2:3], 8, v7
	v_cndmask_b32_e64 v33, v33, v6, s[2:3]
	v_cndmask_b32_e64 v6, 0, v34, s[2:3]
	v_lshlrev_b64 v[6:7], v6, v[16:17]
	v_lshlrev_b32_e32 v6, 20, v6
	v_lshlrev_b32_e32 v7, 24, v16
	v_and_b32_e32 v6, 0x700000, v6
	v_and_b32_e32 v7, 0x80000000, v7
	v_lshl_add_u32 v33, v33, 23, v11
	v_or3_b32 v6, v7, v33, v6
.LBB342_270:                            ;   in Loop: Header=BB342_194 Depth=1
	s_or_b64 exec, exec, s[20:21]
.LBB342_271:                            ;   in Loop: Header=BB342_194 Depth=1
	s_or_b64 exec, exec, s[18:19]
.LBB342_272:                            ;   in Loop: Header=BB342_194 Depth=1
	s_or_b64 exec, exec, s[4:5]
	v_mul_f32_e32 v6, s36, v6
	v_and_b32_e32 v7, 0x7f800000, v6
	v_cmp_ne_u32_e64 s[2:3], s30, v7
                                        ; implicit-def: $vgpr33
	s_and_saveexec_b64 s[4:5], s[2:3]
	s_xor_b64 s[2:3], exec, s[4:5]
; %bb.273:                              ;   in Loop: Header=BB342_194 Depth=1
	v_bfe_u32 v7, v6, 16, 1
	v_add3_u32 v33, v6, v7, s31
                                        ; implicit-def: $vgpr6
; %bb.274:                              ;   in Loop: Header=BB342_194 Depth=1
	s_andn2_saveexec_b64 s[4:5], s[2:3]
; %bb.275:                              ;   in Loop: Header=BB342_194 Depth=1
	v_or_b32_e32 v7, 0x10000, v6
	v_cmp_eq_u32_sdwa s[2:3], v6, v17 src0_sel:WORD_0 src1_sel:DWORD
	v_cndmask_b32_e64 v33, v7, v6, s[2:3]
; %bb.276:                              ;   in Loop: Header=BB342_194 Depth=1
	s_or_b64 exec, exec, s[4:5]
	v_lshrrev_b16_e32 v6, 8, v16
	v_cmp_ne_u16_e64 s[2:3], 0, v6
	v_mov_b32_e32 v7, 0
	s_and_saveexec_b64 s[4:5], s[2:3]
	s_cbranch_execz .LBB342_282
; %bb.277:                              ;   in Loop: Header=BB342_194 Depth=1
	v_cmp_ne_u16_e64 s[2:3], s34, v6
	v_bfrev_b32_e32 v7, 1
	s_and_saveexec_b64 s[18:19], s[2:3]
	s_cbranch_execz .LBB342_281
; %bb.278:                              ;   in Loop: Header=BB342_194 Depth=1
	v_and_b32_e32 v34, 0x7f, v6
	v_cmp_ne_u32_e64 s[2:3], s35, v34
	v_mov_b32_e32 v7, 0x7f800001
	s_and_saveexec_b64 s[20:21], s[2:3]
	s_cbranch_execz .LBB342_280
; %bb.279:                              ;   in Loop: Header=BB342_194 Depth=1
	v_and_b32_e32 v35, 7, v6
	v_ffbh_u32_e32 v7, v35
	v_min_u32_e32 v37, 32, v7
	v_subrev_u32_e32 v7, 28, v37
	v_lshlrev_b64 v[6:7], v7, v[6:7]
	v_lshrrev_b32_e32 v36, 3, v34
	v_sub_u32_e32 v7, 29, v37
	v_and_b32_e32 v6, 7, v6
	v_cmp_gt_u32_e64 s[2:3], 8, v34
	v_cndmask_b32_e64 v7, v36, v7, s[2:3]
	v_cndmask_b32_e64 v6, v35, v6, s[2:3]
	v_lshlrev_b32_e32 v16, 16, v16
	v_lshlrev_b32_e32 v6, 20, v6
	v_and_b32_e32 v16, 0x80000000, v16
	v_lshl_add_u32 v7, v7, 23, v11
	v_or3_b32 v7, v16, v7, v6
.LBB342_280:                            ;   in Loop: Header=BB342_194 Depth=1
	s_or_b64 exec, exec, s[20:21]
.LBB342_281:                            ;   in Loop: Header=BB342_194 Depth=1
	s_or_b64 exec, exec, s[18:19]
.LBB342_282:                            ;   in Loop: Header=BB342_194 Depth=1
	s_or_b64 exec, exec, s[4:5]
	v_mul_f32_e32 v6, s36, v7
	v_and_b32_e32 v7, 0x7f800000, v6
	v_cmp_ne_u32_e64 s[2:3], s30, v7
                                        ; implicit-def: $vgpr16
	s_and_saveexec_b64 s[4:5], s[2:3]
	s_xor_b64 s[2:3], exec, s[4:5]
; %bb.283:                              ;   in Loop: Header=BB342_194 Depth=1
	v_bfe_u32 v7, v6, 16, 1
	v_add3_u32 v16, v6, v7, s31
                                        ; implicit-def: $vgpr6
; %bb.284:                              ;   in Loop: Header=BB342_194 Depth=1
	s_andn2_saveexec_b64 s[4:5], s[2:3]
; %bb.285:                              ;   in Loop: Header=BB342_194 Depth=1
	v_or_b32_e32 v7, 0x10000, v6
	v_cmp_eq_u32_sdwa s[2:3], v6, v17 src0_sel:WORD_0 src1_sel:DWORD
	v_cndmask_b32_e64 v16, v7, v6, s[2:3]
; %bb.286:                              ;   in Loop: Header=BB342_194 Depth=1
	s_or_b64 exec, exec, s[4:5]
	v_lshrrev_b32_e32 v6, 16, v3
	v_cmp_ne_u16_sdwa s[2:3], v6, v17 src0_sel:BYTE_0 src1_sel:DWORD
	v_mov_b32_e32 v7, 0
	s_and_saveexec_b64 s[4:5], s[2:3]
	s_cbranch_execz .LBB342_292
; %bb.287:                              ;   in Loop: Header=BB342_194 Depth=1
	v_cmp_ne_u16_sdwa s[2:3], v6, s34 src0_sel:BYTE_0 src1_sel:DWORD
	v_bfrev_b32_e32 v7, 1
	s_and_saveexec_b64 s[18:19], s[2:3]
	s_cbranch_execz .LBB342_291
; %bb.288:                              ;   in Loop: Header=BB342_194 Depth=1
	v_bfe_u32 v34, v3, 16, 7
	v_cmp_ne_u32_e64 s[2:3], s35, v34
	v_mov_b32_e32 v7, 0x7f800001
	s_and_saveexec_b64 s[20:21], s[2:3]
	s_cbranch_execz .LBB342_290
; %bb.289:                              ;   in Loop: Header=BB342_194 Depth=1
	v_and_b32_e32 v7, 7, v6
	v_ffbh_u32_e32 v36, v7
	v_min_u32_e32 v38, 32, v36
	v_subrev_u32_e32 v36, 28, v38
	v_lshlrev_b64 v[36:37], v36, v[6:7]
	v_lshrrev_b32_e32 v35, 3, v34
	v_sub_u32_e32 v37, 29, v38
	v_and_b32_e32 v36, 7, v36
	v_cmp_gt_u32_e64 s[2:3], 8, v34
	v_cndmask_b32_e64 v34, v35, v37, s[2:3]
	v_cndmask_b32_e64 v7, v7, v36, s[2:3]
	v_lshlrev_b32_e32 v6, 24, v6
	v_lshlrev_b32_e32 v7, 20, v7
	v_and_b32_e32 v6, 0x80000000, v6
	v_lshl_add_u32 v34, v34, 23, v11
	v_or3_b32 v7, v6, v34, v7
.LBB342_290:                            ;   in Loop: Header=BB342_194 Depth=1
	s_or_b64 exec, exec, s[20:21]
.LBB342_291:                            ;   in Loop: Header=BB342_194 Depth=1
	s_or_b64 exec, exec, s[18:19]
.LBB342_292:                            ;   in Loop: Header=BB342_194 Depth=1
	s_or_b64 exec, exec, s[4:5]
	v_mul_f32_e32 v7, s36, v7
	v_and_b32_e32 v6, 0x7f800000, v7
	v_cmp_ne_u32_e64 s[2:3], s30, v6
                                        ; implicit-def: $vgpr6
	s_and_saveexec_b64 s[4:5], s[2:3]
	s_xor_b64 s[2:3], exec, s[4:5]
; %bb.293:                              ;   in Loop: Header=BB342_194 Depth=1
	v_bfe_u32 v6, v7, 16, 1
	v_add3_u32 v6, v7, v6, s31
                                        ; implicit-def: $vgpr7
; %bb.294:                              ;   in Loop: Header=BB342_194 Depth=1
	s_andn2_saveexec_b64 s[4:5], s[2:3]
; %bb.295:                              ;   in Loop: Header=BB342_194 Depth=1
	v_or_b32_e32 v6, 0x10000, v7
	v_cmp_eq_u32_sdwa s[2:3], v7, v17 src0_sel:WORD_0 src1_sel:DWORD
	v_cndmask_b32_e64 v6, v6, v7, s[2:3]
; %bb.296:                              ;   in Loop: Header=BB342_194 Depth=1
	s_or_b64 exec, exec, s[4:5]
	v_cmp_lt_u64_e64 s[2:3], s[16:17], v[2:3]
	v_mov_b32_e32 v7, 0
	s_and_saveexec_b64 s[4:5], s[2:3]
	s_cbranch_execz .LBB342_302
; %bb.297:                              ;   in Loop: Header=BB342_194 Depth=1
	v_lshrrev_b32_e32 v2, 24, v3
	v_cmp_ne_u32_e64 s[2:3], s34, v2
	v_bfrev_b32_e32 v7, 1
	s_and_saveexec_b64 s[18:19], s[2:3]
	s_cbranch_execz .LBB342_301
; %bb.298:                              ;   in Loop: Header=BB342_194 Depth=1
	v_bfe_u32 v3, v3, 24, 7
	v_cmp_ne_u32_e64 s[2:3], s35, v3
	v_mov_b32_e32 v7, 0x7f800001
	s_and_saveexec_b64 s[20:21], s[2:3]
	s_cbranch_execz .LBB342_300
; %bb.299:                              ;   in Loop: Header=BB342_194 Depth=1
	v_and_b32_e32 v7, 7, v2
	v_ffbh_u32_e32 v34, v7
	v_min_u32_e32 v37, 32, v34
	v_subrev_u32_e32 v34, 28, v37
	v_lshlrev_b64 v[34:35], v34, v[2:3]
	v_lshrrev_b32_e32 v36, 3, v3
	v_sub_u32_e32 v35, 29, v37
	v_and_b32_e32 v34, 7, v34
	v_cmp_gt_u32_e64 s[2:3], 8, v3
	v_cndmask_b32_e64 v3, v36, v35, s[2:3]
	v_cndmask_b32_e64 v7, v7, v34, s[2:3]
	v_lshlrev_b32_e32 v2, 24, v2
	v_lshlrev_b32_e32 v7, 20, v7
	v_and_b32_e32 v2, 0x80000000, v2
	v_lshl_add_u32 v3, v3, 23, v11
	v_or3_b32 v7, v2, v3, v7
.LBB342_300:                            ;   in Loop: Header=BB342_194 Depth=1
	s_or_b64 exec, exec, s[20:21]
.LBB342_301:                            ;   in Loop: Header=BB342_194 Depth=1
	s_or_b64 exec, exec, s[18:19]
.LBB342_302:                            ;   in Loop: Header=BB342_194 Depth=1
	s_or_b64 exec, exec, s[4:5]
	v_mul_f32_e32 v3, s36, v7
	v_and_b32_e32 v2, 0x7f800000, v3
	v_cmp_ne_u32_e64 s[2:3], s30, v2
                                        ; implicit-def: $vgpr2
	s_and_saveexec_b64 s[4:5], s[2:3]
	s_xor_b64 s[2:3], exec, s[4:5]
; %bb.303:                              ;   in Loop: Header=BB342_194 Depth=1
	v_bfe_u32 v2, v3, 16, 1
	v_add3_u32 v2, v3, v2, s31
                                        ; implicit-def: $vgpr3
; %bb.304:                              ;   in Loop: Header=BB342_194 Depth=1
	s_andn2_saveexec_b64 s[4:5], s[2:3]
; %bb.305:                              ;   in Loop: Header=BB342_194 Depth=1
	v_or_b32_e32 v2, 0x10000, v3
	v_cmp_eq_u32_sdwa s[2:3], v3, v17 src0_sel:WORD_0 src1_sel:DWORD
	v_cndmask_b32_e64 v2, v2, v3, s[2:3]
; %bb.306:                              ;   in Loop: Header=BB342_194 Depth=1
	s_or_b64 exec, exec, s[4:5]
	v_cmp_eq_u32_e64 s[2:3], s11, v10
	v_add_u32_e32 v7, -7, v19
	v_lshrrev_b32_e32 v34, 16, v16
	v_lshrrev_b32_e32 v33, 16, v33
	v_lshrrev_b32_e32 v32, 16, v32
	v_lshrrev_b32_e32 v31, 16, v31
	v_lshrrev_b32_e32 v16, 16, v9
	v_lshrrev_b32_e32 v3, 16, v8
	v_lshrrev_b32_e32 v6, 16, v6
	v_lshrrev_b32_e32 v2, 16, v2
	s_and_saveexec_b64 s[18:19], s[2:3]
	s_cbranch_execz .LBB342_308
; %bb.307:                              ;   in Loop: Header=BB342_194 Depth=1
	v_cmp_gt_i32_e64 s[4:5], s33, v7
	v_add_u32_e32 v8, -6, v19
	v_cndmask_b32_e64 v3, 0, v3, s[4:5]
	v_cmp_gt_i32_e64 s[4:5], s33, v8
	v_add_u32_e32 v8, -5, v19
	v_cndmask_b32_e64 v16, 0, v16, s[4:5]
	;; [unrolled: 3-line block ×6, first 2 shown]
	v_cmp_gt_i32_e64 s[4:5], s33, v8
	v_cndmask_b32_e64 v6, 0, v6, s[4:5]
	v_cmp_gt_i32_e64 s[4:5], s33, v19
	v_cndmask_b32_e64 v2, 0, v2, s[4:5]
.LBB342_308:                            ;   in Loop: Header=BB342_194 Depth=1
	s_or_b64 exec, exec, s[18:19]
	v_and_b32_e32 v8, 0xffff0000, v30
	v_lshlrev_b32_e32 v3, 16, v3
	v_mul_f32_e32 v9, v8, v3
	v_and_b32_e32 v3, 0x7f800000, v9
	v_cmp_ne_u32_e64 s[4:5], s30, v3
                                        ; implicit-def: $vgpr3
	s_and_saveexec_b64 s[18:19], s[4:5]
	s_xor_b64 s[4:5], exec, s[18:19]
; %bb.309:                              ;   in Loop: Header=BB342_194 Depth=1
	v_bfe_u32 v3, v9, 16, 1
	v_add3_u32 v3, v9, v3, s31
                                        ; implicit-def: $vgpr9
; %bb.310:                              ;   in Loop: Header=BB342_194 Depth=1
	s_andn2_saveexec_b64 s[18:19], s[4:5]
; %bb.311:                              ;   in Loop: Header=BB342_194 Depth=1
	v_or_b32_e32 v3, 0x10000, v9
	v_cmp_eq_u32_sdwa s[4:5], v9, v17 src0_sel:WORD_0 src1_sel:DWORD
	v_cndmask_b32_e64 v3, v3, v9, s[4:5]
; %bb.312:                              ;   in Loop: Header=BB342_194 Depth=1
	s_or_b64 exec, exec, s[18:19]
	v_and_b32_e32 v9, 0xffff0000, v29
	v_lshlrev_b32_e32 v16, 16, v16
	v_mul_f32_e32 v29, v9, v16
	v_and_b32_e32 v16, 0x7f800000, v29
	v_cmp_ne_u32_e64 s[4:5], s30, v16
                                        ; implicit-def: $vgpr16
	s_and_saveexec_b64 s[18:19], s[4:5]
	s_xor_b64 s[4:5], exec, s[18:19]
; %bb.313:                              ;   in Loop: Header=BB342_194 Depth=1
	v_bfe_u32 v16, v29, 16, 1
	v_add3_u32 v16, v29, v16, s31
                                        ; implicit-def: $vgpr29
; %bb.314:                              ;   in Loop: Header=BB342_194 Depth=1
	s_andn2_saveexec_b64 s[18:19], s[4:5]
; %bb.315:                              ;   in Loop: Header=BB342_194 Depth=1
	v_or_b32_e32 v16, 0x10000, v29
	v_cmp_eq_u32_sdwa s[4:5], v29, v17 src0_sel:WORD_0 src1_sel:DWORD
	v_cndmask_b32_e64 v16, v16, v29, s[4:5]
; %bb.316:                              ;   in Loop: Header=BB342_194 Depth=1
	s_or_b64 exec, exec, s[18:19]
	v_and_b32_e32 v23, 0xffff0000, v23
	v_lshlrev_b32_e32 v29, 16, v31
	v_mul_f32_e32 v30, v23, v29
	v_and_b32_e32 v29, 0x7f800000, v30
	v_cmp_ne_u32_e64 s[4:5], s30, v29
                                        ; implicit-def: $vgpr29
	s_and_saveexec_b64 s[18:19], s[4:5]
	s_xor_b64 s[4:5], exec, s[18:19]
; %bb.317:                              ;   in Loop: Header=BB342_194 Depth=1
	v_bfe_u32 v29, v30, 16, 1
	v_add3_u32 v29, v30, v29, s31
                                        ; implicit-def: $vgpr30
; %bb.318:                              ;   in Loop: Header=BB342_194 Depth=1
	s_andn2_saveexec_b64 s[18:19], s[4:5]
; %bb.319:                              ;   in Loop: Header=BB342_194 Depth=1
	v_or_b32_e32 v29, 0x10000, v30
	v_cmp_eq_u32_sdwa s[4:5], v30, v17 src0_sel:WORD_0 src1_sel:DWORD
	v_cndmask_b32_e64 v29, v29, v30, s[4:5]
; %bb.320:                              ;   in Loop: Header=BB342_194 Depth=1
	s_or_b64 exec, exec, s[18:19]
	v_and_b32_e32 v24, 0xffff0000, v24
	v_lshlrev_b32_e32 v30, 16, v32
	v_mul_f32_e32 v31, v24, v30
	v_and_b32_e32 v30, 0x7f800000, v31
	v_cmp_ne_u32_e64 s[4:5], s30, v30
                                        ; implicit-def: $vgpr30
	s_and_saveexec_b64 s[18:19], s[4:5]
	s_xor_b64 s[4:5], exec, s[18:19]
; %bb.321:                              ;   in Loop: Header=BB342_194 Depth=1
	v_bfe_u32 v30, v31, 16, 1
	v_add3_u32 v30, v31, v30, s31
                                        ; implicit-def: $vgpr31
; %bb.322:                              ;   in Loop: Header=BB342_194 Depth=1
	s_andn2_saveexec_b64 s[18:19], s[4:5]
; %bb.323:                              ;   in Loop: Header=BB342_194 Depth=1
	v_or_b32_e32 v30, 0x10000, v31
	v_cmp_eq_u32_sdwa s[4:5], v31, v17 src0_sel:WORD_0 src1_sel:DWORD
	v_cndmask_b32_e64 v30, v30, v31, s[4:5]
; %bb.324:                              ;   in Loop: Header=BB342_194 Depth=1
	s_or_b64 exec, exec, s[18:19]
	v_and_b32_e32 v25, 0xffff0000, v25
	v_lshlrev_b32_e32 v31, 16, v33
	v_mul_f32_e32 v32, v25, v31
	v_and_b32_e32 v31, 0x7f800000, v32
	v_cmp_ne_u32_e64 s[4:5], s30, v31
                                        ; implicit-def: $vgpr31
	s_and_saveexec_b64 s[18:19], s[4:5]
	s_xor_b64 s[4:5], exec, s[18:19]
; %bb.325:                              ;   in Loop: Header=BB342_194 Depth=1
	v_bfe_u32 v31, v32, 16, 1
	v_add3_u32 v31, v32, v31, s31
                                        ; implicit-def: $vgpr32
; %bb.326:                              ;   in Loop: Header=BB342_194 Depth=1
	s_andn2_saveexec_b64 s[18:19], s[4:5]
; %bb.327:                              ;   in Loop: Header=BB342_194 Depth=1
	v_or_b32_e32 v31, 0x10000, v32
	v_cmp_eq_u32_sdwa s[4:5], v32, v17 src0_sel:WORD_0 src1_sel:DWORD
	v_cndmask_b32_e64 v31, v31, v32, s[4:5]
; %bb.328:                              ;   in Loop: Header=BB342_194 Depth=1
	s_or_b64 exec, exec, s[18:19]
	v_and_b32_e32 v26, 0xffff0000, v26
	v_lshlrev_b32_e32 v32, 16, v34
	v_mul_f32_e32 v33, v26, v32
	v_and_b32_e32 v32, 0x7f800000, v33
	v_cmp_ne_u32_e64 s[4:5], s30, v32
                                        ; implicit-def: $vgpr32
	s_and_saveexec_b64 s[18:19], s[4:5]
	s_xor_b64 s[4:5], exec, s[18:19]
; %bb.329:                              ;   in Loop: Header=BB342_194 Depth=1
	v_bfe_u32 v32, v33, 16, 1
	v_add3_u32 v32, v33, v32, s31
                                        ; implicit-def: $vgpr33
; %bb.330:                              ;   in Loop: Header=BB342_194 Depth=1
	s_andn2_saveexec_b64 s[18:19], s[4:5]
; %bb.331:                              ;   in Loop: Header=BB342_194 Depth=1
	v_or_b32_e32 v32, 0x10000, v33
	v_cmp_eq_u32_sdwa s[4:5], v33, v17 src0_sel:WORD_0 src1_sel:DWORD
	v_cndmask_b32_e64 v32, v32, v33, s[4:5]
; %bb.332:                              ;   in Loop: Header=BB342_194 Depth=1
	s_or_b64 exec, exec, s[18:19]
	v_and_b32_e32 v27, 0xffff0000, v27
	v_lshlrev_b32_e32 v6, 16, v6
	v_mul_f32_e32 v33, v27, v6
	v_and_b32_e32 v6, 0x7f800000, v33
	v_cmp_ne_u32_e64 s[4:5], s30, v6
                                        ; implicit-def: $vgpr6
	s_and_saveexec_b64 s[18:19], s[4:5]
	s_xor_b64 s[4:5], exec, s[18:19]
; %bb.333:                              ;   in Loop: Header=BB342_194 Depth=1
	v_bfe_u32 v6, v33, 16, 1
	v_add3_u32 v6, v33, v6, s31
                                        ; implicit-def: $vgpr33
; %bb.334:                              ;   in Loop: Header=BB342_194 Depth=1
	s_andn2_saveexec_b64 s[18:19], s[4:5]
; %bb.335:                              ;   in Loop: Header=BB342_194 Depth=1
	v_or_b32_e32 v6, 0x10000, v33
	v_cmp_eq_u32_sdwa s[4:5], v33, v17 src0_sel:WORD_0 src1_sel:DWORD
	v_cndmask_b32_e64 v6, v6, v33, s[4:5]
; %bb.336:                              ;   in Loop: Header=BB342_194 Depth=1
	s_or_b64 exec, exec, s[18:19]
	v_and_b32_e32 v28, 0xffff0000, v28
	v_lshlrev_b32_e32 v2, 16, v2
	v_mul_f32_e32 v2, v28, v2
	v_and_b32_e32 v33, 0x7f800000, v2
	v_cmp_ne_u32_e64 s[4:5], s30, v33
                                        ; implicit-def: $vgpr33
	s_and_saveexec_b64 s[18:19], s[4:5]
	s_xor_b64 s[4:5], exec, s[18:19]
; %bb.337:                              ;   in Loop: Header=BB342_194 Depth=1
	v_bfe_u32 v33, v2, 16, 1
	v_add3_u32 v33, v2, v33, s31
                                        ; implicit-def: $vgpr2
; %bb.338:                              ;   in Loop: Header=BB342_194 Depth=1
	s_andn2_saveexec_b64 s[18:19], s[4:5]
; %bb.339:                              ;   in Loop: Header=BB342_194 Depth=1
	v_or_b32_e32 v33, 0x10000, v2
	v_cmp_eq_u32_sdwa s[4:5], v2, v17 src0_sel:WORD_0 src1_sel:DWORD
	v_cndmask_b32_e64 v33, v33, v2, s[4:5]
; %bb.340:                              ;   in Loop: Header=BB342_194 Depth=1
	s_or_b64 exec, exec, s[18:19]
	v_and_b32_e32 v34, 0xffff0000, v31
	v_and_b32_e32 v31, 0xffff0000, v30
	;; [unrolled: 1-line block ×5, first 2 shown]
	v_pk_add_f32 v[2:3], v[36:37], v[30:31]
	v_and_b32_e32 v33, 0xffff0000, v33
	v_and_b32_e32 v32, 0xffff0000, v32
	;; [unrolled: 1-line block ×3, first 2 shown]
	v_mov_b32_e32 v6, v3
	v_pk_add_f32 v[2:3], v[2:3], v[6:7]
	v_pk_add_f32 v[30:31], v[34:35], v[32:33]
	;; [unrolled: 1-line block ×3, first 2 shown]
	v_mov_b32_e32 v6, v31
	v_pk_add_f32 v[2:3], v[2:3], v[6:7]
	v_pk_add_f32 v[2:3], v[12:13], v[2:3]
	s_and_saveexec_b64 s[18:19], vcc
	s_cbranch_execz .LBB342_193
; %bb.341:                              ;   in Loop: Header=BB342_194 Depth=1
	v_add_co_u32_e64 v4, s[4:5], v4, v18
	v_addc_co_u32_e64 v5, s[4:5], 0, v5, s[4:5]
	global_load_dwordx2 v[4:5], v[4:5], off
	v_mov_b32_e32 v3, 0
	s_waitcnt vmcnt(0)
	v_cmp_ne_u16_sdwa s[4:5], v4, v17 src0_sel:BYTE_0 src1_sel:DWORD
	s_and_saveexec_b64 s[20:21], s[4:5]
	s_cbranch_execz .LBB342_347
; %bb.342:                              ;   in Loop: Header=BB342_194 Depth=1
	v_cmp_ne_u16_sdwa s[4:5], v4, s34 src0_sel:BYTE_0 src1_sel:DWORD
	v_bfrev_b32_e32 v3, 1
	s_and_saveexec_b64 s[22:23], s[4:5]
	s_cbranch_execz .LBB342_346
; %bb.343:                              ;   in Loop: Header=BB342_194 Depth=1
	v_and_b32_e32 v6, 0x7f, v4
	v_cmp_ne_u32_e64 s[4:5], s35, v6
	v_mov_b32_e32 v3, 0x7f800001
	s_and_saveexec_b64 s[28:29], s[4:5]
	s_cbranch_execz .LBB342_345
; %bb.344:                              ;   in Loop: Header=BB342_194 Depth=1
	v_and_b32_e32 v3, 7, v4
	v_ffbh_u32_e32 v3, v3
	v_min_u32_e32 v3, 32, v3
	v_subrev_u32_e32 v29, 28, v3
	v_cmp_gt_u32_e64 s[4:5], 8, v6
	v_lshrrev_b32_e32 v16, 3, v6
	v_cndmask_b32_e64 v6, 0, v29, s[4:5]
	v_sub_u32_e32 v3, 29, v3
	v_lshlrev_b64 v[30:31], v6, v[4:5]
	v_cndmask_b32_e64 v3, v16, v3, s[4:5]
	v_lshlrev_b32_e32 v6, 20, v30
	v_lshlrev_b32_e32 v16, 24, v4
	v_and_b32_e32 v6, 0x700000, v6
	v_and_b32_e32 v16, 0x80000000, v16
	v_lshl_add_u32 v3, v3, 23, v11
	v_or3_b32 v3, v16, v3, v6
.LBB342_345:                            ;   in Loop: Header=BB342_194 Depth=1
	s_or_b64 exec, exec, s[28:29]
.LBB342_346:                            ;   in Loop: Header=BB342_194 Depth=1
	s_or_b64 exec, exec, s[22:23]
.LBB342_347:                            ;   in Loop: Header=BB342_194 Depth=1
	s_or_b64 exec, exec, s[20:21]
	v_mul_f32_e32 v6, s36, v3
	v_and_b32_e32 v3, 0x7f800000, v6
	v_cmp_ne_u32_e64 s[4:5], s30, v3
                                        ; implicit-def: $vgpr3
	s_and_saveexec_b64 s[20:21], s[4:5]
	s_xor_b64 s[4:5], exec, s[20:21]
; %bb.348:                              ;   in Loop: Header=BB342_194 Depth=1
	v_bfe_u32 v3, v6, 16, 1
	v_add3_u32 v3, v6, v3, s31
                                        ; implicit-def: $vgpr6
; %bb.349:                              ;   in Loop: Header=BB342_194 Depth=1
	s_andn2_saveexec_b64 s[20:21], s[4:5]
; %bb.350:                              ;   in Loop: Header=BB342_194 Depth=1
	v_or_b32_e32 v3, 0x10000, v6
	v_cmp_eq_u32_sdwa s[4:5], v6, v17 src0_sel:WORD_0 src1_sel:DWORD
	v_cndmask_b32_e64 v3, v3, v6, s[4:5]
; %bb.351:                              ;   in Loop: Header=BB342_194 Depth=1
	s_or_b64 exec, exec, s[20:21]
	v_lshrrev_b16_e32 v6, 8, v4
	v_cmp_ne_u16_e64 s[4:5], 0, v6
	v_mov_b32_e32 v16, 0
	s_and_saveexec_b64 s[20:21], s[4:5]
	s_cbranch_execz .LBB342_357
; %bb.352:                              ;   in Loop: Header=BB342_194 Depth=1
	v_cmp_ne_u16_e64 s[4:5], s34, v6
	v_bfrev_b32_e32 v16, 1
	s_and_saveexec_b64 s[22:23], s[4:5]
	s_cbranch_execz .LBB342_356
; %bb.353:                              ;   in Loop: Header=BB342_194 Depth=1
	v_and_b32_e32 v29, 0x7f, v6
	v_cmp_ne_u32_e64 s[4:5], s35, v29
	v_mov_b32_e32 v16, 0x7f800001
	s_and_saveexec_b64 s[28:29], s[4:5]
	s_cbranch_execz .LBB342_355
; %bb.354:                              ;   in Loop: Header=BB342_194 Depth=1
	v_and_b32_e32 v16, 7, v6
	v_ffbh_u32_e32 v30, v16
	v_min_u32_e32 v33, 32, v30
	v_subrev_u32_e32 v30, 28, v33
	v_lshlrev_b64 v[30:31], v30, v[6:7]
	v_lshrrev_b32_e32 v32, 3, v29
	v_sub_u32_e32 v6, 29, v33
	v_and_b32_e32 v30, 7, v30
	v_cmp_gt_u32_e64 s[4:5], 8, v29
	v_cndmask_b32_e64 v6, v32, v6, s[4:5]
	v_cndmask_b32_e64 v16, v16, v30, s[4:5]
	v_lshlrev_b32_e32 v29, 16, v4
	v_lshlrev_b32_e32 v16, 20, v16
	v_and_b32_e32 v29, 0x80000000, v29
	v_lshl_add_u32 v6, v6, 23, v11
	v_or3_b32 v16, v29, v6, v16
.LBB342_355:                            ;   in Loop: Header=BB342_194 Depth=1
	s_or_b64 exec, exec, s[28:29]
.LBB342_356:                            ;   in Loop: Header=BB342_194 Depth=1
	s_or_b64 exec, exec, s[22:23]
.LBB342_357:                            ;   in Loop: Header=BB342_194 Depth=1
	s_or_b64 exec, exec, s[20:21]
	v_mul_f32_e32 v6, s36, v16
	v_and_b32_e32 v16, 0x7f800000, v6
	v_cmp_ne_u32_e64 s[4:5], s30, v16
                                        ; implicit-def: $vgpr29
	s_and_saveexec_b64 s[20:21], s[4:5]
	s_xor_b64 s[4:5], exec, s[20:21]
; %bb.358:                              ;   in Loop: Header=BB342_194 Depth=1
	v_bfe_u32 v16, v6, 16, 1
	v_add3_u32 v29, v6, v16, s31
                                        ; implicit-def: $vgpr6
; %bb.359:                              ;   in Loop: Header=BB342_194 Depth=1
	s_andn2_saveexec_b64 s[20:21], s[4:5]
; %bb.360:                              ;   in Loop: Header=BB342_194 Depth=1
	v_or_b32_e32 v16, 0x10000, v6
	v_cmp_eq_u32_sdwa s[4:5], v6, v17 src0_sel:WORD_0 src1_sel:DWORD
	v_cndmask_b32_e64 v29, v16, v6, s[4:5]
; %bb.361:                              ;   in Loop: Header=BB342_194 Depth=1
	s_or_b64 exec, exec, s[20:21]
	v_lshrrev_b32_e32 v6, 16, v4
	v_cmp_ne_u16_sdwa s[4:5], v6, v17 src0_sel:BYTE_0 src1_sel:DWORD
	v_mov_b32_e32 v16, 0
	s_and_saveexec_b64 s[20:21], s[4:5]
	s_cbranch_execz .LBB342_367
; %bb.362:                              ;   in Loop: Header=BB342_194 Depth=1
	v_cmp_ne_u16_sdwa s[4:5], v6, s34 src0_sel:BYTE_0 src1_sel:DWORD
	v_bfrev_b32_e32 v16, 1
	s_and_saveexec_b64 s[22:23], s[4:5]
	s_cbranch_execz .LBB342_366
; %bb.363:                              ;   in Loop: Header=BB342_194 Depth=1
	v_bfe_u32 v30, v4, 16, 7
	v_cmp_ne_u32_e64 s[4:5], s35, v30
	v_mov_b32_e32 v16, 0x7f800001
	s_and_saveexec_b64 s[28:29], s[4:5]
	s_cbranch_execz .LBB342_365
; %bb.364:                              ;   in Loop: Header=BB342_194 Depth=1
	v_and_b32_e32 v16, 7, v6
	v_ffbh_u32_e32 v32, v16
	v_min_u32_e32 v34, 32, v32
	v_subrev_u32_e32 v32, 28, v34
	v_lshlrev_b64 v[32:33], v32, v[6:7]
	v_lshrrev_b32_e32 v31, 3, v30
	v_sub_u32_e32 v33, 29, v34
	v_and_b32_e32 v32, 7, v32
	v_cmp_gt_u32_e64 s[4:5], 8, v30
	v_cndmask_b32_e64 v30, v31, v33, s[4:5]
	v_cndmask_b32_e64 v16, v16, v32, s[4:5]
	v_lshlrev_b32_e32 v6, 24, v6
	v_lshlrev_b32_e32 v16, 20, v16
	v_and_b32_e32 v6, 0x80000000, v6
	v_lshl_add_u32 v30, v30, 23, v11
	v_or3_b32 v16, v6, v30, v16
.LBB342_365:                            ;   in Loop: Header=BB342_194 Depth=1
	s_or_b64 exec, exec, s[28:29]
.LBB342_366:                            ;   in Loop: Header=BB342_194 Depth=1
	s_or_b64 exec, exec, s[22:23]
.LBB342_367:                            ;   in Loop: Header=BB342_194 Depth=1
	s_or_b64 exec, exec, s[20:21]
	v_mul_f32_e32 v6, s36, v16
	v_and_b32_e32 v16, 0x7f800000, v6
	v_cmp_ne_u32_e64 s[4:5], s30, v16
                                        ; implicit-def: $vgpr30
	s_and_saveexec_b64 s[20:21], s[4:5]
	s_xor_b64 s[4:5], exec, s[20:21]
; %bb.368:                              ;   in Loop: Header=BB342_194 Depth=1
	v_bfe_u32 v16, v6, 16, 1
	v_add3_u32 v30, v6, v16, s31
                                        ; implicit-def: $vgpr6
; %bb.369:                              ;   in Loop: Header=BB342_194 Depth=1
	s_andn2_saveexec_b64 s[20:21], s[4:5]
; %bb.370:                              ;   in Loop: Header=BB342_194 Depth=1
	v_or_b32_e32 v16, 0x10000, v6
	v_cmp_eq_u32_sdwa s[4:5], v6, v17 src0_sel:WORD_0 src1_sel:DWORD
	v_cndmask_b32_e64 v30, v16, v6, s[4:5]
; %bb.371:                              ;   in Loop: Header=BB342_194 Depth=1
	s_or_b64 exec, exec, s[20:21]
	v_cmp_lt_u32_e64 s[4:5], s17, v4
	v_mov_b32_e32 v16, 0
	s_and_saveexec_b64 s[20:21], s[4:5]
	s_cbranch_execz .LBB342_377
; %bb.372:                              ;   in Loop: Header=BB342_194 Depth=1
	v_lshrrev_b32_e32 v6, 24, v4
	v_cmp_ne_u32_e64 s[4:5], s34, v6
	v_bfrev_b32_e32 v16, 1
	s_and_saveexec_b64 s[22:23], s[4:5]
	s_cbranch_execz .LBB342_376
; %bb.373:                              ;   in Loop: Header=BB342_194 Depth=1
	v_bfe_u32 v31, v4, 24, 7
	v_cmp_ne_u32_e64 s[4:5], s35, v31
	v_mov_b32_e32 v16, 0x7f800001
	s_and_saveexec_b64 s[28:29], s[4:5]
	s_cbranch_execz .LBB342_375
; %bb.374:                              ;   in Loop: Header=BB342_194 Depth=1
	v_and_b32_e32 v16, 7, v6
	v_ffbh_u32_e32 v32, v16
	v_min_u32_e32 v35, 32, v32
	v_subrev_u32_e32 v32, 28, v35
	v_lshlrev_b64 v[32:33], v32, v[6:7]
	v_lshrrev_b32_e32 v34, 3, v31
	v_sub_u32_e32 v33, 29, v35
	v_and_b32_e32 v32, 7, v32
	v_cmp_gt_u32_e64 s[4:5], 8, v31
	v_cndmask_b32_e64 v31, v34, v33, s[4:5]
	v_cndmask_b32_e64 v16, v16, v32, s[4:5]
	v_lshlrev_b32_e32 v6, 24, v6
	v_lshlrev_b32_e32 v16, 20, v16
	v_and_b32_e32 v6, 0x80000000, v6
	v_lshl_add_u32 v31, v31, 23, v11
	v_or3_b32 v16, v6, v31, v16
.LBB342_375:                            ;   in Loop: Header=BB342_194 Depth=1
	s_or_b64 exec, exec, s[28:29]
.LBB342_376:                            ;   in Loop: Header=BB342_194 Depth=1
	s_or_b64 exec, exec, s[22:23]
.LBB342_377:                            ;   in Loop: Header=BB342_194 Depth=1
	s_or_b64 exec, exec, s[20:21]
	v_mul_f32_e32 v6, s36, v16
	v_and_b32_e32 v16, 0x7f800000, v6
	v_cmp_ne_u32_e64 s[4:5], s30, v16
                                        ; implicit-def: $vgpr31
	s_and_saveexec_b64 s[20:21], s[4:5]
	s_xor_b64 s[4:5], exec, s[20:21]
; %bb.378:                              ;   in Loop: Header=BB342_194 Depth=1
	v_bfe_u32 v16, v6, 16, 1
	v_add3_u32 v31, v6, v16, s31
                                        ; implicit-def: $vgpr6
; %bb.379:                              ;   in Loop: Header=BB342_194 Depth=1
	s_andn2_saveexec_b64 s[20:21], s[4:5]
; %bb.380:                              ;   in Loop: Header=BB342_194 Depth=1
	v_or_b32_e32 v16, 0x10000, v6
	v_cmp_eq_u32_sdwa s[4:5], v6, v17 src0_sel:WORD_0 src1_sel:DWORD
	v_cndmask_b32_e64 v31, v16, v6, s[4:5]
; %bb.381:                              ;   in Loop: Header=BB342_194 Depth=1
	s_or_b64 exec, exec, s[20:21]
	v_mov_b32_e32 v16, v5
	v_cmp_ne_u16_sdwa s[4:5], v5, v17 src0_sel:BYTE_0 src1_sel:DWORD
	v_mov_b32_e32 v6, 0
	s_and_saveexec_b64 s[20:21], s[4:5]
	s_cbranch_execz .LBB342_387
; %bb.382:                              ;   in Loop: Header=BB342_194 Depth=1
	v_cmp_ne_u16_sdwa s[4:5], v5, s34 src0_sel:BYTE_0 src1_sel:DWORD
	v_bfrev_b32_e32 v6, 1
	s_and_saveexec_b64 s[22:23], s[4:5]
	s_cbranch_execz .LBB342_386
; %bb.383:                              ;   in Loop: Header=BB342_194 Depth=1
	v_and_b32_e32 v32, 0x7f, v5
	v_cmp_ne_u32_e64 s[4:5], s35, v32
	v_mov_b32_e32 v6, 0x7f800001
	s_and_saveexec_b64 s[28:29], s[4:5]
	s_cbranch_execz .LBB342_385
; %bb.384:                              ;   in Loop: Header=BB342_194 Depth=1
	v_and_b32_e32 v6, 7, v5
	v_ffbh_u32_e32 v6, v6
	v_min_u32_e32 v6, 32, v6
	v_subrev_u32_e32 v34, 28, v6
	v_cmp_gt_u32_e64 s[4:5], 8, v32
	v_lshrrev_b32_e32 v33, 3, v32
	v_sub_u32_e32 v6, 29, v6
	v_cndmask_b32_e64 v32, 0, v34, s[4:5]
	v_cndmask_b32_e64 v6, v33, v6, s[4:5]
	v_lshlrev_b64 v[32:33], v32, v[16:17]
	v_lshlrev_b32_e32 v32, 20, v32
	v_lshlrev_b32_e32 v33, 24, v16
	v_and_b32_e32 v32, 0x700000, v32
	v_and_b32_e32 v33, 0x80000000, v33
	v_lshl_add_u32 v6, v6, 23, v11
	v_or3_b32 v6, v33, v6, v32
.LBB342_385:                            ;   in Loop: Header=BB342_194 Depth=1
	s_or_b64 exec, exec, s[28:29]
.LBB342_386:                            ;   in Loop: Header=BB342_194 Depth=1
	s_or_b64 exec, exec, s[22:23]
.LBB342_387:                            ;   in Loop: Header=BB342_194 Depth=1
	s_or_b64 exec, exec, s[20:21]
	v_mul_f32_e32 v6, s36, v6
	v_and_b32_e32 v32, 0x7f800000, v6
	v_cmp_ne_u32_e64 s[4:5], s30, v32
                                        ; implicit-def: $vgpr32
	s_and_saveexec_b64 s[20:21], s[4:5]
	s_xor_b64 s[4:5], exec, s[20:21]
; %bb.388:                              ;   in Loop: Header=BB342_194 Depth=1
	v_bfe_u32 v32, v6, 16, 1
	v_add3_u32 v32, v6, v32, s31
                                        ; implicit-def: $vgpr6
; %bb.389:                              ;   in Loop: Header=BB342_194 Depth=1
	s_andn2_saveexec_b64 s[20:21], s[4:5]
; %bb.390:                              ;   in Loop: Header=BB342_194 Depth=1
	v_or_b32_e32 v32, 0x10000, v6
	v_cmp_eq_u32_sdwa s[4:5], v6, v17 src0_sel:WORD_0 src1_sel:DWORD
	v_cndmask_b32_e64 v32, v32, v6, s[4:5]
; %bb.391:                              ;   in Loop: Header=BB342_194 Depth=1
	s_or_b64 exec, exec, s[20:21]
	v_lshrrev_b16_e32 v6, 8, v16
	v_cmp_ne_u16_e64 s[4:5], 0, v6
	v_mov_b32_e32 v33, 0
	s_and_saveexec_b64 s[20:21], s[4:5]
	s_cbranch_execz .LBB342_397
; %bb.392:                              ;   in Loop: Header=BB342_194 Depth=1
	v_cmp_ne_u16_e64 s[4:5], s34, v6
	v_bfrev_b32_e32 v33, 1
	s_and_saveexec_b64 s[22:23], s[4:5]
	s_cbranch_execz .LBB342_396
; %bb.393:                              ;   in Loop: Header=BB342_194 Depth=1
	v_and_b32_e32 v34, 0x7f, v6
	v_cmp_ne_u32_e64 s[4:5], s35, v34
	v_mov_b32_e32 v33, 0x7f800001
	s_and_saveexec_b64 s[28:29], s[4:5]
	s_cbranch_execz .LBB342_395
; %bb.394:                              ;   in Loop: Header=BB342_194 Depth=1
	v_and_b32_e32 v33, 7, v6
	v_ffbh_u32_e32 v36, v33
	v_min_u32_e32 v38, 32, v36
	v_subrev_u32_e32 v36, 28, v38
	v_lshlrev_b64 v[36:37], v36, v[6:7]
	v_lshrrev_b32_e32 v35, 3, v34
	v_sub_u32_e32 v6, 29, v38
	v_and_b32_e32 v36, 7, v36
	v_cmp_gt_u32_e64 s[4:5], 8, v34
	v_cndmask_b32_e64 v6, v35, v6, s[4:5]
	v_cndmask_b32_e64 v33, v33, v36, s[4:5]
	v_lshlrev_b32_e32 v16, 16, v16
	v_lshlrev_b32_e32 v33, 20, v33
	v_and_b32_e32 v16, 0x80000000, v16
	v_lshl_add_u32 v6, v6, 23, v11
	v_or3_b32 v33, v16, v6, v33
.LBB342_395:                            ;   in Loop: Header=BB342_194 Depth=1
	s_or_b64 exec, exec, s[28:29]
.LBB342_396:                            ;   in Loop: Header=BB342_194 Depth=1
	s_or_b64 exec, exec, s[22:23]
.LBB342_397:                            ;   in Loop: Header=BB342_194 Depth=1
	s_or_b64 exec, exec, s[20:21]
	v_mul_f32_e32 v6, s36, v33
	v_and_b32_e32 v16, 0x7f800000, v6
	v_cmp_ne_u32_e64 s[4:5], s30, v16
                                        ; implicit-def: $vgpr16
	s_and_saveexec_b64 s[20:21], s[4:5]
	s_xor_b64 s[4:5], exec, s[20:21]
; %bb.398:                              ;   in Loop: Header=BB342_194 Depth=1
	v_bfe_u32 v16, v6, 16, 1
	v_add3_u32 v16, v6, v16, s31
                                        ; implicit-def: $vgpr6
; %bb.399:                              ;   in Loop: Header=BB342_194 Depth=1
	s_andn2_saveexec_b64 s[20:21], s[4:5]
; %bb.400:                              ;   in Loop: Header=BB342_194 Depth=1
	v_or_b32_e32 v16, 0x10000, v6
	v_cmp_eq_u32_sdwa s[4:5], v6, v17 src0_sel:WORD_0 src1_sel:DWORD
	v_cndmask_b32_e64 v16, v16, v6, s[4:5]
; %bb.401:                              ;   in Loop: Header=BB342_194 Depth=1
	s_or_b64 exec, exec, s[20:21]
	v_lshrrev_b32_e32 v6, 16, v5
	v_cmp_ne_u16_sdwa s[4:5], v6, v17 src0_sel:BYTE_0 src1_sel:DWORD
	v_mov_b32_e32 v33, 0
	s_and_saveexec_b64 s[20:21], s[4:5]
	s_cbranch_execz .LBB342_407
; %bb.402:                              ;   in Loop: Header=BB342_194 Depth=1
	v_cmp_ne_u16_sdwa s[4:5], v6, s34 src0_sel:BYTE_0 src1_sel:DWORD
	v_bfrev_b32_e32 v33, 1
	s_and_saveexec_b64 s[22:23], s[4:5]
	s_cbranch_execz .LBB342_406
; %bb.403:                              ;   in Loop: Header=BB342_194 Depth=1
	v_bfe_u32 v34, v5, 16, 7
	v_cmp_ne_u32_e64 s[4:5], s35, v34
	v_mov_b32_e32 v33, 0x7f800001
	s_and_saveexec_b64 s[28:29], s[4:5]
	s_cbranch_execz .LBB342_405
; %bb.404:                              ;   in Loop: Header=BB342_194 Depth=1
	v_and_b32_e32 v33, 7, v6
	v_ffbh_u32_e32 v36, v33
	v_min_u32_e32 v38, 32, v36
	v_subrev_u32_e32 v36, 28, v38
	v_lshlrev_b64 v[36:37], v36, v[6:7]
	v_lshrrev_b32_e32 v35, 3, v34
	v_sub_u32_e32 v37, 29, v38
	v_and_b32_e32 v36, 7, v36
	v_cmp_gt_u32_e64 s[4:5], 8, v34
	v_cndmask_b32_e64 v34, v35, v37, s[4:5]
	v_cndmask_b32_e64 v33, v33, v36, s[4:5]
	v_lshlrev_b32_e32 v6, 24, v6
	v_lshlrev_b32_e32 v33, 20, v33
	v_and_b32_e32 v6, 0x80000000, v6
	v_lshl_add_u32 v34, v34, 23, v11
	v_or3_b32 v33, v6, v34, v33
.LBB342_405:                            ;   in Loop: Header=BB342_194 Depth=1
	s_or_b64 exec, exec, s[28:29]
.LBB342_406:                            ;   in Loop: Header=BB342_194 Depth=1
	s_or_b64 exec, exec, s[22:23]
.LBB342_407:                            ;   in Loop: Header=BB342_194 Depth=1
	s_or_b64 exec, exec, s[20:21]
	v_mul_f32_e32 v33, s36, v33
	v_and_b32_e32 v6, 0x7f800000, v33
	v_cmp_ne_u32_e64 s[4:5], s30, v6
                                        ; implicit-def: $vgpr6
	s_and_saveexec_b64 s[20:21], s[4:5]
	s_xor_b64 s[4:5], exec, s[20:21]
; %bb.408:                              ;   in Loop: Header=BB342_194 Depth=1
	v_bfe_u32 v6, v33, 16, 1
	v_add3_u32 v6, v33, v6, s31
                                        ; implicit-def: $vgpr33
; %bb.409:                              ;   in Loop: Header=BB342_194 Depth=1
	s_andn2_saveexec_b64 s[20:21], s[4:5]
; %bb.410:                              ;   in Loop: Header=BB342_194 Depth=1
	v_or_b32_e32 v6, 0x10000, v33
	v_cmp_eq_u32_sdwa s[4:5], v33, v17 src0_sel:WORD_0 src1_sel:DWORD
	v_cndmask_b32_e64 v6, v6, v33, s[4:5]
; %bb.411:                              ;   in Loop: Header=BB342_194 Depth=1
	s_or_b64 exec, exec, s[20:21]
	v_cmp_lt_u64_e64 s[4:5], s[16:17], v[4:5]
	v_mov_b32_e32 v33, 0
	s_and_saveexec_b64 s[20:21], s[4:5]
	s_cbranch_execz .LBB342_417
; %bb.412:                              ;   in Loop: Header=BB342_194 Depth=1
	v_lshrrev_b32_e32 v4, 24, v5
	v_cmp_ne_u32_e64 s[4:5], s34, v4
	v_bfrev_b32_e32 v33, 1
	s_and_saveexec_b64 s[22:23], s[4:5]
	s_cbranch_execz .LBB342_416
; %bb.413:                              ;   in Loop: Header=BB342_194 Depth=1
	v_bfe_u32 v5, v5, 24, 7
	v_cmp_ne_u32_e64 s[4:5], s35, v5
	v_mov_b32_e32 v33, 0x7f800001
	s_and_saveexec_b64 s[28:29], s[4:5]
	s_cbranch_execz .LBB342_415
; %bb.414:                              ;   in Loop: Header=BB342_194 Depth=1
	v_and_b32_e32 v33, 7, v4
	v_ffbh_u32_e32 v34, v33
	v_min_u32_e32 v37, 32, v34
	v_subrev_u32_e32 v34, 28, v37
	v_lshlrev_b64 v[34:35], v34, v[4:5]
	v_lshrrev_b32_e32 v36, 3, v5
	v_sub_u32_e32 v35, 29, v37
	v_and_b32_e32 v34, 7, v34
	v_cmp_gt_u32_e64 s[4:5], 8, v5
	v_cndmask_b32_e64 v5, v36, v35, s[4:5]
	v_cndmask_b32_e64 v33, v33, v34, s[4:5]
	v_lshlrev_b32_e32 v4, 24, v4
	v_lshlrev_b32_e32 v33, 20, v33
	v_and_b32_e32 v4, 0x80000000, v4
	v_lshl_add_u32 v5, v5, 23, v11
	v_or3_b32 v33, v4, v5, v33
.LBB342_415:                            ;   in Loop: Header=BB342_194 Depth=1
	s_or_b64 exec, exec, s[28:29]
.LBB342_416:                            ;   in Loop: Header=BB342_194 Depth=1
	s_or_b64 exec, exec, s[22:23]
.LBB342_417:                            ;   in Loop: Header=BB342_194 Depth=1
	s_or_b64 exec, exec, s[20:21]
	v_mul_f32_e32 v4, s36, v33
	v_and_b32_e32 v5, 0x7f800000, v4
	v_cmp_ne_u32_e64 s[4:5], s30, v5
                                        ; implicit-def: $vgpr33
	s_and_saveexec_b64 s[20:21], s[4:5]
	s_xor_b64 s[4:5], exec, s[20:21]
; %bb.418:                              ;   in Loop: Header=BB342_194 Depth=1
	v_bfe_u32 v5, v4, 16, 1
	v_add3_u32 v33, v4, v5, s31
                                        ; implicit-def: $vgpr4
; %bb.419:                              ;   in Loop: Header=BB342_194 Depth=1
	s_andn2_saveexec_b64 s[20:21], s[4:5]
; %bb.420:                              ;   in Loop: Header=BB342_194 Depth=1
	v_or_b32_e32 v5, 0x10000, v4
	v_cmp_eq_u32_sdwa s[4:5], v4, v17 src0_sel:WORD_0 src1_sel:DWORD
	v_cndmask_b32_e64 v33, v5, v4, s[4:5]
; %bb.421:                              ;   in Loop: Header=BB342_194 Depth=1
	s_or_b64 exec, exec, s[20:21]
	v_lshrrev_b32_e32 v16, 16, v16
	v_lshrrev_b32_e32 v32, 16, v32
	;; [unrolled: 1-line block ×8, first 2 shown]
	s_and_saveexec_b64 s[4:5], s[2:3]
	s_cbranch_execz .LBB342_423
; %bb.422:                              ;   in Loop: Header=BB342_194 Depth=1
	v_cmp_gt_i32_e64 s[2:3], s33, v7
	v_add_u32_e32 v6, -6, v19
	v_cndmask_b32_e64 v4, 0, v4, s[2:3]
	v_cmp_gt_i32_e64 s[2:3], s33, v6
	v_add_u32_e32 v6, -5, v19
	v_cndmask_b32_e64 v29, 0, v29, s[2:3]
	;; [unrolled: 3-line block ×6, first 2 shown]
	v_cmp_gt_i32_e64 s[2:3], s33, v6
	v_cndmask_b32_e64 v5, 0, v5, s[2:3]
	v_cmp_gt_i32_e64 s[2:3], s33, v19
	v_cndmask_b32_e64 v3, 0, v3, s[2:3]
.LBB342_423:                            ;   in Loop: Header=BB342_194 Depth=1
	s_or_b64 exec, exec, s[4:5]
	v_lshlrev_b32_e32 v4, 16, v4
	v_mul_f32_e32 v6, v8, v4
	v_and_b32_e32 v4, 0x7f800000, v6
	v_cmp_ne_u32_e64 s[2:3], s30, v4
                                        ; implicit-def: $vgpr4
	s_and_saveexec_b64 s[4:5], s[2:3]
	s_xor_b64 s[2:3], exec, s[4:5]
; %bb.424:                              ;   in Loop: Header=BB342_194 Depth=1
	v_bfe_u32 v4, v6, 16, 1
	v_add3_u32 v4, v6, v4, s31
                                        ; implicit-def: $vgpr6
; %bb.425:                              ;   in Loop: Header=BB342_194 Depth=1
	s_andn2_saveexec_b64 s[4:5], s[2:3]
; %bb.426:                              ;   in Loop: Header=BB342_194 Depth=1
	v_or_b32_e32 v4, 0x10000, v6
	v_cmp_eq_u32_sdwa s[2:3], v6, v17 src0_sel:WORD_0 src1_sel:DWORD
	v_cndmask_b32_e64 v4, v4, v6, s[2:3]
; %bb.427:                              ;   in Loop: Header=BB342_194 Depth=1
	s_or_b64 exec, exec, s[4:5]
	v_lshlrev_b32_e32 v6, 16, v29
	v_mul_f32_e32 v7, v9, v6
	v_and_b32_e32 v6, 0x7f800000, v7
	v_cmp_ne_u32_e64 s[2:3], s30, v6
                                        ; implicit-def: $vgpr6
	s_and_saveexec_b64 s[4:5], s[2:3]
	s_xor_b64 s[2:3], exec, s[4:5]
; %bb.428:                              ;   in Loop: Header=BB342_194 Depth=1
	v_bfe_u32 v6, v7, 16, 1
	v_add3_u32 v6, v7, v6, s31
                                        ; implicit-def: $vgpr7
; %bb.429:                              ;   in Loop: Header=BB342_194 Depth=1
	s_andn2_saveexec_b64 s[4:5], s[2:3]
; %bb.430:                              ;   in Loop: Header=BB342_194 Depth=1
	v_or_b32_e32 v6, 0x10000, v7
	v_cmp_eq_u32_sdwa s[2:3], v7, v17 src0_sel:WORD_0 src1_sel:DWORD
	v_cndmask_b32_e64 v6, v6, v7, s[2:3]
; %bb.431:                              ;   in Loop: Header=BB342_194 Depth=1
	s_or_b64 exec, exec, s[4:5]
	v_lshlrev_b32_e32 v7, 16, v30
	v_mul_f32_e32 v8, v23, v7
	v_and_b32_e32 v7, 0x7f800000, v8
	v_cmp_ne_u32_e64 s[2:3], s30, v7
                                        ; implicit-def: $vgpr7
	s_and_saveexec_b64 s[4:5], s[2:3]
	s_xor_b64 s[2:3], exec, s[4:5]
; %bb.432:                              ;   in Loop: Header=BB342_194 Depth=1
	v_bfe_u32 v7, v8, 16, 1
	v_add3_u32 v7, v8, v7, s31
                                        ; implicit-def: $vgpr8
; %bb.433:                              ;   in Loop: Header=BB342_194 Depth=1
	s_andn2_saveexec_b64 s[4:5], s[2:3]
; %bb.434:                              ;   in Loop: Header=BB342_194 Depth=1
	v_or_b32_e32 v7, 0x10000, v8
	v_cmp_eq_u32_sdwa s[2:3], v8, v17 src0_sel:WORD_0 src1_sel:DWORD
	v_cndmask_b32_e64 v7, v7, v8, s[2:3]
; %bb.435:                              ;   in Loop: Header=BB342_194 Depth=1
	s_or_b64 exec, exec, s[4:5]
	v_lshlrev_b32_e32 v8, 16, v31
	v_mul_f32_e32 v9, v24, v8
	v_and_b32_e32 v8, 0x7f800000, v9
	v_cmp_ne_u32_e64 s[2:3], s30, v8
                                        ; implicit-def: $vgpr8
	s_and_saveexec_b64 s[4:5], s[2:3]
	s_xor_b64 s[2:3], exec, s[4:5]
; %bb.436:                              ;   in Loop: Header=BB342_194 Depth=1
	v_bfe_u32 v8, v9, 16, 1
	v_add3_u32 v8, v9, v8, s31
                                        ; implicit-def: $vgpr9
; %bb.437:                              ;   in Loop: Header=BB342_194 Depth=1
	s_andn2_saveexec_b64 s[4:5], s[2:3]
; %bb.438:                              ;   in Loop: Header=BB342_194 Depth=1
	v_or_b32_e32 v8, 0x10000, v9
	v_cmp_eq_u32_sdwa s[2:3], v9, v17 src0_sel:WORD_0 src1_sel:DWORD
	v_cndmask_b32_e64 v8, v8, v9, s[2:3]
; %bb.439:                              ;   in Loop: Header=BB342_194 Depth=1
	s_or_b64 exec, exec, s[4:5]
	v_lshlrev_b32_e32 v9, 16, v32
	v_mul_f32_e32 v23, v25, v9
	v_and_b32_e32 v9, 0x7f800000, v23
	v_cmp_ne_u32_e64 s[2:3], s30, v9
                                        ; implicit-def: $vgpr9
	s_and_saveexec_b64 s[4:5], s[2:3]
	s_xor_b64 s[2:3], exec, s[4:5]
; %bb.440:                              ;   in Loop: Header=BB342_194 Depth=1
	v_bfe_u32 v9, v23, 16, 1
	v_add3_u32 v9, v23, v9, s31
                                        ; implicit-def: $vgpr23
; %bb.441:                              ;   in Loop: Header=BB342_194 Depth=1
	s_andn2_saveexec_b64 s[4:5], s[2:3]
; %bb.442:                              ;   in Loop: Header=BB342_194 Depth=1
	v_or_b32_e32 v9, 0x10000, v23
	v_cmp_eq_u32_sdwa s[2:3], v23, v17 src0_sel:WORD_0 src1_sel:DWORD
	v_cndmask_b32_e64 v9, v9, v23, s[2:3]
; %bb.443:                              ;   in Loop: Header=BB342_194 Depth=1
	s_or_b64 exec, exec, s[4:5]
	v_lshlrev_b32_e32 v16, 16, v16
	v_mul_f32_e32 v23, v26, v16
	v_and_b32_e32 v16, 0x7f800000, v23
	v_cmp_ne_u32_e64 s[2:3], s30, v16
                                        ; implicit-def: $vgpr16
	s_and_saveexec_b64 s[4:5], s[2:3]
	s_xor_b64 s[2:3], exec, s[4:5]
; %bb.444:                              ;   in Loop: Header=BB342_194 Depth=1
	v_bfe_u32 v16, v23, 16, 1
	v_add3_u32 v16, v23, v16, s31
                                        ; implicit-def: $vgpr23
; %bb.445:                              ;   in Loop: Header=BB342_194 Depth=1
	s_andn2_saveexec_b64 s[4:5], s[2:3]
; %bb.446:                              ;   in Loop: Header=BB342_194 Depth=1
	v_or_b32_e32 v16, 0x10000, v23
	v_cmp_eq_u32_sdwa s[2:3], v23, v17 src0_sel:WORD_0 src1_sel:DWORD
	v_cndmask_b32_e64 v16, v16, v23, s[2:3]
; %bb.447:                              ;   in Loop: Header=BB342_194 Depth=1
	s_or_b64 exec, exec, s[4:5]
	v_lshlrev_b32_e32 v5, 16, v5
	v_mul_f32_e32 v23, v27, v5
	v_and_b32_e32 v5, 0x7f800000, v23
	v_cmp_ne_u32_e64 s[2:3], s30, v5
                                        ; implicit-def: $vgpr5
	s_and_saveexec_b64 s[4:5], s[2:3]
	s_xor_b64 s[2:3], exec, s[4:5]
; %bb.448:                              ;   in Loop: Header=BB342_194 Depth=1
	v_bfe_u32 v5, v23, 16, 1
	v_add3_u32 v5, v23, v5, s31
                                        ; implicit-def: $vgpr23
; %bb.449:                              ;   in Loop: Header=BB342_194 Depth=1
	s_andn2_saveexec_b64 s[4:5], s[2:3]
; %bb.450:                              ;   in Loop: Header=BB342_194 Depth=1
	v_or_b32_e32 v5, 0x10000, v23
	v_cmp_eq_u32_sdwa s[2:3], v23, v17 src0_sel:WORD_0 src1_sel:DWORD
	v_cndmask_b32_e64 v5, v5, v23, s[2:3]
; %bb.451:                              ;   in Loop: Header=BB342_194 Depth=1
	s_or_b64 exec, exec, s[4:5]
	v_lshlrev_b32_e32 v3, 16, v3
	v_mul_f32_e32 v3, v28, v3
	v_and_b32_e32 v23, 0x7f800000, v3
	v_cmp_ne_u32_e64 s[2:3], s30, v23
                                        ; implicit-def: $vgpr23
	s_and_saveexec_b64 s[4:5], s[2:3]
	s_xor_b64 s[2:3], exec, s[4:5]
; %bb.452:                              ;   in Loop: Header=BB342_194 Depth=1
	v_bfe_u32 v23, v3, 16, 1
	v_add3_u32 v23, v3, v23, s31
                                        ; implicit-def: $vgpr3
; %bb.453:                              ;   in Loop: Header=BB342_194 Depth=1
	s_andn2_saveexec_b64 s[4:5], s[2:3]
	s_cbranch_execz .LBB342_192
; %bb.454:                              ;   in Loop: Header=BB342_194 Depth=1
	v_or_b32_e32 v23, 0x10000, v3
	v_cmp_eq_u32_sdwa s[2:3], v3, v17 src0_sel:WORD_0 src1_sel:DWORD
	v_cndmask_b32_e64 v23, v23, v3, s[2:3]
	s_branch .LBB342_192
.LBB342_455:
	s_or_b64 exec, exec, s[14:15]
.LBB342_456:
	s_or_b64 exec, exec, s[6:7]
	v_and_b32_e32 v3, 0x3c0, v0
	v_cmp_eq_u32_e32 vcc, 64, v3
	s_barrier
	s_and_saveexec_b64 s[2:3], vcc
	s_cbranch_execz .LBB342_459
; %bb.457:
	v_mov_b32_e32 v3, 0x100
	v_lshl_add_u32 v4, v15, 2, v3
	ds_write_b32 v4, v2
	s_and_b64 exec, exec, s[0:1]
	s_cbranch_execz .LBB342_459
; %bb.458:
	v_lshl_add_u32 v3, v0, 2, v3
	ds_write_b32 v3, v13
.LBB342_459:
	s_or_b64 exec, exec, s[2:3]
	v_cmp_gt_u32_e32 vcc, 64, v0
	v_or_b32_e32 v3, 64, v0
	s_waitcnt lgkmcnt(0)
	s_barrier
	s_and_saveexec_b64 s[2:3], vcc
	s_cbranch_execz .LBB342_463
; %bb.460:
	v_mov_b32_e32 v4, 0x100
	v_lshl_add_u32 v4, v0, 2, v4
	ds_read_b32 v0, v4
	s_movk_i32 s0, 0x78
	v_cmp_gt_u32_e64 s[0:1], s0, v3
	s_and_saveexec_b64 s[4:5], s[0:1]
	s_cbranch_execz .LBB342_462
; %bb.461:
	ds_read_b32 v4, v4 offset:256
	s_waitcnt lgkmcnt(0)
	v_add_f32_e32 v13, v13, v4
.LBB342_462:
	s_or_b64 exec, exec, s[4:5]
	s_waitcnt lgkmcnt(0)
	v_add_f32_e32 v2, v2, v0
.LBB342_463:
	s_or_b64 exec, exec, s[2:3]
	s_barrier
	s_and_saveexec_b64 s[0:1], vcc
	s_cbranch_execz .LBB342_474
; %bb.464:
	s_mov_b32 s0, 0x7f800000
	v_and_b32_e32 v0, 0x7f800000, v2
	v_cmp_ne_u32_e32 vcc, s0, v0
                                        ; implicit-def: $vgpr0
	s_and_saveexec_b64 s[0:1], vcc
	s_xor_b64 s[0:1], exec, s[0:1]
; %bb.465:
	v_bfe_u32 v0, v2, 16, 1
	s_movk_i32 s2, 0x7fff
	v_add3_u32 v0, v2, v0, s2
                                        ; implicit-def: $vgpr2
; %bb.466:
	s_andn2_saveexec_b64 s[0:1], s[0:1]
; %bb.467:
	v_mov_b32_e32 v0, 0
	v_or_b32_e32 v4, 0x10000, v2
	v_cmp_eq_u32_sdwa vcc, v2, v0 src0_sel:WORD_0 src1_sel:DWORD
	v_cndmask_b32_e32 v0, v4, v2, vcc
; %bb.468:
	s_or_b64 exec, exec, s[0:1]
	s_mul_i32 s0, s10, 0x78
	s_ashr_i32 s1, s0, 31
	s_lshl_b64 s[0:1], s[0:1], 1
	s_add_u32 s3, s26, s0
	s_mul_i32 s0, s25, s24
	s_addc_u32 s4, s27, s1
	s_ashr_i32 s1, s0, 31
	s_lshl_b64 s[0:1], s[0:1], 1
	s_add_u32 s3, s3, s0
	s_mul_i32 s0, s8, 0x78
	s_addc_u32 s4, s4, s1
	s_ashr_i32 s1, s0, 31
	s_lshl_b64 s[0:1], s[0:1], 1
	s_movk_i32 s2, 0x78
	s_add_u32 s0, s3, s0
	s_addc_u32 s1, s4, s1
	v_cmp_gt_u32_e32 vcc, s2, v3
	global_store_short_d16_hi v1, v0, s[0:1]
	s_and_b64 exec, exec, vcc
	s_cbranch_execz .LBB342_474
; %bb.469:
	v_mov_b32_e32 v2, s1
	v_add_co_u32_e32 v0, vcc, s0, v1
	v_addc_co_u32_e32 v1, vcc, 0, v2, vcc
	s_mov_b32 s0, 0x7f800000
	v_and_b32_e32 v2, 0x7f800000, v13
	v_cmp_ne_u32_e32 vcc, s0, v2
                                        ; implicit-def: $vgpr2
	s_and_saveexec_b64 s[0:1], vcc
	s_xor_b64 s[0:1], exec, s[0:1]
; %bb.470:
	v_bfe_u32 v2, v13, 16, 1
	s_movk_i32 s2, 0x7fff
	v_add3_u32 v2, v13, v2, s2
                                        ; implicit-def: $vgpr13
; %bb.471:
	s_andn2_saveexec_b64 s[0:1], s[0:1]
; %bb.472:
	v_mov_b32_e32 v2, 0
	v_or_b32_e32 v3, 0x10000, v13
	v_cmp_eq_u32_sdwa vcc, v13, v2 src0_sel:WORD_0 src1_sel:DWORD
	v_cndmask_b32_e32 v2, v3, v13, vcc
; %bb.473:
	s_or_b64 exec, exec, s[0:1]
	global_store_short_d16_hi v[0:1], v2, off offset:128
.LBB342_474:
	s_endpgm
	.section	.rodata,"a",@progbits
	.p2align	6, 0x0
	.amdhsa_kernel _ZN4vllm25paged_attention_v2_kernelI14__hip_bfloat16hLi120ELi8ELi128ELNS_18Fp8KVCacheDataTypeE1ELb0ELi512EEEvPfS3_PT_PKS4_PKT0_SA_ifPKiSC_iPKfiiiSE_SE_iiiii
		.amdhsa_group_segment_fixed_size 256
		.amdhsa_private_segment_fixed_size 0
		.amdhsa_kernarg_size 400
		.amdhsa_user_sgpr_count 6
		.amdhsa_user_sgpr_private_segment_buffer 1
		.amdhsa_user_sgpr_dispatch_ptr 0
		.amdhsa_user_sgpr_queue_ptr 0
		.amdhsa_user_sgpr_kernarg_segment_ptr 1
		.amdhsa_user_sgpr_dispatch_id 0
		.amdhsa_user_sgpr_flat_scratch_init 0
		.amdhsa_user_sgpr_kernarg_preload_length 0
		.amdhsa_user_sgpr_kernarg_preload_offset 0
		.amdhsa_user_sgpr_private_segment_size 0
		.amdhsa_uses_dynamic_stack 0
		.amdhsa_system_sgpr_private_segment_wavefront_offset 0
		.amdhsa_system_sgpr_workgroup_id_x 1
		.amdhsa_system_sgpr_workgroup_id_y 1
		.amdhsa_system_sgpr_workgroup_id_z 1
		.amdhsa_system_sgpr_workgroup_info 0
		.amdhsa_system_vgpr_workitem_id 0
		.amdhsa_next_free_vgpr 60
		.amdhsa_next_free_sgpr 55
		.amdhsa_accum_offset 60
		.amdhsa_reserve_vcc 1
		.amdhsa_reserve_flat_scratch 0
		.amdhsa_float_round_mode_32 0
		.amdhsa_float_round_mode_16_64 0
		.amdhsa_float_denorm_mode_32 3
		.amdhsa_float_denorm_mode_16_64 3
		.amdhsa_dx10_clamp 1
		.amdhsa_ieee_mode 1
		.amdhsa_fp16_overflow 0
		.amdhsa_tg_split 0
		.amdhsa_exception_fp_ieee_invalid_op 0
		.amdhsa_exception_fp_denorm_src 0
		.amdhsa_exception_fp_ieee_div_zero 0
		.amdhsa_exception_fp_ieee_overflow 0
		.amdhsa_exception_fp_ieee_underflow 0
		.amdhsa_exception_fp_ieee_inexact 0
		.amdhsa_exception_int_div_zero 0
	.end_amdhsa_kernel
	.section	.text._ZN4vllm25paged_attention_v2_kernelI14__hip_bfloat16hLi120ELi8ELi128ELNS_18Fp8KVCacheDataTypeE1ELb0ELi512EEEvPfS3_PT_PKS4_PKT0_SA_ifPKiSC_iPKfiiiSE_SE_iiiii,"axG",@progbits,_ZN4vllm25paged_attention_v2_kernelI14__hip_bfloat16hLi120ELi8ELi128ELNS_18Fp8KVCacheDataTypeE1ELb0ELi512EEEvPfS3_PT_PKS4_PKT0_SA_ifPKiSC_iPKfiiiSE_SE_iiiii,comdat
.Lfunc_end342:
	.size	_ZN4vllm25paged_attention_v2_kernelI14__hip_bfloat16hLi120ELi8ELi128ELNS_18Fp8KVCacheDataTypeE1ELb0ELi512EEEvPfS3_PT_PKS4_PKT0_SA_ifPKiSC_iPKfiiiSE_SE_iiiii, .Lfunc_end342-_ZN4vllm25paged_attention_v2_kernelI14__hip_bfloat16hLi120ELi8ELi128ELNS_18Fp8KVCacheDataTypeE1ELb0ELi512EEEvPfS3_PT_PKS4_PKT0_SA_ifPKiSC_iPKfiiiSE_SE_iiiii
                                        ; -- End function
	.section	.AMDGPU.csdata,"",@progbits
; Kernel info:
; codeLenInByte = 14488
; NumSgprs: 59
; NumVgprs: 60
; NumAgprs: 0
; TotalNumVgprs: 60
; ScratchSize: 0
; MemoryBound: 0
; FloatMode: 240
; IeeeMode: 1
; LDSByteSize: 256 bytes/workgroup (compile time only)
; SGPRBlocks: 7
; VGPRBlocks: 7
; NumSGPRsForWavesPerEU: 59
; NumVGPRsForWavesPerEU: 60
; AccumOffset: 60
; Occupancy: 8
; WaveLimiterHint : 1
; COMPUTE_PGM_RSRC2:SCRATCH_EN: 0
; COMPUTE_PGM_RSRC2:USER_SGPR: 6
; COMPUTE_PGM_RSRC2:TRAP_HANDLER: 0
; COMPUTE_PGM_RSRC2:TGID_X_EN: 1
; COMPUTE_PGM_RSRC2:TGID_Y_EN: 1
; COMPUTE_PGM_RSRC2:TGID_Z_EN: 1
; COMPUTE_PGM_RSRC2:TIDIG_COMP_CNT: 0
; COMPUTE_PGM_RSRC3_GFX90A:ACCUM_OFFSET: 14
; COMPUTE_PGM_RSRC3_GFX90A:TG_SPLIT: 0
	.section	.text._ZN4vllm25paged_attention_v2_kernelI14__hip_bfloat16hLi128ELi8ELi128ELNS_18Fp8KVCacheDataTypeE1ELb0ELi512EEEvPfS3_PT_PKS4_PKT0_SA_ifPKiSC_iPKfiiiSE_SE_iiiii,"axG",@progbits,_ZN4vllm25paged_attention_v2_kernelI14__hip_bfloat16hLi128ELi8ELi128ELNS_18Fp8KVCacheDataTypeE1ELb0ELi512EEEvPfS3_PT_PKS4_PKT0_SA_ifPKiSC_iPKfiiiSE_SE_iiiii,comdat
	.protected	_ZN4vllm25paged_attention_v2_kernelI14__hip_bfloat16hLi128ELi8ELi128ELNS_18Fp8KVCacheDataTypeE1ELb0ELi512EEEvPfS3_PT_PKS4_PKT0_SA_ifPKiSC_iPKfiiiSE_SE_iiiii ; -- Begin function _ZN4vllm25paged_attention_v2_kernelI14__hip_bfloat16hLi128ELi8ELi128ELNS_18Fp8KVCacheDataTypeE1ELb0ELi512EEEvPfS3_PT_PKS4_PKT0_SA_ifPKiSC_iPKfiiiSE_SE_iiiii
	.globl	_ZN4vllm25paged_attention_v2_kernelI14__hip_bfloat16hLi128ELi8ELi128ELNS_18Fp8KVCacheDataTypeE1ELb0ELi512EEEvPfS3_PT_PKS4_PKT0_SA_ifPKiSC_iPKfiiiSE_SE_iiiii
	.p2align	8
	.type	_ZN4vllm25paged_attention_v2_kernelI14__hip_bfloat16hLi128ELi8ELi128ELNS_18Fp8KVCacheDataTypeE1ELb0ELi512EEEvPfS3_PT_PKS4_PKT0_SA_ifPKiSC_iPKfiiiSE_SE_iiiii,@function
_ZN4vllm25paged_attention_v2_kernelI14__hip_bfloat16hLi128ELi8ELi128ELNS_18Fp8KVCacheDataTypeE1ELb0ELi512EEEvPfS3_PT_PKS4_PKT0_SA_ifPKiSC_iPKfiiiSE_SE_iiiii: ; @_ZN4vllm25paged_attention_v2_kernelI14__hip_bfloat16hLi128ELi8ELi128ELNS_18Fp8KVCacheDataTypeE1ELb0ELi512EEEvPfS3_PT_PKS4_PKT0_SA_ifPKiSC_iPKfiiiSE_SE_iiiii
; %bb.0:
	s_load_dwordx2 s[0:1], s[4:5], 0x40
	s_mov_b32 s28, s7
	s_ashr_i32 s29, s7, 31
	s_lshl_b64 s[2:3], s[28:29], 2
	s_waitcnt lgkmcnt(0)
	s_add_u32 s0, s0, s2
	s_addc_u32 s1, s1, s3
	s_load_dword s29, s[0:1], 0x0
	s_lshl_b32 s44, s8, 9
	s_waitcnt lgkmcnt(0)
	s_cmp_ge_i32 s44, s29
	s_cbranch_scc1 .LBB343_478
; %bb.1:
	s_load_dword s9, s[4:5], 0x90
	s_load_dwordx2 s[10:11], s[4:5], 0x30
	s_mov_b32 s45, 0
	s_waitcnt lgkmcnt(0)
	s_abs_i32 s2, s9
	s_abs_i32 s0, s10
	v_cvt_f32_u32_e32 v1, s0
	s_sub_i32 s3, 0, s0
	s_xor_b32 s1, s9, s10
	s_ashr_i32 s1, s1, 31
	v_rcp_iflag_f32_e32 v1, v1
	v_mul_f32_e32 v1, 0x4f7ffffe, v1
	v_cvt_u32_f32_e32 v1, v1
	v_readfirstlane_b32 s7, v1
	s_mul_i32 s3, s3, s7
	s_mul_hi_u32 s3, s7, s3
	s_add_i32 s7, s7, s3
	s_mul_hi_u32 s3, s2, s7
	s_mul_i32 s7, s3, s0
	s_sub_i32 s2, s2, s7
	s_add_i32 s10, s3, 1
	s_sub_i32 s7, s2, s0
	s_cmp_ge_u32 s2, s0
	s_cselect_b32 s3, s10, s3
	s_cselect_b32 s2, s7, s2
	s_add_i32 s7, s3, 1
	s_cmp_ge_u32 s2, s0
	s_cselect_b32 s0, s7, s3
	s_xor_b32 s0, s0, s1
	s_sub_i32 s10, s0, s1
	s_abs_i32 s2, s10
	v_cvt_f32_u32_e32 v1, s2
	s_load_dwordx2 s[0:1], s[4:5], 0x50
	s_sub_i32 s7, 0, s2
	s_abs_i32 s3, s6
	v_rcp_iflag_f32_e32 v1, v1
	v_mul_f32_e32 v1, 0x4f7ffffe, v1
	v_cvt_u32_f32_e32 v1, v1
	v_readfirstlane_b32 s12, v1
	s_mul_i32 s7, s7, s12
	s_mul_hi_u32 s7, s12, s7
	s_add_i32 s12, s12, s7
	s_waitcnt lgkmcnt(0)
	s_cmp_eq_u64 s[0:1], 0
	s_mul_hi_u32 s16, s3, s12
	s_cbranch_scc1 .LBB343_3
; %bb.2:
	s_ashr_i32 s7, s6, 31
	s_lshl_b64 s[12:13], s[6:7], 2
	s_add_u32 s0, s0, s12
	s_addc_u32 s1, s1, s13
	s_load_dword s45, s[0:1], 0x0
.LBB343_3:
	s_load_dwordx4 s[12:15], s[4:5], 0x58
	s_movk_i32 s0, 0x80
	s_ashr_i32 s7, s6, 31
	s_ashr_i32 s17, s10, 31
	v_and_b32_e32 v2, 7, v0
	s_lshl_b32 s24, s6, 7
	v_cmp_gt_u32_e32 vcc, s0, v0
	v_lshlrev_b32_e32 v20, 1, v0
	s_and_saveexec_b64 s[0:1], vcc
	s_cbranch_execz .LBB343_5
; %bb.4:
	s_load_dwordx2 s[18:19], s[4:5], 0x18
	s_waitcnt lgkmcnt(0)
	s_mul_i32 s20, s28, s12
	s_ashr_i32 s21, s20, 31
	s_lshl_b64 s[20:21], s[20:21], 1
	v_lshrrev_b32_e32 v3, 2, v0
	s_add_u32 s10, s18, s20
	s_addc_u32 s12, s19, s21
	s_ashr_i32 s25, s24, 31
	s_lshl_b64 s[18:19], s[24:25], 1
	s_add_u32 s18, s10, s18
	s_addc_u32 s19, s12, s19
	global_load_ushort v1, v20, s[18:19]
	v_and_b32_e32 v3, 0xfe, v3
	v_lshl_add_u32 v3, v2, 5, v3
	s_waitcnt vmcnt(0)
	ds_write_b16 v3, v1
.LBB343_5:
	s_or_b64 exec, exec, s[0:1]
	s_add_i32 s0, s29, 7
	s_ashr_i32 s1, s0, 31
	s_lshr_b32 s1, s1, 29
	s_add_i32 s0, s0, s1
	s_lshl_b32 s10, s8, 6
	s_mul_i32 s1, s16, s2
	s_waitcnt lgkmcnt(0)
	s_ashr_i32 s12, s0, 3
	s_add_i32 s0, s10, 64
	s_sub_i32 s1, s3, s1
	s_min_i32 s33, s0, s12
	s_xor_b32 s0, s7, s17
	s_add_i32 s3, s16, 1
	s_sub_i32 s7, s1, s2
	s_cmp_ge_u32 s1, s2
	s_cselect_b32 s3, s3, s16
	s_cselect_b32 s1, s7, s1
	s_add_i32 s7, s3, 1
	s_cmp_ge_u32 s1, s2
	s_load_dwordx2 s[30:31], s[4:5], 0x38
	s_load_dword s2, s[4:5], 0x48
	v_lshrrev_b32_e32 v16, 6, v0
	s_cselect_b32 s1, s7, s3
	s_xor_b32 s1, s1, s0
	v_or_b32_e32 v10, s10, v16
	s_waitcnt lgkmcnt(0)
	s_mul_i32 s34, s28, s2
	s_sub_i32 s7, s1, s0
	s_ashr_i32 s35, s34, 31
	v_cmp_gt_i32_e64 s[0:1], s33, v10
	v_cmp_le_i32_e32 vcc, s33, v10
	v_mbcnt_lo_u32_b32 v6, -1, 0
	s_barrier
	s_waitcnt lgkmcnt(0)
                                        ; implicit-def: $sgpr15
                                        ; implicit-def: $vgpr3
                                        ; implicit-def: $vgpr13
	s_and_saveexec_b64 s[2:3], vcc
	s_xor_b64 s[2:3], exec, s[2:3]
; %bb.6:
	v_mbcnt_hi_u32_b32 v3, -1, v6
	v_and_b32_e32 v1, 64, v3
	v_add_u32_e32 v13, 64, v1
	s_mov_b32 s15, 0xff7fffff
                                        ; implicit-def: $vgpr2
                                        ; implicit-def: $vgpr6
; %bb.7:
	s_or_saveexec_b64 s[38:39], s[2:3]
	s_load_dwordx4 s[20:23], s[4:5], 0x0
	s_load_dwordx2 s[26:27], s[4:5], 0x10
	s_load_dword s25, s[4:5], 0x98
	s_load_dwordx2 s[36:37], s[4:5], 0x28
	s_load_dwordx4 s[16:19], s[4:5], 0x68
	v_mov_b32_e32 v33, s15
	s_mul_i32 s7, s7, s14
	v_ashrrev_i32_e32 v11, 31, v10
	v_lshlrev_b32_e32 v17, 3, v16
	s_xor_b64 exec, exec, s[38:39]
	s_cbranch_execz .LBB343_173
; %bb.8:
	s_load_dwordx2 s[2:3], s[4:5], 0x20
	v_bfe_u32 v7, v0, 3, 3
	s_ashr_i32 s4, s7, 31
	v_lshlrev_b32_e32 v3, 4, v7
	v_lshlrev_b32_e32 v8, 5, v2
	s_waitcnt lgkmcnt(0)
	s_add_u32 s2, s2, s7
	s_addc_u32 s3, s3, s4
	v_add_co_u32_e32 v4, vcc, s2, v3
	v_mbcnt_hi_u32_b32 v3, -1, v6
	v_mov_b32_e32 v5, s3
	v_and_b32_e32 v6, 64, v3
	v_addc_co_u32_e32 v5, vcc, 0, v5, vcc
	v_add_u32_e32 v13, 64, v6
	v_xor_b32_e32 v6, 4, v3
	v_cmp_lt_i32_e32 vcc, v6, v13
	v_cndmask_b32_e32 v6, v3, v6, vcc
	v_lshlrev_b32_e32 v34, 2, v6
	v_xor_b32_e32 v6, 2, v3
	v_cmp_lt_i32_e32 vcc, v6, v13
	v_cndmask_b32_e32 v6, v3, v6, vcc
	v_lshlrev_b32_e32 v35, 2, v6
	v_xor_b32_e32 v6, 1, v3
	v_cmp_lt_i32_e32 vcc, v6, v13
	ds_read_b128 v[22:25], v8
	ds_read_b128 v[30:33], v8 offset:16
	v_cndmask_b32_e32 v6, v3, v6, vcc
	v_lshlrev_b32_e32 v36, 2, v6
	s_load_dword s47, s[16:17], 0x0
	s_sub_i32 s48, 1, s29
	v_lshlrev_b32_e32 v6, 2, v7
	s_lshl_b64 s[4:5], s[34:35], 2
	v_lshl_or_b32 v6, v16, 5, v6
	s_add_u32 s4, s30, s4
	v_add3_u32 v37, s44, v17, v7
	v_add_u32_e32 v38, 0x110, v6
	v_lshlrev_b64 v[6:7], 2, v[10:11]
	s_addc_u32 s5, s31, s5
	v_mov_b32_e32 v8, s5
	v_add_co_u32_e64 v6, s[4:5], s4, v6
	s_mov_b32 s46, s13
	v_mov_b32_e32 v1, 0
	s_waitcnt lgkmcnt(0)
	v_lshlrev_b32_e32 v14, 16, v22
	v_and_b32_e32 v15, 0xffff0000, v22
	v_lshlrev_b32_e32 v18, 16, v23
	v_and_b32_e32 v19, 0xffff0000, v23
	v_lshlrev_b32_e32 v21, 16, v24
	v_and_b32_e32 v22, 0xffff0000, v24
	v_lshlrev_b32_e32 v23, 16, v25
	v_and_b32_e32 v24, 0xffff0000, v25
	v_lshlrev_b32_e32 v25, 16, v30
	v_and_b32_e32 v26, 0xffff0000, v30
	v_lshlrev_b32_e32 v27, 16, v31
	v_and_b32_e32 v28, 0xffff0000, v31
	v_lshlrev_b32_e32 v29, 16, v32
	v_and_b32_e32 v30, 0xffff0000, v32
	v_lshlrev_b32_e32 v31, 16, v33
	v_and_b32_e32 v32, 0xffff0000, v33
	v_cmp_eq_u32_e32 vcc, 0, v2
	v_cmp_neq_f32_e64 s[2:3], s45, 0
	v_addc_co_u32_e64 v7, s[4:5], v8, v7, s[4:5]
	s_mov_b64 s[14:15], 0
	v_mov_b32_e32 v33, 0xff7fffff
	s_movk_i32 s49, 0x80
	s_movk_i32 s50, 0x7f
	s_mov_b32 s51, 0x7f800000
	s_movk_i32 s52, 0x7fff
	v_bfrev_b32_e32 v39, 60
	v_mov_b32_e32 v40, v10
	s_branch .LBB343_10
.LBB343_9:                              ;   in Loop: Header=BB343_10 Depth=1
	s_or_b64 exec, exec, s[16:17]
	v_add_u32_e32 v40, 2, v40
	v_cmp_le_i32_e64 s[4:5], s33, v40
	s_or_b64 s[14:15], s[4:5], s[14:15]
	v_add_co_u32_e64 v6, s[4:5], 8, v6
	v_add_u32_e32 v37, 16, v37
	v_add_u32_e32 v38, 64, v38
	v_addc_co_u32_e64 v7, s[4:5], 0, v7, s[4:5]
	s_andn2_b64 exec, exec, s[14:15]
	s_cbranch_execz .LBB343_172
.LBB343_10:                             ; =>This Inner Loop Header: Depth=1
	global_load_dword v8, v[6:7], off
	v_mov_b32_e32 v42, 0
	s_waitcnt vmcnt(0) lgkmcnt(0)
	v_mad_i64_i32 v[8:9], s[4:5], v8, s46, v[4:5]
	v_add_co_u32_e64 v8, s[4:5], v8, v2
	v_addc_co_u32_e64 v9, s[4:5], 0, v9, s[4:5]
	global_load_ubyte v41, v[8:9], off
	s_waitcnt vmcnt(0)
	v_cmp_ne_u16_e64 s[4:5], 0, v41
	s_and_saveexec_b64 s[16:17], s[4:5]
	s_cbranch_execz .LBB343_16
; %bb.11:                               ;   in Loop: Header=BB343_10 Depth=1
	v_cmp_ne_u16_e64 s[4:5], s49, v41
	v_bfrev_b32_e32 v42, 1
	s_and_saveexec_b64 s[40:41], s[4:5]
	s_cbranch_execz .LBB343_15
; %bb.12:                               ;   in Loop: Header=BB343_10 Depth=1
	v_and_b32_e32 v12, 0xffff, v41
	v_and_b32_e32 v43, 0x7f, v12
	v_cmp_ne_u32_e64 s[4:5], s50, v43
	v_mov_b32_e32 v42, 0x7f800001
	s_and_saveexec_b64 s[42:43], s[4:5]
	s_cbranch_execz .LBB343_14
; %bb.13:                               ;   in Loop: Header=BB343_10 Depth=1
	v_and_b32_e32 v42, 7, v12
	v_ffbh_u32_e32 v44, v42
	v_min_u32_e32 v47, 32, v44
	v_subrev_u32_e32 v44, 28, v47
	v_lshlrev_b64 v[44:45], v44, v[12:13]
	v_lshrrev_b32_e32 v46, 3, v43
	v_sub_u32_e32 v12, 29, v47
	v_and_b32_e32 v44, 7, v44
	v_cmp_gt_u32_e64 s[4:5], 8, v43
	v_cndmask_b32_e64 v12, v46, v12, s[4:5]
	v_cndmask_b32_e64 v42, v42, v44, s[4:5]
	v_lshlrev_b32_e32 v41, 24, v41
	v_lshlrev_b32_e32 v42, 20, v42
	v_and_b32_e32 v41, 0x80000000, v41
	v_lshl_add_u32 v12, v12, 23, v39
	v_or3_b32 v42, v41, v12, v42
.LBB343_14:                             ;   in Loop: Header=BB343_10 Depth=1
	s_or_b64 exec, exec, s[42:43]
.LBB343_15:                             ;   in Loop: Header=BB343_10 Depth=1
	s_or_b64 exec, exec, s[40:41]
.LBB343_16:                             ;   in Loop: Header=BB343_10 Depth=1
	s_or_b64 exec, exec, s[16:17]
	v_mul_f32_e32 v12, s47, v42
	v_and_b32_e32 v41, 0x7f800000, v12
	v_cmp_ne_u32_e64 s[4:5], s51, v41
                                        ; implicit-def: $vgpr41
	s_and_saveexec_b64 s[16:17], s[4:5]
	s_xor_b64 s[4:5], exec, s[16:17]
; %bb.17:                               ;   in Loop: Header=BB343_10 Depth=1
	v_bfe_u32 v41, v12, 16, 1
	v_add3_u32 v41, v12, v41, s52
                                        ; implicit-def: $vgpr12
; %bb.18:                               ;   in Loop: Header=BB343_10 Depth=1
	s_andn2_saveexec_b64 s[16:17], s[4:5]
; %bb.19:                               ;   in Loop: Header=BB343_10 Depth=1
	v_or_b32_e32 v41, 0x10000, v12
	v_cmp_eq_u32_sdwa s[4:5], v12, v1 src0_sel:WORD_0 src1_sel:DWORD
	v_cndmask_b32_e64 v41, v41, v12, s[4:5]
; %bb.20:                               ;   in Loop: Header=BB343_10 Depth=1
	s_or_b64 exec, exec, s[16:17]
	global_load_ubyte v42, v[8:9], off offset:8
	v_mov_b32_e32 v43, 0
	s_waitcnt vmcnt(0)
	v_cmp_ne_u16_e64 s[4:5], 0, v42
	s_and_saveexec_b64 s[16:17], s[4:5]
	s_cbranch_execz .LBB343_26
; %bb.21:                               ;   in Loop: Header=BB343_10 Depth=1
	v_cmp_ne_u16_e64 s[4:5], s49, v42
	v_bfrev_b32_e32 v43, 1
	s_and_saveexec_b64 s[40:41], s[4:5]
	s_cbranch_execz .LBB343_25
; %bb.22:                               ;   in Loop: Header=BB343_10 Depth=1
	v_and_b32_e32 v12, 0xffff, v42
	v_and_b32_e32 v44, 0x7f, v12
	v_cmp_ne_u32_e64 s[4:5], s50, v44
	v_mov_b32_e32 v43, 0x7f800001
	s_and_saveexec_b64 s[42:43], s[4:5]
	s_cbranch_execz .LBB343_24
; %bb.23:                               ;   in Loop: Header=BB343_10 Depth=1
	v_and_b32_e32 v43, 7, v12
	v_ffbh_u32_e32 v46, v43
	v_min_u32_e32 v48, 32, v46
	v_subrev_u32_e32 v46, 28, v48
	v_lshlrev_b64 v[46:47], v46, v[12:13]
	v_lshrrev_b32_e32 v45, 3, v44
	v_sub_u32_e32 v12, 29, v48
	v_and_b32_e32 v46, 7, v46
	v_cmp_gt_u32_e64 s[4:5], 8, v44
	v_cndmask_b32_e64 v12, v45, v12, s[4:5]
	v_cndmask_b32_e64 v43, v43, v46, s[4:5]
	v_lshlrev_b32_e32 v42, 24, v42
	v_lshlrev_b32_e32 v43, 20, v43
	v_and_b32_e32 v42, 0x80000000, v42
	v_lshl_add_u32 v12, v12, 23, v39
	v_or3_b32 v43, v42, v12, v43
.LBB343_24:                             ;   in Loop: Header=BB343_10 Depth=1
	s_or_b64 exec, exec, s[42:43]
.LBB343_25:                             ;   in Loop: Header=BB343_10 Depth=1
	s_or_b64 exec, exec, s[40:41]
.LBB343_26:                             ;   in Loop: Header=BB343_10 Depth=1
	s_or_b64 exec, exec, s[16:17]
	v_mul_f32_e32 v12, s47, v43
	v_and_b32_e32 v42, 0x7f800000, v12
	v_cmp_ne_u32_e64 s[4:5], s51, v42
                                        ; implicit-def: $vgpr42
	s_and_saveexec_b64 s[16:17], s[4:5]
	s_xor_b64 s[4:5], exec, s[16:17]
; %bb.27:                               ;   in Loop: Header=BB343_10 Depth=1
	v_bfe_u32 v42, v12, 16, 1
	v_add3_u32 v42, v12, v42, s52
                                        ; implicit-def: $vgpr12
; %bb.28:                               ;   in Loop: Header=BB343_10 Depth=1
	s_andn2_saveexec_b64 s[16:17], s[4:5]
; %bb.29:                               ;   in Loop: Header=BB343_10 Depth=1
	v_or_b32_e32 v42, 0x10000, v12
	v_cmp_eq_u32_sdwa s[4:5], v12, v1 src0_sel:WORD_0 src1_sel:DWORD
	v_cndmask_b32_e64 v42, v42, v12, s[4:5]
; %bb.30:                               ;   in Loop: Header=BB343_10 Depth=1
	s_or_b64 exec, exec, s[16:17]
	global_load_ubyte v43, v[8:9], off offset:128
	v_mov_b32_e32 v44, 0
	s_waitcnt vmcnt(0)
	v_cmp_ne_u16_e64 s[4:5], 0, v43
	s_and_saveexec_b64 s[16:17], s[4:5]
	s_cbranch_execz .LBB343_36
; %bb.31:                               ;   in Loop: Header=BB343_10 Depth=1
	v_cmp_ne_u16_e64 s[4:5], s49, v43
	v_bfrev_b32_e32 v44, 1
	s_and_saveexec_b64 s[40:41], s[4:5]
	s_cbranch_execz .LBB343_35
; %bb.32:                               ;   in Loop: Header=BB343_10 Depth=1
	v_and_b32_e32 v12, 0xffff, v43
	v_and_b32_e32 v45, 0x7f, v12
	v_cmp_ne_u32_e64 s[4:5], s50, v45
	v_mov_b32_e32 v44, 0x7f800001
	s_and_saveexec_b64 s[42:43], s[4:5]
	s_cbranch_execz .LBB343_34
; %bb.33:                               ;   in Loop: Header=BB343_10 Depth=1
	v_and_b32_e32 v44, 7, v12
	v_ffbh_u32_e32 v46, v44
	v_min_u32_e32 v49, 32, v46
	v_subrev_u32_e32 v46, 28, v49
	v_lshlrev_b64 v[46:47], v46, v[12:13]
	v_lshrrev_b32_e32 v48, 3, v45
	v_sub_u32_e32 v12, 29, v49
	v_and_b32_e32 v46, 7, v46
	v_cmp_gt_u32_e64 s[4:5], 8, v45
	v_cndmask_b32_e64 v12, v48, v12, s[4:5]
	v_cndmask_b32_e64 v44, v44, v46, s[4:5]
	v_lshlrev_b32_e32 v43, 24, v43
	v_lshlrev_b32_e32 v44, 20, v44
	v_and_b32_e32 v43, 0x80000000, v43
	v_lshl_add_u32 v12, v12, 23, v39
	v_or3_b32 v44, v43, v12, v44
.LBB343_34:                             ;   in Loop: Header=BB343_10 Depth=1
	s_or_b64 exec, exec, s[42:43]
.LBB343_35:                             ;   in Loop: Header=BB343_10 Depth=1
	s_or_b64 exec, exec, s[40:41]
.LBB343_36:                             ;   in Loop: Header=BB343_10 Depth=1
	s_or_b64 exec, exec, s[16:17]
	v_mul_f32_e32 v12, s47, v44
	v_and_b32_e32 v43, 0x7f800000, v12
	v_cmp_ne_u32_e64 s[4:5], s51, v43
                                        ; implicit-def: $vgpr43
	s_and_saveexec_b64 s[16:17], s[4:5]
	s_xor_b64 s[4:5], exec, s[16:17]
; %bb.37:                               ;   in Loop: Header=BB343_10 Depth=1
	v_bfe_u32 v43, v12, 16, 1
	v_add3_u32 v43, v12, v43, s52
                                        ; implicit-def: $vgpr12
; %bb.38:                               ;   in Loop: Header=BB343_10 Depth=1
	s_andn2_saveexec_b64 s[16:17], s[4:5]
; %bb.39:                               ;   in Loop: Header=BB343_10 Depth=1
	v_or_b32_e32 v43, 0x10000, v12
	v_cmp_eq_u32_sdwa s[4:5], v12, v1 src0_sel:WORD_0 src1_sel:DWORD
	v_cndmask_b32_e64 v43, v43, v12, s[4:5]
; %bb.40:                               ;   in Loop: Header=BB343_10 Depth=1
	s_or_b64 exec, exec, s[16:17]
	global_load_ubyte v44, v[8:9], off offset:136
	v_mov_b32_e32 v45, 0
	s_waitcnt vmcnt(0)
	v_cmp_ne_u16_e64 s[4:5], 0, v44
	s_and_saveexec_b64 s[16:17], s[4:5]
	s_cbranch_execz .LBB343_46
; %bb.41:                               ;   in Loop: Header=BB343_10 Depth=1
	v_cmp_ne_u16_e64 s[4:5], s49, v44
	v_bfrev_b32_e32 v45, 1
	s_and_saveexec_b64 s[40:41], s[4:5]
	s_cbranch_execz .LBB343_45
; %bb.42:                               ;   in Loop: Header=BB343_10 Depth=1
	v_and_b32_e32 v12, 0xffff, v44
	v_and_b32_e32 v46, 0x7f, v12
	v_cmp_ne_u32_e64 s[4:5], s50, v46
	v_mov_b32_e32 v45, 0x7f800001
	s_and_saveexec_b64 s[42:43], s[4:5]
	s_cbranch_execz .LBB343_44
; %bb.43:                               ;   in Loop: Header=BB343_10 Depth=1
	v_and_b32_e32 v45, 7, v12
	v_ffbh_u32_e32 v48, v45
	v_min_u32_e32 v50, 32, v48
	v_subrev_u32_e32 v48, 28, v50
	v_lshlrev_b64 v[48:49], v48, v[12:13]
	v_lshrrev_b32_e32 v47, 3, v46
	v_sub_u32_e32 v12, 29, v50
	v_and_b32_e32 v48, 7, v48
	v_cmp_gt_u32_e64 s[4:5], 8, v46
	v_cndmask_b32_e64 v12, v47, v12, s[4:5]
	v_cndmask_b32_e64 v45, v45, v48, s[4:5]
	v_lshlrev_b32_e32 v44, 24, v44
	v_lshlrev_b32_e32 v45, 20, v45
	v_and_b32_e32 v44, 0x80000000, v44
	v_lshl_add_u32 v12, v12, 23, v39
	v_or3_b32 v45, v44, v12, v45
.LBB343_44:                             ;   in Loop: Header=BB343_10 Depth=1
	s_or_b64 exec, exec, s[42:43]
.LBB343_45:                             ;   in Loop: Header=BB343_10 Depth=1
	s_or_b64 exec, exec, s[40:41]
.LBB343_46:                             ;   in Loop: Header=BB343_10 Depth=1
	s_or_b64 exec, exec, s[16:17]
	v_mul_f32_e32 v12, s47, v45
	v_and_b32_e32 v44, 0x7f800000, v12
	v_cmp_ne_u32_e64 s[4:5], s51, v44
                                        ; implicit-def: $vgpr44
	s_and_saveexec_b64 s[16:17], s[4:5]
	s_xor_b64 s[4:5], exec, s[16:17]
; %bb.47:                               ;   in Loop: Header=BB343_10 Depth=1
	v_bfe_u32 v44, v12, 16, 1
	v_add3_u32 v44, v12, v44, s52
                                        ; implicit-def: $vgpr12
; %bb.48:                               ;   in Loop: Header=BB343_10 Depth=1
	s_andn2_saveexec_b64 s[16:17], s[4:5]
; %bb.49:                               ;   in Loop: Header=BB343_10 Depth=1
	v_or_b32_e32 v44, 0x10000, v12
	v_cmp_eq_u32_sdwa s[4:5], v12, v1 src0_sel:WORD_0 src1_sel:DWORD
	v_cndmask_b32_e64 v44, v44, v12, s[4:5]
; %bb.50:                               ;   in Loop: Header=BB343_10 Depth=1
	s_or_b64 exec, exec, s[16:17]
	global_load_ubyte v45, v[8:9], off offset:256
	v_mov_b32_e32 v46, 0
	s_waitcnt vmcnt(0)
	v_cmp_ne_u16_e64 s[4:5], 0, v45
	s_and_saveexec_b64 s[16:17], s[4:5]
	s_cbranch_execz .LBB343_56
; %bb.51:                               ;   in Loop: Header=BB343_10 Depth=1
	v_cmp_ne_u16_e64 s[4:5], s49, v45
	v_bfrev_b32_e32 v46, 1
	s_and_saveexec_b64 s[40:41], s[4:5]
	s_cbranch_execz .LBB343_55
; %bb.52:                               ;   in Loop: Header=BB343_10 Depth=1
	v_and_b32_e32 v12, 0xffff, v45
	v_and_b32_e32 v47, 0x7f, v12
	v_cmp_ne_u32_e64 s[4:5], s50, v47
	v_mov_b32_e32 v46, 0x7f800001
	s_and_saveexec_b64 s[42:43], s[4:5]
	s_cbranch_execz .LBB343_54
; %bb.53:                               ;   in Loop: Header=BB343_10 Depth=1
	v_and_b32_e32 v46, 7, v12
	v_ffbh_u32_e32 v48, v46
	v_min_u32_e32 v51, 32, v48
	v_subrev_u32_e32 v48, 28, v51
	v_lshlrev_b64 v[48:49], v48, v[12:13]
	v_lshrrev_b32_e32 v50, 3, v47
	v_sub_u32_e32 v12, 29, v51
	v_and_b32_e32 v48, 7, v48
	v_cmp_gt_u32_e64 s[4:5], 8, v47
	v_cndmask_b32_e64 v12, v50, v12, s[4:5]
	v_cndmask_b32_e64 v46, v46, v48, s[4:5]
	v_lshlrev_b32_e32 v45, 24, v45
	v_lshlrev_b32_e32 v46, 20, v46
	v_and_b32_e32 v45, 0x80000000, v45
	v_lshl_add_u32 v12, v12, 23, v39
	v_or3_b32 v46, v45, v12, v46
.LBB343_54:                             ;   in Loop: Header=BB343_10 Depth=1
	s_or_b64 exec, exec, s[42:43]
.LBB343_55:                             ;   in Loop: Header=BB343_10 Depth=1
	s_or_b64 exec, exec, s[40:41]
.LBB343_56:                             ;   in Loop: Header=BB343_10 Depth=1
	s_or_b64 exec, exec, s[16:17]
	v_mul_f32_e32 v12, s47, v46
	v_and_b32_e32 v45, 0x7f800000, v12
	v_cmp_ne_u32_e64 s[4:5], s51, v45
                                        ; implicit-def: $vgpr45
	s_and_saveexec_b64 s[16:17], s[4:5]
	s_xor_b64 s[4:5], exec, s[16:17]
; %bb.57:                               ;   in Loop: Header=BB343_10 Depth=1
	v_bfe_u32 v45, v12, 16, 1
	v_add3_u32 v45, v12, v45, s52
                                        ; implicit-def: $vgpr12
; %bb.58:                               ;   in Loop: Header=BB343_10 Depth=1
	s_andn2_saveexec_b64 s[16:17], s[4:5]
; %bb.59:                               ;   in Loop: Header=BB343_10 Depth=1
	v_or_b32_e32 v45, 0x10000, v12
	v_cmp_eq_u32_sdwa s[4:5], v12, v1 src0_sel:WORD_0 src1_sel:DWORD
	v_cndmask_b32_e64 v45, v45, v12, s[4:5]
; %bb.60:                               ;   in Loop: Header=BB343_10 Depth=1
	s_or_b64 exec, exec, s[16:17]
	global_load_ubyte v46, v[8:9], off offset:264
	v_mov_b32_e32 v47, 0
	s_waitcnt vmcnt(0)
	v_cmp_ne_u16_e64 s[4:5], 0, v46
	s_and_saveexec_b64 s[16:17], s[4:5]
	s_cbranch_execz .LBB343_66
; %bb.61:                               ;   in Loop: Header=BB343_10 Depth=1
	v_cmp_ne_u16_e64 s[4:5], s49, v46
	v_bfrev_b32_e32 v47, 1
	s_and_saveexec_b64 s[40:41], s[4:5]
	s_cbranch_execz .LBB343_65
; %bb.62:                               ;   in Loop: Header=BB343_10 Depth=1
	v_and_b32_e32 v12, 0xffff, v46
	v_and_b32_e32 v48, 0x7f, v12
	v_cmp_ne_u32_e64 s[4:5], s50, v48
	v_mov_b32_e32 v47, 0x7f800001
	s_and_saveexec_b64 s[42:43], s[4:5]
	s_cbranch_execz .LBB343_64
; %bb.63:                               ;   in Loop: Header=BB343_10 Depth=1
	v_and_b32_e32 v47, 7, v12
	v_ffbh_u32_e32 v50, v47
	v_min_u32_e32 v52, 32, v50
	v_subrev_u32_e32 v50, 28, v52
	v_lshlrev_b64 v[50:51], v50, v[12:13]
	v_lshrrev_b32_e32 v49, 3, v48
	v_sub_u32_e32 v12, 29, v52
	v_and_b32_e32 v50, 7, v50
	v_cmp_gt_u32_e64 s[4:5], 8, v48
	v_cndmask_b32_e64 v12, v49, v12, s[4:5]
	v_cndmask_b32_e64 v47, v47, v50, s[4:5]
	v_lshlrev_b32_e32 v46, 24, v46
	v_lshlrev_b32_e32 v47, 20, v47
	v_and_b32_e32 v46, 0x80000000, v46
	v_lshl_add_u32 v12, v12, 23, v39
	v_or3_b32 v47, v46, v12, v47
.LBB343_64:                             ;   in Loop: Header=BB343_10 Depth=1
	s_or_b64 exec, exec, s[42:43]
.LBB343_65:                             ;   in Loop: Header=BB343_10 Depth=1
	s_or_b64 exec, exec, s[40:41]
.LBB343_66:                             ;   in Loop: Header=BB343_10 Depth=1
	s_or_b64 exec, exec, s[16:17]
	v_mul_f32_e32 v12, s47, v47
	v_and_b32_e32 v46, 0x7f800000, v12
	v_cmp_ne_u32_e64 s[4:5], s51, v46
                                        ; implicit-def: $vgpr46
	s_and_saveexec_b64 s[16:17], s[4:5]
	s_xor_b64 s[4:5], exec, s[16:17]
; %bb.67:                               ;   in Loop: Header=BB343_10 Depth=1
	v_bfe_u32 v46, v12, 16, 1
	v_add3_u32 v46, v12, v46, s52
                                        ; implicit-def: $vgpr12
; %bb.68:                               ;   in Loop: Header=BB343_10 Depth=1
	s_andn2_saveexec_b64 s[16:17], s[4:5]
; %bb.69:                               ;   in Loop: Header=BB343_10 Depth=1
	v_or_b32_e32 v46, 0x10000, v12
	v_cmp_eq_u32_sdwa s[4:5], v12, v1 src0_sel:WORD_0 src1_sel:DWORD
	v_cndmask_b32_e64 v46, v46, v12, s[4:5]
; %bb.70:                               ;   in Loop: Header=BB343_10 Depth=1
	s_or_b64 exec, exec, s[16:17]
	global_load_ubyte v47, v[8:9], off offset:384
	v_mov_b32_e32 v48, 0
	s_waitcnt vmcnt(0)
	v_cmp_ne_u16_e64 s[4:5], 0, v47
	s_and_saveexec_b64 s[16:17], s[4:5]
	s_cbranch_execz .LBB343_76
; %bb.71:                               ;   in Loop: Header=BB343_10 Depth=1
	v_cmp_ne_u16_e64 s[4:5], s49, v47
	v_bfrev_b32_e32 v48, 1
	s_and_saveexec_b64 s[40:41], s[4:5]
	s_cbranch_execz .LBB343_75
; %bb.72:                               ;   in Loop: Header=BB343_10 Depth=1
	v_and_b32_e32 v12, 0xffff, v47
	v_and_b32_e32 v49, 0x7f, v12
	v_cmp_ne_u32_e64 s[4:5], s50, v49
	v_mov_b32_e32 v48, 0x7f800001
	s_and_saveexec_b64 s[42:43], s[4:5]
	s_cbranch_execz .LBB343_74
; %bb.73:                               ;   in Loop: Header=BB343_10 Depth=1
	v_and_b32_e32 v48, 7, v12
	v_ffbh_u32_e32 v50, v48
	v_min_u32_e32 v53, 32, v50
	v_subrev_u32_e32 v50, 28, v53
	v_lshlrev_b64 v[50:51], v50, v[12:13]
	v_lshrrev_b32_e32 v52, 3, v49
	v_sub_u32_e32 v12, 29, v53
	v_and_b32_e32 v50, 7, v50
	v_cmp_gt_u32_e64 s[4:5], 8, v49
	v_cndmask_b32_e64 v12, v52, v12, s[4:5]
	v_cndmask_b32_e64 v48, v48, v50, s[4:5]
	v_lshlrev_b32_e32 v47, 24, v47
	v_lshlrev_b32_e32 v48, 20, v48
	v_and_b32_e32 v47, 0x80000000, v47
	v_lshl_add_u32 v12, v12, 23, v39
	v_or3_b32 v48, v47, v12, v48
.LBB343_74:                             ;   in Loop: Header=BB343_10 Depth=1
	s_or_b64 exec, exec, s[42:43]
.LBB343_75:                             ;   in Loop: Header=BB343_10 Depth=1
	s_or_b64 exec, exec, s[40:41]
.LBB343_76:                             ;   in Loop: Header=BB343_10 Depth=1
	s_or_b64 exec, exec, s[16:17]
	v_mul_f32_e32 v12, s47, v48
	v_and_b32_e32 v47, 0x7f800000, v12
	v_cmp_ne_u32_e64 s[4:5], s51, v47
                                        ; implicit-def: $vgpr47
	s_and_saveexec_b64 s[16:17], s[4:5]
	s_xor_b64 s[4:5], exec, s[16:17]
; %bb.77:                               ;   in Loop: Header=BB343_10 Depth=1
	v_bfe_u32 v47, v12, 16, 1
	v_add3_u32 v47, v12, v47, s52
                                        ; implicit-def: $vgpr12
; %bb.78:                               ;   in Loop: Header=BB343_10 Depth=1
	s_andn2_saveexec_b64 s[16:17], s[4:5]
; %bb.79:                               ;   in Loop: Header=BB343_10 Depth=1
	v_or_b32_e32 v47, 0x10000, v12
	v_cmp_eq_u32_sdwa s[4:5], v12, v1 src0_sel:WORD_0 src1_sel:DWORD
	v_cndmask_b32_e64 v47, v47, v12, s[4:5]
; %bb.80:                               ;   in Loop: Header=BB343_10 Depth=1
	s_or_b64 exec, exec, s[16:17]
	global_load_ubyte v48, v[8:9], off offset:392
	v_mov_b32_e32 v49, 0
	s_waitcnt vmcnt(0)
	v_cmp_ne_u16_e64 s[4:5], 0, v48
	s_and_saveexec_b64 s[16:17], s[4:5]
	s_cbranch_execz .LBB343_86
; %bb.81:                               ;   in Loop: Header=BB343_10 Depth=1
	v_cmp_ne_u16_e64 s[4:5], s49, v48
	v_bfrev_b32_e32 v49, 1
	s_and_saveexec_b64 s[40:41], s[4:5]
	s_cbranch_execz .LBB343_85
; %bb.82:                               ;   in Loop: Header=BB343_10 Depth=1
	v_and_b32_e32 v12, 0xffff, v48
	v_and_b32_e32 v50, 0x7f, v12
	v_cmp_ne_u32_e64 s[4:5], s50, v50
	v_mov_b32_e32 v49, 0x7f800001
	s_and_saveexec_b64 s[42:43], s[4:5]
	s_cbranch_execz .LBB343_84
; %bb.83:                               ;   in Loop: Header=BB343_10 Depth=1
	v_and_b32_e32 v49, 7, v12
	v_ffbh_u32_e32 v52, v49
	v_min_u32_e32 v54, 32, v52
	v_subrev_u32_e32 v52, 28, v54
	v_lshlrev_b64 v[52:53], v52, v[12:13]
	v_lshrrev_b32_e32 v51, 3, v50
	v_sub_u32_e32 v12, 29, v54
	v_and_b32_e32 v52, 7, v52
	v_cmp_gt_u32_e64 s[4:5], 8, v50
	v_cndmask_b32_e64 v12, v51, v12, s[4:5]
	v_cndmask_b32_e64 v49, v49, v52, s[4:5]
	v_lshlrev_b32_e32 v48, 24, v48
	v_lshlrev_b32_e32 v49, 20, v49
	v_and_b32_e32 v48, 0x80000000, v48
	v_lshl_add_u32 v12, v12, 23, v39
	v_or3_b32 v49, v48, v12, v49
.LBB343_84:                             ;   in Loop: Header=BB343_10 Depth=1
	s_or_b64 exec, exec, s[42:43]
.LBB343_85:                             ;   in Loop: Header=BB343_10 Depth=1
	s_or_b64 exec, exec, s[40:41]
.LBB343_86:                             ;   in Loop: Header=BB343_10 Depth=1
	s_or_b64 exec, exec, s[16:17]
	v_mul_f32_e32 v12, s47, v49
	v_and_b32_e32 v48, 0x7f800000, v12
	v_cmp_ne_u32_e64 s[4:5], s51, v48
                                        ; implicit-def: $vgpr48
	s_and_saveexec_b64 s[16:17], s[4:5]
	s_xor_b64 s[4:5], exec, s[16:17]
; %bb.87:                               ;   in Loop: Header=BB343_10 Depth=1
	v_bfe_u32 v48, v12, 16, 1
	v_add3_u32 v48, v12, v48, s52
                                        ; implicit-def: $vgpr12
; %bb.88:                               ;   in Loop: Header=BB343_10 Depth=1
	s_andn2_saveexec_b64 s[16:17], s[4:5]
; %bb.89:                               ;   in Loop: Header=BB343_10 Depth=1
	v_or_b32_e32 v48, 0x10000, v12
	v_cmp_eq_u32_sdwa s[4:5], v12, v1 src0_sel:WORD_0 src1_sel:DWORD
	v_cndmask_b32_e64 v48, v48, v12, s[4:5]
; %bb.90:                               ;   in Loop: Header=BB343_10 Depth=1
	s_or_b64 exec, exec, s[16:17]
	global_load_ubyte v49, v[8:9], off offset:512
	v_mov_b32_e32 v50, 0
	s_waitcnt vmcnt(0)
	v_cmp_ne_u16_e64 s[4:5], 0, v49
	s_and_saveexec_b64 s[16:17], s[4:5]
	s_cbranch_execz .LBB343_96
; %bb.91:                               ;   in Loop: Header=BB343_10 Depth=1
	v_cmp_ne_u16_e64 s[4:5], s49, v49
	v_bfrev_b32_e32 v50, 1
	s_and_saveexec_b64 s[40:41], s[4:5]
	s_cbranch_execz .LBB343_95
; %bb.92:                               ;   in Loop: Header=BB343_10 Depth=1
	v_and_b32_e32 v12, 0xffff, v49
	v_and_b32_e32 v51, 0x7f, v12
	v_cmp_ne_u32_e64 s[4:5], s50, v51
	v_mov_b32_e32 v50, 0x7f800001
	s_and_saveexec_b64 s[42:43], s[4:5]
	s_cbranch_execz .LBB343_94
; %bb.93:                               ;   in Loop: Header=BB343_10 Depth=1
	v_and_b32_e32 v50, 7, v12
	v_ffbh_u32_e32 v52, v50
	v_min_u32_e32 v55, 32, v52
	v_subrev_u32_e32 v52, 28, v55
	v_lshlrev_b64 v[52:53], v52, v[12:13]
	v_lshrrev_b32_e32 v54, 3, v51
	v_sub_u32_e32 v12, 29, v55
	v_and_b32_e32 v52, 7, v52
	v_cmp_gt_u32_e64 s[4:5], 8, v51
	v_cndmask_b32_e64 v12, v54, v12, s[4:5]
	v_cndmask_b32_e64 v50, v50, v52, s[4:5]
	v_lshlrev_b32_e32 v49, 24, v49
	v_lshlrev_b32_e32 v50, 20, v50
	v_and_b32_e32 v49, 0x80000000, v49
	v_lshl_add_u32 v12, v12, 23, v39
	v_or3_b32 v50, v49, v12, v50
.LBB343_94:                             ;   in Loop: Header=BB343_10 Depth=1
	s_or_b64 exec, exec, s[42:43]
.LBB343_95:                             ;   in Loop: Header=BB343_10 Depth=1
	s_or_b64 exec, exec, s[40:41]
.LBB343_96:                             ;   in Loop: Header=BB343_10 Depth=1
	s_or_b64 exec, exec, s[16:17]
	v_mul_f32_e32 v12, s47, v50
	v_and_b32_e32 v49, 0x7f800000, v12
	v_cmp_ne_u32_e64 s[4:5], s51, v49
                                        ; implicit-def: $vgpr49
	s_and_saveexec_b64 s[16:17], s[4:5]
	s_xor_b64 s[4:5], exec, s[16:17]
; %bb.97:                               ;   in Loop: Header=BB343_10 Depth=1
	v_bfe_u32 v49, v12, 16, 1
	v_add3_u32 v49, v12, v49, s52
                                        ; implicit-def: $vgpr12
; %bb.98:                               ;   in Loop: Header=BB343_10 Depth=1
	s_andn2_saveexec_b64 s[16:17], s[4:5]
; %bb.99:                               ;   in Loop: Header=BB343_10 Depth=1
	v_or_b32_e32 v49, 0x10000, v12
	v_cmp_eq_u32_sdwa s[4:5], v12, v1 src0_sel:WORD_0 src1_sel:DWORD
	v_cndmask_b32_e64 v49, v49, v12, s[4:5]
; %bb.100:                              ;   in Loop: Header=BB343_10 Depth=1
	s_or_b64 exec, exec, s[16:17]
	global_load_ubyte v50, v[8:9], off offset:520
	v_mov_b32_e32 v51, 0
	s_waitcnt vmcnt(0)
	v_cmp_ne_u16_e64 s[4:5], 0, v50
	s_and_saveexec_b64 s[16:17], s[4:5]
	s_cbranch_execz .LBB343_106
; %bb.101:                              ;   in Loop: Header=BB343_10 Depth=1
	v_cmp_ne_u16_e64 s[4:5], s49, v50
	v_bfrev_b32_e32 v51, 1
	s_and_saveexec_b64 s[40:41], s[4:5]
	s_cbranch_execz .LBB343_105
; %bb.102:                              ;   in Loop: Header=BB343_10 Depth=1
	v_and_b32_e32 v12, 0xffff, v50
	v_and_b32_e32 v52, 0x7f, v12
	v_cmp_ne_u32_e64 s[4:5], s50, v52
	v_mov_b32_e32 v51, 0x7f800001
	s_and_saveexec_b64 s[42:43], s[4:5]
	s_cbranch_execz .LBB343_104
; %bb.103:                              ;   in Loop: Header=BB343_10 Depth=1
	v_and_b32_e32 v51, 7, v12
	v_ffbh_u32_e32 v54, v51
	v_min_u32_e32 v56, 32, v54
	v_subrev_u32_e32 v54, 28, v56
	v_lshlrev_b64 v[54:55], v54, v[12:13]
	v_lshrrev_b32_e32 v53, 3, v52
	v_sub_u32_e32 v12, 29, v56
	v_and_b32_e32 v54, 7, v54
	v_cmp_gt_u32_e64 s[4:5], 8, v52
	v_cndmask_b32_e64 v12, v53, v12, s[4:5]
	v_cndmask_b32_e64 v51, v51, v54, s[4:5]
	v_lshlrev_b32_e32 v50, 24, v50
	v_lshlrev_b32_e32 v51, 20, v51
	v_and_b32_e32 v50, 0x80000000, v50
	v_lshl_add_u32 v12, v12, 23, v39
	v_or3_b32 v51, v50, v12, v51
.LBB343_104:                            ;   in Loop: Header=BB343_10 Depth=1
	s_or_b64 exec, exec, s[42:43]
.LBB343_105:                            ;   in Loop: Header=BB343_10 Depth=1
	s_or_b64 exec, exec, s[40:41]
.LBB343_106:                            ;   in Loop: Header=BB343_10 Depth=1
	s_or_b64 exec, exec, s[16:17]
	v_mul_f32_e32 v12, s47, v51
	v_and_b32_e32 v50, 0x7f800000, v12
	v_cmp_ne_u32_e64 s[4:5], s51, v50
                                        ; implicit-def: $vgpr50
	s_and_saveexec_b64 s[16:17], s[4:5]
	s_xor_b64 s[4:5], exec, s[16:17]
; %bb.107:                              ;   in Loop: Header=BB343_10 Depth=1
	v_bfe_u32 v50, v12, 16, 1
	v_add3_u32 v50, v12, v50, s52
                                        ; implicit-def: $vgpr12
; %bb.108:                              ;   in Loop: Header=BB343_10 Depth=1
	s_andn2_saveexec_b64 s[16:17], s[4:5]
; %bb.109:                              ;   in Loop: Header=BB343_10 Depth=1
	v_or_b32_e32 v50, 0x10000, v12
	v_cmp_eq_u32_sdwa s[4:5], v12, v1 src0_sel:WORD_0 src1_sel:DWORD
	v_cndmask_b32_e64 v50, v50, v12, s[4:5]
; %bb.110:                              ;   in Loop: Header=BB343_10 Depth=1
	s_or_b64 exec, exec, s[16:17]
	global_load_ubyte v51, v[8:9], off offset:640
	v_mov_b32_e32 v52, 0
	s_waitcnt vmcnt(0)
	v_cmp_ne_u16_e64 s[4:5], 0, v51
	s_and_saveexec_b64 s[16:17], s[4:5]
	s_cbranch_execz .LBB343_116
; %bb.111:                              ;   in Loop: Header=BB343_10 Depth=1
	v_cmp_ne_u16_e64 s[4:5], s49, v51
	v_bfrev_b32_e32 v52, 1
	s_and_saveexec_b64 s[40:41], s[4:5]
	s_cbranch_execz .LBB343_115
; %bb.112:                              ;   in Loop: Header=BB343_10 Depth=1
	v_and_b32_e32 v12, 0xffff, v51
	v_and_b32_e32 v53, 0x7f, v12
	v_cmp_ne_u32_e64 s[4:5], s50, v53
	v_mov_b32_e32 v52, 0x7f800001
	s_and_saveexec_b64 s[42:43], s[4:5]
	s_cbranch_execz .LBB343_114
; %bb.113:                              ;   in Loop: Header=BB343_10 Depth=1
	v_and_b32_e32 v52, 7, v12
	v_ffbh_u32_e32 v54, v52
	v_min_u32_e32 v57, 32, v54
	v_subrev_u32_e32 v54, 28, v57
	v_lshlrev_b64 v[54:55], v54, v[12:13]
	v_lshrrev_b32_e32 v56, 3, v53
	v_sub_u32_e32 v12, 29, v57
	v_and_b32_e32 v54, 7, v54
	v_cmp_gt_u32_e64 s[4:5], 8, v53
	v_cndmask_b32_e64 v12, v56, v12, s[4:5]
	v_cndmask_b32_e64 v52, v52, v54, s[4:5]
	v_lshlrev_b32_e32 v51, 24, v51
	v_lshlrev_b32_e32 v52, 20, v52
	v_and_b32_e32 v51, 0x80000000, v51
	v_lshl_add_u32 v12, v12, 23, v39
	v_or3_b32 v52, v51, v12, v52
.LBB343_114:                            ;   in Loop: Header=BB343_10 Depth=1
	s_or_b64 exec, exec, s[42:43]
.LBB343_115:                            ;   in Loop: Header=BB343_10 Depth=1
	s_or_b64 exec, exec, s[40:41]
.LBB343_116:                            ;   in Loop: Header=BB343_10 Depth=1
	s_or_b64 exec, exec, s[16:17]
	v_mul_f32_e32 v12, s47, v52
	v_and_b32_e32 v51, 0x7f800000, v12
	v_cmp_ne_u32_e64 s[4:5], s51, v51
                                        ; implicit-def: $vgpr51
	s_and_saveexec_b64 s[16:17], s[4:5]
	s_xor_b64 s[4:5], exec, s[16:17]
; %bb.117:                              ;   in Loop: Header=BB343_10 Depth=1
	v_bfe_u32 v51, v12, 16, 1
	v_add3_u32 v51, v12, v51, s52
                                        ; implicit-def: $vgpr12
; %bb.118:                              ;   in Loop: Header=BB343_10 Depth=1
	s_andn2_saveexec_b64 s[16:17], s[4:5]
; %bb.119:                              ;   in Loop: Header=BB343_10 Depth=1
	v_or_b32_e32 v51, 0x10000, v12
	v_cmp_eq_u32_sdwa s[4:5], v12, v1 src0_sel:WORD_0 src1_sel:DWORD
	v_cndmask_b32_e64 v51, v51, v12, s[4:5]
; %bb.120:                              ;   in Loop: Header=BB343_10 Depth=1
	s_or_b64 exec, exec, s[16:17]
	global_load_ubyte v52, v[8:9], off offset:648
	v_mov_b32_e32 v53, 0
	s_waitcnt vmcnt(0)
	v_cmp_ne_u16_e64 s[4:5], 0, v52
	s_and_saveexec_b64 s[16:17], s[4:5]
	s_cbranch_execz .LBB343_126
; %bb.121:                              ;   in Loop: Header=BB343_10 Depth=1
	v_cmp_ne_u16_e64 s[4:5], s49, v52
	v_bfrev_b32_e32 v53, 1
	s_and_saveexec_b64 s[40:41], s[4:5]
	s_cbranch_execz .LBB343_125
; %bb.122:                              ;   in Loop: Header=BB343_10 Depth=1
	v_and_b32_e32 v12, 0xffff, v52
	v_and_b32_e32 v54, 0x7f, v12
	v_cmp_ne_u32_e64 s[4:5], s50, v54
	v_mov_b32_e32 v53, 0x7f800001
	s_and_saveexec_b64 s[42:43], s[4:5]
	s_cbranch_execz .LBB343_124
; %bb.123:                              ;   in Loop: Header=BB343_10 Depth=1
	v_and_b32_e32 v53, 7, v12
	v_ffbh_u32_e32 v56, v53
	v_min_u32_e32 v58, 32, v56
	v_subrev_u32_e32 v56, 28, v58
	v_lshlrev_b64 v[56:57], v56, v[12:13]
	v_lshrrev_b32_e32 v55, 3, v54
	v_sub_u32_e32 v12, 29, v58
	v_and_b32_e32 v56, 7, v56
	v_cmp_gt_u32_e64 s[4:5], 8, v54
	v_cndmask_b32_e64 v12, v55, v12, s[4:5]
	v_cndmask_b32_e64 v53, v53, v56, s[4:5]
	v_lshlrev_b32_e32 v52, 24, v52
	v_lshlrev_b32_e32 v53, 20, v53
	v_and_b32_e32 v52, 0x80000000, v52
	v_lshl_add_u32 v12, v12, 23, v39
	v_or3_b32 v53, v52, v12, v53
.LBB343_124:                            ;   in Loop: Header=BB343_10 Depth=1
	s_or_b64 exec, exec, s[42:43]
.LBB343_125:                            ;   in Loop: Header=BB343_10 Depth=1
	s_or_b64 exec, exec, s[40:41]
.LBB343_126:                            ;   in Loop: Header=BB343_10 Depth=1
	s_or_b64 exec, exec, s[16:17]
	v_mul_f32_e32 v12, s47, v53
	v_and_b32_e32 v52, 0x7f800000, v12
	v_cmp_ne_u32_e64 s[4:5], s51, v52
                                        ; implicit-def: $vgpr52
	s_and_saveexec_b64 s[16:17], s[4:5]
	s_xor_b64 s[4:5], exec, s[16:17]
; %bb.127:                              ;   in Loop: Header=BB343_10 Depth=1
	v_bfe_u32 v52, v12, 16, 1
	v_add3_u32 v52, v12, v52, s52
                                        ; implicit-def: $vgpr12
; %bb.128:                              ;   in Loop: Header=BB343_10 Depth=1
	s_andn2_saveexec_b64 s[16:17], s[4:5]
; %bb.129:                              ;   in Loop: Header=BB343_10 Depth=1
	v_or_b32_e32 v52, 0x10000, v12
	v_cmp_eq_u32_sdwa s[4:5], v12, v1 src0_sel:WORD_0 src1_sel:DWORD
	v_cndmask_b32_e64 v52, v52, v12, s[4:5]
; %bb.130:                              ;   in Loop: Header=BB343_10 Depth=1
	s_or_b64 exec, exec, s[16:17]
	global_load_ubyte v53, v[8:9], off offset:768
	v_mov_b32_e32 v54, 0
	s_waitcnt vmcnt(0)
	v_cmp_ne_u16_e64 s[4:5], 0, v53
	s_and_saveexec_b64 s[16:17], s[4:5]
	s_cbranch_execz .LBB343_136
; %bb.131:                              ;   in Loop: Header=BB343_10 Depth=1
	v_cmp_ne_u16_e64 s[4:5], s49, v53
	v_bfrev_b32_e32 v54, 1
	s_and_saveexec_b64 s[40:41], s[4:5]
	s_cbranch_execz .LBB343_135
; %bb.132:                              ;   in Loop: Header=BB343_10 Depth=1
	v_and_b32_e32 v12, 0xffff, v53
	v_and_b32_e32 v55, 0x7f, v12
	v_cmp_ne_u32_e64 s[4:5], s50, v55
	v_mov_b32_e32 v54, 0x7f800001
	s_and_saveexec_b64 s[42:43], s[4:5]
	s_cbranch_execz .LBB343_134
; %bb.133:                              ;   in Loop: Header=BB343_10 Depth=1
	v_and_b32_e32 v54, 7, v12
	v_ffbh_u32_e32 v56, v54
	v_min_u32_e32 v59, 32, v56
	v_subrev_u32_e32 v56, 28, v59
	v_lshlrev_b64 v[56:57], v56, v[12:13]
	v_lshrrev_b32_e32 v58, 3, v55
	v_sub_u32_e32 v12, 29, v59
	v_and_b32_e32 v56, 7, v56
	v_cmp_gt_u32_e64 s[4:5], 8, v55
	v_cndmask_b32_e64 v12, v58, v12, s[4:5]
	v_cndmask_b32_e64 v54, v54, v56, s[4:5]
	v_lshlrev_b32_e32 v53, 24, v53
	v_lshlrev_b32_e32 v54, 20, v54
	v_and_b32_e32 v53, 0x80000000, v53
	v_lshl_add_u32 v12, v12, 23, v39
	v_or3_b32 v54, v53, v12, v54
.LBB343_134:                            ;   in Loop: Header=BB343_10 Depth=1
	s_or_b64 exec, exec, s[42:43]
.LBB343_135:                            ;   in Loop: Header=BB343_10 Depth=1
	s_or_b64 exec, exec, s[40:41]
.LBB343_136:                            ;   in Loop: Header=BB343_10 Depth=1
	s_or_b64 exec, exec, s[16:17]
	v_mul_f32_e32 v12, s47, v54
	v_and_b32_e32 v53, 0x7f800000, v12
	v_cmp_ne_u32_e64 s[4:5], s51, v53
                                        ; implicit-def: $vgpr53
	s_and_saveexec_b64 s[16:17], s[4:5]
	s_xor_b64 s[4:5], exec, s[16:17]
; %bb.137:                              ;   in Loop: Header=BB343_10 Depth=1
	v_bfe_u32 v53, v12, 16, 1
	v_add3_u32 v53, v12, v53, s52
                                        ; implicit-def: $vgpr12
; %bb.138:                              ;   in Loop: Header=BB343_10 Depth=1
	s_andn2_saveexec_b64 s[16:17], s[4:5]
; %bb.139:                              ;   in Loop: Header=BB343_10 Depth=1
	v_or_b32_e32 v53, 0x10000, v12
	v_cmp_eq_u32_sdwa s[4:5], v12, v1 src0_sel:WORD_0 src1_sel:DWORD
	v_cndmask_b32_e64 v53, v53, v12, s[4:5]
; %bb.140:                              ;   in Loop: Header=BB343_10 Depth=1
	s_or_b64 exec, exec, s[16:17]
	global_load_ubyte v54, v[8:9], off offset:776
	v_mov_b32_e32 v55, 0
	s_waitcnt vmcnt(0)
	v_cmp_ne_u16_e64 s[4:5], 0, v54
	s_and_saveexec_b64 s[16:17], s[4:5]
	s_cbranch_execz .LBB343_146
; %bb.141:                              ;   in Loop: Header=BB343_10 Depth=1
	v_cmp_ne_u16_e64 s[4:5], s49, v54
	v_bfrev_b32_e32 v55, 1
	s_and_saveexec_b64 s[40:41], s[4:5]
	s_cbranch_execz .LBB343_145
; %bb.142:                              ;   in Loop: Header=BB343_10 Depth=1
	v_and_b32_e32 v12, 0xffff, v54
	v_and_b32_e32 v56, 0x7f, v12
	v_cmp_ne_u32_e64 s[4:5], s50, v56
	v_mov_b32_e32 v55, 0x7f800001
	s_and_saveexec_b64 s[42:43], s[4:5]
	s_cbranch_execz .LBB343_144
; %bb.143:                              ;   in Loop: Header=BB343_10 Depth=1
	v_and_b32_e32 v55, 7, v12
	v_ffbh_u32_e32 v58, v55
	v_min_u32_e32 v60, 32, v58
	v_subrev_u32_e32 v58, 28, v60
	v_lshlrev_b64 v[58:59], v58, v[12:13]
	v_lshrrev_b32_e32 v57, 3, v56
	v_sub_u32_e32 v12, 29, v60
	v_and_b32_e32 v58, 7, v58
	v_cmp_gt_u32_e64 s[4:5], 8, v56
	v_cndmask_b32_e64 v12, v57, v12, s[4:5]
	v_cndmask_b32_e64 v55, v55, v58, s[4:5]
	v_lshlrev_b32_e32 v54, 24, v54
	v_lshlrev_b32_e32 v55, 20, v55
	v_and_b32_e32 v54, 0x80000000, v54
	v_lshl_add_u32 v12, v12, 23, v39
	v_or3_b32 v55, v54, v12, v55
.LBB343_144:                            ;   in Loop: Header=BB343_10 Depth=1
	s_or_b64 exec, exec, s[42:43]
.LBB343_145:                            ;   in Loop: Header=BB343_10 Depth=1
	s_or_b64 exec, exec, s[40:41]
.LBB343_146:                            ;   in Loop: Header=BB343_10 Depth=1
	s_or_b64 exec, exec, s[16:17]
	v_mul_f32_e32 v12, s47, v55
	v_and_b32_e32 v54, 0x7f800000, v12
	v_cmp_ne_u32_e64 s[4:5], s51, v54
                                        ; implicit-def: $vgpr54
	s_and_saveexec_b64 s[16:17], s[4:5]
	s_xor_b64 s[4:5], exec, s[16:17]
; %bb.147:                              ;   in Loop: Header=BB343_10 Depth=1
	v_bfe_u32 v54, v12, 16, 1
	v_add3_u32 v54, v12, v54, s52
                                        ; implicit-def: $vgpr12
; %bb.148:                              ;   in Loop: Header=BB343_10 Depth=1
	s_andn2_saveexec_b64 s[16:17], s[4:5]
; %bb.149:                              ;   in Loop: Header=BB343_10 Depth=1
	v_or_b32_e32 v54, 0x10000, v12
	v_cmp_eq_u32_sdwa s[4:5], v12, v1 src0_sel:WORD_0 src1_sel:DWORD
	v_cndmask_b32_e64 v54, v54, v12, s[4:5]
; %bb.150:                              ;   in Loop: Header=BB343_10 Depth=1
	s_or_b64 exec, exec, s[16:17]
	global_load_ubyte v55, v[8:9], off offset:896
	v_mov_b32_e32 v56, 0
	s_waitcnt vmcnt(0)
	v_cmp_ne_u16_e64 s[4:5], 0, v55
	s_and_saveexec_b64 s[16:17], s[4:5]
	s_cbranch_execz .LBB343_156
; %bb.151:                              ;   in Loop: Header=BB343_10 Depth=1
	v_cmp_ne_u16_e64 s[4:5], s49, v55
	v_bfrev_b32_e32 v56, 1
	s_and_saveexec_b64 s[40:41], s[4:5]
	s_cbranch_execz .LBB343_155
; %bb.152:                              ;   in Loop: Header=BB343_10 Depth=1
	v_and_b32_e32 v12, 0xffff, v55
	v_and_b32_e32 v57, 0x7f, v12
	v_cmp_ne_u32_e64 s[4:5], s50, v57
	v_mov_b32_e32 v56, 0x7f800001
	s_and_saveexec_b64 s[42:43], s[4:5]
	s_cbranch_execz .LBB343_154
; %bb.153:                              ;   in Loop: Header=BB343_10 Depth=1
	v_and_b32_e32 v56, 7, v12
	v_ffbh_u32_e32 v58, v56
	v_min_u32_e32 v61, 32, v58
	v_subrev_u32_e32 v58, 28, v61
	v_lshlrev_b64 v[58:59], v58, v[12:13]
	v_lshrrev_b32_e32 v60, 3, v57
	v_sub_u32_e32 v12, 29, v61
	v_and_b32_e32 v58, 7, v58
	v_cmp_gt_u32_e64 s[4:5], 8, v57
	v_cndmask_b32_e64 v12, v60, v12, s[4:5]
	v_cndmask_b32_e64 v56, v56, v58, s[4:5]
	v_lshlrev_b32_e32 v55, 24, v55
	v_lshlrev_b32_e32 v56, 20, v56
	v_and_b32_e32 v55, 0x80000000, v55
	v_lshl_add_u32 v12, v12, 23, v39
	v_or3_b32 v56, v55, v12, v56
.LBB343_154:                            ;   in Loop: Header=BB343_10 Depth=1
	s_or_b64 exec, exec, s[42:43]
.LBB343_155:                            ;   in Loop: Header=BB343_10 Depth=1
	s_or_b64 exec, exec, s[40:41]
.LBB343_156:                            ;   in Loop: Header=BB343_10 Depth=1
	s_or_b64 exec, exec, s[16:17]
	v_mul_f32_e32 v55, s47, v56
	v_and_b32_e32 v12, 0x7f800000, v55
	v_cmp_ne_u32_e64 s[4:5], s51, v12
                                        ; implicit-def: $vgpr12
	s_and_saveexec_b64 s[16:17], s[4:5]
	s_xor_b64 s[4:5], exec, s[16:17]
; %bb.157:                              ;   in Loop: Header=BB343_10 Depth=1
	v_bfe_u32 v12, v55, 16, 1
	v_add3_u32 v12, v55, v12, s52
                                        ; implicit-def: $vgpr55
; %bb.158:                              ;   in Loop: Header=BB343_10 Depth=1
	s_andn2_saveexec_b64 s[16:17], s[4:5]
; %bb.159:                              ;   in Loop: Header=BB343_10 Depth=1
	v_or_b32_e32 v12, 0x10000, v55
	v_cmp_eq_u32_sdwa s[4:5], v55, v1 src0_sel:WORD_0 src1_sel:DWORD
	v_cndmask_b32_e64 v12, v12, v55, s[4:5]
; %bb.160:                              ;   in Loop: Header=BB343_10 Depth=1
	s_or_b64 exec, exec, s[16:17]
	global_load_ubyte v9, v[8:9], off offset:904
	v_mov_b32_e32 v55, 0
	s_waitcnt vmcnt(0)
	v_cmp_ne_u16_e64 s[4:5], 0, v9
	s_and_saveexec_b64 s[16:17], s[4:5]
	s_cbranch_execz .LBB343_166
; %bb.161:                              ;   in Loop: Header=BB343_10 Depth=1
	v_cmp_ne_u16_e64 s[4:5], s49, v9
	v_bfrev_b32_e32 v55, 1
	s_and_saveexec_b64 s[40:41], s[4:5]
	s_cbranch_execz .LBB343_165
; %bb.162:                              ;   in Loop: Header=BB343_10 Depth=1
	v_and_b32_e32 v8, 0xffff, v9
	v_and_b32_e32 v56, 0x7f, v8
	v_cmp_ne_u32_e64 s[4:5], s50, v56
	v_mov_b32_e32 v55, 0x7f800001
	s_and_saveexec_b64 s[42:43], s[4:5]
	s_cbranch_execz .LBB343_164
; %bb.163:                              ;   in Loop: Header=BB343_10 Depth=1
	v_and_b32_e32 v55, 7, v8
	v_ffbh_u32_e32 v58, v55
	v_min_u32_e32 v60, 32, v58
	v_subrev_u32_e32 v58, 28, v60
	v_lshlrev_b64 v[58:59], v58, v[8:9]
	v_lshrrev_b32_e32 v57, 3, v56
	v_sub_u32_e32 v8, 29, v60
	v_and_b32_e32 v58, 7, v58
	v_cmp_gt_u32_e64 s[4:5], 8, v56
	v_cndmask_b32_e64 v8, v57, v8, s[4:5]
	v_cndmask_b32_e64 v55, v55, v58, s[4:5]
	v_lshlrev_b32_e32 v9, 24, v9
	v_lshlrev_b32_e32 v55, 20, v55
	v_and_b32_e32 v9, 0x80000000, v9
	v_lshl_add_u32 v8, v8, 23, v39
	v_or3_b32 v55, v9, v8, v55
.LBB343_164:                            ;   in Loop: Header=BB343_10 Depth=1
	s_or_b64 exec, exec, s[42:43]
.LBB343_165:                            ;   in Loop: Header=BB343_10 Depth=1
	s_or_b64 exec, exec, s[40:41]
.LBB343_166:                            ;   in Loop: Header=BB343_10 Depth=1
	s_or_b64 exec, exec, s[16:17]
	v_mul_f32_e32 v9, s47, v55
	v_and_b32_e32 v8, 0x7f800000, v9
	v_cmp_ne_u32_e64 s[4:5], s51, v8
                                        ; implicit-def: $vgpr8
	s_and_saveexec_b64 s[16:17], s[4:5]
	s_xor_b64 s[4:5], exec, s[16:17]
; %bb.167:                              ;   in Loop: Header=BB343_10 Depth=1
	v_bfe_u32 v8, v9, 16, 1
	v_add3_u32 v8, v9, v8, s52
                                        ; implicit-def: $vgpr9
; %bb.168:                              ;   in Loop: Header=BB343_10 Depth=1
	s_andn2_saveexec_b64 s[16:17], s[4:5]
; %bb.169:                              ;   in Loop: Header=BB343_10 Depth=1
	v_or_b32_e32 v8, 0x10000, v9
	v_cmp_eq_u32_sdwa s[4:5], v9, v1 src0_sel:WORD_0 src1_sel:DWORD
	v_cndmask_b32_e64 v8, v8, v9, s[4:5]
; %bb.170:                              ;   in Loop: Header=BB343_10 Depth=1
	s_or_b64 exec, exec, s[16:17]
	v_and_b32_e32 v42, 0xffff0000, v42
	v_and_b32_e32 v41, 0xffff0000, v41
	v_mul_f32_e32 v42, v15, v42
	v_and_b32_e32 v43, 0xffff0000, v43
	v_fmac_f32_e32 v42, v14, v41
	v_and_b32_e32 v44, 0xffff0000, v44
	v_fmac_f32_e32 v42, v18, v43
	;; [unrolled: 2-line block ×11, first 2 shown]
	v_and_b32_e32 v9, 0xffff0000, v12
	v_and_b32_e32 v12, 0xffff0000, v54
	v_fmac_f32_e32 v42, v29, v53
	v_fmac_f32_e32 v42, v30, v12
	v_and_b32_e32 v8, 0xffff0000, v8
	v_fmac_f32_e32 v42, v31, v9
	v_fmac_f32_e32 v42, v32, v8
	ds_bpermute_b32 v8, v34, v42
	s_waitcnt lgkmcnt(0)
	v_add_f32_e32 v8, v42, v8
	ds_bpermute_b32 v9, v35, v8
	s_waitcnt lgkmcnt(0)
	v_add_f32_e32 v8, v8, v9
	ds_bpermute_b32 v9, v36, v8
	s_and_saveexec_b64 s[16:17], vcc
	s_cbranch_execz .LBB343_9
; %bb.171:                              ;   in Loop: Header=BB343_10 Depth=1
	v_add_u32_e32 v12, s48, v37
	v_cvt_f32_i32_e32 v12, v12
	s_waitcnt lgkmcnt(0)
	v_add_f32_e32 v8, v8, v9
	v_cmp_gt_i32_e64 s[4:5], s29, v37
	v_max_f32_e32 v9, v33, v33
	v_mul_f32_e32 v12, s45, v12
	v_cndmask_b32_e64 v12, 0, v12, s[2:3]
	v_fmac_f32_e32 v12, s11, v8
	v_cndmask_b32_e64 v8, 0, v12, s[4:5]
	ds_write_b32 v38, v8
	v_max_f32_e32 v8, v9, v12
	v_cndmask_b32_e64 v33, v33, v8, s[4:5]
	s_branch .LBB343_9
.LBB343_172:
	s_or_b64 exec, exec, s[14:15]
.LBB343_173:
	s_or_b64 exec, exec, s[38:39]
	v_xor_b32_e32 v1, 32, v3
	v_cmp_lt_i32_e32 vcc, v1, v13
	v_cndmask_b32_e32 v1, v3, v1, vcc
	v_lshlrev_b32_e32 v5, 2, v1
	ds_bpermute_b32 v1, v5, v33
	v_xor_b32_e32 v4, 16, v3
	v_max_f32_e32 v2, v33, v33
	v_cmp_lt_i32_e32 vcc, v4, v13
	v_xor_b32_e32 v6, 8, v3
	s_waitcnt lgkmcnt(0)
	v_max_f32_e32 v1, v1, v1
	v_max_f32_e32 v1, v2, v1
	v_cndmask_b32_e32 v2, v3, v4, vcc
	v_lshlrev_b32_e32 v7, 2, v2
	ds_bpermute_b32 v2, v7, v1
	v_cmp_lt_i32_e32 vcc, v6, v13
	s_waitcnt lgkmcnt(0)
	v_max_f32_e32 v2, v2, v2
	v_max_f32_e32 v4, v1, v2
	v_cndmask_b32_e32 v1, v3, v6, vcc
	v_lshlrev_b32_e32 v8, 2, v1
	ds_bpermute_b32 v6, v8, v4
	v_and_b32_e32 v1, 63, v0
	v_cmp_eq_u32_e32 vcc, 0, v1
	v_lshlrev_b32_e32 v2, 2, v16
	s_and_saveexec_b64 s[2:3], vcc
	s_cbranch_execz .LBB343_175
; %bb.174:
	s_waitcnt lgkmcnt(0)
	v_max_f32_e32 v6, v6, v6
	v_max_f32_e32 v4, v4, v4
	;; [unrolled: 1-line block ×3, first 2 shown]
	ds_write_b32 v2, v4 offset:256
.LBB343_175:
	s_or_b64 exec, exec, s[2:3]
	v_cmp_gt_u32_e64 s[2:3], 2, v1
	v_mov_b32_e32 v4, 0xff7fffff
	s_waitcnt lgkmcnt(0)
	v_lshlrev_b32_e32 v6, 2, v1
	s_barrier
	s_and_saveexec_b64 s[4:5], s[2:3]
	s_cbranch_execz .LBB343_177
; %bb.176:
	ds_read_b32 v4, v6 offset:256
.LBB343_177:
	s_or_b64 exec, exec, s[4:5]
	v_xor_b32_e32 v9, 1, v3
	v_cmp_lt_i32_e64 s[4:5], v9, v13
	v_cndmask_b32_e64 v9, v3, v9, s[4:5]
	v_lshlrev_b32_e32 v9, 2, v9
	s_waitcnt lgkmcnt(0)
	ds_bpermute_b32 v12, v9, v4
	v_max_f32_e32 v4, v4, v4
	s_sub_i32 s4, s33, s10
	s_lshl_b32 s4, s4, 3
	s_add_i32 s4, s4, s44
	s_waitcnt lgkmcnt(0)
	v_max_f32_e32 v12, v12, v12
	v_max_f32_e32 v4, v4, v12
	v_lshlrev_b32_e32 v12, 2, v3
	v_and_b32_e32 v12, 0xffffff00, v12
	ds_bpermute_b32 v4, v12, v4
	s_min_i32 s39, s4, s29
	s_sub_i32 s38, s39, s44
	v_cmp_gt_i32_e64 s[4:5], s38, v0
	v_mov_b32_e32 v14, 0
	s_and_saveexec_b64 s[14:15], s[4:5]
	s_cbranch_execz .LBB343_181
; %bb.178:
	v_mov_b32_e32 v14, 0x110
	v_lshl_add_u32 v15, v0, 2, v14
	s_mov_b64 s[16:17], 0
	v_mov_b32_e32 v14, 0
	v_mov_b32_e32 v18, v0
.LBB343_179:                            ; =>This Inner Loop Header: Depth=1
	ds_read_b32 v19, v15
	v_add_u32_e32 v18, 0x80, v18
	v_cmp_le_i32_e64 s[10:11], s38, v18
	s_or_b64 s[16:17], s[10:11], s[16:17]
	s_waitcnt lgkmcnt(0)
	v_sub_f32_e32 v19, v19, v4
	v_mul_f32_e32 v19, 0x3fb8aa3b, v19
	v_exp_f32_e32 v19, v19
	ds_write_b32 v15, v19
	v_add_f32_e32 v14, v14, v19
	v_add_u32_e32 v15, 0x200, v15
	s_andn2_b64 exec, exec, s[16:17]
	s_cbranch_execnz .LBB343_179
; %bb.180:
	s_or_b64 exec, exec, s[16:17]
.LBB343_181:
	s_or_b64 exec, exec, s[14:15]
	ds_bpermute_b32 v5, v5, v14
	s_waitcnt lgkmcnt(0)
	v_add_f32_e32 v5, v14, v5
	ds_bpermute_b32 v7, v7, v5
	s_waitcnt lgkmcnt(0)
	v_add_f32_e32 v5, v5, v7
	ds_bpermute_b32 v7, v8, v5
	v_xor_b32_e32 v8, 4, v3
	v_cmp_lt_i32_e64 s[10:11], v8, v13
	v_cndmask_b32_e64 v8, v3, v8, s[10:11]
	v_lshlrev_b32_e32 v8, 2, v8
	s_waitcnt lgkmcnt(0)
	v_add_f32_e32 v5, v5, v7
	ds_bpermute_b32 v7, v8, v5
	v_xor_b32_e32 v8, 2, v3
	v_cmp_lt_i32_e64 s[10:11], v8, v13
	v_cndmask_b32_e64 v3, v3, v8, s[10:11]
	v_lshlrev_b32_e32 v3, 2, v3
	s_waitcnt lgkmcnt(0)
	v_add_f32_e32 v5, v5, v7
	ds_bpermute_b32 v3, v3, v5
	s_waitcnt lgkmcnt(0)
	v_add_f32_e32 v3, v5, v3
	ds_bpermute_b32 v5, v9, v3
	s_waitcnt lgkmcnt(0)
	v_add_f32_e32 v3, v3, v5
	s_and_saveexec_b64 s[10:11], vcc
	s_cbranch_execz .LBB343_183
; %bb.182:
	ds_write_b32 v2, v3 offset:264
.LBB343_183:
	s_or_b64 exec, exec, s[10:11]
	s_waitcnt lgkmcnt(0)
	s_barrier
	s_and_saveexec_b64 s[10:11], s[2:3]
	s_cbranch_execz .LBB343_185
; %bb.184:
	ds_read_b32 v3, v6 offset:264
.LBB343_185:
	s_or_b64 exec, exec, s[10:11]
	s_waitcnt lgkmcnt(0)
	ds_bpermute_b32 v2, v9, v3
	s_waitcnt lgkmcnt(0)
	v_add_f32_e32 v2, v3, v2
	ds_bpermute_b32 v5, v12, v2
	s_and_saveexec_b64 s[2:3], s[4:5]
	s_cbranch_execz .LBB343_198
; %bb.186:
	s_waitcnt lgkmcnt(0)
	v_add_f32_e32 v2, 0x358637bd, v5
	v_div_scale_f32 v3, s[4:5], v2, v2, 1.0
	v_rcp_f32_e32 v6, v3
	v_div_scale_f32 v7, vcc, 1.0, v2, 1.0
	s_movk_i32 s4, 0x7f
	v_fma_f32 v8, -v3, v6, 1.0
	v_fmac_f32_e32 v6, v8, v6
	v_mul_f32_e32 v8, v7, v6
	v_fma_f32 v9, -v3, v8, v7
	v_fmac_f32_e32 v8, v9, v6
	v_fma_f32 v3, -v3, v8, v7
	v_div_fmas_f32 v3, v3, v6, v8
	v_div_fixup_f32 v2, v3, v2, 1.0
	v_xad_u32 v3, v0, -1, s39
	v_subrev_u32_e32 v6, s44, v3
	v_cmp_lt_u32_e32 vcc, s4, v6
	s_mov_b64 s[10:11], -1
	v_mov_b32_e32 v3, v0
	s_and_saveexec_b64 s[4:5], vcc
	s_cbranch_execz .LBB343_195
; %bb.187:
	v_lshrrev_b32_e32 v6, 7, v6
	v_add_u32_e32 v8, -1, v6
	v_lshrrev_b32_e32 v7, 1, v8
	v_mov_b32_e32 v3, v2
	v_add_u32_e32 v7, 1, v7
	v_cmp_lt_u32_e32 vcc, 13, v8
	v_mov_b32_e32 v12, 0
	s_and_saveexec_b64 s[10:11], vcc
	s_cbranch_execz .LBB343_191
; %bb.188:
	v_mov_b32_e32 v9, 0x110
	v_and_b32_e32 v8, -8, v7
	v_lshl_add_u32 v9, v0, 2, v9
	s_mov_b32 s16, 0
	s_mov_b64 s[14:15], 0
.LBB343_189:                            ; =>This Inner Loop Header: Depth=1
	ds_read2st64_b32 v[12:13], v9 offset1:2
	ds_read2st64_b32 v[14:15], v9 offset0:4 offset1:6
	ds_read2st64_b32 v[18:19], v9 offset0:8 offset1:10
	ds_read2st64_b32 v[22:23], v9 offset0:12 offset1:14
	v_add_u32_e32 v8, -8, v8
	s_waitcnt lgkmcnt(3)
	v_pk_mul_f32 v[12:13], v[2:3], v[12:13]
	s_waitcnt lgkmcnt(2)
	v_pk_mul_f32 v[14:15], v[2:3], v[14:15]
	ds_write2st64_b32 v9, v12, v13 offset1:2
	ds_write2st64_b32 v9, v14, v15 offset0:4 offset1:6
	ds_read2st64_b32 v[14:15], v9 offset0:16 offset1:18
	s_waitcnt lgkmcnt(4)
	v_pk_mul_f32 v[12:13], v[2:3], v[18:19]
	ds_write2st64_b32 v9, v12, v13 offset0:8 offset1:10
	s_waitcnt lgkmcnt(4)
	v_pk_mul_f32 v[12:13], v[2:3], v[22:23]
	ds_write2st64_b32 v9, v12, v13 offset0:12 offset1:14
	ds_read2st64_b32 v[12:13], v9 offset0:20 offset1:22
	s_waitcnt lgkmcnt(3)
	v_pk_mul_f32 v[14:15], v[2:3], v[14:15]
	ds_read2st64_b32 v[18:19], v9 offset0:24 offset1:26
	ds_write2st64_b32 v9, v14, v15 offset0:16 offset1:18
	ds_read2st64_b32 v[14:15], v9 offset0:28 offset1:30
	s_waitcnt lgkmcnt(3)
	v_pk_mul_f32 v[12:13], v[2:3], v[12:13]
	ds_write2st64_b32 v9, v12, v13 offset0:20 offset1:22
	s_waitcnt lgkmcnt(3)
	v_pk_mul_f32 v[12:13], v[2:3], v[18:19]
	ds_write2st64_b32 v9, v12, v13 offset0:24 offset1:26
	s_waitcnt lgkmcnt(2)
	v_pk_mul_f32 v[12:13], v[2:3], v[14:15]
	s_add_i32 s16, s16, 16
	v_cmp_eq_u32_e32 vcc, 0, v8
	ds_write2st64_b32 v9, v12, v13 offset0:28 offset1:30
	v_add_u32_e32 v9, 0x2000, v9
	s_or_b64 s[14:15], vcc, s[14:15]
	v_mov_b32_e32 v12, s16
	s_andn2_b64 exec, exec, s[14:15]
	s_cbranch_execnz .LBB343_189
; %bb.190:
	s_or_b64 exec, exec, s[14:15]
.LBB343_191:
	s_or_b64 exec, exec, s[10:11]
	v_and_b32_e32 v7, 7, v7
	v_cmp_ne_u32_e32 vcc, 0, v7
	s_and_saveexec_b64 s[10:11], vcc
	s_cbranch_execz .LBB343_194
; %bb.192:
	v_lshlrev_b32_e32 v8, 9, v12
	v_lshlrev_b32_e32 v9, 2, v0
	s_movk_i32 s14, 0x110
	v_add3_u32 v8, v8, v9, s14
	s_mov_b64 s[14:15], 0
.LBB343_193:                            ; =>This Inner Loop Header: Depth=1
	ds_read2st64_b32 v[12:13], v8 offset1:2
	v_add_u32_e32 v7, -1, v7
	v_cmp_eq_u32_e32 vcc, 0, v7
	s_or_b64 s[14:15], vcc, s[14:15]
	s_waitcnt lgkmcnt(0)
	v_pk_mul_f32 v[12:13], v[2:3], v[12:13]
	ds_write2st64_b32 v8, v12, v13 offset1:2
	v_add_u32_e32 v8, 0x400, v8
	s_andn2_b64 exec, exec, s[14:15]
	s_cbranch_execnz .LBB343_193
.LBB343_194:
	s_or_b64 exec, exec, s[10:11]
	v_add_u32_e32 v6, 1, v6
	v_and_b32_e32 v7, 0x3fffffe, v6
	v_cmp_ne_u32_e32 vcc, v6, v7
	v_lshl_add_u32 v3, v7, 7, v0
	s_orn2_b64 s[10:11], vcc, exec
.LBB343_195:
	s_or_b64 exec, exec, s[4:5]
	s_and_b64 exec, exec, s[10:11]
	s_cbranch_execz .LBB343_198
; %bb.196:
	v_mov_b32_e32 v6, 0x110
	v_lshl_add_u32 v6, v3, 2, v6
	s_mov_b64 s[4:5], 0
.LBB343_197:                            ; =>This Inner Loop Header: Depth=1
	ds_read_b32 v7, v6
	v_add_u32_e32 v3, 0x80, v3
	v_cmp_le_i32_e32 vcc, s38, v3
	s_or_b64 s[4:5], vcc, s[4:5]
	s_waitcnt lgkmcnt(0)
	v_mul_f32_e32 v7, v2, v7
	ds_write_b32 v6, v7
	v_add_u32_e32 v6, 0x200, v6
	s_andn2_b64 exec, exec, s[4:5]
	s_cbranch_execnz .LBB343_197
.LBB343_198:
	s_or_b64 exec, exec, s[2:3]
	s_mul_i32 s2, s25, s28
	s_mov_b32 s4, 0
	v_cmp_eq_u32_e32 vcc, 0, v0
	s_mul_i32 s2, s2, s9
	s_waitcnt lgkmcnt(0)
	s_barrier
	s_and_saveexec_b64 s[10:11], vcc
	s_cbranch_execz .LBB343_200
; %bb.199:
	s_ashr_i32 s3, s2, 31
	s_lshl_b64 s[14:15], s[2:3], 2
	s_add_u32 s3, s22, s14
	s_mul_i32 s16, s25, s6
	s_addc_u32 s5, s23, s15
	s_ashr_i32 s17, s16, 31
	s_lshl_b64 s[16:17], s[16:17], 2
	s_add_u32 s3, s3, s16
	s_addc_u32 s5, s5, s17
	s_ashr_i32 s9, s8, 31
	s_lshl_b64 s[22:23], s[8:9], 2
	s_add_u32 s38, s3, s22
	s_addc_u32 s39, s5, s23
	s_add_u32 s3, s20, s14
	s_addc_u32 s5, s21, s15
	;; [unrolled: 2-line block ×3, first 2 shown]
	s_add_u32 s14, s3, s22
	v_mov_b32_e32 v2, 0
	s_addc_u32 s15, s5, s23
	global_store_dword v2, v4, s[38:39]
	global_store_dword v2, v5, s[14:15]
.LBB343_200:
	s_or_b64 exec, exec, s[10:11]
	s_mov_b32 s5, s4
	v_pk_mov_b32 v[2:3], s[4:5], s[4:5] op_sel:[0,1]
	s_and_saveexec_b64 s[4:5], s[0:1]
	s_cbranch_execz .LBB343_464
; %bb.201:
	s_ashr_i32 s0, s7, 31
	s_add_u32 s1, s36, s7
	s_addc_u32 s0, s37, s0
	v_lshlrev_b32_e32 v2, 3, v1
	s_load_dword s9, s[18:19], 0x0
	s_add_i32 s18, s12, -1
	v_mov_b32_e32 v3, s0
	v_add_co_u32_e32 v14, vcc, s1, v2
	s_lshl_b64 s[0:1], s[34:35], 2
	v_mov_b32_e32 v2, 0x110
	s_add_u32 s0, s30, s0
	v_addc_co_u32_e32 v15, vcc, 0, v3, vcc
	v_lshl_add_u32 v22, v16, 5, v2
	v_lshlrev_b64 v[2:3], 2, v[10:11]
	s_addc_u32 s1, s31, s1
	s_mov_b32 s6, -1
	v_mov_b32_e32 v13, 0
	v_mov_b32_e32 v4, s1
	v_add_co_u32_e32 v16, vcc, s0, v2
	s_mov_b32 s3, s13
	s_mov_b32 s7, 0xffffff
	v_add3_u32 v21, s44, v17, 7
	v_addc_co_u32_e32 v17, vcc, v4, v3, vcc
	s_mov_b64 s[10:11], 0
	s_mov_b32 s19, 0x7f800000
	s_movk_i32 s20, 0x7fff
	s_movk_i32 s21, 0x80
	;; [unrolled: 1-line block ×3, first 2 shown]
	v_bfrev_b32_e32 v11, 60
	v_mov_b32_e32 v18, v13
	v_mov_b32_e32 v19, v13
	s_branch .LBB343_203
.LBB343_202:                            ;   in Loop: Header=BB343_203 Depth=1
	s_or_b64 exec, exec, s[0:1]
	v_and_b32_e32 v3, 0xffff0000, v32
	v_and_b32_e32 v32, 0xffff0000, v9
	;; [unrolled: 1-line block ×6, first 2 shown]
	v_pk_add_f32 v[6:7], v[6:7], v[8:9]
	v_and_b32_e32 v2, 0xffff0000, v23
	v_and_b32_e32 v33, 0xffff0000, v24
	v_mov_b32_e32 v8, v7
	v_pk_add_f32 v[6:7], v[6:7], v[8:9]
	v_pk_add_f32 v[2:3], v[32:33], v[2:3]
	v_and_b32_e32 v8, 0xffff0000, v27
	v_and_b32_e32 v27, 0xffff0000, v26
	v_and_b32_e32 v26, 0xffff0000, v12
	v_and_b32_e32 v5, 0xffff0000, v25
	v_and_b32_e32 v4, 0xffff0000, v4
	v_pk_add_f32 v[6:7], v[6:7], v[2:3]
	v_mov_b32_e32 v2, v3
	v_pk_add_f32 v[4:5], v[4:5], v[26:27]
	v_pk_add_f32 v[2:3], v[6:7], v[2:3]
	v_and_b32_e32 v7, 0xffff0000, v30
	v_and_b32_e32 v6, 0xffff0000, v28
	;; [unrolled: 1-line block ×3, first 2 shown]
	v_mov_b32_e32 v12, v5
	v_pk_add_f32 v[4:5], v[4:5], v[12:13]
	v_pk_add_f32 v[6:7], v[8:9], v[6:7]
	v_pk_add_f32 v[4:5], v[4:5], v[6:7]
	v_mov_b32_e32 v6, v7
	v_pk_add_f32 v[2:3], v[18:19], v[2:3]
	v_pk_add_f32 v[4:5], v[4:5], v[6:7]
	v_add_co_u32_e32 v16, vcc, 8, v16
	v_mov_b32_e32 v3, v4
	v_add_u32_e32 v10, 2, v10
	v_addc_co_u32_e32 v17, vcc, 0, v17, vcc
	v_pk_add_f32 v[18:19], v[18:19], v[2:3]
	v_cmp_le_i32_e32 vcc, s33, v10
	v_add_u32_e32 v21, 16, v21
	v_add_u32_e32 v22, 64, v22
	s_or_b64 s[10:11], vcc, s[10:11]
	v_mov_b32_e32 v18, v2
	s_andn2_b64 exec, exec, s[10:11]
	s_cbranch_execz .LBB343_463
.LBB343_203:                            ; =>This Inner Loop Header: Depth=1
	global_load_dword v12, v[16:17], off
	ds_read2_b64 v[6:9], v22 offset1:1
	ds_read2_b64 v[2:5], v22 offset0:2 offset1:3
                                        ; implicit-def: $vgpr33
	s_waitcnt lgkmcnt(0)
	v_and_b32_e32 v23, 0x7f800000, v6
	v_cmp_ne_u32_e32 vcc, s19, v23
	s_and_saveexec_b64 s[0:1], vcc
	s_xor_b64 s[0:1], exec, s[0:1]
; %bb.204:                              ;   in Loop: Header=BB343_203 Depth=1
	v_bfe_u32 v23, v6, 16, 1
	v_add3_u32 v33, v6, v23, s20
; %bb.205:                              ;   in Loop: Header=BB343_203 Depth=1
	s_andn2_saveexec_b64 s[0:1], s[0:1]
; %bb.206:                              ;   in Loop: Header=BB343_203 Depth=1
	v_or_b32_e32 v23, 0x10000, v6
	v_cmp_eq_u32_sdwa vcc, v6, v13 src0_sel:WORD_0 src1_sel:DWORD
	v_cndmask_b32_e32 v33, v23, v6, vcc
; %bb.207:                              ;   in Loop: Header=BB343_203 Depth=1
	s_or_b64 exec, exec, s[0:1]
	v_and_b32_e32 v6, 0x7f800000, v7
	v_cmp_ne_u32_e32 vcc, s19, v6
                                        ; implicit-def: $vgpr34
	s_and_saveexec_b64 s[0:1], vcc
	s_xor_b64 s[0:1], exec, s[0:1]
; %bb.208:                              ;   in Loop: Header=BB343_203 Depth=1
	v_bfe_u32 v6, v7, 16, 1
	v_add3_u32 v34, v7, v6, s20
; %bb.209:                              ;   in Loop: Header=BB343_203 Depth=1
	s_andn2_saveexec_b64 s[0:1], s[0:1]
; %bb.210:                              ;   in Loop: Header=BB343_203 Depth=1
	v_or_b32_e32 v6, 0x10000, v7
	v_cmp_eq_u32_sdwa vcc, v7, v13 src0_sel:WORD_0 src1_sel:DWORD
	v_cndmask_b32_e32 v34, v6, v7, vcc
; %bb.211:                              ;   in Loop: Header=BB343_203 Depth=1
	s_or_b64 exec, exec, s[0:1]
	v_and_b32_e32 v6, 0x7f800000, v8
	v_cmp_ne_u32_e32 vcc, s19, v6
                                        ; implicit-def: $vgpr35
	s_and_saveexec_b64 s[0:1], vcc
	s_xor_b64 s[0:1], exec, s[0:1]
; %bb.212:                              ;   in Loop: Header=BB343_203 Depth=1
	v_bfe_u32 v6, v8, 16, 1
	v_add3_u32 v35, v8, v6, s20
; %bb.213:                              ;   in Loop: Header=BB343_203 Depth=1
	s_andn2_saveexec_b64 s[0:1], s[0:1]
; %bb.214:                              ;   in Loop: Header=BB343_203 Depth=1
	v_or_b32_e32 v6, 0x10000, v8
	v_cmp_eq_u32_sdwa vcc, v8, v13 src0_sel:WORD_0 src1_sel:DWORD
	v_cndmask_b32_e32 v35, v6, v8, vcc
; %bb.215:                              ;   in Loop: Header=BB343_203 Depth=1
	s_or_b64 exec, exec, s[0:1]
	v_and_b32_e32 v6, 0x7f800000, v9
	v_cmp_ne_u32_e32 vcc, s19, v6
                                        ; implicit-def: $vgpr36
	s_and_saveexec_b64 s[0:1], vcc
	s_xor_b64 s[0:1], exec, s[0:1]
; %bb.216:                              ;   in Loop: Header=BB343_203 Depth=1
	v_bfe_u32 v6, v9, 16, 1
	v_add3_u32 v36, v9, v6, s20
                                        ; implicit-def: $vgpr6_vgpr7_vgpr8_vgpr9
; %bb.217:                              ;   in Loop: Header=BB343_203 Depth=1
	s_andn2_saveexec_b64 s[0:1], s[0:1]
; %bb.218:                              ;   in Loop: Header=BB343_203 Depth=1
	v_or_b32_e32 v6, 0x10000, v9
	v_cmp_eq_u32_sdwa vcc, v9, v13 src0_sel:WORD_0 src1_sel:DWORD
	v_cndmask_b32_e32 v36, v6, v9, vcc
; %bb.219:                              ;   in Loop: Header=BB343_203 Depth=1
	s_or_b64 exec, exec, s[0:1]
	v_and_b32_e32 v6, 0x7f800000, v2
	v_cmp_ne_u32_e32 vcc, s19, v6
                                        ; implicit-def: $vgpr9
	s_and_saveexec_b64 s[0:1], vcc
	s_xor_b64 s[0:1], exec, s[0:1]
; %bb.220:                              ;   in Loop: Header=BB343_203 Depth=1
	v_bfe_u32 v6, v2, 16, 1
	v_add3_u32 v9, v2, v6, s20
; %bb.221:                              ;   in Loop: Header=BB343_203 Depth=1
	s_andn2_saveexec_b64 s[0:1], s[0:1]
; %bb.222:                              ;   in Loop: Header=BB343_203 Depth=1
	v_or_b32_e32 v6, 0x10000, v2
	v_cmp_eq_u32_sdwa vcc, v2, v13 src0_sel:WORD_0 src1_sel:DWORD
	v_cndmask_b32_e32 v9, v6, v2, vcc
; %bb.223:                              ;   in Loop: Header=BB343_203 Depth=1
	s_or_b64 exec, exec, s[0:1]
	v_and_b32_e32 v2, 0x7f800000, v3
	v_cmp_ne_u32_e32 vcc, s19, v2
                                        ; implicit-def: $vgpr23
	s_and_saveexec_b64 s[0:1], vcc
	s_xor_b64 s[0:1], exec, s[0:1]
; %bb.224:                              ;   in Loop: Header=BB343_203 Depth=1
	v_bfe_u32 v2, v3, 16, 1
	v_add3_u32 v23, v3, v2, s20
; %bb.225:                              ;   in Loop: Header=BB343_203 Depth=1
	s_andn2_saveexec_b64 s[0:1], s[0:1]
; %bb.226:                              ;   in Loop: Header=BB343_203 Depth=1
	v_or_b32_e32 v2, 0x10000, v3
	v_cmp_eq_u32_sdwa vcc, v3, v13 src0_sel:WORD_0 src1_sel:DWORD
	v_cndmask_b32_e32 v23, v2, v3, vcc
; %bb.227:                              ;   in Loop: Header=BB343_203 Depth=1
	s_or_b64 exec, exec, s[0:1]
	v_and_b32_e32 v2, 0x7f800000, v4
	v_cmp_ne_u32_e32 vcc, s19, v2
                                        ; implicit-def: $vgpr24
	s_and_saveexec_b64 s[0:1], vcc
	s_xor_b64 s[0:1], exec, s[0:1]
; %bb.228:                              ;   in Loop: Header=BB343_203 Depth=1
	v_bfe_u32 v2, v4, 16, 1
	v_add3_u32 v24, v4, v2, s20
; %bb.229:                              ;   in Loop: Header=BB343_203 Depth=1
	s_andn2_saveexec_b64 s[0:1], s[0:1]
; %bb.230:                              ;   in Loop: Header=BB343_203 Depth=1
	v_or_b32_e32 v2, 0x10000, v4
	v_cmp_eq_u32_sdwa vcc, v4, v13 src0_sel:WORD_0 src1_sel:DWORD
	v_cndmask_b32_e32 v24, v2, v4, vcc
; %bb.231:                              ;   in Loop: Header=BB343_203 Depth=1
	s_or_b64 exec, exec, s[0:1]
	v_and_b32_e32 v2, 0x7f800000, v5
	v_cmp_ne_u32_e32 vcc, s19, v2
                                        ; implicit-def: $vgpr32
	s_and_saveexec_b64 s[0:1], vcc
	s_xor_b64 s[0:1], exec, s[0:1]
; %bb.232:                              ;   in Loop: Header=BB343_203 Depth=1
	v_bfe_u32 v2, v5, 16, 1
	v_add3_u32 v32, v5, v2, s20
                                        ; implicit-def: $vgpr2_vgpr3_vgpr4_vgpr5
; %bb.233:                              ;   in Loop: Header=BB343_203 Depth=1
	s_andn2_saveexec_b64 s[0:1], s[0:1]
; %bb.234:                              ;   in Loop: Header=BB343_203 Depth=1
	v_or_b32_e32 v2, 0x10000, v5
	v_cmp_eq_u32_sdwa vcc, v5, v13 src0_sel:WORD_0 src1_sel:DWORD
	v_cndmask_b32_e32 v32, v2, v5, vcc
; %bb.235:                              ;   in Loop: Header=BB343_203 Depth=1
	s_or_b64 exec, exec, s[0:1]
	s_waitcnt vmcnt(0)
	v_mad_i64_i32 v[2:3], s[0:1], v12, s3, v[14:15]
	global_load_dwordx2 v[4:5], v[2:3], off
	v_mov_b32_e32 v6, 0
	s_waitcnt vmcnt(0)
	v_cmp_ne_u16_sdwa s[12:13], v4, v13 src0_sel:BYTE_0 src1_sel:DWORD
	s_and_saveexec_b64 s[0:1], s[12:13]
	s_cbranch_execz .LBB343_241
; %bb.236:                              ;   in Loop: Header=BB343_203 Depth=1
	v_cmp_ne_u16_sdwa s[14:15], v4, s21 src0_sel:BYTE_0 src1_sel:DWORD
	v_bfrev_b32_e32 v6, 1
	s_and_saveexec_b64 s[12:13], s[14:15]
	s_cbranch_execz .LBB343_240
; %bb.237:                              ;   in Loop: Header=BB343_203 Depth=1
	v_and_b32_e32 v7, 0x7f, v4
	v_cmp_ne_u32_e32 vcc, s22, v7
	v_mov_b32_e32 v6, 0x7f800001
	s_and_saveexec_b64 s[14:15], vcc
	s_cbranch_execz .LBB343_239
; %bb.238:                              ;   in Loop: Header=BB343_203 Depth=1
	v_and_b32_e32 v6, 7, v4
	v_ffbh_u32_e32 v6, v6
	v_min_u32_e32 v6, 32, v6
	v_lshrrev_b32_e32 v8, 3, v7
	v_subrev_u32_e32 v12, 28, v6
	v_sub_u32_e32 v6, 29, v6
	v_cmp_gt_u32_e32 vcc, 8, v7
	v_cndmask_b32_e32 v8, v8, v6, vcc
	v_cndmask_b32_e32 v6, 0, v12, vcc
	v_lshlrev_b64 v[6:7], v6, v[4:5]
	v_lshlrev_b32_e32 v6, 20, v6
	v_lshlrev_b32_e32 v7, 24, v4
	v_and_b32_e32 v6, 0x700000, v6
	v_and_b32_e32 v7, 0x80000000, v7
	v_lshl_add_u32 v8, v8, 23, v11
	v_or3_b32 v6, v7, v8, v6
.LBB343_239:                            ;   in Loop: Header=BB343_203 Depth=1
	s_or_b64 exec, exec, s[14:15]
.LBB343_240:                            ;   in Loop: Header=BB343_203 Depth=1
	s_or_b64 exec, exec, s[12:13]
.LBB343_241:                            ;   in Loop: Header=BB343_203 Depth=1
	s_or_b64 exec, exec, s[0:1]
	v_mul_f32_e32 v6, s9, v6
	v_and_b32_e32 v7, 0x7f800000, v6
	v_cmp_ne_u32_e32 vcc, s19, v7
                                        ; implicit-def: $vgpr7
	s_and_saveexec_b64 s[0:1], vcc
	s_xor_b64 s[0:1], exec, s[0:1]
; %bb.242:                              ;   in Loop: Header=BB343_203 Depth=1
	v_bfe_u32 v7, v6, 16, 1
	v_add3_u32 v7, v6, v7, s20
                                        ; implicit-def: $vgpr6
; %bb.243:                              ;   in Loop: Header=BB343_203 Depth=1
	s_andn2_saveexec_b64 s[0:1], s[0:1]
; %bb.244:                              ;   in Loop: Header=BB343_203 Depth=1
	v_or_b32_e32 v7, 0x10000, v6
	v_cmp_eq_u32_sdwa vcc, v6, v13 src0_sel:WORD_0 src1_sel:DWORD
	v_cndmask_b32_e32 v7, v7, v6, vcc
; %bb.245:                              ;   in Loop: Header=BB343_203 Depth=1
	s_or_b64 exec, exec, s[0:1]
	v_lshrrev_b16_e32 v6, 8, v4
	v_cmp_ne_u16_e32 vcc, 0, v6
	v_mov_b32_e32 v8, 0
	s_and_saveexec_b64 s[0:1], vcc
	s_cbranch_execz .LBB343_251
; %bb.246:                              ;   in Loop: Header=BB343_203 Depth=1
	v_cmp_ne_u16_e32 vcc, s21, v6
	v_bfrev_b32_e32 v8, 1
	s_and_saveexec_b64 s[12:13], vcc
	s_cbranch_execz .LBB343_250
; %bb.247:                              ;   in Loop: Header=BB343_203 Depth=1
	v_and_b32_e32 v12, 0x7f, v6
	v_cmp_ne_u32_e32 vcc, s22, v12
	v_mov_b32_e32 v8, 0x7f800001
	s_and_saveexec_b64 s[14:15], vcc
	s_cbranch_execz .LBB343_249
; %bb.248:                              ;   in Loop: Header=BB343_203 Depth=1
	v_and_b32_e32 v8, 7, v6
	v_ffbh_u32_e32 v26, v8
	v_min_u32_e32 v28, 32, v26
	v_subrev_u32_e32 v26, 28, v28
	v_lshlrev_b64 v[26:27], v26, v[6:7]
	v_lshrrev_b32_e32 v25, 3, v12
	v_sub_u32_e32 v6, 29, v28
	v_and_b32_e32 v26, 7, v26
	v_cmp_gt_u32_e32 vcc, 8, v12
	v_cndmask_b32_e32 v6, v25, v6, vcc
	v_cndmask_b32_e32 v8, v8, v26, vcc
	v_lshlrev_b32_e32 v12, 16, v4
	v_lshlrev_b32_e32 v8, 20, v8
	v_and_b32_e32 v12, 0x80000000, v12
	v_lshl_add_u32 v6, v6, 23, v11
	v_or3_b32 v8, v12, v6, v8
.LBB343_249:                            ;   in Loop: Header=BB343_203 Depth=1
	s_or_b64 exec, exec, s[14:15]
.LBB343_250:                            ;   in Loop: Header=BB343_203 Depth=1
	s_or_b64 exec, exec, s[12:13]
.LBB343_251:                            ;   in Loop: Header=BB343_203 Depth=1
	s_or_b64 exec, exec, s[0:1]
	v_mul_f32_e32 v6, s9, v8
	v_and_b32_e32 v8, 0x7f800000, v6
	v_cmp_ne_u32_e32 vcc, s19, v8
                                        ; implicit-def: $vgpr8
	s_and_saveexec_b64 s[0:1], vcc
	s_xor_b64 s[0:1], exec, s[0:1]
; %bb.252:                              ;   in Loop: Header=BB343_203 Depth=1
	v_bfe_u32 v8, v6, 16, 1
	v_add3_u32 v8, v6, v8, s20
                                        ; implicit-def: $vgpr6
; %bb.253:                              ;   in Loop: Header=BB343_203 Depth=1
	s_andn2_saveexec_b64 s[0:1], s[0:1]
; %bb.254:                              ;   in Loop: Header=BB343_203 Depth=1
	v_or_b32_e32 v8, 0x10000, v6
	v_cmp_eq_u32_sdwa vcc, v6, v13 src0_sel:WORD_0 src1_sel:DWORD
	v_cndmask_b32_e32 v8, v8, v6, vcc
; %bb.255:                              ;   in Loop: Header=BB343_203 Depth=1
	s_or_b64 exec, exec, s[0:1]
	v_lshrrev_b32_e32 v6, 16, v4
	v_cmp_ne_u16_sdwa s[12:13], v6, v13 src0_sel:BYTE_0 src1_sel:DWORD
	v_mov_b32_e32 v12, 0
	s_and_saveexec_b64 s[0:1], s[12:13]
	s_cbranch_execz .LBB343_261
; %bb.256:                              ;   in Loop: Header=BB343_203 Depth=1
	v_cmp_ne_u16_sdwa s[14:15], v6, s21 src0_sel:BYTE_0 src1_sel:DWORD
	v_bfrev_b32_e32 v12, 1
	s_and_saveexec_b64 s[12:13], s[14:15]
	s_cbranch_execz .LBB343_260
; %bb.257:                              ;   in Loop: Header=BB343_203 Depth=1
	v_bfe_u32 v25, v4, 16, 7
	v_cmp_ne_u32_e32 vcc, s22, v25
	v_mov_b32_e32 v12, 0x7f800001
	s_and_saveexec_b64 s[14:15], vcc
	s_cbranch_execz .LBB343_259
; %bb.258:                              ;   in Loop: Header=BB343_203 Depth=1
	v_and_b32_e32 v12, 7, v6
	v_ffbh_u32_e32 v26, v12
	v_min_u32_e32 v29, 32, v26
	v_subrev_u32_e32 v26, 28, v29
	v_lshlrev_b64 v[26:27], v26, v[6:7]
	v_lshrrev_b32_e32 v28, 3, v25
	v_sub_u32_e32 v27, 29, v29
	v_and_b32_e32 v26, 7, v26
	v_cmp_gt_u32_e32 vcc, 8, v25
	v_cndmask_b32_e32 v25, v28, v27, vcc
	v_cndmask_b32_e32 v12, v12, v26, vcc
	v_lshlrev_b32_e32 v6, 24, v6
	v_lshlrev_b32_e32 v12, 20, v12
	v_and_b32_e32 v6, 0x80000000, v6
	v_lshl_add_u32 v25, v25, 23, v11
	v_or3_b32 v12, v6, v25, v12
.LBB343_259:                            ;   in Loop: Header=BB343_203 Depth=1
	s_or_b64 exec, exec, s[14:15]
.LBB343_260:                            ;   in Loop: Header=BB343_203 Depth=1
	s_or_b64 exec, exec, s[12:13]
.LBB343_261:                            ;   in Loop: Header=BB343_203 Depth=1
	s_or_b64 exec, exec, s[0:1]
	v_mul_f32_e32 v6, s9, v12
	v_and_b32_e32 v12, 0x7f800000, v6
	v_cmp_ne_u32_e32 vcc, s19, v12
                                        ; implicit-def: $vgpr26
	s_and_saveexec_b64 s[0:1], vcc
	s_xor_b64 s[0:1], exec, s[0:1]
; %bb.262:                              ;   in Loop: Header=BB343_203 Depth=1
	v_bfe_u32 v12, v6, 16, 1
	v_add3_u32 v26, v6, v12, s20
                                        ; implicit-def: $vgpr6
; %bb.263:                              ;   in Loop: Header=BB343_203 Depth=1
	s_andn2_saveexec_b64 s[0:1], s[0:1]
; %bb.264:                              ;   in Loop: Header=BB343_203 Depth=1
	v_or_b32_e32 v12, 0x10000, v6
	v_cmp_eq_u32_sdwa vcc, v6, v13 src0_sel:WORD_0 src1_sel:DWORD
	v_cndmask_b32_e32 v26, v12, v6, vcc
; %bb.265:                              ;   in Loop: Header=BB343_203 Depth=1
	s_or_b64 exec, exec, s[0:1]
	v_cmp_lt_u32_e32 vcc, s7, v4
	v_mov_b32_e32 v12, 0
	s_and_saveexec_b64 s[0:1], vcc
	s_cbranch_execz .LBB343_271
; %bb.266:                              ;   in Loop: Header=BB343_203 Depth=1
	v_lshrrev_b32_e32 v6, 24, v4
	v_cmp_ne_u32_e32 vcc, s21, v6
	v_bfrev_b32_e32 v12, 1
	s_and_saveexec_b64 s[12:13], vcc
	s_cbranch_execz .LBB343_270
; %bb.267:                              ;   in Loop: Header=BB343_203 Depth=1
	v_bfe_u32 v25, v4, 24, 7
	v_cmp_ne_u32_e32 vcc, s22, v25
	v_mov_b32_e32 v12, 0x7f800001
	s_and_saveexec_b64 s[14:15], vcc
	s_cbranch_execz .LBB343_269
; %bb.268:                              ;   in Loop: Header=BB343_203 Depth=1
	v_and_b32_e32 v12, 7, v6
	v_ffbh_u32_e32 v28, v12
	v_min_u32_e32 v30, 32, v28
	v_subrev_u32_e32 v28, 28, v30
	v_lshlrev_b64 v[28:29], v28, v[6:7]
	v_lshrrev_b32_e32 v27, 3, v25
	v_sub_u32_e32 v29, 29, v30
	v_and_b32_e32 v28, 7, v28
	v_cmp_gt_u32_e32 vcc, 8, v25
	v_cndmask_b32_e32 v25, v27, v29, vcc
	v_cndmask_b32_e32 v12, v12, v28, vcc
	v_lshlrev_b32_e32 v6, 24, v6
	v_lshlrev_b32_e32 v12, 20, v12
	v_and_b32_e32 v6, 0x80000000, v6
	v_lshl_add_u32 v25, v25, 23, v11
	v_or3_b32 v12, v6, v25, v12
.LBB343_269:                            ;   in Loop: Header=BB343_203 Depth=1
	s_or_b64 exec, exec, s[14:15]
.LBB343_270:                            ;   in Loop: Header=BB343_203 Depth=1
	s_or_b64 exec, exec, s[12:13]
.LBB343_271:                            ;   in Loop: Header=BB343_203 Depth=1
	s_or_b64 exec, exec, s[0:1]
	v_mul_f32_e32 v6, s9, v12
	v_and_b32_e32 v12, 0x7f800000, v6
	v_cmp_ne_u32_e32 vcc, s19, v12
                                        ; implicit-def: $vgpr27
	s_and_saveexec_b64 s[0:1], vcc
	s_xor_b64 s[0:1], exec, s[0:1]
; %bb.272:                              ;   in Loop: Header=BB343_203 Depth=1
	v_bfe_u32 v12, v6, 16, 1
	v_add3_u32 v27, v6, v12, s20
                                        ; implicit-def: $vgpr6
; %bb.273:                              ;   in Loop: Header=BB343_203 Depth=1
	s_andn2_saveexec_b64 s[0:1], s[0:1]
; %bb.274:                              ;   in Loop: Header=BB343_203 Depth=1
	v_or_b32_e32 v12, 0x10000, v6
	v_cmp_eq_u32_sdwa vcc, v6, v13 src0_sel:WORD_0 src1_sel:DWORD
	v_cndmask_b32_e32 v27, v12, v6, vcc
; %bb.275:                              ;   in Loop: Header=BB343_203 Depth=1
	s_or_b64 exec, exec, s[0:1]
	v_mov_b32_e32 v12, v5
	v_cmp_ne_u16_sdwa s[12:13], v5, v13 src0_sel:BYTE_0 src1_sel:DWORD
	v_mov_b32_e32 v6, 0
	s_and_saveexec_b64 s[0:1], s[12:13]
	s_cbranch_execz .LBB343_281
; %bb.276:                              ;   in Loop: Header=BB343_203 Depth=1
	v_cmp_ne_u16_sdwa s[14:15], v5, s21 src0_sel:BYTE_0 src1_sel:DWORD
	v_bfrev_b32_e32 v6, 1
	s_and_saveexec_b64 s[12:13], s[14:15]
	s_cbranch_execz .LBB343_280
; %bb.277:                              ;   in Loop: Header=BB343_203 Depth=1
	v_and_b32_e32 v25, 0x7f, v5
	v_cmp_ne_u32_e32 vcc, s22, v25
	v_mov_b32_e32 v6, 0x7f800001
	s_and_saveexec_b64 s[14:15], vcc
	s_cbranch_execz .LBB343_279
; %bb.278:                              ;   in Loop: Header=BB343_203 Depth=1
	v_and_b32_e32 v6, 7, v5
	v_ffbh_u32_e32 v6, v6
	v_min_u32_e32 v6, 32, v6
	v_subrev_u32_e32 v29, 28, v6
	v_cmp_gt_u32_e32 vcc, 8, v25
	v_lshrrev_b32_e32 v28, 3, v25
	v_sub_u32_e32 v6, 29, v6
	v_cndmask_b32_e32 v25, 0, v29, vcc
	v_cndmask_b32_e32 v6, v28, v6, vcc
	v_lshlrev_b64 v[28:29], v25, v[12:13]
	v_lshlrev_b32_e32 v25, 20, v28
	v_lshlrev_b32_e32 v28, 24, v12
	v_and_b32_e32 v25, 0x700000, v25
	v_and_b32_e32 v28, 0x80000000, v28
	v_lshl_add_u32 v6, v6, 23, v11
	v_or3_b32 v6, v28, v6, v25
.LBB343_279:                            ;   in Loop: Header=BB343_203 Depth=1
	s_or_b64 exec, exec, s[14:15]
.LBB343_280:                            ;   in Loop: Header=BB343_203 Depth=1
	s_or_b64 exec, exec, s[12:13]
.LBB343_281:                            ;   in Loop: Header=BB343_203 Depth=1
	s_or_b64 exec, exec, s[0:1]
	v_mul_f32_e32 v6, s9, v6
	v_and_b32_e32 v25, 0x7f800000, v6
	v_cmp_ne_u32_e32 vcc, s19, v25
                                        ; implicit-def: $vgpr28
	s_and_saveexec_b64 s[0:1], vcc
	s_xor_b64 s[0:1], exec, s[0:1]
; %bb.282:                              ;   in Loop: Header=BB343_203 Depth=1
	v_bfe_u32 v25, v6, 16, 1
	v_add3_u32 v28, v6, v25, s20
                                        ; implicit-def: $vgpr6
; %bb.283:                              ;   in Loop: Header=BB343_203 Depth=1
	s_andn2_saveexec_b64 s[0:1], s[0:1]
; %bb.284:                              ;   in Loop: Header=BB343_203 Depth=1
	v_or_b32_e32 v25, 0x10000, v6
	v_cmp_eq_u32_sdwa vcc, v6, v13 src0_sel:WORD_0 src1_sel:DWORD
	v_cndmask_b32_e32 v28, v25, v6, vcc
; %bb.285:                              ;   in Loop: Header=BB343_203 Depth=1
	s_or_b64 exec, exec, s[0:1]
	v_lshrrev_b16_e32 v6, 8, v12
	v_cmp_ne_u16_e32 vcc, 0, v6
	v_mov_b32_e32 v25, 0
	s_and_saveexec_b64 s[0:1], vcc
	s_cbranch_execz .LBB343_291
; %bb.286:                              ;   in Loop: Header=BB343_203 Depth=1
	v_cmp_ne_u16_e32 vcc, s21, v6
	v_bfrev_b32_e32 v25, 1
	s_and_saveexec_b64 s[12:13], vcc
	s_cbranch_execz .LBB343_290
; %bb.287:                              ;   in Loop: Header=BB343_203 Depth=1
	v_and_b32_e32 v29, 0x7f, v6
	v_cmp_ne_u32_e32 vcc, s22, v29
	v_mov_b32_e32 v25, 0x7f800001
	s_and_saveexec_b64 s[14:15], vcc
	s_cbranch_execz .LBB343_289
; %bb.288:                              ;   in Loop: Header=BB343_203 Depth=1
	v_and_b32_e32 v25, 7, v6
	v_ffbh_u32_e32 v30, v25
	v_min_u32_e32 v38, 32, v30
	v_subrev_u32_e32 v30, 28, v38
	v_lshlrev_b64 v[30:31], v30, v[6:7]
	v_lshrrev_b32_e32 v37, 3, v29
	v_sub_u32_e32 v6, 29, v38
	v_and_b32_e32 v30, 7, v30
	v_cmp_gt_u32_e32 vcc, 8, v29
	v_cndmask_b32_e32 v6, v37, v6, vcc
	v_cndmask_b32_e32 v25, v25, v30, vcc
	v_lshlrev_b32_e32 v12, 16, v12
	v_lshlrev_b32_e32 v25, 20, v25
	v_and_b32_e32 v12, 0x80000000, v12
	v_lshl_add_u32 v6, v6, 23, v11
	v_or3_b32 v25, v12, v6, v25
.LBB343_289:                            ;   in Loop: Header=BB343_203 Depth=1
	s_or_b64 exec, exec, s[14:15]
.LBB343_290:                            ;   in Loop: Header=BB343_203 Depth=1
	s_or_b64 exec, exec, s[12:13]
.LBB343_291:                            ;   in Loop: Header=BB343_203 Depth=1
	s_or_b64 exec, exec, s[0:1]
	v_mul_f32_e32 v6, s9, v25
	v_and_b32_e32 v12, 0x7f800000, v6
	v_cmp_ne_u32_e32 vcc, s19, v12
                                        ; implicit-def: $vgpr12
	s_and_saveexec_b64 s[0:1], vcc
	s_xor_b64 s[0:1], exec, s[0:1]
; %bb.292:                              ;   in Loop: Header=BB343_203 Depth=1
	v_bfe_u32 v12, v6, 16, 1
	v_add3_u32 v12, v6, v12, s20
                                        ; implicit-def: $vgpr6
; %bb.293:                              ;   in Loop: Header=BB343_203 Depth=1
	s_andn2_saveexec_b64 s[0:1], s[0:1]
; %bb.294:                              ;   in Loop: Header=BB343_203 Depth=1
	v_or_b32_e32 v12, 0x10000, v6
	v_cmp_eq_u32_sdwa vcc, v6, v13 src0_sel:WORD_0 src1_sel:DWORD
	v_cndmask_b32_e32 v12, v12, v6, vcc
; %bb.295:                              ;   in Loop: Header=BB343_203 Depth=1
	s_or_b64 exec, exec, s[0:1]
	v_lshrrev_b32_e32 v6, 16, v5
	v_cmp_ne_u16_sdwa s[12:13], v6, v13 src0_sel:BYTE_0 src1_sel:DWORD
	v_mov_b32_e32 v25, 0
	s_and_saveexec_b64 s[0:1], s[12:13]
	s_cbranch_execz .LBB343_301
; %bb.296:                              ;   in Loop: Header=BB343_203 Depth=1
	v_cmp_ne_u16_sdwa s[14:15], v6, s21 src0_sel:BYTE_0 src1_sel:DWORD
	v_bfrev_b32_e32 v25, 1
	s_and_saveexec_b64 s[12:13], s[14:15]
	s_cbranch_execz .LBB343_300
; %bb.297:                              ;   in Loop: Header=BB343_203 Depth=1
	v_bfe_u32 v29, v5, 16, 7
	v_cmp_ne_u32_e32 vcc, s22, v29
	v_mov_b32_e32 v25, 0x7f800001
	s_and_saveexec_b64 s[14:15], vcc
	s_cbranch_execz .LBB343_299
; %bb.298:                              ;   in Loop: Header=BB343_203 Depth=1
	v_and_b32_e32 v25, 7, v6
	v_ffbh_u32_e32 v30, v25
	v_min_u32_e32 v38, 32, v30
	v_subrev_u32_e32 v30, 28, v38
	v_lshlrev_b64 v[30:31], v30, v[6:7]
	v_lshrrev_b32_e32 v37, 3, v29
	v_sub_u32_e32 v31, 29, v38
	v_and_b32_e32 v30, 7, v30
	v_cmp_gt_u32_e32 vcc, 8, v29
	v_cndmask_b32_e32 v29, v37, v31, vcc
	v_cndmask_b32_e32 v25, v25, v30, vcc
	v_lshlrev_b32_e32 v6, 24, v6
	v_lshlrev_b32_e32 v25, 20, v25
	v_and_b32_e32 v6, 0x80000000, v6
	v_lshl_add_u32 v29, v29, 23, v11
	v_or3_b32 v25, v6, v29, v25
.LBB343_299:                            ;   in Loop: Header=BB343_203 Depth=1
	s_or_b64 exec, exec, s[14:15]
.LBB343_300:                            ;   in Loop: Header=BB343_203 Depth=1
	s_or_b64 exec, exec, s[12:13]
.LBB343_301:                            ;   in Loop: Header=BB343_203 Depth=1
	s_or_b64 exec, exec, s[0:1]
	v_mul_f32_e32 v25, s9, v25
	v_and_b32_e32 v6, 0x7f800000, v25
	v_cmp_ne_u32_e32 vcc, s19, v6
                                        ; implicit-def: $vgpr6
	s_and_saveexec_b64 s[0:1], vcc
	s_xor_b64 s[0:1], exec, s[0:1]
; %bb.302:                              ;   in Loop: Header=BB343_203 Depth=1
	v_bfe_u32 v6, v25, 16, 1
	v_add3_u32 v6, v25, v6, s20
                                        ; implicit-def: $vgpr25
; %bb.303:                              ;   in Loop: Header=BB343_203 Depth=1
	s_andn2_saveexec_b64 s[0:1], s[0:1]
; %bb.304:                              ;   in Loop: Header=BB343_203 Depth=1
	v_or_b32_e32 v6, 0x10000, v25
	v_cmp_eq_u32_sdwa vcc, v25, v13 src0_sel:WORD_0 src1_sel:DWORD
	v_cndmask_b32_e32 v6, v6, v25, vcc
; %bb.305:                              ;   in Loop: Header=BB343_203 Depth=1
	s_or_b64 exec, exec, s[0:1]
	v_cmp_lt_u64_e32 vcc, s[6:7], v[4:5]
	v_mov_b32_e32 v25, 0
	s_and_saveexec_b64 s[0:1], vcc
	s_cbranch_execz .LBB343_311
; %bb.306:                              ;   in Loop: Header=BB343_203 Depth=1
	v_lshrrev_b32_e32 v4, 24, v5
	v_cmp_ne_u32_e32 vcc, s21, v4
	v_bfrev_b32_e32 v25, 1
	s_and_saveexec_b64 s[12:13], vcc
	s_cbranch_execz .LBB343_310
; %bb.307:                              ;   in Loop: Header=BB343_203 Depth=1
	v_bfe_u32 v5, v5, 24, 7
	v_cmp_ne_u32_e32 vcc, s22, v5
	v_mov_b32_e32 v25, 0x7f800001
	s_and_saveexec_b64 s[14:15], vcc
	s_cbranch_execz .LBB343_309
; %bb.308:                              ;   in Loop: Header=BB343_203 Depth=1
	v_and_b32_e32 v25, 7, v4
	v_ffbh_u32_e32 v30, v25
	v_min_u32_e32 v37, 32, v30
	v_subrev_u32_e32 v30, 28, v37
	v_lshlrev_b64 v[30:31], v30, v[4:5]
	v_lshrrev_b32_e32 v29, 3, v5
	v_sub_u32_e32 v31, 29, v37
	v_and_b32_e32 v30, 7, v30
	v_cmp_gt_u32_e32 vcc, 8, v5
	v_cndmask_b32_e32 v5, v29, v31, vcc
	v_cndmask_b32_e32 v25, v25, v30, vcc
	v_lshlrev_b32_e32 v4, 24, v4
	v_lshlrev_b32_e32 v25, 20, v25
	v_and_b32_e32 v4, 0x80000000, v4
	v_lshl_add_u32 v5, v5, 23, v11
	v_or3_b32 v25, v4, v5, v25
.LBB343_309:                            ;   in Loop: Header=BB343_203 Depth=1
	s_or_b64 exec, exec, s[14:15]
.LBB343_310:                            ;   in Loop: Header=BB343_203 Depth=1
	s_or_b64 exec, exec, s[12:13]
.LBB343_311:                            ;   in Loop: Header=BB343_203 Depth=1
	s_or_b64 exec, exec, s[0:1]
	v_mul_f32_e32 v5, s9, v25
	v_and_b32_e32 v4, 0x7f800000, v5
	v_cmp_ne_u32_e32 vcc, s19, v4
                                        ; implicit-def: $vgpr4
	s_and_saveexec_b64 s[0:1], vcc
	s_xor_b64 s[0:1], exec, s[0:1]
; %bb.312:                              ;   in Loop: Header=BB343_203 Depth=1
	v_bfe_u32 v4, v5, 16, 1
	v_add3_u32 v4, v5, v4, s20
                                        ; implicit-def: $vgpr5
; %bb.313:                              ;   in Loop: Header=BB343_203 Depth=1
	s_andn2_saveexec_b64 s[0:1], s[0:1]
; %bb.314:                              ;   in Loop: Header=BB343_203 Depth=1
	v_or_b32_e32 v4, 0x10000, v5
	v_cmp_eq_u32_sdwa vcc, v5, v13 src0_sel:WORD_0 src1_sel:DWORD
	v_cndmask_b32_e32 v4, v4, v5, vcc
; %bb.315:                              ;   in Loop: Header=BB343_203 Depth=1
	s_or_b64 exec, exec, s[0:1]
	v_cmp_eq_u32_e32 vcc, s18, v10
	v_add_u32_e32 v25, -7, v21
	v_lshrrev_b32_e32 v39, 16, v12
	v_lshrrev_b32_e32 v38, 16, v28
	;; [unrolled: 1-line block ×8, first 2 shown]
	v_add_u32_e32 v31, -6, v21
	v_add_u32_e32 v30, -5, v21
	;; [unrolled: 1-line block ×6, first 2 shown]
	s_and_saveexec_b64 s[12:13], vcc
	s_cbranch_execz .LBB343_317
; %bb.316:                              ;   in Loop: Header=BB343_203 Depth=1
	v_cmp_gt_i32_e64 s[0:1], s29, v25
	v_cndmask_b32_e64 v5, 0, v5, s[0:1]
	v_cmp_gt_i32_e64 s[0:1], s29, v31
	v_cndmask_b32_e64 v8, 0, v8, s[0:1]
	;; [unrolled: 2-line block ×8, first 2 shown]
.LBB343_317:                            ;   in Loop: Header=BB343_203 Depth=1
	s_or_b64 exec, exec, s[12:13]
	v_and_b32_e32 v33, 0xffff0000, v33
	v_lshlrev_b32_e32 v5, 16, v5
	v_mul_f32_e32 v6, v33, v5
	v_and_b32_e32 v5, 0x7f800000, v6
	v_cmp_ne_u32_e64 s[0:1], s19, v5
                                        ; implicit-def: $vgpr5
	s_and_saveexec_b64 s[12:13], s[0:1]
	s_xor_b64 s[0:1], exec, s[12:13]
; %bb.318:                              ;   in Loop: Header=BB343_203 Depth=1
	v_bfe_u32 v5, v6, 16, 1
	v_add3_u32 v5, v6, v5, s20
                                        ; implicit-def: $vgpr6
; %bb.319:                              ;   in Loop: Header=BB343_203 Depth=1
	s_andn2_saveexec_b64 s[12:13], s[0:1]
; %bb.320:                              ;   in Loop: Header=BB343_203 Depth=1
	v_or_b32_e32 v5, 0x10000, v6
	v_cmp_eq_u32_sdwa s[0:1], v6, v13 src0_sel:WORD_0 src1_sel:DWORD
	v_cndmask_b32_e64 v5, v5, v6, s[0:1]
; %bb.321:                              ;   in Loop: Header=BB343_203 Depth=1
	s_or_b64 exec, exec, s[12:13]
	v_and_b32_e32 v34, 0xffff0000, v34
	v_lshlrev_b32_e32 v6, 16, v8
	v_mul_f32_e32 v7, v34, v6
	v_and_b32_e32 v6, 0x7f800000, v7
	v_cmp_ne_u32_e64 s[0:1], s19, v6
                                        ; implicit-def: $vgpr6
	s_and_saveexec_b64 s[12:13], s[0:1]
	s_xor_b64 s[0:1], exec, s[12:13]
; %bb.322:                              ;   in Loop: Header=BB343_203 Depth=1
	v_bfe_u32 v6, v7, 16, 1
	v_add3_u32 v6, v7, v6, s20
                                        ; implicit-def: $vgpr7
; %bb.323:                              ;   in Loop: Header=BB343_203 Depth=1
	s_andn2_saveexec_b64 s[12:13], s[0:1]
; %bb.324:                              ;   in Loop: Header=BB343_203 Depth=1
	v_or_b32_e32 v6, 0x10000, v7
	v_cmp_eq_u32_sdwa s[0:1], v7, v13 src0_sel:WORD_0 src1_sel:DWORD
	v_cndmask_b32_e64 v6, v6, v7, s[0:1]
; %bb.325:                              ;   in Loop: Header=BB343_203 Depth=1
	s_or_b64 exec, exec, s[12:13]
	v_and_b32_e32 v35, 0xffff0000, v35
	v_lshlrev_b32_e32 v7, 16, v40
	v_mul_f32_e32 v8, v35, v7
	v_and_b32_e32 v7, 0x7f800000, v8
	v_cmp_ne_u32_e64 s[0:1], s19, v7
                                        ; implicit-def: $vgpr7
	s_and_saveexec_b64 s[12:13], s[0:1]
	s_xor_b64 s[0:1], exec, s[12:13]
; %bb.326:                              ;   in Loop: Header=BB343_203 Depth=1
	v_bfe_u32 v7, v8, 16, 1
	v_add3_u32 v7, v8, v7, s20
                                        ; implicit-def: $vgpr8
; %bb.327:                              ;   in Loop: Header=BB343_203 Depth=1
	s_andn2_saveexec_b64 s[12:13], s[0:1]
; %bb.328:                              ;   in Loop: Header=BB343_203 Depth=1
	v_or_b32_e32 v7, 0x10000, v8
	v_cmp_eq_u32_sdwa s[0:1], v8, v13 src0_sel:WORD_0 src1_sel:DWORD
	v_cndmask_b32_e64 v7, v7, v8, s[0:1]
; %bb.329:                              ;   in Loop: Header=BB343_203 Depth=1
	s_or_b64 exec, exec, s[12:13]
	v_and_b32_e32 v36, 0xffff0000, v36
	v_lshlrev_b32_e32 v8, 16, v37
	v_mul_f32_e32 v37, v36, v8
	v_and_b32_e32 v8, 0x7f800000, v37
	v_cmp_ne_u32_e64 s[0:1], s19, v8
                                        ; implicit-def: $vgpr8
	s_and_saveexec_b64 s[12:13], s[0:1]
	s_xor_b64 s[0:1], exec, s[12:13]
; %bb.330:                              ;   in Loop: Header=BB343_203 Depth=1
	v_bfe_u32 v8, v37, 16, 1
	v_add3_u32 v8, v37, v8, s20
                                        ; implicit-def: $vgpr37
; %bb.331:                              ;   in Loop: Header=BB343_203 Depth=1
	s_andn2_saveexec_b64 s[12:13], s[0:1]
; %bb.332:                              ;   in Loop: Header=BB343_203 Depth=1
	v_or_b32_e32 v8, 0x10000, v37
	v_cmp_eq_u32_sdwa s[0:1], v37, v13 src0_sel:WORD_0 src1_sel:DWORD
	v_cndmask_b32_e64 v8, v8, v37, s[0:1]
; %bb.333:                              ;   in Loop: Header=BB343_203 Depth=1
	s_or_b64 exec, exec, s[12:13]
	v_and_b32_e32 v37, 0xffff0000, v9
	v_lshlrev_b32_e32 v9, 16, v38
	v_mul_f32_e32 v38, v37, v9
	v_and_b32_e32 v9, 0x7f800000, v38
	v_cmp_ne_u32_e64 s[0:1], s19, v9
                                        ; implicit-def: $vgpr9
	s_and_saveexec_b64 s[12:13], s[0:1]
	s_xor_b64 s[0:1], exec, s[12:13]
; %bb.334:                              ;   in Loop: Header=BB343_203 Depth=1
	v_bfe_u32 v9, v38, 16, 1
	v_add3_u32 v9, v38, v9, s20
                                        ; implicit-def: $vgpr38
; %bb.335:                              ;   in Loop: Header=BB343_203 Depth=1
	s_andn2_saveexec_b64 s[12:13], s[0:1]
; %bb.336:                              ;   in Loop: Header=BB343_203 Depth=1
	v_or_b32_e32 v9, 0x10000, v38
	v_cmp_eq_u32_sdwa s[0:1], v38, v13 src0_sel:WORD_0 src1_sel:DWORD
	v_cndmask_b32_e64 v9, v9, v38, s[0:1]
; %bb.337:                              ;   in Loop: Header=BB343_203 Depth=1
	s_or_b64 exec, exec, s[12:13]
	v_and_b32_e32 v38, 0xffff0000, v23
	v_lshlrev_b32_e32 v23, 16, v39
	v_mul_f32_e32 v39, v38, v23
	v_and_b32_e32 v23, 0x7f800000, v39
	v_cmp_ne_u32_e64 s[0:1], s19, v23
                                        ; implicit-def: $vgpr23
	s_and_saveexec_b64 s[12:13], s[0:1]
	s_xor_b64 s[0:1], exec, s[12:13]
; %bb.338:                              ;   in Loop: Header=BB343_203 Depth=1
	v_bfe_u32 v23, v39, 16, 1
	v_add3_u32 v23, v39, v23, s20
                                        ; implicit-def: $vgpr39
; %bb.339:                              ;   in Loop: Header=BB343_203 Depth=1
	s_andn2_saveexec_b64 s[12:13], s[0:1]
; %bb.340:                              ;   in Loop: Header=BB343_203 Depth=1
	v_or_b32_e32 v23, 0x10000, v39
	v_cmp_eq_u32_sdwa s[0:1], v39, v13 src0_sel:WORD_0 src1_sel:DWORD
	v_cndmask_b32_e64 v23, v23, v39, s[0:1]
; %bb.341:                              ;   in Loop: Header=BB343_203 Depth=1
	s_or_b64 exec, exec, s[12:13]
	v_and_b32_e32 v39, 0xffff0000, v24
	v_lshlrev_b32_e32 v12, 16, v12
	v_mul_f32_e32 v12, v39, v12
	v_and_b32_e32 v24, 0x7f800000, v12
	v_cmp_ne_u32_e64 s[0:1], s19, v24
                                        ; implicit-def: $vgpr24
	s_and_saveexec_b64 s[12:13], s[0:1]
	s_xor_b64 s[0:1], exec, s[12:13]
; %bb.342:                              ;   in Loop: Header=BB343_203 Depth=1
	v_bfe_u32 v24, v12, 16, 1
	v_add3_u32 v24, v12, v24, s20
                                        ; implicit-def: $vgpr12
; %bb.343:                              ;   in Loop: Header=BB343_203 Depth=1
	s_andn2_saveexec_b64 s[12:13], s[0:1]
; %bb.344:                              ;   in Loop: Header=BB343_203 Depth=1
	v_or_b32_e32 v24, 0x10000, v12
	v_cmp_eq_u32_sdwa s[0:1], v12, v13 src0_sel:WORD_0 src1_sel:DWORD
	v_cndmask_b32_e64 v24, v24, v12, s[0:1]
; %bb.345:                              ;   in Loop: Header=BB343_203 Depth=1
	s_or_b64 exec, exec, s[12:13]
	v_and_b32_e32 v40, 0xffff0000, v32
	v_lshlrev_b32_e32 v4, 16, v4
	v_mul_f32_e32 v4, v40, v4
	v_and_b32_e32 v12, 0x7f800000, v4
	v_cmp_ne_u32_e64 s[0:1], s19, v12
                                        ; implicit-def: $vgpr32
	s_and_saveexec_b64 s[12:13], s[0:1]
	s_xor_b64 s[0:1], exec, s[12:13]
; %bb.346:                              ;   in Loop: Header=BB343_203 Depth=1
	v_bfe_u32 v12, v4, 16, 1
	v_add3_u32 v32, v4, v12, s20
                                        ; implicit-def: $vgpr4
; %bb.347:                              ;   in Loop: Header=BB343_203 Depth=1
	s_andn2_saveexec_b64 s[12:13], s[0:1]
; %bb.348:                              ;   in Loop: Header=BB343_203 Depth=1
	v_or_b32_e32 v12, 0x10000, v4
	v_cmp_eq_u32_sdwa s[0:1], v4, v13 src0_sel:WORD_0 src1_sel:DWORD
	v_cndmask_b32_e64 v32, v12, v4, s[0:1]
; %bb.349:                              ;   in Loop: Header=BB343_203 Depth=1
	s_or_b64 exec, exec, s[12:13]
	global_load_dwordx2 v[2:3], v[2:3], off offset:512
	v_mov_b32_e32 v4, 0
	s_waitcnt vmcnt(0)
	v_cmp_ne_u16_sdwa s[0:1], v2, v13 src0_sel:BYTE_0 src1_sel:DWORD
	s_and_saveexec_b64 s[12:13], s[0:1]
	s_cbranch_execz .LBB343_355
; %bb.350:                              ;   in Loop: Header=BB343_203 Depth=1
	v_cmp_ne_u16_sdwa s[0:1], v2, s21 src0_sel:BYTE_0 src1_sel:DWORD
	v_bfrev_b32_e32 v4, 1
	s_and_saveexec_b64 s[14:15], s[0:1]
	s_cbranch_execz .LBB343_354
; %bb.351:                              ;   in Loop: Header=BB343_203 Depth=1
	v_and_b32_e32 v12, 0x7f, v2
	v_cmp_ne_u32_e64 s[0:1], s22, v12
	v_mov_b32_e32 v4, 0x7f800001
	s_and_saveexec_b64 s[16:17], s[0:1]
	s_cbranch_execz .LBB343_353
; %bb.352:                              ;   in Loop: Header=BB343_203 Depth=1
	v_and_b32_e32 v4, 7, v2
	v_ffbh_u32_e32 v4, v4
	v_min_u32_e32 v4, 32, v4
	v_subrev_u32_e32 v42, 28, v4
	v_cmp_gt_u32_e64 s[0:1], 8, v12
	v_lshrrev_b32_e32 v41, 3, v12
	v_cndmask_b32_e64 v12, 0, v42, s[0:1]
	v_sub_u32_e32 v4, 29, v4
	v_lshlrev_b64 v[42:43], v12, v[2:3]
	v_cndmask_b32_e64 v4, v41, v4, s[0:1]
	v_lshlrev_b32_e32 v12, 20, v42
	v_lshlrev_b32_e32 v41, 24, v2
	v_and_b32_e32 v12, 0x700000, v12
	v_and_b32_e32 v41, 0x80000000, v41
	v_lshl_add_u32 v4, v4, 23, v11
	v_or3_b32 v4, v41, v4, v12
.LBB343_353:                            ;   in Loop: Header=BB343_203 Depth=1
	s_or_b64 exec, exec, s[16:17]
.LBB343_354:                            ;   in Loop: Header=BB343_203 Depth=1
	s_or_b64 exec, exec, s[14:15]
.LBB343_355:                            ;   in Loop: Header=BB343_203 Depth=1
	s_or_b64 exec, exec, s[12:13]
	v_mul_f32_e32 v4, s9, v4
	v_and_b32_e32 v12, 0x7f800000, v4
	v_cmp_ne_u32_e64 s[0:1], s19, v12
                                        ; implicit-def: $vgpr41
	s_and_saveexec_b64 s[12:13], s[0:1]
	s_xor_b64 s[0:1], exec, s[12:13]
; %bb.356:                              ;   in Loop: Header=BB343_203 Depth=1
	v_bfe_u32 v12, v4, 16, 1
	v_add3_u32 v41, v4, v12, s20
                                        ; implicit-def: $vgpr4
; %bb.357:                              ;   in Loop: Header=BB343_203 Depth=1
	s_andn2_saveexec_b64 s[12:13], s[0:1]
; %bb.358:                              ;   in Loop: Header=BB343_203 Depth=1
	v_or_b32_e32 v12, 0x10000, v4
	v_cmp_eq_u32_sdwa s[0:1], v4, v13 src0_sel:WORD_0 src1_sel:DWORD
	v_cndmask_b32_e64 v41, v12, v4, s[0:1]
; %bb.359:                              ;   in Loop: Header=BB343_203 Depth=1
	s_or_b64 exec, exec, s[12:13]
	v_lshrrev_b16_e32 v4, 8, v2
	v_cmp_ne_u16_e64 s[0:1], 0, v4
	v_mov_b32_e32 v12, 0
	s_and_saveexec_b64 s[12:13], s[0:1]
	s_cbranch_execz .LBB343_365
; %bb.360:                              ;   in Loop: Header=BB343_203 Depth=1
	v_cmp_ne_u16_e64 s[0:1], s21, v4
	v_bfrev_b32_e32 v12, 1
	s_and_saveexec_b64 s[14:15], s[0:1]
	s_cbranch_execz .LBB343_364
; %bb.361:                              ;   in Loop: Header=BB343_203 Depth=1
	v_and_b32_e32 v42, 0x7f, v4
	v_cmp_ne_u32_e64 s[0:1], s22, v42
	v_mov_b32_e32 v12, 0x7f800001
	s_and_saveexec_b64 s[16:17], s[0:1]
	s_cbranch_execz .LBB343_363
; %bb.362:                              ;   in Loop: Header=BB343_203 Depth=1
	v_and_b32_e32 v12, 7, v4
	v_ffbh_u32_e32 v44, v12
	v_min_u32_e32 v46, 32, v44
	v_subrev_u32_e32 v44, 28, v46
	v_lshlrev_b64 v[44:45], v44, v[4:5]
	v_lshrrev_b32_e32 v43, 3, v42
	v_sub_u32_e32 v4, 29, v46
	v_and_b32_e32 v44, 7, v44
	v_cmp_gt_u32_e64 s[0:1], 8, v42
	v_cndmask_b32_e64 v4, v43, v4, s[0:1]
	v_cndmask_b32_e64 v12, v12, v44, s[0:1]
	v_lshlrev_b32_e32 v42, 16, v2
	v_lshlrev_b32_e32 v12, 20, v12
	v_and_b32_e32 v42, 0x80000000, v42
	v_lshl_add_u32 v4, v4, 23, v11
	v_or3_b32 v12, v42, v4, v12
.LBB343_363:                            ;   in Loop: Header=BB343_203 Depth=1
	s_or_b64 exec, exec, s[16:17]
.LBB343_364:                            ;   in Loop: Header=BB343_203 Depth=1
	s_or_b64 exec, exec, s[14:15]
.LBB343_365:                            ;   in Loop: Header=BB343_203 Depth=1
	s_or_b64 exec, exec, s[12:13]
	v_mul_f32_e32 v4, s9, v12
	v_and_b32_e32 v12, 0x7f800000, v4
	v_cmp_ne_u32_e64 s[0:1], s19, v12
                                        ; implicit-def: $vgpr42
	s_and_saveexec_b64 s[12:13], s[0:1]
	s_xor_b64 s[0:1], exec, s[12:13]
; %bb.366:                              ;   in Loop: Header=BB343_203 Depth=1
	v_bfe_u32 v12, v4, 16, 1
	v_add3_u32 v42, v4, v12, s20
                                        ; implicit-def: $vgpr4
; %bb.367:                              ;   in Loop: Header=BB343_203 Depth=1
	s_andn2_saveexec_b64 s[12:13], s[0:1]
; %bb.368:                              ;   in Loop: Header=BB343_203 Depth=1
	v_or_b32_e32 v12, 0x10000, v4
	v_cmp_eq_u32_sdwa s[0:1], v4, v13 src0_sel:WORD_0 src1_sel:DWORD
	v_cndmask_b32_e64 v42, v12, v4, s[0:1]
; %bb.369:                              ;   in Loop: Header=BB343_203 Depth=1
	s_or_b64 exec, exec, s[12:13]
	v_lshrrev_b32_e32 v4, 16, v2
	v_cmp_ne_u16_sdwa s[0:1], v4, v13 src0_sel:BYTE_0 src1_sel:DWORD
	v_mov_b32_e32 v12, 0
	s_and_saveexec_b64 s[12:13], s[0:1]
	s_cbranch_execz .LBB343_375
; %bb.370:                              ;   in Loop: Header=BB343_203 Depth=1
	v_cmp_ne_u16_sdwa s[0:1], v4, s21 src0_sel:BYTE_0 src1_sel:DWORD
	v_bfrev_b32_e32 v12, 1
	s_and_saveexec_b64 s[14:15], s[0:1]
	s_cbranch_execz .LBB343_374
; %bb.371:                              ;   in Loop: Header=BB343_203 Depth=1
	v_bfe_u32 v43, v2, 16, 7
	v_cmp_ne_u32_e64 s[0:1], s22, v43
	v_mov_b32_e32 v12, 0x7f800001
	s_and_saveexec_b64 s[16:17], s[0:1]
	s_cbranch_execz .LBB343_373
; %bb.372:                              ;   in Loop: Header=BB343_203 Depth=1
	v_and_b32_e32 v12, 7, v4
	v_ffbh_u32_e32 v44, v12
	v_min_u32_e32 v47, 32, v44
	v_subrev_u32_e32 v44, 28, v47
	v_lshlrev_b64 v[44:45], v44, v[4:5]
	v_lshrrev_b32_e32 v46, 3, v43
	v_sub_u32_e32 v45, 29, v47
	v_and_b32_e32 v44, 7, v44
	v_cmp_gt_u32_e64 s[0:1], 8, v43
	v_cndmask_b32_e64 v43, v46, v45, s[0:1]
	v_cndmask_b32_e64 v12, v12, v44, s[0:1]
	v_lshlrev_b32_e32 v4, 24, v4
	v_lshlrev_b32_e32 v12, 20, v12
	v_and_b32_e32 v4, 0x80000000, v4
	v_lshl_add_u32 v43, v43, 23, v11
	v_or3_b32 v12, v4, v43, v12
.LBB343_373:                            ;   in Loop: Header=BB343_203 Depth=1
	s_or_b64 exec, exec, s[16:17]
.LBB343_374:                            ;   in Loop: Header=BB343_203 Depth=1
	s_or_b64 exec, exec, s[14:15]
.LBB343_375:                            ;   in Loop: Header=BB343_203 Depth=1
	s_or_b64 exec, exec, s[12:13]
	v_mul_f32_e32 v4, s9, v12
	v_and_b32_e32 v12, 0x7f800000, v4
	v_cmp_ne_u32_e64 s[0:1], s19, v12
                                        ; implicit-def: $vgpr43
	s_and_saveexec_b64 s[12:13], s[0:1]
	s_xor_b64 s[0:1], exec, s[12:13]
; %bb.376:                              ;   in Loop: Header=BB343_203 Depth=1
	v_bfe_u32 v12, v4, 16, 1
	v_add3_u32 v43, v4, v12, s20
                                        ; implicit-def: $vgpr4
; %bb.377:                              ;   in Loop: Header=BB343_203 Depth=1
	s_andn2_saveexec_b64 s[12:13], s[0:1]
; %bb.378:                              ;   in Loop: Header=BB343_203 Depth=1
	v_or_b32_e32 v12, 0x10000, v4
	v_cmp_eq_u32_sdwa s[0:1], v4, v13 src0_sel:WORD_0 src1_sel:DWORD
	v_cndmask_b32_e64 v43, v12, v4, s[0:1]
; %bb.379:                              ;   in Loop: Header=BB343_203 Depth=1
	s_or_b64 exec, exec, s[12:13]
	v_cmp_lt_u32_e64 s[0:1], s7, v2
	v_mov_b32_e32 v12, 0
	s_and_saveexec_b64 s[12:13], s[0:1]
	s_cbranch_execz .LBB343_385
; %bb.380:                              ;   in Loop: Header=BB343_203 Depth=1
	v_lshrrev_b32_e32 v4, 24, v2
	v_cmp_ne_u32_e64 s[0:1], s21, v4
	v_bfrev_b32_e32 v12, 1
	s_and_saveexec_b64 s[14:15], s[0:1]
	s_cbranch_execz .LBB343_384
; %bb.381:                              ;   in Loop: Header=BB343_203 Depth=1
	v_bfe_u32 v44, v2, 24, 7
	v_cmp_ne_u32_e64 s[0:1], s22, v44
	v_mov_b32_e32 v12, 0x7f800001
	s_and_saveexec_b64 s[16:17], s[0:1]
	s_cbranch_execz .LBB343_383
; %bb.382:                              ;   in Loop: Header=BB343_203 Depth=1
	v_and_b32_e32 v12, 7, v4
	v_ffbh_u32_e32 v46, v12
	v_min_u32_e32 v48, 32, v46
	v_subrev_u32_e32 v46, 28, v48
	v_lshlrev_b64 v[46:47], v46, v[4:5]
	v_lshrrev_b32_e32 v45, 3, v44
	v_sub_u32_e32 v47, 29, v48
	v_and_b32_e32 v46, 7, v46
	v_cmp_gt_u32_e64 s[0:1], 8, v44
	v_cndmask_b32_e64 v44, v45, v47, s[0:1]
	v_cndmask_b32_e64 v12, v12, v46, s[0:1]
	v_lshlrev_b32_e32 v4, 24, v4
	v_lshlrev_b32_e32 v12, 20, v12
	v_and_b32_e32 v4, 0x80000000, v4
	v_lshl_add_u32 v44, v44, 23, v11
	v_or3_b32 v12, v4, v44, v12
.LBB343_383:                            ;   in Loop: Header=BB343_203 Depth=1
	s_or_b64 exec, exec, s[16:17]
.LBB343_384:                            ;   in Loop: Header=BB343_203 Depth=1
	s_or_b64 exec, exec, s[14:15]
.LBB343_385:                            ;   in Loop: Header=BB343_203 Depth=1
	s_or_b64 exec, exec, s[12:13]
	v_mul_f32_e32 v4, s9, v12
	v_and_b32_e32 v12, 0x7f800000, v4
	v_cmp_ne_u32_e64 s[0:1], s19, v12
                                        ; implicit-def: $vgpr44
	s_and_saveexec_b64 s[12:13], s[0:1]
	s_xor_b64 s[0:1], exec, s[12:13]
; %bb.386:                              ;   in Loop: Header=BB343_203 Depth=1
	v_bfe_u32 v12, v4, 16, 1
	v_add3_u32 v44, v4, v12, s20
                                        ; implicit-def: $vgpr4
; %bb.387:                              ;   in Loop: Header=BB343_203 Depth=1
	s_andn2_saveexec_b64 s[12:13], s[0:1]
; %bb.388:                              ;   in Loop: Header=BB343_203 Depth=1
	v_or_b32_e32 v12, 0x10000, v4
	v_cmp_eq_u32_sdwa s[0:1], v4, v13 src0_sel:WORD_0 src1_sel:DWORD
	v_cndmask_b32_e64 v44, v12, v4, s[0:1]
; %bb.389:                              ;   in Loop: Header=BB343_203 Depth=1
	s_or_b64 exec, exec, s[12:13]
	v_mov_b32_e32 v12, v3
	v_cmp_ne_u16_sdwa s[0:1], v3, v13 src0_sel:BYTE_0 src1_sel:DWORD
	v_mov_b32_e32 v4, 0
	s_and_saveexec_b64 s[12:13], s[0:1]
	s_cbranch_execz .LBB343_395
; %bb.390:                              ;   in Loop: Header=BB343_203 Depth=1
	v_cmp_ne_u16_sdwa s[0:1], v3, s21 src0_sel:BYTE_0 src1_sel:DWORD
	v_bfrev_b32_e32 v4, 1
	s_and_saveexec_b64 s[14:15], s[0:1]
	s_cbranch_execz .LBB343_394
; %bb.391:                              ;   in Loop: Header=BB343_203 Depth=1
	v_and_b32_e32 v45, 0x7f, v3
	v_cmp_ne_u32_e64 s[0:1], s22, v45
	v_mov_b32_e32 v4, 0x7f800001
	s_and_saveexec_b64 s[16:17], s[0:1]
	s_cbranch_execz .LBB343_393
; %bb.392:                              ;   in Loop: Header=BB343_203 Depth=1
	v_and_b32_e32 v4, 7, v3
	v_ffbh_u32_e32 v4, v4
	v_min_u32_e32 v4, 32, v4
	v_subrev_u32_e32 v47, 28, v4
	v_cmp_gt_u32_e64 s[0:1], 8, v45
	v_lshrrev_b32_e32 v46, 3, v45
	v_sub_u32_e32 v4, 29, v4
	v_cndmask_b32_e64 v45, 0, v47, s[0:1]
	v_cndmask_b32_e64 v4, v46, v4, s[0:1]
	v_lshlrev_b64 v[46:47], v45, v[12:13]
	v_lshlrev_b32_e32 v45, 20, v46
	v_lshlrev_b32_e32 v46, 24, v12
	v_and_b32_e32 v45, 0x700000, v45
	v_and_b32_e32 v46, 0x80000000, v46
	v_lshl_add_u32 v4, v4, 23, v11
	v_or3_b32 v4, v46, v4, v45
.LBB343_393:                            ;   in Loop: Header=BB343_203 Depth=1
	s_or_b64 exec, exec, s[16:17]
.LBB343_394:                            ;   in Loop: Header=BB343_203 Depth=1
	s_or_b64 exec, exec, s[14:15]
.LBB343_395:                            ;   in Loop: Header=BB343_203 Depth=1
	s_or_b64 exec, exec, s[12:13]
	v_mul_f32_e32 v4, s9, v4
	v_and_b32_e32 v45, 0x7f800000, v4
	v_cmp_ne_u32_e64 s[0:1], s19, v45
                                        ; implicit-def: $vgpr45
	s_and_saveexec_b64 s[12:13], s[0:1]
	s_xor_b64 s[0:1], exec, s[12:13]
; %bb.396:                              ;   in Loop: Header=BB343_203 Depth=1
	v_bfe_u32 v45, v4, 16, 1
	v_add3_u32 v45, v4, v45, s20
                                        ; implicit-def: $vgpr4
; %bb.397:                              ;   in Loop: Header=BB343_203 Depth=1
	s_andn2_saveexec_b64 s[12:13], s[0:1]
; %bb.398:                              ;   in Loop: Header=BB343_203 Depth=1
	v_or_b32_e32 v45, 0x10000, v4
	v_cmp_eq_u32_sdwa s[0:1], v4, v13 src0_sel:WORD_0 src1_sel:DWORD
	v_cndmask_b32_e64 v45, v45, v4, s[0:1]
; %bb.399:                              ;   in Loop: Header=BB343_203 Depth=1
	s_or_b64 exec, exec, s[12:13]
	v_lshrrev_b16_e32 v4, 8, v12
	v_cmp_ne_u16_e64 s[0:1], 0, v4
	v_mov_b32_e32 v46, 0
	s_and_saveexec_b64 s[12:13], s[0:1]
	s_cbranch_execz .LBB343_405
; %bb.400:                              ;   in Loop: Header=BB343_203 Depth=1
	v_cmp_ne_u16_e64 s[0:1], s21, v4
	v_bfrev_b32_e32 v46, 1
	s_and_saveexec_b64 s[14:15], s[0:1]
	s_cbranch_execz .LBB343_404
; %bb.401:                              ;   in Loop: Header=BB343_203 Depth=1
	v_and_b32_e32 v47, 0x7f, v4
	v_cmp_ne_u32_e64 s[0:1], s22, v47
	v_mov_b32_e32 v46, 0x7f800001
	s_and_saveexec_b64 s[16:17], s[0:1]
	s_cbranch_execz .LBB343_403
; %bb.402:                              ;   in Loop: Header=BB343_203 Depth=1
	v_and_b32_e32 v46, 7, v4
	v_ffbh_u32_e32 v48, v46
	v_min_u32_e32 v51, 32, v48
	v_subrev_u32_e32 v48, 28, v51
	v_lshlrev_b64 v[48:49], v48, v[4:5]
	v_lshrrev_b32_e32 v50, 3, v47
	v_sub_u32_e32 v4, 29, v51
	v_and_b32_e32 v48, 7, v48
	v_cmp_gt_u32_e64 s[0:1], 8, v47
	v_cndmask_b32_e64 v4, v50, v4, s[0:1]
	v_cndmask_b32_e64 v46, v46, v48, s[0:1]
	v_lshlrev_b32_e32 v12, 16, v12
	v_lshlrev_b32_e32 v46, 20, v46
	v_and_b32_e32 v12, 0x80000000, v12
	v_lshl_add_u32 v4, v4, 23, v11
	v_or3_b32 v46, v12, v4, v46
.LBB343_403:                            ;   in Loop: Header=BB343_203 Depth=1
	s_or_b64 exec, exec, s[16:17]
.LBB343_404:                            ;   in Loop: Header=BB343_203 Depth=1
	s_or_b64 exec, exec, s[14:15]
.LBB343_405:                            ;   in Loop: Header=BB343_203 Depth=1
	s_or_b64 exec, exec, s[12:13]
	v_mul_f32_e32 v4, s9, v46
	v_and_b32_e32 v12, 0x7f800000, v4
	v_cmp_ne_u32_e64 s[0:1], s19, v12
                                        ; implicit-def: $vgpr12
	s_and_saveexec_b64 s[12:13], s[0:1]
	s_xor_b64 s[0:1], exec, s[12:13]
; %bb.406:                              ;   in Loop: Header=BB343_203 Depth=1
	v_bfe_u32 v12, v4, 16, 1
	v_add3_u32 v12, v4, v12, s20
                                        ; implicit-def: $vgpr4
; %bb.407:                              ;   in Loop: Header=BB343_203 Depth=1
	s_andn2_saveexec_b64 s[12:13], s[0:1]
; %bb.408:                              ;   in Loop: Header=BB343_203 Depth=1
	v_or_b32_e32 v12, 0x10000, v4
	v_cmp_eq_u32_sdwa s[0:1], v4, v13 src0_sel:WORD_0 src1_sel:DWORD
	v_cndmask_b32_e64 v12, v12, v4, s[0:1]
; %bb.409:                              ;   in Loop: Header=BB343_203 Depth=1
	s_or_b64 exec, exec, s[12:13]
	v_lshrrev_b32_e32 v4, 16, v3
	v_cmp_ne_u16_sdwa s[0:1], v4, v13 src0_sel:BYTE_0 src1_sel:DWORD
	v_mov_b32_e32 v46, 0
	s_and_saveexec_b64 s[12:13], s[0:1]
	s_cbranch_execz .LBB343_415
; %bb.410:                              ;   in Loop: Header=BB343_203 Depth=1
	v_cmp_ne_u16_sdwa s[0:1], v4, s21 src0_sel:BYTE_0 src1_sel:DWORD
	v_bfrev_b32_e32 v46, 1
	s_and_saveexec_b64 s[14:15], s[0:1]
	s_cbranch_execz .LBB343_414
; %bb.411:                              ;   in Loop: Header=BB343_203 Depth=1
	v_bfe_u32 v47, v3, 16, 7
	v_cmp_ne_u32_e64 s[0:1], s22, v47
	v_mov_b32_e32 v46, 0x7f800001
	s_and_saveexec_b64 s[16:17], s[0:1]
	s_cbranch_execz .LBB343_413
; %bb.412:                              ;   in Loop: Header=BB343_203 Depth=1
	v_and_b32_e32 v46, 7, v4
	v_ffbh_u32_e32 v48, v46
	v_min_u32_e32 v51, 32, v48
	v_subrev_u32_e32 v48, 28, v51
	v_lshlrev_b64 v[48:49], v48, v[4:5]
	v_lshrrev_b32_e32 v50, 3, v47
	v_sub_u32_e32 v49, 29, v51
	v_and_b32_e32 v48, 7, v48
	v_cmp_gt_u32_e64 s[0:1], 8, v47
	v_cndmask_b32_e64 v47, v50, v49, s[0:1]
	v_cndmask_b32_e64 v46, v46, v48, s[0:1]
	v_lshlrev_b32_e32 v4, 24, v4
	v_lshlrev_b32_e32 v46, 20, v46
	v_and_b32_e32 v4, 0x80000000, v4
	v_lshl_add_u32 v47, v47, 23, v11
	v_or3_b32 v46, v4, v47, v46
.LBB343_413:                            ;   in Loop: Header=BB343_203 Depth=1
	s_or_b64 exec, exec, s[16:17]
.LBB343_414:                            ;   in Loop: Header=BB343_203 Depth=1
	s_or_b64 exec, exec, s[14:15]
.LBB343_415:                            ;   in Loop: Header=BB343_203 Depth=1
	s_or_b64 exec, exec, s[12:13]
	v_mul_f32_e32 v46, s9, v46
	v_and_b32_e32 v4, 0x7f800000, v46
	v_cmp_ne_u32_e64 s[0:1], s19, v4
                                        ; implicit-def: $vgpr4
	s_and_saveexec_b64 s[12:13], s[0:1]
	s_xor_b64 s[0:1], exec, s[12:13]
; %bb.416:                              ;   in Loop: Header=BB343_203 Depth=1
	v_bfe_u32 v4, v46, 16, 1
	v_add3_u32 v4, v46, v4, s20
                                        ; implicit-def: $vgpr46
; %bb.417:                              ;   in Loop: Header=BB343_203 Depth=1
	s_andn2_saveexec_b64 s[12:13], s[0:1]
; %bb.418:                              ;   in Loop: Header=BB343_203 Depth=1
	v_or_b32_e32 v4, 0x10000, v46
	v_cmp_eq_u32_sdwa s[0:1], v46, v13 src0_sel:WORD_0 src1_sel:DWORD
	v_cndmask_b32_e64 v4, v4, v46, s[0:1]
; %bb.419:                              ;   in Loop: Header=BB343_203 Depth=1
	s_or_b64 exec, exec, s[12:13]
	v_cmp_lt_u64_e64 s[0:1], s[6:7], v[2:3]
	v_mov_b32_e32 v46, 0
	s_and_saveexec_b64 s[12:13], s[0:1]
	s_cbranch_execz .LBB343_425
; %bb.420:                              ;   in Loop: Header=BB343_203 Depth=1
	v_lshrrev_b32_e32 v2, 24, v3
	v_cmp_ne_u32_e64 s[0:1], s21, v2
	v_bfrev_b32_e32 v46, 1
	s_and_saveexec_b64 s[14:15], s[0:1]
	s_cbranch_execz .LBB343_424
; %bb.421:                              ;   in Loop: Header=BB343_203 Depth=1
	v_bfe_u32 v3, v3, 24, 7
	v_cmp_ne_u32_e64 s[0:1], s22, v3
	v_mov_b32_e32 v46, 0x7f800001
	s_and_saveexec_b64 s[16:17], s[0:1]
	s_cbranch_execz .LBB343_423
; %bb.422:                              ;   in Loop: Header=BB343_203 Depth=1
	v_and_b32_e32 v48, 7, v2
	v_ffbh_u32_e32 v46, v48
	v_min_u32_e32 v50, 32, v46
	v_subrev_u32_e32 v46, 28, v50
	v_lshlrev_b64 v[46:47], v46, v[2:3]
	v_lshrrev_b32_e32 v49, 3, v3
	v_sub_u32_e32 v47, 29, v50
	v_and_b32_e32 v46, 7, v46
	v_cmp_gt_u32_e64 s[0:1], 8, v3
	v_cndmask_b32_e64 v3, v49, v47, s[0:1]
	v_cndmask_b32_e64 v46, v48, v46, s[0:1]
	v_lshlrev_b32_e32 v2, 24, v2
	v_lshlrev_b32_e32 v46, 20, v46
	v_and_b32_e32 v2, 0x80000000, v2
	v_lshl_add_u32 v3, v3, 23, v11
	v_or3_b32 v46, v2, v3, v46
.LBB343_423:                            ;   in Loop: Header=BB343_203 Depth=1
	s_or_b64 exec, exec, s[16:17]
.LBB343_424:                            ;   in Loop: Header=BB343_203 Depth=1
	s_or_b64 exec, exec, s[14:15]
.LBB343_425:                            ;   in Loop: Header=BB343_203 Depth=1
	s_or_b64 exec, exec, s[12:13]
	v_mul_f32_e32 v3, s9, v46
	v_and_b32_e32 v2, 0x7f800000, v3
	v_cmp_ne_u32_e64 s[0:1], s19, v2
                                        ; implicit-def: $vgpr2
	s_and_saveexec_b64 s[12:13], s[0:1]
	s_xor_b64 s[0:1], exec, s[12:13]
; %bb.426:                              ;   in Loop: Header=BB343_203 Depth=1
	v_bfe_u32 v2, v3, 16, 1
	v_add3_u32 v2, v3, v2, s20
                                        ; implicit-def: $vgpr3
; %bb.427:                              ;   in Loop: Header=BB343_203 Depth=1
	s_andn2_saveexec_b64 s[12:13], s[0:1]
; %bb.428:                              ;   in Loop: Header=BB343_203 Depth=1
	v_or_b32_e32 v2, 0x10000, v3
	v_cmp_eq_u32_sdwa s[0:1], v3, v13 src0_sel:WORD_0 src1_sel:DWORD
	v_cndmask_b32_e64 v2, v2, v3, s[0:1]
; %bb.429:                              ;   in Loop: Header=BB343_203 Depth=1
	s_or_b64 exec, exec, s[12:13]
	v_lshrrev_b32_e32 v46, 16, v12
	v_lshrrev_b32_e32 v45, 16, v45
	;; [unrolled: 1-line block ×8, first 2 shown]
	s_and_saveexec_b64 s[0:1], vcc
	s_cbranch_execz .LBB343_431
; %bb.430:                              ;   in Loop: Header=BB343_203 Depth=1
	v_cmp_gt_i32_e32 vcc, s29, v25
	v_cndmask_b32_e32 v41, 0, v41, vcc
	v_cmp_gt_i32_e32 vcc, s29, v31
	v_cndmask_b32_e32 v12, 0, v12, vcc
	;; [unrolled: 2-line block ×8, first 2 shown]
.LBB343_431:                            ;   in Loop: Header=BB343_203 Depth=1
	s_or_b64 exec, exec, s[0:1]
	v_lshlrev_b32_e32 v4, 16, v41
	v_mul_f32_e32 v25, v33, v4
	v_and_b32_e32 v4, 0x7f800000, v25
	v_cmp_ne_u32_e32 vcc, s19, v4
                                        ; implicit-def: $vgpr4
	s_and_saveexec_b64 s[0:1], vcc
	s_xor_b64 s[0:1], exec, s[0:1]
; %bb.432:                              ;   in Loop: Header=BB343_203 Depth=1
	v_bfe_u32 v4, v25, 16, 1
	v_add3_u32 v4, v25, v4, s20
                                        ; implicit-def: $vgpr25
; %bb.433:                              ;   in Loop: Header=BB343_203 Depth=1
	s_andn2_saveexec_b64 s[0:1], s[0:1]
; %bb.434:                              ;   in Loop: Header=BB343_203 Depth=1
	v_or_b32_e32 v4, 0x10000, v25
	v_cmp_eq_u32_sdwa vcc, v25, v13 src0_sel:WORD_0 src1_sel:DWORD
	v_cndmask_b32_e32 v4, v4, v25, vcc
; %bb.435:                              ;   in Loop: Header=BB343_203 Depth=1
	s_or_b64 exec, exec, s[0:1]
	v_lshlrev_b32_e32 v12, 16, v12
	v_mul_f32_e32 v25, v34, v12
	v_and_b32_e32 v12, 0x7f800000, v25
	v_cmp_ne_u32_e32 vcc, s19, v12
                                        ; implicit-def: $vgpr12
	s_and_saveexec_b64 s[0:1], vcc
	s_xor_b64 s[0:1], exec, s[0:1]
; %bb.436:                              ;   in Loop: Header=BB343_203 Depth=1
	v_bfe_u32 v12, v25, 16, 1
	v_add3_u32 v12, v25, v12, s20
                                        ; implicit-def: $vgpr25
; %bb.437:                              ;   in Loop: Header=BB343_203 Depth=1
	s_andn2_saveexec_b64 s[0:1], s[0:1]
; %bb.438:                              ;   in Loop: Header=BB343_203 Depth=1
	v_or_b32_e32 v12, 0x10000, v25
	v_cmp_eq_u32_sdwa vcc, v25, v13 src0_sel:WORD_0 src1_sel:DWORD
	v_cndmask_b32_e32 v12, v12, v25, vcc
; %bb.439:                              ;   in Loop: Header=BB343_203 Depth=1
	s_or_b64 exec, exec, s[0:1]
	v_lshlrev_b32_e32 v25, 16, v43
	v_mul_f32_e32 v26, v35, v25
	v_and_b32_e32 v25, 0x7f800000, v26
	v_cmp_ne_u32_e32 vcc, s19, v25
                                        ; implicit-def: $vgpr25
	s_and_saveexec_b64 s[0:1], vcc
	s_xor_b64 s[0:1], exec, s[0:1]
; %bb.440:                              ;   in Loop: Header=BB343_203 Depth=1
	v_bfe_u32 v25, v26, 16, 1
	v_add3_u32 v25, v26, v25, s20
                                        ; implicit-def: $vgpr26
; %bb.441:                              ;   in Loop: Header=BB343_203 Depth=1
	s_andn2_saveexec_b64 s[0:1], s[0:1]
; %bb.442:                              ;   in Loop: Header=BB343_203 Depth=1
	v_or_b32_e32 v25, 0x10000, v26
	v_cmp_eq_u32_sdwa vcc, v26, v13 src0_sel:WORD_0 src1_sel:DWORD
	v_cndmask_b32_e32 v25, v25, v26, vcc
; %bb.443:                              ;   in Loop: Header=BB343_203 Depth=1
	s_or_b64 exec, exec, s[0:1]
	v_lshlrev_b32_e32 v26, 16, v44
	v_mul_f32_e32 v27, v36, v26
	v_and_b32_e32 v26, 0x7f800000, v27
	v_cmp_ne_u32_e32 vcc, s19, v26
                                        ; implicit-def: $vgpr26
	s_and_saveexec_b64 s[0:1], vcc
	s_xor_b64 s[0:1], exec, s[0:1]
; %bb.444:                              ;   in Loop: Header=BB343_203 Depth=1
	v_bfe_u32 v26, v27, 16, 1
	v_add3_u32 v26, v27, v26, s20
                                        ; implicit-def: $vgpr27
; %bb.445:                              ;   in Loop: Header=BB343_203 Depth=1
	s_andn2_saveexec_b64 s[0:1], s[0:1]
; %bb.446:                              ;   in Loop: Header=BB343_203 Depth=1
	v_or_b32_e32 v26, 0x10000, v27
	v_cmp_eq_u32_sdwa vcc, v27, v13 src0_sel:WORD_0 src1_sel:DWORD
	v_cndmask_b32_e32 v26, v26, v27, vcc
; %bb.447:                              ;   in Loop: Header=BB343_203 Depth=1
	s_or_b64 exec, exec, s[0:1]
	v_lshlrev_b32_e32 v27, 16, v45
	v_mul_f32_e32 v28, v37, v27
	v_and_b32_e32 v27, 0x7f800000, v28
	v_cmp_ne_u32_e32 vcc, s19, v27
                                        ; implicit-def: $vgpr27
	s_and_saveexec_b64 s[0:1], vcc
	s_xor_b64 s[0:1], exec, s[0:1]
; %bb.448:                              ;   in Loop: Header=BB343_203 Depth=1
	v_bfe_u32 v27, v28, 16, 1
	v_add3_u32 v27, v28, v27, s20
                                        ; implicit-def: $vgpr28
; %bb.449:                              ;   in Loop: Header=BB343_203 Depth=1
	s_andn2_saveexec_b64 s[0:1], s[0:1]
; %bb.450:                              ;   in Loop: Header=BB343_203 Depth=1
	v_or_b32_e32 v27, 0x10000, v28
	v_cmp_eq_u32_sdwa vcc, v28, v13 src0_sel:WORD_0 src1_sel:DWORD
	v_cndmask_b32_e32 v27, v27, v28, vcc
; %bb.451:                              ;   in Loop: Header=BB343_203 Depth=1
	s_or_b64 exec, exec, s[0:1]
	v_lshlrev_b32_e32 v28, 16, v46
	v_mul_f32_e32 v29, v38, v28
	v_and_b32_e32 v28, 0x7f800000, v29
	v_cmp_ne_u32_e32 vcc, s19, v28
                                        ; implicit-def: $vgpr28
	s_and_saveexec_b64 s[0:1], vcc
	s_xor_b64 s[0:1], exec, s[0:1]
; %bb.452:                              ;   in Loop: Header=BB343_203 Depth=1
	v_bfe_u32 v28, v29, 16, 1
	v_add3_u32 v28, v29, v28, s20
                                        ; implicit-def: $vgpr29
; %bb.453:                              ;   in Loop: Header=BB343_203 Depth=1
	s_andn2_saveexec_b64 s[0:1], s[0:1]
; %bb.454:                              ;   in Loop: Header=BB343_203 Depth=1
	v_or_b32_e32 v28, 0x10000, v29
	v_cmp_eq_u32_sdwa vcc, v29, v13 src0_sel:WORD_0 src1_sel:DWORD
	v_cndmask_b32_e32 v28, v28, v29, vcc
; %bb.455:                              ;   in Loop: Header=BB343_203 Depth=1
	s_or_b64 exec, exec, s[0:1]
	v_lshlrev_b32_e32 v3, 16, v3
	v_mul_f32_e32 v3, v39, v3
	v_and_b32_e32 v29, 0x7f800000, v3
	v_cmp_ne_u32_e32 vcc, s19, v29
                                        ; implicit-def: $vgpr29
	s_and_saveexec_b64 s[0:1], vcc
	s_xor_b64 s[0:1], exec, s[0:1]
; %bb.456:                              ;   in Loop: Header=BB343_203 Depth=1
	v_bfe_u32 v29, v3, 16, 1
	v_add3_u32 v29, v3, v29, s20
                                        ; implicit-def: $vgpr3
; %bb.457:                              ;   in Loop: Header=BB343_203 Depth=1
	s_andn2_saveexec_b64 s[0:1], s[0:1]
; %bb.458:                              ;   in Loop: Header=BB343_203 Depth=1
	v_or_b32_e32 v29, 0x10000, v3
	v_cmp_eq_u32_sdwa vcc, v3, v13 src0_sel:WORD_0 src1_sel:DWORD
	v_cndmask_b32_e32 v29, v29, v3, vcc
; %bb.459:                              ;   in Loop: Header=BB343_203 Depth=1
	s_or_b64 exec, exec, s[0:1]
	v_lshlrev_b32_e32 v2, 16, v2
	v_mul_f32_e32 v2, v40, v2
	v_and_b32_e32 v3, 0x7f800000, v2
	v_cmp_ne_u32_e32 vcc, s19, v3
                                        ; implicit-def: $vgpr30
	s_and_saveexec_b64 s[0:1], vcc
	s_xor_b64 s[0:1], exec, s[0:1]
; %bb.460:                              ;   in Loop: Header=BB343_203 Depth=1
	v_bfe_u32 v3, v2, 16, 1
	v_add3_u32 v30, v2, v3, s20
                                        ; implicit-def: $vgpr2
; %bb.461:                              ;   in Loop: Header=BB343_203 Depth=1
	s_andn2_saveexec_b64 s[0:1], s[0:1]
	s_cbranch_execz .LBB343_202
; %bb.462:                              ;   in Loop: Header=BB343_203 Depth=1
	v_or_b32_e32 v3, 0x10000, v2
	v_cmp_eq_u32_sdwa vcc, v2, v13 src0_sel:WORD_0 src1_sel:DWORD
	v_cndmask_b32_e32 v30, v3, v2, vcc
	s_branch .LBB343_202
.LBB343_463:
	s_or_b64 exec, exec, s[10:11]
	v_mov_b32_e32 v3, v19
.LBB343_464:
	s_or_b64 exec, exec, s[4:5]
	v_and_b32_e32 v4, 0x3c0, v0
	v_cmp_eq_u32_e32 vcc, 64, v4
	s_barrier
	s_and_saveexec_b64 s[0:1], vcc
	s_cbranch_execz .LBB343_466
; %bb.465:
	v_mov_b32_e32 v4, 0x110
	v_lshl_add_u32 v1, v1, 2, v4
	v_lshl_add_u32 v5, v0, 2, v4
	ds_write_b32 v1, v2
	ds_write_b32 v5, v3
.LBB343_466:
	s_or_b64 exec, exec, s[0:1]
	v_cmp_gt_u32_e32 vcc, 64, v0
	s_waitcnt lgkmcnt(0)
	s_barrier
	s_and_saveexec_b64 s[0:1], vcc
	s_cbranch_execz .LBB343_468
; %bb.467:
	v_mov_b32_e32 v1, 0x110
	v_lshl_add_u32 v0, v0, 2, v1
	ds_read2st64_b32 v[0:1], v0 offset1:1
	s_waitcnt lgkmcnt(0)
	v_pk_add_f32 v[2:3], v[2:3], v[0:1]
.LBB343_468:
	s_or_b64 exec, exec, s[0:1]
	s_barrier
	s_and_saveexec_b64 s[0:1], vcc
	s_cbranch_execz .LBB343_478
; %bb.469:
	s_mov_b32 s0, 0x7f800000
	v_and_b32_e32 v0, 0x7f800000, v2
	v_cmp_ne_u32_e32 vcc, s0, v0
                                        ; implicit-def: $vgpr4
	s_and_saveexec_b64 s[0:1], vcc
	s_xor_b64 s[0:1], exec, s[0:1]
; %bb.470:
	v_bfe_u32 v0, v2, 16, 1
	s_movk_i32 s3, 0x7fff
	v_add3_u32 v4, v2, v0, s3
; %bb.471:
	s_andn2_saveexec_b64 s[0:1], s[0:1]
; %bb.472:
	v_mov_b32_e32 v0, 0
	v_or_b32_e32 v1, 0x10000, v2
	v_cmp_eq_u32_sdwa vcc, v2, v0 src0_sel:WORD_0 src1_sel:DWORD
	v_cndmask_b32_e32 v4, v1, v2, vcc
; %bb.473:
	s_or_b64 exec, exec, s[0:1]
	s_lshl_b32 s0, s2, 7
	s_ashr_i32 s1, s0, 31
	s_lshl_b64 s[0:1], s[0:1], 1
	s_add_u32 s2, s26, s0
	s_mul_i32 s0, s25, s24
	s_addc_u32 s3, s27, s1
	s_ashr_i32 s1, s0, 31
	s_lshl_b64 s[0:1], s[0:1], 1
	s_add_u32 s2, s2, s0
	s_addc_u32 s3, s3, s1
	s_lshl_b32 s0, s8, 7
	s_ashr_i32 s1, s0, 31
	s_lshl_b64 s[0:1], s[0:1], 1
	s_add_u32 s0, s2, s0
	s_addc_u32 s1, s3, s1
	v_mov_b32_e32 v1, s1
	v_add_co_u32_e32 v0, vcc, s0, v20
	v_addc_co_u32_e32 v1, vcc, 0, v1, vcc
	global_store_short_d16_hi v20, v4, s[0:1]
	s_mov_b32 s0, 0x7f800000
	v_and_b32_e32 v2, 0x7f800000, v3
	v_cmp_ne_u32_e32 vcc, s0, v2
                                        ; implicit-def: $vgpr4
	s_and_saveexec_b64 s[0:1], vcc
	s_xor_b64 s[0:1], exec, s[0:1]
; %bb.474:
	v_bfe_u32 v2, v3, 16, 1
	s_movk_i32 s2, 0x7fff
	v_add3_u32 v4, v3, v2, s2
                                        ; implicit-def: $vgpr2_vgpr3
; %bb.475:
	s_andn2_saveexec_b64 s[0:1], s[0:1]
; %bb.476:
	v_mov_b32_e32 v2, 0
	v_or_b32_e32 v4, 0x10000, v3
	v_cmp_eq_u32_sdwa vcc, v3, v2 src0_sel:WORD_0 src1_sel:DWORD
	v_cndmask_b32_e32 v4, v4, v3, vcc
; %bb.477:
	s_or_b64 exec, exec, s[0:1]
	global_store_short_d16_hi v[0:1], v4, off offset:128
.LBB343_478:
	s_endpgm
	.section	.rodata,"a",@progbits
	.p2align	6, 0x0
	.amdhsa_kernel _ZN4vllm25paged_attention_v2_kernelI14__hip_bfloat16hLi128ELi8ELi128ELNS_18Fp8KVCacheDataTypeE1ELb0ELi512EEEvPfS3_PT_PKS4_PKT0_SA_ifPKiSC_iPKfiiiSE_SE_iiiii
		.amdhsa_group_segment_fixed_size 272
		.amdhsa_private_segment_fixed_size 0
		.amdhsa_kernarg_size 400
		.amdhsa_user_sgpr_count 6
		.amdhsa_user_sgpr_private_segment_buffer 1
		.amdhsa_user_sgpr_dispatch_ptr 0
		.amdhsa_user_sgpr_queue_ptr 0
		.amdhsa_user_sgpr_kernarg_segment_ptr 1
		.amdhsa_user_sgpr_dispatch_id 0
		.amdhsa_user_sgpr_flat_scratch_init 0
		.amdhsa_user_sgpr_kernarg_preload_length 0
		.amdhsa_user_sgpr_kernarg_preload_offset 0
		.amdhsa_user_sgpr_private_segment_size 0
		.amdhsa_uses_dynamic_stack 0
		.amdhsa_system_sgpr_private_segment_wavefront_offset 0
		.amdhsa_system_sgpr_workgroup_id_x 1
		.amdhsa_system_sgpr_workgroup_id_y 1
		.amdhsa_system_sgpr_workgroup_id_z 1
		.amdhsa_system_sgpr_workgroup_info 0
		.amdhsa_system_vgpr_workitem_id 0
		.amdhsa_next_free_vgpr 62
		.amdhsa_next_free_sgpr 53
		.amdhsa_accum_offset 64
		.amdhsa_reserve_vcc 1
		.amdhsa_reserve_flat_scratch 0
		.amdhsa_float_round_mode_32 0
		.amdhsa_float_round_mode_16_64 0
		.amdhsa_float_denorm_mode_32 3
		.amdhsa_float_denorm_mode_16_64 3
		.amdhsa_dx10_clamp 1
		.amdhsa_ieee_mode 1
		.amdhsa_fp16_overflow 0
		.amdhsa_tg_split 0
		.amdhsa_exception_fp_ieee_invalid_op 0
		.amdhsa_exception_fp_denorm_src 0
		.amdhsa_exception_fp_ieee_div_zero 0
		.amdhsa_exception_fp_ieee_overflow 0
		.amdhsa_exception_fp_ieee_underflow 0
		.amdhsa_exception_fp_ieee_inexact 0
		.amdhsa_exception_int_div_zero 0
	.end_amdhsa_kernel
	.section	.text._ZN4vllm25paged_attention_v2_kernelI14__hip_bfloat16hLi128ELi8ELi128ELNS_18Fp8KVCacheDataTypeE1ELb0ELi512EEEvPfS3_PT_PKS4_PKT0_SA_ifPKiSC_iPKfiiiSE_SE_iiiii,"axG",@progbits,_ZN4vllm25paged_attention_v2_kernelI14__hip_bfloat16hLi128ELi8ELi128ELNS_18Fp8KVCacheDataTypeE1ELb0ELi512EEEvPfS3_PT_PKS4_PKT0_SA_ifPKiSC_iPKfiiiSE_SE_iiiii,comdat
.Lfunc_end343:
	.size	_ZN4vllm25paged_attention_v2_kernelI14__hip_bfloat16hLi128ELi8ELi128ELNS_18Fp8KVCacheDataTypeE1ELb0ELi512EEEvPfS3_PT_PKS4_PKT0_SA_ifPKiSC_iPKfiiiSE_SE_iiiii, .Lfunc_end343-_ZN4vllm25paged_attention_v2_kernelI14__hip_bfloat16hLi128ELi8ELi128ELNS_18Fp8KVCacheDataTypeE1ELb0ELi512EEEvPfS3_PT_PKS4_PKT0_SA_ifPKiSC_iPKfiiiSE_SE_iiiii
                                        ; -- End function
	.section	.AMDGPU.csdata,"",@progbits
; Kernel info:
; codeLenInByte = 14184
; NumSgprs: 57
; NumVgprs: 62
; NumAgprs: 0
; TotalNumVgprs: 62
; ScratchSize: 0
; MemoryBound: 0
; FloatMode: 240
; IeeeMode: 1
; LDSByteSize: 272 bytes/workgroup (compile time only)
; SGPRBlocks: 7
; VGPRBlocks: 7
; NumSGPRsForWavesPerEU: 57
; NumVGPRsForWavesPerEU: 62
; AccumOffset: 64
; Occupancy: 8
; WaveLimiterHint : 1
; COMPUTE_PGM_RSRC2:SCRATCH_EN: 0
; COMPUTE_PGM_RSRC2:USER_SGPR: 6
; COMPUTE_PGM_RSRC2:TRAP_HANDLER: 0
; COMPUTE_PGM_RSRC2:TGID_X_EN: 1
; COMPUTE_PGM_RSRC2:TGID_Y_EN: 1
; COMPUTE_PGM_RSRC2:TGID_Z_EN: 1
; COMPUTE_PGM_RSRC2:TIDIG_COMP_CNT: 0
; COMPUTE_PGM_RSRC3_GFX90A:ACCUM_OFFSET: 15
; COMPUTE_PGM_RSRC3_GFX90A:TG_SPLIT: 0
	.section	.text._ZN4vllm25paged_attention_v2_kernelI14__hip_bfloat16hLi192ELi8ELi128ELNS_18Fp8KVCacheDataTypeE1ELb0ELi512EEEvPfS3_PT_PKS4_PKT0_SA_ifPKiSC_iPKfiiiSE_SE_iiiii,"axG",@progbits,_ZN4vllm25paged_attention_v2_kernelI14__hip_bfloat16hLi192ELi8ELi128ELNS_18Fp8KVCacheDataTypeE1ELb0ELi512EEEvPfS3_PT_PKS4_PKT0_SA_ifPKiSC_iPKfiiiSE_SE_iiiii,comdat
	.protected	_ZN4vllm25paged_attention_v2_kernelI14__hip_bfloat16hLi192ELi8ELi128ELNS_18Fp8KVCacheDataTypeE1ELb0ELi512EEEvPfS3_PT_PKS4_PKT0_SA_ifPKiSC_iPKfiiiSE_SE_iiiii ; -- Begin function _ZN4vllm25paged_attention_v2_kernelI14__hip_bfloat16hLi192ELi8ELi128ELNS_18Fp8KVCacheDataTypeE1ELb0ELi512EEEvPfS3_PT_PKS4_PKT0_SA_ifPKiSC_iPKfiiiSE_SE_iiiii
	.globl	_ZN4vllm25paged_attention_v2_kernelI14__hip_bfloat16hLi192ELi8ELi128ELNS_18Fp8KVCacheDataTypeE1ELb0ELi512EEEvPfS3_PT_PKS4_PKT0_SA_ifPKiSC_iPKfiiiSE_SE_iiiii
	.p2align	8
	.type	_ZN4vllm25paged_attention_v2_kernelI14__hip_bfloat16hLi192ELi8ELi128ELNS_18Fp8KVCacheDataTypeE1ELb0ELi512EEEvPfS3_PT_PKS4_PKT0_SA_ifPKiSC_iPKfiiiSE_SE_iiiii,@function
_ZN4vllm25paged_attention_v2_kernelI14__hip_bfloat16hLi192ELi8ELi128ELNS_18Fp8KVCacheDataTypeE1ELb0ELi512EEEvPfS3_PT_PKS4_PKT0_SA_ifPKiSC_iPKfiiiSE_SE_iiiii: ; @_ZN4vllm25paged_attention_v2_kernelI14__hip_bfloat16hLi192ELi8ELi128ELNS_18Fp8KVCacheDataTypeE1ELb0ELi512EEEvPfS3_PT_PKS4_PKT0_SA_ifPKiSC_iPKfiiiSE_SE_iiiii
; %bb.0:
	s_load_dwordx2 s[0:1], s[4:5], 0x40
	s_mov_b32 s34, s7
	s_ashr_i32 s35, s7, 31
	s_lshl_b64 s[2:3], s[34:35], 2
	s_waitcnt lgkmcnt(0)
	s_add_u32 s0, s0, s2
	s_addc_u32 s1, s1, s3
	s_load_dword s35, s[0:1], 0x0
	s_lshl_b32 s44, s8, 9
	s_waitcnt lgkmcnt(0)
	s_cmp_ge_i32 s44, s35
	s_cbranch_scc1 .LBB344_677
; %bb.1:
	s_load_dword s9, s[4:5], 0x90
	s_load_dwordx2 s[10:11], s[4:5], 0x30
	s_waitcnt lgkmcnt(0)
	s_abs_i32 s2, s9
	s_abs_i32 s0, s10
	v_cvt_f32_u32_e32 v1, s0
	s_sub_i32 s3, 0, s0
	s_xor_b32 s1, s9, s10
	s_ashr_i32 s1, s1, 31
	v_rcp_iflag_f32_e32 v1, v1
	v_mul_f32_e32 v1, 0x4f7ffffe, v1
	v_cvt_u32_f32_e32 v1, v1
	v_readfirstlane_b32 s7, v1
	s_mul_i32 s3, s3, s7
	s_mul_hi_u32 s3, s7, s3
	s_add_i32 s7, s7, s3
	s_mul_hi_u32 s3, s2, s7
	s_mul_i32 s7, s3, s0
	s_sub_i32 s2, s2, s7
	s_add_i32 s10, s3, 1
	s_sub_i32 s7, s2, s0
	s_cmp_ge_u32 s2, s0
	s_cselect_b32 s3, s10, s3
	s_cselect_b32 s2, s7, s2
	s_add_i32 s7, s3, 1
	s_cmp_ge_u32 s2, s0
	s_cselect_b32 s0, s7, s3
	s_xor_b32 s0, s0, s1
	s_sub_i32 s26, s0, s1
	s_abs_i32 s24, s26
	v_cvt_f32_u32_e32 v1, s24
	s_load_dwordx2 s[0:1], s[4:5], 0x50
	s_sub_i32 s2, 0, s24
	s_abs_i32 s25, s6
	v_rcp_iflag_f32_e32 v1, v1
	s_mov_b32 s10, 0
	v_mul_f32_e32 v1, 0x4f7ffffe, v1
	v_cvt_u32_f32_e32 v1, v1
	v_readfirstlane_b32 s3, v1
	s_mul_i32 s2, s2, s3
	s_mul_hi_u32 s2, s3, s2
	s_add_i32 s2, s3, s2
	s_waitcnt lgkmcnt(0)
	s_cmp_eq_u64 s[0:1], 0
	s_cbranch_scc1 .LBB344_3
; %bb.2:
	s_ashr_i32 s7, s6, 31
	s_lshl_b64 s[12:13], s[6:7], 2
	s_add_u32 s0, s0, s12
	s_addc_u32 s1, s1, s13
	s_load_dword s10, s[0:1], 0x0
.LBB344_3:
	s_load_dwordx4 s[20:23], s[4:5], 0x0
	s_load_dwordx2 s[28:29], s[4:5], 0x10
	s_load_dwordx4 s[12:15], s[4:5], 0x20
	s_load_dwordx2 s[36:37], s[4:5], 0x38
	s_load_dword s33, s[4:5], 0x98
	s_load_dwordx4 s[16:19], s[4:5], 0x58
	s_movk_i32 s0, 0xc0
	s_mul_i32 s30, s6, 0xc0
	s_mul_hi_u32 s7, s25, s2
	v_and_b32_e32 v2, 7, v0
	s_ashr_i32 s31, s30, 31
	v_cmp_gt_u32_e32 vcc, s0, v0
	s_and_saveexec_b64 s[0:1], vcc
	s_cbranch_execz .LBB344_6
; %bb.4:
	s_load_dwordx2 s[2:3], s[4:5], 0x18
	s_waitcnt lgkmcnt(0)
	s_mul_i32 s38, s34, s16
	s_ashr_i32 s39, s38, 31
	s_lshl_b64 s[38:39], s[38:39], 1
	s_lshl_b64 s[40:41], s[30:31], 1
	s_add_u32 s16, s38, s40
	s_addc_u32 s19, s39, s41
	v_lshrrev_b32_e32 v4, 3, v0
	v_lshlrev_b32_e32 v5, 1, v2
	s_add_u32 s2, s2, s16
	v_add_u32_e32 v1, -16, v4
	v_lshlrev_b32_e32 v3, 1, v4
	v_lshl_or_b32 v4, v4, 4, v5
	s_addc_u32 s3, s3, s19
	v_mov_b32_e32 v5, s3
	v_add_co_u32_e32 v4, vcc, s2, v4
	v_mad_u32_u24 v3, v2, 48, v3
	v_addc_co_u32_e32 v5, vcc, 0, v5, vcc
	s_mov_b64 s[2:3], 0
.LBB344_5:                              ; =>This Inner Loop Header: Depth=1
	global_load_ushort v6, v[4:5], off
	v_add_co_u32_e32 v4, vcc, 0x100, v4
	v_add_u32_e32 v1, 16, v1
	v_addc_co_u32_e32 v5, vcc, 0, v5, vcc
	v_cmp_lt_u32_e32 vcc, 7, v1
	s_or_b64 s[2:3], vcc, s[2:3]
	s_waitcnt vmcnt(0)
	ds_write_b16 v3, v6
	v_add_u32_e32 v3, 32, v3
	s_andn2_b64 exec, exec, s[2:3]
	s_cbranch_execnz .LBB344_5
.LBB344_6:
	s_or_b64 exec, exec, s[0:1]
	s_add_i32 s2, s35, 7
	s_ashr_i32 s3, s2, 31
	s_ashr_i32 s0, s6, 31
	;; [unrolled: 1-line block ×3, first 2 shown]
	s_lshr_b32 s3, s3, 29
	s_add_i32 s2, s2, s3
	s_lshl_b32 s45, s8, 6
	s_xor_b32 s0, s0, s1
	s_mul_i32 s1, s7, s24
	s_waitcnt lgkmcnt(0)
	s_ashr_i32 s16, s2, 3
	s_add_i32 s2, s45, 64
	s_sub_i32 s1, s25, s1
	s_min_i32 s31, s2, s16
	s_add_i32 s2, s7, 1
	s_sub_i32 s3, s1, s24
	s_cmp_ge_u32 s1, s24
	s_cselect_b32 s2, s2, s7
	s_cselect_b32 s1, s3, s1
	s_add_i32 s3, s2, 1
	s_cmp_ge_u32 s1, s24
	s_cselect_b32 s1, s3, s2
	s_load_dword s2, s[4:5], 0x48
	v_lshrrev_b32_e32 v16, 6, v0
	s_xor_b32 s1, s1, s0
	v_or_b32_e32 v12, s45, v16
	s_sub_i32 s7, s1, s0
	s_waitcnt lgkmcnt(0)
	s_mul_i32 s38, s34, s2
	s_ashr_i32 s39, s38, 31
	v_cmp_gt_i32_e64 s[0:1], s31, v12
	v_cmp_le_i32_e32 vcc, s31, v12
	v_mbcnt_lo_u32_b32 v6, -1, 0
	s_barrier
	s_waitcnt lgkmcnt(0)
                                        ; implicit-def: $sgpr19
                                        ; implicit-def: $vgpr3
                                        ; implicit-def: $vgpr14
	s_and_saveexec_b64 s[2:3], vcc
	s_xor_b64 s[2:3], exec, s[2:3]
; %bb.7:
	v_mbcnt_hi_u32_b32 v3, -1, v6
	v_and_b32_e32 v1, 64, v3
	v_add_u32_e32 v14, 64, v1
	s_mov_b32 s19, 0xff7fffff
                                        ; implicit-def: $vgpr2
                                        ; implicit-def: $vgpr6
; %bb.8:
	s_or_saveexec_b64 s[40:41], s[2:3]
	s_load_dwordx4 s[24:27], s[4:5], 0x68
	v_mov_b32_e32 v40, s19
	s_mul_i32 s7, s7, s18
	v_ashrrev_i32_e32 v13, 31, v12
	v_lshlrev_b32_e32 v11, 3, v16
	s_xor_b64 exec, exec, s[40:41]
	s_cbranch_execz .LBB344_254
; %bb.9:
	v_bfe_u32 v7, v0, 3, 3
	s_ashr_i32 s2, s7, 31
	s_add_u32 s3, s12, s7
	v_lshlrev_b32_e32 v3, 4, v7
	s_addc_u32 s2, s13, s2
	v_add_co_u32_e32 v4, vcc, s3, v3
	v_mbcnt_hi_u32_b32 v3, -1, v6
	v_mov_b32_e32 v5, s2
	v_and_b32_e32 v6, 64, v3
	v_addc_co_u32_e32 v5, vcc, 0, v5, vcc
	v_add_u32_e32 v14, 64, v6
	v_xor_b32_e32 v6, 4, v3
	v_cmp_lt_i32_e32 vcc, v6, v14
	v_cndmask_b32_e32 v6, v3, v6, vcc
	v_lshlrev_b32_e32 v41, 2, v6
	v_xor_b32_e32 v6, 2, v3
	v_cmp_lt_i32_e32 vcc, v6, v14
	v_cndmask_b32_e32 v6, v3, v6, vcc
	v_lshlrev_b32_e32 v42, 2, v6
	v_xor_b32_e32 v6, 1, v3
	v_mul_u32_u24_e32 v8, 48, v2
	v_cmp_lt_i32_e32 vcc, v6, v14
	ds_read_b128 v[20:23], v8
	ds_read_b128 v[28:31], v8 offset:16
	ds_read_b128 v[36:39], v8 offset:32
	v_cndmask_b32_e32 v6, v3, v6, vcc
	v_lshlrev_b32_e32 v43, 2, v6
	s_waitcnt lgkmcnt(0)
	s_load_dword s47, s[24:25], 0x0
	s_sub_i32 s48, 1, s35
	v_lshlrev_b32_e32 v6, 2, v7
	s_lshl_b64 s[4:5], s[38:39], 2
	v_lshl_or_b32 v6, v16, 5, v6
	s_add_u32 s4, s36, s4
	v_add3_u32 v44, s44, v11, v7
	v_add_u32_e32 v45, 0x190, v6
	v_lshlrev_b64 v[6:7], 2, v[12:13]
	s_addc_u32 s5, s37, s5
	v_mov_b32_e32 v8, s5
	v_add_co_u32_e64 v6, s[4:5], s4, v6
	s_mov_b32 s46, s17
	v_mov_b32_e32 v1, 0
	v_lshlrev_b32_e32 v15, 16, v20
	v_and_b32_e32 v17, 0xffff0000, v20
	v_lshlrev_b32_e32 v18, 16, v21
	v_and_b32_e32 v19, 0xffff0000, v21
	;; [unrolled: 2-line block ×12, first 2 shown]
	v_cmp_eq_u32_e32 vcc, 0, v2
	v_cmp_neq_f32_e64 s[2:3], s10, 0
	v_addc_co_u32_e64 v7, s[4:5], v8, v7, s[4:5]
	s_mov_b64 s[12:13], 0
	v_mov_b32_e32 v40, 0xff7fffff
	s_movk_i32 s49, 0x80
	s_movk_i32 s50, 0x7f
	s_mov_b32 s51, 0x7f800000
	s_movk_i32 s52, 0x7fff
	v_bfrev_b32_e32 v46, 60
	v_mov_b32_e32 v47, v12
	s_branch .LBB344_11
.LBB344_10:                             ;   in Loop: Header=BB344_11 Depth=1
	s_or_b64 exec, exec, s[18:19]
	v_add_u32_e32 v47, 2, v47
	v_cmp_le_i32_e64 s[4:5], s31, v47
	s_or_b64 s[12:13], s[4:5], s[12:13]
	v_add_co_u32_e64 v6, s[4:5], 8, v6
	v_add_u32_e32 v44, 16, v44
	v_add_u32_e32 v45, 64, v45
	v_addc_co_u32_e64 v7, s[4:5], 0, v7, s[4:5]
	s_andn2_b64 exec, exec, s[12:13]
	s_cbranch_execz .LBB344_253
.LBB344_11:                             ; =>This Inner Loop Header: Depth=1
	global_load_dword v8, v[6:7], off
	v_mov_b32_e32 v49, 0
	s_waitcnt vmcnt(0) lgkmcnt(0)
	v_mad_i64_i32 v[8:9], s[4:5], v8, s46, v[4:5]
	v_add_co_u32_e64 v8, s[4:5], v8, v2
	v_addc_co_u32_e64 v9, s[4:5], 0, v9, s[4:5]
	global_load_ubyte v48, v[8:9], off
	s_waitcnt vmcnt(0)
	v_cmp_ne_u16_e64 s[4:5], 0, v48
	s_and_saveexec_b64 s[18:19], s[4:5]
	s_cbranch_execz .LBB344_17
; %bb.12:                               ;   in Loop: Header=BB344_11 Depth=1
	v_cmp_ne_u16_e64 s[4:5], s49, v48
	v_bfrev_b32_e32 v49, 1
	s_and_saveexec_b64 s[24:25], s[4:5]
	s_cbranch_execz .LBB344_16
; %bb.13:                               ;   in Loop: Header=BB344_11 Depth=1
	v_and_b32_e32 v10, 0xffff, v48
	v_and_b32_e32 v50, 0x7f, v10
	v_cmp_ne_u32_e64 s[4:5], s50, v50
	v_mov_b32_e32 v49, 0x7f800001
	s_and_saveexec_b64 s[42:43], s[4:5]
	s_cbranch_execz .LBB344_15
; %bb.14:                               ;   in Loop: Header=BB344_11 Depth=1
	v_and_b32_e32 v49, 7, v10
	v_ffbh_u32_e32 v52, v49
	v_min_u32_e32 v54, 32, v52
	v_subrev_u32_e32 v52, 28, v54
	v_lshlrev_b64 v[52:53], v52, v[10:11]
	v_lshrrev_b32_e32 v51, 3, v50
	v_sub_u32_e32 v10, 29, v54
	v_and_b32_e32 v52, 7, v52
	v_cmp_gt_u32_e64 s[4:5], 8, v50
	v_cndmask_b32_e64 v10, v51, v10, s[4:5]
	v_cndmask_b32_e64 v49, v49, v52, s[4:5]
	v_lshlrev_b32_e32 v48, 24, v48
	v_lshlrev_b32_e32 v49, 20, v49
	v_and_b32_e32 v48, 0x80000000, v48
	v_lshl_add_u32 v10, v10, 23, v46
	v_or3_b32 v49, v48, v10, v49
.LBB344_15:                             ;   in Loop: Header=BB344_11 Depth=1
	s_or_b64 exec, exec, s[42:43]
.LBB344_16:                             ;   in Loop: Header=BB344_11 Depth=1
	s_or_b64 exec, exec, s[24:25]
.LBB344_17:                             ;   in Loop: Header=BB344_11 Depth=1
	s_or_b64 exec, exec, s[18:19]
	s_waitcnt lgkmcnt(0)
	v_mul_f32_e32 v10, s47, v49
	v_and_b32_e32 v48, 0x7f800000, v10
	v_cmp_ne_u32_e64 s[4:5], s51, v48
                                        ; implicit-def: $vgpr48
	s_and_saveexec_b64 s[18:19], s[4:5]
	s_xor_b64 s[4:5], exec, s[18:19]
; %bb.18:                               ;   in Loop: Header=BB344_11 Depth=1
	v_bfe_u32 v48, v10, 16, 1
	v_add3_u32 v48, v10, v48, s52
                                        ; implicit-def: $vgpr10
; %bb.19:                               ;   in Loop: Header=BB344_11 Depth=1
	s_andn2_saveexec_b64 s[18:19], s[4:5]
; %bb.20:                               ;   in Loop: Header=BB344_11 Depth=1
	v_or_b32_e32 v48, 0x10000, v10
	v_cmp_eq_u32_sdwa s[4:5], v10, v1 src0_sel:WORD_0 src1_sel:DWORD
	v_cndmask_b32_e64 v48, v48, v10, s[4:5]
; %bb.21:                               ;   in Loop: Header=BB344_11 Depth=1
	s_or_b64 exec, exec, s[18:19]
	global_load_ubyte v49, v[8:9], off offset:8
	v_mov_b32_e32 v50, 0
	s_waitcnt vmcnt(0)
	v_cmp_ne_u16_e64 s[4:5], 0, v49
	s_and_saveexec_b64 s[18:19], s[4:5]
	s_cbranch_execz .LBB344_27
; %bb.22:                               ;   in Loop: Header=BB344_11 Depth=1
	v_cmp_ne_u16_e64 s[4:5], s49, v49
	v_bfrev_b32_e32 v50, 1
	s_and_saveexec_b64 s[24:25], s[4:5]
	s_cbranch_execz .LBB344_26
; %bb.23:                               ;   in Loop: Header=BB344_11 Depth=1
	v_and_b32_e32 v10, 0xffff, v49
	v_and_b32_e32 v51, 0x7f, v10
	v_cmp_ne_u32_e64 s[4:5], s50, v51
	v_mov_b32_e32 v50, 0x7f800001
	s_and_saveexec_b64 s[42:43], s[4:5]
	s_cbranch_execz .LBB344_25
; %bb.24:                               ;   in Loop: Header=BB344_11 Depth=1
	v_and_b32_e32 v50, 7, v10
	v_ffbh_u32_e32 v52, v50
	v_min_u32_e32 v55, 32, v52
	v_subrev_u32_e32 v52, 28, v55
	v_lshlrev_b64 v[52:53], v52, v[10:11]
	v_lshrrev_b32_e32 v54, 3, v51
	v_sub_u32_e32 v10, 29, v55
	v_and_b32_e32 v52, 7, v52
	v_cmp_gt_u32_e64 s[4:5], 8, v51
	v_cndmask_b32_e64 v10, v54, v10, s[4:5]
	v_cndmask_b32_e64 v50, v50, v52, s[4:5]
	v_lshlrev_b32_e32 v49, 24, v49
	v_lshlrev_b32_e32 v50, 20, v50
	v_and_b32_e32 v49, 0x80000000, v49
	v_lshl_add_u32 v10, v10, 23, v46
	v_or3_b32 v50, v49, v10, v50
.LBB344_25:                             ;   in Loop: Header=BB344_11 Depth=1
	s_or_b64 exec, exec, s[42:43]
.LBB344_26:                             ;   in Loop: Header=BB344_11 Depth=1
	s_or_b64 exec, exec, s[24:25]
.LBB344_27:                             ;   in Loop: Header=BB344_11 Depth=1
	s_or_b64 exec, exec, s[18:19]
	v_mul_f32_e32 v10, s47, v50
	v_and_b32_e32 v49, 0x7f800000, v10
	v_cmp_ne_u32_e64 s[4:5], s51, v49
                                        ; implicit-def: $vgpr49
	s_and_saveexec_b64 s[18:19], s[4:5]
	s_xor_b64 s[4:5], exec, s[18:19]
; %bb.28:                               ;   in Loop: Header=BB344_11 Depth=1
	v_bfe_u32 v49, v10, 16, 1
	v_add3_u32 v49, v10, v49, s52
                                        ; implicit-def: $vgpr10
; %bb.29:                               ;   in Loop: Header=BB344_11 Depth=1
	s_andn2_saveexec_b64 s[18:19], s[4:5]
; %bb.30:                               ;   in Loop: Header=BB344_11 Depth=1
	v_or_b32_e32 v49, 0x10000, v10
	v_cmp_eq_u32_sdwa s[4:5], v10, v1 src0_sel:WORD_0 src1_sel:DWORD
	v_cndmask_b32_e64 v49, v49, v10, s[4:5]
; %bb.31:                               ;   in Loop: Header=BB344_11 Depth=1
	s_or_b64 exec, exec, s[18:19]
	global_load_ubyte v50, v[8:9], off offset:128
	v_mov_b32_e32 v51, 0
	s_waitcnt vmcnt(0)
	v_cmp_ne_u16_e64 s[4:5], 0, v50
	s_and_saveexec_b64 s[18:19], s[4:5]
	s_cbranch_execz .LBB344_37
; %bb.32:                               ;   in Loop: Header=BB344_11 Depth=1
	v_cmp_ne_u16_e64 s[4:5], s49, v50
	v_bfrev_b32_e32 v51, 1
	s_and_saveexec_b64 s[24:25], s[4:5]
	s_cbranch_execz .LBB344_36
; %bb.33:                               ;   in Loop: Header=BB344_11 Depth=1
	v_and_b32_e32 v10, 0xffff, v50
	v_and_b32_e32 v52, 0x7f, v10
	v_cmp_ne_u32_e64 s[4:5], s50, v52
	v_mov_b32_e32 v51, 0x7f800001
	s_and_saveexec_b64 s[42:43], s[4:5]
	s_cbranch_execz .LBB344_35
; %bb.34:                               ;   in Loop: Header=BB344_11 Depth=1
	v_and_b32_e32 v51, 7, v10
	v_ffbh_u32_e32 v54, v51
	v_min_u32_e32 v56, 32, v54
	v_subrev_u32_e32 v54, 28, v56
	v_lshlrev_b64 v[54:55], v54, v[10:11]
	v_lshrrev_b32_e32 v53, 3, v52
	v_sub_u32_e32 v10, 29, v56
	v_and_b32_e32 v54, 7, v54
	v_cmp_gt_u32_e64 s[4:5], 8, v52
	v_cndmask_b32_e64 v10, v53, v10, s[4:5]
	v_cndmask_b32_e64 v51, v51, v54, s[4:5]
	v_lshlrev_b32_e32 v50, 24, v50
	v_lshlrev_b32_e32 v51, 20, v51
	v_and_b32_e32 v50, 0x80000000, v50
	v_lshl_add_u32 v10, v10, 23, v46
	v_or3_b32 v51, v50, v10, v51
.LBB344_35:                             ;   in Loop: Header=BB344_11 Depth=1
	s_or_b64 exec, exec, s[42:43]
.LBB344_36:                             ;   in Loop: Header=BB344_11 Depth=1
	s_or_b64 exec, exec, s[24:25]
.LBB344_37:                             ;   in Loop: Header=BB344_11 Depth=1
	s_or_b64 exec, exec, s[18:19]
	v_mul_f32_e32 v10, s47, v51
	v_and_b32_e32 v50, 0x7f800000, v10
	v_cmp_ne_u32_e64 s[4:5], s51, v50
                                        ; implicit-def: $vgpr50
	s_and_saveexec_b64 s[18:19], s[4:5]
	s_xor_b64 s[4:5], exec, s[18:19]
; %bb.38:                               ;   in Loop: Header=BB344_11 Depth=1
	v_bfe_u32 v50, v10, 16, 1
	v_add3_u32 v50, v10, v50, s52
                                        ; implicit-def: $vgpr10
; %bb.39:                               ;   in Loop: Header=BB344_11 Depth=1
	s_andn2_saveexec_b64 s[18:19], s[4:5]
; %bb.40:                               ;   in Loop: Header=BB344_11 Depth=1
	v_or_b32_e32 v50, 0x10000, v10
	v_cmp_eq_u32_sdwa s[4:5], v10, v1 src0_sel:WORD_0 src1_sel:DWORD
	v_cndmask_b32_e64 v50, v50, v10, s[4:5]
; %bb.41:                               ;   in Loop: Header=BB344_11 Depth=1
	s_or_b64 exec, exec, s[18:19]
	global_load_ubyte v51, v[8:9], off offset:136
	v_mov_b32_e32 v52, 0
	s_waitcnt vmcnt(0)
	v_cmp_ne_u16_e64 s[4:5], 0, v51
	s_and_saveexec_b64 s[18:19], s[4:5]
	s_cbranch_execz .LBB344_47
; %bb.42:                               ;   in Loop: Header=BB344_11 Depth=1
	v_cmp_ne_u16_e64 s[4:5], s49, v51
	v_bfrev_b32_e32 v52, 1
	s_and_saveexec_b64 s[24:25], s[4:5]
	s_cbranch_execz .LBB344_46
; %bb.43:                               ;   in Loop: Header=BB344_11 Depth=1
	v_and_b32_e32 v10, 0xffff, v51
	v_and_b32_e32 v53, 0x7f, v10
	v_cmp_ne_u32_e64 s[4:5], s50, v53
	v_mov_b32_e32 v52, 0x7f800001
	s_and_saveexec_b64 s[42:43], s[4:5]
	s_cbranch_execz .LBB344_45
; %bb.44:                               ;   in Loop: Header=BB344_11 Depth=1
	v_and_b32_e32 v52, 7, v10
	v_ffbh_u32_e32 v54, v52
	v_min_u32_e32 v57, 32, v54
	v_subrev_u32_e32 v54, 28, v57
	v_lshlrev_b64 v[54:55], v54, v[10:11]
	v_lshrrev_b32_e32 v56, 3, v53
	v_sub_u32_e32 v10, 29, v57
	v_and_b32_e32 v54, 7, v54
	v_cmp_gt_u32_e64 s[4:5], 8, v53
	v_cndmask_b32_e64 v10, v56, v10, s[4:5]
	v_cndmask_b32_e64 v52, v52, v54, s[4:5]
	v_lshlrev_b32_e32 v51, 24, v51
	v_lshlrev_b32_e32 v52, 20, v52
	v_and_b32_e32 v51, 0x80000000, v51
	v_lshl_add_u32 v10, v10, 23, v46
	v_or3_b32 v52, v51, v10, v52
.LBB344_45:                             ;   in Loop: Header=BB344_11 Depth=1
	s_or_b64 exec, exec, s[42:43]
.LBB344_46:                             ;   in Loop: Header=BB344_11 Depth=1
	s_or_b64 exec, exec, s[24:25]
.LBB344_47:                             ;   in Loop: Header=BB344_11 Depth=1
	s_or_b64 exec, exec, s[18:19]
	v_mul_f32_e32 v10, s47, v52
	v_and_b32_e32 v51, 0x7f800000, v10
	v_cmp_ne_u32_e64 s[4:5], s51, v51
                                        ; implicit-def: $vgpr51
	s_and_saveexec_b64 s[18:19], s[4:5]
	s_xor_b64 s[4:5], exec, s[18:19]
; %bb.48:                               ;   in Loop: Header=BB344_11 Depth=1
	v_bfe_u32 v51, v10, 16, 1
	v_add3_u32 v51, v10, v51, s52
                                        ; implicit-def: $vgpr10
; %bb.49:                               ;   in Loop: Header=BB344_11 Depth=1
	s_andn2_saveexec_b64 s[18:19], s[4:5]
; %bb.50:                               ;   in Loop: Header=BB344_11 Depth=1
	v_or_b32_e32 v51, 0x10000, v10
	v_cmp_eq_u32_sdwa s[4:5], v10, v1 src0_sel:WORD_0 src1_sel:DWORD
	v_cndmask_b32_e64 v51, v51, v10, s[4:5]
; %bb.51:                               ;   in Loop: Header=BB344_11 Depth=1
	s_or_b64 exec, exec, s[18:19]
	global_load_ubyte v52, v[8:9], off offset:256
	v_mov_b32_e32 v53, 0
	s_waitcnt vmcnt(0)
	v_cmp_ne_u16_e64 s[4:5], 0, v52
	s_and_saveexec_b64 s[18:19], s[4:5]
	s_cbranch_execz .LBB344_57
; %bb.52:                               ;   in Loop: Header=BB344_11 Depth=1
	v_cmp_ne_u16_e64 s[4:5], s49, v52
	v_bfrev_b32_e32 v53, 1
	s_and_saveexec_b64 s[24:25], s[4:5]
	s_cbranch_execz .LBB344_56
; %bb.53:                               ;   in Loop: Header=BB344_11 Depth=1
	v_and_b32_e32 v10, 0xffff, v52
	v_and_b32_e32 v54, 0x7f, v10
	v_cmp_ne_u32_e64 s[4:5], s50, v54
	v_mov_b32_e32 v53, 0x7f800001
	s_and_saveexec_b64 s[42:43], s[4:5]
	s_cbranch_execz .LBB344_55
; %bb.54:                               ;   in Loop: Header=BB344_11 Depth=1
	v_and_b32_e32 v53, 7, v10
	v_ffbh_u32_e32 v56, v53
	v_min_u32_e32 v58, 32, v56
	v_subrev_u32_e32 v56, 28, v58
	v_lshlrev_b64 v[56:57], v56, v[10:11]
	v_lshrrev_b32_e32 v55, 3, v54
	v_sub_u32_e32 v10, 29, v58
	v_and_b32_e32 v56, 7, v56
	v_cmp_gt_u32_e64 s[4:5], 8, v54
	v_cndmask_b32_e64 v10, v55, v10, s[4:5]
	v_cndmask_b32_e64 v53, v53, v56, s[4:5]
	v_lshlrev_b32_e32 v52, 24, v52
	v_lshlrev_b32_e32 v53, 20, v53
	v_and_b32_e32 v52, 0x80000000, v52
	v_lshl_add_u32 v10, v10, 23, v46
	v_or3_b32 v53, v52, v10, v53
.LBB344_55:                             ;   in Loop: Header=BB344_11 Depth=1
	s_or_b64 exec, exec, s[42:43]
.LBB344_56:                             ;   in Loop: Header=BB344_11 Depth=1
	s_or_b64 exec, exec, s[24:25]
.LBB344_57:                             ;   in Loop: Header=BB344_11 Depth=1
	s_or_b64 exec, exec, s[18:19]
	v_mul_f32_e32 v10, s47, v53
	v_and_b32_e32 v52, 0x7f800000, v10
	v_cmp_ne_u32_e64 s[4:5], s51, v52
                                        ; implicit-def: $vgpr52
	s_and_saveexec_b64 s[18:19], s[4:5]
	s_xor_b64 s[4:5], exec, s[18:19]
; %bb.58:                               ;   in Loop: Header=BB344_11 Depth=1
	v_bfe_u32 v52, v10, 16, 1
	v_add3_u32 v52, v10, v52, s52
                                        ; implicit-def: $vgpr10
; %bb.59:                               ;   in Loop: Header=BB344_11 Depth=1
	s_andn2_saveexec_b64 s[18:19], s[4:5]
; %bb.60:                               ;   in Loop: Header=BB344_11 Depth=1
	v_or_b32_e32 v52, 0x10000, v10
	v_cmp_eq_u32_sdwa s[4:5], v10, v1 src0_sel:WORD_0 src1_sel:DWORD
	v_cndmask_b32_e64 v52, v52, v10, s[4:5]
; %bb.61:                               ;   in Loop: Header=BB344_11 Depth=1
	s_or_b64 exec, exec, s[18:19]
	global_load_ubyte v53, v[8:9], off offset:264
	v_mov_b32_e32 v54, 0
	s_waitcnt vmcnt(0)
	v_cmp_ne_u16_e64 s[4:5], 0, v53
	s_and_saveexec_b64 s[18:19], s[4:5]
	s_cbranch_execz .LBB344_67
; %bb.62:                               ;   in Loop: Header=BB344_11 Depth=1
	v_cmp_ne_u16_e64 s[4:5], s49, v53
	v_bfrev_b32_e32 v54, 1
	s_and_saveexec_b64 s[24:25], s[4:5]
	s_cbranch_execz .LBB344_66
; %bb.63:                               ;   in Loop: Header=BB344_11 Depth=1
	v_and_b32_e32 v10, 0xffff, v53
	v_and_b32_e32 v55, 0x7f, v10
	v_cmp_ne_u32_e64 s[4:5], s50, v55
	v_mov_b32_e32 v54, 0x7f800001
	s_and_saveexec_b64 s[42:43], s[4:5]
	s_cbranch_execz .LBB344_65
; %bb.64:                               ;   in Loop: Header=BB344_11 Depth=1
	v_and_b32_e32 v54, 7, v10
	v_ffbh_u32_e32 v56, v54
	v_min_u32_e32 v59, 32, v56
	v_subrev_u32_e32 v56, 28, v59
	v_lshlrev_b64 v[56:57], v56, v[10:11]
	v_lshrrev_b32_e32 v58, 3, v55
	v_sub_u32_e32 v10, 29, v59
	v_and_b32_e32 v56, 7, v56
	v_cmp_gt_u32_e64 s[4:5], 8, v55
	v_cndmask_b32_e64 v10, v58, v10, s[4:5]
	v_cndmask_b32_e64 v54, v54, v56, s[4:5]
	v_lshlrev_b32_e32 v53, 24, v53
	v_lshlrev_b32_e32 v54, 20, v54
	v_and_b32_e32 v53, 0x80000000, v53
	v_lshl_add_u32 v10, v10, 23, v46
	v_or3_b32 v54, v53, v10, v54
.LBB344_65:                             ;   in Loop: Header=BB344_11 Depth=1
	s_or_b64 exec, exec, s[42:43]
.LBB344_66:                             ;   in Loop: Header=BB344_11 Depth=1
	s_or_b64 exec, exec, s[24:25]
.LBB344_67:                             ;   in Loop: Header=BB344_11 Depth=1
	s_or_b64 exec, exec, s[18:19]
	v_mul_f32_e32 v10, s47, v54
	v_and_b32_e32 v53, 0x7f800000, v10
	v_cmp_ne_u32_e64 s[4:5], s51, v53
                                        ; implicit-def: $vgpr53
	s_and_saveexec_b64 s[18:19], s[4:5]
	s_xor_b64 s[4:5], exec, s[18:19]
; %bb.68:                               ;   in Loop: Header=BB344_11 Depth=1
	v_bfe_u32 v53, v10, 16, 1
	v_add3_u32 v53, v10, v53, s52
                                        ; implicit-def: $vgpr10
; %bb.69:                               ;   in Loop: Header=BB344_11 Depth=1
	s_andn2_saveexec_b64 s[18:19], s[4:5]
; %bb.70:                               ;   in Loop: Header=BB344_11 Depth=1
	v_or_b32_e32 v53, 0x10000, v10
	v_cmp_eq_u32_sdwa s[4:5], v10, v1 src0_sel:WORD_0 src1_sel:DWORD
	v_cndmask_b32_e64 v53, v53, v10, s[4:5]
; %bb.71:                               ;   in Loop: Header=BB344_11 Depth=1
	s_or_b64 exec, exec, s[18:19]
	global_load_ubyte v54, v[8:9], off offset:384
	v_mov_b32_e32 v55, 0
	s_waitcnt vmcnt(0)
	v_cmp_ne_u16_e64 s[4:5], 0, v54
	s_and_saveexec_b64 s[18:19], s[4:5]
	s_cbranch_execz .LBB344_77
; %bb.72:                               ;   in Loop: Header=BB344_11 Depth=1
	v_cmp_ne_u16_e64 s[4:5], s49, v54
	v_bfrev_b32_e32 v55, 1
	s_and_saveexec_b64 s[24:25], s[4:5]
	s_cbranch_execz .LBB344_76
; %bb.73:                               ;   in Loop: Header=BB344_11 Depth=1
	v_and_b32_e32 v10, 0xffff, v54
	v_and_b32_e32 v56, 0x7f, v10
	v_cmp_ne_u32_e64 s[4:5], s50, v56
	v_mov_b32_e32 v55, 0x7f800001
	s_and_saveexec_b64 s[42:43], s[4:5]
	s_cbranch_execz .LBB344_75
; %bb.74:                               ;   in Loop: Header=BB344_11 Depth=1
	v_and_b32_e32 v55, 7, v10
	v_ffbh_u32_e32 v58, v55
	v_min_u32_e32 v60, 32, v58
	v_subrev_u32_e32 v58, 28, v60
	v_lshlrev_b64 v[58:59], v58, v[10:11]
	v_lshrrev_b32_e32 v57, 3, v56
	v_sub_u32_e32 v10, 29, v60
	v_and_b32_e32 v58, 7, v58
	v_cmp_gt_u32_e64 s[4:5], 8, v56
	v_cndmask_b32_e64 v10, v57, v10, s[4:5]
	v_cndmask_b32_e64 v55, v55, v58, s[4:5]
	v_lshlrev_b32_e32 v54, 24, v54
	v_lshlrev_b32_e32 v55, 20, v55
	v_and_b32_e32 v54, 0x80000000, v54
	v_lshl_add_u32 v10, v10, 23, v46
	v_or3_b32 v55, v54, v10, v55
.LBB344_75:                             ;   in Loop: Header=BB344_11 Depth=1
	s_or_b64 exec, exec, s[42:43]
.LBB344_76:                             ;   in Loop: Header=BB344_11 Depth=1
	s_or_b64 exec, exec, s[24:25]
.LBB344_77:                             ;   in Loop: Header=BB344_11 Depth=1
	s_or_b64 exec, exec, s[18:19]
	v_mul_f32_e32 v10, s47, v55
	v_and_b32_e32 v54, 0x7f800000, v10
	v_cmp_ne_u32_e64 s[4:5], s51, v54
                                        ; implicit-def: $vgpr54
	s_and_saveexec_b64 s[18:19], s[4:5]
	s_xor_b64 s[4:5], exec, s[18:19]
; %bb.78:                               ;   in Loop: Header=BB344_11 Depth=1
	v_bfe_u32 v54, v10, 16, 1
	v_add3_u32 v54, v10, v54, s52
                                        ; implicit-def: $vgpr10
; %bb.79:                               ;   in Loop: Header=BB344_11 Depth=1
	s_andn2_saveexec_b64 s[18:19], s[4:5]
; %bb.80:                               ;   in Loop: Header=BB344_11 Depth=1
	v_or_b32_e32 v54, 0x10000, v10
	v_cmp_eq_u32_sdwa s[4:5], v10, v1 src0_sel:WORD_0 src1_sel:DWORD
	v_cndmask_b32_e64 v54, v54, v10, s[4:5]
; %bb.81:                               ;   in Loop: Header=BB344_11 Depth=1
	s_or_b64 exec, exec, s[18:19]
	global_load_ubyte v55, v[8:9], off offset:392
	v_mov_b32_e32 v56, 0
	s_waitcnt vmcnt(0)
	v_cmp_ne_u16_e64 s[4:5], 0, v55
	s_and_saveexec_b64 s[18:19], s[4:5]
	s_cbranch_execz .LBB344_87
; %bb.82:                               ;   in Loop: Header=BB344_11 Depth=1
	v_cmp_ne_u16_e64 s[4:5], s49, v55
	v_bfrev_b32_e32 v56, 1
	s_and_saveexec_b64 s[24:25], s[4:5]
	s_cbranch_execz .LBB344_86
; %bb.83:                               ;   in Loop: Header=BB344_11 Depth=1
	v_and_b32_e32 v10, 0xffff, v55
	v_and_b32_e32 v57, 0x7f, v10
	v_cmp_ne_u32_e64 s[4:5], s50, v57
	v_mov_b32_e32 v56, 0x7f800001
	s_and_saveexec_b64 s[42:43], s[4:5]
	s_cbranch_execz .LBB344_85
; %bb.84:                               ;   in Loop: Header=BB344_11 Depth=1
	v_and_b32_e32 v56, 7, v10
	v_ffbh_u32_e32 v58, v56
	v_min_u32_e32 v61, 32, v58
	v_subrev_u32_e32 v58, 28, v61
	v_lshlrev_b64 v[58:59], v58, v[10:11]
	v_lshrrev_b32_e32 v60, 3, v57
	v_sub_u32_e32 v10, 29, v61
	v_and_b32_e32 v58, 7, v58
	v_cmp_gt_u32_e64 s[4:5], 8, v57
	v_cndmask_b32_e64 v10, v60, v10, s[4:5]
	v_cndmask_b32_e64 v56, v56, v58, s[4:5]
	v_lshlrev_b32_e32 v55, 24, v55
	v_lshlrev_b32_e32 v56, 20, v56
	v_and_b32_e32 v55, 0x80000000, v55
	v_lshl_add_u32 v10, v10, 23, v46
	v_or3_b32 v56, v55, v10, v56
.LBB344_85:                             ;   in Loop: Header=BB344_11 Depth=1
	s_or_b64 exec, exec, s[42:43]
.LBB344_86:                             ;   in Loop: Header=BB344_11 Depth=1
	s_or_b64 exec, exec, s[24:25]
.LBB344_87:                             ;   in Loop: Header=BB344_11 Depth=1
	s_or_b64 exec, exec, s[18:19]
	v_mul_f32_e32 v10, s47, v56
	v_and_b32_e32 v55, 0x7f800000, v10
	v_cmp_ne_u32_e64 s[4:5], s51, v55
                                        ; implicit-def: $vgpr55
	s_and_saveexec_b64 s[18:19], s[4:5]
	s_xor_b64 s[4:5], exec, s[18:19]
; %bb.88:                               ;   in Loop: Header=BB344_11 Depth=1
	v_bfe_u32 v55, v10, 16, 1
	v_add3_u32 v55, v10, v55, s52
                                        ; implicit-def: $vgpr10
; %bb.89:                               ;   in Loop: Header=BB344_11 Depth=1
	s_andn2_saveexec_b64 s[18:19], s[4:5]
; %bb.90:                               ;   in Loop: Header=BB344_11 Depth=1
	v_or_b32_e32 v55, 0x10000, v10
	v_cmp_eq_u32_sdwa s[4:5], v10, v1 src0_sel:WORD_0 src1_sel:DWORD
	v_cndmask_b32_e64 v55, v55, v10, s[4:5]
; %bb.91:                               ;   in Loop: Header=BB344_11 Depth=1
	s_or_b64 exec, exec, s[18:19]
	global_load_ubyte v56, v[8:9], off offset:512
	v_mov_b32_e32 v57, 0
	s_waitcnt vmcnt(0)
	v_cmp_ne_u16_e64 s[4:5], 0, v56
	s_and_saveexec_b64 s[18:19], s[4:5]
	s_cbranch_execz .LBB344_97
; %bb.92:                               ;   in Loop: Header=BB344_11 Depth=1
	v_cmp_ne_u16_e64 s[4:5], s49, v56
	v_bfrev_b32_e32 v57, 1
	s_and_saveexec_b64 s[24:25], s[4:5]
	s_cbranch_execz .LBB344_96
; %bb.93:                               ;   in Loop: Header=BB344_11 Depth=1
	v_and_b32_e32 v10, 0xffff, v56
	v_and_b32_e32 v58, 0x7f, v10
	v_cmp_ne_u32_e64 s[4:5], s50, v58
	v_mov_b32_e32 v57, 0x7f800001
	s_and_saveexec_b64 s[42:43], s[4:5]
	s_cbranch_execz .LBB344_95
; %bb.94:                               ;   in Loop: Header=BB344_11 Depth=1
	v_and_b32_e32 v57, 7, v10
	v_ffbh_u32_e32 v60, v57
	v_min_u32_e32 v62, 32, v60
	v_subrev_u32_e32 v60, 28, v62
	v_lshlrev_b64 v[60:61], v60, v[10:11]
	v_lshrrev_b32_e32 v59, 3, v58
	v_sub_u32_e32 v10, 29, v62
	v_and_b32_e32 v60, 7, v60
	v_cmp_gt_u32_e64 s[4:5], 8, v58
	v_cndmask_b32_e64 v10, v59, v10, s[4:5]
	v_cndmask_b32_e64 v57, v57, v60, s[4:5]
	v_lshlrev_b32_e32 v56, 24, v56
	v_lshlrev_b32_e32 v57, 20, v57
	v_and_b32_e32 v56, 0x80000000, v56
	v_lshl_add_u32 v10, v10, 23, v46
	v_or3_b32 v57, v56, v10, v57
.LBB344_95:                             ;   in Loop: Header=BB344_11 Depth=1
	s_or_b64 exec, exec, s[42:43]
.LBB344_96:                             ;   in Loop: Header=BB344_11 Depth=1
	s_or_b64 exec, exec, s[24:25]
.LBB344_97:                             ;   in Loop: Header=BB344_11 Depth=1
	s_or_b64 exec, exec, s[18:19]
	v_mul_f32_e32 v10, s47, v57
	v_and_b32_e32 v56, 0x7f800000, v10
	v_cmp_ne_u32_e64 s[4:5], s51, v56
                                        ; implicit-def: $vgpr56
	s_and_saveexec_b64 s[18:19], s[4:5]
	s_xor_b64 s[4:5], exec, s[18:19]
; %bb.98:                               ;   in Loop: Header=BB344_11 Depth=1
	v_bfe_u32 v56, v10, 16, 1
	v_add3_u32 v56, v10, v56, s52
                                        ; implicit-def: $vgpr10
; %bb.99:                               ;   in Loop: Header=BB344_11 Depth=1
	s_andn2_saveexec_b64 s[18:19], s[4:5]
; %bb.100:                              ;   in Loop: Header=BB344_11 Depth=1
	v_or_b32_e32 v56, 0x10000, v10
	v_cmp_eq_u32_sdwa s[4:5], v10, v1 src0_sel:WORD_0 src1_sel:DWORD
	v_cndmask_b32_e64 v56, v56, v10, s[4:5]
; %bb.101:                              ;   in Loop: Header=BB344_11 Depth=1
	s_or_b64 exec, exec, s[18:19]
	global_load_ubyte v57, v[8:9], off offset:520
	v_mov_b32_e32 v58, 0
	s_waitcnt vmcnt(0)
	v_cmp_ne_u16_e64 s[4:5], 0, v57
	s_and_saveexec_b64 s[18:19], s[4:5]
	s_cbranch_execz .LBB344_107
; %bb.102:                              ;   in Loop: Header=BB344_11 Depth=1
	v_cmp_ne_u16_e64 s[4:5], s49, v57
	v_bfrev_b32_e32 v58, 1
	s_and_saveexec_b64 s[24:25], s[4:5]
	s_cbranch_execz .LBB344_106
; %bb.103:                              ;   in Loop: Header=BB344_11 Depth=1
	v_and_b32_e32 v10, 0xffff, v57
	v_and_b32_e32 v59, 0x7f, v10
	v_cmp_ne_u32_e64 s[4:5], s50, v59
	v_mov_b32_e32 v58, 0x7f800001
	s_and_saveexec_b64 s[42:43], s[4:5]
	s_cbranch_execz .LBB344_105
; %bb.104:                              ;   in Loop: Header=BB344_11 Depth=1
	v_and_b32_e32 v58, 7, v10
	v_ffbh_u32_e32 v60, v58
	v_min_u32_e32 v63, 32, v60
	v_subrev_u32_e32 v60, 28, v63
	v_lshlrev_b64 v[60:61], v60, v[10:11]
	v_lshrrev_b32_e32 v62, 3, v59
	v_sub_u32_e32 v10, 29, v63
	v_and_b32_e32 v60, 7, v60
	v_cmp_gt_u32_e64 s[4:5], 8, v59
	v_cndmask_b32_e64 v10, v62, v10, s[4:5]
	v_cndmask_b32_e64 v58, v58, v60, s[4:5]
	v_lshlrev_b32_e32 v57, 24, v57
	v_lshlrev_b32_e32 v58, 20, v58
	v_and_b32_e32 v57, 0x80000000, v57
	v_lshl_add_u32 v10, v10, 23, v46
	v_or3_b32 v58, v57, v10, v58
.LBB344_105:                            ;   in Loop: Header=BB344_11 Depth=1
	s_or_b64 exec, exec, s[42:43]
.LBB344_106:                            ;   in Loop: Header=BB344_11 Depth=1
	s_or_b64 exec, exec, s[24:25]
.LBB344_107:                            ;   in Loop: Header=BB344_11 Depth=1
	s_or_b64 exec, exec, s[18:19]
	v_mul_f32_e32 v10, s47, v58
	v_and_b32_e32 v57, 0x7f800000, v10
	v_cmp_ne_u32_e64 s[4:5], s51, v57
                                        ; implicit-def: $vgpr57
	s_and_saveexec_b64 s[18:19], s[4:5]
	s_xor_b64 s[4:5], exec, s[18:19]
; %bb.108:                              ;   in Loop: Header=BB344_11 Depth=1
	v_bfe_u32 v57, v10, 16, 1
	v_add3_u32 v57, v10, v57, s52
                                        ; implicit-def: $vgpr10
; %bb.109:                              ;   in Loop: Header=BB344_11 Depth=1
	s_andn2_saveexec_b64 s[18:19], s[4:5]
; %bb.110:                              ;   in Loop: Header=BB344_11 Depth=1
	v_or_b32_e32 v57, 0x10000, v10
	v_cmp_eq_u32_sdwa s[4:5], v10, v1 src0_sel:WORD_0 src1_sel:DWORD
	v_cndmask_b32_e64 v57, v57, v10, s[4:5]
; %bb.111:                              ;   in Loop: Header=BB344_11 Depth=1
	s_or_b64 exec, exec, s[18:19]
	global_load_ubyte v58, v[8:9], off offset:640
	v_mov_b32_e32 v59, 0
	s_waitcnt vmcnt(0)
	v_cmp_ne_u16_e64 s[4:5], 0, v58
	s_and_saveexec_b64 s[18:19], s[4:5]
	s_cbranch_execz .LBB344_117
; %bb.112:                              ;   in Loop: Header=BB344_11 Depth=1
	v_cmp_ne_u16_e64 s[4:5], s49, v58
	v_bfrev_b32_e32 v59, 1
	s_and_saveexec_b64 s[24:25], s[4:5]
	s_cbranch_execz .LBB344_116
; %bb.113:                              ;   in Loop: Header=BB344_11 Depth=1
	v_and_b32_e32 v10, 0xffff, v58
	v_and_b32_e32 v60, 0x7f, v10
	v_cmp_ne_u32_e64 s[4:5], s50, v60
	v_mov_b32_e32 v59, 0x7f800001
	s_and_saveexec_b64 s[42:43], s[4:5]
	s_cbranch_execz .LBB344_115
; %bb.114:                              ;   in Loop: Header=BB344_11 Depth=1
	v_and_b32_e32 v59, 7, v10
	v_ffbh_u32_e32 v62, v59
	v_min_u32_e32 v64, 32, v62
	v_subrev_u32_e32 v62, 28, v64
	v_lshlrev_b64 v[62:63], v62, v[10:11]
	v_lshrrev_b32_e32 v61, 3, v60
	v_sub_u32_e32 v10, 29, v64
	v_and_b32_e32 v62, 7, v62
	v_cmp_gt_u32_e64 s[4:5], 8, v60
	v_cndmask_b32_e64 v10, v61, v10, s[4:5]
	v_cndmask_b32_e64 v59, v59, v62, s[4:5]
	v_lshlrev_b32_e32 v58, 24, v58
	v_lshlrev_b32_e32 v59, 20, v59
	v_and_b32_e32 v58, 0x80000000, v58
	v_lshl_add_u32 v10, v10, 23, v46
	v_or3_b32 v59, v58, v10, v59
.LBB344_115:                            ;   in Loop: Header=BB344_11 Depth=1
	s_or_b64 exec, exec, s[42:43]
.LBB344_116:                            ;   in Loop: Header=BB344_11 Depth=1
	s_or_b64 exec, exec, s[24:25]
.LBB344_117:                            ;   in Loop: Header=BB344_11 Depth=1
	s_or_b64 exec, exec, s[18:19]
	v_mul_f32_e32 v10, s47, v59
	v_and_b32_e32 v58, 0x7f800000, v10
	v_cmp_ne_u32_e64 s[4:5], s51, v58
                                        ; implicit-def: $vgpr58
	s_and_saveexec_b64 s[18:19], s[4:5]
	s_xor_b64 s[4:5], exec, s[18:19]
; %bb.118:                              ;   in Loop: Header=BB344_11 Depth=1
	v_bfe_u32 v58, v10, 16, 1
	v_add3_u32 v58, v10, v58, s52
                                        ; implicit-def: $vgpr10
; %bb.119:                              ;   in Loop: Header=BB344_11 Depth=1
	s_andn2_saveexec_b64 s[18:19], s[4:5]
; %bb.120:                              ;   in Loop: Header=BB344_11 Depth=1
	v_or_b32_e32 v58, 0x10000, v10
	v_cmp_eq_u32_sdwa s[4:5], v10, v1 src0_sel:WORD_0 src1_sel:DWORD
	v_cndmask_b32_e64 v58, v58, v10, s[4:5]
; %bb.121:                              ;   in Loop: Header=BB344_11 Depth=1
	s_or_b64 exec, exec, s[18:19]
	global_load_ubyte v59, v[8:9], off offset:648
	v_mov_b32_e32 v60, 0
	s_waitcnt vmcnt(0)
	v_cmp_ne_u16_e64 s[4:5], 0, v59
	s_and_saveexec_b64 s[18:19], s[4:5]
	s_cbranch_execz .LBB344_127
; %bb.122:                              ;   in Loop: Header=BB344_11 Depth=1
	v_cmp_ne_u16_e64 s[4:5], s49, v59
	v_bfrev_b32_e32 v60, 1
	s_and_saveexec_b64 s[24:25], s[4:5]
	s_cbranch_execz .LBB344_126
; %bb.123:                              ;   in Loop: Header=BB344_11 Depth=1
	v_and_b32_e32 v10, 0xffff, v59
	v_and_b32_e32 v61, 0x7f, v10
	v_cmp_ne_u32_e64 s[4:5], s50, v61
	v_mov_b32_e32 v60, 0x7f800001
	s_and_saveexec_b64 s[42:43], s[4:5]
	s_cbranch_execz .LBB344_125
; %bb.124:                              ;   in Loop: Header=BB344_11 Depth=1
	v_and_b32_e32 v60, 7, v10
	v_ffbh_u32_e32 v62, v60
	v_min_u32_e32 v65, 32, v62
	v_subrev_u32_e32 v62, 28, v65
	v_lshlrev_b64 v[62:63], v62, v[10:11]
	v_lshrrev_b32_e32 v64, 3, v61
	v_sub_u32_e32 v10, 29, v65
	v_and_b32_e32 v62, 7, v62
	v_cmp_gt_u32_e64 s[4:5], 8, v61
	v_cndmask_b32_e64 v10, v64, v10, s[4:5]
	v_cndmask_b32_e64 v60, v60, v62, s[4:5]
	v_lshlrev_b32_e32 v59, 24, v59
	v_lshlrev_b32_e32 v60, 20, v60
	v_and_b32_e32 v59, 0x80000000, v59
	v_lshl_add_u32 v10, v10, 23, v46
	v_or3_b32 v60, v59, v10, v60
.LBB344_125:                            ;   in Loop: Header=BB344_11 Depth=1
	s_or_b64 exec, exec, s[42:43]
.LBB344_126:                            ;   in Loop: Header=BB344_11 Depth=1
	s_or_b64 exec, exec, s[24:25]
.LBB344_127:                            ;   in Loop: Header=BB344_11 Depth=1
	s_or_b64 exec, exec, s[18:19]
	v_mul_f32_e32 v10, s47, v60
	v_and_b32_e32 v59, 0x7f800000, v10
	v_cmp_ne_u32_e64 s[4:5], s51, v59
                                        ; implicit-def: $vgpr59
	s_and_saveexec_b64 s[18:19], s[4:5]
	s_xor_b64 s[4:5], exec, s[18:19]
; %bb.128:                              ;   in Loop: Header=BB344_11 Depth=1
	v_bfe_u32 v59, v10, 16, 1
	v_add3_u32 v59, v10, v59, s52
                                        ; implicit-def: $vgpr10
; %bb.129:                              ;   in Loop: Header=BB344_11 Depth=1
	s_andn2_saveexec_b64 s[18:19], s[4:5]
; %bb.130:                              ;   in Loop: Header=BB344_11 Depth=1
	v_or_b32_e32 v59, 0x10000, v10
	v_cmp_eq_u32_sdwa s[4:5], v10, v1 src0_sel:WORD_0 src1_sel:DWORD
	v_cndmask_b32_e64 v59, v59, v10, s[4:5]
; %bb.131:                              ;   in Loop: Header=BB344_11 Depth=1
	s_or_b64 exec, exec, s[18:19]
	global_load_ubyte v60, v[8:9], off offset:768
	v_mov_b32_e32 v61, 0
	s_waitcnt vmcnt(0)
	v_cmp_ne_u16_e64 s[4:5], 0, v60
	s_and_saveexec_b64 s[18:19], s[4:5]
	s_cbranch_execz .LBB344_137
; %bb.132:                              ;   in Loop: Header=BB344_11 Depth=1
	v_cmp_ne_u16_e64 s[4:5], s49, v60
	v_bfrev_b32_e32 v61, 1
	s_and_saveexec_b64 s[24:25], s[4:5]
	s_cbranch_execz .LBB344_136
; %bb.133:                              ;   in Loop: Header=BB344_11 Depth=1
	v_and_b32_e32 v10, 0xffff, v60
	v_and_b32_e32 v62, 0x7f, v10
	v_cmp_ne_u32_e64 s[4:5], s50, v62
	v_mov_b32_e32 v61, 0x7f800001
	s_and_saveexec_b64 s[42:43], s[4:5]
	s_cbranch_execz .LBB344_135
; %bb.134:                              ;   in Loop: Header=BB344_11 Depth=1
	v_and_b32_e32 v61, 7, v10
	v_ffbh_u32_e32 v64, v61
	v_min_u32_e32 v66, 32, v64
	v_subrev_u32_e32 v64, 28, v66
	v_lshlrev_b64 v[64:65], v64, v[10:11]
	v_lshrrev_b32_e32 v63, 3, v62
	v_sub_u32_e32 v10, 29, v66
	v_and_b32_e32 v64, 7, v64
	v_cmp_gt_u32_e64 s[4:5], 8, v62
	v_cndmask_b32_e64 v10, v63, v10, s[4:5]
	v_cndmask_b32_e64 v61, v61, v64, s[4:5]
	v_lshlrev_b32_e32 v60, 24, v60
	v_lshlrev_b32_e32 v61, 20, v61
	v_and_b32_e32 v60, 0x80000000, v60
	v_lshl_add_u32 v10, v10, 23, v46
	v_or3_b32 v61, v60, v10, v61
.LBB344_135:                            ;   in Loop: Header=BB344_11 Depth=1
	s_or_b64 exec, exec, s[42:43]
.LBB344_136:                            ;   in Loop: Header=BB344_11 Depth=1
	s_or_b64 exec, exec, s[24:25]
.LBB344_137:                            ;   in Loop: Header=BB344_11 Depth=1
	s_or_b64 exec, exec, s[18:19]
	v_mul_f32_e32 v10, s47, v61
	v_and_b32_e32 v60, 0x7f800000, v10
	v_cmp_ne_u32_e64 s[4:5], s51, v60
                                        ; implicit-def: $vgpr60
	s_and_saveexec_b64 s[18:19], s[4:5]
	s_xor_b64 s[4:5], exec, s[18:19]
; %bb.138:                              ;   in Loop: Header=BB344_11 Depth=1
	v_bfe_u32 v60, v10, 16, 1
	v_add3_u32 v60, v10, v60, s52
                                        ; implicit-def: $vgpr10
; %bb.139:                              ;   in Loop: Header=BB344_11 Depth=1
	s_andn2_saveexec_b64 s[18:19], s[4:5]
; %bb.140:                              ;   in Loop: Header=BB344_11 Depth=1
	v_or_b32_e32 v60, 0x10000, v10
	v_cmp_eq_u32_sdwa s[4:5], v10, v1 src0_sel:WORD_0 src1_sel:DWORD
	v_cndmask_b32_e64 v60, v60, v10, s[4:5]
; %bb.141:                              ;   in Loop: Header=BB344_11 Depth=1
	s_or_b64 exec, exec, s[18:19]
	global_load_ubyte v61, v[8:9], off offset:776
	v_mov_b32_e32 v62, 0
	s_waitcnt vmcnt(0)
	v_cmp_ne_u16_e64 s[4:5], 0, v61
	s_and_saveexec_b64 s[18:19], s[4:5]
	s_cbranch_execz .LBB344_147
; %bb.142:                              ;   in Loop: Header=BB344_11 Depth=1
	v_cmp_ne_u16_e64 s[4:5], s49, v61
	v_bfrev_b32_e32 v62, 1
	s_and_saveexec_b64 s[24:25], s[4:5]
	s_cbranch_execz .LBB344_146
; %bb.143:                              ;   in Loop: Header=BB344_11 Depth=1
	v_and_b32_e32 v10, 0xffff, v61
	v_and_b32_e32 v63, 0x7f, v10
	v_cmp_ne_u32_e64 s[4:5], s50, v63
	v_mov_b32_e32 v62, 0x7f800001
	s_and_saveexec_b64 s[42:43], s[4:5]
	s_cbranch_execz .LBB344_145
; %bb.144:                              ;   in Loop: Header=BB344_11 Depth=1
	v_and_b32_e32 v62, 7, v10
	v_ffbh_u32_e32 v64, v62
	v_min_u32_e32 v67, 32, v64
	v_subrev_u32_e32 v64, 28, v67
	v_lshlrev_b64 v[64:65], v64, v[10:11]
	v_lshrrev_b32_e32 v66, 3, v63
	v_sub_u32_e32 v10, 29, v67
	v_and_b32_e32 v64, 7, v64
	v_cmp_gt_u32_e64 s[4:5], 8, v63
	v_cndmask_b32_e64 v10, v66, v10, s[4:5]
	v_cndmask_b32_e64 v62, v62, v64, s[4:5]
	v_lshlrev_b32_e32 v61, 24, v61
	v_lshlrev_b32_e32 v62, 20, v62
	v_and_b32_e32 v61, 0x80000000, v61
	v_lshl_add_u32 v10, v10, 23, v46
	v_or3_b32 v62, v61, v10, v62
.LBB344_145:                            ;   in Loop: Header=BB344_11 Depth=1
	s_or_b64 exec, exec, s[42:43]
.LBB344_146:                            ;   in Loop: Header=BB344_11 Depth=1
	s_or_b64 exec, exec, s[24:25]
.LBB344_147:                            ;   in Loop: Header=BB344_11 Depth=1
	s_or_b64 exec, exec, s[18:19]
	v_mul_f32_e32 v10, s47, v62
	v_and_b32_e32 v61, 0x7f800000, v10
	v_cmp_ne_u32_e64 s[4:5], s51, v61
                                        ; implicit-def: $vgpr61
	s_and_saveexec_b64 s[18:19], s[4:5]
	s_xor_b64 s[4:5], exec, s[18:19]
; %bb.148:                              ;   in Loop: Header=BB344_11 Depth=1
	v_bfe_u32 v61, v10, 16, 1
	v_add3_u32 v61, v10, v61, s52
                                        ; implicit-def: $vgpr10
; %bb.149:                              ;   in Loop: Header=BB344_11 Depth=1
	s_andn2_saveexec_b64 s[18:19], s[4:5]
; %bb.150:                              ;   in Loop: Header=BB344_11 Depth=1
	v_or_b32_e32 v61, 0x10000, v10
	v_cmp_eq_u32_sdwa s[4:5], v10, v1 src0_sel:WORD_0 src1_sel:DWORD
	v_cndmask_b32_e64 v61, v61, v10, s[4:5]
; %bb.151:                              ;   in Loop: Header=BB344_11 Depth=1
	s_or_b64 exec, exec, s[18:19]
	global_load_ubyte v62, v[8:9], off offset:896
	v_mov_b32_e32 v63, 0
	s_waitcnt vmcnt(0)
	v_cmp_ne_u16_e64 s[4:5], 0, v62
	s_and_saveexec_b64 s[18:19], s[4:5]
	s_cbranch_execz .LBB344_157
; %bb.152:                              ;   in Loop: Header=BB344_11 Depth=1
	v_cmp_ne_u16_e64 s[4:5], s49, v62
	v_bfrev_b32_e32 v63, 1
	s_and_saveexec_b64 s[24:25], s[4:5]
	s_cbranch_execz .LBB344_156
; %bb.153:                              ;   in Loop: Header=BB344_11 Depth=1
	v_and_b32_e32 v10, 0xffff, v62
	v_and_b32_e32 v64, 0x7f, v10
	v_cmp_ne_u32_e64 s[4:5], s50, v64
	v_mov_b32_e32 v63, 0x7f800001
	s_and_saveexec_b64 s[42:43], s[4:5]
	s_cbranch_execz .LBB344_155
; %bb.154:                              ;   in Loop: Header=BB344_11 Depth=1
	v_and_b32_e32 v63, 7, v10
	v_ffbh_u32_e32 v66, v63
	v_min_u32_e32 v68, 32, v66
	v_subrev_u32_e32 v66, 28, v68
	v_lshlrev_b64 v[66:67], v66, v[10:11]
	v_lshrrev_b32_e32 v65, 3, v64
	v_sub_u32_e32 v10, 29, v68
	v_and_b32_e32 v66, 7, v66
	v_cmp_gt_u32_e64 s[4:5], 8, v64
	v_cndmask_b32_e64 v10, v65, v10, s[4:5]
	v_cndmask_b32_e64 v63, v63, v66, s[4:5]
	v_lshlrev_b32_e32 v62, 24, v62
	v_lshlrev_b32_e32 v63, 20, v63
	v_and_b32_e32 v62, 0x80000000, v62
	v_lshl_add_u32 v10, v10, 23, v46
	v_or3_b32 v63, v62, v10, v63
.LBB344_155:                            ;   in Loop: Header=BB344_11 Depth=1
	s_or_b64 exec, exec, s[42:43]
.LBB344_156:                            ;   in Loop: Header=BB344_11 Depth=1
	s_or_b64 exec, exec, s[24:25]
.LBB344_157:                            ;   in Loop: Header=BB344_11 Depth=1
	s_or_b64 exec, exec, s[18:19]
	v_mul_f32_e32 v10, s47, v63
	v_and_b32_e32 v62, 0x7f800000, v10
	v_cmp_ne_u32_e64 s[4:5], s51, v62
                                        ; implicit-def: $vgpr62
	s_and_saveexec_b64 s[18:19], s[4:5]
	s_xor_b64 s[4:5], exec, s[18:19]
; %bb.158:                              ;   in Loop: Header=BB344_11 Depth=1
	v_bfe_u32 v62, v10, 16, 1
	v_add3_u32 v62, v10, v62, s52
                                        ; implicit-def: $vgpr10
; %bb.159:                              ;   in Loop: Header=BB344_11 Depth=1
	s_andn2_saveexec_b64 s[18:19], s[4:5]
; %bb.160:                              ;   in Loop: Header=BB344_11 Depth=1
	v_or_b32_e32 v62, 0x10000, v10
	v_cmp_eq_u32_sdwa s[4:5], v10, v1 src0_sel:WORD_0 src1_sel:DWORD
	v_cndmask_b32_e64 v62, v62, v10, s[4:5]
; %bb.161:                              ;   in Loop: Header=BB344_11 Depth=1
	s_or_b64 exec, exec, s[18:19]
	global_load_ubyte v63, v[8:9], off offset:904
	v_mov_b32_e32 v64, 0
	s_waitcnt vmcnt(0)
	v_cmp_ne_u16_e64 s[4:5], 0, v63
	s_and_saveexec_b64 s[18:19], s[4:5]
	s_cbranch_execz .LBB344_167
; %bb.162:                              ;   in Loop: Header=BB344_11 Depth=1
	v_cmp_ne_u16_e64 s[4:5], s49, v63
	v_bfrev_b32_e32 v64, 1
	s_and_saveexec_b64 s[24:25], s[4:5]
	s_cbranch_execz .LBB344_166
; %bb.163:                              ;   in Loop: Header=BB344_11 Depth=1
	v_and_b32_e32 v10, 0xffff, v63
	v_and_b32_e32 v65, 0x7f, v10
	v_cmp_ne_u32_e64 s[4:5], s50, v65
	v_mov_b32_e32 v64, 0x7f800001
	s_and_saveexec_b64 s[42:43], s[4:5]
	s_cbranch_execz .LBB344_165
; %bb.164:                              ;   in Loop: Header=BB344_11 Depth=1
	v_and_b32_e32 v64, 7, v10
	v_ffbh_u32_e32 v66, v64
	v_min_u32_e32 v69, 32, v66
	v_subrev_u32_e32 v66, 28, v69
	v_lshlrev_b64 v[66:67], v66, v[10:11]
	v_lshrrev_b32_e32 v68, 3, v65
	v_sub_u32_e32 v10, 29, v69
	v_and_b32_e32 v66, 7, v66
	v_cmp_gt_u32_e64 s[4:5], 8, v65
	v_cndmask_b32_e64 v10, v68, v10, s[4:5]
	v_cndmask_b32_e64 v64, v64, v66, s[4:5]
	v_lshlrev_b32_e32 v63, 24, v63
	v_lshlrev_b32_e32 v64, 20, v64
	v_and_b32_e32 v63, 0x80000000, v63
	v_lshl_add_u32 v10, v10, 23, v46
	v_or3_b32 v64, v63, v10, v64
.LBB344_165:                            ;   in Loop: Header=BB344_11 Depth=1
	s_or_b64 exec, exec, s[42:43]
.LBB344_166:                            ;   in Loop: Header=BB344_11 Depth=1
	s_or_b64 exec, exec, s[24:25]
.LBB344_167:                            ;   in Loop: Header=BB344_11 Depth=1
	s_or_b64 exec, exec, s[18:19]
	v_mul_f32_e32 v10, s47, v64
	v_and_b32_e32 v63, 0x7f800000, v10
	v_cmp_ne_u32_e64 s[4:5], s51, v63
                                        ; implicit-def: $vgpr63
	s_and_saveexec_b64 s[18:19], s[4:5]
	s_xor_b64 s[4:5], exec, s[18:19]
; %bb.168:                              ;   in Loop: Header=BB344_11 Depth=1
	v_bfe_u32 v63, v10, 16, 1
	v_add3_u32 v63, v10, v63, s52
                                        ; implicit-def: $vgpr10
; %bb.169:                              ;   in Loop: Header=BB344_11 Depth=1
	s_andn2_saveexec_b64 s[18:19], s[4:5]
; %bb.170:                              ;   in Loop: Header=BB344_11 Depth=1
	v_or_b32_e32 v63, 0x10000, v10
	v_cmp_eq_u32_sdwa s[4:5], v10, v1 src0_sel:WORD_0 src1_sel:DWORD
	v_cndmask_b32_e64 v63, v63, v10, s[4:5]
; %bb.171:                              ;   in Loop: Header=BB344_11 Depth=1
	s_or_b64 exec, exec, s[18:19]
	global_load_ubyte v64, v[8:9], off offset:1024
	v_mov_b32_e32 v65, 0
	s_waitcnt vmcnt(0)
	v_cmp_ne_u16_e64 s[4:5], 0, v64
	s_and_saveexec_b64 s[18:19], s[4:5]
	s_cbranch_execz .LBB344_177
; %bb.172:                              ;   in Loop: Header=BB344_11 Depth=1
	v_cmp_ne_u16_e64 s[4:5], s49, v64
	v_bfrev_b32_e32 v65, 1
	s_and_saveexec_b64 s[24:25], s[4:5]
	s_cbranch_execz .LBB344_176
; %bb.173:                              ;   in Loop: Header=BB344_11 Depth=1
	v_and_b32_e32 v10, 0xffff, v64
	v_and_b32_e32 v66, 0x7f, v10
	v_cmp_ne_u32_e64 s[4:5], s50, v66
	v_mov_b32_e32 v65, 0x7f800001
	s_and_saveexec_b64 s[42:43], s[4:5]
	s_cbranch_execz .LBB344_175
; %bb.174:                              ;   in Loop: Header=BB344_11 Depth=1
	v_and_b32_e32 v65, 7, v10
	v_ffbh_u32_e32 v68, v65
	v_min_u32_e32 v70, 32, v68
	v_subrev_u32_e32 v68, 28, v70
	v_lshlrev_b64 v[68:69], v68, v[10:11]
	v_lshrrev_b32_e32 v67, 3, v66
	v_sub_u32_e32 v10, 29, v70
	v_and_b32_e32 v68, 7, v68
	v_cmp_gt_u32_e64 s[4:5], 8, v66
	v_cndmask_b32_e64 v10, v67, v10, s[4:5]
	v_cndmask_b32_e64 v65, v65, v68, s[4:5]
	v_lshlrev_b32_e32 v64, 24, v64
	v_lshlrev_b32_e32 v65, 20, v65
	v_and_b32_e32 v64, 0x80000000, v64
	v_lshl_add_u32 v10, v10, 23, v46
	v_or3_b32 v65, v64, v10, v65
.LBB344_175:                            ;   in Loop: Header=BB344_11 Depth=1
	s_or_b64 exec, exec, s[42:43]
.LBB344_176:                            ;   in Loop: Header=BB344_11 Depth=1
	s_or_b64 exec, exec, s[24:25]
.LBB344_177:                            ;   in Loop: Header=BB344_11 Depth=1
	s_or_b64 exec, exec, s[18:19]
	v_mul_f32_e32 v10, s47, v65
	v_and_b32_e32 v64, 0x7f800000, v10
	v_cmp_ne_u32_e64 s[4:5], s51, v64
                                        ; implicit-def: $vgpr64
	s_and_saveexec_b64 s[18:19], s[4:5]
	s_xor_b64 s[4:5], exec, s[18:19]
; %bb.178:                              ;   in Loop: Header=BB344_11 Depth=1
	v_bfe_u32 v64, v10, 16, 1
	v_add3_u32 v64, v10, v64, s52
                                        ; implicit-def: $vgpr10
; %bb.179:                              ;   in Loop: Header=BB344_11 Depth=1
	s_andn2_saveexec_b64 s[18:19], s[4:5]
; %bb.180:                              ;   in Loop: Header=BB344_11 Depth=1
	v_or_b32_e32 v64, 0x10000, v10
	v_cmp_eq_u32_sdwa s[4:5], v10, v1 src0_sel:WORD_0 src1_sel:DWORD
	v_cndmask_b32_e64 v64, v64, v10, s[4:5]
; %bb.181:                              ;   in Loop: Header=BB344_11 Depth=1
	s_or_b64 exec, exec, s[18:19]
	global_load_ubyte v65, v[8:9], off offset:1032
	v_mov_b32_e32 v66, 0
	s_waitcnt vmcnt(0)
	v_cmp_ne_u16_e64 s[4:5], 0, v65
	s_and_saveexec_b64 s[18:19], s[4:5]
	s_cbranch_execz .LBB344_187
; %bb.182:                              ;   in Loop: Header=BB344_11 Depth=1
	v_cmp_ne_u16_e64 s[4:5], s49, v65
	v_bfrev_b32_e32 v66, 1
	s_and_saveexec_b64 s[24:25], s[4:5]
	s_cbranch_execz .LBB344_186
; %bb.183:                              ;   in Loop: Header=BB344_11 Depth=1
	v_and_b32_e32 v10, 0xffff, v65
	v_and_b32_e32 v67, 0x7f, v10
	v_cmp_ne_u32_e64 s[4:5], s50, v67
	v_mov_b32_e32 v66, 0x7f800001
	s_and_saveexec_b64 s[42:43], s[4:5]
	s_cbranch_execz .LBB344_185
; %bb.184:                              ;   in Loop: Header=BB344_11 Depth=1
	v_and_b32_e32 v66, 7, v10
	v_ffbh_u32_e32 v68, v66
	v_min_u32_e32 v71, 32, v68
	v_subrev_u32_e32 v68, 28, v71
	v_lshlrev_b64 v[68:69], v68, v[10:11]
	v_lshrrev_b32_e32 v70, 3, v67
	v_sub_u32_e32 v10, 29, v71
	v_and_b32_e32 v68, 7, v68
	v_cmp_gt_u32_e64 s[4:5], 8, v67
	v_cndmask_b32_e64 v10, v70, v10, s[4:5]
	v_cndmask_b32_e64 v66, v66, v68, s[4:5]
	v_lshlrev_b32_e32 v65, 24, v65
	v_lshlrev_b32_e32 v66, 20, v66
	v_and_b32_e32 v65, 0x80000000, v65
	v_lshl_add_u32 v10, v10, 23, v46
	v_or3_b32 v66, v65, v10, v66
.LBB344_185:                            ;   in Loop: Header=BB344_11 Depth=1
	s_or_b64 exec, exec, s[42:43]
.LBB344_186:                            ;   in Loop: Header=BB344_11 Depth=1
	s_or_b64 exec, exec, s[24:25]
.LBB344_187:                            ;   in Loop: Header=BB344_11 Depth=1
	s_or_b64 exec, exec, s[18:19]
	v_mul_f32_e32 v10, s47, v66
	v_and_b32_e32 v65, 0x7f800000, v10
	v_cmp_ne_u32_e64 s[4:5], s51, v65
                                        ; implicit-def: $vgpr65
	s_and_saveexec_b64 s[18:19], s[4:5]
	s_xor_b64 s[4:5], exec, s[18:19]
; %bb.188:                              ;   in Loop: Header=BB344_11 Depth=1
	v_bfe_u32 v65, v10, 16, 1
	v_add3_u32 v65, v10, v65, s52
                                        ; implicit-def: $vgpr10
; %bb.189:                              ;   in Loop: Header=BB344_11 Depth=1
	s_andn2_saveexec_b64 s[18:19], s[4:5]
; %bb.190:                              ;   in Loop: Header=BB344_11 Depth=1
	v_or_b32_e32 v65, 0x10000, v10
	v_cmp_eq_u32_sdwa s[4:5], v10, v1 src0_sel:WORD_0 src1_sel:DWORD
	v_cndmask_b32_e64 v65, v65, v10, s[4:5]
; %bb.191:                              ;   in Loop: Header=BB344_11 Depth=1
	s_or_b64 exec, exec, s[18:19]
	global_load_ubyte v66, v[8:9], off offset:1152
	v_mov_b32_e32 v67, 0
	s_waitcnt vmcnt(0)
	v_cmp_ne_u16_e64 s[4:5], 0, v66
	s_and_saveexec_b64 s[18:19], s[4:5]
	s_cbranch_execz .LBB344_197
; %bb.192:                              ;   in Loop: Header=BB344_11 Depth=1
	v_cmp_ne_u16_e64 s[4:5], s49, v66
	v_bfrev_b32_e32 v67, 1
	s_and_saveexec_b64 s[24:25], s[4:5]
	s_cbranch_execz .LBB344_196
; %bb.193:                              ;   in Loop: Header=BB344_11 Depth=1
	v_and_b32_e32 v10, 0xffff, v66
	v_and_b32_e32 v68, 0x7f, v10
	v_cmp_ne_u32_e64 s[4:5], s50, v68
	v_mov_b32_e32 v67, 0x7f800001
	s_and_saveexec_b64 s[42:43], s[4:5]
	s_cbranch_execz .LBB344_195
; %bb.194:                              ;   in Loop: Header=BB344_11 Depth=1
	v_and_b32_e32 v67, 7, v10
	v_ffbh_u32_e32 v70, v67
	v_min_u32_e32 v72, 32, v70
	v_subrev_u32_e32 v70, 28, v72
	v_lshlrev_b64 v[70:71], v70, v[10:11]
	v_lshrrev_b32_e32 v69, 3, v68
	v_sub_u32_e32 v10, 29, v72
	v_and_b32_e32 v70, 7, v70
	v_cmp_gt_u32_e64 s[4:5], 8, v68
	v_cndmask_b32_e64 v10, v69, v10, s[4:5]
	v_cndmask_b32_e64 v67, v67, v70, s[4:5]
	v_lshlrev_b32_e32 v66, 24, v66
	v_lshlrev_b32_e32 v67, 20, v67
	v_and_b32_e32 v66, 0x80000000, v66
	v_lshl_add_u32 v10, v10, 23, v46
	v_or3_b32 v67, v66, v10, v67
.LBB344_195:                            ;   in Loop: Header=BB344_11 Depth=1
	s_or_b64 exec, exec, s[42:43]
.LBB344_196:                            ;   in Loop: Header=BB344_11 Depth=1
	s_or_b64 exec, exec, s[24:25]
.LBB344_197:                            ;   in Loop: Header=BB344_11 Depth=1
	s_or_b64 exec, exec, s[18:19]
	v_mul_f32_e32 v10, s47, v67
	v_and_b32_e32 v66, 0x7f800000, v10
	v_cmp_ne_u32_e64 s[4:5], s51, v66
                                        ; implicit-def: $vgpr66
	s_and_saveexec_b64 s[18:19], s[4:5]
	s_xor_b64 s[4:5], exec, s[18:19]
; %bb.198:                              ;   in Loop: Header=BB344_11 Depth=1
	v_bfe_u32 v66, v10, 16, 1
	v_add3_u32 v66, v10, v66, s52
                                        ; implicit-def: $vgpr10
; %bb.199:                              ;   in Loop: Header=BB344_11 Depth=1
	s_andn2_saveexec_b64 s[18:19], s[4:5]
; %bb.200:                              ;   in Loop: Header=BB344_11 Depth=1
	v_or_b32_e32 v66, 0x10000, v10
	v_cmp_eq_u32_sdwa s[4:5], v10, v1 src0_sel:WORD_0 src1_sel:DWORD
	v_cndmask_b32_e64 v66, v66, v10, s[4:5]
; %bb.201:                              ;   in Loop: Header=BB344_11 Depth=1
	s_or_b64 exec, exec, s[18:19]
	global_load_ubyte v67, v[8:9], off offset:1160
	v_mov_b32_e32 v68, 0
	s_waitcnt vmcnt(0)
	v_cmp_ne_u16_e64 s[4:5], 0, v67
	s_and_saveexec_b64 s[18:19], s[4:5]
	s_cbranch_execz .LBB344_207
; %bb.202:                              ;   in Loop: Header=BB344_11 Depth=1
	v_cmp_ne_u16_e64 s[4:5], s49, v67
	v_bfrev_b32_e32 v68, 1
	s_and_saveexec_b64 s[24:25], s[4:5]
	s_cbranch_execz .LBB344_206
; %bb.203:                              ;   in Loop: Header=BB344_11 Depth=1
	v_and_b32_e32 v10, 0xffff, v67
	v_and_b32_e32 v69, 0x7f, v10
	v_cmp_ne_u32_e64 s[4:5], s50, v69
	v_mov_b32_e32 v68, 0x7f800001
	s_and_saveexec_b64 s[42:43], s[4:5]
	s_cbranch_execz .LBB344_205
; %bb.204:                              ;   in Loop: Header=BB344_11 Depth=1
	v_and_b32_e32 v68, 7, v10
	v_ffbh_u32_e32 v70, v68
	v_min_u32_e32 v73, 32, v70
	v_subrev_u32_e32 v70, 28, v73
	v_lshlrev_b64 v[70:71], v70, v[10:11]
	v_lshrrev_b32_e32 v72, 3, v69
	v_sub_u32_e32 v10, 29, v73
	v_and_b32_e32 v70, 7, v70
	v_cmp_gt_u32_e64 s[4:5], 8, v69
	v_cndmask_b32_e64 v10, v72, v10, s[4:5]
	v_cndmask_b32_e64 v68, v68, v70, s[4:5]
	v_lshlrev_b32_e32 v67, 24, v67
	v_lshlrev_b32_e32 v68, 20, v68
	v_and_b32_e32 v67, 0x80000000, v67
	v_lshl_add_u32 v10, v10, 23, v46
	v_or3_b32 v68, v67, v10, v68
.LBB344_205:                            ;   in Loop: Header=BB344_11 Depth=1
	s_or_b64 exec, exec, s[42:43]
.LBB344_206:                            ;   in Loop: Header=BB344_11 Depth=1
	s_or_b64 exec, exec, s[24:25]
.LBB344_207:                            ;   in Loop: Header=BB344_11 Depth=1
	s_or_b64 exec, exec, s[18:19]
	v_mul_f32_e32 v10, s47, v68
	v_and_b32_e32 v67, 0x7f800000, v10
	v_cmp_ne_u32_e64 s[4:5], s51, v67
                                        ; implicit-def: $vgpr67
	s_and_saveexec_b64 s[18:19], s[4:5]
	s_xor_b64 s[4:5], exec, s[18:19]
; %bb.208:                              ;   in Loop: Header=BB344_11 Depth=1
	v_bfe_u32 v67, v10, 16, 1
	v_add3_u32 v67, v10, v67, s52
                                        ; implicit-def: $vgpr10
; %bb.209:                              ;   in Loop: Header=BB344_11 Depth=1
	s_andn2_saveexec_b64 s[18:19], s[4:5]
; %bb.210:                              ;   in Loop: Header=BB344_11 Depth=1
	v_or_b32_e32 v67, 0x10000, v10
	v_cmp_eq_u32_sdwa s[4:5], v10, v1 src0_sel:WORD_0 src1_sel:DWORD
	v_cndmask_b32_e64 v67, v67, v10, s[4:5]
; %bb.211:                              ;   in Loop: Header=BB344_11 Depth=1
	s_or_b64 exec, exec, s[18:19]
	global_load_ubyte v68, v[8:9], off offset:1280
	v_mov_b32_e32 v69, 0
	s_waitcnt vmcnt(0)
	v_cmp_ne_u16_e64 s[4:5], 0, v68
	s_and_saveexec_b64 s[18:19], s[4:5]
	s_cbranch_execz .LBB344_217
; %bb.212:                              ;   in Loop: Header=BB344_11 Depth=1
	v_cmp_ne_u16_e64 s[4:5], s49, v68
	v_bfrev_b32_e32 v69, 1
	s_and_saveexec_b64 s[24:25], s[4:5]
	s_cbranch_execz .LBB344_216
; %bb.213:                              ;   in Loop: Header=BB344_11 Depth=1
	v_and_b32_e32 v10, 0xffff, v68
	v_and_b32_e32 v70, 0x7f, v10
	v_cmp_ne_u32_e64 s[4:5], s50, v70
	v_mov_b32_e32 v69, 0x7f800001
	s_and_saveexec_b64 s[42:43], s[4:5]
	s_cbranch_execz .LBB344_215
; %bb.214:                              ;   in Loop: Header=BB344_11 Depth=1
	v_and_b32_e32 v69, 7, v10
	v_ffbh_u32_e32 v72, v69
	v_min_u32_e32 v74, 32, v72
	v_subrev_u32_e32 v72, 28, v74
	v_lshlrev_b64 v[72:73], v72, v[10:11]
	v_lshrrev_b32_e32 v71, 3, v70
	v_sub_u32_e32 v10, 29, v74
	v_and_b32_e32 v72, 7, v72
	v_cmp_gt_u32_e64 s[4:5], 8, v70
	v_cndmask_b32_e64 v10, v71, v10, s[4:5]
	v_cndmask_b32_e64 v69, v69, v72, s[4:5]
	v_lshlrev_b32_e32 v68, 24, v68
	v_lshlrev_b32_e32 v69, 20, v69
	v_and_b32_e32 v68, 0x80000000, v68
	v_lshl_add_u32 v10, v10, 23, v46
	v_or3_b32 v69, v68, v10, v69
.LBB344_215:                            ;   in Loop: Header=BB344_11 Depth=1
	s_or_b64 exec, exec, s[42:43]
.LBB344_216:                            ;   in Loop: Header=BB344_11 Depth=1
	s_or_b64 exec, exec, s[24:25]
.LBB344_217:                            ;   in Loop: Header=BB344_11 Depth=1
	s_or_b64 exec, exec, s[18:19]
	v_mul_f32_e32 v10, s47, v69
	v_and_b32_e32 v68, 0x7f800000, v10
	v_cmp_ne_u32_e64 s[4:5], s51, v68
                                        ; implicit-def: $vgpr68
	s_and_saveexec_b64 s[18:19], s[4:5]
	s_xor_b64 s[4:5], exec, s[18:19]
; %bb.218:                              ;   in Loop: Header=BB344_11 Depth=1
	v_bfe_u32 v68, v10, 16, 1
	v_add3_u32 v68, v10, v68, s52
                                        ; implicit-def: $vgpr10
; %bb.219:                              ;   in Loop: Header=BB344_11 Depth=1
	s_andn2_saveexec_b64 s[18:19], s[4:5]
; %bb.220:                              ;   in Loop: Header=BB344_11 Depth=1
	v_or_b32_e32 v68, 0x10000, v10
	v_cmp_eq_u32_sdwa s[4:5], v10, v1 src0_sel:WORD_0 src1_sel:DWORD
	v_cndmask_b32_e64 v68, v68, v10, s[4:5]
; %bb.221:                              ;   in Loop: Header=BB344_11 Depth=1
	s_or_b64 exec, exec, s[18:19]
	global_load_ubyte v69, v[8:9], off offset:1288
	v_mov_b32_e32 v70, 0
	s_waitcnt vmcnt(0)
	v_cmp_ne_u16_e64 s[4:5], 0, v69
	s_and_saveexec_b64 s[18:19], s[4:5]
	s_cbranch_execz .LBB344_227
; %bb.222:                              ;   in Loop: Header=BB344_11 Depth=1
	v_cmp_ne_u16_e64 s[4:5], s49, v69
	v_bfrev_b32_e32 v70, 1
	s_and_saveexec_b64 s[24:25], s[4:5]
	s_cbranch_execz .LBB344_226
; %bb.223:                              ;   in Loop: Header=BB344_11 Depth=1
	v_and_b32_e32 v10, 0xffff, v69
	v_and_b32_e32 v71, 0x7f, v10
	v_cmp_ne_u32_e64 s[4:5], s50, v71
	v_mov_b32_e32 v70, 0x7f800001
	s_and_saveexec_b64 s[42:43], s[4:5]
	s_cbranch_execz .LBB344_225
; %bb.224:                              ;   in Loop: Header=BB344_11 Depth=1
	v_and_b32_e32 v70, 7, v10
	v_ffbh_u32_e32 v72, v70
	v_min_u32_e32 v75, 32, v72
	v_subrev_u32_e32 v72, 28, v75
	v_lshlrev_b64 v[72:73], v72, v[10:11]
	v_lshrrev_b32_e32 v74, 3, v71
	v_sub_u32_e32 v10, 29, v75
	v_and_b32_e32 v72, 7, v72
	v_cmp_gt_u32_e64 s[4:5], 8, v71
	v_cndmask_b32_e64 v10, v74, v10, s[4:5]
	v_cndmask_b32_e64 v70, v70, v72, s[4:5]
	v_lshlrev_b32_e32 v69, 24, v69
	v_lshlrev_b32_e32 v70, 20, v70
	v_and_b32_e32 v69, 0x80000000, v69
	v_lshl_add_u32 v10, v10, 23, v46
	v_or3_b32 v70, v69, v10, v70
.LBB344_225:                            ;   in Loop: Header=BB344_11 Depth=1
	s_or_b64 exec, exec, s[42:43]
.LBB344_226:                            ;   in Loop: Header=BB344_11 Depth=1
	s_or_b64 exec, exec, s[24:25]
.LBB344_227:                            ;   in Loop: Header=BB344_11 Depth=1
	s_or_b64 exec, exec, s[18:19]
	v_mul_f32_e32 v10, s47, v70
	v_and_b32_e32 v69, 0x7f800000, v10
	v_cmp_ne_u32_e64 s[4:5], s51, v69
                                        ; implicit-def: $vgpr69
	s_and_saveexec_b64 s[18:19], s[4:5]
	s_xor_b64 s[4:5], exec, s[18:19]
; %bb.228:                              ;   in Loop: Header=BB344_11 Depth=1
	v_bfe_u32 v69, v10, 16, 1
	v_add3_u32 v69, v10, v69, s52
                                        ; implicit-def: $vgpr10
; %bb.229:                              ;   in Loop: Header=BB344_11 Depth=1
	s_andn2_saveexec_b64 s[18:19], s[4:5]
; %bb.230:                              ;   in Loop: Header=BB344_11 Depth=1
	v_or_b32_e32 v69, 0x10000, v10
	v_cmp_eq_u32_sdwa s[4:5], v10, v1 src0_sel:WORD_0 src1_sel:DWORD
	v_cndmask_b32_e64 v69, v69, v10, s[4:5]
; %bb.231:                              ;   in Loop: Header=BB344_11 Depth=1
	s_or_b64 exec, exec, s[18:19]
	global_load_ubyte v70, v[8:9], off offset:1408
	v_mov_b32_e32 v71, 0
	s_waitcnt vmcnt(0)
	v_cmp_ne_u16_e64 s[4:5], 0, v70
	s_and_saveexec_b64 s[18:19], s[4:5]
	s_cbranch_execz .LBB344_237
; %bb.232:                              ;   in Loop: Header=BB344_11 Depth=1
	v_cmp_ne_u16_e64 s[4:5], s49, v70
	v_bfrev_b32_e32 v71, 1
	s_and_saveexec_b64 s[24:25], s[4:5]
	s_cbranch_execz .LBB344_236
; %bb.233:                              ;   in Loop: Header=BB344_11 Depth=1
	v_and_b32_e32 v10, 0xffff, v70
	v_and_b32_e32 v72, 0x7f, v10
	v_cmp_ne_u32_e64 s[4:5], s50, v72
	v_mov_b32_e32 v71, 0x7f800001
	s_and_saveexec_b64 s[42:43], s[4:5]
	s_cbranch_execz .LBB344_235
; %bb.234:                              ;   in Loop: Header=BB344_11 Depth=1
	v_and_b32_e32 v71, 7, v10
	v_ffbh_u32_e32 v74, v71
	v_min_u32_e32 v76, 32, v74
	v_subrev_u32_e32 v74, 28, v76
	v_lshlrev_b64 v[74:75], v74, v[10:11]
	v_lshrrev_b32_e32 v73, 3, v72
	v_sub_u32_e32 v10, 29, v76
	v_and_b32_e32 v74, 7, v74
	v_cmp_gt_u32_e64 s[4:5], 8, v72
	v_cndmask_b32_e64 v10, v73, v10, s[4:5]
	v_cndmask_b32_e64 v71, v71, v74, s[4:5]
	v_lshlrev_b32_e32 v70, 24, v70
	v_lshlrev_b32_e32 v71, 20, v71
	v_and_b32_e32 v70, 0x80000000, v70
	v_lshl_add_u32 v10, v10, 23, v46
	v_or3_b32 v71, v70, v10, v71
.LBB344_235:                            ;   in Loop: Header=BB344_11 Depth=1
	s_or_b64 exec, exec, s[42:43]
.LBB344_236:                            ;   in Loop: Header=BB344_11 Depth=1
	s_or_b64 exec, exec, s[24:25]
.LBB344_237:                            ;   in Loop: Header=BB344_11 Depth=1
	s_or_b64 exec, exec, s[18:19]
	v_mul_f32_e32 v70, s47, v71
	v_and_b32_e32 v10, 0x7f800000, v70
	v_cmp_ne_u32_e64 s[4:5], s51, v10
                                        ; implicit-def: $vgpr10
	s_and_saveexec_b64 s[18:19], s[4:5]
	s_xor_b64 s[4:5], exec, s[18:19]
; %bb.238:                              ;   in Loop: Header=BB344_11 Depth=1
	v_bfe_u32 v10, v70, 16, 1
	v_add3_u32 v10, v70, v10, s52
                                        ; implicit-def: $vgpr70
; %bb.239:                              ;   in Loop: Header=BB344_11 Depth=1
	s_andn2_saveexec_b64 s[18:19], s[4:5]
; %bb.240:                              ;   in Loop: Header=BB344_11 Depth=1
	v_or_b32_e32 v10, 0x10000, v70
	v_cmp_eq_u32_sdwa s[4:5], v70, v1 src0_sel:WORD_0 src1_sel:DWORD
	v_cndmask_b32_e64 v10, v10, v70, s[4:5]
; %bb.241:                              ;   in Loop: Header=BB344_11 Depth=1
	s_or_b64 exec, exec, s[18:19]
	global_load_ubyte v9, v[8:9], off offset:1416
	v_mov_b32_e32 v70, 0
	s_waitcnt vmcnt(0)
	v_cmp_ne_u16_e64 s[4:5], 0, v9
	s_and_saveexec_b64 s[18:19], s[4:5]
	s_cbranch_execz .LBB344_247
; %bb.242:                              ;   in Loop: Header=BB344_11 Depth=1
	v_cmp_ne_u16_e64 s[4:5], s49, v9
	v_bfrev_b32_e32 v70, 1
	s_and_saveexec_b64 s[24:25], s[4:5]
	s_cbranch_execz .LBB344_246
; %bb.243:                              ;   in Loop: Header=BB344_11 Depth=1
	v_and_b32_e32 v8, 0xffff, v9
	v_and_b32_e32 v71, 0x7f, v8
	v_cmp_ne_u32_e64 s[4:5], s50, v71
	v_mov_b32_e32 v70, 0x7f800001
	s_and_saveexec_b64 s[42:43], s[4:5]
	s_cbranch_execz .LBB344_245
; %bb.244:                              ;   in Loop: Header=BB344_11 Depth=1
	v_and_b32_e32 v70, 7, v8
	v_ffbh_u32_e32 v72, v70
	v_min_u32_e32 v75, 32, v72
	v_subrev_u32_e32 v72, 28, v75
	v_lshlrev_b64 v[72:73], v72, v[8:9]
	v_lshrrev_b32_e32 v74, 3, v71
	v_sub_u32_e32 v8, 29, v75
	v_and_b32_e32 v72, 7, v72
	v_cmp_gt_u32_e64 s[4:5], 8, v71
	v_cndmask_b32_e64 v8, v74, v8, s[4:5]
	v_cndmask_b32_e64 v70, v70, v72, s[4:5]
	v_lshlrev_b32_e32 v9, 24, v9
	v_lshlrev_b32_e32 v70, 20, v70
	v_and_b32_e32 v9, 0x80000000, v9
	v_lshl_add_u32 v8, v8, 23, v46
	v_or3_b32 v70, v9, v8, v70
.LBB344_245:                            ;   in Loop: Header=BB344_11 Depth=1
	s_or_b64 exec, exec, s[42:43]
.LBB344_246:                            ;   in Loop: Header=BB344_11 Depth=1
	s_or_b64 exec, exec, s[24:25]
.LBB344_247:                            ;   in Loop: Header=BB344_11 Depth=1
	s_or_b64 exec, exec, s[18:19]
	v_mul_f32_e32 v9, s47, v70
	v_and_b32_e32 v8, 0x7f800000, v9
	v_cmp_ne_u32_e64 s[4:5], s51, v8
                                        ; implicit-def: $vgpr8
	s_and_saveexec_b64 s[18:19], s[4:5]
	s_xor_b64 s[4:5], exec, s[18:19]
; %bb.248:                              ;   in Loop: Header=BB344_11 Depth=1
	v_bfe_u32 v8, v9, 16, 1
	v_add3_u32 v8, v9, v8, s52
                                        ; implicit-def: $vgpr9
; %bb.249:                              ;   in Loop: Header=BB344_11 Depth=1
	s_andn2_saveexec_b64 s[18:19], s[4:5]
; %bb.250:                              ;   in Loop: Header=BB344_11 Depth=1
	v_or_b32_e32 v8, 0x10000, v9
	v_cmp_eq_u32_sdwa s[4:5], v9, v1 src0_sel:WORD_0 src1_sel:DWORD
	v_cndmask_b32_e64 v8, v8, v9, s[4:5]
; %bb.251:                              ;   in Loop: Header=BB344_11 Depth=1
	s_or_b64 exec, exec, s[18:19]
	v_and_b32_e32 v49, 0xffff0000, v49
	v_and_b32_e32 v48, 0xffff0000, v48
	v_mul_f32_e32 v49, v17, v49
	v_and_b32_e32 v50, 0xffff0000, v50
	v_fmac_f32_e32 v49, v15, v48
	v_and_b32_e32 v51, 0xffff0000, v51
	v_fmac_f32_e32 v49, v18, v50
	v_and_b32_e32 v52, 0xffff0000, v52
	v_fmac_f32_e32 v49, v19, v51
	v_and_b32_e32 v53, 0xffff0000, v53
	v_fmac_f32_e32 v49, v20, v52
	v_and_b32_e32 v54, 0xffff0000, v54
	v_fmac_f32_e32 v49, v21, v53
	v_and_b32_e32 v55, 0xffff0000, v55
	v_fmac_f32_e32 v49, v22, v54
	v_and_b32_e32 v56, 0xffff0000, v56
	v_fmac_f32_e32 v49, v23, v55
	v_and_b32_e32 v57, 0xffff0000, v57
	v_fmac_f32_e32 v49, v24, v56
	v_and_b32_e32 v58, 0xffff0000, v58
	v_fmac_f32_e32 v49, v25, v57
	v_and_b32_e32 v59, 0xffff0000, v59
	v_fmac_f32_e32 v49, v26, v58
	v_and_b32_e32 v60, 0xffff0000, v60
	v_fmac_f32_e32 v49, v27, v59
	v_and_b32_e32 v61, 0xffff0000, v61
	v_fmac_f32_e32 v49, v28, v60
	v_and_b32_e32 v62, 0xffff0000, v62
	v_fmac_f32_e32 v49, v29, v61
	v_and_b32_e32 v63, 0xffff0000, v63
	v_fmac_f32_e32 v49, v30, v62
	v_and_b32_e32 v64, 0xffff0000, v64
	v_fmac_f32_e32 v49, v31, v63
	v_and_b32_e32 v65, 0xffff0000, v65
	v_fmac_f32_e32 v49, v32, v64
	v_and_b32_e32 v66, 0xffff0000, v66
	v_fmac_f32_e32 v49, v33, v65
	v_and_b32_e32 v67, 0xffff0000, v67
	v_fmac_f32_e32 v49, v34, v66
	v_and_b32_e32 v68, 0xffff0000, v68
	v_fmac_f32_e32 v49, v35, v67
	v_and_b32_e32 v9, 0xffff0000, v10
	v_and_b32_e32 v10, 0xffff0000, v69
	v_fmac_f32_e32 v49, v36, v68
	v_fmac_f32_e32 v49, v37, v10
	v_and_b32_e32 v8, 0xffff0000, v8
	v_fmac_f32_e32 v49, v38, v9
	v_fmac_f32_e32 v49, v39, v8
	ds_bpermute_b32 v8, v41, v49
	s_waitcnt lgkmcnt(0)
	v_add_f32_e32 v8, v49, v8
	ds_bpermute_b32 v9, v42, v8
	s_waitcnt lgkmcnt(0)
	v_add_f32_e32 v8, v8, v9
	ds_bpermute_b32 v9, v43, v8
	s_and_saveexec_b64 s[18:19], vcc
	s_cbranch_execz .LBB344_10
; %bb.252:                              ;   in Loop: Header=BB344_11 Depth=1
	v_add_u32_e32 v10, s48, v44
	v_cvt_f32_i32_e32 v10, v10
	s_waitcnt lgkmcnt(0)
	v_add_f32_e32 v8, v8, v9
	v_cmp_gt_i32_e64 s[4:5], s35, v44
	v_max_f32_e32 v9, v40, v40
	v_mul_f32_e32 v10, s10, v10
	v_cndmask_b32_e64 v10, 0, v10, s[2:3]
	v_fmac_f32_e32 v10, s11, v8
	v_cndmask_b32_e64 v8, 0, v10, s[4:5]
	ds_write_b32 v45, v8
	v_max_f32_e32 v8, v9, v10
	v_cndmask_b32_e64 v40, v40, v8, s[4:5]
	s_branch .LBB344_10
.LBB344_253:
	s_or_b64 exec, exec, s[12:13]
.LBB344_254:
	s_or_b64 exec, exec, s[40:41]
	v_xor_b32_e32 v1, 32, v3
	v_cmp_lt_i32_e32 vcc, v1, v14
	v_cndmask_b32_e32 v1, v3, v1, vcc
	v_lshlrev_b32_e32 v5, 2, v1
	ds_bpermute_b32 v1, v5, v40
	v_xor_b32_e32 v4, 16, v3
	v_max_f32_e32 v2, v40, v40
	v_cmp_lt_i32_e32 vcc, v4, v14
	v_xor_b32_e32 v6, 8, v3
	s_waitcnt lgkmcnt(0)
	v_max_f32_e32 v1, v1, v1
	v_max_f32_e32 v1, v2, v1
	v_cndmask_b32_e32 v2, v3, v4, vcc
	v_lshlrev_b32_e32 v7, 2, v2
	ds_bpermute_b32 v2, v7, v1
	v_cmp_lt_i32_e32 vcc, v6, v14
	s_waitcnt lgkmcnt(0)
	v_max_f32_e32 v2, v2, v2
	v_max_f32_e32 v4, v1, v2
	v_cndmask_b32_e32 v1, v3, v6, vcc
	v_lshlrev_b32_e32 v8, 2, v1
	ds_bpermute_b32 v6, v8, v4
	v_and_b32_e32 v1, 63, v0
	v_cmp_eq_u32_e32 vcc, 0, v1
	v_lshlrev_b32_e32 v2, 2, v16
	s_and_saveexec_b64 s[2:3], vcc
	s_cbranch_execz .LBB344_256
; %bb.255:
	s_waitcnt lgkmcnt(0)
	v_max_f32_e32 v6, v6, v6
	v_max_f32_e32 v4, v4, v4
	;; [unrolled: 1-line block ×3, first 2 shown]
	ds_write_b32 v2, v4 offset:384
.LBB344_256:
	s_or_b64 exec, exec, s[2:3]
	v_cmp_gt_u32_e64 s[2:3], 2, v1
	v_mov_b32_e32 v4, 0xff7fffff
	s_waitcnt lgkmcnt(0)
	v_lshlrev_b32_e32 v6, 2, v1
	s_barrier
	s_and_saveexec_b64 s[4:5], s[2:3]
	s_cbranch_execz .LBB344_258
; %bb.257:
	ds_read_b32 v4, v6 offset:384
.LBB344_258:
	s_or_b64 exec, exec, s[4:5]
	v_xor_b32_e32 v9, 1, v3
	v_cmp_lt_i32_e64 s[4:5], v9, v14
	v_cndmask_b32_e64 v9, v3, v9, s[4:5]
	v_lshlrev_b32_e32 v9, 2, v9
	s_waitcnt lgkmcnt(0)
	ds_bpermute_b32 v10, v9, v4
	v_max_f32_e32 v4, v4, v4
	s_sub_i32 s4, s31, s45
	s_lshl_b32 s4, s4, 3
	s_add_i32 s4, s4, s44
	s_waitcnt lgkmcnt(0)
	v_max_f32_e32 v10, v10, v10
	v_max_f32_e32 v4, v4, v10
	v_lshlrev_b32_e32 v10, 2, v3
	v_and_b32_e32 v10, 0xffffff00, v10
	ds_bpermute_b32 v4, v10, v4
	s_min_i32 s25, s4, s35
	s_sub_i32 s24, s25, s44
	v_cmp_gt_i32_e64 s[4:5], s24, v0
	v_mov_b32_e32 v15, 0
	s_and_saveexec_b64 s[12:13], s[4:5]
	s_cbranch_execz .LBB344_262
; %bb.259:
	v_mov_b32_e32 v15, 0x190
	v_lshl_add_u32 v17, v0, 2, v15
	s_mov_b64 s[18:19], 0
	v_mov_b32_e32 v15, 0
	v_mov_b32_e32 v18, v0
.LBB344_260:                            ; =>This Inner Loop Header: Depth=1
	ds_read_b32 v19, v17
	v_add_u32_e32 v18, 0x80, v18
	v_cmp_le_i32_e64 s[10:11], s24, v18
	s_or_b64 s[18:19], s[10:11], s[18:19]
	s_waitcnt lgkmcnt(0)
	v_sub_f32_e32 v19, v19, v4
	v_mul_f32_e32 v19, 0x3fb8aa3b, v19
	v_exp_f32_e32 v19, v19
	ds_write_b32 v17, v19
	v_add_f32_e32 v15, v15, v19
	v_add_u32_e32 v17, 0x200, v17
	s_andn2_b64 exec, exec, s[18:19]
	s_cbranch_execnz .LBB344_260
; %bb.261:
	s_or_b64 exec, exec, s[18:19]
.LBB344_262:
	s_or_b64 exec, exec, s[12:13]
	ds_bpermute_b32 v5, v5, v15
	s_waitcnt lgkmcnt(0)
	v_add_f32_e32 v5, v15, v5
	ds_bpermute_b32 v7, v7, v5
	s_waitcnt lgkmcnt(0)
	v_add_f32_e32 v5, v5, v7
	ds_bpermute_b32 v7, v8, v5
	v_xor_b32_e32 v8, 4, v3
	v_cmp_lt_i32_e64 s[10:11], v8, v14
	v_cndmask_b32_e64 v8, v3, v8, s[10:11]
	v_lshlrev_b32_e32 v8, 2, v8
	s_waitcnt lgkmcnt(0)
	v_add_f32_e32 v5, v5, v7
	ds_bpermute_b32 v7, v8, v5
	v_xor_b32_e32 v8, 2, v3
	v_cmp_lt_i32_e64 s[10:11], v8, v14
	v_cndmask_b32_e64 v3, v3, v8, s[10:11]
	v_lshlrev_b32_e32 v3, 2, v3
	s_waitcnt lgkmcnt(0)
	v_add_f32_e32 v5, v5, v7
	ds_bpermute_b32 v3, v3, v5
	s_waitcnt lgkmcnt(0)
	v_add_f32_e32 v3, v5, v3
	ds_bpermute_b32 v5, v9, v3
	s_waitcnt lgkmcnt(0)
	v_add_f32_e32 v3, v3, v5
	s_and_saveexec_b64 s[10:11], vcc
	s_cbranch_execz .LBB344_264
; %bb.263:
	ds_write_b32 v2, v3 offset:392
.LBB344_264:
	s_or_b64 exec, exec, s[10:11]
	s_waitcnt lgkmcnt(0)
	s_barrier
	s_and_saveexec_b64 s[10:11], s[2:3]
	s_cbranch_execz .LBB344_266
; %bb.265:
	ds_read_b32 v3, v6 offset:392
.LBB344_266:
	s_or_b64 exec, exec, s[10:11]
	s_waitcnt lgkmcnt(0)
	ds_bpermute_b32 v2, v9, v3
	s_waitcnt lgkmcnt(0)
	v_add_f32_e32 v2, v3, v2
	ds_bpermute_b32 v5, v10, v2
	s_and_saveexec_b64 s[2:3], s[4:5]
	s_cbranch_execz .LBB344_279
; %bb.267:
	s_waitcnt lgkmcnt(0)
	v_add_f32_e32 v2, 0x358637bd, v5
	v_div_scale_f32 v3, s[4:5], v2, v2, 1.0
	v_rcp_f32_e32 v6, v3
	v_div_scale_f32 v7, vcc, 1.0, v2, 1.0
	s_movk_i32 s4, 0x7f
	v_fma_f32 v8, -v3, v6, 1.0
	v_fmac_f32_e32 v6, v8, v6
	v_mul_f32_e32 v8, v7, v6
	v_fma_f32 v9, -v3, v8, v7
	v_fmac_f32_e32 v8, v9, v6
	v_fma_f32 v3, -v3, v8, v7
	v_div_fmas_f32 v3, v3, v6, v8
	v_div_fixup_f32 v2, v3, v2, 1.0
	v_xad_u32 v3, v0, -1, s25
	v_subrev_u32_e32 v6, s44, v3
	v_cmp_lt_u32_e32 vcc, s4, v6
	s_mov_b64 s[10:11], -1
	v_mov_b32_e32 v3, v0
	s_and_saveexec_b64 s[4:5], vcc
	s_cbranch_execz .LBB344_276
; %bb.268:
	v_lshrrev_b32_e32 v6, 7, v6
	v_add_u32_e32 v8, -1, v6
	v_lshrrev_b32_e32 v7, 1, v8
	v_mov_b32_e32 v3, v2
	v_add_u32_e32 v7, 1, v7
	v_cmp_lt_u32_e32 vcc, 13, v8
	v_mov_b32_e32 v10, 0
	s_and_saveexec_b64 s[10:11], vcc
	s_cbranch_execz .LBB344_272
; %bb.269:
	v_mov_b32_e32 v9, 0x190
	v_and_b32_e32 v8, -8, v7
	v_lshl_add_u32 v9, v0, 2, v9
	s_mov_b32 s18, 0
	s_mov_b64 s[12:13], 0
.LBB344_270:                            ; =>This Inner Loop Header: Depth=1
	ds_read2st64_b32 v[14:15], v9 offset1:2
	ds_read2st64_b32 v[18:19], v9 offset0:4 offset1:6
	ds_read2st64_b32 v[20:21], v9 offset0:8 offset1:10
	;; [unrolled: 1-line block ×3, first 2 shown]
	v_add_u32_e32 v8, -8, v8
	s_waitcnt lgkmcnt(3)
	v_pk_mul_f32 v[14:15], v[2:3], v[14:15]
	s_waitcnt lgkmcnt(2)
	v_pk_mul_f32 v[18:19], v[2:3], v[18:19]
	ds_write2st64_b32 v9, v14, v15 offset1:2
	ds_write2st64_b32 v9, v18, v19 offset0:4 offset1:6
	ds_read2st64_b32 v[18:19], v9 offset0:16 offset1:18
	s_waitcnt lgkmcnt(4)
	v_pk_mul_f32 v[14:15], v[2:3], v[20:21]
	ds_write2st64_b32 v9, v14, v15 offset0:8 offset1:10
	s_waitcnt lgkmcnt(4)
	v_pk_mul_f32 v[14:15], v[2:3], v[22:23]
	ds_write2st64_b32 v9, v14, v15 offset0:12 offset1:14
	ds_read2st64_b32 v[14:15], v9 offset0:20 offset1:22
	s_waitcnt lgkmcnt(3)
	v_pk_mul_f32 v[18:19], v[2:3], v[18:19]
	ds_read2st64_b32 v[20:21], v9 offset0:24 offset1:26
	ds_write2st64_b32 v9, v18, v19 offset0:16 offset1:18
	ds_read2st64_b32 v[18:19], v9 offset0:28 offset1:30
	s_waitcnt lgkmcnt(3)
	v_pk_mul_f32 v[14:15], v[2:3], v[14:15]
	ds_write2st64_b32 v9, v14, v15 offset0:20 offset1:22
	s_waitcnt lgkmcnt(3)
	v_pk_mul_f32 v[14:15], v[2:3], v[20:21]
	ds_write2st64_b32 v9, v14, v15 offset0:24 offset1:26
	s_waitcnt lgkmcnt(2)
	v_pk_mul_f32 v[14:15], v[2:3], v[18:19]
	s_add_i32 s18, s18, 16
	v_cmp_eq_u32_e32 vcc, 0, v8
	ds_write2st64_b32 v9, v14, v15 offset0:28 offset1:30
	v_add_u32_e32 v9, 0x2000, v9
	s_or_b64 s[12:13], vcc, s[12:13]
	v_mov_b32_e32 v10, s18
	s_andn2_b64 exec, exec, s[12:13]
	s_cbranch_execnz .LBB344_270
; %bb.271:
	s_or_b64 exec, exec, s[12:13]
.LBB344_272:
	s_or_b64 exec, exec, s[10:11]
	v_and_b32_e32 v7, 7, v7
	v_cmp_ne_u32_e32 vcc, 0, v7
	s_and_saveexec_b64 s[10:11], vcc
	s_cbranch_execz .LBB344_275
; %bb.273:
	v_lshlrev_b32_e32 v8, 9, v10
	v_lshlrev_b32_e32 v9, 2, v0
	s_movk_i32 s12, 0x190
	v_add3_u32 v8, v8, v9, s12
	s_mov_b64 s[12:13], 0
.LBB344_274:                            ; =>This Inner Loop Header: Depth=1
	ds_read2st64_b32 v[14:15], v8 offset1:2
	v_add_u32_e32 v7, -1, v7
	v_cmp_eq_u32_e32 vcc, 0, v7
	s_or_b64 s[12:13], vcc, s[12:13]
	s_waitcnt lgkmcnt(0)
	v_pk_mul_f32 v[14:15], v[2:3], v[14:15]
	ds_write2st64_b32 v8, v14, v15 offset1:2
	v_add_u32_e32 v8, 0x400, v8
	s_andn2_b64 exec, exec, s[12:13]
	s_cbranch_execnz .LBB344_274
.LBB344_275:
	s_or_b64 exec, exec, s[10:11]
	v_add_u32_e32 v6, 1, v6
	v_and_b32_e32 v7, 0x3fffffe, v6
	v_cmp_ne_u32_e32 vcc, v6, v7
	v_lshl_add_u32 v3, v7, 7, v0
	s_orn2_b64 s[10:11], vcc, exec
.LBB344_276:
	s_or_b64 exec, exec, s[4:5]
	s_and_b64 exec, exec, s[10:11]
	s_cbranch_execz .LBB344_279
; %bb.277:
	v_mov_b32_e32 v6, 0x190
	v_lshl_add_u32 v6, v3, 2, v6
	s_mov_b64 s[4:5], 0
.LBB344_278:                            ; =>This Inner Loop Header: Depth=1
	ds_read_b32 v7, v6
	v_add_u32_e32 v3, 0x80, v3
	v_cmp_le_i32_e32 vcc, s24, v3
	s_or_b64 s[4:5], vcc, s[4:5]
	s_waitcnt lgkmcnt(0)
	v_mul_f32_e32 v7, v2, v7
	ds_write_b32 v6, v7
	v_add_u32_e32 v6, 0x200, v6
	s_andn2_b64 exec, exec, s[4:5]
	s_cbranch_execnz .LBB344_278
.LBB344_279:
	s_or_b64 exec, exec, s[2:3]
	s_mul_i32 s2, s33, s34
	v_cmp_eq_u32_e32 vcc, 0, v0
	s_mul_i32 s2, s2, s9
	s_waitcnt lgkmcnt(0)
	s_barrier
	s_and_saveexec_b64 s[4:5], vcc
	s_cbranch_execz .LBB344_281
; %bb.280:
	s_ashr_i32 s3, s2, 31
	s_lshl_b64 s[10:11], s[2:3], 2
	s_add_u32 s3, s22, s10
	s_mul_i32 s12, s33, s6
	s_addc_u32 s9, s23, s11
	s_ashr_i32 s13, s12, 31
	s_lshl_b64 s[12:13], s[12:13], 2
	s_add_u32 s3, s3, s12
	s_addc_u32 s6, s9, s13
	s_ashr_i32 s9, s8, 31
	s_lshl_b64 s[18:19], s[8:9], 2
	s_add_u32 s22, s3, s18
	s_addc_u32 s23, s6, s19
	s_add_u32 s3, s20, s10
	s_addc_u32 s6, s21, s11
	;; [unrolled: 2-line block ×3, first 2 shown]
	s_add_u32 s10, s3, s18
	v_mov_b32_e32 v2, 0
	s_addc_u32 s11, s6, s19
	global_store_dword v2, v4, s[22:23]
	global_store_dword v2, v5, s[10:11]
.LBB344_281:
	s_or_b64 exec, exec, s[4:5]
	v_mov_b32_e32 v10, 0
	v_mov_b32_e32 v15, v10
	v_mov_b32_e32 v14, v10
	s_and_saveexec_b64 s[4:5], s[0:1]
	s_cbranch_execz .LBB344_659
; %bb.282:
	s_ashr_i32 s0, s7, 31
	s_add_u32 s1, s14, s7
	s_addc_u32 s0, s15, s0
	v_lshlrev_b32_e32 v2, 3, v1
	s_load_dword s9, s[26:27], 0x0
	s_add_i32 s18, s16, -1
	v_mov_b32_e32 v3, s0
	v_add_co_u32_e32 v18, vcc, s1, v2
	s_lshl_b64 s[0:1], s[38:39], 2
	v_mov_b32_e32 v2, 0x190
	s_add_u32 s0, s36, s0
	v_addc_co_u32_e32 v19, vcc, 0, v3, vcc
	v_lshl_add_u32 v22, v16, 5, v2
	v_lshlrev_b64 v[2:3], 2, v[12:13]
	s_addc_u32 s1, s37, s1
	s_mov_b32 s6, -1
	v_mov_b32_e32 v4, s1
	v_add_co_u32_e32 v20, vcc, s0, v2
	s_mov_b32 s3, s17
	s_mov_b32 s7, 0xffffff
	v_mov_b32_e32 v17, 0
	v_add3_u32 v11, s44, v11, 7
	v_addc_co_u32_e32 v21, vcc, v4, v3, vcc
	s_mov_b64 s[10:11], 0
	s_mov_b32 s19, 0x7f800000
	s_movk_i32 s20, 0x7fff
	s_movk_i32 s21, 0x80
	;; [unrolled: 1-line block ×3, first 2 shown]
	v_bfrev_b32_e32 v13, 60
	v_mov_b32_e32 v14, 0
	v_mov_b32_e32 v15, 0
	;; [unrolled: 1-line block ×3, first 2 shown]
	s_branch .LBB344_284
.LBB344_283:                            ;   in Loop: Header=BB344_284 Depth=1
	s_or_b64 exec, exec, s[0:1]
	v_and_b32_e32 v33, 0xffff0000, v34
	v_and_b32_e32 v35, 0xffff0000, v23
	;; [unrolled: 1-line block ×8, first 2 shown]
	v_pk_add_f32 v[8:9], v[8:9], v[34:35]
	v_pk_add_f32 v[24:25], v[24:25], v[32:33]
	v_add_f32_e32 v7, v8, v9
	v_add_f32_e32 v7, v7, v24
	;; [unrolled: 1-line block ×4, first 2 shown]
	v_and_b32_e32 v7, 0xffff0000, v44
	v_and_b32_e32 v6, 0xffff0000, v6
	;; [unrolled: 1-line block ×8, first 2 shown]
	v_pk_add_f32 v[6:7], v[32:33], v[6:7]
	v_pk_add_f32 v[8:9], v[24:25], v[8:9]
	v_add_f32_e32 v5, v6, v7
	v_add_f32_e32 v5, v5, v8
	;; [unrolled: 1-line block ×4, first 2 shown]
	v_and_b32_e32 v7, 0xffff0000, v3
	v_and_b32_e32 v5, 0xffff0000, v28
	;; [unrolled: 1-line block ×8, first 2 shown]
	v_pk_add_f32 v[2:3], v[2:3], v[4:5]
	v_pk_add_f32 v[4:5], v[8:9], v[6:7]
	v_add_f32_e32 v2, v2, v3
	v_add_u32_e32 v12, 2, v12
	v_add_f32_e32 v2, v2, v4
	v_cmp_le_i32_e32 vcc, s31, v12
	v_add_f32_e32 v2, v2, v5
	s_or_b64 s[10:11], vcc, s[10:11]
	v_add_co_u32_e32 v20, vcc, 8, v20
	v_add_f32_e32 v10, v10, v2
	v_add_u32_e32 v11, 16, v11
	v_add_u32_e32 v22, 64, v22
	v_addc_co_u32_e32 v21, vcc, 0, v21, vcc
	s_andn2_b64 exec, exec, s[10:11]
	s_cbranch_execz .LBB344_658
.LBB344_284:                            ; =>This Inner Loop Header: Depth=1
	global_load_dword v16, v[20:21], off
	ds_read2_b64 v[6:9], v22 offset1:1
	ds_read2_b64 v[2:5], v22 offset0:2 offset1:3
                                        ; implicit-def: $vgpr35
	s_waitcnt lgkmcnt(0)
	v_and_b32_e32 v23, 0x7f800000, v6
	v_cmp_ne_u32_e32 vcc, s19, v23
	s_and_saveexec_b64 s[0:1], vcc
	s_xor_b64 s[0:1], exec, s[0:1]
; %bb.285:                              ;   in Loop: Header=BB344_284 Depth=1
	v_bfe_u32 v23, v6, 16, 1
	v_add3_u32 v35, v6, v23, s20
; %bb.286:                              ;   in Loop: Header=BB344_284 Depth=1
	s_andn2_saveexec_b64 s[0:1], s[0:1]
; %bb.287:                              ;   in Loop: Header=BB344_284 Depth=1
	v_or_b32_e32 v23, 0x10000, v6
	v_cmp_eq_u32_sdwa vcc, v6, v17 src0_sel:WORD_0 src1_sel:DWORD
	v_cndmask_b32_e32 v35, v23, v6, vcc
; %bb.288:                              ;   in Loop: Header=BB344_284 Depth=1
	s_or_b64 exec, exec, s[0:1]
	v_and_b32_e32 v6, 0x7f800000, v7
	v_cmp_ne_u32_e32 vcc, s19, v6
                                        ; implicit-def: $vgpr36
	s_and_saveexec_b64 s[0:1], vcc
	s_xor_b64 s[0:1], exec, s[0:1]
; %bb.289:                              ;   in Loop: Header=BB344_284 Depth=1
	v_bfe_u32 v6, v7, 16, 1
	v_add3_u32 v36, v7, v6, s20
; %bb.290:                              ;   in Loop: Header=BB344_284 Depth=1
	s_andn2_saveexec_b64 s[0:1], s[0:1]
; %bb.291:                              ;   in Loop: Header=BB344_284 Depth=1
	v_or_b32_e32 v6, 0x10000, v7
	v_cmp_eq_u32_sdwa vcc, v7, v17 src0_sel:WORD_0 src1_sel:DWORD
	v_cndmask_b32_e32 v36, v6, v7, vcc
; %bb.292:                              ;   in Loop: Header=BB344_284 Depth=1
	s_or_b64 exec, exec, s[0:1]
	v_and_b32_e32 v6, 0x7f800000, v8
	v_cmp_ne_u32_e32 vcc, s19, v6
                                        ; implicit-def: $vgpr37
	s_and_saveexec_b64 s[0:1], vcc
	s_xor_b64 s[0:1], exec, s[0:1]
; %bb.293:                              ;   in Loop: Header=BB344_284 Depth=1
	v_bfe_u32 v6, v8, 16, 1
	v_add3_u32 v37, v8, v6, s20
; %bb.294:                              ;   in Loop: Header=BB344_284 Depth=1
	s_andn2_saveexec_b64 s[0:1], s[0:1]
; %bb.295:                              ;   in Loop: Header=BB344_284 Depth=1
	v_or_b32_e32 v6, 0x10000, v8
	v_cmp_eq_u32_sdwa vcc, v8, v17 src0_sel:WORD_0 src1_sel:DWORD
	v_cndmask_b32_e32 v37, v6, v8, vcc
; %bb.296:                              ;   in Loop: Header=BB344_284 Depth=1
	s_or_b64 exec, exec, s[0:1]
	v_and_b32_e32 v6, 0x7f800000, v9
	v_cmp_ne_u32_e32 vcc, s19, v6
                                        ; implicit-def: $vgpr23
	s_and_saveexec_b64 s[0:1], vcc
	s_xor_b64 s[0:1], exec, s[0:1]
; %bb.297:                              ;   in Loop: Header=BB344_284 Depth=1
	v_bfe_u32 v6, v9, 16, 1
	v_add3_u32 v23, v9, v6, s20
                                        ; implicit-def: $vgpr6_vgpr7_vgpr8_vgpr9
; %bb.298:                              ;   in Loop: Header=BB344_284 Depth=1
	s_andn2_saveexec_b64 s[0:1], s[0:1]
; %bb.299:                              ;   in Loop: Header=BB344_284 Depth=1
	v_or_b32_e32 v6, 0x10000, v9
	v_cmp_eq_u32_sdwa vcc, v9, v17 src0_sel:WORD_0 src1_sel:DWORD
	v_cndmask_b32_e32 v23, v6, v9, vcc
; %bb.300:                              ;   in Loop: Header=BB344_284 Depth=1
	s_or_b64 exec, exec, s[0:1]
	v_and_b32_e32 v6, 0x7f800000, v2
	v_cmp_ne_u32_e32 vcc, s19, v6
                                        ; implicit-def: $vgpr24
	s_and_saveexec_b64 s[0:1], vcc
	s_xor_b64 s[0:1], exec, s[0:1]
; %bb.301:                              ;   in Loop: Header=BB344_284 Depth=1
	v_bfe_u32 v6, v2, 16, 1
	v_add3_u32 v24, v2, v6, s20
; %bb.302:                              ;   in Loop: Header=BB344_284 Depth=1
	s_andn2_saveexec_b64 s[0:1], s[0:1]
; %bb.303:                              ;   in Loop: Header=BB344_284 Depth=1
	v_or_b32_e32 v6, 0x10000, v2
	v_cmp_eq_u32_sdwa vcc, v2, v17 src0_sel:WORD_0 src1_sel:DWORD
	v_cndmask_b32_e32 v24, v6, v2, vcc
; %bb.304:                              ;   in Loop: Header=BB344_284 Depth=1
	s_or_b64 exec, exec, s[0:1]
	v_and_b32_e32 v2, 0x7f800000, v3
	v_cmp_ne_u32_e32 vcc, s19, v2
                                        ; implicit-def: $vgpr25
	s_and_saveexec_b64 s[0:1], vcc
	s_xor_b64 s[0:1], exec, s[0:1]
; %bb.305:                              ;   in Loop: Header=BB344_284 Depth=1
	v_bfe_u32 v2, v3, 16, 1
	v_add3_u32 v25, v3, v2, s20
; %bb.306:                              ;   in Loop: Header=BB344_284 Depth=1
	s_andn2_saveexec_b64 s[0:1], s[0:1]
; %bb.307:                              ;   in Loop: Header=BB344_284 Depth=1
	v_or_b32_e32 v2, 0x10000, v3
	v_cmp_eq_u32_sdwa vcc, v3, v17 src0_sel:WORD_0 src1_sel:DWORD
	v_cndmask_b32_e32 v25, v2, v3, vcc
; %bb.308:                              ;   in Loop: Header=BB344_284 Depth=1
	s_or_b64 exec, exec, s[0:1]
	v_and_b32_e32 v2, 0x7f800000, v4
	v_cmp_ne_u32_e32 vcc, s19, v2
                                        ; implicit-def: $vgpr26
	s_and_saveexec_b64 s[0:1], vcc
	s_xor_b64 s[0:1], exec, s[0:1]
; %bb.309:                              ;   in Loop: Header=BB344_284 Depth=1
	v_bfe_u32 v2, v4, 16, 1
	v_add3_u32 v26, v4, v2, s20
; %bb.310:                              ;   in Loop: Header=BB344_284 Depth=1
	s_andn2_saveexec_b64 s[0:1], s[0:1]
; %bb.311:                              ;   in Loop: Header=BB344_284 Depth=1
	v_or_b32_e32 v2, 0x10000, v4
	v_cmp_eq_u32_sdwa vcc, v4, v17 src0_sel:WORD_0 src1_sel:DWORD
	v_cndmask_b32_e32 v26, v2, v4, vcc
; %bb.312:                              ;   in Loop: Header=BB344_284 Depth=1
	s_or_b64 exec, exec, s[0:1]
	v_and_b32_e32 v2, 0x7f800000, v5
	v_cmp_ne_u32_e32 vcc, s19, v2
                                        ; implicit-def: $vgpr34
	s_and_saveexec_b64 s[0:1], vcc
	s_xor_b64 s[0:1], exec, s[0:1]
; %bb.313:                              ;   in Loop: Header=BB344_284 Depth=1
	v_bfe_u32 v2, v5, 16, 1
	v_add3_u32 v34, v5, v2, s20
                                        ; implicit-def: $vgpr2_vgpr3_vgpr4_vgpr5
; %bb.314:                              ;   in Loop: Header=BB344_284 Depth=1
	s_andn2_saveexec_b64 s[0:1], s[0:1]
; %bb.315:                              ;   in Loop: Header=BB344_284 Depth=1
	v_or_b32_e32 v2, 0x10000, v5
	v_cmp_eq_u32_sdwa vcc, v5, v17 src0_sel:WORD_0 src1_sel:DWORD
	v_cndmask_b32_e32 v34, v2, v5, vcc
; %bb.316:                              ;   in Loop: Header=BB344_284 Depth=1
	s_or_b64 exec, exec, s[0:1]
	s_waitcnt vmcnt(0)
	v_mad_i64_i32 v[2:3], s[0:1], v16, s3, v[18:19]
	global_load_dwordx2 v[4:5], v[2:3], off
	v_mov_b32_e32 v6, 0
	s_waitcnt vmcnt(0)
	v_cmp_ne_u16_sdwa s[12:13], v4, v17 src0_sel:BYTE_0 src1_sel:DWORD
	s_and_saveexec_b64 s[0:1], s[12:13]
	s_cbranch_execz .LBB344_322
; %bb.317:                              ;   in Loop: Header=BB344_284 Depth=1
	v_cmp_ne_u16_sdwa s[14:15], v4, s21 src0_sel:BYTE_0 src1_sel:DWORD
	v_bfrev_b32_e32 v6, 1
	s_and_saveexec_b64 s[12:13], s[14:15]
	s_cbranch_execz .LBB344_321
; %bb.318:                              ;   in Loop: Header=BB344_284 Depth=1
	v_and_b32_e32 v7, 0x7f, v4
	v_cmp_ne_u32_e32 vcc, s22, v7
	v_mov_b32_e32 v6, 0x7f800001
	s_and_saveexec_b64 s[14:15], vcc
	s_cbranch_execz .LBB344_320
; %bb.319:                              ;   in Loop: Header=BB344_284 Depth=1
	v_and_b32_e32 v6, 7, v4
	v_ffbh_u32_e32 v6, v6
	v_min_u32_e32 v6, 32, v6
	v_lshrrev_b32_e32 v8, 3, v7
	v_subrev_u32_e32 v9, 28, v6
	v_sub_u32_e32 v6, 29, v6
	v_cmp_gt_u32_e32 vcc, 8, v7
	v_cndmask_b32_e32 v8, v8, v6, vcc
	v_cndmask_b32_e32 v6, 0, v9, vcc
	v_lshlrev_b64 v[6:7], v6, v[4:5]
	v_lshlrev_b32_e32 v6, 20, v6
	v_lshlrev_b32_e32 v7, 24, v4
	v_and_b32_e32 v6, 0x700000, v6
	v_and_b32_e32 v7, 0x80000000, v7
	v_lshl_add_u32 v8, v8, 23, v13
	v_or3_b32 v6, v7, v8, v6
.LBB344_320:                            ;   in Loop: Header=BB344_284 Depth=1
	s_or_b64 exec, exec, s[14:15]
.LBB344_321:                            ;   in Loop: Header=BB344_284 Depth=1
	s_or_b64 exec, exec, s[12:13]
.LBB344_322:                            ;   in Loop: Header=BB344_284 Depth=1
	s_or_b64 exec, exec, s[0:1]
	v_mul_f32_e32 v6, s9, v6
	v_and_b32_e32 v7, 0x7f800000, v6
	v_cmp_ne_u32_e32 vcc, s19, v7
                                        ; implicit-def: $vgpr7
	s_and_saveexec_b64 s[0:1], vcc
	s_xor_b64 s[0:1], exec, s[0:1]
; %bb.323:                              ;   in Loop: Header=BB344_284 Depth=1
	v_bfe_u32 v7, v6, 16, 1
	v_add3_u32 v7, v6, v7, s20
                                        ; implicit-def: $vgpr6
; %bb.324:                              ;   in Loop: Header=BB344_284 Depth=1
	s_andn2_saveexec_b64 s[0:1], s[0:1]
; %bb.325:                              ;   in Loop: Header=BB344_284 Depth=1
	v_or_b32_e32 v7, 0x10000, v6
	v_cmp_eq_u32_sdwa vcc, v6, v17 src0_sel:WORD_0 src1_sel:DWORD
	v_cndmask_b32_e32 v7, v7, v6, vcc
; %bb.326:                              ;   in Loop: Header=BB344_284 Depth=1
	s_or_b64 exec, exec, s[0:1]
	v_lshrrev_b16_e32 v6, 8, v4
	v_cmp_ne_u16_e32 vcc, 0, v6
	v_mov_b32_e32 v8, 0
	s_and_saveexec_b64 s[0:1], vcc
	s_cbranch_execz .LBB344_332
; %bb.327:                              ;   in Loop: Header=BB344_284 Depth=1
	v_cmp_ne_u16_e32 vcc, s21, v6
	v_bfrev_b32_e32 v8, 1
	s_and_saveexec_b64 s[12:13], vcc
	s_cbranch_execz .LBB344_331
; %bb.328:                              ;   in Loop: Header=BB344_284 Depth=1
	v_and_b32_e32 v9, 0x7f, v6
	v_cmp_ne_u32_e32 vcc, s22, v9
	v_mov_b32_e32 v8, 0x7f800001
	s_and_saveexec_b64 s[14:15], vcc
	s_cbranch_execz .LBB344_330
; %bb.329:                              ;   in Loop: Header=BB344_284 Depth=1
	v_and_b32_e32 v8, 7, v6
	v_ffbh_u32_e32 v27, v8
	v_min_u32_e32 v27, 32, v27
	v_subrev_u32_e32 v28, 28, v27
	v_lshlrev_b64 v[28:29], v28, v[6:7]
	v_lshrrev_b32_e32 v16, 3, v9
	v_sub_u32_e32 v6, 29, v27
	v_and_b32_e32 v27, 7, v28
	v_cmp_gt_u32_e32 vcc, 8, v9
	v_cndmask_b32_e32 v6, v16, v6, vcc
	v_cndmask_b32_e32 v8, v8, v27, vcc
	v_lshlrev_b32_e32 v9, 16, v4
	v_lshlrev_b32_e32 v8, 20, v8
	v_and_b32_e32 v9, 0x80000000, v9
	v_lshl_add_u32 v6, v6, 23, v13
	v_or3_b32 v8, v9, v6, v8
.LBB344_330:                            ;   in Loop: Header=BB344_284 Depth=1
	s_or_b64 exec, exec, s[14:15]
.LBB344_331:                            ;   in Loop: Header=BB344_284 Depth=1
	s_or_b64 exec, exec, s[12:13]
.LBB344_332:                            ;   in Loop: Header=BB344_284 Depth=1
	s_or_b64 exec, exec, s[0:1]
	v_mul_f32_e32 v6, s9, v8
	v_and_b32_e32 v8, 0x7f800000, v6
	v_cmp_ne_u32_e32 vcc, s19, v8
                                        ; implicit-def: $vgpr8
	s_and_saveexec_b64 s[0:1], vcc
	s_xor_b64 s[0:1], exec, s[0:1]
; %bb.333:                              ;   in Loop: Header=BB344_284 Depth=1
	v_bfe_u32 v8, v6, 16, 1
	v_add3_u32 v8, v6, v8, s20
                                        ; implicit-def: $vgpr6
; %bb.334:                              ;   in Loop: Header=BB344_284 Depth=1
	s_andn2_saveexec_b64 s[0:1], s[0:1]
; %bb.335:                              ;   in Loop: Header=BB344_284 Depth=1
	v_or_b32_e32 v8, 0x10000, v6
	v_cmp_eq_u32_sdwa vcc, v6, v17 src0_sel:WORD_0 src1_sel:DWORD
	v_cndmask_b32_e32 v8, v8, v6, vcc
; %bb.336:                              ;   in Loop: Header=BB344_284 Depth=1
	s_or_b64 exec, exec, s[0:1]
	v_lshrrev_b32_e32 v6, 16, v4
	v_cmp_ne_u16_sdwa s[12:13], v6, v17 src0_sel:BYTE_0 src1_sel:DWORD
	v_mov_b32_e32 v9, 0
	s_and_saveexec_b64 s[0:1], s[12:13]
	s_cbranch_execz .LBB344_342
; %bb.337:                              ;   in Loop: Header=BB344_284 Depth=1
	v_cmp_ne_u16_sdwa s[14:15], v6, s21 src0_sel:BYTE_0 src1_sel:DWORD
	v_bfrev_b32_e32 v9, 1
	s_and_saveexec_b64 s[12:13], s[14:15]
	s_cbranch_execz .LBB344_341
; %bb.338:                              ;   in Loop: Header=BB344_284 Depth=1
	v_bfe_u32 v16, v4, 16, 7
	v_cmp_ne_u32_e32 vcc, s22, v16
	v_mov_b32_e32 v9, 0x7f800001
	s_and_saveexec_b64 s[14:15], vcc
	s_cbranch_execz .LBB344_340
; %bb.339:                              ;   in Loop: Header=BB344_284 Depth=1
	v_and_b32_e32 v9, 7, v6
	v_ffbh_u32_e32 v28, v9
	v_min_u32_e32 v30, 32, v28
	v_subrev_u32_e32 v28, 28, v30
	v_lshlrev_b64 v[28:29], v28, v[6:7]
	v_lshrrev_b32_e32 v27, 3, v16
	v_sub_u32_e32 v29, 29, v30
	v_and_b32_e32 v28, 7, v28
	v_cmp_gt_u32_e32 vcc, 8, v16
	v_cndmask_b32_e32 v16, v27, v29, vcc
	v_cndmask_b32_e32 v9, v9, v28, vcc
	v_lshlrev_b32_e32 v6, 24, v6
	v_lshlrev_b32_e32 v9, 20, v9
	v_and_b32_e32 v6, 0x80000000, v6
	v_lshl_add_u32 v16, v16, 23, v13
	v_or3_b32 v9, v6, v16, v9
.LBB344_340:                            ;   in Loop: Header=BB344_284 Depth=1
	s_or_b64 exec, exec, s[14:15]
.LBB344_341:                            ;   in Loop: Header=BB344_284 Depth=1
	s_or_b64 exec, exec, s[12:13]
.LBB344_342:                            ;   in Loop: Header=BB344_284 Depth=1
	s_or_b64 exec, exec, s[0:1]
	v_mul_f32_e32 v6, s9, v9
	v_and_b32_e32 v9, 0x7f800000, v6
	v_cmp_ne_u32_e32 vcc, s19, v9
                                        ; implicit-def: $vgpr9
	s_and_saveexec_b64 s[0:1], vcc
	s_xor_b64 s[0:1], exec, s[0:1]
; %bb.343:                              ;   in Loop: Header=BB344_284 Depth=1
	v_bfe_u32 v9, v6, 16, 1
	v_add3_u32 v9, v6, v9, s20
                                        ; implicit-def: $vgpr6
; %bb.344:                              ;   in Loop: Header=BB344_284 Depth=1
	s_andn2_saveexec_b64 s[0:1], s[0:1]
; %bb.345:                              ;   in Loop: Header=BB344_284 Depth=1
	v_or_b32_e32 v9, 0x10000, v6
	v_cmp_eq_u32_sdwa vcc, v6, v17 src0_sel:WORD_0 src1_sel:DWORD
	v_cndmask_b32_e32 v9, v9, v6, vcc
; %bb.346:                              ;   in Loop: Header=BB344_284 Depth=1
	s_or_b64 exec, exec, s[0:1]
	v_cmp_lt_u32_e32 vcc, s7, v4
	v_mov_b32_e32 v16, 0
	s_and_saveexec_b64 s[0:1], vcc
	s_cbranch_execz .LBB344_352
; %bb.347:                              ;   in Loop: Header=BB344_284 Depth=1
	v_lshrrev_b32_e32 v6, 24, v4
	v_cmp_ne_u32_e32 vcc, s21, v6
	v_bfrev_b32_e32 v16, 1
	s_and_saveexec_b64 s[12:13], vcc
	s_cbranch_execz .LBB344_351
; %bb.348:                              ;   in Loop: Header=BB344_284 Depth=1
	v_bfe_u32 v27, v4, 24, 7
	v_cmp_ne_u32_e32 vcc, s22, v27
	v_mov_b32_e32 v16, 0x7f800001
	s_and_saveexec_b64 s[14:15], vcc
	s_cbranch_execz .LBB344_350
; %bb.349:                              ;   in Loop: Header=BB344_284 Depth=1
	v_and_b32_e32 v16, 7, v6
	v_ffbh_u32_e32 v28, v16
	v_min_u32_e32 v31, 32, v28
	v_subrev_u32_e32 v28, 28, v31
	v_lshlrev_b64 v[28:29], v28, v[6:7]
	v_lshrrev_b32_e32 v30, 3, v27
	v_sub_u32_e32 v29, 29, v31
	v_and_b32_e32 v28, 7, v28
	v_cmp_gt_u32_e32 vcc, 8, v27
	v_cndmask_b32_e32 v27, v30, v29, vcc
	v_cndmask_b32_e32 v16, v16, v28, vcc
	v_lshlrev_b32_e32 v6, 24, v6
	v_lshlrev_b32_e32 v16, 20, v16
	v_and_b32_e32 v6, 0x80000000, v6
	v_lshl_add_u32 v27, v27, 23, v13
	v_or3_b32 v16, v6, v27, v16
.LBB344_350:                            ;   in Loop: Header=BB344_284 Depth=1
	s_or_b64 exec, exec, s[14:15]
.LBB344_351:                            ;   in Loop: Header=BB344_284 Depth=1
	s_or_b64 exec, exec, s[12:13]
.LBB344_352:                            ;   in Loop: Header=BB344_284 Depth=1
	s_or_b64 exec, exec, s[0:1]
	v_mul_f32_e32 v6, s9, v16
	v_and_b32_e32 v16, 0x7f800000, v6
	v_cmp_ne_u32_e32 vcc, s19, v16
                                        ; implicit-def: $vgpr28
	s_and_saveexec_b64 s[0:1], vcc
	s_xor_b64 s[0:1], exec, s[0:1]
; %bb.353:                              ;   in Loop: Header=BB344_284 Depth=1
	v_bfe_u32 v16, v6, 16, 1
	v_add3_u32 v28, v6, v16, s20
                                        ; implicit-def: $vgpr6
; %bb.354:                              ;   in Loop: Header=BB344_284 Depth=1
	s_andn2_saveexec_b64 s[0:1], s[0:1]
; %bb.355:                              ;   in Loop: Header=BB344_284 Depth=1
	v_or_b32_e32 v16, 0x10000, v6
	v_cmp_eq_u32_sdwa vcc, v6, v17 src0_sel:WORD_0 src1_sel:DWORD
	v_cndmask_b32_e32 v28, v16, v6, vcc
; %bb.356:                              ;   in Loop: Header=BB344_284 Depth=1
	s_or_b64 exec, exec, s[0:1]
	v_mov_b32_e32 v16, v5
	v_cmp_ne_u16_sdwa s[12:13], v5, v17 src0_sel:BYTE_0 src1_sel:DWORD
	v_mov_b32_e32 v6, 0
	s_and_saveexec_b64 s[0:1], s[12:13]
	s_cbranch_execz .LBB344_362
; %bb.357:                              ;   in Loop: Header=BB344_284 Depth=1
	v_cmp_ne_u16_sdwa s[14:15], v5, s21 src0_sel:BYTE_0 src1_sel:DWORD
	v_bfrev_b32_e32 v6, 1
	s_and_saveexec_b64 s[12:13], s[14:15]
	s_cbranch_execz .LBB344_361
; %bb.358:                              ;   in Loop: Header=BB344_284 Depth=1
	v_and_b32_e32 v27, 0x7f, v5
	v_cmp_ne_u32_e32 vcc, s22, v27
	v_mov_b32_e32 v6, 0x7f800001
	s_and_saveexec_b64 s[14:15], vcc
	s_cbranch_execz .LBB344_360
; %bb.359:                              ;   in Loop: Header=BB344_284 Depth=1
	v_and_b32_e32 v6, 7, v5
	v_ffbh_u32_e32 v6, v6
	v_min_u32_e32 v6, 32, v6
	v_subrev_u32_e32 v30, 28, v6
	v_cmp_gt_u32_e32 vcc, 8, v27
	v_lshrrev_b32_e32 v29, 3, v27
	v_cndmask_b32_e32 v27, 0, v30, vcc
	v_sub_u32_e32 v6, 29, v6
	v_lshlrev_b64 v[30:31], v27, v[16:17]
	v_cndmask_b32_e32 v6, v29, v6, vcc
	v_lshlrev_b32_e32 v27, 20, v30
	v_lshlrev_b32_e32 v29, 24, v16
	v_and_b32_e32 v27, 0x700000, v27
	v_and_b32_e32 v29, 0x80000000, v29
	v_lshl_add_u32 v6, v6, 23, v13
	v_or3_b32 v6, v29, v6, v27
.LBB344_360:                            ;   in Loop: Header=BB344_284 Depth=1
	s_or_b64 exec, exec, s[14:15]
.LBB344_361:                            ;   in Loop: Header=BB344_284 Depth=1
	s_or_b64 exec, exec, s[12:13]
.LBB344_362:                            ;   in Loop: Header=BB344_284 Depth=1
	s_or_b64 exec, exec, s[0:1]
	v_mul_f32_e32 v6, s9, v6
	v_and_b32_e32 v27, 0x7f800000, v6
	v_cmp_ne_u32_e32 vcc, s19, v27
                                        ; implicit-def: $vgpr29
	s_and_saveexec_b64 s[0:1], vcc
	s_xor_b64 s[0:1], exec, s[0:1]
; %bb.363:                              ;   in Loop: Header=BB344_284 Depth=1
	v_bfe_u32 v27, v6, 16, 1
	v_add3_u32 v29, v6, v27, s20
                                        ; implicit-def: $vgpr6
; %bb.364:                              ;   in Loop: Header=BB344_284 Depth=1
	s_andn2_saveexec_b64 s[0:1], s[0:1]
; %bb.365:                              ;   in Loop: Header=BB344_284 Depth=1
	v_or_b32_e32 v27, 0x10000, v6
	v_cmp_eq_u32_sdwa vcc, v6, v17 src0_sel:WORD_0 src1_sel:DWORD
	v_cndmask_b32_e32 v29, v27, v6, vcc
; %bb.366:                              ;   in Loop: Header=BB344_284 Depth=1
	s_or_b64 exec, exec, s[0:1]
	v_lshrrev_b16_e32 v6, 8, v16
	v_cmp_ne_u16_e32 vcc, 0, v6
	v_mov_b32_e32 v27, 0
	s_and_saveexec_b64 s[0:1], vcc
	s_cbranch_execz .LBB344_372
; %bb.367:                              ;   in Loop: Header=BB344_284 Depth=1
	v_cmp_ne_u16_e32 vcc, s21, v6
	v_bfrev_b32_e32 v27, 1
	s_and_saveexec_b64 s[12:13], vcc
	s_cbranch_execz .LBB344_371
; %bb.368:                              ;   in Loop: Header=BB344_284 Depth=1
	v_and_b32_e32 v30, 0x7f, v6
	v_cmp_ne_u32_e32 vcc, s22, v30
	v_mov_b32_e32 v27, 0x7f800001
	s_and_saveexec_b64 s[14:15], vcc
	s_cbranch_execz .LBB344_370
; %bb.369:                              ;   in Loop: Header=BB344_284 Depth=1
	v_and_b32_e32 v27, 7, v6
	v_ffbh_u32_e32 v32, v27
	v_min_u32_e32 v38, 32, v32
	v_subrev_u32_e32 v32, 28, v38
	v_lshlrev_b64 v[32:33], v32, v[6:7]
	v_lshrrev_b32_e32 v31, 3, v30
	v_sub_u32_e32 v6, 29, v38
	v_and_b32_e32 v32, 7, v32
	v_cmp_gt_u32_e32 vcc, 8, v30
	v_cndmask_b32_e32 v6, v31, v6, vcc
	v_cndmask_b32_e32 v27, v27, v32, vcc
	v_lshlrev_b32_e32 v16, 16, v16
	v_lshlrev_b32_e32 v27, 20, v27
	v_and_b32_e32 v16, 0x80000000, v16
	v_lshl_add_u32 v6, v6, 23, v13
	v_or3_b32 v27, v16, v6, v27
.LBB344_370:                            ;   in Loop: Header=BB344_284 Depth=1
	s_or_b64 exec, exec, s[14:15]
.LBB344_371:                            ;   in Loop: Header=BB344_284 Depth=1
	s_or_b64 exec, exec, s[12:13]
.LBB344_372:                            ;   in Loop: Header=BB344_284 Depth=1
	s_or_b64 exec, exec, s[0:1]
	v_mul_f32_e32 v6, s9, v27
	v_and_b32_e32 v16, 0x7f800000, v6
	v_cmp_ne_u32_e32 vcc, s19, v16
                                        ; implicit-def: $vgpr16
	s_and_saveexec_b64 s[0:1], vcc
	s_xor_b64 s[0:1], exec, s[0:1]
; %bb.373:                              ;   in Loop: Header=BB344_284 Depth=1
	v_bfe_u32 v16, v6, 16, 1
	v_add3_u32 v16, v6, v16, s20
                                        ; implicit-def: $vgpr6
; %bb.374:                              ;   in Loop: Header=BB344_284 Depth=1
	s_andn2_saveexec_b64 s[0:1], s[0:1]
; %bb.375:                              ;   in Loop: Header=BB344_284 Depth=1
	v_or_b32_e32 v16, 0x10000, v6
	v_cmp_eq_u32_sdwa vcc, v6, v17 src0_sel:WORD_0 src1_sel:DWORD
	v_cndmask_b32_e32 v16, v16, v6, vcc
; %bb.376:                              ;   in Loop: Header=BB344_284 Depth=1
	s_or_b64 exec, exec, s[0:1]
	v_lshrrev_b32_e32 v6, 16, v5
	v_cmp_ne_u16_sdwa s[12:13], v6, v17 src0_sel:BYTE_0 src1_sel:DWORD
	v_mov_b32_e32 v27, 0
	s_and_saveexec_b64 s[0:1], s[12:13]
	s_cbranch_execz .LBB344_382
; %bb.377:                              ;   in Loop: Header=BB344_284 Depth=1
	v_cmp_ne_u16_sdwa s[14:15], v6, s21 src0_sel:BYTE_0 src1_sel:DWORD
	v_bfrev_b32_e32 v27, 1
	s_and_saveexec_b64 s[12:13], s[14:15]
	s_cbranch_execz .LBB344_381
; %bb.378:                              ;   in Loop: Header=BB344_284 Depth=1
	v_bfe_u32 v30, v5, 16, 7
	v_cmp_ne_u32_e32 vcc, s22, v30
	v_mov_b32_e32 v27, 0x7f800001
	s_and_saveexec_b64 s[14:15], vcc
	s_cbranch_execz .LBB344_380
; %bb.379:                              ;   in Loop: Header=BB344_284 Depth=1
	v_and_b32_e32 v27, 7, v6
	v_ffbh_u32_e32 v32, v27
	v_min_u32_e32 v38, 32, v32
	v_subrev_u32_e32 v32, 28, v38
	v_lshlrev_b64 v[32:33], v32, v[6:7]
	v_lshrrev_b32_e32 v31, 3, v30
	v_sub_u32_e32 v33, 29, v38
	v_and_b32_e32 v32, 7, v32
	v_cmp_gt_u32_e32 vcc, 8, v30
	v_cndmask_b32_e32 v30, v31, v33, vcc
	v_cndmask_b32_e32 v27, v27, v32, vcc
	v_lshlrev_b32_e32 v6, 24, v6
	v_lshlrev_b32_e32 v27, 20, v27
	v_and_b32_e32 v6, 0x80000000, v6
	v_lshl_add_u32 v30, v30, 23, v13
	v_or3_b32 v27, v6, v30, v27
.LBB344_380:                            ;   in Loop: Header=BB344_284 Depth=1
	s_or_b64 exec, exec, s[14:15]
.LBB344_381:                            ;   in Loop: Header=BB344_284 Depth=1
	s_or_b64 exec, exec, s[12:13]
.LBB344_382:                            ;   in Loop: Header=BB344_284 Depth=1
	s_or_b64 exec, exec, s[0:1]
	v_mul_f32_e32 v6, s9, v27
	v_and_b32_e32 v27, 0x7f800000, v6
	v_cmp_ne_u32_e32 vcc, s19, v27
                                        ; implicit-def: $vgpr30
	s_and_saveexec_b64 s[0:1], vcc
	s_xor_b64 s[0:1], exec, s[0:1]
; %bb.383:                              ;   in Loop: Header=BB344_284 Depth=1
	v_bfe_u32 v27, v6, 16, 1
	v_add3_u32 v30, v6, v27, s20
                                        ; implicit-def: $vgpr6
; %bb.384:                              ;   in Loop: Header=BB344_284 Depth=1
	s_andn2_saveexec_b64 s[0:1], s[0:1]
; %bb.385:                              ;   in Loop: Header=BB344_284 Depth=1
	v_or_b32_e32 v27, 0x10000, v6
	v_cmp_eq_u32_sdwa vcc, v6, v17 src0_sel:WORD_0 src1_sel:DWORD
	v_cndmask_b32_e32 v30, v27, v6, vcc
; %bb.386:                              ;   in Loop: Header=BB344_284 Depth=1
	s_or_b64 exec, exec, s[0:1]
	v_cmp_lt_u64_e32 vcc, s[6:7], v[4:5]
	v_mov_b32_e32 v6, 0
	s_and_saveexec_b64 s[0:1], vcc
	s_cbranch_execz .LBB344_392
; %bb.387:                              ;   in Loop: Header=BB344_284 Depth=1
	v_lshrrev_b32_e32 v4, 24, v5
	v_cmp_ne_u32_e32 vcc, s21, v4
	v_bfrev_b32_e32 v6, 1
	s_and_saveexec_b64 s[12:13], vcc
	s_cbranch_execz .LBB344_391
; %bb.388:                              ;   in Loop: Header=BB344_284 Depth=1
	v_bfe_u32 v5, v5, 24, 7
	v_cmp_ne_u32_e32 vcc, s22, v5
	v_mov_b32_e32 v6, 0x7f800001
	s_and_saveexec_b64 s[14:15], vcc
	s_cbranch_execz .LBB344_390
; %bb.389:                              ;   in Loop: Header=BB344_284 Depth=1
	v_and_b32_e32 v6, 7, v4
	v_ffbh_u32_e32 v31, v6
	v_min_u32_e32 v31, 32, v31
	v_subrev_u32_e32 v32, 28, v31
	v_lshlrev_b64 v[32:33], v32, v[4:5]
	v_lshrrev_b32_e32 v27, 3, v5
	v_sub_u32_e32 v31, 29, v31
	v_and_b32_e32 v32, 7, v32
	v_cmp_gt_u32_e32 vcc, 8, v5
	v_cndmask_b32_e32 v5, v27, v31, vcc
	v_cndmask_b32_e32 v6, v6, v32, vcc
	v_lshlrev_b32_e32 v4, 24, v4
	v_lshlrev_b32_e32 v6, 20, v6
	v_and_b32_e32 v4, 0x80000000, v4
	v_lshl_add_u32 v5, v5, 23, v13
	v_or3_b32 v6, v4, v5, v6
.LBB344_390:                            ;   in Loop: Header=BB344_284 Depth=1
	s_or_b64 exec, exec, s[14:15]
.LBB344_391:                            ;   in Loop: Header=BB344_284 Depth=1
	s_or_b64 exec, exec, s[12:13]
.LBB344_392:                            ;   in Loop: Header=BB344_284 Depth=1
	s_or_b64 exec, exec, s[0:1]
	v_mul_f32_e32 v5, s9, v6
	v_and_b32_e32 v4, 0x7f800000, v5
	v_cmp_ne_u32_e32 vcc, s19, v4
                                        ; implicit-def: $vgpr4
	s_and_saveexec_b64 s[0:1], vcc
	s_xor_b64 s[0:1], exec, s[0:1]
; %bb.393:                              ;   in Loop: Header=BB344_284 Depth=1
	v_bfe_u32 v4, v5, 16, 1
	v_add3_u32 v4, v5, v4, s20
                                        ; implicit-def: $vgpr5
; %bb.394:                              ;   in Loop: Header=BB344_284 Depth=1
	s_andn2_saveexec_b64 s[0:1], s[0:1]
; %bb.395:                              ;   in Loop: Header=BB344_284 Depth=1
	v_or_b32_e32 v4, 0x10000, v5
	v_cmp_eq_u32_sdwa vcc, v5, v17 src0_sel:WORD_0 src1_sel:DWORD
	v_cndmask_b32_e32 v4, v4, v5, vcc
; %bb.396:                              ;   in Loop: Header=BB344_284 Depth=1
	s_or_b64 exec, exec, s[0:1]
	v_cmp_eq_u32_e32 vcc, s18, v12
	v_add_u32_e32 v27, -7, v11
	v_lshrrev_b32_e32 v6, 16, v16
	v_lshrrev_b32_e32 v16, 16, v29
	;; [unrolled: 1-line block ×8, first 2 shown]
	v_add_u32_e32 v33, -6, v11
	v_add_u32_e32 v32, -5, v11
	;; [unrolled: 1-line block ×6, first 2 shown]
	s_and_saveexec_b64 s[12:13], vcc
	s_cbranch_execz .LBB344_398
; %bb.397:                              ;   in Loop: Header=BB344_284 Depth=1
	v_cmp_gt_i32_e64 s[0:1], s35, v27
	v_cndmask_b32_e64 v7, 0, v7, s[0:1]
	v_cmp_gt_i32_e64 s[0:1], s35, v33
	v_cndmask_b32_e64 v8, 0, v8, s[0:1]
	v_cmp_gt_i32_e64 s[0:1], s35, v32
	v_cndmask_b32_e64 v9, 0, v9, s[0:1]
	v_cmp_gt_i32_e64 s[0:1], s35, v31
	v_cndmask_b32_e64 v39, 0, v39, s[0:1]
	v_cmp_gt_i32_e64 s[0:1], s35, v30
	v_cndmask_b32_e64 v16, 0, v16, s[0:1]
	v_cmp_gt_i32_e64 s[0:1], s35, v29
	v_cndmask_b32_e64 v6, 0, v6, s[0:1]
	v_cmp_gt_i32_e64 s[0:1], s35, v28
	v_cndmask_b32_e64 v5, 0, v5, s[0:1]
	v_cmp_gt_i32_e64 s[0:1], s35, v11
	v_cndmask_b32_e64 v4, 0, v4, s[0:1]
.LBB344_398:                            ;   in Loop: Header=BB344_284 Depth=1
	s_or_b64 exec, exec, s[12:13]
	v_and_b32_e32 v35, 0xffff0000, v35
	v_lshlrev_b32_e32 v7, 16, v7
	v_mul_f32_e32 v38, v35, v7
	v_and_b32_e32 v7, 0x7f800000, v38
	v_cmp_ne_u32_e64 s[0:1], s19, v7
                                        ; implicit-def: $vgpr7
	s_and_saveexec_b64 s[12:13], s[0:1]
	s_xor_b64 s[0:1], exec, s[12:13]
; %bb.399:                              ;   in Loop: Header=BB344_284 Depth=1
	v_bfe_u32 v7, v38, 16, 1
	v_add3_u32 v7, v38, v7, s20
                                        ; implicit-def: $vgpr38
; %bb.400:                              ;   in Loop: Header=BB344_284 Depth=1
	s_andn2_saveexec_b64 s[12:13], s[0:1]
; %bb.401:                              ;   in Loop: Header=BB344_284 Depth=1
	v_or_b32_e32 v7, 0x10000, v38
	v_cmp_eq_u32_sdwa s[0:1], v38, v17 src0_sel:WORD_0 src1_sel:DWORD
	v_cndmask_b32_e64 v7, v7, v38, s[0:1]
; %bb.402:                              ;   in Loop: Header=BB344_284 Depth=1
	s_or_b64 exec, exec, s[12:13]
	v_and_b32_e32 v36, 0xffff0000, v36
	v_lshlrev_b32_e32 v8, 16, v8
	v_mul_f32_e32 v38, v36, v8
	v_and_b32_e32 v8, 0x7f800000, v38
	v_cmp_ne_u32_e64 s[0:1], s19, v8
                                        ; implicit-def: $vgpr8
	s_and_saveexec_b64 s[12:13], s[0:1]
	s_xor_b64 s[0:1], exec, s[12:13]
; %bb.403:                              ;   in Loop: Header=BB344_284 Depth=1
	v_bfe_u32 v8, v38, 16, 1
	v_add3_u32 v8, v38, v8, s20
                                        ; implicit-def: $vgpr38
; %bb.404:                              ;   in Loop: Header=BB344_284 Depth=1
	s_andn2_saveexec_b64 s[12:13], s[0:1]
; %bb.405:                              ;   in Loop: Header=BB344_284 Depth=1
	v_or_b32_e32 v8, 0x10000, v38
	v_cmp_eq_u32_sdwa s[0:1], v38, v17 src0_sel:WORD_0 src1_sel:DWORD
	v_cndmask_b32_e64 v8, v8, v38, s[0:1]
; %bb.406:                              ;   in Loop: Header=BB344_284 Depth=1
	s_or_b64 exec, exec, s[12:13]
	v_and_b32_e32 v37, 0xffff0000, v37
	v_lshlrev_b32_e32 v9, 16, v9
	v_mul_f32_e32 v38, v37, v9
	v_and_b32_e32 v9, 0x7f800000, v38
	v_cmp_ne_u32_e64 s[0:1], s19, v9
                                        ; implicit-def: $vgpr9
	s_and_saveexec_b64 s[12:13], s[0:1]
	s_xor_b64 s[0:1], exec, s[12:13]
; %bb.407:                              ;   in Loop: Header=BB344_284 Depth=1
	v_bfe_u32 v9, v38, 16, 1
	v_add3_u32 v9, v38, v9, s20
                                        ; implicit-def: $vgpr38
; %bb.408:                              ;   in Loop: Header=BB344_284 Depth=1
	s_andn2_saveexec_b64 s[12:13], s[0:1]
; %bb.409:                              ;   in Loop: Header=BB344_284 Depth=1
	v_or_b32_e32 v9, 0x10000, v38
	v_cmp_eq_u32_sdwa s[0:1], v38, v17 src0_sel:WORD_0 src1_sel:DWORD
	v_cndmask_b32_e64 v9, v9, v38, s[0:1]
; %bb.410:                              ;   in Loop: Header=BB344_284 Depth=1
	s_or_b64 exec, exec, s[12:13]
	v_and_b32_e32 v38, 0xffff0000, v23
	v_lshlrev_b32_e32 v23, 16, v39
	v_mul_f32_e32 v39, v38, v23
	v_and_b32_e32 v23, 0x7f800000, v39
	v_cmp_ne_u32_e64 s[0:1], s19, v23
                                        ; implicit-def: $vgpr23
	s_and_saveexec_b64 s[12:13], s[0:1]
	s_xor_b64 s[0:1], exec, s[12:13]
; %bb.411:                              ;   in Loop: Header=BB344_284 Depth=1
	v_bfe_u32 v23, v39, 16, 1
	v_add3_u32 v23, v39, v23, s20
                                        ; implicit-def: $vgpr39
; %bb.412:                              ;   in Loop: Header=BB344_284 Depth=1
	s_andn2_saveexec_b64 s[12:13], s[0:1]
; %bb.413:                              ;   in Loop: Header=BB344_284 Depth=1
	v_or_b32_e32 v23, 0x10000, v39
	v_cmp_eq_u32_sdwa s[0:1], v39, v17 src0_sel:WORD_0 src1_sel:DWORD
	v_cndmask_b32_e64 v23, v23, v39, s[0:1]
; %bb.414:                              ;   in Loop: Header=BB344_284 Depth=1
	s_or_b64 exec, exec, s[12:13]
	v_and_b32_e32 v39, 0xffff0000, v24
	v_lshlrev_b32_e32 v16, 16, v16
	v_mul_f32_e32 v16, v39, v16
	v_and_b32_e32 v24, 0x7f800000, v16
	v_cmp_ne_u32_e64 s[0:1], s19, v24
                                        ; implicit-def: $vgpr24
	s_and_saveexec_b64 s[12:13], s[0:1]
	s_xor_b64 s[0:1], exec, s[12:13]
; %bb.415:                              ;   in Loop: Header=BB344_284 Depth=1
	v_bfe_u32 v24, v16, 16, 1
	v_add3_u32 v24, v16, v24, s20
                                        ; implicit-def: $vgpr16
; %bb.416:                              ;   in Loop: Header=BB344_284 Depth=1
	s_andn2_saveexec_b64 s[12:13], s[0:1]
; %bb.417:                              ;   in Loop: Header=BB344_284 Depth=1
	v_or_b32_e32 v24, 0x10000, v16
	v_cmp_eq_u32_sdwa s[0:1], v16, v17 src0_sel:WORD_0 src1_sel:DWORD
	v_cndmask_b32_e64 v24, v24, v16, s[0:1]
; %bb.418:                              ;   in Loop: Header=BB344_284 Depth=1
	s_or_b64 exec, exec, s[12:13]
	v_and_b32_e32 v40, 0xffff0000, v25
	v_lshlrev_b32_e32 v6, 16, v6
	v_mul_f32_e32 v6, v40, v6
	v_and_b32_e32 v16, 0x7f800000, v6
	v_cmp_ne_u32_e64 s[0:1], s19, v16
                                        ; implicit-def: $vgpr25
	s_and_saveexec_b64 s[12:13], s[0:1]
	s_xor_b64 s[0:1], exec, s[12:13]
; %bb.419:                              ;   in Loop: Header=BB344_284 Depth=1
	v_bfe_u32 v16, v6, 16, 1
	v_add3_u32 v25, v6, v16, s20
                                        ; implicit-def: $vgpr6
; %bb.420:                              ;   in Loop: Header=BB344_284 Depth=1
	s_andn2_saveexec_b64 s[12:13], s[0:1]
; %bb.421:                              ;   in Loop: Header=BB344_284 Depth=1
	v_or_b32_e32 v16, 0x10000, v6
	v_cmp_eq_u32_sdwa s[0:1], v6, v17 src0_sel:WORD_0 src1_sel:DWORD
	v_cndmask_b32_e64 v25, v16, v6, s[0:1]
; %bb.422:                              ;   in Loop: Header=BB344_284 Depth=1
	s_or_b64 exec, exec, s[12:13]
	v_and_b32_e32 v41, 0xffff0000, v26
	v_lshlrev_b32_e32 v5, 16, v5
	v_mul_f32_e32 v5, v41, v5
	v_and_b32_e32 v6, 0x7f800000, v5
	v_cmp_ne_u32_e64 s[0:1], s19, v6
                                        ; implicit-def: $vgpr26
	s_and_saveexec_b64 s[12:13], s[0:1]
	s_xor_b64 s[0:1], exec, s[12:13]
; %bb.423:                              ;   in Loop: Header=BB344_284 Depth=1
	v_bfe_u32 v6, v5, 16, 1
	v_add3_u32 v26, v5, v6, s20
                                        ; implicit-def: $vgpr5
; %bb.424:                              ;   in Loop: Header=BB344_284 Depth=1
	s_andn2_saveexec_b64 s[12:13], s[0:1]
; %bb.425:                              ;   in Loop: Header=BB344_284 Depth=1
	v_or_b32_e32 v6, 0x10000, v5
	v_cmp_eq_u32_sdwa s[0:1], v5, v17 src0_sel:WORD_0 src1_sel:DWORD
	v_cndmask_b32_e64 v26, v6, v5, s[0:1]
; %bb.426:                              ;   in Loop: Header=BB344_284 Depth=1
	s_or_b64 exec, exec, s[12:13]
	v_and_b32_e32 v42, 0xffff0000, v34
	v_lshlrev_b32_e32 v4, 16, v4
	v_mul_f32_e32 v4, v42, v4
	v_and_b32_e32 v5, 0x7f800000, v4
	v_cmp_ne_u32_e64 s[0:1], s19, v5
                                        ; implicit-def: $vgpr34
	s_and_saveexec_b64 s[12:13], s[0:1]
	s_xor_b64 s[0:1], exec, s[12:13]
; %bb.427:                              ;   in Loop: Header=BB344_284 Depth=1
	v_bfe_u32 v5, v4, 16, 1
	v_add3_u32 v34, v4, v5, s20
                                        ; implicit-def: $vgpr4
; %bb.428:                              ;   in Loop: Header=BB344_284 Depth=1
	s_andn2_saveexec_b64 s[12:13], s[0:1]
; %bb.429:                              ;   in Loop: Header=BB344_284 Depth=1
	v_or_b32_e32 v5, 0x10000, v4
	v_cmp_eq_u32_sdwa s[0:1], v4, v17 src0_sel:WORD_0 src1_sel:DWORD
	v_cndmask_b32_e64 v34, v5, v4, s[0:1]
; %bb.430:                              ;   in Loop: Header=BB344_284 Depth=1
	s_or_b64 exec, exec, s[12:13]
	global_load_dwordx2 v[4:5], v[2:3], off offset:512
	v_mov_b32_e32 v6, 0
	s_waitcnt vmcnt(0)
	v_cmp_ne_u16_sdwa s[0:1], v4, v17 src0_sel:BYTE_0 src1_sel:DWORD
	s_and_saveexec_b64 s[12:13], s[0:1]
	s_cbranch_execz .LBB344_436
; %bb.431:                              ;   in Loop: Header=BB344_284 Depth=1
	v_cmp_ne_u16_sdwa s[0:1], v4, s21 src0_sel:BYTE_0 src1_sel:DWORD
	v_bfrev_b32_e32 v6, 1
	s_and_saveexec_b64 s[14:15], s[0:1]
	s_cbranch_execz .LBB344_435
; %bb.432:                              ;   in Loop: Header=BB344_284 Depth=1
	v_and_b32_e32 v16, 0x7f, v4
	v_cmp_ne_u32_e64 s[0:1], s22, v16
	v_mov_b32_e32 v6, 0x7f800001
	s_and_saveexec_b64 s[16:17], s[0:1]
	s_cbranch_execz .LBB344_434
; %bb.433:                              ;   in Loop: Header=BB344_284 Depth=1
	v_and_b32_e32 v6, 7, v4
	v_ffbh_u32_e32 v6, v6
	v_min_u32_e32 v6, 32, v6
	v_subrev_u32_e32 v44, 28, v6
	v_cmp_gt_u32_e64 s[0:1], 8, v16
	v_lshrrev_b32_e32 v43, 3, v16
	v_cndmask_b32_e64 v16, 0, v44, s[0:1]
	v_sub_u32_e32 v6, 29, v6
	v_lshlrev_b64 v[44:45], v16, v[4:5]
	v_cndmask_b32_e64 v6, v43, v6, s[0:1]
	v_lshlrev_b32_e32 v16, 20, v44
	v_lshlrev_b32_e32 v43, 24, v4
	v_and_b32_e32 v16, 0x700000, v16
	v_and_b32_e32 v43, 0x80000000, v43
	v_lshl_add_u32 v6, v6, 23, v13
	v_or3_b32 v6, v43, v6, v16
.LBB344_434:                            ;   in Loop: Header=BB344_284 Depth=1
	s_or_b64 exec, exec, s[16:17]
.LBB344_435:                            ;   in Loop: Header=BB344_284 Depth=1
	s_or_b64 exec, exec, s[14:15]
.LBB344_436:                            ;   in Loop: Header=BB344_284 Depth=1
	s_or_b64 exec, exec, s[12:13]
	v_mul_f32_e32 v6, s9, v6
	v_and_b32_e32 v16, 0x7f800000, v6
	v_cmp_ne_u32_e64 s[0:1], s19, v16
                                        ; implicit-def: $vgpr43
	s_and_saveexec_b64 s[12:13], s[0:1]
	s_xor_b64 s[0:1], exec, s[12:13]
; %bb.437:                              ;   in Loop: Header=BB344_284 Depth=1
	v_bfe_u32 v16, v6, 16, 1
	v_add3_u32 v43, v6, v16, s20
                                        ; implicit-def: $vgpr6
; %bb.438:                              ;   in Loop: Header=BB344_284 Depth=1
	s_andn2_saveexec_b64 s[12:13], s[0:1]
; %bb.439:                              ;   in Loop: Header=BB344_284 Depth=1
	v_or_b32_e32 v16, 0x10000, v6
	v_cmp_eq_u32_sdwa s[0:1], v6, v17 src0_sel:WORD_0 src1_sel:DWORD
	v_cndmask_b32_e64 v43, v16, v6, s[0:1]
; %bb.440:                              ;   in Loop: Header=BB344_284 Depth=1
	s_or_b64 exec, exec, s[12:13]
	v_lshrrev_b16_e32 v6, 8, v4
	v_cmp_ne_u16_e64 s[0:1], 0, v6
	v_mov_b32_e32 v16, 0
	s_and_saveexec_b64 s[12:13], s[0:1]
	s_cbranch_execz .LBB344_446
; %bb.441:                              ;   in Loop: Header=BB344_284 Depth=1
	v_cmp_ne_u16_e64 s[0:1], s21, v6
	v_bfrev_b32_e32 v16, 1
	s_and_saveexec_b64 s[14:15], s[0:1]
	s_cbranch_execz .LBB344_445
; %bb.442:                              ;   in Loop: Header=BB344_284 Depth=1
	v_and_b32_e32 v44, 0x7f, v6
	v_cmp_ne_u32_e64 s[0:1], s22, v44
	v_mov_b32_e32 v16, 0x7f800001
	s_and_saveexec_b64 s[16:17], s[0:1]
	s_cbranch_execz .LBB344_444
; %bb.443:                              ;   in Loop: Header=BB344_284 Depth=1
	v_and_b32_e32 v16, 7, v6
	v_ffbh_u32_e32 v46, v16
	v_min_u32_e32 v48, 32, v46
	v_subrev_u32_e32 v46, 28, v48
	v_lshlrev_b64 v[46:47], v46, v[6:7]
	v_lshrrev_b32_e32 v45, 3, v44
	v_sub_u32_e32 v6, 29, v48
	v_and_b32_e32 v46, 7, v46
	v_cmp_gt_u32_e64 s[0:1], 8, v44
	v_cndmask_b32_e64 v6, v45, v6, s[0:1]
	v_cndmask_b32_e64 v16, v16, v46, s[0:1]
	v_lshlrev_b32_e32 v44, 16, v4
	v_lshlrev_b32_e32 v16, 20, v16
	v_and_b32_e32 v44, 0x80000000, v44
	v_lshl_add_u32 v6, v6, 23, v13
	v_or3_b32 v16, v44, v6, v16
.LBB344_444:                            ;   in Loop: Header=BB344_284 Depth=1
	s_or_b64 exec, exec, s[16:17]
.LBB344_445:                            ;   in Loop: Header=BB344_284 Depth=1
	s_or_b64 exec, exec, s[14:15]
.LBB344_446:                            ;   in Loop: Header=BB344_284 Depth=1
	s_or_b64 exec, exec, s[12:13]
	v_mul_f32_e32 v6, s9, v16
	v_and_b32_e32 v16, 0x7f800000, v6
	v_cmp_ne_u32_e64 s[0:1], s19, v16
                                        ; implicit-def: $vgpr44
	s_and_saveexec_b64 s[12:13], s[0:1]
	s_xor_b64 s[0:1], exec, s[12:13]
; %bb.447:                              ;   in Loop: Header=BB344_284 Depth=1
	v_bfe_u32 v16, v6, 16, 1
	v_add3_u32 v44, v6, v16, s20
                                        ; implicit-def: $vgpr6
; %bb.448:                              ;   in Loop: Header=BB344_284 Depth=1
	s_andn2_saveexec_b64 s[12:13], s[0:1]
; %bb.449:                              ;   in Loop: Header=BB344_284 Depth=1
	v_or_b32_e32 v16, 0x10000, v6
	v_cmp_eq_u32_sdwa s[0:1], v6, v17 src0_sel:WORD_0 src1_sel:DWORD
	v_cndmask_b32_e64 v44, v16, v6, s[0:1]
; %bb.450:                              ;   in Loop: Header=BB344_284 Depth=1
	s_or_b64 exec, exec, s[12:13]
	v_lshrrev_b32_e32 v6, 16, v4
	v_cmp_ne_u16_sdwa s[0:1], v6, v17 src0_sel:BYTE_0 src1_sel:DWORD
	v_mov_b32_e32 v16, 0
	s_and_saveexec_b64 s[12:13], s[0:1]
	s_cbranch_execz .LBB344_456
; %bb.451:                              ;   in Loop: Header=BB344_284 Depth=1
	v_cmp_ne_u16_sdwa s[0:1], v6, s21 src0_sel:BYTE_0 src1_sel:DWORD
	v_bfrev_b32_e32 v16, 1
	s_and_saveexec_b64 s[14:15], s[0:1]
	s_cbranch_execz .LBB344_455
; %bb.452:                              ;   in Loop: Header=BB344_284 Depth=1
	v_bfe_u32 v45, v4, 16, 7
	v_cmp_ne_u32_e64 s[0:1], s22, v45
	v_mov_b32_e32 v16, 0x7f800001
	s_and_saveexec_b64 s[16:17], s[0:1]
	s_cbranch_execz .LBB344_454
; %bb.453:                              ;   in Loop: Header=BB344_284 Depth=1
	v_and_b32_e32 v16, 7, v6
	v_ffbh_u32_e32 v46, v16
	v_min_u32_e32 v49, 32, v46
	v_subrev_u32_e32 v46, 28, v49
	v_lshlrev_b64 v[46:47], v46, v[6:7]
	v_lshrrev_b32_e32 v48, 3, v45
	v_sub_u32_e32 v47, 29, v49
	v_and_b32_e32 v46, 7, v46
	v_cmp_gt_u32_e64 s[0:1], 8, v45
	v_cndmask_b32_e64 v45, v48, v47, s[0:1]
	v_cndmask_b32_e64 v16, v16, v46, s[0:1]
	v_lshlrev_b32_e32 v6, 24, v6
	v_lshlrev_b32_e32 v16, 20, v16
	v_and_b32_e32 v6, 0x80000000, v6
	v_lshl_add_u32 v45, v45, 23, v13
	v_or3_b32 v16, v6, v45, v16
.LBB344_454:                            ;   in Loop: Header=BB344_284 Depth=1
	s_or_b64 exec, exec, s[16:17]
.LBB344_455:                            ;   in Loop: Header=BB344_284 Depth=1
	s_or_b64 exec, exec, s[14:15]
.LBB344_456:                            ;   in Loop: Header=BB344_284 Depth=1
	s_or_b64 exec, exec, s[12:13]
	v_mul_f32_e32 v6, s9, v16
	v_and_b32_e32 v16, 0x7f800000, v6
	v_cmp_ne_u32_e64 s[0:1], s19, v16
                                        ; implicit-def: $vgpr45
	s_and_saveexec_b64 s[12:13], s[0:1]
	s_xor_b64 s[0:1], exec, s[12:13]
; %bb.457:                              ;   in Loop: Header=BB344_284 Depth=1
	v_bfe_u32 v16, v6, 16, 1
	v_add3_u32 v45, v6, v16, s20
                                        ; implicit-def: $vgpr6
; %bb.458:                              ;   in Loop: Header=BB344_284 Depth=1
	s_andn2_saveexec_b64 s[12:13], s[0:1]
; %bb.459:                              ;   in Loop: Header=BB344_284 Depth=1
	v_or_b32_e32 v16, 0x10000, v6
	v_cmp_eq_u32_sdwa s[0:1], v6, v17 src0_sel:WORD_0 src1_sel:DWORD
	v_cndmask_b32_e64 v45, v16, v6, s[0:1]
; %bb.460:                              ;   in Loop: Header=BB344_284 Depth=1
	s_or_b64 exec, exec, s[12:13]
	v_cmp_lt_u32_e64 s[0:1], s7, v4
	v_mov_b32_e32 v16, 0
	s_and_saveexec_b64 s[12:13], s[0:1]
	s_cbranch_execz .LBB344_466
; %bb.461:                              ;   in Loop: Header=BB344_284 Depth=1
	v_lshrrev_b32_e32 v6, 24, v4
	v_cmp_ne_u32_e64 s[0:1], s21, v6
	v_bfrev_b32_e32 v16, 1
	s_and_saveexec_b64 s[14:15], s[0:1]
	s_cbranch_execz .LBB344_465
; %bb.462:                              ;   in Loop: Header=BB344_284 Depth=1
	v_bfe_u32 v46, v4, 24, 7
	v_cmp_ne_u32_e64 s[0:1], s22, v46
	v_mov_b32_e32 v16, 0x7f800001
	s_and_saveexec_b64 s[16:17], s[0:1]
	s_cbranch_execz .LBB344_464
; %bb.463:                              ;   in Loop: Header=BB344_284 Depth=1
	v_and_b32_e32 v16, 7, v6
	v_ffbh_u32_e32 v48, v16
	v_min_u32_e32 v50, 32, v48
	v_subrev_u32_e32 v48, 28, v50
	v_lshlrev_b64 v[48:49], v48, v[6:7]
	v_lshrrev_b32_e32 v47, 3, v46
	v_sub_u32_e32 v49, 29, v50
	v_and_b32_e32 v48, 7, v48
	v_cmp_gt_u32_e64 s[0:1], 8, v46
	v_cndmask_b32_e64 v46, v47, v49, s[0:1]
	v_cndmask_b32_e64 v16, v16, v48, s[0:1]
	v_lshlrev_b32_e32 v6, 24, v6
	v_lshlrev_b32_e32 v16, 20, v16
	v_and_b32_e32 v6, 0x80000000, v6
	v_lshl_add_u32 v46, v46, 23, v13
	v_or3_b32 v16, v6, v46, v16
.LBB344_464:                            ;   in Loop: Header=BB344_284 Depth=1
	s_or_b64 exec, exec, s[16:17]
.LBB344_465:                            ;   in Loop: Header=BB344_284 Depth=1
	s_or_b64 exec, exec, s[14:15]
.LBB344_466:                            ;   in Loop: Header=BB344_284 Depth=1
	s_or_b64 exec, exec, s[12:13]
	v_mul_f32_e32 v6, s9, v16
	v_and_b32_e32 v16, 0x7f800000, v6
	v_cmp_ne_u32_e64 s[0:1], s19, v16
                                        ; implicit-def: $vgpr46
	s_and_saveexec_b64 s[12:13], s[0:1]
	s_xor_b64 s[0:1], exec, s[12:13]
; %bb.467:                              ;   in Loop: Header=BB344_284 Depth=1
	v_bfe_u32 v16, v6, 16, 1
	v_add3_u32 v46, v6, v16, s20
                                        ; implicit-def: $vgpr6
; %bb.468:                              ;   in Loop: Header=BB344_284 Depth=1
	s_andn2_saveexec_b64 s[12:13], s[0:1]
; %bb.469:                              ;   in Loop: Header=BB344_284 Depth=1
	v_or_b32_e32 v16, 0x10000, v6
	v_cmp_eq_u32_sdwa s[0:1], v6, v17 src0_sel:WORD_0 src1_sel:DWORD
	v_cndmask_b32_e64 v46, v16, v6, s[0:1]
; %bb.470:                              ;   in Loop: Header=BB344_284 Depth=1
	s_or_b64 exec, exec, s[12:13]
	v_mov_b32_e32 v16, v5
	v_cmp_ne_u16_sdwa s[0:1], v5, v17 src0_sel:BYTE_0 src1_sel:DWORD
	v_mov_b32_e32 v6, 0
	s_and_saveexec_b64 s[12:13], s[0:1]
	s_cbranch_execz .LBB344_476
; %bb.471:                              ;   in Loop: Header=BB344_284 Depth=1
	v_cmp_ne_u16_sdwa s[0:1], v5, s21 src0_sel:BYTE_0 src1_sel:DWORD
	v_bfrev_b32_e32 v6, 1
	s_and_saveexec_b64 s[14:15], s[0:1]
	s_cbranch_execz .LBB344_475
; %bb.472:                              ;   in Loop: Header=BB344_284 Depth=1
	v_and_b32_e32 v47, 0x7f, v5
	v_cmp_ne_u32_e64 s[0:1], s22, v47
	v_mov_b32_e32 v6, 0x7f800001
	s_and_saveexec_b64 s[16:17], s[0:1]
	s_cbranch_execz .LBB344_474
; %bb.473:                              ;   in Loop: Header=BB344_284 Depth=1
	v_and_b32_e32 v6, 7, v5
	v_ffbh_u32_e32 v6, v6
	v_min_u32_e32 v6, 32, v6
	v_subrev_u32_e32 v49, 28, v6
	v_cmp_gt_u32_e64 s[0:1], 8, v47
	v_lshrrev_b32_e32 v48, 3, v47
	v_sub_u32_e32 v6, 29, v6
	v_cndmask_b32_e64 v47, 0, v49, s[0:1]
	v_cndmask_b32_e64 v6, v48, v6, s[0:1]
	v_lshlrev_b64 v[48:49], v47, v[16:17]
	v_lshlrev_b32_e32 v47, 20, v48
	v_lshlrev_b32_e32 v48, 24, v16
	v_and_b32_e32 v47, 0x700000, v47
	v_and_b32_e32 v48, 0x80000000, v48
	v_lshl_add_u32 v6, v6, 23, v13
	v_or3_b32 v6, v48, v6, v47
.LBB344_474:                            ;   in Loop: Header=BB344_284 Depth=1
	s_or_b64 exec, exec, s[16:17]
.LBB344_475:                            ;   in Loop: Header=BB344_284 Depth=1
	s_or_b64 exec, exec, s[14:15]
.LBB344_476:                            ;   in Loop: Header=BB344_284 Depth=1
	s_or_b64 exec, exec, s[12:13]
	v_mul_f32_e32 v6, s9, v6
	v_and_b32_e32 v47, 0x7f800000, v6
	v_cmp_ne_u32_e64 s[0:1], s19, v47
                                        ; implicit-def: $vgpr47
	s_and_saveexec_b64 s[12:13], s[0:1]
	s_xor_b64 s[0:1], exec, s[12:13]
; %bb.477:                              ;   in Loop: Header=BB344_284 Depth=1
	v_bfe_u32 v47, v6, 16, 1
	v_add3_u32 v47, v6, v47, s20
                                        ; implicit-def: $vgpr6
; %bb.478:                              ;   in Loop: Header=BB344_284 Depth=1
	s_andn2_saveexec_b64 s[12:13], s[0:1]
; %bb.479:                              ;   in Loop: Header=BB344_284 Depth=1
	v_or_b32_e32 v47, 0x10000, v6
	v_cmp_eq_u32_sdwa s[0:1], v6, v17 src0_sel:WORD_0 src1_sel:DWORD
	v_cndmask_b32_e64 v47, v47, v6, s[0:1]
; %bb.480:                              ;   in Loop: Header=BB344_284 Depth=1
	s_or_b64 exec, exec, s[12:13]
	v_lshrrev_b16_e32 v6, 8, v16
	v_cmp_ne_u16_e64 s[0:1], 0, v6
	v_mov_b32_e32 v48, 0
	s_and_saveexec_b64 s[12:13], s[0:1]
	s_cbranch_execz .LBB344_486
; %bb.481:                              ;   in Loop: Header=BB344_284 Depth=1
	v_cmp_ne_u16_e64 s[0:1], s21, v6
	v_bfrev_b32_e32 v48, 1
	s_and_saveexec_b64 s[14:15], s[0:1]
	s_cbranch_execz .LBB344_485
; %bb.482:                              ;   in Loop: Header=BB344_284 Depth=1
	v_and_b32_e32 v49, 0x7f, v6
	v_cmp_ne_u32_e64 s[0:1], s22, v49
	v_mov_b32_e32 v48, 0x7f800001
	s_and_saveexec_b64 s[16:17], s[0:1]
	s_cbranch_execz .LBB344_484
; %bb.483:                              ;   in Loop: Header=BB344_284 Depth=1
	v_and_b32_e32 v48, 7, v6
	v_ffbh_u32_e32 v50, v48
	v_min_u32_e32 v53, 32, v50
	v_subrev_u32_e32 v50, 28, v53
	v_lshlrev_b64 v[50:51], v50, v[6:7]
	v_lshrrev_b32_e32 v52, 3, v49
	v_sub_u32_e32 v6, 29, v53
	v_and_b32_e32 v50, 7, v50
	v_cmp_gt_u32_e64 s[0:1], 8, v49
	v_cndmask_b32_e64 v6, v52, v6, s[0:1]
	v_cndmask_b32_e64 v48, v48, v50, s[0:1]
	v_lshlrev_b32_e32 v16, 16, v16
	v_lshlrev_b32_e32 v48, 20, v48
	v_and_b32_e32 v16, 0x80000000, v16
	v_lshl_add_u32 v6, v6, 23, v13
	v_or3_b32 v48, v16, v6, v48
.LBB344_484:                            ;   in Loop: Header=BB344_284 Depth=1
	s_or_b64 exec, exec, s[16:17]
.LBB344_485:                            ;   in Loop: Header=BB344_284 Depth=1
	s_or_b64 exec, exec, s[14:15]
.LBB344_486:                            ;   in Loop: Header=BB344_284 Depth=1
	s_or_b64 exec, exec, s[12:13]
	v_mul_f32_e32 v6, s9, v48
	v_and_b32_e32 v16, 0x7f800000, v6
	v_cmp_ne_u32_e64 s[0:1], s19, v16
                                        ; implicit-def: $vgpr16
	s_and_saveexec_b64 s[12:13], s[0:1]
	s_xor_b64 s[0:1], exec, s[12:13]
; %bb.487:                              ;   in Loop: Header=BB344_284 Depth=1
	v_bfe_u32 v16, v6, 16, 1
	v_add3_u32 v16, v6, v16, s20
                                        ; implicit-def: $vgpr6
; %bb.488:                              ;   in Loop: Header=BB344_284 Depth=1
	s_andn2_saveexec_b64 s[12:13], s[0:1]
; %bb.489:                              ;   in Loop: Header=BB344_284 Depth=1
	v_or_b32_e32 v16, 0x10000, v6
	v_cmp_eq_u32_sdwa s[0:1], v6, v17 src0_sel:WORD_0 src1_sel:DWORD
	v_cndmask_b32_e64 v16, v16, v6, s[0:1]
; %bb.490:                              ;   in Loop: Header=BB344_284 Depth=1
	s_or_b64 exec, exec, s[12:13]
	v_lshrrev_b32_e32 v6, 16, v5
	v_cmp_ne_u16_sdwa s[0:1], v6, v17 src0_sel:BYTE_0 src1_sel:DWORD
	v_mov_b32_e32 v48, 0
	s_and_saveexec_b64 s[12:13], s[0:1]
	s_cbranch_execz .LBB344_496
; %bb.491:                              ;   in Loop: Header=BB344_284 Depth=1
	v_cmp_ne_u16_sdwa s[0:1], v6, s21 src0_sel:BYTE_0 src1_sel:DWORD
	v_bfrev_b32_e32 v48, 1
	s_and_saveexec_b64 s[14:15], s[0:1]
	s_cbranch_execz .LBB344_495
; %bb.492:                              ;   in Loop: Header=BB344_284 Depth=1
	v_bfe_u32 v49, v5, 16, 7
	v_cmp_ne_u32_e64 s[0:1], s22, v49
	v_mov_b32_e32 v48, 0x7f800001
	s_and_saveexec_b64 s[16:17], s[0:1]
	s_cbranch_execz .LBB344_494
; %bb.493:                              ;   in Loop: Header=BB344_284 Depth=1
	v_and_b32_e32 v48, 7, v6
	v_ffbh_u32_e32 v50, v48
	v_min_u32_e32 v53, 32, v50
	v_subrev_u32_e32 v50, 28, v53
	v_lshlrev_b64 v[50:51], v50, v[6:7]
	v_lshrrev_b32_e32 v52, 3, v49
	v_sub_u32_e32 v51, 29, v53
	v_and_b32_e32 v50, 7, v50
	v_cmp_gt_u32_e64 s[0:1], 8, v49
	v_cndmask_b32_e64 v49, v52, v51, s[0:1]
	v_cndmask_b32_e64 v48, v48, v50, s[0:1]
	v_lshlrev_b32_e32 v6, 24, v6
	v_lshlrev_b32_e32 v48, 20, v48
	v_and_b32_e32 v6, 0x80000000, v6
	v_lshl_add_u32 v49, v49, 23, v13
	v_or3_b32 v48, v6, v49, v48
.LBB344_494:                            ;   in Loop: Header=BB344_284 Depth=1
	s_or_b64 exec, exec, s[16:17]
.LBB344_495:                            ;   in Loop: Header=BB344_284 Depth=1
	s_or_b64 exec, exec, s[14:15]
.LBB344_496:                            ;   in Loop: Header=BB344_284 Depth=1
	s_or_b64 exec, exec, s[12:13]
	v_mul_f32_e32 v48, s9, v48
	v_and_b32_e32 v6, 0x7f800000, v48
	v_cmp_ne_u32_e64 s[0:1], s19, v6
                                        ; implicit-def: $vgpr6
	s_and_saveexec_b64 s[12:13], s[0:1]
	s_xor_b64 s[0:1], exec, s[12:13]
; %bb.497:                              ;   in Loop: Header=BB344_284 Depth=1
	v_bfe_u32 v6, v48, 16, 1
	v_add3_u32 v6, v48, v6, s20
                                        ; implicit-def: $vgpr48
; %bb.498:                              ;   in Loop: Header=BB344_284 Depth=1
	s_andn2_saveexec_b64 s[12:13], s[0:1]
; %bb.499:                              ;   in Loop: Header=BB344_284 Depth=1
	v_or_b32_e32 v6, 0x10000, v48
	v_cmp_eq_u32_sdwa s[0:1], v48, v17 src0_sel:WORD_0 src1_sel:DWORD
	v_cndmask_b32_e64 v6, v6, v48, s[0:1]
; %bb.500:                              ;   in Loop: Header=BB344_284 Depth=1
	s_or_b64 exec, exec, s[12:13]
	v_cmp_lt_u64_e64 s[0:1], s[6:7], v[4:5]
	v_mov_b32_e32 v48, 0
	s_and_saveexec_b64 s[12:13], s[0:1]
	s_cbranch_execz .LBB344_506
; %bb.501:                              ;   in Loop: Header=BB344_284 Depth=1
	v_lshrrev_b32_e32 v4, 24, v5
	v_cmp_ne_u32_e64 s[0:1], s21, v4
	v_bfrev_b32_e32 v48, 1
	s_and_saveexec_b64 s[14:15], s[0:1]
	s_cbranch_execz .LBB344_505
; %bb.502:                              ;   in Loop: Header=BB344_284 Depth=1
	v_bfe_u32 v5, v5, 24, 7
	v_cmp_ne_u32_e64 s[0:1], s22, v5
	v_mov_b32_e32 v48, 0x7f800001
	s_and_saveexec_b64 s[16:17], s[0:1]
	s_cbranch_execz .LBB344_504
; %bb.503:                              ;   in Loop: Header=BB344_284 Depth=1
	v_and_b32_e32 v50, 7, v4
	v_ffbh_u32_e32 v48, v50
	v_min_u32_e32 v52, 32, v48
	v_subrev_u32_e32 v48, 28, v52
	v_lshlrev_b64 v[48:49], v48, v[4:5]
	v_lshrrev_b32_e32 v51, 3, v5
	v_sub_u32_e32 v49, 29, v52
	v_and_b32_e32 v48, 7, v48
	v_cmp_gt_u32_e64 s[0:1], 8, v5
	v_cndmask_b32_e64 v5, v51, v49, s[0:1]
	v_cndmask_b32_e64 v48, v50, v48, s[0:1]
	v_lshlrev_b32_e32 v4, 24, v4
	v_lshlrev_b32_e32 v48, 20, v48
	v_and_b32_e32 v4, 0x80000000, v4
	v_lshl_add_u32 v5, v5, 23, v13
	v_or3_b32 v48, v4, v5, v48
.LBB344_504:                            ;   in Loop: Header=BB344_284 Depth=1
	s_or_b64 exec, exec, s[16:17]
.LBB344_505:                            ;   in Loop: Header=BB344_284 Depth=1
	s_or_b64 exec, exec, s[14:15]
.LBB344_506:                            ;   in Loop: Header=BB344_284 Depth=1
	s_or_b64 exec, exec, s[12:13]
	v_mul_f32_e32 v5, s9, v48
	v_and_b32_e32 v4, 0x7f800000, v5
	v_cmp_ne_u32_e64 s[0:1], s19, v4
                                        ; implicit-def: $vgpr4
	s_and_saveexec_b64 s[12:13], s[0:1]
	s_xor_b64 s[0:1], exec, s[12:13]
; %bb.507:                              ;   in Loop: Header=BB344_284 Depth=1
	v_bfe_u32 v4, v5, 16, 1
	v_add3_u32 v4, v5, v4, s20
                                        ; implicit-def: $vgpr5
; %bb.508:                              ;   in Loop: Header=BB344_284 Depth=1
	s_andn2_saveexec_b64 s[12:13], s[0:1]
; %bb.509:                              ;   in Loop: Header=BB344_284 Depth=1
	v_or_b32_e32 v4, 0x10000, v5
	v_cmp_eq_u32_sdwa s[0:1], v5, v17 src0_sel:WORD_0 src1_sel:DWORD
	v_cndmask_b32_e64 v4, v4, v5, s[0:1]
; %bb.510:                              ;   in Loop: Header=BB344_284 Depth=1
	s_or_b64 exec, exec, s[12:13]
	v_lshrrev_b32_e32 v48, 16, v16
	v_lshrrev_b32_e32 v47, 16, v47
	;; [unrolled: 1-line block ×8, first 2 shown]
	s_and_saveexec_b64 s[12:13], vcc
	s_cbranch_execz .LBB344_512
; %bb.511:                              ;   in Loop: Header=BB344_284 Depth=1
	v_cmp_gt_i32_e64 s[0:1], s35, v27
	v_cndmask_b32_e64 v5, 0, v5, s[0:1]
	v_cmp_gt_i32_e64 s[0:1], s35, v33
	v_cndmask_b32_e64 v44, 0, v44, s[0:1]
	;; [unrolled: 2-line block ×8, first 2 shown]
.LBB344_512:                            ;   in Loop: Header=BB344_284 Depth=1
	s_or_b64 exec, exec, s[12:13]
	v_lshlrev_b32_e32 v5, 16, v5
	v_mul_f32_e32 v6, v35, v5
	v_and_b32_e32 v5, 0x7f800000, v6
	v_cmp_ne_u32_e64 s[0:1], s19, v5
                                        ; implicit-def: $vgpr5
	s_and_saveexec_b64 s[12:13], s[0:1]
	s_xor_b64 s[0:1], exec, s[12:13]
; %bb.513:                              ;   in Loop: Header=BB344_284 Depth=1
	v_bfe_u32 v5, v6, 16, 1
	v_add3_u32 v5, v6, v5, s20
                                        ; implicit-def: $vgpr6
; %bb.514:                              ;   in Loop: Header=BB344_284 Depth=1
	s_andn2_saveexec_b64 s[12:13], s[0:1]
; %bb.515:                              ;   in Loop: Header=BB344_284 Depth=1
	v_or_b32_e32 v5, 0x10000, v6
	v_cmp_eq_u32_sdwa s[0:1], v6, v17 src0_sel:WORD_0 src1_sel:DWORD
	v_cndmask_b32_e64 v5, v5, v6, s[0:1]
; %bb.516:                              ;   in Loop: Header=BB344_284 Depth=1
	s_or_b64 exec, exec, s[12:13]
	v_lshlrev_b32_e32 v6, 16, v44
	v_mul_f32_e32 v43, v36, v6
	v_and_b32_e32 v6, 0x7f800000, v43
	v_cmp_ne_u32_e64 s[0:1], s19, v6
                                        ; implicit-def: $vgpr6
	s_and_saveexec_b64 s[12:13], s[0:1]
	s_xor_b64 s[0:1], exec, s[12:13]
; %bb.517:                              ;   in Loop: Header=BB344_284 Depth=1
	v_bfe_u32 v6, v43, 16, 1
	v_add3_u32 v6, v43, v6, s20
                                        ; implicit-def: $vgpr43
; %bb.518:                              ;   in Loop: Header=BB344_284 Depth=1
	s_andn2_saveexec_b64 s[12:13], s[0:1]
; %bb.519:                              ;   in Loop: Header=BB344_284 Depth=1
	v_or_b32_e32 v6, 0x10000, v43
	v_cmp_eq_u32_sdwa s[0:1], v43, v17 src0_sel:WORD_0 src1_sel:DWORD
	v_cndmask_b32_e64 v6, v6, v43, s[0:1]
; %bb.520:                              ;   in Loop: Header=BB344_284 Depth=1
	s_or_b64 exec, exec, s[12:13]
	v_lshlrev_b32_e32 v43, 16, v45
	v_mul_f32_e32 v44, v37, v43
	v_and_b32_e32 v43, 0x7f800000, v44
	v_cmp_ne_u32_e64 s[0:1], s19, v43
                                        ; implicit-def: $vgpr43
	s_and_saveexec_b64 s[12:13], s[0:1]
	s_xor_b64 s[0:1], exec, s[12:13]
; %bb.521:                              ;   in Loop: Header=BB344_284 Depth=1
	v_bfe_u32 v43, v44, 16, 1
	v_add3_u32 v43, v44, v43, s20
                                        ; implicit-def: $vgpr44
; %bb.522:                              ;   in Loop: Header=BB344_284 Depth=1
	s_andn2_saveexec_b64 s[12:13], s[0:1]
; %bb.523:                              ;   in Loop: Header=BB344_284 Depth=1
	v_or_b32_e32 v43, 0x10000, v44
	v_cmp_eq_u32_sdwa s[0:1], v44, v17 src0_sel:WORD_0 src1_sel:DWORD
	v_cndmask_b32_e64 v43, v43, v44, s[0:1]
; %bb.524:                              ;   in Loop: Header=BB344_284 Depth=1
	s_or_b64 exec, exec, s[12:13]
	v_lshlrev_b32_e32 v44, 16, v46
	v_mul_f32_e32 v45, v38, v44
	v_and_b32_e32 v44, 0x7f800000, v45
	v_cmp_ne_u32_e64 s[0:1], s19, v44
                                        ; implicit-def: $vgpr44
	s_and_saveexec_b64 s[12:13], s[0:1]
	s_xor_b64 s[0:1], exec, s[12:13]
; %bb.525:                              ;   in Loop: Header=BB344_284 Depth=1
	v_bfe_u32 v44, v45, 16, 1
	v_add3_u32 v44, v45, v44, s20
                                        ; implicit-def: $vgpr45
; %bb.526:                              ;   in Loop: Header=BB344_284 Depth=1
	s_andn2_saveexec_b64 s[12:13], s[0:1]
; %bb.527:                              ;   in Loop: Header=BB344_284 Depth=1
	v_or_b32_e32 v44, 0x10000, v45
	v_cmp_eq_u32_sdwa s[0:1], v45, v17 src0_sel:WORD_0 src1_sel:DWORD
	v_cndmask_b32_e64 v44, v44, v45, s[0:1]
; %bb.528:                              ;   in Loop: Header=BB344_284 Depth=1
	s_or_b64 exec, exec, s[12:13]
	v_lshlrev_b32_e32 v45, 16, v47
	v_mul_f32_e32 v46, v39, v45
	v_and_b32_e32 v45, 0x7f800000, v46
	v_cmp_ne_u32_e64 s[0:1], s19, v45
                                        ; implicit-def: $vgpr45
	s_and_saveexec_b64 s[12:13], s[0:1]
	s_xor_b64 s[0:1], exec, s[12:13]
; %bb.529:                              ;   in Loop: Header=BB344_284 Depth=1
	v_bfe_u32 v45, v46, 16, 1
	v_add3_u32 v45, v46, v45, s20
                                        ; implicit-def: $vgpr46
; %bb.530:                              ;   in Loop: Header=BB344_284 Depth=1
	s_andn2_saveexec_b64 s[12:13], s[0:1]
; %bb.531:                              ;   in Loop: Header=BB344_284 Depth=1
	v_or_b32_e32 v45, 0x10000, v46
	v_cmp_eq_u32_sdwa s[0:1], v46, v17 src0_sel:WORD_0 src1_sel:DWORD
	v_cndmask_b32_e64 v45, v45, v46, s[0:1]
; %bb.532:                              ;   in Loop: Header=BB344_284 Depth=1
	s_or_b64 exec, exec, s[12:13]
	v_lshlrev_b32_e32 v46, 16, v48
	v_mul_f32_e32 v47, v40, v46
	v_and_b32_e32 v46, 0x7f800000, v47
	v_cmp_ne_u32_e64 s[0:1], s19, v46
                                        ; implicit-def: $vgpr46
	s_and_saveexec_b64 s[12:13], s[0:1]
	s_xor_b64 s[0:1], exec, s[12:13]
; %bb.533:                              ;   in Loop: Header=BB344_284 Depth=1
	v_bfe_u32 v46, v47, 16, 1
	v_add3_u32 v46, v47, v46, s20
                                        ; implicit-def: $vgpr47
; %bb.534:                              ;   in Loop: Header=BB344_284 Depth=1
	s_andn2_saveexec_b64 s[12:13], s[0:1]
; %bb.535:                              ;   in Loop: Header=BB344_284 Depth=1
	v_or_b32_e32 v46, 0x10000, v47
	v_cmp_eq_u32_sdwa s[0:1], v47, v17 src0_sel:WORD_0 src1_sel:DWORD
	v_cndmask_b32_e64 v46, v46, v47, s[0:1]
; %bb.536:                              ;   in Loop: Header=BB344_284 Depth=1
	s_or_b64 exec, exec, s[12:13]
	v_lshlrev_b32_e32 v16, 16, v16
	v_mul_f32_e32 v16, v41, v16
	v_and_b32_e32 v47, 0x7f800000, v16
	v_cmp_ne_u32_e64 s[0:1], s19, v47
                                        ; implicit-def: $vgpr47
	s_and_saveexec_b64 s[12:13], s[0:1]
	s_xor_b64 s[0:1], exec, s[12:13]
; %bb.537:                              ;   in Loop: Header=BB344_284 Depth=1
	v_bfe_u32 v47, v16, 16, 1
	v_add3_u32 v47, v16, v47, s20
                                        ; implicit-def: $vgpr16
; %bb.538:                              ;   in Loop: Header=BB344_284 Depth=1
	s_andn2_saveexec_b64 s[12:13], s[0:1]
; %bb.539:                              ;   in Loop: Header=BB344_284 Depth=1
	v_or_b32_e32 v47, 0x10000, v16
	v_cmp_eq_u32_sdwa s[0:1], v16, v17 src0_sel:WORD_0 src1_sel:DWORD
	v_cndmask_b32_e64 v47, v47, v16, s[0:1]
; %bb.540:                              ;   in Loop: Header=BB344_284 Depth=1
	s_or_b64 exec, exec, s[12:13]
	v_lshlrev_b32_e32 v4, 16, v4
	v_mul_f32_e32 v4, v42, v4
	v_and_b32_e32 v16, 0x7f800000, v4
	v_cmp_ne_u32_e64 s[0:1], s19, v16
                                        ; implicit-def: $vgpr48
	s_and_saveexec_b64 s[12:13], s[0:1]
	s_xor_b64 s[0:1], exec, s[12:13]
; %bb.541:                              ;   in Loop: Header=BB344_284 Depth=1
	v_bfe_u32 v16, v4, 16, 1
	v_add3_u32 v48, v4, v16, s20
                                        ; implicit-def: $vgpr4
; %bb.542:                              ;   in Loop: Header=BB344_284 Depth=1
	s_andn2_saveexec_b64 s[12:13], s[0:1]
; %bb.543:                              ;   in Loop: Header=BB344_284 Depth=1
	v_or_b32_e32 v16, 0x10000, v4
	v_cmp_eq_u32_sdwa s[0:1], v4, v17 src0_sel:WORD_0 src1_sel:DWORD
	v_cndmask_b32_e64 v48, v16, v4, s[0:1]
; %bb.544:                              ;   in Loop: Header=BB344_284 Depth=1
	s_or_b64 exec, exec, s[12:13]
	global_load_dwordx2 v[2:3], v[2:3], off offset:1024
	v_mov_b32_e32 v4, 0
	s_waitcnt vmcnt(0)
	v_cmp_ne_u16_sdwa s[0:1], v2, v17 src0_sel:BYTE_0 src1_sel:DWORD
	s_and_saveexec_b64 s[12:13], s[0:1]
	s_cbranch_execz .LBB344_550
; %bb.545:                              ;   in Loop: Header=BB344_284 Depth=1
	v_cmp_ne_u16_sdwa s[0:1], v2, s21 src0_sel:BYTE_0 src1_sel:DWORD
	v_bfrev_b32_e32 v4, 1
	s_and_saveexec_b64 s[14:15], s[0:1]
	s_cbranch_execz .LBB344_549
; %bb.546:                              ;   in Loop: Header=BB344_284 Depth=1
	v_and_b32_e32 v16, 0x7f, v2
	v_cmp_ne_u32_e64 s[0:1], s22, v16
	v_mov_b32_e32 v4, 0x7f800001
	s_and_saveexec_b64 s[16:17], s[0:1]
	s_cbranch_execz .LBB344_548
; %bb.547:                              ;   in Loop: Header=BB344_284 Depth=1
	v_and_b32_e32 v4, 7, v2
	v_ffbh_u32_e32 v4, v4
	v_min_u32_e32 v4, 32, v4
	v_subrev_u32_e32 v50, 28, v4
	v_cmp_gt_u32_e64 s[0:1], 8, v16
	v_lshrrev_b32_e32 v49, 3, v16
	v_cndmask_b32_e64 v16, 0, v50, s[0:1]
	v_sub_u32_e32 v4, 29, v4
	v_lshlrev_b64 v[50:51], v16, v[2:3]
	v_cndmask_b32_e64 v4, v49, v4, s[0:1]
	v_lshlrev_b32_e32 v16, 20, v50
	v_lshlrev_b32_e32 v49, 24, v2
	v_and_b32_e32 v16, 0x700000, v16
	v_and_b32_e32 v49, 0x80000000, v49
	v_lshl_add_u32 v4, v4, 23, v13
	v_or3_b32 v4, v49, v4, v16
.LBB344_548:                            ;   in Loop: Header=BB344_284 Depth=1
	s_or_b64 exec, exec, s[16:17]
.LBB344_549:                            ;   in Loop: Header=BB344_284 Depth=1
	s_or_b64 exec, exec, s[14:15]
.LBB344_550:                            ;   in Loop: Header=BB344_284 Depth=1
	s_or_b64 exec, exec, s[12:13]
	v_mul_f32_e32 v4, s9, v4
	v_and_b32_e32 v16, 0x7f800000, v4
	v_cmp_ne_u32_e64 s[0:1], s19, v16
                                        ; implicit-def: $vgpr49
	s_and_saveexec_b64 s[12:13], s[0:1]
	s_xor_b64 s[0:1], exec, s[12:13]
; %bb.551:                              ;   in Loop: Header=BB344_284 Depth=1
	v_bfe_u32 v16, v4, 16, 1
	v_add3_u32 v49, v4, v16, s20
                                        ; implicit-def: $vgpr4
; %bb.552:                              ;   in Loop: Header=BB344_284 Depth=1
	s_andn2_saveexec_b64 s[12:13], s[0:1]
; %bb.553:                              ;   in Loop: Header=BB344_284 Depth=1
	v_or_b32_e32 v16, 0x10000, v4
	v_cmp_eq_u32_sdwa s[0:1], v4, v17 src0_sel:WORD_0 src1_sel:DWORD
	v_cndmask_b32_e64 v49, v16, v4, s[0:1]
; %bb.554:                              ;   in Loop: Header=BB344_284 Depth=1
	s_or_b64 exec, exec, s[12:13]
	v_lshrrev_b16_e32 v4, 8, v2
	v_cmp_ne_u16_e64 s[0:1], 0, v4
	v_mov_b32_e32 v16, 0
	s_and_saveexec_b64 s[12:13], s[0:1]
	s_cbranch_execz .LBB344_560
; %bb.555:                              ;   in Loop: Header=BB344_284 Depth=1
	v_cmp_ne_u16_e64 s[0:1], s21, v4
	v_bfrev_b32_e32 v16, 1
	s_and_saveexec_b64 s[14:15], s[0:1]
	s_cbranch_execz .LBB344_559
; %bb.556:                              ;   in Loop: Header=BB344_284 Depth=1
	v_and_b32_e32 v50, 0x7f, v4
	v_cmp_ne_u32_e64 s[0:1], s22, v50
	v_mov_b32_e32 v16, 0x7f800001
	s_and_saveexec_b64 s[16:17], s[0:1]
	s_cbranch_execz .LBB344_558
; %bb.557:                              ;   in Loop: Header=BB344_284 Depth=1
	v_and_b32_e32 v16, 7, v4
	v_ffbh_u32_e32 v52, v16
	v_min_u32_e32 v54, 32, v52
	v_subrev_u32_e32 v52, 28, v54
	v_lshlrev_b64 v[52:53], v52, v[4:5]
	v_lshrrev_b32_e32 v51, 3, v50
	v_sub_u32_e32 v4, 29, v54
	v_and_b32_e32 v52, 7, v52
	v_cmp_gt_u32_e64 s[0:1], 8, v50
	v_cndmask_b32_e64 v4, v51, v4, s[0:1]
	v_cndmask_b32_e64 v16, v16, v52, s[0:1]
	v_lshlrev_b32_e32 v50, 16, v2
	v_lshlrev_b32_e32 v16, 20, v16
	v_and_b32_e32 v50, 0x80000000, v50
	v_lshl_add_u32 v4, v4, 23, v13
	v_or3_b32 v16, v50, v4, v16
.LBB344_558:                            ;   in Loop: Header=BB344_284 Depth=1
	s_or_b64 exec, exec, s[16:17]
.LBB344_559:                            ;   in Loop: Header=BB344_284 Depth=1
	s_or_b64 exec, exec, s[14:15]
.LBB344_560:                            ;   in Loop: Header=BB344_284 Depth=1
	s_or_b64 exec, exec, s[12:13]
	v_mul_f32_e32 v4, s9, v16
	v_and_b32_e32 v16, 0x7f800000, v4
	v_cmp_ne_u32_e64 s[0:1], s19, v16
                                        ; implicit-def: $vgpr50
	s_and_saveexec_b64 s[12:13], s[0:1]
	s_xor_b64 s[0:1], exec, s[12:13]
; %bb.561:                              ;   in Loop: Header=BB344_284 Depth=1
	v_bfe_u32 v16, v4, 16, 1
	v_add3_u32 v50, v4, v16, s20
                                        ; implicit-def: $vgpr4
; %bb.562:                              ;   in Loop: Header=BB344_284 Depth=1
	s_andn2_saveexec_b64 s[12:13], s[0:1]
; %bb.563:                              ;   in Loop: Header=BB344_284 Depth=1
	v_or_b32_e32 v16, 0x10000, v4
	v_cmp_eq_u32_sdwa s[0:1], v4, v17 src0_sel:WORD_0 src1_sel:DWORD
	v_cndmask_b32_e64 v50, v16, v4, s[0:1]
; %bb.564:                              ;   in Loop: Header=BB344_284 Depth=1
	s_or_b64 exec, exec, s[12:13]
	v_lshrrev_b32_e32 v4, 16, v2
	v_cmp_ne_u16_sdwa s[0:1], v4, v17 src0_sel:BYTE_0 src1_sel:DWORD
	v_mov_b32_e32 v16, 0
	s_and_saveexec_b64 s[12:13], s[0:1]
	s_cbranch_execz .LBB344_570
; %bb.565:                              ;   in Loop: Header=BB344_284 Depth=1
	v_cmp_ne_u16_sdwa s[0:1], v4, s21 src0_sel:BYTE_0 src1_sel:DWORD
	v_bfrev_b32_e32 v16, 1
	s_and_saveexec_b64 s[14:15], s[0:1]
	s_cbranch_execz .LBB344_569
; %bb.566:                              ;   in Loop: Header=BB344_284 Depth=1
	v_bfe_u32 v51, v2, 16, 7
	v_cmp_ne_u32_e64 s[0:1], s22, v51
	v_mov_b32_e32 v16, 0x7f800001
	s_and_saveexec_b64 s[16:17], s[0:1]
	s_cbranch_execz .LBB344_568
; %bb.567:                              ;   in Loop: Header=BB344_284 Depth=1
	v_and_b32_e32 v16, 7, v4
	v_ffbh_u32_e32 v52, v16
	v_min_u32_e32 v55, 32, v52
	v_subrev_u32_e32 v52, 28, v55
	v_lshlrev_b64 v[52:53], v52, v[4:5]
	v_lshrrev_b32_e32 v54, 3, v51
	v_sub_u32_e32 v53, 29, v55
	v_and_b32_e32 v52, 7, v52
	v_cmp_gt_u32_e64 s[0:1], 8, v51
	v_cndmask_b32_e64 v51, v54, v53, s[0:1]
	v_cndmask_b32_e64 v16, v16, v52, s[0:1]
	v_lshlrev_b32_e32 v4, 24, v4
	v_lshlrev_b32_e32 v16, 20, v16
	v_and_b32_e32 v4, 0x80000000, v4
	v_lshl_add_u32 v51, v51, 23, v13
	v_or3_b32 v16, v4, v51, v16
.LBB344_568:                            ;   in Loop: Header=BB344_284 Depth=1
	s_or_b64 exec, exec, s[16:17]
.LBB344_569:                            ;   in Loop: Header=BB344_284 Depth=1
	s_or_b64 exec, exec, s[14:15]
.LBB344_570:                            ;   in Loop: Header=BB344_284 Depth=1
	s_or_b64 exec, exec, s[12:13]
	v_mul_f32_e32 v4, s9, v16
	v_and_b32_e32 v16, 0x7f800000, v4
	v_cmp_ne_u32_e64 s[0:1], s19, v16
                                        ; implicit-def: $vgpr51
	s_and_saveexec_b64 s[12:13], s[0:1]
	s_xor_b64 s[0:1], exec, s[12:13]
; %bb.571:                              ;   in Loop: Header=BB344_284 Depth=1
	v_bfe_u32 v16, v4, 16, 1
	v_add3_u32 v51, v4, v16, s20
                                        ; implicit-def: $vgpr4
; %bb.572:                              ;   in Loop: Header=BB344_284 Depth=1
	s_andn2_saveexec_b64 s[12:13], s[0:1]
; %bb.573:                              ;   in Loop: Header=BB344_284 Depth=1
	v_or_b32_e32 v16, 0x10000, v4
	v_cmp_eq_u32_sdwa s[0:1], v4, v17 src0_sel:WORD_0 src1_sel:DWORD
	v_cndmask_b32_e64 v51, v16, v4, s[0:1]
; %bb.574:                              ;   in Loop: Header=BB344_284 Depth=1
	s_or_b64 exec, exec, s[12:13]
	v_cmp_lt_u32_e64 s[0:1], s7, v2
	v_mov_b32_e32 v16, 0
	s_and_saveexec_b64 s[12:13], s[0:1]
	s_cbranch_execz .LBB344_580
; %bb.575:                              ;   in Loop: Header=BB344_284 Depth=1
	v_lshrrev_b32_e32 v4, 24, v2
	v_cmp_ne_u32_e64 s[0:1], s21, v4
	v_bfrev_b32_e32 v16, 1
	s_and_saveexec_b64 s[14:15], s[0:1]
	s_cbranch_execz .LBB344_579
; %bb.576:                              ;   in Loop: Header=BB344_284 Depth=1
	v_bfe_u32 v52, v2, 24, 7
	v_cmp_ne_u32_e64 s[0:1], s22, v52
	v_mov_b32_e32 v16, 0x7f800001
	s_and_saveexec_b64 s[16:17], s[0:1]
	s_cbranch_execz .LBB344_578
; %bb.577:                              ;   in Loop: Header=BB344_284 Depth=1
	v_and_b32_e32 v16, 7, v4
	v_ffbh_u32_e32 v54, v16
	v_min_u32_e32 v56, 32, v54
	v_subrev_u32_e32 v54, 28, v56
	v_lshlrev_b64 v[54:55], v54, v[4:5]
	v_lshrrev_b32_e32 v53, 3, v52
	v_sub_u32_e32 v55, 29, v56
	v_and_b32_e32 v54, 7, v54
	v_cmp_gt_u32_e64 s[0:1], 8, v52
	v_cndmask_b32_e64 v52, v53, v55, s[0:1]
	v_cndmask_b32_e64 v16, v16, v54, s[0:1]
	v_lshlrev_b32_e32 v4, 24, v4
	v_lshlrev_b32_e32 v16, 20, v16
	v_and_b32_e32 v4, 0x80000000, v4
	v_lshl_add_u32 v52, v52, 23, v13
	v_or3_b32 v16, v4, v52, v16
.LBB344_578:                            ;   in Loop: Header=BB344_284 Depth=1
	s_or_b64 exec, exec, s[16:17]
.LBB344_579:                            ;   in Loop: Header=BB344_284 Depth=1
	s_or_b64 exec, exec, s[14:15]
.LBB344_580:                            ;   in Loop: Header=BB344_284 Depth=1
	s_or_b64 exec, exec, s[12:13]
	v_mul_f32_e32 v4, s9, v16
	v_and_b32_e32 v16, 0x7f800000, v4
	v_cmp_ne_u32_e64 s[0:1], s19, v16
                                        ; implicit-def: $vgpr52
	s_and_saveexec_b64 s[12:13], s[0:1]
	s_xor_b64 s[0:1], exec, s[12:13]
; %bb.581:                              ;   in Loop: Header=BB344_284 Depth=1
	v_bfe_u32 v16, v4, 16, 1
	v_add3_u32 v52, v4, v16, s20
                                        ; implicit-def: $vgpr4
; %bb.582:                              ;   in Loop: Header=BB344_284 Depth=1
	s_andn2_saveexec_b64 s[12:13], s[0:1]
; %bb.583:                              ;   in Loop: Header=BB344_284 Depth=1
	v_or_b32_e32 v16, 0x10000, v4
	v_cmp_eq_u32_sdwa s[0:1], v4, v17 src0_sel:WORD_0 src1_sel:DWORD
	v_cndmask_b32_e64 v52, v16, v4, s[0:1]
; %bb.584:                              ;   in Loop: Header=BB344_284 Depth=1
	s_or_b64 exec, exec, s[12:13]
	v_mov_b32_e32 v16, v3
	v_cmp_ne_u16_sdwa s[0:1], v3, v17 src0_sel:BYTE_0 src1_sel:DWORD
	v_mov_b32_e32 v4, 0
	s_and_saveexec_b64 s[12:13], s[0:1]
	s_cbranch_execz .LBB344_590
; %bb.585:                              ;   in Loop: Header=BB344_284 Depth=1
	v_cmp_ne_u16_sdwa s[0:1], v3, s21 src0_sel:BYTE_0 src1_sel:DWORD
	v_bfrev_b32_e32 v4, 1
	s_and_saveexec_b64 s[14:15], s[0:1]
	s_cbranch_execz .LBB344_589
; %bb.586:                              ;   in Loop: Header=BB344_284 Depth=1
	v_and_b32_e32 v53, 0x7f, v3
	v_cmp_ne_u32_e64 s[0:1], s22, v53
	v_mov_b32_e32 v4, 0x7f800001
	s_and_saveexec_b64 s[16:17], s[0:1]
	s_cbranch_execz .LBB344_588
; %bb.587:                              ;   in Loop: Header=BB344_284 Depth=1
	v_and_b32_e32 v4, 7, v3
	v_ffbh_u32_e32 v4, v4
	v_min_u32_e32 v4, 32, v4
	v_subrev_u32_e32 v55, 28, v4
	v_cmp_gt_u32_e64 s[0:1], 8, v53
	v_lshrrev_b32_e32 v54, 3, v53
	v_sub_u32_e32 v4, 29, v4
	v_cndmask_b32_e64 v53, 0, v55, s[0:1]
	v_cndmask_b32_e64 v4, v54, v4, s[0:1]
	v_lshlrev_b64 v[54:55], v53, v[16:17]
	v_lshlrev_b32_e32 v53, 20, v54
	v_lshlrev_b32_e32 v54, 24, v16
	v_and_b32_e32 v53, 0x700000, v53
	v_and_b32_e32 v54, 0x80000000, v54
	v_lshl_add_u32 v4, v4, 23, v13
	v_or3_b32 v4, v54, v4, v53
.LBB344_588:                            ;   in Loop: Header=BB344_284 Depth=1
	s_or_b64 exec, exec, s[16:17]
.LBB344_589:                            ;   in Loop: Header=BB344_284 Depth=1
	s_or_b64 exec, exec, s[14:15]
.LBB344_590:                            ;   in Loop: Header=BB344_284 Depth=1
	s_or_b64 exec, exec, s[12:13]
	v_mul_f32_e32 v4, s9, v4
	v_and_b32_e32 v53, 0x7f800000, v4
	v_cmp_ne_u32_e64 s[0:1], s19, v53
                                        ; implicit-def: $vgpr53
	s_and_saveexec_b64 s[12:13], s[0:1]
	s_xor_b64 s[0:1], exec, s[12:13]
; %bb.591:                              ;   in Loop: Header=BB344_284 Depth=1
	v_bfe_u32 v53, v4, 16, 1
	v_add3_u32 v53, v4, v53, s20
                                        ; implicit-def: $vgpr4
; %bb.592:                              ;   in Loop: Header=BB344_284 Depth=1
	s_andn2_saveexec_b64 s[12:13], s[0:1]
; %bb.593:                              ;   in Loop: Header=BB344_284 Depth=1
	v_or_b32_e32 v53, 0x10000, v4
	v_cmp_eq_u32_sdwa s[0:1], v4, v17 src0_sel:WORD_0 src1_sel:DWORD
	v_cndmask_b32_e64 v53, v53, v4, s[0:1]
; %bb.594:                              ;   in Loop: Header=BB344_284 Depth=1
	s_or_b64 exec, exec, s[12:13]
	v_lshrrev_b16_e32 v4, 8, v16
	v_cmp_ne_u16_e64 s[0:1], 0, v4
	v_mov_b32_e32 v54, 0
	s_and_saveexec_b64 s[12:13], s[0:1]
	s_cbranch_execz .LBB344_600
; %bb.595:                              ;   in Loop: Header=BB344_284 Depth=1
	v_cmp_ne_u16_e64 s[0:1], s21, v4
	v_bfrev_b32_e32 v54, 1
	s_and_saveexec_b64 s[14:15], s[0:1]
	s_cbranch_execz .LBB344_599
; %bb.596:                              ;   in Loop: Header=BB344_284 Depth=1
	v_and_b32_e32 v55, 0x7f, v4
	v_cmp_ne_u32_e64 s[0:1], s22, v55
	v_mov_b32_e32 v54, 0x7f800001
	s_and_saveexec_b64 s[16:17], s[0:1]
	s_cbranch_execz .LBB344_598
; %bb.597:                              ;   in Loop: Header=BB344_284 Depth=1
	v_and_b32_e32 v54, 7, v4
	v_ffbh_u32_e32 v56, v54
	v_min_u32_e32 v59, 32, v56
	v_subrev_u32_e32 v56, 28, v59
	v_lshlrev_b64 v[56:57], v56, v[4:5]
	v_lshrrev_b32_e32 v58, 3, v55
	v_sub_u32_e32 v4, 29, v59
	v_and_b32_e32 v56, 7, v56
	v_cmp_gt_u32_e64 s[0:1], 8, v55
	v_cndmask_b32_e64 v4, v58, v4, s[0:1]
	v_cndmask_b32_e64 v54, v54, v56, s[0:1]
	v_lshlrev_b32_e32 v16, 16, v16
	v_lshlrev_b32_e32 v54, 20, v54
	v_and_b32_e32 v16, 0x80000000, v16
	v_lshl_add_u32 v4, v4, 23, v13
	v_or3_b32 v54, v16, v4, v54
.LBB344_598:                            ;   in Loop: Header=BB344_284 Depth=1
	s_or_b64 exec, exec, s[16:17]
.LBB344_599:                            ;   in Loop: Header=BB344_284 Depth=1
	s_or_b64 exec, exec, s[14:15]
.LBB344_600:                            ;   in Loop: Header=BB344_284 Depth=1
	s_or_b64 exec, exec, s[12:13]
	v_mul_f32_e32 v4, s9, v54
	v_and_b32_e32 v16, 0x7f800000, v4
	v_cmp_ne_u32_e64 s[0:1], s19, v16
                                        ; implicit-def: $vgpr16
	s_and_saveexec_b64 s[12:13], s[0:1]
	s_xor_b64 s[0:1], exec, s[12:13]
; %bb.601:                              ;   in Loop: Header=BB344_284 Depth=1
	v_bfe_u32 v16, v4, 16, 1
	v_add3_u32 v16, v4, v16, s20
                                        ; implicit-def: $vgpr4
; %bb.602:                              ;   in Loop: Header=BB344_284 Depth=1
	s_andn2_saveexec_b64 s[12:13], s[0:1]
; %bb.603:                              ;   in Loop: Header=BB344_284 Depth=1
	v_or_b32_e32 v16, 0x10000, v4
	v_cmp_eq_u32_sdwa s[0:1], v4, v17 src0_sel:WORD_0 src1_sel:DWORD
	v_cndmask_b32_e64 v16, v16, v4, s[0:1]
; %bb.604:                              ;   in Loop: Header=BB344_284 Depth=1
	s_or_b64 exec, exec, s[12:13]
	v_lshrrev_b32_e32 v4, 16, v3
	v_cmp_ne_u16_sdwa s[0:1], v4, v17 src0_sel:BYTE_0 src1_sel:DWORD
	v_mov_b32_e32 v54, 0
	s_and_saveexec_b64 s[12:13], s[0:1]
	s_cbranch_execz .LBB344_610
; %bb.605:                              ;   in Loop: Header=BB344_284 Depth=1
	v_cmp_ne_u16_sdwa s[0:1], v4, s21 src0_sel:BYTE_0 src1_sel:DWORD
	v_bfrev_b32_e32 v54, 1
	s_and_saveexec_b64 s[14:15], s[0:1]
	s_cbranch_execz .LBB344_609
; %bb.606:                              ;   in Loop: Header=BB344_284 Depth=1
	v_bfe_u32 v55, v3, 16, 7
	v_cmp_ne_u32_e64 s[0:1], s22, v55
	v_mov_b32_e32 v54, 0x7f800001
	s_and_saveexec_b64 s[16:17], s[0:1]
	s_cbranch_execz .LBB344_608
; %bb.607:                              ;   in Loop: Header=BB344_284 Depth=1
	v_and_b32_e32 v54, 7, v4
	v_ffbh_u32_e32 v56, v54
	v_min_u32_e32 v59, 32, v56
	v_subrev_u32_e32 v56, 28, v59
	v_lshlrev_b64 v[56:57], v56, v[4:5]
	v_lshrrev_b32_e32 v58, 3, v55
	v_sub_u32_e32 v57, 29, v59
	v_and_b32_e32 v56, 7, v56
	v_cmp_gt_u32_e64 s[0:1], 8, v55
	v_cndmask_b32_e64 v55, v58, v57, s[0:1]
	v_cndmask_b32_e64 v54, v54, v56, s[0:1]
	v_lshlrev_b32_e32 v4, 24, v4
	v_lshlrev_b32_e32 v54, 20, v54
	v_and_b32_e32 v4, 0x80000000, v4
	v_lshl_add_u32 v55, v55, 23, v13
	v_or3_b32 v54, v4, v55, v54
.LBB344_608:                            ;   in Loop: Header=BB344_284 Depth=1
	s_or_b64 exec, exec, s[16:17]
.LBB344_609:                            ;   in Loop: Header=BB344_284 Depth=1
	s_or_b64 exec, exec, s[14:15]
.LBB344_610:                            ;   in Loop: Header=BB344_284 Depth=1
	s_or_b64 exec, exec, s[12:13]
	v_mul_f32_e32 v54, s9, v54
	v_and_b32_e32 v4, 0x7f800000, v54
	v_cmp_ne_u32_e64 s[0:1], s19, v4
                                        ; implicit-def: $vgpr4
	s_and_saveexec_b64 s[12:13], s[0:1]
	s_xor_b64 s[0:1], exec, s[12:13]
; %bb.611:                              ;   in Loop: Header=BB344_284 Depth=1
	v_bfe_u32 v4, v54, 16, 1
	v_add3_u32 v4, v54, v4, s20
                                        ; implicit-def: $vgpr54
; %bb.612:                              ;   in Loop: Header=BB344_284 Depth=1
	s_andn2_saveexec_b64 s[12:13], s[0:1]
; %bb.613:                              ;   in Loop: Header=BB344_284 Depth=1
	v_or_b32_e32 v4, 0x10000, v54
	v_cmp_eq_u32_sdwa s[0:1], v54, v17 src0_sel:WORD_0 src1_sel:DWORD
	v_cndmask_b32_e64 v4, v4, v54, s[0:1]
; %bb.614:                              ;   in Loop: Header=BB344_284 Depth=1
	s_or_b64 exec, exec, s[12:13]
	v_cmp_lt_u64_e64 s[0:1], s[6:7], v[2:3]
	v_mov_b32_e32 v54, 0
	s_and_saveexec_b64 s[12:13], s[0:1]
	s_cbranch_execz .LBB344_620
; %bb.615:                              ;   in Loop: Header=BB344_284 Depth=1
	v_lshrrev_b32_e32 v2, 24, v3
	v_cmp_ne_u32_e64 s[0:1], s21, v2
	v_bfrev_b32_e32 v54, 1
	s_and_saveexec_b64 s[14:15], s[0:1]
	s_cbranch_execz .LBB344_619
; %bb.616:                              ;   in Loop: Header=BB344_284 Depth=1
	v_bfe_u32 v3, v3, 24, 7
	v_cmp_ne_u32_e64 s[0:1], s22, v3
	v_mov_b32_e32 v54, 0x7f800001
	s_and_saveexec_b64 s[16:17], s[0:1]
	s_cbranch_execz .LBB344_618
; %bb.617:                              ;   in Loop: Header=BB344_284 Depth=1
	v_and_b32_e32 v56, 7, v2
	v_ffbh_u32_e32 v54, v56
	v_min_u32_e32 v58, 32, v54
	v_subrev_u32_e32 v54, 28, v58
	v_lshlrev_b64 v[54:55], v54, v[2:3]
	v_lshrrev_b32_e32 v57, 3, v3
	v_sub_u32_e32 v55, 29, v58
	v_and_b32_e32 v54, 7, v54
	v_cmp_gt_u32_e64 s[0:1], 8, v3
	v_cndmask_b32_e64 v3, v57, v55, s[0:1]
	v_cndmask_b32_e64 v54, v56, v54, s[0:1]
	v_lshlrev_b32_e32 v2, 24, v2
	v_lshlrev_b32_e32 v54, 20, v54
	v_and_b32_e32 v2, 0x80000000, v2
	v_lshl_add_u32 v3, v3, 23, v13
	v_or3_b32 v54, v2, v3, v54
.LBB344_618:                            ;   in Loop: Header=BB344_284 Depth=1
	s_or_b64 exec, exec, s[16:17]
.LBB344_619:                            ;   in Loop: Header=BB344_284 Depth=1
	s_or_b64 exec, exec, s[14:15]
.LBB344_620:                            ;   in Loop: Header=BB344_284 Depth=1
	s_or_b64 exec, exec, s[12:13]
	v_mul_f32_e32 v2, s9, v54
	v_and_b32_e32 v3, 0x7f800000, v2
	v_cmp_ne_u32_e64 s[0:1], s19, v3
                                        ; implicit-def: $vgpr3
	s_and_saveexec_b64 s[12:13], s[0:1]
	s_xor_b64 s[0:1], exec, s[12:13]
; %bb.621:                              ;   in Loop: Header=BB344_284 Depth=1
	v_bfe_u32 v3, v2, 16, 1
	v_add3_u32 v3, v2, v3, s20
                                        ; implicit-def: $vgpr2
; %bb.622:                              ;   in Loop: Header=BB344_284 Depth=1
	s_andn2_saveexec_b64 s[12:13], s[0:1]
; %bb.623:                              ;   in Loop: Header=BB344_284 Depth=1
	v_or_b32_e32 v3, 0x10000, v2
	v_cmp_eq_u32_sdwa s[0:1], v2, v17 src0_sel:WORD_0 src1_sel:DWORD
	v_cndmask_b32_e64 v3, v3, v2, s[0:1]
; %bb.624:                              ;   in Loop: Header=BB344_284 Depth=1
	s_or_b64 exec, exec, s[12:13]
	v_lshrrev_b32_e32 v54, 16, v16
	v_lshrrev_b32_e32 v53, 16, v53
	;; [unrolled: 1-line block ×8, first 2 shown]
	s_and_saveexec_b64 s[0:1], vcc
	s_cbranch_execz .LBB344_626
; %bb.625:                              ;   in Loop: Header=BB344_284 Depth=1
	v_cmp_gt_i32_e32 vcc, s35, v27
	v_cndmask_b32_e32 v2, 0, v2, vcc
	v_cmp_gt_i32_e32 vcc, s35, v33
	v_cndmask_b32_e32 v50, 0, v50, vcc
	;; [unrolled: 2-line block ×8, first 2 shown]
.LBB344_626:                            ;   in Loop: Header=BB344_284 Depth=1
	s_or_b64 exec, exec, s[0:1]
	v_lshlrev_b32_e32 v2, 16, v2
	v_mul_f32_e32 v4, v35, v2
	v_and_b32_e32 v2, 0x7f800000, v4
	v_cmp_ne_u32_e32 vcc, s19, v2
                                        ; implicit-def: $vgpr2
	s_and_saveexec_b64 s[0:1], vcc
	s_xor_b64 s[0:1], exec, s[0:1]
; %bb.627:                              ;   in Loop: Header=BB344_284 Depth=1
	v_bfe_u32 v2, v4, 16, 1
	v_add3_u32 v2, v4, v2, s20
                                        ; implicit-def: $vgpr4
; %bb.628:                              ;   in Loop: Header=BB344_284 Depth=1
	s_andn2_saveexec_b64 s[0:1], s[0:1]
; %bb.629:                              ;   in Loop: Header=BB344_284 Depth=1
	v_or_b32_e32 v2, 0x10000, v4
	v_cmp_eq_u32_sdwa vcc, v4, v17 src0_sel:WORD_0 src1_sel:DWORD
	v_cndmask_b32_e32 v2, v2, v4, vcc
; %bb.630:                              ;   in Loop: Header=BB344_284 Depth=1
	s_or_b64 exec, exec, s[0:1]
	v_lshlrev_b32_e32 v4, 16, v50
	v_mul_f32_e32 v27, v36, v4
	v_and_b32_e32 v4, 0x7f800000, v27
	v_cmp_ne_u32_e32 vcc, s19, v4
                                        ; implicit-def: $vgpr4
	s_and_saveexec_b64 s[0:1], vcc
	s_xor_b64 s[0:1], exec, s[0:1]
; %bb.631:                              ;   in Loop: Header=BB344_284 Depth=1
	v_bfe_u32 v4, v27, 16, 1
	v_add3_u32 v4, v27, v4, s20
                                        ; implicit-def: $vgpr27
; %bb.632:                              ;   in Loop: Header=BB344_284 Depth=1
	s_andn2_saveexec_b64 s[0:1], s[0:1]
; %bb.633:                              ;   in Loop: Header=BB344_284 Depth=1
	v_or_b32_e32 v4, 0x10000, v27
	v_cmp_eq_u32_sdwa vcc, v27, v17 src0_sel:WORD_0 src1_sel:DWORD
	v_cndmask_b32_e32 v4, v4, v27, vcc
; %bb.634:                              ;   in Loop: Header=BB344_284 Depth=1
	s_or_b64 exec, exec, s[0:1]
	v_lshlrev_b32_e32 v27, 16, v51
	v_mul_f32_e32 v28, v37, v27
	v_and_b32_e32 v27, 0x7f800000, v28
	v_cmp_ne_u32_e32 vcc, s19, v27
                                        ; implicit-def: $vgpr27
	s_and_saveexec_b64 s[0:1], vcc
	s_xor_b64 s[0:1], exec, s[0:1]
; %bb.635:                              ;   in Loop: Header=BB344_284 Depth=1
	v_bfe_u32 v27, v28, 16, 1
	v_add3_u32 v27, v28, v27, s20
                                        ; implicit-def: $vgpr28
; %bb.636:                              ;   in Loop: Header=BB344_284 Depth=1
	s_andn2_saveexec_b64 s[0:1], s[0:1]
; %bb.637:                              ;   in Loop: Header=BB344_284 Depth=1
	v_or_b32_e32 v27, 0x10000, v28
	v_cmp_eq_u32_sdwa vcc, v28, v17 src0_sel:WORD_0 src1_sel:DWORD
	v_cndmask_b32_e32 v27, v27, v28, vcc
; %bb.638:                              ;   in Loop: Header=BB344_284 Depth=1
	s_or_b64 exec, exec, s[0:1]
	v_lshlrev_b32_e32 v28, 16, v52
	v_mul_f32_e32 v29, v38, v28
	v_and_b32_e32 v28, 0x7f800000, v29
	v_cmp_ne_u32_e32 vcc, s19, v28
                                        ; implicit-def: $vgpr28
	s_and_saveexec_b64 s[0:1], vcc
	s_xor_b64 s[0:1], exec, s[0:1]
; %bb.639:                              ;   in Loop: Header=BB344_284 Depth=1
	v_bfe_u32 v28, v29, 16, 1
	v_add3_u32 v28, v29, v28, s20
                                        ; implicit-def: $vgpr29
; %bb.640:                              ;   in Loop: Header=BB344_284 Depth=1
	s_andn2_saveexec_b64 s[0:1], s[0:1]
; %bb.641:                              ;   in Loop: Header=BB344_284 Depth=1
	v_or_b32_e32 v28, 0x10000, v29
	v_cmp_eq_u32_sdwa vcc, v29, v17 src0_sel:WORD_0 src1_sel:DWORD
	v_cndmask_b32_e32 v28, v28, v29, vcc
; %bb.642:                              ;   in Loop: Header=BB344_284 Depth=1
	s_or_b64 exec, exec, s[0:1]
	v_lshlrev_b32_e32 v29, 16, v53
	v_mul_f32_e32 v30, v39, v29
	v_and_b32_e32 v29, 0x7f800000, v30
	v_cmp_ne_u32_e32 vcc, s19, v29
                                        ; implicit-def: $vgpr29
	s_and_saveexec_b64 s[0:1], vcc
	s_xor_b64 s[0:1], exec, s[0:1]
; %bb.643:                              ;   in Loop: Header=BB344_284 Depth=1
	v_bfe_u32 v29, v30, 16, 1
	v_add3_u32 v29, v30, v29, s20
                                        ; implicit-def: $vgpr30
; %bb.644:                              ;   in Loop: Header=BB344_284 Depth=1
	s_andn2_saveexec_b64 s[0:1], s[0:1]
; %bb.645:                              ;   in Loop: Header=BB344_284 Depth=1
	v_or_b32_e32 v29, 0x10000, v30
	v_cmp_eq_u32_sdwa vcc, v30, v17 src0_sel:WORD_0 src1_sel:DWORD
	v_cndmask_b32_e32 v29, v29, v30, vcc
; %bb.646:                              ;   in Loop: Header=BB344_284 Depth=1
	s_or_b64 exec, exec, s[0:1]
	v_lshlrev_b32_e32 v30, 16, v54
	v_mul_f32_e32 v31, v40, v30
	v_and_b32_e32 v30, 0x7f800000, v31
	v_cmp_ne_u32_e32 vcc, s19, v30
                                        ; implicit-def: $vgpr30
	s_and_saveexec_b64 s[0:1], vcc
	s_xor_b64 s[0:1], exec, s[0:1]
; %bb.647:                              ;   in Loop: Header=BB344_284 Depth=1
	v_bfe_u32 v30, v31, 16, 1
	v_add3_u32 v30, v31, v30, s20
                                        ; implicit-def: $vgpr31
; %bb.648:                              ;   in Loop: Header=BB344_284 Depth=1
	s_andn2_saveexec_b64 s[0:1], s[0:1]
; %bb.649:                              ;   in Loop: Header=BB344_284 Depth=1
	v_or_b32_e32 v30, 0x10000, v31
	v_cmp_eq_u32_sdwa vcc, v31, v17 src0_sel:WORD_0 src1_sel:DWORD
	v_cndmask_b32_e32 v30, v30, v31, vcc
; %bb.650:                              ;   in Loop: Header=BB344_284 Depth=1
	s_or_b64 exec, exec, s[0:1]
	v_lshlrev_b32_e32 v16, 16, v16
	v_mul_f32_e32 v31, v41, v16
	v_and_b32_e32 v16, 0x7f800000, v31
	v_cmp_ne_u32_e32 vcc, s19, v16
                                        ; implicit-def: $vgpr16
	s_and_saveexec_b64 s[0:1], vcc
	s_xor_b64 s[0:1], exec, s[0:1]
; %bb.651:                              ;   in Loop: Header=BB344_284 Depth=1
	v_bfe_u32 v16, v31, 16, 1
	v_add3_u32 v16, v31, v16, s20
                                        ; implicit-def: $vgpr31
; %bb.652:                              ;   in Loop: Header=BB344_284 Depth=1
	s_andn2_saveexec_b64 s[0:1], s[0:1]
; %bb.653:                              ;   in Loop: Header=BB344_284 Depth=1
	v_or_b32_e32 v16, 0x10000, v31
	v_cmp_eq_u32_sdwa vcc, v31, v17 src0_sel:WORD_0 src1_sel:DWORD
	v_cndmask_b32_e32 v16, v16, v31, vcc
; %bb.654:                              ;   in Loop: Header=BB344_284 Depth=1
	s_or_b64 exec, exec, s[0:1]
	v_lshlrev_b32_e32 v3, 16, v3
	v_mul_f32_e32 v31, v42, v3
	v_and_b32_e32 v3, 0x7f800000, v31
	v_cmp_ne_u32_e32 vcc, s19, v3
                                        ; implicit-def: $vgpr3
	s_and_saveexec_b64 s[0:1], vcc
	s_xor_b64 s[0:1], exec, s[0:1]
; %bb.655:                              ;   in Loop: Header=BB344_284 Depth=1
	v_bfe_u32 v3, v31, 16, 1
	v_add3_u32 v3, v31, v3, s20
                                        ; implicit-def: $vgpr31
; %bb.656:                              ;   in Loop: Header=BB344_284 Depth=1
	s_andn2_saveexec_b64 s[0:1], s[0:1]
	s_cbranch_execz .LBB344_283
; %bb.657:                              ;   in Loop: Header=BB344_284 Depth=1
	v_or_b32_e32 v3, 0x10000, v31
	v_cmp_eq_u32_sdwa vcc, v31, v17 src0_sel:WORD_0 src1_sel:DWORD
	v_cndmask_b32_e32 v3, v3, v31, vcc
	s_branch .LBB344_283
.LBB344_658:
	s_or_b64 exec, exec, s[10:11]
.LBB344_659:
	s_or_b64 exec, exec, s[4:5]
	v_and_b32_e32 v2, 0x3c0, v0
	v_cmp_eq_u32_e32 vcc, 64, v2
	s_barrier
	s_and_saveexec_b64 s[0:1], vcc
	s_cbranch_execz .LBB344_661
; %bb.660:
	v_mov_b32_e32 v2, 0x190
	v_lshl_add_u32 v1, v1, 2, v2
	v_lshl_add_u32 v2, v0, 2, v2
	ds_write_b32 v1, v14
	ds_write_b32 v2, v15
	ds_write_b32 v1, v10 offset:512
.LBB344_661:
	s_or_b64 exec, exec, s[0:1]
	v_cmp_gt_u32_e32 vcc, 64, v0
	s_waitcnt lgkmcnt(0)
	s_barrier
	s_and_saveexec_b64 s[0:1], vcc
	s_cbranch_execz .LBB344_663
; %bb.662:
	v_mov_b32_e32 v1, 0x190
	v_lshl_add_u32 v1, v0, 2, v1
	ds_read2st64_b32 v[2:3], v1 offset1:1
	ds_read_b32 v1, v1 offset:512
	s_waitcnt lgkmcnt(1)
	v_pk_add_f32 v[14:15], v[14:15], v[2:3]
	s_waitcnt lgkmcnt(0)
	v_add_f32_e32 v10, v10, v1
.LBB344_663:
	s_or_b64 exec, exec, s[0:1]
	s_barrier
	s_and_saveexec_b64 s[0:1], vcc
	s_cbranch_execz .LBB344_677
; %bb.664:
	s_mov_b32 s0, 0x7f800000
	v_and_b32_e32 v1, 0x7f800000, v14
	v_cmp_ne_u32_e32 vcc, s0, v1
                                        ; implicit-def: $vgpr2
	s_and_saveexec_b64 s[0:1], vcc
	s_xor_b64 s[0:1], exec, s[0:1]
; %bb.665:
	v_bfe_u32 v1, v14, 16, 1
	s_movk_i32 s3, 0x7fff
	v_add3_u32 v2, v14, v1, s3
; %bb.666:
	s_andn2_saveexec_b64 s[0:1], s[0:1]
; %bb.667:
	v_mov_b32_e32 v1, 0
	v_or_b32_e32 v2, 0x10000, v14
	v_cmp_eq_u32_sdwa vcc, v14, v1 src0_sel:WORD_0 src1_sel:DWORD
	v_cndmask_b32_e32 v2, v2, v14, vcc
; %bb.668:
	s_or_b64 exec, exec, s[0:1]
	s_mul_i32 s0, s2, 0xc0
	s_ashr_i32 s1, s0, 31
	s_lshl_b64 s[0:1], s[0:1], 1
	s_add_u32 s2, s28, s0
	s_mul_i32 s0, s33, s30
	s_addc_u32 s3, s29, s1
	s_ashr_i32 s1, s0, 31
	s_lshl_b64 s[0:1], s[0:1], 1
	s_add_u32 s2, s2, s0
	s_mul_i32 s0, s8, 0xc0
	s_addc_u32 s3, s3, s1
	s_ashr_i32 s1, s0, 31
	s_lshl_b64 s[0:1], s[0:1], 1
	s_add_u32 s0, s2, s0
	s_addc_u32 s1, s3, s1
	v_lshlrev_b32_e32 v3, 1, v0
	v_mov_b32_e32 v1, s1
	v_add_co_u32_e32 v0, vcc, s0, v3
	v_addc_co_u32_e32 v1, vcc, 0, v1, vcc
	global_store_short_d16_hi v3, v2, s[0:1]
	s_mov_b32 s0, 0x7f800000
	v_and_b32_e32 v2, 0x7f800000, v15
	v_cmp_ne_u32_e32 vcc, s0, v2
                                        ; implicit-def: $vgpr2
	s_and_saveexec_b64 s[0:1], vcc
	s_xor_b64 s[0:1], exec, s[0:1]
; %bb.669:
	v_bfe_u32 v2, v15, 16, 1
	s_movk_i32 s2, 0x7fff
	v_add3_u32 v2, v15, v2, s2
; %bb.670:
	s_andn2_saveexec_b64 s[0:1], s[0:1]
; %bb.671:
	v_mov_b32_e32 v2, 0
	v_or_b32_e32 v3, 0x10000, v15
	v_cmp_eq_u32_sdwa vcc, v15, v2 src0_sel:WORD_0 src1_sel:DWORD
	v_cndmask_b32_e32 v2, v3, v15, vcc
; %bb.672:
	s_or_b64 exec, exec, s[0:1]
	global_store_short_d16_hi v[0:1], v2, off offset:128
	s_mov_b32 s0, 0x7f800000
	v_and_b32_e32 v2, 0x7f800000, v10
	v_cmp_ne_u32_e32 vcc, s0, v2
                                        ; implicit-def: $vgpr2
	s_and_saveexec_b64 s[0:1], vcc
	s_xor_b64 s[0:1], exec, s[0:1]
; %bb.673:
	v_bfe_u32 v2, v10, 16, 1
	s_movk_i32 s2, 0x7fff
	v_add3_u32 v2, v10, v2, s2
                                        ; implicit-def: $vgpr8_vgpr9_vgpr10
; %bb.674:
	s_andn2_saveexec_b64 s[0:1], s[0:1]
; %bb.675:
	v_mov_b32_e32 v2, 0
	v_or_b32_e32 v3, 0x10000, v10
	v_cmp_eq_u32_sdwa vcc, v10, v2 src0_sel:WORD_0 src1_sel:DWORD
	v_cndmask_b32_e32 v2, v3, v10, vcc
; %bb.676:
	s_or_b64 exec, exec, s[0:1]
	global_store_short_d16_hi v[0:1], v2, off offset:256
.LBB344_677:
	s_endpgm
	.section	.rodata,"a",@progbits
	.p2align	6, 0x0
	.amdhsa_kernel _ZN4vllm25paged_attention_v2_kernelI14__hip_bfloat16hLi192ELi8ELi128ELNS_18Fp8KVCacheDataTypeE1ELb0ELi512EEEvPfS3_PT_PKS4_PKT0_SA_ifPKiSC_iPKfiiiSE_SE_iiiii
		.amdhsa_group_segment_fixed_size 400
		.amdhsa_private_segment_fixed_size 0
		.amdhsa_kernarg_size 400
		.amdhsa_user_sgpr_count 6
		.amdhsa_user_sgpr_private_segment_buffer 1
		.amdhsa_user_sgpr_dispatch_ptr 0
		.amdhsa_user_sgpr_queue_ptr 0
		.amdhsa_user_sgpr_kernarg_segment_ptr 1
		.amdhsa_user_sgpr_dispatch_id 0
		.amdhsa_user_sgpr_flat_scratch_init 0
		.amdhsa_user_sgpr_kernarg_preload_length 0
		.amdhsa_user_sgpr_kernarg_preload_offset 0
		.amdhsa_user_sgpr_private_segment_size 0
		.amdhsa_uses_dynamic_stack 0
		.amdhsa_system_sgpr_private_segment_wavefront_offset 0
		.amdhsa_system_sgpr_workgroup_id_x 1
		.amdhsa_system_sgpr_workgroup_id_y 1
		.amdhsa_system_sgpr_workgroup_id_z 1
		.amdhsa_system_sgpr_workgroup_info 0
		.amdhsa_system_vgpr_workitem_id 0
		.amdhsa_next_free_vgpr 77
		.amdhsa_next_free_sgpr 53
		.amdhsa_accum_offset 80
		.amdhsa_reserve_vcc 1
		.amdhsa_reserve_flat_scratch 0
		.amdhsa_float_round_mode_32 0
		.amdhsa_float_round_mode_16_64 0
		.amdhsa_float_denorm_mode_32 3
		.amdhsa_float_denorm_mode_16_64 3
		.amdhsa_dx10_clamp 1
		.amdhsa_ieee_mode 1
		.amdhsa_fp16_overflow 0
		.amdhsa_tg_split 0
		.amdhsa_exception_fp_ieee_invalid_op 0
		.amdhsa_exception_fp_denorm_src 0
		.amdhsa_exception_fp_ieee_div_zero 0
		.amdhsa_exception_fp_ieee_overflow 0
		.amdhsa_exception_fp_ieee_underflow 0
		.amdhsa_exception_fp_ieee_inexact 0
		.amdhsa_exception_int_div_zero 0
	.end_amdhsa_kernel
	.section	.text._ZN4vllm25paged_attention_v2_kernelI14__hip_bfloat16hLi192ELi8ELi128ELNS_18Fp8KVCacheDataTypeE1ELb0ELi512EEEvPfS3_PT_PKS4_PKT0_SA_ifPKiSC_iPKfiiiSE_SE_iiiii,"axG",@progbits,_ZN4vllm25paged_attention_v2_kernelI14__hip_bfloat16hLi192ELi8ELi128ELNS_18Fp8KVCacheDataTypeE1ELb0ELi512EEEvPfS3_PT_PKS4_PKT0_SA_ifPKiSC_iPKfiiiSE_SE_iiiii,comdat
.Lfunc_end344:
	.size	_ZN4vllm25paged_attention_v2_kernelI14__hip_bfloat16hLi192ELi8ELi128ELNS_18Fp8KVCacheDataTypeE1ELb0ELi512EEEvPfS3_PT_PKS4_PKT0_SA_ifPKiSC_iPKfiiiSE_SE_iiiii, .Lfunc_end344-_ZN4vllm25paged_attention_v2_kernelI14__hip_bfloat16hLi192ELi8ELi128ELNS_18Fp8KVCacheDataTypeE1ELb0ELi512EEEvPfS3_PT_PKS4_PKT0_SA_ifPKiSC_iPKfiiiSE_SE_iiiii
                                        ; -- End function
	.section	.AMDGPU.csdata,"",@progbits
; Kernel info:
; codeLenInByte = 19604
; NumSgprs: 57
; NumVgprs: 77
; NumAgprs: 0
; TotalNumVgprs: 77
; ScratchSize: 0
; MemoryBound: 0
; FloatMode: 240
; IeeeMode: 1
; LDSByteSize: 400 bytes/workgroup (compile time only)
; SGPRBlocks: 7
; VGPRBlocks: 9
; NumSGPRsForWavesPerEU: 57
; NumVGPRsForWavesPerEU: 77
; AccumOffset: 80
; Occupancy: 6
; WaveLimiterHint : 1
; COMPUTE_PGM_RSRC2:SCRATCH_EN: 0
; COMPUTE_PGM_RSRC2:USER_SGPR: 6
; COMPUTE_PGM_RSRC2:TRAP_HANDLER: 0
; COMPUTE_PGM_RSRC2:TGID_X_EN: 1
; COMPUTE_PGM_RSRC2:TGID_Y_EN: 1
; COMPUTE_PGM_RSRC2:TGID_Z_EN: 1
; COMPUTE_PGM_RSRC2:TIDIG_COMP_CNT: 0
; COMPUTE_PGM_RSRC3_GFX90A:ACCUM_OFFSET: 19
; COMPUTE_PGM_RSRC3_GFX90A:TG_SPLIT: 0
	.text
	.p2align	2                               ; -- Begin function _ZN4vllm22paged_attention_kernelI14__hip_bfloat16hLi256ELi8ELi128ELNS_18Fp8KVCacheDataTypeE1ELb0ELi512EEEvPfS3_PT_PKS4_PKT0_SA_ifPKiSC_iPKfiiiSE_SE_iiiii
	.type	_ZN4vllm22paged_attention_kernelI14__hip_bfloat16hLi256ELi8ELi128ELNS_18Fp8KVCacheDataTypeE1ELb0ELi512EEEvPfS3_PT_PKS4_PKT0_SA_ifPKiSC_iPKfiiiSE_SE_iiiii,@function
_ZN4vllm22paged_attention_kernelI14__hip_bfloat16hLi256ELi8ELi128ELNS_18Fp8KVCacheDataTypeE1ELb0ELi512EEEvPfS3_PT_PKS4_PKT0_SA_ifPKiSC_iPKfiiiSE_SE_iiiii: ; @_ZN4vllm22paged_attention_kernelI14__hip_bfloat16hLi256ELi8ELi128ELNS_18Fp8KVCacheDataTypeE1ELb0ELi512EEEvPfS3_PT_PKS4_PKT0_SA_ifPKiSC_iPKfiiiSE_SE_iiiii
; %bb.0:
	s_waitcnt vmcnt(0) expcnt(0) lgkmcnt(0)
	s_or_saveexec_b64 s[4:5], -1
	buffer_store_dword v63, off, s[0:3], s32 offset:156 ; 4-byte Folded Spill
	s_mov_b64 exec, s[4:5]
	buffer_store_dword v40, off, s[0:3], s32 offset:152 ; 4-byte Folded Spill
	buffer_store_dword v41, off, s[0:3], s32 offset:148 ; 4-byte Folded Spill
	;; [unrolled: 1-line block ×38, first 2 shown]
	buffer_store_dword a55, off, s[0:3], s32 ; 4-byte Folded Spill
	v_writelane_b32 v63, s34, 0
	v_writelane_b32 v63, s35, 1
	;; [unrolled: 1-line block ×8, first 2 shown]
	s_mov_b32 s22, s13
	s_ashr_i32 s23, s13, 31
	s_lshl_b64 s[4:5], s[22:23], 2
	v_mov_b32_e32 v34, v1
	v_mov_b32_e32 v35, v0
	;; [unrolled: 1-line block ×3, first 2 shown]
	v_add_co_u32_e32 v0, vcc, s4, v16
	v_addc_co_u32_e32 v1, vcc, v17, v1, vcc
	flat_load_dword v30, v[0:1]
	s_lshl_b32 s23, s14, 9
	v_accvgpr_write_b32 a4, v22
	v_mov_b32_e32 v29, v20
	v_mov_b32_e32 v28, v19
	;; [unrolled: 1-line block ×6, first 2 shown]
	s_waitcnt vmcnt(0) lgkmcnt(0)
	v_cmp_lt_i32_e32 vcc, s23, v30
	s_and_saveexec_b64 s[16:17], vcc
	s_cbranch_execz .LBB345_875
; %bb.1:
	v_sub_u32_e32 v0, 0, v12
	v_max_i32_e32 v0, v12, v0
	v_cvt_f32_u32_e32 v1, v0
	s_load_dword s4, s[8:9], 0x10
	s_load_dword s6, s[8:9], 0x0
	v_sub_u32_e32 v3, 0, v0
	s_mov_b32 s18, s15
	v_rcp_iflag_f32_e32 v1, v1
	s_waitcnt lgkmcnt(0)
	s_lshr_b32 s4, s4, 16
	s_cmp_lg_u32 s4, 0
	s_cselect_b64 s[4:5], -1, 0
	v_mul_f32_e32 v1, 0x4f7ffffe, v1
	v_cvt_u32_f32_e32 v1, v1
	s_cmp_lg_u64 s[4:5], 0
	s_addc_u32 s15, s6, 0
	s_abs_i32 s4, s15
	v_mul_lo_u32 v3, v3, v1
	v_mul_hi_u32 v3, v1, v3
	v_add_u32_e32 v1, v1, v3
	v_mul_hi_u32 v1, s4, v1
	v_mul_lo_u32 v3, v1, v0
	v_sub_u32_e32 v3, s4, v3
	v_add_u32_e32 v4, 1, v1
	v_cmp_ge_u32_e32 vcc, v3, v0
	v_cndmask_b32_e32 v1, v1, v4, vcc
	v_sub_u32_e32 v4, v3, v0
	v_cndmask_b32_e32 v3, v3, v4, vcc
	v_xor_b32_e32 v2, s15, v12
	v_add_u32_e32 v4, 1, v1
	v_cmp_ge_u32_e32 vcc, v3, v0
	v_ashrrev_i32_e32 v2, 31, v2
	v_cndmask_b32_e32 v0, v1, v4, vcc
	v_xor_b32_e32 v0, v0, v2
	v_sub_u32_e32 v1, v0, v2
	v_sub_u32_e32 v0, 0, v1
	v_max_i32_e32 v0, v1, v0
	v_cvt_f32_u32_e32 v2, v0
	v_sub_u32_e32 v3, 0, v0
	s_abs_i32 s10, s12
	v_cmp_ne_u64_e32 vcc, 0, v[28:29]
	v_rcp_iflag_f32_e32 v2, v2
	v_mov_b32_e32 v37, 0
	v_mul_f32_e32 v2, 0x4f7ffffe, v2
	v_cvt_u32_f32_e32 v2, v2
	v_mul_lo_u32 v3, v3, v2
	v_mul_hi_u32 v3, v2, v3
	v_add_u32_e32 v2, v2, v3
	v_mad_u64_u32 v[16:17], s[4:5], s10, v2, 0
	s_and_saveexec_b64 s[4:5], vcc
	s_cbranch_execz .LBB345_3
; %bb.2:
	s_ashr_i32 s13, s12, 31
	s_lshl_b64 s[6:7], s[12:13], 2
	v_mov_b32_e32 v3, s7
	v_add_co_u32_e32 v2, vcc, s6, v28
	v_addc_co_u32_e32 v3, vcc, v29, v3, vcc
	flat_load_dword v37, v[2:3]
.LBB345_3:
	s_or_b64 exec, exec, s[4:5]
	s_load_dword s11, s[8:9], 0x14
	s_load_dword s13, s[8:9], 0x8
	v_and_b32_e32 v28, 0x3ff, v31
	s_lshl_b32 s20, s12, 8
	s_movk_i32 s4, 0x100
	v_and_b32_e32 v12, 7, v28
	s_ashr_i32 s21, s20, 31
	v_cmp_gt_u32_e32 vcc, s4, v28
	s_and_saveexec_b64 s[6:7], vcc
	s_cbranch_execz .LBB345_6
; %bb.4:
	v_mul_lo_u32 v4, s22, v21
	v_ashrrev_i32_e32 v5, 31, v4
	v_lshlrev_b64 v[4:5], 1, v[4:5]
	s_lshl_b64 s[4:5], s[20:21], 1
	v_mov_b32_e32 v16, s5
	v_add_co_u32_e32 v4, vcc, s4, v4
	v_lshrrev_b32_e32 v3, 3, v28
	v_addc_co_u32_e32 v5, vcc, v5, v16, vcc
	v_lshlrev_b32_e32 v16, 1, v12
	v_lshl_or_b32 v16, v3, 4, v16
	v_add_co_u32_e32 v4, vcc, v4, v16
	v_addc_co_u32_e32 v5, vcc, 0, v5, vcc
	v_add_u32_e32 v2, -16, v3
	v_add_co_u32_e32 v6, vcc, v6, v4
	v_lshlrev_b32_e32 v3, 1, v3
	v_addc_co_u32_e32 v7, vcc, v7, v5, vcc
	v_lshl_add_u32 v3, v12, 6, v3
	s_mov_b64 s[8:9], 0
.LBB345_5:                              ; =>This Inner Loop Header: Depth=1
	flat_load_ushort v4, v[6:7]
	v_add_co_u32_e64 v2, s[4:5], 16, v2
	s_xor_b64 s[4:5], s[4:5], -1
	v_add_co_u32_e32 v6, vcc, 0x100, v6
	s_and_b64 s[4:5], exec, s[4:5]
	v_addc_co_u32_e32 v7, vcc, 0, v7, vcc
	s_or_b64 s[8:9], s[4:5], s[8:9]
	s_waitcnt vmcnt(0) lgkmcnt(0)
	ds_write_b16 v3, v4
	v_add_u32_e32 v3, 32, v3
	s_andn2_b64 exec, exec, s[8:9]
	s_cbranch_execnz .LBB345_5
.LBB345_6:
	s_or_b64 exec, exec, s[6:7]
	v_add_u32_e32 v2, 7, v30
	v_ashrrev_i32_e32 v3, 31, v2
	v_lshrrev_b32_e32 v3, 29, v3
	v_add_u32_e32 v2, v2, v3
	v_ashrrev_i32_e32 v48, 3, v2
	v_mul_lo_u32 v2, v17, v0
	v_sub_u32_e32 v2, s10, v2
	v_add_u32_e32 v3, 1, v17
	v_cmp_ge_u32_e32 vcc, v2, v0
	v_sub_u32_e32 v4, v2, v0
	v_cndmask_b32_e32 v3, v17, v3, vcc
	v_cndmask_b32_e32 v2, v2, v4, vcc
	s_ashr_i32 s4, s12, 31
	v_ashrrev_i32_e32 v1, 31, v1
	s_lshl_b32 s36, s14, 6
	v_add_u32_e32 v4, 1, v3
	v_cmp_ge_u32_e32 vcc, v2, v0
	s_add_i32 s5, s36, 64
	v_lshrrev_b32_e32 v31, 6, v28
	v_xor_b32_e32 v1, s4, v1
	v_cndmask_b32_e32 v0, v3, v4, vcc
	v_min_i32_e32 v5, s5, v48
	v_xor_b32_e32 v0, v0, v1
	v_mul_lo_u32 v6, s22, v18
	v_or_b32_e32 v16, s36, v31
	s_waitcnt lgkmcnt(0)
	s_lshr_b32 s21, s11, 16
	v_sub_u32_e32 v1, v0, v1
	v_ashrrev_i32_e32 v7, 31, v6
	v_cmp_lt_i32_e64 s[4:5], v16, v5
	v_accvgpr_write_b32 a3, v5
	v_cmp_ge_i32_e32 vcc, v16, v5
	v_mbcnt_lo_u32_b32 v0, -1, 0
	s_barrier
	s_waitcnt lgkmcnt(0)
                                        ; implicit-def: $sgpr8
                                        ; implicit-def: $vgpr38
                                        ; implicit-def: $vgpr18
	s_and_saveexec_b64 s[6:7], vcc
	s_xor_b64 s[6:7], exec, s[6:7]
; %bb.7:
	v_mbcnt_hi_u32_b32 v38, -1, v0
	v_and_b32_e32 v0, 64, v38
	v_add_u32_e32 v18, 64, v0
	s_mov_b32 s8, 0xff7fffff
                                        ; implicit-def: $vgpr37
                                        ; implicit-def: $vgpr13
                                        ; implicit-def: $vgpr24_vgpr25
                                        ; implicit-def: $vgpr8
                                        ; implicit-def: $vgpr9
                                        ; implicit-def: $vgpr12
                                        ; implicit-def: $vgpr0
; %bb.8:
	s_or_saveexec_b64 s[10:11], s[6:7]
	v_lshlrev_b64 v[2:3], 2, v[6:7]
	v_mul_lo_u32 v23, v1, v23
	v_accvgpr_write_b32 a19, v3
	v_lshlrev_b32_e32 v1, 3, v31
	v_mov_b32_e32 v29, s8
	v_ashrrev_i32_e32 v17, 31, v16
	v_ashrrev_i32_e32 v49, 31, v23
	v_accvgpr_write_b32 a18, v2
	v_accvgpr_write_b32 a17, v1
	s_xor_b64 exec, exec, s[10:11]
	s_cbranch_execz .LBB345_334
; %bb.9:
	v_accvgpr_write_b32 a10, v10
	v_lshlrev_b32_e32 v10, 6, v12
	ds_read_b128 v[2:5], v10
	v_bfe_u32 v6, v28, 3, 3
	v_add_co_u32_e32 v1, vcc, v8, v23
	v_addc_co_u32_e32 v7, vcc, v9, v49, vcc
	v_lshlrev_b32_e32 v8, 4, v6
	v_add_co_u32_e32 v8, vcc, v1, v8
	s_waitcnt lgkmcnt(0)
	v_lshlrev_b32_e32 v1, 16, v2
	v_accvgpr_write_b32 a23, v1
	v_and_b32_e32 v1, 0xffff0000, v2
	v_accvgpr_write_b32 a24, v1
	v_lshlrev_b32_e32 v1, 16, v3
	v_accvgpr_write_b32 a25, v1
	v_and_b32_e32 v1, 0xffff0000, v3
	v_accvgpr_write_b32 a8, v26
	v_accvgpr_write_b32 a26, v1
	v_lshlrev_b32_e32 v1, 16, v4
	v_accvgpr_write_b32 a16, v48
	v_accvgpr_write_b32 a9, v27
	;; [unrolled: 1-line block ×5, first 2 shown]
	ds_read_b128 v[18:21], v10 offset:16
	ds_read_b128 v[26:29], v10 offset:32
	;; [unrolled: 1-line block ×3, first 2 shown]
	v_accvgpr_write_b32 a27, v1
	v_and_b32_e32 v1, 0xffff0000, v4
	v_accvgpr_write_b32 a28, v1
	v_lshlrev_b32_e32 v1, 16, v5
	v_accvgpr_write_b32 a29, v1
	v_and_b32_e32 v1, 0xffff0000, v5
	v_accvgpr_write_b32 a30, v1
	s_waitcnt lgkmcnt(0)
	v_lshlrev_b32_e32 v1, 16, v18
	v_accvgpr_write_b32 a31, v1
	v_and_b32_e32 v1, 0xffff0000, v18
	v_accvgpr_write_b32 a32, v1
	v_lshlrev_b32_e32 v1, 16, v19
	v_accvgpr_write_b32 a33, v1
	v_and_b32_e32 v1, 0xffff0000, v19
	v_accvgpr_write_b32 a34, v1
	;; [unrolled: 4-line block ×11, first 2 shown]
	v_lshlrev_b32_e32 v1, 16, v51
	v_mbcnt_hi_u32_b32 v38, -1, v0
	v_accvgpr_write_b32 a53, v1
	v_and_b32_e32 v1, 0xffff0000, v51
	v_and_b32_e32 v0, 64, v38
	v_addc_co_u32_e32 v9, vcc, 0, v7, vcc
	v_accvgpr_write_b32 a54, v1
	v_add_u32_e32 v1, 64, v0
	v_xor_b32_e32 v0, 4, v38
	v_cmp_lt_i32_e32 vcc, v0, v1
	v_cndmask_b32_e32 v0, v38, v0, vcc
	v_accvgpr_write_b32 a1, v22
	v_lshlrev_b32_e32 v22, 2, v0
	v_xor_b32_e32 v0, 2, v38
	v_cmp_lt_i32_e32 vcc, v0, v1
	v_cndmask_b32_e32 v0, v38, v0, vcc
	v_accvgpr_write_b32 a12, v35
	v_lshlrev_b32_e32 v35, 2, v0
	v_xor_b32_e32 v0, 1, v38
	s_ashr_i32 s19, s18, 31
	v_cmp_lt_i32_e32 vcc, v0, v1
	s_lshl_b64 s[8:9], s[18:19], 2
	v_cndmask_b32_e32 v0, v38, v0, vcc
	s_getpc_b64 s[24:25]
	s_add_u32 s24, s24, llvm.amdgcn.dynlds.offset.table@rel32@lo+4
	s_addc_u32 s25, s25, llvm.amdgcn.dynlds.offset.table@rel32@hi+12
	v_accvgpr_write_b32 a22, v1
	v_mov_b32_e32 v2, v31
	v_lshlrev_b32_e32 v31, 2, v0
	s_add_u32 s24, s8, s24
	v_lshlrev_b64 v[0:1], 2, v[16:17]
	v_accvgpr_read_b32 v4, a18
	s_addc_u32 s25, s9, s25
	v_accvgpr_read_b32 v5, a19
	v_add_co_u32_e64 v0, s[8:9], v4, v0
	v_addc_co_u32_e64 v1, s[8:9], v5, v1, s[8:9]
	v_add_co_u32_e64 v18, s[8:9], v14, v0
	v_sub_u32_e32 v0, 1, v30
	v_accvgpr_write_b32 a55, v0
	v_accvgpr_read_b32 v0, a17
	v_addc_co_u32_e64 v19, s[8:9], v15, v1, s[8:9]
	v_add3_u32 v1, s23, v0, v6
	v_lshlrev_b32_e32 v0, 2, v6
	v_accvgpr_write_b32 a14, v39
	v_accvgpr_write_b32 a13, v36
	;; [unrolled: 1-line block ×5, first 2 shown]
	v_mov_b32_e32 v23, 0
	v_cmp_eq_u32_e32 vcc, 0, v12
	s_waitcnt vmcnt(0)
	v_cmp_neq_f32_e64 s[6:7], 0, v37
	v_accvgpr_write_b32 a6, v14
	v_accvgpr_write_b32 a5, v15
	;; [unrolled: 1-line block ×3, first 2 shown]
	v_lshl_or_b32 v0, v2, 5, v0
	s_mov_b64 s[26:27], 0
	s_movk_i32 s19, 0x80
	s_movk_i32 s37, 0x7f
	s_mov_b32 s38, 0x7f800000
	s_movk_i32 s39, 0x7fff
	v_mov_b32_e32 v29, 0xff7fffff
	v_bfrev_b32_e32 v3, 60
	v_mov_b32_e32 v2, v16
	s_branch .LBB345_11
.LBB345_10:                             ;   in Loop: Header=BB345_11 Depth=1
	s_or_b64 exec, exec, s[28:29]
	v_add_co_u32_e64 v18, s[8:9], 8, v18
	v_add_u32_e32 v2, 2, v2
	v_addc_co_u32_e64 v19, s[8:9], 0, v19, s[8:9]
	v_accvgpr_read_b32 v4, a3
	v_cmp_ge_i32_e64 s[8:9], v2, v4
	v_add_u32_e32 v1, 16, v1
	s_or_b64 s[26:27], s[8:9], s[26:27]
	v_add_u32_e32 v0, 64, v0
	s_andn2_b64 exec, exec, s[26:27]
	s_cbranch_execz .LBB345_333
.LBB345_11:                             ; =>This Inner Loop Header: Depth=1
	flat_load_dword v4, v[18:19]
	v_accvgpr_read_b32 v6, a4
	s_waitcnt vmcnt(0) lgkmcnt(0)
	v_mad_i64_i32 v[4:5], s[8:9], v4, v6, v[8:9]
	v_add_co_u32_e64 v20, s[8:9], v4, v12
	v_addc_co_u32_e64 v21, s[8:9], 0, v5, s[8:9]
	flat_load_ubyte v14, v[20:21]
	flat_load_dword v15, v[24:25]
	v_mov_b32_e32 v4, 0
	s_waitcnt vmcnt(0) lgkmcnt(0)
	v_cmp_ne_u16_e64 s[8:9], 0, v14
	s_and_saveexec_b64 s[28:29], s[8:9]
	s_cbranch_execz .LBB345_17
; %bb.12:                               ;   in Loop: Header=BB345_11 Depth=1
	v_cmp_ne_u16_e64 s[8:9], s19, v14
	v_bfrev_b32_e32 v4, 1
	s_and_saveexec_b64 s[30:31], s[8:9]
	s_cbranch_execz .LBB345_16
; %bb.13:                               ;   in Loop: Header=BB345_11 Depth=1
	v_and_b32_e32 v28, 0xffff, v14
	v_and_b32_e32 v5, 0x7f, v28
	v_cmp_ne_u32_e64 s[8:9], s37, v5
	v_mov_b32_e32 v4, 0x7f800001
	s_and_saveexec_b64 s[34:35], s[8:9]
	s_cbranch_execz .LBB345_15
; %bb.14:                               ;   in Loop: Header=BB345_11 Depth=1
	v_and_b32_e32 v4, 7, v28
	v_ffbh_u32_e32 v7, v4
	v_min_u32_e32 v7, 32, v7
	v_subrev_u32_e32 v10, 28, v7
	v_lshlrev_b64 v[26:27], v10, v[28:29]
	v_lshrrev_b32_e32 v6, 3, v5
	v_sub_u32_e32 v7, 29, v7
	v_and_b32_e32 v10, 7, v26
	v_cmp_gt_u32_e64 s[8:9], 8, v5
	v_cndmask_b32_e64 v5, v6, v7, s[8:9]
	v_cndmask_b32_e64 v4, v4, v10, s[8:9]
	v_lshlrev_b32_e32 v6, 24, v14
	v_lshlrev_b32_e32 v4, 20, v4
	v_and_b32_e32 v6, 0x80000000, v6
	v_lshl_add_u32 v5, v5, 23, v3
	v_or3_b32 v4, v6, v5, v4
.LBB345_15:                             ;   in Loop: Header=BB345_11 Depth=1
	s_or_b64 exec, exec, s[34:35]
.LBB345_16:                             ;   in Loop: Header=BB345_11 Depth=1
	s_or_b64 exec, exec, s[30:31]
.LBB345_17:                             ;   in Loop: Header=BB345_11 Depth=1
	s_or_b64 exec, exec, s[28:29]
	v_mul_f32_e32 v4, v15, v4
	v_and_b32_e32 v5, 0x7f800000, v4
	v_cmp_ne_u32_e64 s[8:9], s38, v5
                                        ; implicit-def: $vgpr14
	s_and_saveexec_b64 s[28:29], s[8:9]
	s_xor_b64 s[8:9], exec, s[28:29]
; %bb.18:                               ;   in Loop: Header=BB345_11 Depth=1
	v_bfe_u32 v5, v4, 16, 1
	v_add3_u32 v14, v4, v5, s39
                                        ; implicit-def: $vgpr4
; %bb.19:                               ;   in Loop: Header=BB345_11 Depth=1
	s_andn2_saveexec_b64 s[28:29], s[8:9]
; %bb.20:                               ;   in Loop: Header=BB345_11 Depth=1
	v_or_b32_e32 v5, 0x10000, v4
	v_cmp_eq_u32_sdwa s[8:9], v4, v23 src0_sel:WORD_0 src1_sel:DWORD
	v_cndmask_b32_e64 v14, v5, v4, s[8:9]
; %bb.21:                               ;   in Loop: Header=BB345_11 Depth=1
	s_or_b64 exec, exec, s[28:29]
	flat_load_ubyte v26, v[20:21] offset:8
	v_mov_b32_e32 v5, 0
	s_waitcnt vmcnt(0) lgkmcnt(0)
	v_cmp_ne_u16_e64 s[8:9], 0, v26
	s_and_saveexec_b64 s[28:29], s[8:9]
	s_cbranch_execz .LBB345_27
; %bb.22:                               ;   in Loop: Header=BB345_11 Depth=1
	v_cmp_ne_u16_e64 s[8:9], s19, v26
	v_bfrev_b32_e32 v5, 1
	s_and_saveexec_b64 s[30:31], s[8:9]
	s_cbranch_execz .LBB345_26
; %bb.23:                               ;   in Loop: Header=BB345_11 Depth=1
	v_and_b32_e32 v28, 0xffff, v26
	v_and_b32_e32 v4, 0x7f, v28
	v_cmp_ne_u32_e64 s[8:9], s37, v4
	v_mov_b32_e32 v5, 0x7f800001
	s_and_saveexec_b64 s[34:35], s[8:9]
	s_cbranch_execz .LBB345_25
; %bb.24:                               ;   in Loop: Header=BB345_11 Depth=1
	v_and_b32_e32 v5, 7, v28
	v_ffbh_u32_e32 v7, v5
	v_min_u32_e32 v7, 32, v7
	v_subrev_u32_e32 v10, 28, v7
	v_lshlrev_b64 v[48:49], v10, v[28:29]
	v_lshrrev_b32_e32 v6, 3, v4
	v_sub_u32_e32 v7, 29, v7
	v_and_b32_e32 v10, 7, v48
	v_cmp_gt_u32_e64 s[8:9], 8, v4
	v_cndmask_b32_e64 v4, v6, v7, s[8:9]
	v_cndmask_b32_e64 v5, v5, v10, s[8:9]
	v_lshlrev_b32_e32 v6, 24, v26
	v_lshlrev_b32_e32 v5, 20, v5
	v_and_b32_e32 v6, 0x80000000, v6
	v_lshl_add_u32 v4, v4, 23, v3
	v_or3_b32 v5, v6, v4, v5
.LBB345_25:                             ;   in Loop: Header=BB345_11 Depth=1
	s_or_b64 exec, exec, s[34:35]
.LBB345_26:                             ;   in Loop: Header=BB345_11 Depth=1
	s_or_b64 exec, exec, s[30:31]
.LBB345_27:                             ;   in Loop: Header=BB345_11 Depth=1
	s_or_b64 exec, exec, s[28:29]
	v_mul_f32_e32 v4, v15, v5
	v_and_b32_e32 v5, 0x7f800000, v4
	v_cmp_ne_u32_e64 s[8:9], s38, v5
                                        ; implicit-def: $vgpr39
	s_and_saveexec_b64 s[28:29], s[8:9]
	s_xor_b64 s[8:9], exec, s[28:29]
; %bb.28:                               ;   in Loop: Header=BB345_11 Depth=1
	v_bfe_u32 v5, v4, 16, 1
	v_add3_u32 v39, v4, v5, s39
                                        ; implicit-def: $vgpr4
; %bb.29:                               ;   in Loop: Header=BB345_11 Depth=1
	s_andn2_saveexec_b64 s[28:29], s[8:9]
; %bb.30:                               ;   in Loop: Header=BB345_11 Depth=1
	v_or_b32_e32 v5, 0x10000, v4
	v_cmp_eq_u32_sdwa s[8:9], v4, v23 src0_sel:WORD_0 src1_sel:DWORD
	v_cndmask_b32_e64 v39, v5, v4, s[8:9]
; %bb.31:                               ;   in Loop: Header=BB345_11 Depth=1
	s_or_b64 exec, exec, s[28:29]
	flat_load_ubyte v26, v[20:21] offset:128
	v_mov_b32_e32 v5, 0
	s_waitcnt vmcnt(0) lgkmcnt(0)
	v_cmp_ne_u16_e64 s[8:9], 0, v26
	s_and_saveexec_b64 s[28:29], s[8:9]
	s_cbranch_execz .LBB345_37
; %bb.32:                               ;   in Loop: Header=BB345_11 Depth=1
	v_cmp_ne_u16_e64 s[8:9], s19, v26
	v_bfrev_b32_e32 v5, 1
	s_and_saveexec_b64 s[30:31], s[8:9]
	s_cbranch_execz .LBB345_36
; %bb.33:                               ;   in Loop: Header=BB345_11 Depth=1
	v_and_b32_e32 v28, 0xffff, v26
	v_and_b32_e32 v4, 0x7f, v28
	v_cmp_ne_u32_e64 s[8:9], s37, v4
	v_mov_b32_e32 v5, 0x7f800001
	s_and_saveexec_b64 s[34:35], s[8:9]
	s_cbranch_execz .LBB345_35
; %bb.34:                               ;   in Loop: Header=BB345_11 Depth=1
	v_and_b32_e32 v5, 7, v28
	v_ffbh_u32_e32 v7, v5
	v_min_u32_e32 v7, 32, v7
	v_subrev_u32_e32 v10, 28, v7
	v_lshlrev_b64 v[48:49], v10, v[28:29]
	v_lshrrev_b32_e32 v6, 3, v4
	v_sub_u32_e32 v7, 29, v7
	v_and_b32_e32 v10, 7, v48
	v_cmp_gt_u32_e64 s[8:9], 8, v4
	v_cndmask_b32_e64 v4, v6, v7, s[8:9]
	v_cndmask_b32_e64 v5, v5, v10, s[8:9]
	v_lshlrev_b32_e32 v6, 24, v26
	v_lshlrev_b32_e32 v5, 20, v5
	v_and_b32_e32 v6, 0x80000000, v6
	v_lshl_add_u32 v4, v4, 23, v3
	v_or3_b32 v5, v6, v4, v5
.LBB345_35:                             ;   in Loop: Header=BB345_11 Depth=1
	s_or_b64 exec, exec, s[34:35]
.LBB345_36:                             ;   in Loop: Header=BB345_11 Depth=1
	s_or_b64 exec, exec, s[30:31]
.LBB345_37:                             ;   in Loop: Header=BB345_11 Depth=1
	s_or_b64 exec, exec, s[28:29]
	v_mul_f32_e32 v4, v15, v5
	v_and_b32_e32 v5, 0x7f800000, v4
	v_cmp_ne_u32_e64 s[8:9], s38, v5
                                        ; implicit-def: $vgpr27
	s_and_saveexec_b64 s[28:29], s[8:9]
	s_xor_b64 s[8:9], exec, s[28:29]
; %bb.38:                               ;   in Loop: Header=BB345_11 Depth=1
	v_bfe_u32 v5, v4, 16, 1
	v_add3_u32 v27, v4, v5, s39
                                        ; implicit-def: $vgpr4
; %bb.39:                               ;   in Loop: Header=BB345_11 Depth=1
	s_andn2_saveexec_b64 s[28:29], s[8:9]
; %bb.40:                               ;   in Loop: Header=BB345_11 Depth=1
	v_or_b32_e32 v5, 0x10000, v4
	v_cmp_eq_u32_sdwa s[8:9], v4, v23 src0_sel:WORD_0 src1_sel:DWORD
	v_cndmask_b32_e64 v27, v5, v4, s[8:9]
; %bb.41:                               ;   in Loop: Header=BB345_11 Depth=1
	s_or_b64 exec, exec, s[28:29]
	flat_load_ubyte v26, v[20:21] offset:136
	v_mov_b32_e32 v5, 0
	s_waitcnt vmcnt(0) lgkmcnt(0)
	v_cmp_ne_u16_e64 s[8:9], 0, v26
	s_and_saveexec_b64 s[28:29], s[8:9]
	s_cbranch_execz .LBB345_47
; %bb.42:                               ;   in Loop: Header=BB345_11 Depth=1
	v_cmp_ne_u16_e64 s[8:9], s19, v26
	v_bfrev_b32_e32 v5, 1
	s_and_saveexec_b64 s[30:31], s[8:9]
	s_cbranch_execz .LBB345_46
; %bb.43:                               ;   in Loop: Header=BB345_11 Depth=1
	v_and_b32_e32 v28, 0xffff, v26
	v_and_b32_e32 v4, 0x7f, v28
	v_cmp_ne_u32_e64 s[8:9], s37, v4
	v_mov_b32_e32 v5, 0x7f800001
	s_and_saveexec_b64 s[34:35], s[8:9]
	s_cbranch_execz .LBB345_45
; %bb.44:                               ;   in Loop: Header=BB345_11 Depth=1
	v_and_b32_e32 v5, 7, v28
	v_ffbh_u32_e32 v7, v5
	v_min_u32_e32 v7, 32, v7
	v_subrev_u32_e32 v10, 28, v7
	v_lshlrev_b64 v[48:49], v10, v[28:29]
	v_lshrrev_b32_e32 v6, 3, v4
	v_sub_u32_e32 v7, 29, v7
	v_and_b32_e32 v10, 7, v48
	v_cmp_gt_u32_e64 s[8:9], 8, v4
	v_cndmask_b32_e64 v4, v6, v7, s[8:9]
	v_cndmask_b32_e64 v5, v5, v10, s[8:9]
	v_lshlrev_b32_e32 v6, 24, v26
	v_lshlrev_b32_e32 v5, 20, v5
	v_and_b32_e32 v6, 0x80000000, v6
	v_lshl_add_u32 v4, v4, 23, v3
	v_or3_b32 v5, v6, v4, v5
.LBB345_45:                             ;   in Loop: Header=BB345_11 Depth=1
	s_or_b64 exec, exec, s[34:35]
.LBB345_46:                             ;   in Loop: Header=BB345_11 Depth=1
	s_or_b64 exec, exec, s[30:31]
.LBB345_47:                             ;   in Loop: Header=BB345_11 Depth=1
	s_or_b64 exec, exec, s[28:29]
	v_mul_f32_e32 v4, v15, v5
	v_and_b32_e32 v5, 0x7f800000, v4
	v_cmp_ne_u32_e64 s[8:9], s38, v5
                                        ; implicit-def: $vgpr26
	s_and_saveexec_b64 s[28:29], s[8:9]
	s_xor_b64 s[8:9], exec, s[28:29]
; %bb.48:                               ;   in Loop: Header=BB345_11 Depth=1
	v_bfe_u32 v5, v4, 16, 1
	v_add3_u32 v26, v4, v5, s39
                                        ; implicit-def: $vgpr4
; %bb.49:                               ;   in Loop: Header=BB345_11 Depth=1
	s_andn2_saveexec_b64 s[28:29], s[8:9]
; %bb.50:                               ;   in Loop: Header=BB345_11 Depth=1
	v_or_b32_e32 v5, 0x10000, v4
	v_cmp_eq_u32_sdwa s[8:9], v4, v23 src0_sel:WORD_0 src1_sel:DWORD
	v_cndmask_b32_e64 v26, v5, v4, s[8:9]
; %bb.51:                               ;   in Loop: Header=BB345_11 Depth=1
	s_or_b64 exec, exec, s[28:29]
	flat_load_ubyte v33, v[20:21] offset:256
	v_mov_b32_e32 v5, 0
	s_waitcnt vmcnt(0) lgkmcnt(0)
	v_cmp_ne_u16_e64 s[8:9], 0, v33
	s_and_saveexec_b64 s[28:29], s[8:9]
	s_cbranch_execz .LBB345_57
; %bb.52:                               ;   in Loop: Header=BB345_11 Depth=1
	v_cmp_ne_u16_e64 s[8:9], s19, v33
	v_bfrev_b32_e32 v5, 1
	s_and_saveexec_b64 s[30:31], s[8:9]
	s_cbranch_execz .LBB345_56
; %bb.53:                               ;   in Loop: Header=BB345_11 Depth=1
	v_and_b32_e32 v28, 0xffff, v33
	v_and_b32_e32 v4, 0x7f, v28
	v_cmp_ne_u32_e64 s[8:9], s37, v4
	v_mov_b32_e32 v5, 0x7f800001
	s_and_saveexec_b64 s[34:35], s[8:9]
	s_cbranch_execz .LBB345_55
; %bb.54:                               ;   in Loop: Header=BB345_11 Depth=1
	v_and_b32_e32 v5, 7, v28
	v_ffbh_u32_e32 v7, v5
	v_min_u32_e32 v7, 32, v7
	v_subrev_u32_e32 v10, 28, v7
	v_lshlrev_b64 v[48:49], v10, v[28:29]
	v_lshrrev_b32_e32 v6, 3, v4
	v_sub_u32_e32 v7, 29, v7
	v_and_b32_e32 v10, 7, v48
	v_cmp_gt_u32_e64 s[8:9], 8, v4
	v_cndmask_b32_e64 v4, v6, v7, s[8:9]
	v_cndmask_b32_e64 v5, v5, v10, s[8:9]
	v_lshlrev_b32_e32 v6, 24, v33
	v_lshlrev_b32_e32 v5, 20, v5
	v_and_b32_e32 v6, 0x80000000, v6
	v_lshl_add_u32 v4, v4, 23, v3
	v_or3_b32 v5, v6, v4, v5
.LBB345_55:                             ;   in Loop: Header=BB345_11 Depth=1
	s_or_b64 exec, exec, s[34:35]
.LBB345_56:                             ;   in Loop: Header=BB345_11 Depth=1
	s_or_b64 exec, exec, s[30:31]
.LBB345_57:                             ;   in Loop: Header=BB345_11 Depth=1
	s_or_b64 exec, exec, s[28:29]
	v_mul_f32_e32 v4, v15, v5
	v_and_b32_e32 v5, 0x7f800000, v4
	v_cmp_ne_u32_e64 s[8:9], s38, v5
                                        ; implicit-def: $vgpr48
	s_and_saveexec_b64 s[28:29], s[8:9]
	s_xor_b64 s[8:9], exec, s[28:29]
; %bb.58:                               ;   in Loop: Header=BB345_11 Depth=1
	v_bfe_u32 v5, v4, 16, 1
	v_add3_u32 v48, v4, v5, s39
                                        ; implicit-def: $vgpr4
; %bb.59:                               ;   in Loop: Header=BB345_11 Depth=1
	s_andn2_saveexec_b64 s[28:29], s[8:9]
; %bb.60:                               ;   in Loop: Header=BB345_11 Depth=1
	v_or_b32_e32 v5, 0x10000, v4
	v_cmp_eq_u32_sdwa s[8:9], v4, v23 src0_sel:WORD_0 src1_sel:DWORD
	v_cndmask_b32_e64 v48, v5, v4, s[8:9]
; %bb.61:                               ;   in Loop: Header=BB345_11 Depth=1
	s_or_b64 exec, exec, s[28:29]
	flat_load_ubyte v33, v[20:21] offset:264
	v_mov_b32_e32 v5, 0
	s_waitcnt vmcnt(0) lgkmcnt(0)
	v_cmp_ne_u16_e64 s[8:9], 0, v33
	s_and_saveexec_b64 s[28:29], s[8:9]
	s_cbranch_execz .LBB345_67
; %bb.62:                               ;   in Loop: Header=BB345_11 Depth=1
	v_cmp_ne_u16_e64 s[8:9], s19, v33
	v_bfrev_b32_e32 v5, 1
	s_and_saveexec_b64 s[30:31], s[8:9]
	s_cbranch_execz .LBB345_66
; %bb.63:                               ;   in Loop: Header=BB345_11 Depth=1
	v_and_b32_e32 v28, 0xffff, v33
	v_and_b32_e32 v4, 0x7f, v28
	v_cmp_ne_u32_e64 s[8:9], s37, v4
	v_mov_b32_e32 v5, 0x7f800001
	s_and_saveexec_b64 s[34:35], s[8:9]
	s_cbranch_execz .LBB345_65
; %bb.64:                               ;   in Loop: Header=BB345_11 Depth=1
	v_and_b32_e32 v5, 7, v28
	v_ffbh_u32_e32 v7, v5
	v_min_u32_e32 v7, 32, v7
	v_subrev_u32_e32 v10, 28, v7
	v_lshlrev_b64 v[50:51], v10, v[28:29]
	v_lshrrev_b32_e32 v6, 3, v4
	v_sub_u32_e32 v7, 29, v7
	v_and_b32_e32 v10, 7, v50
	v_cmp_gt_u32_e64 s[8:9], 8, v4
	v_cndmask_b32_e64 v4, v6, v7, s[8:9]
	v_cndmask_b32_e64 v5, v5, v10, s[8:9]
	v_lshlrev_b32_e32 v6, 24, v33
	v_lshlrev_b32_e32 v5, 20, v5
	v_and_b32_e32 v6, 0x80000000, v6
	v_lshl_add_u32 v4, v4, 23, v3
	v_or3_b32 v5, v6, v4, v5
.LBB345_65:                             ;   in Loop: Header=BB345_11 Depth=1
	s_or_b64 exec, exec, s[34:35]
.LBB345_66:                             ;   in Loop: Header=BB345_11 Depth=1
	s_or_b64 exec, exec, s[30:31]
.LBB345_67:                             ;   in Loop: Header=BB345_11 Depth=1
	s_or_b64 exec, exec, s[28:29]
	v_mul_f32_e32 v4, v15, v5
	v_and_b32_e32 v5, 0x7f800000, v4
	v_cmp_ne_u32_e64 s[8:9], s38, v5
                                        ; implicit-def: $vgpr49
	s_and_saveexec_b64 s[28:29], s[8:9]
	s_xor_b64 s[8:9], exec, s[28:29]
; %bb.68:                               ;   in Loop: Header=BB345_11 Depth=1
	v_bfe_u32 v5, v4, 16, 1
	v_add3_u32 v49, v4, v5, s39
                                        ; implicit-def: $vgpr4
; %bb.69:                               ;   in Loop: Header=BB345_11 Depth=1
	s_andn2_saveexec_b64 s[28:29], s[8:9]
; %bb.70:                               ;   in Loop: Header=BB345_11 Depth=1
	v_or_b32_e32 v5, 0x10000, v4
	v_cmp_eq_u32_sdwa s[8:9], v4, v23 src0_sel:WORD_0 src1_sel:DWORD
	v_cndmask_b32_e64 v49, v5, v4, s[8:9]
; %bb.71:                               ;   in Loop: Header=BB345_11 Depth=1
	s_or_b64 exec, exec, s[28:29]
	flat_load_ubyte v33, v[20:21] offset:384
	v_mov_b32_e32 v5, 0
	s_waitcnt vmcnt(0) lgkmcnt(0)
	v_cmp_ne_u16_e64 s[8:9], 0, v33
	s_and_saveexec_b64 s[28:29], s[8:9]
	s_cbranch_execz .LBB345_77
; %bb.72:                               ;   in Loop: Header=BB345_11 Depth=1
	v_cmp_ne_u16_e64 s[8:9], s19, v33
	v_bfrev_b32_e32 v5, 1
	s_and_saveexec_b64 s[30:31], s[8:9]
	s_cbranch_execz .LBB345_76
; %bb.73:                               ;   in Loop: Header=BB345_11 Depth=1
	v_and_b32_e32 v28, 0xffff, v33
	v_and_b32_e32 v4, 0x7f, v28
	v_cmp_ne_u32_e64 s[8:9], s37, v4
	v_mov_b32_e32 v5, 0x7f800001
	s_and_saveexec_b64 s[34:35], s[8:9]
	s_cbranch_execz .LBB345_75
; %bb.74:                               ;   in Loop: Header=BB345_11 Depth=1
	v_and_b32_e32 v5, 7, v28
	v_ffbh_u32_e32 v7, v5
	v_min_u32_e32 v7, 32, v7
	v_subrev_u32_e32 v10, 28, v7
	v_lshlrev_b64 v[50:51], v10, v[28:29]
	v_lshrrev_b32_e32 v6, 3, v4
	v_sub_u32_e32 v7, 29, v7
	v_and_b32_e32 v10, 7, v50
	v_cmp_gt_u32_e64 s[8:9], 8, v4
	v_cndmask_b32_e64 v4, v6, v7, s[8:9]
	v_cndmask_b32_e64 v5, v5, v10, s[8:9]
	v_lshlrev_b32_e32 v6, 24, v33
	v_lshlrev_b32_e32 v5, 20, v5
	v_and_b32_e32 v6, 0x80000000, v6
	v_lshl_add_u32 v4, v4, 23, v3
	v_or3_b32 v5, v6, v4, v5
.LBB345_75:                             ;   in Loop: Header=BB345_11 Depth=1
	s_or_b64 exec, exec, s[34:35]
.LBB345_76:                             ;   in Loop: Header=BB345_11 Depth=1
	s_or_b64 exec, exec, s[30:31]
.LBB345_77:                             ;   in Loop: Header=BB345_11 Depth=1
	s_or_b64 exec, exec, s[28:29]
	v_mul_f32_e32 v4, v15, v5
	v_and_b32_e32 v5, 0x7f800000, v4
	v_cmp_ne_u32_e64 s[8:9], s38, v5
                                        ; implicit-def: $vgpr50
	s_and_saveexec_b64 s[28:29], s[8:9]
	s_xor_b64 s[8:9], exec, s[28:29]
; %bb.78:                               ;   in Loop: Header=BB345_11 Depth=1
	v_bfe_u32 v5, v4, 16, 1
	v_add3_u32 v50, v4, v5, s39
                                        ; implicit-def: $vgpr4
; %bb.79:                               ;   in Loop: Header=BB345_11 Depth=1
	s_andn2_saveexec_b64 s[28:29], s[8:9]
; %bb.80:                               ;   in Loop: Header=BB345_11 Depth=1
	v_or_b32_e32 v5, 0x10000, v4
	v_cmp_eq_u32_sdwa s[8:9], v4, v23 src0_sel:WORD_0 src1_sel:DWORD
	v_cndmask_b32_e64 v50, v5, v4, s[8:9]
; %bb.81:                               ;   in Loop: Header=BB345_11 Depth=1
	s_or_b64 exec, exec, s[28:29]
	flat_load_ubyte v33, v[20:21] offset:392
	v_mov_b32_e32 v5, 0
	s_waitcnt vmcnt(0) lgkmcnt(0)
	v_cmp_ne_u16_e64 s[8:9], 0, v33
	s_and_saveexec_b64 s[28:29], s[8:9]
	s_cbranch_execz .LBB345_87
; %bb.82:                               ;   in Loop: Header=BB345_11 Depth=1
	v_cmp_ne_u16_e64 s[8:9], s19, v33
	v_bfrev_b32_e32 v5, 1
	s_and_saveexec_b64 s[30:31], s[8:9]
	s_cbranch_execz .LBB345_86
; %bb.83:                               ;   in Loop: Header=BB345_11 Depth=1
	v_and_b32_e32 v28, 0xffff, v33
	v_and_b32_e32 v4, 0x7f, v28
	v_cmp_ne_u32_e64 s[8:9], s37, v4
	v_mov_b32_e32 v5, 0x7f800001
	s_and_saveexec_b64 s[34:35], s[8:9]
	s_cbranch_execz .LBB345_85
; %bb.84:                               ;   in Loop: Header=BB345_11 Depth=1
	v_and_b32_e32 v6, 7, v28
	v_lshrrev_b32_e32 v7, 3, v4
	v_cmp_gt_u32_e64 s[8:9], 8, v4
	v_ffbh_u32_e32 v4, v6
	v_min_u32_e32 v10, 32, v4
	v_subrev_u32_e32 v4, 28, v10
	v_lshlrev_b64 v[4:5], v4, v[28:29]
	v_sub_u32_e32 v5, 29, v10
	v_and_b32_e32 v4, 7, v4
	v_cndmask_b32_e64 v5, v7, v5, s[8:9]
	v_cndmask_b32_e64 v4, v6, v4, s[8:9]
	v_lshlrev_b32_e32 v6, 24, v33
	v_lshlrev_b32_e32 v4, 20, v4
	v_and_b32_e32 v6, 0x80000000, v6
	v_lshl_add_u32 v5, v5, 23, v3
	v_or3_b32 v5, v6, v5, v4
.LBB345_85:                             ;   in Loop: Header=BB345_11 Depth=1
	s_or_b64 exec, exec, s[34:35]
.LBB345_86:                             ;   in Loop: Header=BB345_11 Depth=1
	s_or_b64 exec, exec, s[30:31]
.LBB345_87:                             ;   in Loop: Header=BB345_11 Depth=1
	s_or_b64 exec, exec, s[28:29]
	v_mul_f32_e32 v4, v15, v5
	v_and_b32_e32 v5, 0x7f800000, v4
	v_cmp_ne_u32_e64 s[8:9], s38, v5
                                        ; implicit-def: $vgpr51
	s_and_saveexec_b64 s[28:29], s[8:9]
	s_xor_b64 s[8:9], exec, s[28:29]
; %bb.88:                               ;   in Loop: Header=BB345_11 Depth=1
	v_bfe_u32 v5, v4, 16, 1
	v_add3_u32 v51, v4, v5, s39
                                        ; implicit-def: $vgpr4
; %bb.89:                               ;   in Loop: Header=BB345_11 Depth=1
	s_andn2_saveexec_b64 s[28:29], s[8:9]
; %bb.90:                               ;   in Loop: Header=BB345_11 Depth=1
	v_or_b32_e32 v5, 0x10000, v4
	v_cmp_eq_u32_sdwa s[8:9], v4, v23 src0_sel:WORD_0 src1_sel:DWORD
	v_cndmask_b32_e64 v51, v5, v4, s[8:9]
; %bb.91:                               ;   in Loop: Header=BB345_11 Depth=1
	s_or_b64 exec, exec, s[28:29]
	flat_load_ubyte v33, v[20:21] offset:512
	v_mov_b32_e32 v5, 0
	s_waitcnt vmcnt(0) lgkmcnt(0)
	v_cmp_ne_u16_e64 s[8:9], 0, v33
	s_and_saveexec_b64 s[28:29], s[8:9]
	s_cbranch_execz .LBB345_97
; %bb.92:                               ;   in Loop: Header=BB345_11 Depth=1
	v_cmp_ne_u16_e64 s[8:9], s19, v33
	v_bfrev_b32_e32 v5, 1
	s_and_saveexec_b64 s[30:31], s[8:9]
	s_cbranch_execz .LBB345_96
; %bb.93:                               ;   in Loop: Header=BB345_11 Depth=1
	v_and_b32_e32 v28, 0xffff, v33
	v_and_b32_e32 v4, 0x7f, v28
	v_cmp_ne_u32_e64 s[8:9], s37, v4
	v_mov_b32_e32 v5, 0x7f800001
	s_and_saveexec_b64 s[34:35], s[8:9]
	s_cbranch_execz .LBB345_95
; %bb.94:                               ;   in Loop: Header=BB345_11 Depth=1
	v_and_b32_e32 v5, 7, v28
	v_ffbh_u32_e32 v7, v5
	v_min_u32_e32 v7, 32, v7
	v_subrev_u32_e32 v10, 28, v7
	v_lshlrev_b64 v[52:53], v10, v[28:29]
	v_lshrrev_b32_e32 v6, 3, v4
	v_sub_u32_e32 v7, 29, v7
	v_and_b32_e32 v10, 7, v52
	v_cmp_gt_u32_e64 s[8:9], 8, v4
	v_cndmask_b32_e64 v4, v6, v7, s[8:9]
	v_cndmask_b32_e64 v5, v5, v10, s[8:9]
	v_lshlrev_b32_e32 v6, 24, v33
	v_lshlrev_b32_e32 v5, 20, v5
	v_and_b32_e32 v6, 0x80000000, v6
	v_lshl_add_u32 v4, v4, 23, v3
	v_or3_b32 v5, v6, v4, v5
.LBB345_95:                             ;   in Loop: Header=BB345_11 Depth=1
	s_or_b64 exec, exec, s[34:35]
.LBB345_96:                             ;   in Loop: Header=BB345_11 Depth=1
	s_or_b64 exec, exec, s[30:31]
.LBB345_97:                             ;   in Loop: Header=BB345_11 Depth=1
	s_or_b64 exec, exec, s[28:29]
	v_mul_f32_e32 v4, v15, v5
	v_and_b32_e32 v5, 0x7f800000, v4
	v_cmp_ne_u32_e64 s[8:9], s38, v5
                                        ; implicit-def: $vgpr52
	s_and_saveexec_b64 s[28:29], s[8:9]
	s_xor_b64 s[8:9], exec, s[28:29]
; %bb.98:                               ;   in Loop: Header=BB345_11 Depth=1
	v_bfe_u32 v5, v4, 16, 1
	v_add3_u32 v52, v4, v5, s39
                                        ; implicit-def: $vgpr4
; %bb.99:                               ;   in Loop: Header=BB345_11 Depth=1
	s_andn2_saveexec_b64 s[28:29], s[8:9]
; %bb.100:                              ;   in Loop: Header=BB345_11 Depth=1
	v_or_b32_e32 v5, 0x10000, v4
	v_cmp_eq_u32_sdwa s[8:9], v4, v23 src0_sel:WORD_0 src1_sel:DWORD
	v_cndmask_b32_e64 v52, v5, v4, s[8:9]
; %bb.101:                              ;   in Loop: Header=BB345_11 Depth=1
	s_or_b64 exec, exec, s[28:29]
	flat_load_ubyte v33, v[20:21] offset:520
	v_mov_b32_e32 v5, 0
	s_waitcnt vmcnt(0) lgkmcnt(0)
	v_cmp_ne_u16_e64 s[8:9], 0, v33
	s_and_saveexec_b64 s[28:29], s[8:9]
	s_cbranch_execz .LBB345_107
; %bb.102:                              ;   in Loop: Header=BB345_11 Depth=1
	v_cmp_ne_u16_e64 s[8:9], s19, v33
	v_bfrev_b32_e32 v5, 1
	s_and_saveexec_b64 s[30:31], s[8:9]
	s_cbranch_execz .LBB345_106
; %bb.103:                              ;   in Loop: Header=BB345_11 Depth=1
	v_and_b32_e32 v28, 0xffff, v33
	v_and_b32_e32 v4, 0x7f, v28
	v_cmp_ne_u32_e64 s[8:9], s37, v4
	v_mov_b32_e32 v5, 0x7f800001
	s_and_saveexec_b64 s[34:35], s[8:9]
	s_cbranch_execz .LBB345_105
; %bb.104:                              ;   in Loop: Header=BB345_11 Depth=1
	v_and_b32_e32 v5, 7, v28
	v_ffbh_u32_e32 v7, v5
	v_min_u32_e32 v7, 32, v7
	v_subrev_u32_e32 v10, 28, v7
	v_lshlrev_b64 v[54:55], v10, v[28:29]
	v_lshrrev_b32_e32 v6, 3, v4
	v_sub_u32_e32 v7, 29, v7
	v_and_b32_e32 v10, 7, v54
	v_cmp_gt_u32_e64 s[8:9], 8, v4
	v_cndmask_b32_e64 v4, v6, v7, s[8:9]
	v_cndmask_b32_e64 v5, v5, v10, s[8:9]
	v_lshlrev_b32_e32 v6, 24, v33
	v_lshlrev_b32_e32 v5, 20, v5
	v_and_b32_e32 v6, 0x80000000, v6
	v_lshl_add_u32 v4, v4, 23, v3
	v_or3_b32 v5, v6, v4, v5
.LBB345_105:                            ;   in Loop: Header=BB345_11 Depth=1
	s_or_b64 exec, exec, s[34:35]
.LBB345_106:                            ;   in Loop: Header=BB345_11 Depth=1
	s_or_b64 exec, exec, s[30:31]
.LBB345_107:                            ;   in Loop: Header=BB345_11 Depth=1
	s_or_b64 exec, exec, s[28:29]
	v_mul_f32_e32 v4, v15, v5
	v_and_b32_e32 v5, 0x7f800000, v4
	v_cmp_ne_u32_e64 s[8:9], s38, v5
                                        ; implicit-def: $vgpr53
	s_and_saveexec_b64 s[28:29], s[8:9]
	s_xor_b64 s[8:9], exec, s[28:29]
; %bb.108:                              ;   in Loop: Header=BB345_11 Depth=1
	v_bfe_u32 v5, v4, 16, 1
	v_add3_u32 v53, v4, v5, s39
                                        ; implicit-def: $vgpr4
; %bb.109:                              ;   in Loop: Header=BB345_11 Depth=1
	s_andn2_saveexec_b64 s[28:29], s[8:9]
; %bb.110:                              ;   in Loop: Header=BB345_11 Depth=1
	v_or_b32_e32 v5, 0x10000, v4
	v_cmp_eq_u32_sdwa s[8:9], v4, v23 src0_sel:WORD_0 src1_sel:DWORD
	v_cndmask_b32_e64 v53, v5, v4, s[8:9]
; %bb.111:                              ;   in Loop: Header=BB345_11 Depth=1
	s_or_b64 exec, exec, s[28:29]
	flat_load_ubyte v33, v[20:21] offset:640
	v_mov_b32_e32 v5, 0
	s_waitcnt vmcnt(0) lgkmcnt(0)
	v_cmp_ne_u16_e64 s[8:9], 0, v33
	s_and_saveexec_b64 s[28:29], s[8:9]
	s_cbranch_execz .LBB345_117
; %bb.112:                              ;   in Loop: Header=BB345_11 Depth=1
	v_cmp_ne_u16_e64 s[8:9], s19, v33
	v_bfrev_b32_e32 v5, 1
	s_and_saveexec_b64 s[30:31], s[8:9]
	s_cbranch_execz .LBB345_116
; %bb.113:                              ;   in Loop: Header=BB345_11 Depth=1
	v_and_b32_e32 v28, 0xffff, v33
	v_and_b32_e32 v4, 0x7f, v28
	v_cmp_ne_u32_e64 s[8:9], s37, v4
	v_mov_b32_e32 v5, 0x7f800001
	s_and_saveexec_b64 s[34:35], s[8:9]
	s_cbranch_execz .LBB345_115
; %bb.114:                              ;   in Loop: Header=BB345_11 Depth=1
	v_and_b32_e32 v5, 7, v28
	v_ffbh_u32_e32 v7, v5
	v_min_u32_e32 v7, 32, v7
	v_subrev_u32_e32 v10, 28, v7
	v_lshlrev_b64 v[54:55], v10, v[28:29]
	v_lshrrev_b32_e32 v6, 3, v4
	v_sub_u32_e32 v7, 29, v7
	v_and_b32_e32 v10, 7, v54
	v_cmp_gt_u32_e64 s[8:9], 8, v4
	v_cndmask_b32_e64 v4, v6, v7, s[8:9]
	v_cndmask_b32_e64 v5, v5, v10, s[8:9]
	v_lshlrev_b32_e32 v6, 24, v33
	v_lshlrev_b32_e32 v5, 20, v5
	v_and_b32_e32 v6, 0x80000000, v6
	v_lshl_add_u32 v4, v4, 23, v3
	v_or3_b32 v5, v6, v4, v5
.LBB345_115:                            ;   in Loop: Header=BB345_11 Depth=1
	s_or_b64 exec, exec, s[34:35]
.LBB345_116:                            ;   in Loop: Header=BB345_11 Depth=1
	s_or_b64 exec, exec, s[30:31]
.LBB345_117:                            ;   in Loop: Header=BB345_11 Depth=1
	s_or_b64 exec, exec, s[28:29]
	v_mul_f32_e32 v4, v15, v5
	v_and_b32_e32 v5, 0x7f800000, v4
	v_cmp_ne_u32_e64 s[8:9], s38, v5
                                        ; implicit-def: $vgpr54
	s_and_saveexec_b64 s[28:29], s[8:9]
	s_xor_b64 s[8:9], exec, s[28:29]
; %bb.118:                              ;   in Loop: Header=BB345_11 Depth=1
	v_bfe_u32 v5, v4, 16, 1
	v_add3_u32 v54, v4, v5, s39
                                        ; implicit-def: $vgpr4
; %bb.119:                              ;   in Loop: Header=BB345_11 Depth=1
	s_andn2_saveexec_b64 s[28:29], s[8:9]
; %bb.120:                              ;   in Loop: Header=BB345_11 Depth=1
	v_or_b32_e32 v5, 0x10000, v4
	v_cmp_eq_u32_sdwa s[8:9], v4, v23 src0_sel:WORD_0 src1_sel:DWORD
	v_cndmask_b32_e64 v54, v5, v4, s[8:9]
; %bb.121:                              ;   in Loop: Header=BB345_11 Depth=1
	s_or_b64 exec, exec, s[28:29]
	flat_load_ubyte v33, v[20:21] offset:648
	v_mov_b32_e32 v5, 0
	s_waitcnt vmcnt(0) lgkmcnt(0)
	v_cmp_ne_u16_e64 s[8:9], 0, v33
	s_and_saveexec_b64 s[28:29], s[8:9]
	s_cbranch_execz .LBB345_127
; %bb.122:                              ;   in Loop: Header=BB345_11 Depth=1
	v_cmp_ne_u16_e64 s[8:9], s19, v33
	v_bfrev_b32_e32 v5, 1
	s_and_saveexec_b64 s[30:31], s[8:9]
	s_cbranch_execz .LBB345_126
; %bb.123:                              ;   in Loop: Header=BB345_11 Depth=1
	v_and_b32_e32 v28, 0xffff, v33
	v_and_b32_e32 v4, 0x7f, v28
	v_cmp_ne_u32_e64 s[8:9], s37, v4
	v_mov_b32_e32 v5, 0x7f800001
	s_and_saveexec_b64 s[34:35], s[8:9]
	s_cbranch_execz .LBB345_125
; %bb.124:                              ;   in Loop: Header=BB345_11 Depth=1
	v_and_b32_e32 v5, 7, v28
	v_ffbh_u32_e32 v7, v5
	v_min_u32_e32 v7, 32, v7
	v_subrev_u32_e32 v10, 28, v7
	v_lshlrev_b64 v[40:41], v10, v[28:29]
	v_lshrrev_b32_e32 v6, 3, v4
	v_sub_u32_e32 v7, 29, v7
	v_and_b32_e32 v10, 7, v40
	v_cmp_gt_u32_e64 s[8:9], 8, v4
	v_cndmask_b32_e64 v4, v6, v7, s[8:9]
	v_cndmask_b32_e64 v5, v5, v10, s[8:9]
	v_lshlrev_b32_e32 v6, 24, v33
	v_lshlrev_b32_e32 v5, 20, v5
	v_and_b32_e32 v6, 0x80000000, v6
	v_lshl_add_u32 v4, v4, 23, v3
	v_or3_b32 v5, v6, v4, v5
.LBB345_125:                            ;   in Loop: Header=BB345_11 Depth=1
	s_or_b64 exec, exec, s[34:35]
.LBB345_126:                            ;   in Loop: Header=BB345_11 Depth=1
	s_or_b64 exec, exec, s[30:31]
.LBB345_127:                            ;   in Loop: Header=BB345_11 Depth=1
	s_or_b64 exec, exec, s[28:29]
	v_mul_f32_e32 v4, v15, v5
	v_and_b32_e32 v5, 0x7f800000, v4
	v_cmp_ne_u32_e64 s[8:9], s38, v5
                                        ; implicit-def: $vgpr55
	s_and_saveexec_b64 s[28:29], s[8:9]
	s_xor_b64 s[8:9], exec, s[28:29]
; %bb.128:                              ;   in Loop: Header=BB345_11 Depth=1
	v_bfe_u32 v5, v4, 16, 1
	v_add3_u32 v55, v4, v5, s39
                                        ; implicit-def: $vgpr4
; %bb.129:                              ;   in Loop: Header=BB345_11 Depth=1
	s_andn2_saveexec_b64 s[28:29], s[8:9]
; %bb.130:                              ;   in Loop: Header=BB345_11 Depth=1
	v_or_b32_e32 v5, 0x10000, v4
	v_cmp_eq_u32_sdwa s[8:9], v4, v23 src0_sel:WORD_0 src1_sel:DWORD
	v_cndmask_b32_e64 v55, v5, v4, s[8:9]
; %bb.131:                              ;   in Loop: Header=BB345_11 Depth=1
	s_or_b64 exec, exec, s[28:29]
	flat_load_ubyte v33, v[20:21] offset:768
	v_mov_b32_e32 v5, 0
	s_waitcnt vmcnt(0) lgkmcnt(0)
	v_cmp_ne_u16_e64 s[8:9], 0, v33
	s_and_saveexec_b64 s[28:29], s[8:9]
	s_cbranch_execz .LBB345_137
; %bb.132:                              ;   in Loop: Header=BB345_11 Depth=1
	v_cmp_ne_u16_e64 s[8:9], s19, v33
	v_bfrev_b32_e32 v5, 1
	s_and_saveexec_b64 s[30:31], s[8:9]
	s_cbranch_execz .LBB345_136
; %bb.133:                              ;   in Loop: Header=BB345_11 Depth=1
	v_and_b32_e32 v28, 0xffff, v33
	v_and_b32_e32 v4, 0x7f, v28
	v_cmp_ne_u32_e64 s[8:9], s37, v4
	v_mov_b32_e32 v5, 0x7f800001
	s_and_saveexec_b64 s[34:35], s[8:9]
	s_cbranch_execz .LBB345_135
; %bb.134:                              ;   in Loop: Header=BB345_11 Depth=1
	v_and_b32_e32 v5, 7, v28
	v_ffbh_u32_e32 v7, v5
	v_min_u32_e32 v7, 32, v7
	v_subrev_u32_e32 v10, 28, v7
	v_lshlrev_b64 v[40:41], v10, v[28:29]
	v_lshrrev_b32_e32 v6, 3, v4
	v_sub_u32_e32 v7, 29, v7
	v_and_b32_e32 v10, 7, v40
	v_cmp_gt_u32_e64 s[8:9], 8, v4
	v_cndmask_b32_e64 v4, v6, v7, s[8:9]
	v_cndmask_b32_e64 v5, v5, v10, s[8:9]
	v_lshlrev_b32_e32 v6, 24, v33
	v_lshlrev_b32_e32 v5, 20, v5
	v_and_b32_e32 v6, 0x80000000, v6
	v_lshl_add_u32 v4, v4, 23, v3
	v_or3_b32 v5, v6, v4, v5
.LBB345_135:                            ;   in Loop: Header=BB345_11 Depth=1
	s_or_b64 exec, exec, s[34:35]
.LBB345_136:                            ;   in Loop: Header=BB345_11 Depth=1
	s_or_b64 exec, exec, s[30:31]
.LBB345_137:                            ;   in Loop: Header=BB345_11 Depth=1
	s_or_b64 exec, exec, s[28:29]
	v_mul_f32_e32 v4, v15, v5
	v_and_b32_e32 v5, 0x7f800000, v4
	v_cmp_ne_u32_e64 s[8:9], s38, v5
                                        ; implicit-def: $vgpr40
	s_and_saveexec_b64 s[28:29], s[8:9]
	s_xor_b64 s[8:9], exec, s[28:29]
; %bb.138:                              ;   in Loop: Header=BB345_11 Depth=1
	v_bfe_u32 v5, v4, 16, 1
	v_add3_u32 v40, v4, v5, s39
                                        ; implicit-def: $vgpr4
; %bb.139:                              ;   in Loop: Header=BB345_11 Depth=1
	s_andn2_saveexec_b64 s[28:29], s[8:9]
; %bb.140:                              ;   in Loop: Header=BB345_11 Depth=1
	v_or_b32_e32 v5, 0x10000, v4
	v_cmp_eq_u32_sdwa s[8:9], v4, v23 src0_sel:WORD_0 src1_sel:DWORD
	v_cndmask_b32_e64 v40, v5, v4, s[8:9]
; %bb.141:                              ;   in Loop: Header=BB345_11 Depth=1
	s_or_b64 exec, exec, s[28:29]
	flat_load_ubyte v33, v[20:21] offset:776
	v_mov_b32_e32 v5, 0
	s_waitcnt vmcnt(0) lgkmcnt(0)
	v_cmp_ne_u16_e64 s[8:9], 0, v33
	s_and_saveexec_b64 s[28:29], s[8:9]
	s_cbranch_execz .LBB345_147
; %bb.142:                              ;   in Loop: Header=BB345_11 Depth=1
	v_cmp_ne_u16_e64 s[8:9], s19, v33
	v_bfrev_b32_e32 v5, 1
	s_and_saveexec_b64 s[30:31], s[8:9]
	s_cbranch_execz .LBB345_146
; %bb.143:                              ;   in Loop: Header=BB345_11 Depth=1
	v_and_b32_e32 v28, 0xffff, v33
	v_and_b32_e32 v4, 0x7f, v28
	v_cmp_ne_u32_e64 s[8:9], s37, v4
	v_mov_b32_e32 v5, 0x7f800001
	s_and_saveexec_b64 s[34:35], s[8:9]
	s_cbranch_execz .LBB345_145
; %bb.144:                              ;   in Loop: Header=BB345_11 Depth=1
	v_and_b32_e32 v5, 7, v28
	v_ffbh_u32_e32 v7, v5
	v_min_u32_e32 v7, 32, v7
	v_subrev_u32_e32 v10, 28, v7
	v_lshlrev_b64 v[42:43], v10, v[28:29]
	v_lshrrev_b32_e32 v6, 3, v4
	v_sub_u32_e32 v7, 29, v7
	v_and_b32_e32 v10, 7, v42
	v_cmp_gt_u32_e64 s[8:9], 8, v4
	v_cndmask_b32_e64 v4, v6, v7, s[8:9]
	v_cndmask_b32_e64 v5, v5, v10, s[8:9]
	v_lshlrev_b32_e32 v6, 24, v33
	v_lshlrev_b32_e32 v5, 20, v5
	v_and_b32_e32 v6, 0x80000000, v6
	v_lshl_add_u32 v4, v4, 23, v3
	v_or3_b32 v5, v6, v4, v5
.LBB345_145:                            ;   in Loop: Header=BB345_11 Depth=1
	s_or_b64 exec, exec, s[34:35]
.LBB345_146:                            ;   in Loop: Header=BB345_11 Depth=1
	s_or_b64 exec, exec, s[30:31]
.LBB345_147:                            ;   in Loop: Header=BB345_11 Depth=1
	s_or_b64 exec, exec, s[28:29]
	v_mul_f32_e32 v4, v15, v5
	v_and_b32_e32 v5, 0x7f800000, v4
	v_cmp_ne_u32_e64 s[8:9], s38, v5
                                        ; implicit-def: $vgpr41
	s_and_saveexec_b64 s[28:29], s[8:9]
	s_xor_b64 s[8:9], exec, s[28:29]
; %bb.148:                              ;   in Loop: Header=BB345_11 Depth=1
	v_bfe_u32 v5, v4, 16, 1
	v_add3_u32 v41, v4, v5, s39
                                        ; implicit-def: $vgpr4
; %bb.149:                              ;   in Loop: Header=BB345_11 Depth=1
	s_andn2_saveexec_b64 s[28:29], s[8:9]
; %bb.150:                              ;   in Loop: Header=BB345_11 Depth=1
	v_or_b32_e32 v5, 0x10000, v4
	v_cmp_eq_u32_sdwa s[8:9], v4, v23 src0_sel:WORD_0 src1_sel:DWORD
	v_cndmask_b32_e64 v41, v5, v4, s[8:9]
; %bb.151:                              ;   in Loop: Header=BB345_11 Depth=1
	s_or_b64 exec, exec, s[28:29]
	flat_load_ubyte v33, v[20:21] offset:896
	v_mov_b32_e32 v5, 0
	s_waitcnt vmcnt(0) lgkmcnt(0)
	v_cmp_ne_u16_e64 s[8:9], 0, v33
	s_and_saveexec_b64 s[28:29], s[8:9]
	s_cbranch_execz .LBB345_157
; %bb.152:                              ;   in Loop: Header=BB345_11 Depth=1
	v_cmp_ne_u16_e64 s[8:9], s19, v33
	v_bfrev_b32_e32 v5, 1
	s_and_saveexec_b64 s[30:31], s[8:9]
	s_cbranch_execz .LBB345_156
; %bb.153:                              ;   in Loop: Header=BB345_11 Depth=1
	v_and_b32_e32 v28, 0xffff, v33
	v_and_b32_e32 v4, 0x7f, v28
	v_cmp_ne_u32_e64 s[8:9], s37, v4
	v_mov_b32_e32 v5, 0x7f800001
	s_and_saveexec_b64 s[34:35], s[8:9]
	s_cbranch_execz .LBB345_155
; %bb.154:                              ;   in Loop: Header=BB345_11 Depth=1
	v_and_b32_e32 v5, 7, v28
	v_ffbh_u32_e32 v7, v5
	v_min_u32_e32 v7, 32, v7
	v_subrev_u32_e32 v10, 28, v7
	v_lshlrev_b64 v[42:43], v10, v[28:29]
	v_lshrrev_b32_e32 v6, 3, v4
	v_sub_u32_e32 v7, 29, v7
	v_and_b32_e32 v10, 7, v42
	v_cmp_gt_u32_e64 s[8:9], 8, v4
	v_cndmask_b32_e64 v4, v6, v7, s[8:9]
	v_cndmask_b32_e64 v5, v5, v10, s[8:9]
	v_lshlrev_b32_e32 v6, 24, v33
	v_lshlrev_b32_e32 v5, 20, v5
	v_and_b32_e32 v6, 0x80000000, v6
	v_lshl_add_u32 v4, v4, 23, v3
	v_or3_b32 v5, v6, v4, v5
.LBB345_155:                            ;   in Loop: Header=BB345_11 Depth=1
	s_or_b64 exec, exec, s[34:35]
.LBB345_156:                            ;   in Loop: Header=BB345_11 Depth=1
	s_or_b64 exec, exec, s[30:31]
.LBB345_157:                            ;   in Loop: Header=BB345_11 Depth=1
	s_or_b64 exec, exec, s[28:29]
	v_mul_f32_e32 v4, v15, v5
	v_and_b32_e32 v5, 0x7f800000, v4
	v_cmp_ne_u32_e64 s[8:9], s38, v5
                                        ; implicit-def: $vgpr42
	s_and_saveexec_b64 s[28:29], s[8:9]
	s_xor_b64 s[8:9], exec, s[28:29]
; %bb.158:                              ;   in Loop: Header=BB345_11 Depth=1
	v_bfe_u32 v5, v4, 16, 1
	v_add3_u32 v42, v4, v5, s39
                                        ; implicit-def: $vgpr4
; %bb.159:                              ;   in Loop: Header=BB345_11 Depth=1
	s_andn2_saveexec_b64 s[28:29], s[8:9]
; %bb.160:                              ;   in Loop: Header=BB345_11 Depth=1
	v_or_b32_e32 v5, 0x10000, v4
	v_cmp_eq_u32_sdwa s[8:9], v4, v23 src0_sel:WORD_0 src1_sel:DWORD
	v_cndmask_b32_e64 v42, v5, v4, s[8:9]
; %bb.161:                              ;   in Loop: Header=BB345_11 Depth=1
	s_or_b64 exec, exec, s[28:29]
	flat_load_ubyte v33, v[20:21] offset:904
	v_mov_b32_e32 v5, 0
	s_waitcnt vmcnt(0) lgkmcnt(0)
	v_cmp_ne_u16_e64 s[8:9], 0, v33
	s_and_saveexec_b64 s[28:29], s[8:9]
	s_cbranch_execz .LBB345_167
; %bb.162:                              ;   in Loop: Header=BB345_11 Depth=1
	v_cmp_ne_u16_e64 s[8:9], s19, v33
	v_bfrev_b32_e32 v5, 1
	s_and_saveexec_b64 s[30:31], s[8:9]
	s_cbranch_execz .LBB345_166
; %bb.163:                              ;   in Loop: Header=BB345_11 Depth=1
	v_and_b32_e32 v28, 0xffff, v33
	v_and_b32_e32 v4, 0x7f, v28
	v_cmp_ne_u32_e64 s[8:9], s37, v4
	v_mov_b32_e32 v5, 0x7f800001
	s_and_saveexec_b64 s[34:35], s[8:9]
	s_cbranch_execz .LBB345_165
; %bb.164:                              ;   in Loop: Header=BB345_11 Depth=1
	v_and_b32_e32 v5, 7, v28
	v_ffbh_u32_e32 v7, v5
	v_min_u32_e32 v7, 32, v7
	v_subrev_u32_e32 v10, 28, v7
	v_lshlrev_b64 v[44:45], v10, v[28:29]
	v_lshrrev_b32_e32 v6, 3, v4
	v_sub_u32_e32 v7, 29, v7
	v_and_b32_e32 v10, 7, v44
	v_cmp_gt_u32_e64 s[8:9], 8, v4
	v_cndmask_b32_e64 v4, v6, v7, s[8:9]
	v_cndmask_b32_e64 v5, v5, v10, s[8:9]
	v_lshlrev_b32_e32 v6, 24, v33
	v_lshlrev_b32_e32 v5, 20, v5
	v_and_b32_e32 v6, 0x80000000, v6
	v_lshl_add_u32 v4, v4, 23, v3
	v_or3_b32 v5, v6, v4, v5
.LBB345_165:                            ;   in Loop: Header=BB345_11 Depth=1
	s_or_b64 exec, exec, s[34:35]
.LBB345_166:                            ;   in Loop: Header=BB345_11 Depth=1
	s_or_b64 exec, exec, s[30:31]
.LBB345_167:                            ;   in Loop: Header=BB345_11 Depth=1
	s_or_b64 exec, exec, s[28:29]
	v_mul_f32_e32 v4, v15, v5
	v_and_b32_e32 v5, 0x7f800000, v4
	v_cmp_ne_u32_e64 s[8:9], s38, v5
                                        ; implicit-def: $vgpr43
	s_and_saveexec_b64 s[28:29], s[8:9]
	s_xor_b64 s[8:9], exec, s[28:29]
; %bb.168:                              ;   in Loop: Header=BB345_11 Depth=1
	v_bfe_u32 v5, v4, 16, 1
	v_add3_u32 v43, v4, v5, s39
                                        ; implicit-def: $vgpr4
; %bb.169:                              ;   in Loop: Header=BB345_11 Depth=1
	s_andn2_saveexec_b64 s[28:29], s[8:9]
; %bb.170:                              ;   in Loop: Header=BB345_11 Depth=1
	v_or_b32_e32 v5, 0x10000, v4
	v_cmp_eq_u32_sdwa s[8:9], v4, v23 src0_sel:WORD_0 src1_sel:DWORD
	v_cndmask_b32_e64 v43, v5, v4, s[8:9]
; %bb.171:                              ;   in Loop: Header=BB345_11 Depth=1
	s_or_b64 exec, exec, s[28:29]
	flat_load_ubyte v33, v[20:21] offset:1024
	v_mov_b32_e32 v5, 0
	s_waitcnt vmcnt(0) lgkmcnt(0)
	v_cmp_ne_u16_e64 s[8:9], 0, v33
	s_and_saveexec_b64 s[28:29], s[8:9]
	s_cbranch_execz .LBB345_177
; %bb.172:                              ;   in Loop: Header=BB345_11 Depth=1
	v_cmp_ne_u16_e64 s[8:9], s19, v33
	v_bfrev_b32_e32 v5, 1
	s_and_saveexec_b64 s[30:31], s[8:9]
	s_cbranch_execz .LBB345_176
; %bb.173:                              ;   in Loop: Header=BB345_11 Depth=1
	v_and_b32_e32 v28, 0xffff, v33
	v_and_b32_e32 v4, 0x7f, v28
	v_cmp_ne_u32_e64 s[8:9], s37, v4
	v_mov_b32_e32 v5, 0x7f800001
	s_and_saveexec_b64 s[34:35], s[8:9]
	s_cbranch_execz .LBB345_175
; %bb.174:                              ;   in Loop: Header=BB345_11 Depth=1
	v_and_b32_e32 v5, 7, v28
	v_ffbh_u32_e32 v7, v5
	v_min_u32_e32 v7, 32, v7
	v_subrev_u32_e32 v10, 28, v7
	v_lshlrev_b64 v[44:45], v10, v[28:29]
	v_lshrrev_b32_e32 v6, 3, v4
	v_sub_u32_e32 v7, 29, v7
	v_and_b32_e32 v10, 7, v44
	v_cmp_gt_u32_e64 s[8:9], 8, v4
	v_cndmask_b32_e64 v4, v6, v7, s[8:9]
	v_cndmask_b32_e64 v5, v5, v10, s[8:9]
	v_lshlrev_b32_e32 v6, 24, v33
	v_lshlrev_b32_e32 v5, 20, v5
	v_and_b32_e32 v6, 0x80000000, v6
	v_lshl_add_u32 v4, v4, 23, v3
	v_or3_b32 v5, v6, v4, v5
.LBB345_175:                            ;   in Loop: Header=BB345_11 Depth=1
	s_or_b64 exec, exec, s[34:35]
.LBB345_176:                            ;   in Loop: Header=BB345_11 Depth=1
	s_or_b64 exec, exec, s[30:31]
.LBB345_177:                            ;   in Loop: Header=BB345_11 Depth=1
	s_or_b64 exec, exec, s[28:29]
	v_mul_f32_e32 v4, v15, v5
	v_and_b32_e32 v5, 0x7f800000, v4
	v_cmp_ne_u32_e64 s[8:9], s38, v5
                                        ; implicit-def: $vgpr44
	s_and_saveexec_b64 s[28:29], s[8:9]
	s_xor_b64 s[8:9], exec, s[28:29]
; %bb.178:                              ;   in Loop: Header=BB345_11 Depth=1
	v_bfe_u32 v5, v4, 16, 1
	v_add3_u32 v44, v4, v5, s39
                                        ; implicit-def: $vgpr4
; %bb.179:                              ;   in Loop: Header=BB345_11 Depth=1
	s_andn2_saveexec_b64 s[28:29], s[8:9]
; %bb.180:                              ;   in Loop: Header=BB345_11 Depth=1
	v_or_b32_e32 v5, 0x10000, v4
	v_cmp_eq_u32_sdwa s[8:9], v4, v23 src0_sel:WORD_0 src1_sel:DWORD
	v_cndmask_b32_e64 v44, v5, v4, s[8:9]
; %bb.181:                              ;   in Loop: Header=BB345_11 Depth=1
	s_or_b64 exec, exec, s[28:29]
	flat_load_ubyte v33, v[20:21] offset:1032
	v_mov_b32_e32 v5, 0
	s_waitcnt vmcnt(0) lgkmcnt(0)
	v_cmp_ne_u16_e64 s[8:9], 0, v33
	s_and_saveexec_b64 s[28:29], s[8:9]
	s_cbranch_execz .LBB345_187
; %bb.182:                              ;   in Loop: Header=BB345_11 Depth=1
	v_cmp_ne_u16_e64 s[8:9], s19, v33
	v_bfrev_b32_e32 v5, 1
	s_and_saveexec_b64 s[30:31], s[8:9]
	s_cbranch_execz .LBB345_186
; %bb.183:                              ;   in Loop: Header=BB345_11 Depth=1
	v_and_b32_e32 v28, 0xffff, v33
	v_and_b32_e32 v4, 0x7f, v28
	v_cmp_ne_u32_e64 s[8:9], s37, v4
	v_mov_b32_e32 v5, 0x7f800001
	s_and_saveexec_b64 s[34:35], s[8:9]
	s_cbranch_execz .LBB345_185
; %bb.184:                              ;   in Loop: Header=BB345_11 Depth=1
	v_and_b32_e32 v5, 7, v28
	v_ffbh_u32_e32 v7, v5
	v_min_u32_e32 v7, 32, v7
	v_subrev_u32_e32 v10, 28, v7
	v_lshlrev_b64 v[46:47], v10, v[28:29]
	v_lshrrev_b32_e32 v6, 3, v4
	v_sub_u32_e32 v7, 29, v7
	v_and_b32_e32 v10, 7, v46
	v_cmp_gt_u32_e64 s[8:9], 8, v4
	v_cndmask_b32_e64 v4, v6, v7, s[8:9]
	v_cndmask_b32_e64 v5, v5, v10, s[8:9]
	v_lshlrev_b32_e32 v6, 24, v33
	v_lshlrev_b32_e32 v5, 20, v5
	v_and_b32_e32 v6, 0x80000000, v6
	v_lshl_add_u32 v4, v4, 23, v3
	v_or3_b32 v5, v6, v4, v5
.LBB345_185:                            ;   in Loop: Header=BB345_11 Depth=1
	s_or_b64 exec, exec, s[34:35]
.LBB345_186:                            ;   in Loop: Header=BB345_11 Depth=1
	s_or_b64 exec, exec, s[30:31]
.LBB345_187:                            ;   in Loop: Header=BB345_11 Depth=1
	s_or_b64 exec, exec, s[28:29]
	v_mul_f32_e32 v4, v15, v5
	v_and_b32_e32 v5, 0x7f800000, v4
	v_cmp_ne_u32_e64 s[8:9], s38, v5
                                        ; implicit-def: $vgpr45
	s_and_saveexec_b64 s[28:29], s[8:9]
	s_xor_b64 s[8:9], exec, s[28:29]
; %bb.188:                              ;   in Loop: Header=BB345_11 Depth=1
	v_bfe_u32 v5, v4, 16, 1
	v_add3_u32 v45, v4, v5, s39
                                        ; implicit-def: $vgpr4
; %bb.189:                              ;   in Loop: Header=BB345_11 Depth=1
	s_andn2_saveexec_b64 s[28:29], s[8:9]
; %bb.190:                              ;   in Loop: Header=BB345_11 Depth=1
	v_or_b32_e32 v5, 0x10000, v4
	v_cmp_eq_u32_sdwa s[8:9], v4, v23 src0_sel:WORD_0 src1_sel:DWORD
	v_cndmask_b32_e64 v45, v5, v4, s[8:9]
; %bb.191:                              ;   in Loop: Header=BB345_11 Depth=1
	s_or_b64 exec, exec, s[28:29]
	flat_load_ubyte v33, v[20:21] offset:1152
	v_mov_b32_e32 v5, 0
	s_waitcnt vmcnt(0) lgkmcnt(0)
	v_cmp_ne_u16_e64 s[8:9], 0, v33
	s_and_saveexec_b64 s[28:29], s[8:9]
	s_cbranch_execz .LBB345_197
; %bb.192:                              ;   in Loop: Header=BB345_11 Depth=1
	v_cmp_ne_u16_e64 s[8:9], s19, v33
	v_bfrev_b32_e32 v5, 1
	s_and_saveexec_b64 s[30:31], s[8:9]
	s_cbranch_execz .LBB345_196
; %bb.193:                              ;   in Loop: Header=BB345_11 Depth=1
	v_and_b32_e32 v28, 0xffff, v33
	v_and_b32_e32 v4, 0x7f, v28
	v_cmp_ne_u32_e64 s[8:9], s37, v4
	v_mov_b32_e32 v5, 0x7f800001
	s_and_saveexec_b64 s[34:35], s[8:9]
	s_cbranch_execz .LBB345_195
; %bb.194:                              ;   in Loop: Header=BB345_11 Depth=1
	v_and_b32_e32 v5, 7, v28
	v_ffbh_u32_e32 v7, v5
	v_min_u32_e32 v7, 32, v7
	v_subrev_u32_e32 v10, 28, v7
	v_lshlrev_b64 v[46:47], v10, v[28:29]
	v_lshrrev_b32_e32 v6, 3, v4
	v_sub_u32_e32 v7, 29, v7
	v_and_b32_e32 v10, 7, v46
	v_cmp_gt_u32_e64 s[8:9], 8, v4
	v_cndmask_b32_e64 v4, v6, v7, s[8:9]
	v_cndmask_b32_e64 v5, v5, v10, s[8:9]
	v_lshlrev_b32_e32 v6, 24, v33
	v_lshlrev_b32_e32 v5, 20, v5
	v_and_b32_e32 v6, 0x80000000, v6
	v_lshl_add_u32 v4, v4, 23, v3
	v_or3_b32 v5, v6, v4, v5
.LBB345_195:                            ;   in Loop: Header=BB345_11 Depth=1
	s_or_b64 exec, exec, s[34:35]
.LBB345_196:                            ;   in Loop: Header=BB345_11 Depth=1
	s_or_b64 exec, exec, s[30:31]
.LBB345_197:                            ;   in Loop: Header=BB345_11 Depth=1
	s_or_b64 exec, exec, s[28:29]
	v_mul_f32_e32 v4, v15, v5
	v_and_b32_e32 v5, 0x7f800000, v4
	v_cmp_ne_u32_e64 s[8:9], s38, v5
                                        ; implicit-def: $vgpr46
	s_and_saveexec_b64 s[28:29], s[8:9]
	s_xor_b64 s[8:9], exec, s[28:29]
; %bb.198:                              ;   in Loop: Header=BB345_11 Depth=1
	v_bfe_u32 v5, v4, 16, 1
	v_add3_u32 v46, v4, v5, s39
                                        ; implicit-def: $vgpr4
; %bb.199:                              ;   in Loop: Header=BB345_11 Depth=1
	s_andn2_saveexec_b64 s[28:29], s[8:9]
; %bb.200:                              ;   in Loop: Header=BB345_11 Depth=1
	v_or_b32_e32 v5, 0x10000, v4
	v_cmp_eq_u32_sdwa s[8:9], v4, v23 src0_sel:WORD_0 src1_sel:DWORD
	v_cndmask_b32_e64 v46, v5, v4, s[8:9]
; %bb.201:                              ;   in Loop: Header=BB345_11 Depth=1
	s_or_b64 exec, exec, s[28:29]
	flat_load_ubyte v33, v[20:21] offset:1160
	v_mov_b32_e32 v5, 0
	s_waitcnt vmcnt(0) lgkmcnt(0)
	v_cmp_ne_u16_e64 s[8:9], 0, v33
	s_and_saveexec_b64 s[28:29], s[8:9]
	s_cbranch_execz .LBB345_207
; %bb.202:                              ;   in Loop: Header=BB345_11 Depth=1
	v_cmp_ne_u16_e64 s[8:9], s19, v33
	v_bfrev_b32_e32 v5, 1
	s_and_saveexec_b64 s[30:31], s[8:9]
	s_cbranch_execz .LBB345_206
; %bb.203:                              ;   in Loop: Header=BB345_11 Depth=1
	v_and_b32_e32 v28, 0xffff, v33
	v_and_b32_e32 v4, 0x7f, v28
	v_cmp_ne_u32_e64 s[8:9], s37, v4
	v_mov_b32_e32 v5, 0x7f800001
	s_and_saveexec_b64 s[34:35], s[8:9]
	s_cbranch_execz .LBB345_205
; %bb.204:                              ;   in Loop: Header=BB345_11 Depth=1
	v_and_b32_e32 v5, 7, v28
	v_ffbh_u32_e32 v7, v5
	v_min_u32_e32 v7, 32, v7
	v_subrev_u32_e32 v10, 28, v7
	v_lshlrev_b64 v[56:57], v10, v[28:29]
	v_lshrrev_b32_e32 v6, 3, v4
	v_sub_u32_e32 v7, 29, v7
	v_and_b32_e32 v10, 7, v56
	v_cmp_gt_u32_e64 s[8:9], 8, v4
	v_cndmask_b32_e64 v4, v6, v7, s[8:9]
	v_cndmask_b32_e64 v5, v5, v10, s[8:9]
	v_lshlrev_b32_e32 v6, 24, v33
	v_lshlrev_b32_e32 v5, 20, v5
	v_and_b32_e32 v6, 0x80000000, v6
	v_lshl_add_u32 v4, v4, 23, v3
	v_or3_b32 v5, v6, v4, v5
.LBB345_205:                            ;   in Loop: Header=BB345_11 Depth=1
	s_or_b64 exec, exec, s[34:35]
.LBB345_206:                            ;   in Loop: Header=BB345_11 Depth=1
	s_or_b64 exec, exec, s[30:31]
.LBB345_207:                            ;   in Loop: Header=BB345_11 Depth=1
	s_or_b64 exec, exec, s[28:29]
	v_mul_f32_e32 v4, v15, v5
	v_and_b32_e32 v5, 0x7f800000, v4
	v_cmp_ne_u32_e64 s[8:9], s38, v5
                                        ; implicit-def: $vgpr47
	s_and_saveexec_b64 s[28:29], s[8:9]
	s_xor_b64 s[8:9], exec, s[28:29]
; %bb.208:                              ;   in Loop: Header=BB345_11 Depth=1
	v_bfe_u32 v5, v4, 16, 1
	v_add3_u32 v47, v4, v5, s39
                                        ; implicit-def: $vgpr4
; %bb.209:                              ;   in Loop: Header=BB345_11 Depth=1
	s_andn2_saveexec_b64 s[28:29], s[8:9]
; %bb.210:                              ;   in Loop: Header=BB345_11 Depth=1
	v_or_b32_e32 v5, 0x10000, v4
	v_cmp_eq_u32_sdwa s[8:9], v4, v23 src0_sel:WORD_0 src1_sel:DWORD
	v_cndmask_b32_e64 v47, v5, v4, s[8:9]
; %bb.211:                              ;   in Loop: Header=BB345_11 Depth=1
	s_or_b64 exec, exec, s[28:29]
	flat_load_ubyte v33, v[20:21] offset:1280
	v_mov_b32_e32 v5, 0
	s_waitcnt vmcnt(0) lgkmcnt(0)
	v_cmp_ne_u16_e64 s[8:9], 0, v33
	s_and_saveexec_b64 s[28:29], s[8:9]
	s_cbranch_execz .LBB345_217
; %bb.212:                              ;   in Loop: Header=BB345_11 Depth=1
	v_cmp_ne_u16_e64 s[8:9], s19, v33
	v_bfrev_b32_e32 v5, 1
	s_and_saveexec_b64 s[30:31], s[8:9]
	s_cbranch_execz .LBB345_216
; %bb.213:                              ;   in Loop: Header=BB345_11 Depth=1
	v_and_b32_e32 v28, 0xffff, v33
	v_and_b32_e32 v4, 0x7f, v28
	v_cmp_ne_u32_e64 s[8:9], s37, v4
	v_mov_b32_e32 v5, 0x7f800001
	s_and_saveexec_b64 s[34:35], s[8:9]
	s_cbranch_execz .LBB345_215
; %bb.214:                              ;   in Loop: Header=BB345_11 Depth=1
	v_and_b32_e32 v5, 7, v28
	v_ffbh_u32_e32 v7, v5
	v_min_u32_e32 v7, 32, v7
	v_subrev_u32_e32 v10, 28, v7
	v_lshlrev_b64 v[56:57], v10, v[28:29]
	v_lshrrev_b32_e32 v6, 3, v4
	v_sub_u32_e32 v7, 29, v7
	v_and_b32_e32 v10, 7, v56
	v_cmp_gt_u32_e64 s[8:9], 8, v4
	v_cndmask_b32_e64 v4, v6, v7, s[8:9]
	v_cndmask_b32_e64 v5, v5, v10, s[8:9]
	v_lshlrev_b32_e32 v6, 24, v33
	v_lshlrev_b32_e32 v5, 20, v5
	v_and_b32_e32 v6, 0x80000000, v6
	v_lshl_add_u32 v4, v4, 23, v3
	v_or3_b32 v5, v6, v4, v5
.LBB345_215:                            ;   in Loop: Header=BB345_11 Depth=1
	s_or_b64 exec, exec, s[34:35]
.LBB345_216:                            ;   in Loop: Header=BB345_11 Depth=1
	s_or_b64 exec, exec, s[30:31]
.LBB345_217:                            ;   in Loop: Header=BB345_11 Depth=1
	s_or_b64 exec, exec, s[28:29]
	v_mul_f32_e32 v4, v15, v5
	v_and_b32_e32 v5, 0x7f800000, v4
	v_cmp_ne_u32_e64 s[8:9], s38, v5
                                        ; implicit-def: $vgpr56
	s_and_saveexec_b64 s[28:29], s[8:9]
	s_xor_b64 s[8:9], exec, s[28:29]
; %bb.218:                              ;   in Loop: Header=BB345_11 Depth=1
	v_bfe_u32 v5, v4, 16, 1
	v_add3_u32 v56, v4, v5, s39
                                        ; implicit-def: $vgpr4
; %bb.219:                              ;   in Loop: Header=BB345_11 Depth=1
	s_andn2_saveexec_b64 s[28:29], s[8:9]
; %bb.220:                              ;   in Loop: Header=BB345_11 Depth=1
	v_or_b32_e32 v5, 0x10000, v4
	v_cmp_eq_u32_sdwa s[8:9], v4, v23 src0_sel:WORD_0 src1_sel:DWORD
	v_cndmask_b32_e64 v56, v5, v4, s[8:9]
; %bb.221:                              ;   in Loop: Header=BB345_11 Depth=1
	s_or_b64 exec, exec, s[28:29]
	flat_load_ubyte v33, v[20:21] offset:1288
	v_mov_b32_e32 v5, 0
	s_waitcnt vmcnt(0) lgkmcnt(0)
	v_cmp_ne_u16_e64 s[8:9], 0, v33
	s_and_saveexec_b64 s[28:29], s[8:9]
	s_cbranch_execz .LBB345_227
; %bb.222:                              ;   in Loop: Header=BB345_11 Depth=1
	v_cmp_ne_u16_e64 s[8:9], s19, v33
	v_bfrev_b32_e32 v5, 1
	s_and_saveexec_b64 s[30:31], s[8:9]
	s_cbranch_execz .LBB345_226
; %bb.223:                              ;   in Loop: Header=BB345_11 Depth=1
	v_and_b32_e32 v28, 0xffff, v33
	v_and_b32_e32 v4, 0x7f, v28
	v_cmp_ne_u32_e64 s[8:9], s37, v4
	v_mov_b32_e32 v5, 0x7f800001
	s_and_saveexec_b64 s[34:35], s[8:9]
	s_cbranch_execz .LBB345_225
; %bb.224:                              ;   in Loop: Header=BB345_11 Depth=1
	v_and_b32_e32 v5, 7, v28
	v_ffbh_u32_e32 v7, v5
	v_min_u32_e32 v7, 32, v7
	v_subrev_u32_e32 v10, 28, v7
	v_lshlrev_b64 v[58:59], v10, v[28:29]
	v_lshrrev_b32_e32 v6, 3, v4
	v_sub_u32_e32 v7, 29, v7
	v_and_b32_e32 v10, 7, v58
	v_cmp_gt_u32_e64 s[8:9], 8, v4
	v_cndmask_b32_e64 v4, v6, v7, s[8:9]
	v_cndmask_b32_e64 v5, v5, v10, s[8:9]
	v_lshlrev_b32_e32 v6, 24, v33
	v_lshlrev_b32_e32 v5, 20, v5
	v_and_b32_e32 v6, 0x80000000, v6
	v_lshl_add_u32 v4, v4, 23, v3
	v_or3_b32 v5, v6, v4, v5
.LBB345_225:                            ;   in Loop: Header=BB345_11 Depth=1
	s_or_b64 exec, exec, s[34:35]
.LBB345_226:                            ;   in Loop: Header=BB345_11 Depth=1
	s_or_b64 exec, exec, s[30:31]
.LBB345_227:                            ;   in Loop: Header=BB345_11 Depth=1
	s_or_b64 exec, exec, s[28:29]
	v_mul_f32_e32 v4, v15, v5
	v_and_b32_e32 v5, 0x7f800000, v4
	v_cmp_ne_u32_e64 s[8:9], s38, v5
                                        ; implicit-def: $vgpr57
	s_and_saveexec_b64 s[28:29], s[8:9]
	s_xor_b64 s[8:9], exec, s[28:29]
; %bb.228:                              ;   in Loop: Header=BB345_11 Depth=1
	v_bfe_u32 v5, v4, 16, 1
	v_add3_u32 v57, v4, v5, s39
                                        ; implicit-def: $vgpr4
; %bb.229:                              ;   in Loop: Header=BB345_11 Depth=1
	s_andn2_saveexec_b64 s[28:29], s[8:9]
; %bb.230:                              ;   in Loop: Header=BB345_11 Depth=1
	v_or_b32_e32 v5, 0x10000, v4
	v_cmp_eq_u32_sdwa s[8:9], v4, v23 src0_sel:WORD_0 src1_sel:DWORD
	v_cndmask_b32_e64 v57, v5, v4, s[8:9]
; %bb.231:                              ;   in Loop: Header=BB345_11 Depth=1
	s_or_b64 exec, exec, s[28:29]
	flat_load_ubyte v33, v[20:21] offset:1408
	v_mov_b32_e32 v5, 0
	s_waitcnt vmcnt(0) lgkmcnt(0)
	v_cmp_ne_u16_e64 s[8:9], 0, v33
	s_and_saveexec_b64 s[28:29], s[8:9]
	s_cbranch_execz .LBB345_237
; %bb.232:                              ;   in Loop: Header=BB345_11 Depth=1
	v_cmp_ne_u16_e64 s[8:9], s19, v33
	v_bfrev_b32_e32 v5, 1
	s_and_saveexec_b64 s[30:31], s[8:9]
	s_cbranch_execz .LBB345_236
; %bb.233:                              ;   in Loop: Header=BB345_11 Depth=1
	v_and_b32_e32 v28, 0xffff, v33
	v_and_b32_e32 v4, 0x7f, v28
	v_cmp_ne_u32_e64 s[8:9], s37, v4
	v_mov_b32_e32 v5, 0x7f800001
	s_and_saveexec_b64 s[34:35], s[8:9]
	s_cbranch_execz .LBB345_235
; %bb.234:                              ;   in Loop: Header=BB345_11 Depth=1
	v_and_b32_e32 v5, 7, v28
	v_ffbh_u32_e32 v7, v5
	v_min_u32_e32 v7, 32, v7
	v_subrev_u32_e32 v10, 28, v7
	v_lshlrev_b64 v[58:59], v10, v[28:29]
	v_lshrrev_b32_e32 v6, 3, v4
	v_sub_u32_e32 v7, 29, v7
	v_and_b32_e32 v10, 7, v58
	v_cmp_gt_u32_e64 s[8:9], 8, v4
	v_cndmask_b32_e64 v4, v6, v7, s[8:9]
	v_cndmask_b32_e64 v5, v5, v10, s[8:9]
	v_lshlrev_b32_e32 v6, 24, v33
	v_lshlrev_b32_e32 v5, 20, v5
	v_and_b32_e32 v6, 0x80000000, v6
	v_lshl_add_u32 v4, v4, 23, v3
	v_or3_b32 v5, v6, v4, v5
.LBB345_235:                            ;   in Loop: Header=BB345_11 Depth=1
	s_or_b64 exec, exec, s[34:35]
.LBB345_236:                            ;   in Loop: Header=BB345_11 Depth=1
	s_or_b64 exec, exec, s[30:31]
.LBB345_237:                            ;   in Loop: Header=BB345_11 Depth=1
	s_or_b64 exec, exec, s[28:29]
	v_mul_f32_e32 v4, v15, v5
	v_and_b32_e32 v5, 0x7f800000, v4
	v_cmp_ne_u32_e64 s[8:9], s38, v5
                                        ; implicit-def: $vgpr58
	s_and_saveexec_b64 s[28:29], s[8:9]
	s_xor_b64 s[8:9], exec, s[28:29]
; %bb.238:                              ;   in Loop: Header=BB345_11 Depth=1
	v_bfe_u32 v5, v4, 16, 1
	v_add3_u32 v58, v4, v5, s39
                                        ; implicit-def: $vgpr4
; %bb.239:                              ;   in Loop: Header=BB345_11 Depth=1
	s_andn2_saveexec_b64 s[28:29], s[8:9]
; %bb.240:                              ;   in Loop: Header=BB345_11 Depth=1
	v_or_b32_e32 v5, 0x10000, v4
	v_cmp_eq_u32_sdwa s[8:9], v4, v23 src0_sel:WORD_0 src1_sel:DWORD
	v_cndmask_b32_e64 v58, v5, v4, s[8:9]
; %bb.241:                              ;   in Loop: Header=BB345_11 Depth=1
	s_or_b64 exec, exec, s[28:29]
	flat_load_ubyte v33, v[20:21] offset:1416
	v_mov_b32_e32 v5, 0
	s_waitcnt vmcnt(0) lgkmcnt(0)
	v_cmp_ne_u16_e64 s[8:9], 0, v33
	s_and_saveexec_b64 s[28:29], s[8:9]
	s_cbranch_execz .LBB345_247
; %bb.242:                              ;   in Loop: Header=BB345_11 Depth=1
	v_cmp_ne_u16_e64 s[8:9], s19, v33
	v_bfrev_b32_e32 v5, 1
	s_and_saveexec_b64 s[30:31], s[8:9]
	s_cbranch_execz .LBB345_246
; %bb.243:                              ;   in Loop: Header=BB345_11 Depth=1
	v_and_b32_e32 v28, 0xffff, v33
	v_and_b32_e32 v4, 0x7f, v28
	v_cmp_ne_u32_e64 s[8:9], s37, v4
	v_mov_b32_e32 v5, 0x7f800001
	s_and_saveexec_b64 s[34:35], s[8:9]
	s_cbranch_execz .LBB345_245
; %bb.244:                              ;   in Loop: Header=BB345_11 Depth=1
	v_and_b32_e32 v5, 7, v28
	v_ffbh_u32_e32 v7, v5
	v_min_u32_e32 v7, 32, v7
	v_subrev_u32_e32 v10, 28, v7
	v_lshlrev_b64 v[60:61], v10, v[28:29]
	v_lshrrev_b32_e32 v6, 3, v4
	v_sub_u32_e32 v7, 29, v7
	v_and_b32_e32 v10, 7, v60
	v_cmp_gt_u32_e64 s[8:9], 8, v4
	v_cndmask_b32_e64 v4, v6, v7, s[8:9]
	v_cndmask_b32_e64 v5, v5, v10, s[8:9]
	v_lshlrev_b32_e32 v6, 24, v33
	v_lshlrev_b32_e32 v5, 20, v5
	v_and_b32_e32 v6, 0x80000000, v6
	v_lshl_add_u32 v4, v4, 23, v3
	v_or3_b32 v5, v6, v4, v5
.LBB345_245:                            ;   in Loop: Header=BB345_11 Depth=1
	s_or_b64 exec, exec, s[34:35]
.LBB345_246:                            ;   in Loop: Header=BB345_11 Depth=1
	s_or_b64 exec, exec, s[30:31]
.LBB345_247:                            ;   in Loop: Header=BB345_11 Depth=1
	s_or_b64 exec, exec, s[28:29]
	v_mul_f32_e32 v4, v15, v5
	v_and_b32_e32 v5, 0x7f800000, v4
	v_cmp_ne_u32_e64 s[8:9], s38, v5
                                        ; implicit-def: $vgpr59
	s_and_saveexec_b64 s[28:29], s[8:9]
	s_xor_b64 s[8:9], exec, s[28:29]
; %bb.248:                              ;   in Loop: Header=BB345_11 Depth=1
	v_bfe_u32 v5, v4, 16, 1
	v_add3_u32 v59, v4, v5, s39
                                        ; implicit-def: $vgpr4
; %bb.249:                              ;   in Loop: Header=BB345_11 Depth=1
	s_andn2_saveexec_b64 s[28:29], s[8:9]
; %bb.250:                              ;   in Loop: Header=BB345_11 Depth=1
	v_or_b32_e32 v5, 0x10000, v4
	v_cmp_eq_u32_sdwa s[8:9], v4, v23 src0_sel:WORD_0 src1_sel:DWORD
	v_cndmask_b32_e64 v59, v5, v4, s[8:9]
; %bb.251:                              ;   in Loop: Header=BB345_11 Depth=1
	s_or_b64 exec, exec, s[28:29]
	flat_load_ubyte v33, v[20:21] offset:1536
	v_mov_b32_e32 v5, 0
	s_waitcnt vmcnt(0) lgkmcnt(0)
	v_cmp_ne_u16_e64 s[8:9], 0, v33
	s_and_saveexec_b64 s[28:29], s[8:9]
	s_cbranch_execz .LBB345_257
; %bb.252:                              ;   in Loop: Header=BB345_11 Depth=1
	v_cmp_ne_u16_e64 s[8:9], s19, v33
	v_bfrev_b32_e32 v5, 1
	s_and_saveexec_b64 s[30:31], s[8:9]
	s_cbranch_execz .LBB345_256
; %bb.253:                              ;   in Loop: Header=BB345_11 Depth=1
	v_and_b32_e32 v28, 0xffff, v33
	v_and_b32_e32 v4, 0x7f, v28
	v_cmp_ne_u32_e64 s[8:9], s37, v4
	v_mov_b32_e32 v5, 0x7f800001
	s_and_saveexec_b64 s[34:35], s[8:9]
	s_cbranch_execz .LBB345_255
; %bb.254:                              ;   in Loop: Header=BB345_11 Depth=1
	v_and_b32_e32 v5, 7, v28
	v_ffbh_u32_e32 v7, v5
	v_min_u32_e32 v7, 32, v7
	v_subrev_u32_e32 v10, 28, v7
	v_lshlrev_b64 v[60:61], v10, v[28:29]
	v_lshrrev_b32_e32 v6, 3, v4
	v_sub_u32_e32 v7, 29, v7
	v_and_b32_e32 v10, 7, v60
	v_cmp_gt_u32_e64 s[8:9], 8, v4
	v_cndmask_b32_e64 v4, v6, v7, s[8:9]
	v_cndmask_b32_e64 v5, v5, v10, s[8:9]
	v_lshlrev_b32_e32 v6, 24, v33
	v_lshlrev_b32_e32 v5, 20, v5
	v_and_b32_e32 v6, 0x80000000, v6
	v_lshl_add_u32 v4, v4, 23, v3
	v_or3_b32 v5, v6, v4, v5
.LBB345_255:                            ;   in Loop: Header=BB345_11 Depth=1
	s_or_b64 exec, exec, s[34:35]
.LBB345_256:                            ;   in Loop: Header=BB345_11 Depth=1
	s_or_b64 exec, exec, s[30:31]
.LBB345_257:                            ;   in Loop: Header=BB345_11 Depth=1
	s_or_b64 exec, exec, s[28:29]
	v_mul_f32_e32 v4, v15, v5
	v_and_b32_e32 v5, 0x7f800000, v4
	v_cmp_ne_u32_e64 s[8:9], s38, v5
                                        ; implicit-def: $vgpr60
	s_and_saveexec_b64 s[28:29], s[8:9]
	s_xor_b64 s[8:9], exec, s[28:29]
; %bb.258:                              ;   in Loop: Header=BB345_11 Depth=1
	v_bfe_u32 v5, v4, 16, 1
	v_add3_u32 v60, v4, v5, s39
                                        ; implicit-def: $vgpr4
; %bb.259:                              ;   in Loop: Header=BB345_11 Depth=1
	s_andn2_saveexec_b64 s[28:29], s[8:9]
; %bb.260:                              ;   in Loop: Header=BB345_11 Depth=1
	v_or_b32_e32 v5, 0x10000, v4
	v_cmp_eq_u32_sdwa s[8:9], v4, v23 src0_sel:WORD_0 src1_sel:DWORD
	v_cndmask_b32_e64 v60, v5, v4, s[8:9]
; %bb.261:                              ;   in Loop: Header=BB345_11 Depth=1
	s_or_b64 exec, exec, s[28:29]
	flat_load_ubyte v33, v[20:21] offset:1544
	v_mov_b32_e32 v5, 0
	s_waitcnt vmcnt(0) lgkmcnt(0)
	v_cmp_ne_u16_e64 s[8:9], 0, v33
	s_and_saveexec_b64 s[28:29], s[8:9]
	s_cbranch_execz .LBB345_267
; %bb.262:                              ;   in Loop: Header=BB345_11 Depth=1
	v_cmp_ne_u16_e64 s[8:9], s19, v33
	v_bfrev_b32_e32 v5, 1
	s_and_saveexec_b64 s[30:31], s[8:9]
	s_cbranch_execz .LBB345_266
; %bb.263:                              ;   in Loop: Header=BB345_11 Depth=1
	v_and_b32_e32 v28, 0xffff, v33
	v_and_b32_e32 v4, 0x7f, v28
	v_cmp_ne_u32_e64 s[8:9], s37, v4
	v_mov_b32_e32 v5, 0x7f800001
	s_and_saveexec_b64 s[34:35], s[8:9]
	s_cbranch_execz .LBB345_265
; %bb.264:                              ;   in Loop: Header=BB345_11 Depth=1
	v_and_b32_e32 v5, 7, v28
	v_ffbh_u32_e32 v6, v5
	v_min_u32_e32 v11, 32, v6
	v_subrev_u32_e32 v6, 28, v11
	v_lshlrev_b64 v[6:7], v6, v[28:29]
	v_lshrrev_b32_e32 v10, 3, v4
	v_sub_u32_e32 v7, 29, v11
	v_and_b32_e32 v6, 7, v6
	v_cmp_gt_u32_e64 s[8:9], 8, v4
	v_cndmask_b32_e64 v4, v10, v7, s[8:9]
	v_cndmask_b32_e64 v5, v5, v6, s[8:9]
	v_lshlrev_b32_e32 v6, 24, v33
	v_lshlrev_b32_e32 v5, 20, v5
	v_and_b32_e32 v6, 0x80000000, v6
	v_lshl_add_u32 v4, v4, 23, v3
	v_or3_b32 v5, v6, v4, v5
.LBB345_265:                            ;   in Loop: Header=BB345_11 Depth=1
	s_or_b64 exec, exec, s[34:35]
.LBB345_266:                            ;   in Loop: Header=BB345_11 Depth=1
	s_or_b64 exec, exec, s[30:31]
.LBB345_267:                            ;   in Loop: Header=BB345_11 Depth=1
	s_or_b64 exec, exec, s[28:29]
	v_mul_f32_e32 v4, v15, v5
	v_and_b32_e32 v5, 0x7f800000, v4
	v_cmp_ne_u32_e64 s[8:9], s38, v5
                                        ; implicit-def: $vgpr61
	s_and_saveexec_b64 s[28:29], s[8:9]
	s_xor_b64 s[8:9], exec, s[28:29]
; %bb.268:                              ;   in Loop: Header=BB345_11 Depth=1
	v_bfe_u32 v5, v4, 16, 1
	v_add3_u32 v61, v4, v5, s39
                                        ; implicit-def: $vgpr4
; %bb.269:                              ;   in Loop: Header=BB345_11 Depth=1
	s_andn2_saveexec_b64 s[28:29], s[8:9]
; %bb.270:                              ;   in Loop: Header=BB345_11 Depth=1
	v_or_b32_e32 v5, 0x10000, v4
	v_cmp_eq_u32_sdwa s[8:9], v4, v23 src0_sel:WORD_0 src1_sel:DWORD
	v_cndmask_b32_e64 v61, v5, v4, s[8:9]
; %bb.271:                              ;   in Loop: Header=BB345_11 Depth=1
	s_or_b64 exec, exec, s[28:29]
	flat_load_ubyte v33, v[20:21] offset:1664
	v_mov_b32_e32 v5, 0
	s_waitcnt vmcnt(0) lgkmcnt(0)
	v_cmp_ne_u16_e64 s[8:9], 0, v33
	s_and_saveexec_b64 s[28:29], s[8:9]
	s_cbranch_execz .LBB345_277
; %bb.272:                              ;   in Loop: Header=BB345_11 Depth=1
	v_cmp_ne_u16_e64 s[8:9], s19, v33
	v_bfrev_b32_e32 v5, 1
	s_and_saveexec_b64 s[30:31], s[8:9]
	s_cbranch_execz .LBB345_276
; %bb.273:                              ;   in Loop: Header=BB345_11 Depth=1
	v_and_b32_e32 v28, 0xffff, v33
	v_and_b32_e32 v4, 0x7f, v28
	v_cmp_ne_u32_e64 s[8:9], s37, v4
	v_mov_b32_e32 v5, 0x7f800001
	s_and_saveexec_b64 s[34:35], s[8:9]
	s_cbranch_execz .LBB345_275
; %bb.274:                              ;   in Loop: Header=BB345_11 Depth=1
	v_and_b32_e32 v5, 7, v28
	v_ffbh_u32_e32 v6, v5
	v_min_u32_e32 v11, 32, v6
	v_subrev_u32_e32 v6, 28, v11
	v_lshlrev_b64 v[6:7], v6, v[28:29]
	v_lshrrev_b32_e32 v10, 3, v4
	v_sub_u32_e32 v7, 29, v11
	v_and_b32_e32 v6, 7, v6
	v_cmp_gt_u32_e64 s[8:9], 8, v4
	v_cndmask_b32_e64 v4, v10, v7, s[8:9]
	v_cndmask_b32_e64 v5, v5, v6, s[8:9]
	v_lshlrev_b32_e32 v6, 24, v33
	v_lshlrev_b32_e32 v5, 20, v5
	v_and_b32_e32 v6, 0x80000000, v6
	v_lshl_add_u32 v4, v4, 23, v3
	v_or3_b32 v5, v6, v4, v5
.LBB345_275:                            ;   in Loop: Header=BB345_11 Depth=1
	s_or_b64 exec, exec, s[34:35]
.LBB345_276:                            ;   in Loop: Header=BB345_11 Depth=1
	s_or_b64 exec, exec, s[30:31]
.LBB345_277:                            ;   in Loop: Header=BB345_11 Depth=1
	s_or_b64 exec, exec, s[28:29]
	v_mul_f32_e32 v4, v15, v5
	v_and_b32_e32 v5, 0x7f800000, v4
	v_cmp_ne_u32_e64 s[8:9], s38, v5
                                        ; implicit-def: $vgpr62
	s_and_saveexec_b64 s[28:29], s[8:9]
	s_xor_b64 s[8:9], exec, s[28:29]
; %bb.278:                              ;   in Loop: Header=BB345_11 Depth=1
	v_bfe_u32 v5, v4, 16, 1
	v_add3_u32 v62, v4, v5, s39
                                        ; implicit-def: $vgpr4
; %bb.279:                              ;   in Loop: Header=BB345_11 Depth=1
	s_andn2_saveexec_b64 s[28:29], s[8:9]
; %bb.280:                              ;   in Loop: Header=BB345_11 Depth=1
	v_or_b32_e32 v5, 0x10000, v4
	v_cmp_eq_u32_sdwa s[8:9], v4, v23 src0_sel:WORD_0 src1_sel:DWORD
	v_cndmask_b32_e64 v62, v5, v4, s[8:9]
; %bb.281:                              ;   in Loop: Header=BB345_11 Depth=1
	s_or_b64 exec, exec, s[28:29]
	flat_load_ubyte v33, v[20:21] offset:1672
	v_mov_b32_e32 v5, 0
	s_waitcnt vmcnt(0) lgkmcnt(0)
	v_cmp_ne_u16_e64 s[8:9], 0, v33
	s_and_saveexec_b64 s[28:29], s[8:9]
	s_cbranch_execz .LBB345_287
; %bb.282:                              ;   in Loop: Header=BB345_11 Depth=1
	v_cmp_ne_u16_e64 s[8:9], s19, v33
	v_bfrev_b32_e32 v5, 1
	s_and_saveexec_b64 s[30:31], s[8:9]
	s_cbranch_execz .LBB345_286
; %bb.283:                              ;   in Loop: Header=BB345_11 Depth=1
	v_and_b32_e32 v28, 0xffff, v33
	v_and_b32_e32 v4, 0x7f, v28
	v_cmp_ne_u32_e64 s[8:9], s37, v4
	v_mov_b32_e32 v5, 0x7f800001
	s_and_saveexec_b64 s[34:35], s[8:9]
	s_cbranch_execz .LBB345_285
; %bb.284:                              ;   in Loop: Header=BB345_11 Depth=1
	v_and_b32_e32 v5, 7, v28
	v_ffbh_u32_e32 v6, v5
	v_min_u32_e32 v11, 32, v6
	v_subrev_u32_e32 v6, 28, v11
	v_lshlrev_b64 v[6:7], v6, v[28:29]
	v_lshrrev_b32_e32 v10, 3, v4
	v_sub_u32_e32 v7, 29, v11
	v_and_b32_e32 v6, 7, v6
	v_cmp_gt_u32_e64 s[8:9], 8, v4
	v_cndmask_b32_e64 v4, v10, v7, s[8:9]
	v_cndmask_b32_e64 v5, v5, v6, s[8:9]
	v_lshlrev_b32_e32 v6, 24, v33
	v_lshlrev_b32_e32 v5, 20, v5
	v_and_b32_e32 v6, 0x80000000, v6
	v_lshl_add_u32 v4, v4, 23, v3
	v_or3_b32 v5, v6, v4, v5
.LBB345_285:                            ;   in Loop: Header=BB345_11 Depth=1
	s_or_b64 exec, exec, s[34:35]
.LBB345_286:                            ;   in Loop: Header=BB345_11 Depth=1
	s_or_b64 exec, exec, s[30:31]
.LBB345_287:                            ;   in Loop: Header=BB345_11 Depth=1
	s_or_b64 exec, exec, s[28:29]
	v_mul_f32_e32 v4, v15, v5
	v_and_b32_e32 v5, 0x7f800000, v4
	v_cmp_ne_u32_e64 s[8:9], s38, v5
                                        ; implicit-def: $vgpr34
	s_and_saveexec_b64 s[28:29], s[8:9]
	s_xor_b64 s[8:9], exec, s[28:29]
; %bb.288:                              ;   in Loop: Header=BB345_11 Depth=1
	v_bfe_u32 v5, v4, 16, 1
	v_add3_u32 v34, v4, v5, s39
                                        ; implicit-def: $vgpr4
; %bb.289:                              ;   in Loop: Header=BB345_11 Depth=1
	s_andn2_saveexec_b64 s[28:29], s[8:9]
; %bb.290:                              ;   in Loop: Header=BB345_11 Depth=1
	v_or_b32_e32 v5, 0x10000, v4
	v_cmp_eq_u32_sdwa s[8:9], v4, v23 src0_sel:WORD_0 src1_sel:DWORD
	v_cndmask_b32_e64 v34, v5, v4, s[8:9]
; %bb.291:                              ;   in Loop: Header=BB345_11 Depth=1
	s_or_b64 exec, exec, s[28:29]
	flat_load_ubyte v33, v[20:21] offset:1792
	v_mov_b32_e32 v5, 0
	s_waitcnt vmcnt(0) lgkmcnt(0)
	v_cmp_ne_u16_e64 s[8:9], 0, v33
	s_and_saveexec_b64 s[28:29], s[8:9]
	s_cbranch_execz .LBB345_297
; %bb.292:                              ;   in Loop: Header=BB345_11 Depth=1
	v_cmp_ne_u16_e64 s[8:9], s19, v33
	v_bfrev_b32_e32 v5, 1
	s_and_saveexec_b64 s[30:31], s[8:9]
	s_cbranch_execz .LBB345_296
; %bb.293:                              ;   in Loop: Header=BB345_11 Depth=1
	v_and_b32_e32 v28, 0xffff, v33
	v_and_b32_e32 v4, 0x7f, v28
	v_cmp_ne_u32_e64 s[8:9], s37, v4
	v_mov_b32_e32 v5, 0x7f800001
	s_and_saveexec_b64 s[34:35], s[8:9]
	s_cbranch_execz .LBB345_295
; %bb.294:                              ;   in Loop: Header=BB345_11 Depth=1
	v_and_b32_e32 v5, 7, v28
	v_ffbh_u32_e32 v6, v5
	v_min_u32_e32 v11, 32, v6
	v_subrev_u32_e32 v6, 28, v11
	v_lshlrev_b64 v[6:7], v6, v[28:29]
	v_lshrrev_b32_e32 v10, 3, v4
	v_sub_u32_e32 v7, 29, v11
	v_and_b32_e32 v6, 7, v6
	v_cmp_gt_u32_e64 s[8:9], 8, v4
	v_cndmask_b32_e64 v4, v10, v7, s[8:9]
	v_cndmask_b32_e64 v5, v5, v6, s[8:9]
	v_lshlrev_b32_e32 v6, 24, v33
	v_lshlrev_b32_e32 v5, 20, v5
	v_and_b32_e32 v6, 0x80000000, v6
	v_lshl_add_u32 v4, v4, 23, v3
	v_or3_b32 v5, v6, v4, v5
.LBB345_295:                            ;   in Loop: Header=BB345_11 Depth=1
	s_or_b64 exec, exec, s[34:35]
.LBB345_296:                            ;   in Loop: Header=BB345_11 Depth=1
	s_or_b64 exec, exec, s[30:31]
.LBB345_297:                            ;   in Loop: Header=BB345_11 Depth=1
	s_or_b64 exec, exec, s[28:29]
	v_mul_f32_e32 v4, v15, v5
	v_and_b32_e32 v5, 0x7f800000, v4
	v_cmp_ne_u32_e64 s[8:9], s38, v5
                                        ; implicit-def: $vgpr36
	s_and_saveexec_b64 s[28:29], s[8:9]
	s_xor_b64 s[8:9], exec, s[28:29]
; %bb.298:                              ;   in Loop: Header=BB345_11 Depth=1
	v_bfe_u32 v5, v4, 16, 1
	v_add3_u32 v36, v4, v5, s39
                                        ; implicit-def: $vgpr4
; %bb.299:                              ;   in Loop: Header=BB345_11 Depth=1
	s_andn2_saveexec_b64 s[28:29], s[8:9]
; %bb.300:                              ;   in Loop: Header=BB345_11 Depth=1
	v_or_b32_e32 v5, 0x10000, v4
	v_cmp_eq_u32_sdwa s[8:9], v4, v23 src0_sel:WORD_0 src1_sel:DWORD
	v_cndmask_b32_e64 v36, v5, v4, s[8:9]
; %bb.301:                              ;   in Loop: Header=BB345_11 Depth=1
	s_or_b64 exec, exec, s[28:29]
	flat_load_ubyte v33, v[20:21] offset:1800
	v_mov_b32_e32 v5, 0
	s_waitcnt vmcnt(0) lgkmcnt(0)
	v_cmp_ne_u16_e64 s[8:9], 0, v33
	s_and_saveexec_b64 s[28:29], s[8:9]
	s_cbranch_execz .LBB345_307
; %bb.302:                              ;   in Loop: Header=BB345_11 Depth=1
	v_cmp_ne_u16_e64 s[8:9], s19, v33
	v_bfrev_b32_e32 v5, 1
	s_and_saveexec_b64 s[30:31], s[8:9]
	s_cbranch_execz .LBB345_306
; %bb.303:                              ;   in Loop: Header=BB345_11 Depth=1
	v_and_b32_e32 v28, 0xffff, v33
	v_and_b32_e32 v4, 0x7f, v28
	v_cmp_ne_u32_e64 s[8:9], s37, v4
	v_mov_b32_e32 v5, 0x7f800001
	s_and_saveexec_b64 s[34:35], s[8:9]
	s_cbranch_execz .LBB345_305
; %bb.304:                              ;   in Loop: Header=BB345_11 Depth=1
	v_and_b32_e32 v5, 7, v28
	v_ffbh_u32_e32 v6, v5
	v_min_u32_e32 v11, 32, v6
	v_subrev_u32_e32 v6, 28, v11
	v_lshlrev_b64 v[6:7], v6, v[28:29]
	v_lshrrev_b32_e32 v10, 3, v4
	v_sub_u32_e32 v7, 29, v11
	v_and_b32_e32 v6, 7, v6
	v_cmp_gt_u32_e64 s[8:9], 8, v4
	v_cndmask_b32_e64 v4, v10, v7, s[8:9]
	v_cndmask_b32_e64 v5, v5, v6, s[8:9]
	v_lshlrev_b32_e32 v6, 24, v33
	v_lshlrev_b32_e32 v5, 20, v5
	v_and_b32_e32 v6, 0x80000000, v6
	v_lshl_add_u32 v4, v4, 23, v3
	v_or3_b32 v5, v6, v4, v5
.LBB345_305:                            ;   in Loop: Header=BB345_11 Depth=1
	s_or_b64 exec, exec, s[34:35]
.LBB345_306:                            ;   in Loop: Header=BB345_11 Depth=1
	s_or_b64 exec, exec, s[30:31]
.LBB345_307:                            ;   in Loop: Header=BB345_11 Depth=1
	s_or_b64 exec, exec, s[28:29]
	v_mul_f32_e32 v4, v15, v5
	v_and_b32_e32 v5, 0x7f800000, v4
	v_cmp_ne_u32_e64 s[8:9], s38, v5
                                        ; implicit-def: $vgpr33
	s_and_saveexec_b64 s[28:29], s[8:9]
	s_xor_b64 s[8:9], exec, s[28:29]
; %bb.308:                              ;   in Loop: Header=BB345_11 Depth=1
	v_bfe_u32 v5, v4, 16, 1
	v_add3_u32 v33, v4, v5, s39
                                        ; implicit-def: $vgpr4
; %bb.309:                              ;   in Loop: Header=BB345_11 Depth=1
	s_andn2_saveexec_b64 s[28:29], s[8:9]
; %bb.310:                              ;   in Loop: Header=BB345_11 Depth=1
	v_or_b32_e32 v5, 0x10000, v4
	v_cmp_eq_u32_sdwa s[8:9], v4, v23 src0_sel:WORD_0 src1_sel:DWORD
	v_cndmask_b32_e64 v33, v5, v4, s[8:9]
; %bb.311:                              ;   in Loop: Header=BB345_11 Depth=1
	s_or_b64 exec, exec, s[28:29]
	flat_load_ubyte v5, v[20:21] offset:1920
	v_mov_b32_e32 v4, 0
	s_waitcnt vmcnt(0) lgkmcnt(0)
	v_cmp_ne_u16_e64 s[8:9], 0, v5
	s_and_saveexec_b64 s[28:29], s[8:9]
	s_cbranch_execz .LBB345_317
; %bb.312:                              ;   in Loop: Header=BB345_11 Depth=1
	v_cmp_ne_u16_e64 s[8:9], s19, v5
	v_bfrev_b32_e32 v4, 1
	s_and_saveexec_b64 s[30:31], s[8:9]
	s_cbranch_execz .LBB345_316
; %bb.313:                              ;   in Loop: Header=BB345_11 Depth=1
	v_and_b32_e32 v28, 0xffff, v5
	v_and_b32_e32 v6, 0x7f, v28
	v_cmp_ne_u32_e64 s[8:9], s37, v6
	v_mov_b32_e32 v4, 0x7f800001
	s_and_saveexec_b64 s[34:35], s[8:9]
	s_cbranch_execz .LBB345_315
; %bb.314:                              ;   in Loop: Header=BB345_11 Depth=1
	v_and_b32_e32 v4, 7, v28
	v_ffbh_u32_e32 v10, v4
	v_min_u32_e32 v32, 32, v10
	v_subrev_u32_e32 v10, 28, v32
	v_lshlrev_b64 v[10:11], v10, v[28:29]
	v_lshrrev_b32_e32 v7, 3, v6
	v_sub_u32_e32 v11, 29, v32
	v_and_b32_e32 v10, 7, v10
	v_cmp_gt_u32_e64 s[8:9], 8, v6
	v_cndmask_b32_e64 v6, v7, v11, s[8:9]
	v_cndmask_b32_e64 v4, v4, v10, s[8:9]
	v_lshlrev_b32_e32 v5, 24, v5
	v_lshlrev_b32_e32 v4, 20, v4
	v_and_b32_e32 v5, 0x80000000, v5
	v_lshl_add_u32 v6, v6, 23, v3
	v_or3_b32 v4, v5, v6, v4
.LBB345_315:                            ;   in Loop: Header=BB345_11 Depth=1
	s_or_b64 exec, exec, s[34:35]
.LBB345_316:                            ;   in Loop: Header=BB345_11 Depth=1
	s_or_b64 exec, exec, s[30:31]
.LBB345_317:                            ;   in Loop: Header=BB345_11 Depth=1
	s_or_b64 exec, exec, s[28:29]
	v_mul_f32_e32 v4, v15, v4
	v_and_b32_e32 v5, 0x7f800000, v4
	v_cmp_ne_u32_e64 s[8:9], s38, v5
                                        ; implicit-def: $vgpr28
	s_and_saveexec_b64 s[28:29], s[8:9]
	s_xor_b64 s[8:9], exec, s[28:29]
; %bb.318:                              ;   in Loop: Header=BB345_11 Depth=1
	v_bfe_u32 v5, v4, 16, 1
	v_add3_u32 v28, v4, v5, s39
                                        ; implicit-def: $vgpr4
; %bb.319:                              ;   in Loop: Header=BB345_11 Depth=1
	s_andn2_saveexec_b64 s[28:29], s[8:9]
; %bb.320:                              ;   in Loop: Header=BB345_11 Depth=1
	v_or_b32_e32 v5, 0x10000, v4
	v_cmp_eq_u32_sdwa s[8:9], v4, v23 src0_sel:WORD_0 src1_sel:DWORD
	v_cndmask_b32_e64 v28, v5, v4, s[8:9]
; %bb.321:                              ;   in Loop: Header=BB345_11 Depth=1
	s_or_b64 exec, exec, s[28:29]
	flat_load_ubyte v5, v[20:21] offset:1928
	v_mov_b32_e32 v4, 0
	s_waitcnt vmcnt(0) lgkmcnt(0)
	v_cmp_ne_u16_e64 s[8:9], 0, v5
	s_and_saveexec_b64 s[28:29], s[8:9]
	s_cbranch_execz .LBB345_327
; %bb.322:                              ;   in Loop: Header=BB345_11 Depth=1
	v_cmp_ne_u16_e64 s[8:9], s19, v5
	v_bfrev_b32_e32 v4, 1
	s_and_saveexec_b64 s[30:31], s[8:9]
	s_cbranch_execz .LBB345_326
; %bb.323:                              ;   in Loop: Header=BB345_11 Depth=1
	v_and_b32_e32 v20, 0xffff, v5
	v_and_b32_e32 v6, 0x7f, v20
	v_cmp_ne_u32_e64 s[8:9], s37, v6
	v_mov_b32_e32 v4, 0x7f800001
	s_and_saveexec_b64 s[34:35], s[8:9]
	s_cbranch_execz .LBB345_325
; %bb.324:                              ;   in Loop: Header=BB345_11 Depth=1
	v_and_b32_e32 v4, 7, v20
	v_ffbh_u32_e32 v10, v4
	v_min_u32_e32 v21, 32, v10
	v_subrev_u32_e32 v10, 28, v21
	v_lshlrev_b64 v[10:11], v10, v[20:21]
	v_lshrrev_b32_e32 v7, 3, v6
	v_sub_u32_e32 v11, 29, v21
	v_and_b32_e32 v10, 7, v10
	v_cmp_gt_u32_e64 s[8:9], 8, v6
	v_cndmask_b32_e64 v6, v7, v11, s[8:9]
	v_cndmask_b32_e64 v4, v4, v10, s[8:9]
	v_lshlrev_b32_e32 v5, 24, v5
	v_lshlrev_b32_e32 v4, 20, v4
	v_and_b32_e32 v5, 0x80000000, v5
	v_lshl_add_u32 v6, v6, 23, v3
	v_or3_b32 v4, v5, v6, v4
.LBB345_325:                            ;   in Loop: Header=BB345_11 Depth=1
	s_or_b64 exec, exec, s[34:35]
.LBB345_326:                            ;   in Loop: Header=BB345_11 Depth=1
	s_or_b64 exec, exec, s[30:31]
.LBB345_327:                            ;   in Loop: Header=BB345_11 Depth=1
	s_or_b64 exec, exec, s[28:29]
	v_mul_f32_e32 v4, v15, v4
	v_and_b32_e32 v5, 0x7f800000, v4
	v_cmp_ne_u32_e64 s[8:9], s38, v5
                                        ; implicit-def: $vgpr15
	s_and_saveexec_b64 s[28:29], s[8:9]
	s_xor_b64 s[8:9], exec, s[28:29]
; %bb.328:                              ;   in Loop: Header=BB345_11 Depth=1
	v_bfe_u32 v5, v4, 16, 1
	v_add3_u32 v15, v4, v5, s39
                                        ; implicit-def: $vgpr4
; %bb.329:                              ;   in Loop: Header=BB345_11 Depth=1
	s_andn2_saveexec_b64 s[28:29], s[8:9]
; %bb.330:                              ;   in Loop: Header=BB345_11 Depth=1
	v_or_b32_e32 v5, 0x10000, v4
	v_cmp_eq_u32_sdwa s[8:9], v4, v23 src0_sel:WORD_0 src1_sel:DWORD
	v_cndmask_b32_e64 v15, v5, v4, s[8:9]
; %bb.331:                              ;   in Loop: Header=BB345_11 Depth=1
	s_or_b64 exec, exec, s[28:29]
	v_and_b32_e32 v4, 0xffff0000, v39
	v_accvgpr_read_b32 v6, a24
	v_and_b32_e32 v5, 0xffff0000, v14
	v_mul_f32_e32 v4, v6, v4
	v_accvgpr_read_b32 v6, a23
	v_fmac_f32_e32 v4, v6, v5
	v_and_b32_e32 v5, 0xffff0000, v27
	v_accvgpr_read_b32 v6, a25
	v_fmac_f32_e32 v4, v6, v5
	v_and_b32_e32 v5, 0xffff0000, v26
	;; [unrolled: 3-line block ×7, first 2 shown]
	v_and_b32_e32 v52, 0xffff0000, v52
	v_accvgpr_read_b32 v55, a31
	v_and_b32_e32 v53, 0xffff0000, v53
	v_fmac_f32_e32 v4, v55, v52
	v_accvgpr_read_b32 v52, a32
	v_and_b32_e32 v54, 0xffff0000, v54
	v_fmac_f32_e32 v4, v52, v53
	v_accvgpr_read_b32 v52, a33
	v_fmac_f32_e32 v4, v52, v54
	v_accvgpr_read_b32 v52, a34
	v_and_b32_e32 v50, 0xffff0000, v40
	v_fmac_f32_e32 v4, v52, v51
	v_accvgpr_read_b32 v51, a35
	v_and_b32_e32 v49, 0xffff0000, v41
	v_fmac_f32_e32 v4, v51, v50
	v_accvgpr_read_b32 v50, a36
	v_and_b32_e32 v48, 0xffff0000, v42
	v_fmac_f32_e32 v4, v50, v49
	v_accvgpr_read_b32 v49, a37
	v_and_b32_e32 v39, 0xffff0000, v43
	v_fmac_f32_e32 v4, v49, v48
	v_accvgpr_read_b32 v48, a38
	v_and_b32_e32 v7, 0xffff0000, v36
	v_and_b32_e32 v36, 0xffff0000, v44
	v_fmac_f32_e32 v4, v48, v39
	v_accvgpr_read_b32 v39, a39
	v_and_b32_e32 v10, 0xffff0000, v34
	v_and_b32_e32 v34, 0xffff0000, v45
	v_fmac_f32_e32 v4, v39, v36
	v_accvgpr_read_b32 v36, a40
	v_and_b32_e32 v6, 0xffff0000, v33
	;; [unrolled: 4-line block ×3, first 2 shown]
	v_fmac_f32_e32 v4, v34, v33
	v_accvgpr_read_b32 v33, a42
	v_and_b32_e32 v5, 0xffff0000, v28
	v_and_b32_e32 v28, 0xffff0000, v56
	v_fmac_f32_e32 v4, v33, v32
	v_accvgpr_read_b32 v32, a43
	v_and_b32_e32 v27, 0xffff0000, v57
	v_fmac_f32_e32 v4, v32, v28
	v_accvgpr_read_b32 v28, a44
	;; [unrolled: 3-line block ×7, first 2 shown]
	v_fmac_f32_e32 v4, v14, v11
	v_accvgpr_read_b32 v11, a50
	v_fmac_f32_e32 v4, v11, v10
	v_accvgpr_read_b32 v10, a51
	;; [unrolled: 2-line block ×4, first 2 shown]
	v_and_b32_e32 v15, 0xffff0000, v15
	v_fmac_f32_e32 v4, v6, v5
	v_accvgpr_read_b32 v5, a54
	v_fmac_f32_e32 v4, v5, v15
	ds_bpermute_b32 v5, v22, v4
	s_waitcnt lgkmcnt(0)
	v_add_f32_e32 v4, v4, v5
	ds_bpermute_b32 v5, v35, v4
	s_waitcnt lgkmcnt(0)
	v_add_f32_e32 v4, v4, v5
	ds_bpermute_b32 v5, v31, v4
	s_and_saveexec_b64 s[28:29], vcc
	s_cbranch_execz .LBB345_10
; %bb.332:                              ;   in Loop: Header=BB345_11 Depth=1
	v_accvgpr_read_b32 v6, a55
	v_add_u32_e32 v6, v6, v1
	v_cvt_f32_i32_e32 v6, v6
	s_load_dword s8, s[24:25], 0x0
	s_waitcnt lgkmcnt(0)
	v_add_f32_e32 v4, v4, v5
	v_mul_f32_e32 v5, v37, v6
	v_cndmask_b32_e64 v5, 0, v5, s[6:7]
	v_add_u32_e32 v6, s8, v0
	v_fmac_f32_e32 v5, v4, v13
	v_cmp_lt_i32_e64 s[8:9], v1, v30
	v_cndmask_b32_e64 v4, 0, v5, s[8:9]
	ds_write_b32 v6, v4
	v_max_f32_e32 v4, v29, v29
	v_max_f32_e32 v4, v4, v5
	v_cndmask_b32_e64 v29, v29, v4, s[8:9]
	s_branch .LBB345_10
.LBB345_333:
	s_or_b64 exec, exec, s[26:27]
	v_accvgpr_read_b32 v27, a9
	v_accvgpr_read_b32 v20, a0
	;; [unrolled: 1-line block ×18, first 2 shown]
.LBB345_334:
	s_or_b64 exec, exec, s[10:11]
	v_xor_b32_e32 v0, 32, v38
	v_cmp_lt_i32_e32 vcc, v0, v18
	v_cndmask_b32_e32 v0, v38, v0, vcc
	v_lshlrev_b32_e32 v3, 2, v0
	ds_bpermute_b32 v0, v3, v29
	v_xor_b32_e32 v2, 16, v38
	v_max_f32_e32 v1, v29, v29
	v_cmp_lt_i32_e32 vcc, v2, v18
	v_and_b32_e32 v21, 63, v28
	s_waitcnt lgkmcnt(0)
	v_max_f32_e32 v0, v0, v0
	v_max_f32_e32 v0, v1, v0
	v_cndmask_b32_e32 v1, v38, v2, vcc
	v_lshlrev_b32_e32 v6, 2, v1
	ds_bpermute_b32 v1, v6, v0
	v_xor_b32_e32 v2, 8, v38
	v_cmp_lt_i32_e32 vcc, v2, v18
	s_waitcnt lgkmcnt(0)
	v_max_f32_e32 v1, v1, v1
	v_max_f32_e32 v0, v0, v1
	v_cndmask_b32_e32 v1, v38, v2, vcc
	v_lshlrev_b32_e32 v7, 2, v1
	ds_bpermute_b32 v1, v7, v0
	v_cmp_eq_u32_e32 vcc, 0, v21
	v_lshlrev_b32_e32 v2, 2, v31
	s_and_saveexec_b64 s[6:7], vcc
	s_cbranch_execz .LBB345_336
; %bb.335:
	s_waitcnt lgkmcnt(0)
	v_max_f32_e32 v1, v1, v1
	v_max_f32_e32 v0, v0, v0
	;; [unrolled: 1-line block ×3, first 2 shown]
	ds_write_b32 v2, v0 offset:512
.LBB345_336:
	s_or_b64 exec, exec, s[6:7]
	v_cmp_gt_u32_e64 s[6:7], 2, v21
	v_mov_b32_e32 v0, 0xff7fffff
	v_lshlrev_b32_e32 v4, 2, v21
	s_waitcnt lgkmcnt(0)
	s_barrier
	s_and_saveexec_b64 s[8:9], s[6:7]
	s_cbranch_execz .LBB345_338
; %bb.337:
	ds_read_b32 v0, v4 offset:512
.LBB345_338:
	s_or_b64 exec, exec, s[8:9]
	v_xor_b32_e32 v1, 1, v38
	v_cmp_lt_i32_e64 s[8:9], v1, v18
	v_cndmask_b32_e64 v1, v38, v1, s[8:9]
	v_lshlrev_b32_e32 v8, 2, v1
	s_waitcnt lgkmcnt(0)
	ds_bpermute_b32 v1, v8, v0
	v_max_f32_e32 v0, v0, v0
	v_accvgpr_read_b32 v5, a3
	v_subrev_u32_e32 v5, s36, v5
	v_lshl_add_u32 v5, v5, 3, s23
	s_waitcnt lgkmcnt(0)
	v_max_f32_e32 v1, v1, v1
	v_max_f32_e32 v0, v0, v1
	v_lshlrev_b32_e32 v1, 2, v38
	v_and_b32_e32 v9, 0xffffff00, v1
	ds_bpermute_b32 v0, v9, v0
	v_min_i32_e32 v5, v5, v30
	v_subrev_u32_e32 v1, s23, v5
	v_cmp_lt_i32_e64 s[8:9], v28, v1
	v_mov_b32_e32 v19, 0
	s_and_saveexec_b64 s[24:25], s[8:9]
	s_cbranch_execz .LBB345_342
; %bb.339:
	s_ashr_i32 s19, s18, 31
	s_lshl_b64 s[10:11], s[18:19], 2
	s_getpc_b64 s[26:27]
	s_add_u32 s26, s26, llvm.amdgcn.dynlds.offset.table@rel32@lo+4
	s_addc_u32 s27, s27, llvm.amdgcn.dynlds.offset.table@rel32@hi+12
	s_add_u32 s10, s10, s26
	s_addc_u32 s11, s11, s27
	s_load_dword s10, s[10:11], 0x0
	v_mov_b32_e32 v24, v18
	s_mov_b64 s[26:27], 0
	v_mov_b32_e32 v19, 0
	v_mov_b32_e32 v12, v28
	s_waitcnt lgkmcnt(0)
	v_lshl_add_u32 v18, v28, 2, s10
.LBB345_340:                            ; =>This Inner Loop Header: Depth=1
	ds_read_b32 v13, v18
	v_add_u32_e32 v12, 0x80, v12
	v_cmp_ge_i32_e64 s[10:11], v12, v1
	s_or_b64 s[26:27], s[10:11], s[26:27]
	s_waitcnt lgkmcnt(0)
	v_sub_f32_e32 v13, v13, v0
	v_mul_f32_e32 v13, 0x3fb8aa3b, v13
	v_exp_f32_e32 v13, v13
	ds_write_b32 v18, v13
	v_add_f32_e32 v19, v19, v13
	v_add_u32_e32 v18, 0x200, v18
	s_andn2_b64 exec, exec, s[26:27]
	s_cbranch_execnz .LBB345_340
; %bb.341:
	s_or_b64 exec, exec, s[26:27]
	v_mov_b32_e32 v18, v24
.LBB345_342:
	s_or_b64 exec, exec, s[24:25]
	ds_bpermute_b32 v3, v3, v19
	s_waitcnt lgkmcnt(0)
	v_add_f32_e32 v3, v19, v3
	ds_bpermute_b32 v6, v6, v3
	s_waitcnt lgkmcnt(0)
	v_add_f32_e32 v3, v3, v6
	ds_bpermute_b32 v6, v7, v3
	v_xor_b32_e32 v7, 4, v38
	v_cmp_lt_i32_e64 s[10:11], v7, v18
	v_cndmask_b32_e64 v7, v38, v7, s[10:11]
	v_lshlrev_b32_e32 v7, 2, v7
	s_waitcnt lgkmcnt(0)
	v_add_f32_e32 v3, v3, v6
	ds_bpermute_b32 v6, v7, v3
	v_xor_b32_e32 v7, 2, v38
	v_cmp_lt_i32_e64 s[10:11], v7, v18
	v_cndmask_b32_e64 v7, v38, v7, s[10:11]
	s_waitcnt lgkmcnt(0)
	v_add_f32_e32 v3, v3, v6
	v_lshlrev_b32_e32 v6, 2, v7
	ds_bpermute_b32 v6, v6, v3
	s_waitcnt lgkmcnt(0)
	v_add_f32_e32 v3, v3, v6
	ds_bpermute_b32 v6, v8, v3
	s_waitcnt lgkmcnt(0)
	v_add_f32_e32 v3, v3, v6
	s_and_saveexec_b64 s[10:11], vcc
	s_cbranch_execz .LBB345_344
; %bb.343:
	ds_write_b32 v2, v3 offset:520
.LBB345_344:
	s_or_b64 exec, exec, s[10:11]
	s_waitcnt lgkmcnt(0)
	s_barrier
	s_and_saveexec_b64 s[10:11], s[6:7]
	s_cbranch_execz .LBB345_346
; %bb.345:
	ds_read_b32 v3, v4 offset:520
.LBB345_346:
	s_or_b64 exec, exec, s[10:11]
	s_waitcnt lgkmcnt(0)
	ds_bpermute_b32 v2, v8, v3
	s_waitcnt lgkmcnt(0)
	v_add_f32_e32 v2, v3, v2
	ds_bpermute_b32 v2, v9, v2
	s_and_saveexec_b64 s[6:7], s[8:9]
	s_cbranch_execz .LBB345_359
; %bb.347:
	s_waitcnt lgkmcnt(0)
	v_add_f32_e32 v3, 0x358637bd, v2
	v_div_scale_f32 v4, s[8:9], v3, v3, 1.0
	v_rcp_f32_e32 v6, v4
	v_div_scale_f32 v7, vcc, 1.0, v3, 1.0
	s_movk_i32 s8, 0x7f
	v_fma_f32 v8, -v4, v6, 1.0
	v_fmac_f32_e32 v6, v8, v6
	v_mul_f32_e32 v8, v7, v6
	v_fma_f32 v9, -v4, v8, v7
	v_fmac_f32_e32 v8, v9, v6
	v_fma_f32 v4, -v4, v8, v7
	v_div_fmas_f32 v4, v4, v6, v8
	v_div_fixup_f32 v8, v4, v3, 1.0
	v_xad_u32 v3, v28, -1, v5
	v_subrev_u32_e32 v4, s23, v3
	v_cmp_lt_u32_e32 vcc, s8, v4
	s_mov_b64 s[10:11], -1
	v_mov_b32_e32 v3, v28
	s_and_saveexec_b64 s[8:9], vcc
	s_cbranch_execz .LBB345_356
; %bb.348:
	v_lshrrev_b32_e32 v3, 7, v4
	v_add_u32_e32 v5, -1, v3
	v_lshrrev_b32_e32 v4, 1, v5
	v_mov_b32_e32 v9, v8
	v_add_u32_e32 v4, 1, v4
	v_cmp_lt_u32_e32 vcc, 13, v5
	v_mov_b32_e32 v7, 0
	s_and_saveexec_b64 s[10:11], vcc
	s_cbranch_execz .LBB345_352
; %bb.349:
	s_ashr_i32 s19, s18, 31
	s_lshl_b64 s[24:25], s[18:19], 2
	s_getpc_b64 s[26:27]
	s_add_u32 s26, s26, llvm.amdgcn.dynlds.offset.table@rel32@lo+4
	s_addc_u32 s27, s27, llvm.amdgcn.dynlds.offset.table@rel32@hi+12
	s_add_u32 s24, s24, s26
	s_addc_u32 s25, s25, s27
	s_load_dword s24, s[24:25], 0x0
	v_and_b32_e32 v5, -8, v4
	s_mov_b32 s19, 0
	s_waitcnt lgkmcnt(0)
	v_lshl_add_u32 v6, v28, 2, s24
	s_mov_b64 s[24:25], 0
.LBB345_350:                            ; =>This Inner Loop Header: Depth=1
	ds_read2st64_b32 v[32:33], v6 offset1:2
	ds_read2st64_b32 v[12:13], v6 offset0:4 offset1:6
	ds_read2st64_b32 v[24:25], v6 offset0:8 offset1:10
	;; [unrolled: 1-line block ×3, first 2 shown]
	v_add_u32_e32 v5, -8, v5
	s_waitcnt lgkmcnt(0)
	v_pk_mul_f32 v[32:33], v[8:9], v[32:33]
	v_pk_mul_f32 v[12:13], v[8:9], v[12:13]
	ds_write2st64_b32 v6, v32, v33 offset1:2
	ds_write2st64_b32 v6, v12, v13 offset0:4 offset1:6
	ds_read2st64_b32 v[12:13], v6 offset0:16 offset1:18
	v_pk_mul_f32 v[24:25], v[8:9], v[24:25]
	v_pk_mul_f32 v[18:19], v[8:9], v[18:19]
	ds_write2st64_b32 v6, v24, v25 offset0:8 offset1:10
	ds_write2st64_b32 v6, v18, v19 offset0:12 offset1:14
	s_waitcnt lgkmcnt(0)
	v_pk_mul_f32 v[12:13], v[8:9], v[12:13]
	ds_read2st64_b32 v[24:25], v6 offset0:20 offset1:22
	ds_read2st64_b32 v[18:19], v6 offset0:24 offset1:26
	ds_write2st64_b32 v6, v12, v13 offset0:16 offset1:18
	ds_read2st64_b32 v[12:13], v6 offset0:28 offset1:30
	s_add_i32 s19, s19, 16
	s_waitcnt lgkmcnt(0)
	v_pk_mul_f32 v[24:25], v[8:9], v[24:25]
	v_pk_mul_f32 v[18:19], v[8:9], v[18:19]
	v_cmp_eq_u32_e32 vcc, 0, v5
	v_pk_mul_f32 v[12:13], v[8:9], v[12:13]
	ds_write2st64_b32 v6, v24, v25 offset0:20 offset1:22
	ds_write2st64_b32 v6, v18, v19 offset0:24 offset1:26
	;; [unrolled: 1-line block ×3, first 2 shown]
	v_add_u32_e32 v6, 0x2000, v6
	s_or_b64 s[24:25], vcc, s[24:25]
	v_mov_b32_e32 v7, s19
	s_andn2_b64 exec, exec, s[24:25]
	s_cbranch_execnz .LBB345_350
; %bb.351:
	s_or_b64 exec, exec, s[24:25]
.LBB345_352:
	s_or_b64 exec, exec, s[10:11]
	v_and_b32_e32 v4, 7, v4
	v_cmp_ne_u32_e32 vcc, 0, v4
	s_and_saveexec_b64 s[10:11], vcc
	s_cbranch_execz .LBB345_355
; %bb.353:
	s_ashr_i32 s19, s18, 31
	s_lshl_b64 s[24:25], s[18:19], 2
	s_getpc_b64 s[26:27]
	s_add_u32 s26, s26, llvm.amdgcn.dynlds.offset.table@rel32@lo+4
	s_addc_u32 s27, s27, llvm.amdgcn.dynlds.offset.table@rel32@hi+12
	s_add_u32 s24, s24, s26
	s_addc_u32 s25, s25, s27
	s_load_dword s19, s[24:25], 0x0
	v_lshlrev_b32_e32 v5, 9, v7
	v_lshlrev_b32_e32 v6, 2, v28
	s_mov_b64 s[24:25], 0
	s_waitcnt lgkmcnt(0)
	v_add3_u32 v5, v5, v6, s19
.LBB345_354:                            ; =>This Inner Loop Header: Depth=1
	ds_read2st64_b32 v[6:7], v5 offset1:2
	v_add_u32_e32 v4, -1, v4
	v_cmp_eq_u32_e32 vcc, 0, v4
	s_or_b64 s[24:25], vcc, s[24:25]
	s_waitcnt lgkmcnt(0)
	v_pk_mul_f32 v[6:7], v[8:9], v[6:7]
	ds_write2st64_b32 v5, v6, v7 offset1:2
	v_add_u32_e32 v5, 0x400, v5
	s_andn2_b64 exec, exec, s[24:25]
	s_cbranch_execnz .LBB345_354
.LBB345_355:
	s_or_b64 exec, exec, s[10:11]
	v_add_u32_e32 v4, 1, v3
	v_and_b32_e32 v5, 0x3fffffe, v4
	v_cmp_ne_u32_e32 vcc, v4, v5
	v_lshl_add_u32 v3, v5, 7, v28
	s_orn2_b64 s[10:11], vcc, exec
.LBB345_356:
	s_or_b64 exec, exec, s[8:9]
	s_and_b64 exec, exec, s[10:11]
	s_cbranch_execz .LBB345_359
; %bb.357:
	s_ashr_i32 s19, s18, 31
	s_lshl_b64 s[8:9], s[18:19], 2
	s_getpc_b64 s[10:11]
	s_add_u32 s10, s10, llvm.amdgcn.dynlds.offset.table@rel32@lo+4
	s_addc_u32 s11, s11, llvm.amdgcn.dynlds.offset.table@rel32@hi+12
	s_add_u32 s8, s8, s10
	s_addc_u32 s9, s9, s11
	s_load_dword s8, s[8:9], 0x0
	s_waitcnt lgkmcnt(0)
	v_lshl_add_u32 v4, v3, 2, s8
	s_mov_b64 s[8:9], 0
.LBB345_358:                            ; =>This Inner Loop Header: Depth=1
	ds_read_b32 v5, v4
	v_add_u32_e32 v3, 0x80, v3
	v_cmp_ge_i32_e32 vcc, v3, v1
	s_or_b64 s[8:9], vcc, s[8:9]
	s_waitcnt lgkmcnt(0)
	v_mul_f32_e32 v5, v8, v5
	ds_write_b32 v4, v5
	v_add_u32_e32 v4, 0x200, v4
	s_andn2_b64 exec, exec, s[8:9]
	s_cbranch_execnz .LBB345_358
.LBB345_359:
	s_or_b64 exec, exec, s[6:7]
	v_cmp_ne_u16_e64 s[6:7], s21, 0
	s_cmp_lg_u64 s[6:7], 0
	s_addc_u32 s21, s13, 0
	s_mul_i32 s6, s21, s22
	s_mov_b32 s8, 0
	v_cmp_eq_u32_e32 vcc, 0, v28
	s_mul_i32 s6, s6, s15
	s_waitcnt lgkmcnt(0)
	s_barrier
	s_and_saveexec_b64 s[10:11], vcc
	s_cbranch_execz .LBB345_361
; %bb.360:
	s_mul_i32 s12, s21, s12
	s_ashr_i32 s7, s6, 31
	s_ashr_i32 s13, s12, 31
	;; [unrolled: 1-line block ×3, first 2 shown]
	s_lshl_b64 s[24:25], s[6:7], 2
	s_lshl_b64 s[12:13], s[12:13], 2
	s_lshl_b64 s[26:27], s[14:15], 2
	s_add_u32 s7, s26, s12
	s_addc_u32 s9, s27, s13
	s_add_u32 s7, s7, s24
	s_addc_u32 s9, s9, s25
	v_mov_b32_e32 v1, s9
	v_add_co_u32_e32 v4, vcc, s7, v39
	v_addc_co_u32_e32 v5, vcc, v1, v36, vcc
	flat_store_dword v[4:5], v0
	v_add_co_u32_e32 v0, vcc, s7, v35
	v_addc_co_u32_e32 v1, vcc, v1, v34, vcc
	flat_store_dword v[0:1], v2
.LBB345_361:
	s_or_b64 exec, exec, s[10:11]
	s_mov_b32 s9, s8
	s_mov_b32 s10, s8
	;; [unrolled: 1-line block ×3, first 2 shown]
	v_pk_mov_b32 v[0:1], s[8:9], s[8:9] op_sel:[0,1]
	v_pk_mov_b32 v[2:3], s[10:11], s[10:11] op_sel:[0,1]
	s_and_saveexec_b64 s[8:9], s[4:5]
	s_cbranch_execz .LBB345_853
; %bb.362:
	flat_load_dword v24, v[26:27]
	s_ashr_i32 s19, s18, 31
	s_lshl_b64 s[4:5], s[18:19], 2
	v_add_co_u32_e32 v0, vcc, v10, v23
	s_getpc_b64 s[10:11]
	s_add_u32 s10, s10, llvm.amdgcn.dynlds.offset.table@rel32@lo+4
	s_addc_u32 s11, s11, llvm.amdgcn.dynlds.offset.table@rel32@hi+12
	v_addc_co_u32_e32 v1, vcc, v11, v49, vcc
	v_lshlrev_b32_e32 v2, 3, v21
	s_add_u32 s4, s4, s10
	v_add_co_u32_e32 v0, vcc, v0, v2
	s_addc_u32 s5, s5, s11
	v_addc_co_u32_e32 v1, vcc, 0, v1, vcc
	s_load_dword s4, s[4:5], 0x0
	v_add_u32_e32 v3, -1, v48
	v_accvgpr_write_b32 a9, v1
	v_accvgpr_write_b32 a6, v3
	;; [unrolled: 1-line block ×3, first 2 shown]
	v_lshlrev_b64 v[0:1], 2, v[16:17]
	v_accvgpr_read_b32 v2, a18
	v_accvgpr_read_b32 v3, a19
	v_add_co_u32_e32 v0, vcc, v2, v0
	v_addc_co_u32_e32 v1, vcc, v3, v1, vcc
	s_mov_b32 s10, -1
	v_add_co_u32_e32 v14, vcc, v14, v0
	v_accvgpr_read_b32 v0, a17
	v_accvgpr_write_b32 a2, v28
	v_accvgpr_write_b32 a1, v22
	;; [unrolled: 1-line block ×4, first 2 shown]
	s_mov_b32 s11, 0xffffff
	v_mov_b32_e32 v19, 0
	v_addc_co_u32_e32 v15, vcc, v15, v1, vcc
	v_add3_u32 v17, s23, v0, 7
	s_waitcnt lgkmcnt(0)
	v_lshl_add_u32 v26, v31, 5, s4
	s_mov_b64 s[12:13], 0
	s_mov_b32 s7, 0x7f800000
	s_movk_i32 s15, 0x7fff
	s_movk_i32 s19, 0x80
	;; [unrolled: 1-line block ×3, first 2 shown]
	v_bfrev_b32_e32 v27, 60
	v_mov_b32_e32 v0, 0
	v_mov_b32_e32 v1, 0
	v_mov_b32_e32 v2, 0
	v_mov_b32_e32 v3, 0
	s_branch .LBB345_364
.LBB345_363:                            ;   in Loop: Header=BB345_364 Depth=1
	s_or_b64 exec, exec, s[4:5]
	v_and_b32_e32 v29, 0xffff0000, v28
	v_and_b32_e32 v28, 0xffff0000, v12
	;; [unrolled: 1-line block ×8, first 2 shown]
	v_pk_add_f32 v[12:13], v[12:13], v[28:29]
	v_pk_add_f32 v[22:23], v[32:33], v[22:23]
	v_add_f32_e32 v11, v12, v13
	v_add_f32_e32 v11, v11, v22
	v_and_b32_e32 v29, 0xffff0000, v42
	v_and_b32_e32 v28, 0xffff0000, v40
	;; [unrolled: 1-line block ×4, first 2 shown]
	v_add_f32_e32 v11, v11, v23
	v_and_b32_e32 v13, 0xffff0000, v46
	v_and_b32_e32 v12, 0xffff0000, v44
	;; [unrolled: 1-line block ×4, first 2 shown]
	v_pk_add_f32 v[28:29], v[32:33], v[28:29]
	v_add_f32_e32 v0, v0, v11
	v_pk_add_f32 v[12:13], v[22:23], v[12:13]
	v_add_f32_e32 v11, v28, v29
	v_add_f32_e32 v11, v11, v12
	;; [unrolled: 1-line block ×4, first 2 shown]
	v_and_b32_e32 v11, 0xffff0000, v56
	v_and_b32_e32 v10, 0xffff0000, v10
	;; [unrolled: 1-line block ×8, first 2 shown]
	v_pk_add_f32 v[10:11], v[28:29], v[10:11]
	v_pk_add_f32 v[12:13], v[22:23], v[12:13]
	v_add_f32_e32 v9, v10, v11
	v_add_f32_e32 v9, v9, v12
	;; [unrolled: 1-line block ×3, first 2 shown]
	v_and_b32_e32 v13, 0xffff0000, v18
	v_and_b32_e32 v12, 0xffff0000, v5
	;; [unrolled: 1-line block ×4, first 2 shown]
	v_add_f32_e32 v2, v2, v9
	v_and_b32_e32 v11, 0xffff0000, v6
	v_and_b32_e32 v10, 0xffff0000, v21
	;; [unrolled: 1-line block ×4, first 2 shown]
	v_pk_add_f32 v[4:5], v[4:5], v[12:13]
	v_pk_add_f32 v[6:7], v[8:9], v[10:11]
	v_add_f32_e32 v4, v4, v5
	v_add_f32_e32 v4, v4, v6
	;; [unrolled: 1-line block ×3, first 2 shown]
	v_add_co_u32_e32 v14, vcc, 8, v14
	v_add_f32_e32 v3, v3, v4
	v_add_u32_e32 v16, 2, v16
	v_addc_co_u32_e32 v15, vcc, 0, v15, vcc
	v_accvgpr_read_b32 v4, a3
	v_cmp_ge_i32_e32 vcc, v16, v4
	v_add_u32_e32 v17, 16, v17
	s_or_b64 s[12:13], vcc, s[12:13]
	v_add_u32_e32 v26, 64, v26
	s_andn2_b64 exec, exec, s[12:13]
	s_cbranch_execz .LBB345_852
.LBB345_364:                            ; =>This Inner Loop Header: Depth=1
	flat_load_dword v4, v[14:15]
	ds_read2_b64 v[10:13], v26 offset1:1
	ds_read2_b64 v[6:9], v26 offset0:2 offset1:3
                                        ; implicit-def: $vgpr39
	s_waitcnt lgkmcnt(0)
	v_and_b32_e32 v5, 0x7f800000, v10
	v_cmp_ne_u32_e32 vcc, s7, v5
	s_and_saveexec_b64 s[4:5], vcc
	s_xor_b64 s[4:5], exec, s[4:5]
; %bb.365:                              ;   in Loop: Header=BB345_364 Depth=1
	v_bfe_u32 v5, v10, 16, 1
	v_add3_u32 v39, v10, v5, s15
; %bb.366:                              ;   in Loop: Header=BB345_364 Depth=1
	s_andn2_saveexec_b64 s[4:5], s[4:5]
; %bb.367:                              ;   in Loop: Header=BB345_364 Depth=1
	v_or_b32_e32 v5, 0x10000, v10
	v_cmp_eq_u32_sdwa vcc, v10, v19 src0_sel:WORD_0 src1_sel:DWORD
	v_cndmask_b32_e32 v39, v5, v10, vcc
; %bb.368:                              ;   in Loop: Header=BB345_364 Depth=1
	s_or_b64 exec, exec, s[4:5]
	v_and_b32_e32 v5, 0x7f800000, v11
	v_cmp_ne_u32_e32 vcc, s7, v5
                                        ; implicit-def: $vgpr48
	s_and_saveexec_b64 s[4:5], vcc
	s_xor_b64 s[4:5], exec, s[4:5]
; %bb.369:                              ;   in Loop: Header=BB345_364 Depth=1
	v_bfe_u32 v5, v11, 16, 1
	v_add3_u32 v48, v11, v5, s15
; %bb.370:                              ;   in Loop: Header=BB345_364 Depth=1
	s_andn2_saveexec_b64 s[4:5], s[4:5]
; %bb.371:                              ;   in Loop: Header=BB345_364 Depth=1
	v_or_b32_e32 v5, 0x10000, v11
	v_cmp_eq_u32_sdwa vcc, v11, v19 src0_sel:WORD_0 src1_sel:DWORD
	v_cndmask_b32_e32 v48, v5, v11, vcc
; %bb.372:                              ;   in Loop: Header=BB345_364 Depth=1
	s_or_b64 exec, exec, s[4:5]
	v_and_b32_e32 v5, 0x7f800000, v12
	v_cmp_ne_u32_e32 vcc, s7, v5
                                        ; implicit-def: $vgpr49
	s_and_saveexec_b64 s[4:5], vcc
	s_xor_b64 s[4:5], exec, s[4:5]
; %bb.373:                              ;   in Loop: Header=BB345_364 Depth=1
	v_bfe_u32 v5, v12, 16, 1
	v_add3_u32 v49, v12, v5, s15
; %bb.374:                              ;   in Loop: Header=BB345_364 Depth=1
	s_andn2_saveexec_b64 s[4:5], s[4:5]
; %bb.375:                              ;   in Loop: Header=BB345_364 Depth=1
	v_or_b32_e32 v5, 0x10000, v12
	v_cmp_eq_u32_sdwa vcc, v12, v19 src0_sel:WORD_0 src1_sel:DWORD
	v_cndmask_b32_e32 v49, v5, v12, vcc
; %bb.376:                              ;   in Loop: Header=BB345_364 Depth=1
	s_or_b64 exec, exec, s[4:5]
	v_and_b32_e32 v5, 0x7f800000, v13
	v_cmp_ne_u32_e32 vcc, s7, v5
                                        ; implicit-def: $vgpr28
	s_and_saveexec_b64 s[4:5], vcc
	s_xor_b64 s[4:5], exec, s[4:5]
; %bb.377:                              ;   in Loop: Header=BB345_364 Depth=1
	v_bfe_u32 v5, v13, 16, 1
	v_add3_u32 v28, v13, v5, s15
                                        ; implicit-def: $vgpr10_vgpr11_vgpr12_vgpr13
; %bb.378:                              ;   in Loop: Header=BB345_364 Depth=1
	s_andn2_saveexec_b64 s[4:5], s[4:5]
; %bb.379:                              ;   in Loop: Header=BB345_364 Depth=1
	v_or_b32_e32 v5, 0x10000, v13
	v_cmp_eq_u32_sdwa vcc, v13, v19 src0_sel:WORD_0 src1_sel:DWORD
	v_cndmask_b32_e32 v28, v5, v13, vcc
; %bb.380:                              ;   in Loop: Header=BB345_364 Depth=1
	s_or_b64 exec, exec, s[4:5]
	v_and_b32_e32 v5, 0x7f800000, v6
	v_cmp_ne_u32_e32 vcc, s7, v5
                                        ; implicit-def: $vgpr32
	s_and_saveexec_b64 s[4:5], vcc
	s_xor_b64 s[4:5], exec, s[4:5]
; %bb.381:                              ;   in Loop: Header=BB345_364 Depth=1
	v_bfe_u32 v5, v6, 16, 1
	v_add3_u32 v32, v6, v5, s15
; %bb.382:                              ;   in Loop: Header=BB345_364 Depth=1
	s_andn2_saveexec_b64 s[4:5], s[4:5]
; %bb.383:                              ;   in Loop: Header=BB345_364 Depth=1
	v_or_b32_e32 v5, 0x10000, v6
	v_cmp_eq_u32_sdwa vcc, v6, v19 src0_sel:WORD_0 src1_sel:DWORD
	v_cndmask_b32_e32 v32, v5, v6, vcc
; %bb.384:                              ;   in Loop: Header=BB345_364 Depth=1
	s_or_b64 exec, exec, s[4:5]
	v_and_b32_e32 v5, 0x7f800000, v7
	v_cmp_ne_u32_e32 vcc, s7, v5
                                        ; implicit-def: $vgpr33
	s_and_saveexec_b64 s[4:5], vcc
	s_xor_b64 s[4:5], exec, s[4:5]
; %bb.385:                              ;   in Loop: Header=BB345_364 Depth=1
	v_bfe_u32 v5, v7, 16, 1
	v_add3_u32 v33, v7, v5, s15
; %bb.386:                              ;   in Loop: Header=BB345_364 Depth=1
	s_andn2_saveexec_b64 s[4:5], s[4:5]
; %bb.387:                              ;   in Loop: Header=BB345_364 Depth=1
	v_or_b32_e32 v5, 0x10000, v7
	v_cmp_eq_u32_sdwa vcc, v7, v19 src0_sel:WORD_0 src1_sel:DWORD
	v_cndmask_b32_e32 v33, v5, v7, vcc
; %bb.388:                              ;   in Loop: Header=BB345_364 Depth=1
	s_or_b64 exec, exec, s[4:5]
	v_and_b32_e32 v5, 0x7f800000, v8
	v_cmp_ne_u32_e32 vcc, s7, v5
                                        ; implicit-def: $vgpr34
	s_and_saveexec_b64 s[4:5], vcc
	s_xor_b64 s[4:5], exec, s[4:5]
; %bb.389:                              ;   in Loop: Header=BB345_364 Depth=1
	v_bfe_u32 v5, v8, 16, 1
	v_add3_u32 v34, v8, v5, s15
; %bb.390:                              ;   in Loop: Header=BB345_364 Depth=1
	s_andn2_saveexec_b64 s[4:5], s[4:5]
; %bb.391:                              ;   in Loop: Header=BB345_364 Depth=1
	v_or_b32_e32 v5, 0x10000, v8
	v_cmp_eq_u32_sdwa vcc, v8, v19 src0_sel:WORD_0 src1_sel:DWORD
	v_cndmask_b32_e32 v34, v5, v8, vcc
; %bb.392:                              ;   in Loop: Header=BB345_364 Depth=1
	s_or_b64 exec, exec, s[4:5]
	v_and_b32_e32 v5, 0x7f800000, v9
	v_cmp_ne_u32_e32 vcc, s7, v5
                                        ; implicit-def: $vgpr38
	s_and_saveexec_b64 s[4:5], vcc
	s_xor_b64 s[4:5], exec, s[4:5]
; %bb.393:                              ;   in Loop: Header=BB345_364 Depth=1
	v_bfe_u32 v5, v9, 16, 1
	v_add3_u32 v38, v9, v5, s15
                                        ; implicit-def: $vgpr6_vgpr7_vgpr8_vgpr9
; %bb.394:                              ;   in Loop: Header=BB345_364 Depth=1
	s_andn2_saveexec_b64 s[4:5], s[4:5]
; %bb.395:                              ;   in Loop: Header=BB345_364 Depth=1
	v_or_b32_e32 v5, 0x10000, v9
	v_cmp_eq_u32_sdwa vcc, v9, v19 src0_sel:WORD_0 src1_sel:DWORD
	v_cndmask_b32_e32 v38, v5, v9, vcc
; %bb.396:                              ;   in Loop: Header=BB345_364 Depth=1
	s_or_b64 exec, exec, s[4:5]
	v_accvgpr_read_b32 v8, a8
	v_accvgpr_read_b32 v6, a4
	;; [unrolled: 1-line block ×3, first 2 shown]
	s_waitcnt vmcnt(0)
	v_mad_i64_i32 v[6:7], s[4:5], v4, v6, v[8:9]
	flat_load_dwordx2 v[8:9], v[6:7]
	v_mov_b32_e32 v4, 0
	s_waitcnt vmcnt(0) lgkmcnt(0)
	v_cmp_ne_u16_sdwa s[22:23], v8, v19 src0_sel:BYTE_0 src1_sel:DWORD
	s_and_saveexec_b64 s[4:5], s[22:23]
	s_cbranch_execz .LBB345_402
; %bb.397:                              ;   in Loop: Header=BB345_364 Depth=1
	v_cmp_ne_u16_sdwa s[24:25], v8, s19 src0_sel:BYTE_0 src1_sel:DWORD
	v_bfrev_b32_e32 v4, 1
	s_and_saveexec_b64 s[22:23], s[24:25]
	s_cbranch_execz .LBB345_401
; %bb.398:                              ;   in Loop: Header=BB345_364 Depth=1
	v_and_b32_e32 v5, 0x7f, v8
	v_cmp_ne_u32_e32 vcc, s28, v5
	v_mov_b32_e32 v4, 0x7f800001
	s_and_saveexec_b64 s[24:25], vcc
	s_cbranch_execz .LBB345_400
; %bb.399:                              ;   in Loop: Header=BB345_364 Depth=1
	v_and_b32_e32 v4, 7, v8
	v_ffbh_u32_e32 v4, v4
	v_min_u32_e32 v4, 32, v4
	v_lshrrev_b32_e32 v10, 3, v5
	v_subrev_u32_e32 v11, 28, v4
	v_sub_u32_e32 v4, 29, v4
	v_cmp_gt_u32_e32 vcc, 8, v5
	v_cndmask_b32_e32 v10, v10, v4, vcc
	v_cndmask_b32_e32 v4, 0, v11, vcc
	v_lshlrev_b64 v[4:5], v4, v[8:9]
	v_lshlrev_b32_e32 v4, 20, v4
	v_lshlrev_b32_e32 v5, 24, v8
	v_and_b32_e32 v4, 0x700000, v4
	v_and_b32_e32 v5, 0x80000000, v5
	v_lshl_add_u32 v10, v10, 23, v27
	v_or3_b32 v4, v5, v10, v4
.LBB345_400:                            ;   in Loop: Header=BB345_364 Depth=1
	s_or_b64 exec, exec, s[24:25]
.LBB345_401:                            ;   in Loop: Header=BB345_364 Depth=1
	s_or_b64 exec, exec, s[22:23]
.LBB345_402:                            ;   in Loop: Header=BB345_364 Depth=1
	s_or_b64 exec, exec, s[4:5]
	v_mul_f32_e32 v4, v24, v4
	v_and_b32_e32 v5, 0x7f800000, v4
	v_cmp_ne_u32_e32 vcc, s7, v5
                                        ; implicit-def: $vgpr5
	s_and_saveexec_b64 s[4:5], vcc
	s_xor_b64 s[4:5], exec, s[4:5]
; %bb.403:                              ;   in Loop: Header=BB345_364 Depth=1
	v_bfe_u32 v5, v4, 16, 1
	v_add3_u32 v5, v4, v5, s15
                                        ; implicit-def: $vgpr4
; %bb.404:                              ;   in Loop: Header=BB345_364 Depth=1
	s_andn2_saveexec_b64 s[4:5], s[4:5]
; %bb.405:                              ;   in Loop: Header=BB345_364 Depth=1
	v_or_b32_e32 v5, 0x10000, v4
	v_cmp_eq_u32_sdwa vcc, v4, v19 src0_sel:WORD_0 src1_sel:DWORD
	v_cndmask_b32_e32 v5, v5, v4, vcc
; %bb.406:                              ;   in Loop: Header=BB345_364 Depth=1
	s_or_b64 exec, exec, s[4:5]
	v_lshrrev_b16_e32 v10, 8, v8
	v_cmp_ne_u16_e32 vcc, 0, v10
	v_mov_b32_e32 v4, 0
	s_and_saveexec_b64 s[4:5], vcc
	s_cbranch_execz .LBB345_412
; %bb.407:                              ;   in Loop: Header=BB345_364 Depth=1
	v_cmp_ne_u16_e32 vcc, s19, v10
	v_bfrev_b32_e32 v4, 1
	s_and_saveexec_b64 s[22:23], vcc
	s_cbranch_execz .LBB345_411
; %bb.408:                              ;   in Loop: Header=BB345_364 Depth=1
	v_and_b32_e32 v11, 0x7f, v10
	v_cmp_ne_u32_e32 vcc, s28, v11
	v_mov_b32_e32 v4, 0x7f800001
	s_and_saveexec_b64 s[24:25], vcc
	s_cbranch_execz .LBB345_410
; %bb.409:                              ;   in Loop: Header=BB345_364 Depth=1
	v_and_b32_e32 v4, 7, v10
	v_ffbh_u32_e32 v12, v4
	v_min_u32_e32 v20, 32, v12
	v_subrev_u32_e32 v12, 28, v20
	v_lshlrev_b64 v[12:13], v12, v[10:11]
	v_lshrrev_b32_e32 v18, 3, v11
	v_sub_u32_e32 v10, 29, v20
	v_and_b32_e32 v12, 7, v12
	v_cmp_gt_u32_e32 vcc, 8, v11
	v_cndmask_b32_e32 v10, v18, v10, vcc
	v_cndmask_b32_e32 v4, v4, v12, vcc
	v_lshlrev_b32_e32 v11, 16, v8
	v_lshlrev_b32_e32 v4, 20, v4
	v_and_b32_e32 v11, 0x80000000, v11
	v_lshl_add_u32 v10, v10, 23, v27
	v_or3_b32 v4, v11, v10, v4
.LBB345_410:                            ;   in Loop: Header=BB345_364 Depth=1
	s_or_b64 exec, exec, s[24:25]
.LBB345_411:                            ;   in Loop: Header=BB345_364 Depth=1
	s_or_b64 exec, exec, s[22:23]
.LBB345_412:                            ;   in Loop: Header=BB345_364 Depth=1
	s_or_b64 exec, exec, s[4:5]
	v_mul_f32_e32 v4, v24, v4
	v_and_b32_e32 v10, 0x7f800000, v4
	v_cmp_ne_u32_e32 vcc, s7, v10
                                        ; implicit-def: $vgpr11
	s_and_saveexec_b64 s[4:5], vcc
	s_xor_b64 s[4:5], exec, s[4:5]
; %bb.413:                              ;   in Loop: Header=BB345_364 Depth=1
	v_bfe_u32 v10, v4, 16, 1
	v_add3_u32 v11, v4, v10, s15
                                        ; implicit-def: $vgpr4
; %bb.414:                              ;   in Loop: Header=BB345_364 Depth=1
	s_andn2_saveexec_b64 s[4:5], s[4:5]
; %bb.415:                              ;   in Loop: Header=BB345_364 Depth=1
	v_or_b32_e32 v10, 0x10000, v4
	v_cmp_eq_u32_sdwa vcc, v4, v19 src0_sel:WORD_0 src1_sel:DWORD
	v_cndmask_b32_e32 v11, v10, v4, vcc
; %bb.416:                              ;   in Loop: Header=BB345_364 Depth=1
	s_or_b64 exec, exec, s[4:5]
	v_lshrrev_b32_e32 v10, 16, v8
	v_cmp_ne_u16_sdwa s[22:23], v10, v19 src0_sel:BYTE_0 src1_sel:DWORD
	v_mov_b32_e32 v4, 0
	s_and_saveexec_b64 s[4:5], s[22:23]
	s_cbranch_execz .LBB345_422
; %bb.417:                              ;   in Loop: Header=BB345_364 Depth=1
	v_cmp_ne_u16_sdwa s[24:25], v10, s19 src0_sel:BYTE_0 src1_sel:DWORD
	v_bfrev_b32_e32 v4, 1
	s_and_saveexec_b64 s[22:23], s[24:25]
	s_cbranch_execz .LBB345_421
; %bb.418:                              ;   in Loop: Header=BB345_364 Depth=1
	v_bfe_u32 v12, v8, 16, 7
	v_cmp_ne_u32_e32 vcc, s28, v12
	v_mov_b32_e32 v4, 0x7f800001
	s_and_saveexec_b64 s[24:25], vcc
	s_cbranch_execz .LBB345_420
; %bb.419:                              ;   in Loop: Header=BB345_364 Depth=1
	v_and_b32_e32 v4, 7, v10
	v_ffbh_u32_e32 v18, v4
	v_min_u32_e32 v18, 32, v18
	v_subrev_u32_e32 v20, 28, v18
	v_lshlrev_b64 v[20:21], v20, v[10:11]
	v_lshrrev_b32_e32 v13, 3, v12
	v_sub_u32_e32 v18, 29, v18
	v_and_b32_e32 v20, 7, v20
	v_cmp_gt_u32_e32 vcc, 8, v12
	v_cndmask_b32_e32 v12, v13, v18, vcc
	v_cndmask_b32_e32 v4, v4, v20, vcc
	v_lshlrev_b32_e32 v10, 24, v10
	v_lshlrev_b32_e32 v4, 20, v4
	v_and_b32_e32 v10, 0x80000000, v10
	v_lshl_add_u32 v12, v12, 23, v27
	v_or3_b32 v4, v10, v12, v4
.LBB345_420:                            ;   in Loop: Header=BB345_364 Depth=1
	s_or_b64 exec, exec, s[24:25]
.LBB345_421:                            ;   in Loop: Header=BB345_364 Depth=1
	s_or_b64 exec, exec, s[22:23]
.LBB345_422:                            ;   in Loop: Header=BB345_364 Depth=1
	s_or_b64 exec, exec, s[4:5]
	v_mul_f32_e32 v4, v24, v4
	v_and_b32_e32 v10, 0x7f800000, v4
	v_cmp_ne_u32_e32 vcc, s7, v10
                                        ; implicit-def: $vgpr12
	s_and_saveexec_b64 s[4:5], vcc
	s_xor_b64 s[4:5], exec, s[4:5]
; %bb.423:                              ;   in Loop: Header=BB345_364 Depth=1
	v_bfe_u32 v10, v4, 16, 1
	v_add3_u32 v12, v4, v10, s15
                                        ; implicit-def: $vgpr4
; %bb.424:                              ;   in Loop: Header=BB345_364 Depth=1
	s_andn2_saveexec_b64 s[4:5], s[4:5]
; %bb.425:                              ;   in Loop: Header=BB345_364 Depth=1
	v_or_b32_e32 v10, 0x10000, v4
	v_cmp_eq_u32_sdwa vcc, v4, v19 src0_sel:WORD_0 src1_sel:DWORD
	v_cndmask_b32_e32 v12, v10, v4, vcc
; %bb.426:                              ;   in Loop: Header=BB345_364 Depth=1
	s_or_b64 exec, exec, s[4:5]
	v_cmp_lt_u32_e32 vcc, s11, v8
	v_mov_b32_e32 v4, 0
	s_and_saveexec_b64 s[4:5], vcc
	s_cbranch_execz .LBB345_432
; %bb.427:                              ;   in Loop: Header=BB345_364 Depth=1
	v_lshrrev_b32_e32 v10, 24, v8
	v_cmp_ne_u32_e32 vcc, s19, v10
	v_bfrev_b32_e32 v4, 1
	s_and_saveexec_b64 s[22:23], vcc
	s_cbranch_execz .LBB345_431
; %bb.428:                              ;   in Loop: Header=BB345_364 Depth=1
	v_bfe_u32 v13, v8, 24, 7
	v_cmp_ne_u32_e32 vcc, s28, v13
	v_mov_b32_e32 v4, 0x7f800001
	s_and_saveexec_b64 s[24:25], vcc
	s_cbranch_execz .LBB345_430
; %bb.429:                              ;   in Loop: Header=BB345_364 Depth=1
	v_and_b32_e32 v4, 7, v10
	v_ffbh_u32_e32 v20, v4
	v_min_u32_e32 v22, 32, v20
	v_subrev_u32_e32 v20, 28, v22
	v_lshlrev_b64 v[20:21], v20, v[10:11]
	v_lshrrev_b32_e32 v18, 3, v13
	v_sub_u32_e32 v21, 29, v22
	v_and_b32_e32 v20, 7, v20
	v_cmp_gt_u32_e32 vcc, 8, v13
	v_cndmask_b32_e32 v13, v18, v21, vcc
	v_cndmask_b32_e32 v4, v4, v20, vcc
	v_lshlrev_b32_e32 v10, 24, v10
	v_lshlrev_b32_e32 v4, 20, v4
	v_and_b32_e32 v10, 0x80000000, v10
	v_lshl_add_u32 v13, v13, 23, v27
	v_or3_b32 v4, v10, v13, v4
.LBB345_430:                            ;   in Loop: Header=BB345_364 Depth=1
	s_or_b64 exec, exec, s[24:25]
.LBB345_431:                            ;   in Loop: Header=BB345_364 Depth=1
	s_or_b64 exec, exec, s[22:23]
.LBB345_432:                            ;   in Loop: Header=BB345_364 Depth=1
	s_or_b64 exec, exec, s[4:5]
	v_mul_f32_e32 v4, v24, v4
	v_and_b32_e32 v10, 0x7f800000, v4
	v_cmp_ne_u32_e32 vcc, s7, v10
                                        ; implicit-def: $vgpr13
	s_and_saveexec_b64 s[4:5], vcc
	s_xor_b64 s[4:5], exec, s[4:5]
; %bb.433:                              ;   in Loop: Header=BB345_364 Depth=1
	v_bfe_u32 v10, v4, 16, 1
	v_add3_u32 v13, v4, v10, s15
                                        ; implicit-def: $vgpr4
; %bb.434:                              ;   in Loop: Header=BB345_364 Depth=1
	s_andn2_saveexec_b64 s[4:5], s[4:5]
; %bb.435:                              ;   in Loop: Header=BB345_364 Depth=1
	v_or_b32_e32 v10, 0x10000, v4
	v_cmp_eq_u32_sdwa vcc, v4, v19 src0_sel:WORD_0 src1_sel:DWORD
	v_cndmask_b32_e32 v13, v10, v4, vcc
; %bb.436:                              ;   in Loop: Header=BB345_364 Depth=1
	s_or_b64 exec, exec, s[4:5]
	v_mov_b32_e32 v18, v9
	v_cmp_ne_u16_sdwa s[22:23], v9, v19 src0_sel:BYTE_0 src1_sel:DWORD
	v_mov_b32_e32 v4, 0
	s_and_saveexec_b64 s[4:5], s[22:23]
	s_cbranch_execz .LBB345_442
; %bb.437:                              ;   in Loop: Header=BB345_364 Depth=1
	v_cmp_ne_u16_sdwa s[24:25], v9, s19 src0_sel:BYTE_0 src1_sel:DWORD
	v_bfrev_b32_e32 v4, 1
	s_and_saveexec_b64 s[22:23], s[24:25]
	s_cbranch_execz .LBB345_441
; %bb.438:                              ;   in Loop: Header=BB345_364 Depth=1
	v_and_b32_e32 v10, 0x7f, v9
	v_cmp_ne_u32_e32 vcc, s28, v10
	v_mov_b32_e32 v4, 0x7f800001
	s_and_saveexec_b64 s[24:25], vcc
	s_cbranch_execz .LBB345_440
; %bb.439:                              ;   in Loop: Header=BB345_364 Depth=1
	v_and_b32_e32 v4, 7, v9
	v_ffbh_u32_e32 v4, v4
	v_min_u32_e32 v4, 32, v4
	v_subrev_u32_e32 v21, 28, v4
	v_cmp_gt_u32_e32 vcc, 8, v10
	v_lshrrev_b32_e32 v20, 3, v10
	v_sub_u32_e32 v4, 29, v4
	v_cndmask_b32_e32 v10, 0, v21, vcc
	v_cndmask_b32_e32 v4, v20, v4, vcc
	v_lshlrev_b64 v[20:21], v10, v[18:19]
	v_lshlrev_b32_e32 v10, 20, v20
	v_lshlrev_b32_e32 v20, 24, v18
	v_and_b32_e32 v10, 0x700000, v10
	v_and_b32_e32 v20, 0x80000000, v20
	v_lshl_add_u32 v4, v4, 23, v27
	v_or3_b32 v4, v20, v4, v10
.LBB345_440:                            ;   in Loop: Header=BB345_364 Depth=1
	s_or_b64 exec, exec, s[24:25]
.LBB345_441:                            ;   in Loop: Header=BB345_364 Depth=1
	s_or_b64 exec, exec, s[22:23]
.LBB345_442:                            ;   in Loop: Header=BB345_364 Depth=1
	s_or_b64 exec, exec, s[4:5]
	v_mul_f32_e32 v4, v24, v4
	v_and_b32_e32 v10, 0x7f800000, v4
	v_cmp_ne_u32_e32 vcc, s7, v10
                                        ; implicit-def: $vgpr23
	s_and_saveexec_b64 s[4:5], vcc
	s_xor_b64 s[4:5], exec, s[4:5]
; %bb.443:                              ;   in Loop: Header=BB345_364 Depth=1
	v_bfe_u32 v10, v4, 16, 1
	v_add3_u32 v23, v4, v10, s15
                                        ; implicit-def: $vgpr4
; %bb.444:                              ;   in Loop: Header=BB345_364 Depth=1
	s_andn2_saveexec_b64 s[4:5], s[4:5]
; %bb.445:                              ;   in Loop: Header=BB345_364 Depth=1
	v_or_b32_e32 v10, 0x10000, v4
	v_cmp_eq_u32_sdwa vcc, v4, v19 src0_sel:WORD_0 src1_sel:DWORD
	v_cndmask_b32_e32 v23, v10, v4, vcc
; %bb.446:                              ;   in Loop: Header=BB345_364 Depth=1
	s_or_b64 exec, exec, s[4:5]
	v_lshrrev_b16_e32 v10, 8, v18
	v_cmp_ne_u16_e32 vcc, 0, v10
	v_mov_b32_e32 v4, 0
	s_and_saveexec_b64 s[4:5], vcc
	s_cbranch_execz .LBB345_452
; %bb.447:                              ;   in Loop: Header=BB345_364 Depth=1
	v_cmp_ne_u16_e32 vcc, s19, v10
	v_bfrev_b32_e32 v4, 1
	s_and_saveexec_b64 s[22:23], vcc
	s_cbranch_execz .LBB345_451
; %bb.448:                              ;   in Loop: Header=BB345_364 Depth=1
	v_and_b32_e32 v20, 0x7f, v10
	v_cmp_ne_u32_e32 vcc, s28, v20
	v_mov_b32_e32 v4, 0x7f800001
	s_and_saveexec_b64 s[24:25], vcc
	s_cbranch_execz .LBB345_450
; %bb.449:                              ;   in Loop: Header=BB345_364 Depth=1
	v_and_b32_e32 v4, 7, v10
	v_ffbh_u32_e32 v22, v4
	v_min_u32_e32 v22, 32, v22
	v_subrev_u32_e32 v25, 28, v22
	v_lshlrev_b64 v[36:37], v25, v[10:11]
	v_lshrrev_b32_e32 v21, 3, v20
	v_sub_u32_e32 v10, 29, v22
	v_and_b32_e32 v22, 7, v36
	v_cmp_gt_u32_e32 vcc, 8, v20
	v_cndmask_b32_e32 v10, v21, v10, vcc
	v_cndmask_b32_e32 v4, v4, v22, vcc
	v_lshlrev_b32_e32 v18, 16, v18
	v_lshlrev_b32_e32 v4, 20, v4
	v_and_b32_e32 v18, 0x80000000, v18
	v_lshl_add_u32 v10, v10, 23, v27
	v_or3_b32 v4, v18, v10, v4
.LBB345_450:                            ;   in Loop: Header=BB345_364 Depth=1
	s_or_b64 exec, exec, s[24:25]
.LBB345_451:                            ;   in Loop: Header=BB345_364 Depth=1
	s_or_b64 exec, exec, s[22:23]
.LBB345_452:                            ;   in Loop: Header=BB345_364 Depth=1
	s_or_b64 exec, exec, s[4:5]
	v_mul_f32_e32 v4, v24, v4
	v_and_b32_e32 v10, 0x7f800000, v4
	v_cmp_ne_u32_e32 vcc, s7, v10
                                        ; implicit-def: $vgpr18
	s_and_saveexec_b64 s[4:5], vcc
	s_xor_b64 s[4:5], exec, s[4:5]
; %bb.453:                              ;   in Loop: Header=BB345_364 Depth=1
	v_bfe_u32 v10, v4, 16, 1
	v_add3_u32 v18, v4, v10, s15
                                        ; implicit-def: $vgpr4
; %bb.454:                              ;   in Loop: Header=BB345_364 Depth=1
	s_andn2_saveexec_b64 s[4:5], s[4:5]
; %bb.455:                              ;   in Loop: Header=BB345_364 Depth=1
	v_or_b32_e32 v10, 0x10000, v4
	v_cmp_eq_u32_sdwa vcc, v4, v19 src0_sel:WORD_0 src1_sel:DWORD
	v_cndmask_b32_e32 v18, v10, v4, vcc
; %bb.456:                              ;   in Loop: Header=BB345_364 Depth=1
	s_or_b64 exec, exec, s[4:5]
	v_lshrrev_b32_e32 v10, 16, v9
	v_cmp_ne_u16_sdwa s[22:23], v10, v19 src0_sel:BYTE_0 src1_sel:DWORD
	v_mov_b32_e32 v4, 0
	s_and_saveexec_b64 s[4:5], s[22:23]
	s_cbranch_execz .LBB345_462
; %bb.457:                              ;   in Loop: Header=BB345_364 Depth=1
	v_cmp_ne_u16_sdwa s[24:25], v10, s19 src0_sel:BYTE_0 src1_sel:DWORD
	v_bfrev_b32_e32 v4, 1
	s_and_saveexec_b64 s[22:23], s[24:25]
	s_cbranch_execz .LBB345_461
; %bb.458:                              ;   in Loop: Header=BB345_364 Depth=1
	v_bfe_u32 v20, v9, 16, 7
	v_cmp_ne_u32_e32 vcc, s28, v20
	v_mov_b32_e32 v4, 0x7f800001
	s_and_saveexec_b64 s[24:25], vcc
	s_cbranch_execz .LBB345_460
; %bb.459:                              ;   in Loop: Header=BB345_364 Depth=1
	v_and_b32_e32 v4, 7, v10
	v_ffbh_u32_e32 v22, v4
	v_min_u32_e32 v22, 32, v22
	v_subrev_u32_e32 v25, 28, v22
	v_lshlrev_b64 v[36:37], v25, v[10:11]
	v_lshrrev_b32_e32 v21, 3, v20
	v_sub_u32_e32 v22, 29, v22
	v_and_b32_e32 v25, 7, v36
	v_cmp_gt_u32_e32 vcc, 8, v20
	v_cndmask_b32_e32 v20, v21, v22, vcc
	v_cndmask_b32_e32 v4, v4, v25, vcc
	v_lshlrev_b32_e32 v10, 24, v10
	v_lshlrev_b32_e32 v4, 20, v4
	v_and_b32_e32 v10, 0x80000000, v10
	v_lshl_add_u32 v20, v20, 23, v27
	v_or3_b32 v4, v10, v20, v4
.LBB345_460:                            ;   in Loop: Header=BB345_364 Depth=1
	s_or_b64 exec, exec, s[24:25]
.LBB345_461:                            ;   in Loop: Header=BB345_364 Depth=1
	s_or_b64 exec, exec, s[22:23]
.LBB345_462:                            ;   in Loop: Header=BB345_364 Depth=1
	s_or_b64 exec, exec, s[4:5]
	v_mul_f32_e32 v4, v24, v4
	v_and_b32_e32 v10, 0x7f800000, v4
	v_cmp_ne_u32_e32 vcc, s7, v10
                                        ; implicit-def: $vgpr21
	s_and_saveexec_b64 s[4:5], vcc
	s_xor_b64 s[4:5], exec, s[4:5]
; %bb.463:                              ;   in Loop: Header=BB345_364 Depth=1
	v_bfe_u32 v10, v4, 16, 1
	v_add3_u32 v21, v4, v10, s15
                                        ; implicit-def: $vgpr4
; %bb.464:                              ;   in Loop: Header=BB345_364 Depth=1
	s_andn2_saveexec_b64 s[4:5], s[4:5]
; %bb.465:                              ;   in Loop: Header=BB345_364 Depth=1
	v_or_b32_e32 v10, 0x10000, v4
	v_cmp_eq_u32_sdwa vcc, v4, v19 src0_sel:WORD_0 src1_sel:DWORD
	v_cndmask_b32_e32 v21, v10, v4, vcc
; %bb.466:                              ;   in Loop: Header=BB345_364 Depth=1
	s_or_b64 exec, exec, s[4:5]
	v_cmp_lt_u64_e32 vcc, s[10:11], v[8:9]
	v_mov_b32_e32 v4, 0
	s_and_saveexec_b64 s[4:5], vcc
	s_cbranch_execz .LBB345_472
; %bb.467:                              ;   in Loop: Header=BB345_364 Depth=1
	v_lshrrev_b32_e32 v8, 24, v9
	v_cmp_ne_u32_e32 vcc, s19, v8
	v_bfrev_b32_e32 v4, 1
	s_and_saveexec_b64 s[22:23], vcc
	s_cbranch_execz .LBB345_471
; %bb.468:                              ;   in Loop: Header=BB345_364 Depth=1
	v_bfe_u32 v9, v9, 24, 7
	v_cmp_ne_u32_e32 vcc, s28, v9
	v_mov_b32_e32 v4, 0x7f800001
	s_and_saveexec_b64 s[24:25], vcc
	s_cbranch_execz .LBB345_470
; %bb.469:                              ;   in Loop: Header=BB345_364 Depth=1
	v_and_b32_e32 v4, 7, v8
	v_ffbh_u32_e32 v20, v4
	v_min_u32_e32 v20, 32, v20
	v_subrev_u32_e32 v22, 28, v20
	v_lshlrev_b64 v[36:37], v22, v[8:9]
	v_lshrrev_b32_e32 v10, 3, v9
	v_sub_u32_e32 v20, 29, v20
	v_and_b32_e32 v22, 7, v36
	v_cmp_gt_u32_e32 vcc, 8, v9
	v_cndmask_b32_e32 v9, v10, v20, vcc
	v_cndmask_b32_e32 v4, v4, v22, vcc
	v_lshlrev_b32_e32 v8, 24, v8
	v_lshlrev_b32_e32 v4, 20, v4
	v_and_b32_e32 v8, 0x80000000, v8
	v_lshl_add_u32 v9, v9, 23, v27
	v_or3_b32 v4, v8, v9, v4
.LBB345_470:                            ;   in Loop: Header=BB345_364 Depth=1
	s_or_b64 exec, exec, s[24:25]
.LBB345_471:                            ;   in Loop: Header=BB345_364 Depth=1
	s_or_b64 exec, exec, s[22:23]
.LBB345_472:                            ;   in Loop: Header=BB345_364 Depth=1
	s_or_b64 exec, exec, s[4:5]
	v_mul_f32_e32 v4, v24, v4
	v_and_b32_e32 v8, 0x7f800000, v4
	v_cmp_ne_u32_e32 vcc, s7, v8
                                        ; implicit-def: $vgpr8
	s_and_saveexec_b64 s[4:5], vcc
	s_xor_b64 s[4:5], exec, s[4:5]
; %bb.473:                              ;   in Loop: Header=BB345_364 Depth=1
	v_bfe_u32 v8, v4, 16, 1
	v_add3_u32 v8, v4, v8, s15
                                        ; implicit-def: $vgpr4
; %bb.474:                              ;   in Loop: Header=BB345_364 Depth=1
	s_andn2_saveexec_b64 s[4:5], s[4:5]
; %bb.475:                              ;   in Loop: Header=BB345_364 Depth=1
	v_or_b32_e32 v8, 0x10000, v4
	v_cmp_eq_u32_sdwa vcc, v4, v19 src0_sel:WORD_0 src1_sel:DWORD
	v_cndmask_b32_e32 v8, v8, v4, vcc
; %bb.476:                              ;   in Loop: Header=BB345_364 Depth=1
	s_or_b64 exec, exec, s[4:5]
	v_accvgpr_read_b32 v4, a6
	v_cmp_eq_u32_e32 vcc, v4, v16
	v_add_u32_e32 v4, -2, v17
	v_accvgpr_write_b32 a11, v4
	v_add_u32_e32 v4, -1, v17
	v_add_u32_e32 v29, -7, v17
	v_lshrrev_b32_e32 v10, 16, v18
	v_lshrrev_b32_e32 v18, 16, v23
	;; [unrolled: 1-line block ×8, first 2 shown]
	v_add_u32_e32 v37, -6, v17
	v_add_u32_e32 v36, -5, v17
	;; [unrolled: 1-line block ×4, first 2 shown]
	v_accvgpr_write_b32 a10, v4
	s_and_saveexec_b64 s[22:23], vcc
	s_cbranch_execz .LBB345_478
; %bb.477:                              ;   in Loop: Header=BB345_364 Depth=1
	v_cmp_lt_i32_e64 s[4:5], v29, v30
	v_cndmask_b32_e64 v11, 0, v11, s[4:5]
	v_cmp_lt_i32_e64 s[4:5], v37, v30
	v_cndmask_b32_e64 v12, 0, v12, s[4:5]
	;; [unrolled: 2-line block ×4, first 2 shown]
	v_cmp_lt_i32_e64 s[4:5], v35, v30
	v_accvgpr_read_b32 v4, a11
	v_cndmask_b32_e64 v18, 0, v18, s[4:5]
	v_cmp_lt_i32_e64 s[4:5], v4, v30
	v_accvgpr_read_b32 v4, a10
	v_cndmask_b32_e64 v10, 0, v10, s[4:5]
	v_cmp_lt_i32_e64 s[4:5], v4, v30
	v_cndmask_b32_e64 v9, 0, v9, s[4:5]
	v_cmp_lt_i32_e64 s[4:5], v17, v30
	v_cndmask_b32_e64 v8, 0, v8, s[4:5]
.LBB345_478:                            ;   in Loop: Header=BB345_364 Depth=1
	s_or_b64 exec, exec, s[22:23]
	v_and_b32_e32 v39, 0xffff0000, v39
	v_lshlrev_b32_e32 v4, 16, v11
	v_mul_f32_e32 v21, v39, v4
	v_and_b32_e32 v4, 0x7f800000, v21
	v_cmp_ne_u32_e64 s[4:5], s7, v4
                                        ; implicit-def: $vgpr11
	s_and_saveexec_b64 s[22:23], s[4:5]
	s_xor_b64 s[4:5], exec, s[22:23]
; %bb.479:                              ;   in Loop: Header=BB345_364 Depth=1
	v_bfe_u32 v4, v21, 16, 1
	v_add3_u32 v11, v21, v4, s15
                                        ; implicit-def: $vgpr21
; %bb.480:                              ;   in Loop: Header=BB345_364 Depth=1
	s_andn2_saveexec_b64 s[22:23], s[4:5]
; %bb.481:                              ;   in Loop: Header=BB345_364 Depth=1
	v_or_b32_e32 v4, 0x10000, v21
	v_cmp_eq_u32_sdwa s[4:5], v21, v19 src0_sel:WORD_0 src1_sel:DWORD
	v_cndmask_b32_e64 v11, v4, v21, s[4:5]
; %bb.482:                              ;   in Loop: Header=BB345_364 Depth=1
	s_or_b64 exec, exec, s[22:23]
	v_and_b32_e32 v48, 0xffff0000, v48
	v_lshlrev_b32_e32 v4, 16, v12
	v_mul_f32_e32 v21, v48, v4
	v_and_b32_e32 v4, 0x7f800000, v21
	v_cmp_ne_u32_e64 s[4:5], s7, v4
                                        ; implicit-def: $vgpr12
	s_and_saveexec_b64 s[22:23], s[4:5]
	s_xor_b64 s[4:5], exec, s[22:23]
; %bb.483:                              ;   in Loop: Header=BB345_364 Depth=1
	v_bfe_u32 v4, v21, 16, 1
	v_add3_u32 v12, v21, v4, s15
                                        ; implicit-def: $vgpr21
; %bb.484:                              ;   in Loop: Header=BB345_364 Depth=1
	s_andn2_saveexec_b64 s[22:23], s[4:5]
; %bb.485:                              ;   in Loop: Header=BB345_364 Depth=1
	v_or_b32_e32 v4, 0x10000, v21
	v_cmp_eq_u32_sdwa s[4:5], v21, v19 src0_sel:WORD_0 src1_sel:DWORD
	v_cndmask_b32_e64 v12, v4, v21, s[4:5]
; %bb.486:                              ;   in Loop: Header=BB345_364 Depth=1
	s_or_b64 exec, exec, s[22:23]
	v_and_b32_e32 v49, 0xffff0000, v49
	v_lshlrev_b32_e32 v4, 16, v13
	v_mul_f32_e32 v21, v49, v4
	v_and_b32_e32 v4, 0x7f800000, v21
	v_cmp_ne_u32_e64 s[4:5], s7, v4
                                        ; implicit-def: $vgpr13
	s_and_saveexec_b64 s[22:23], s[4:5]
	s_xor_b64 s[4:5], exec, s[22:23]
; %bb.487:                              ;   in Loop: Header=BB345_364 Depth=1
	v_bfe_u32 v4, v21, 16, 1
	v_add3_u32 v13, v21, v4, s15
                                        ; implicit-def: $vgpr21
; %bb.488:                              ;   in Loop: Header=BB345_364 Depth=1
	s_andn2_saveexec_b64 s[22:23], s[4:5]
; %bb.489:                              ;   in Loop: Header=BB345_364 Depth=1
	v_or_b32_e32 v4, 0x10000, v21
	v_cmp_eq_u32_sdwa s[4:5], v21, v19 src0_sel:WORD_0 src1_sel:DWORD
	v_cndmask_b32_e64 v13, v4, v21, s[4:5]
; %bb.490:                              ;   in Loop: Header=BB345_364 Depth=1
	s_or_b64 exec, exec, s[22:23]
	v_and_b32_e32 v50, 0xffff0000, v28
	v_lshlrev_b32_e32 v4, 16, v20
	v_mul_f32_e32 v20, v50, v4
	v_and_b32_e32 v4, 0x7f800000, v20
	v_cmp_ne_u32_e64 s[4:5], s7, v4
                                        ; implicit-def: $vgpr28
	s_and_saveexec_b64 s[22:23], s[4:5]
	s_xor_b64 s[4:5], exec, s[22:23]
; %bb.491:                              ;   in Loop: Header=BB345_364 Depth=1
	v_bfe_u32 v4, v20, 16, 1
	v_add3_u32 v28, v20, v4, s15
                                        ; implicit-def: $vgpr20
; %bb.492:                              ;   in Loop: Header=BB345_364 Depth=1
	s_andn2_saveexec_b64 s[22:23], s[4:5]
; %bb.493:                              ;   in Loop: Header=BB345_364 Depth=1
	v_or_b32_e32 v4, 0x10000, v20
	v_cmp_eq_u32_sdwa s[4:5], v20, v19 src0_sel:WORD_0 src1_sel:DWORD
	v_cndmask_b32_e64 v28, v4, v20, s[4:5]
; %bb.494:                              ;   in Loop: Header=BB345_364 Depth=1
	s_or_b64 exec, exec, s[22:23]
	v_and_b32_e32 v51, 0xffff0000, v32
	v_lshlrev_b32_e32 v4, 16, v18
	v_mul_f32_e32 v18, v51, v4
	v_and_b32_e32 v4, 0x7f800000, v18
	v_cmp_ne_u32_e64 s[4:5], s7, v4
                                        ; implicit-def: $vgpr32
	s_and_saveexec_b64 s[22:23], s[4:5]
	s_xor_b64 s[4:5], exec, s[22:23]
; %bb.495:                              ;   in Loop: Header=BB345_364 Depth=1
	v_bfe_u32 v4, v18, 16, 1
	v_add3_u32 v32, v18, v4, s15
                                        ; implicit-def: $vgpr18
; %bb.496:                              ;   in Loop: Header=BB345_364 Depth=1
	s_andn2_saveexec_b64 s[22:23], s[4:5]
; %bb.497:                              ;   in Loop: Header=BB345_364 Depth=1
	v_or_b32_e32 v4, 0x10000, v18
	v_cmp_eq_u32_sdwa s[4:5], v18, v19 src0_sel:WORD_0 src1_sel:DWORD
	v_cndmask_b32_e64 v32, v4, v18, s[4:5]
; %bb.498:                              ;   in Loop: Header=BB345_364 Depth=1
	s_or_b64 exec, exec, s[22:23]
	v_and_b32_e32 v52, 0xffff0000, v33
	v_lshlrev_b32_e32 v4, 16, v10
	v_mul_f32_e32 v10, v52, v4
	v_and_b32_e32 v4, 0x7f800000, v10
	v_cmp_ne_u32_e64 s[4:5], s7, v4
                                        ; implicit-def: $vgpr33
	s_and_saveexec_b64 s[22:23], s[4:5]
	s_xor_b64 s[4:5], exec, s[22:23]
; %bb.499:                              ;   in Loop: Header=BB345_364 Depth=1
	v_bfe_u32 v4, v10, 16, 1
	v_add3_u32 v33, v10, v4, s15
                                        ; implicit-def: $vgpr10
; %bb.500:                              ;   in Loop: Header=BB345_364 Depth=1
	s_andn2_saveexec_b64 s[22:23], s[4:5]
; %bb.501:                              ;   in Loop: Header=BB345_364 Depth=1
	v_or_b32_e32 v4, 0x10000, v10
	v_cmp_eq_u32_sdwa s[4:5], v10, v19 src0_sel:WORD_0 src1_sel:DWORD
	v_cndmask_b32_e64 v33, v4, v10, s[4:5]
; %bb.502:                              ;   in Loop: Header=BB345_364 Depth=1
	s_or_b64 exec, exec, s[22:23]
	v_and_b32_e32 v53, 0xffff0000, v34
	v_lshlrev_b32_e32 v4, 16, v9
	v_mul_f32_e32 v9, v53, v4
	v_and_b32_e32 v4, 0x7f800000, v9
	v_cmp_ne_u32_e64 s[4:5], s7, v4
                                        ; implicit-def: $vgpr34
	s_and_saveexec_b64 s[22:23], s[4:5]
	s_xor_b64 s[4:5], exec, s[22:23]
; %bb.503:                              ;   in Loop: Header=BB345_364 Depth=1
	v_bfe_u32 v4, v9, 16, 1
	v_add3_u32 v34, v9, v4, s15
                                        ; implicit-def: $vgpr9
; %bb.504:                              ;   in Loop: Header=BB345_364 Depth=1
	s_andn2_saveexec_b64 s[22:23], s[4:5]
; %bb.505:                              ;   in Loop: Header=BB345_364 Depth=1
	v_or_b32_e32 v4, 0x10000, v9
	v_cmp_eq_u32_sdwa s[4:5], v9, v19 src0_sel:WORD_0 src1_sel:DWORD
	v_cndmask_b32_e64 v34, v4, v9, s[4:5]
; %bb.506:                              ;   in Loop: Header=BB345_364 Depth=1
	s_or_b64 exec, exec, s[22:23]
	v_and_b32_e32 v54, 0xffff0000, v38
	v_lshlrev_b32_e32 v4, 16, v8
	v_mul_f32_e32 v8, v54, v4
	v_and_b32_e32 v4, 0x7f800000, v8
	v_cmp_ne_u32_e64 s[4:5], s7, v4
                                        ; implicit-def: $vgpr38
	s_and_saveexec_b64 s[22:23], s[4:5]
	s_xor_b64 s[4:5], exec, s[22:23]
; %bb.507:                              ;   in Loop: Header=BB345_364 Depth=1
	v_bfe_u32 v4, v8, 16, 1
	v_add3_u32 v38, v8, v4, s15
                                        ; implicit-def: $vgpr8
; %bb.508:                              ;   in Loop: Header=BB345_364 Depth=1
	s_andn2_saveexec_b64 s[22:23], s[4:5]
; %bb.509:                              ;   in Loop: Header=BB345_364 Depth=1
	v_or_b32_e32 v4, 0x10000, v8
	v_cmp_eq_u32_sdwa s[4:5], v8, v19 src0_sel:WORD_0 src1_sel:DWORD
	v_cndmask_b32_e64 v38, v4, v8, s[4:5]
; %bb.510:                              ;   in Loop: Header=BB345_364 Depth=1
	s_or_b64 exec, exec, s[22:23]
	flat_load_dwordx2 v[8:9], v[6:7] offset:512
	v_mov_b32_e32 v10, 0
	s_waitcnt vmcnt(0) lgkmcnt(0)
	v_cmp_ne_u16_sdwa s[4:5], v8, v19 src0_sel:BYTE_0 src1_sel:DWORD
	s_and_saveexec_b64 s[22:23], s[4:5]
	s_cbranch_execz .LBB345_516
; %bb.511:                              ;   in Loop: Header=BB345_364 Depth=1
	v_cmp_ne_u16_sdwa s[4:5], v8, s19 src0_sel:BYTE_0 src1_sel:DWORD
	v_bfrev_b32_e32 v10, 1
	s_and_saveexec_b64 s[24:25], s[4:5]
	s_cbranch_execz .LBB345_515
; %bb.512:                              ;   in Loop: Header=BB345_364 Depth=1
	v_and_b32_e32 v18, 0x7f, v8
	v_cmp_ne_u32_e64 s[4:5], s28, v18
	v_mov_b32_e32 v10, 0x7f800001
	s_and_saveexec_b64 s[26:27], s[4:5]
	s_cbranch_execz .LBB345_514
; %bb.513:                              ;   in Loop: Header=BB345_364 Depth=1
	v_and_b32_e32 v4, 7, v8
	v_ffbh_u32_e32 v4, v4
	v_min_u32_e32 v4, 32, v4
	v_lshrrev_b32_e32 v5, 3, v18
	v_subrev_u32_e32 v10, 28, v4
	v_sub_u32_e32 v4, 29, v4
	v_cmp_gt_u32_e64 s[4:5], 8, v18
	v_cndmask_b32_e64 v4, v5, v4, s[4:5]
	v_cndmask_b32_e64 v5, 0, v10, s[4:5]
	v_lshlrev_b64 v[20:21], v5, v[8:9]
	v_lshlrev_b32_e32 v5, 20, v20
	v_lshlrev_b32_e32 v10, 24, v8
	v_and_b32_e32 v5, 0x700000, v5
	v_and_b32_e32 v10, 0x80000000, v10
	v_lshl_add_u32 v4, v4, 23, v27
	v_or3_b32 v10, v10, v4, v5
.LBB345_514:                            ;   in Loop: Header=BB345_364 Depth=1
	s_or_b64 exec, exec, s[26:27]
.LBB345_515:                            ;   in Loop: Header=BB345_364 Depth=1
	s_or_b64 exec, exec, s[24:25]
.LBB345_516:                            ;   in Loop: Header=BB345_364 Depth=1
	s_or_b64 exec, exec, s[22:23]
	v_mul_f32_e32 v10, v24, v10
	v_and_b32_e32 v4, 0x7f800000, v10
	v_cmp_ne_u32_e64 s[4:5], s7, v4
                                        ; implicit-def: $vgpr55
	s_and_saveexec_b64 s[22:23], s[4:5]
	s_xor_b64 s[4:5], exec, s[22:23]
; %bb.517:                              ;   in Loop: Header=BB345_364 Depth=1
	v_bfe_u32 v4, v10, 16, 1
	v_add3_u32 v55, v10, v4, s15
                                        ; implicit-def: $vgpr10
; %bb.518:                              ;   in Loop: Header=BB345_364 Depth=1
	s_andn2_saveexec_b64 s[22:23], s[4:5]
; %bb.519:                              ;   in Loop: Header=BB345_364 Depth=1
	v_or_b32_e32 v4, 0x10000, v10
	v_cmp_eq_u32_sdwa s[4:5], v10, v19 src0_sel:WORD_0 src1_sel:DWORD
	v_cndmask_b32_e64 v55, v4, v10, s[4:5]
; %bb.520:                              ;   in Loop: Header=BB345_364 Depth=1
	s_or_b64 exec, exec, s[22:23]
	v_lshrrev_b16_e32 v10, 8, v8
	v_cmp_ne_u16_e64 s[4:5], 0, v10
	v_mov_b32_e32 v18, 0
	s_and_saveexec_b64 s[22:23], s[4:5]
	s_cbranch_execz .LBB345_526
; %bb.521:                              ;   in Loop: Header=BB345_364 Depth=1
	v_cmp_ne_u16_e64 s[4:5], s19, v10
	v_bfrev_b32_e32 v18, 1
	s_and_saveexec_b64 s[24:25], s[4:5]
	s_cbranch_execz .LBB345_525
; %bb.522:                              ;   in Loop: Header=BB345_364 Depth=1
	v_and_b32_e32 v20, 0x7f, v10
	v_cmp_ne_u32_e64 s[4:5], s28, v20
	v_mov_b32_e32 v18, 0x7f800001
	s_and_saveexec_b64 s[26:27], s[4:5]
	s_cbranch_execz .LBB345_524
; %bb.523:                              ;   in Loop: Header=BB345_364 Depth=1
	v_and_b32_e32 v4, 7, v10
	v_ffbh_u32_e32 v18, v4
	v_min_u32_e32 v18, 32, v18
	v_subrev_u32_e32 v21, 28, v18
	v_lshlrev_b64 v[40:41], v21, v[10:11]
	v_lshrrev_b32_e32 v5, 3, v20
	v_sub_u32_e32 v10, 29, v18
	v_and_b32_e32 v18, 7, v40
	v_cmp_gt_u32_e64 s[4:5], 8, v20
	v_cndmask_b32_e64 v5, v5, v10, s[4:5]
	v_cndmask_b32_e64 v4, v4, v18, s[4:5]
	v_lshlrev_b32_e32 v10, 16, v8
	v_lshlrev_b32_e32 v4, 20, v4
	v_and_b32_e32 v10, 0x80000000, v10
	v_lshl_add_u32 v5, v5, 23, v27
	v_or3_b32 v18, v10, v5, v4
.LBB345_524:                            ;   in Loop: Header=BB345_364 Depth=1
	s_or_b64 exec, exec, s[26:27]
.LBB345_525:                            ;   in Loop: Header=BB345_364 Depth=1
	s_or_b64 exec, exec, s[24:25]
.LBB345_526:                            ;   in Loop: Header=BB345_364 Depth=1
	s_or_b64 exec, exec, s[22:23]
	v_mul_f32_e32 v10, v24, v18
	v_and_b32_e32 v4, 0x7f800000, v10
	v_cmp_ne_u32_e64 s[4:5], s7, v4
                                        ; implicit-def: $vgpr40
	s_and_saveexec_b64 s[22:23], s[4:5]
	s_xor_b64 s[4:5], exec, s[22:23]
; %bb.527:                              ;   in Loop: Header=BB345_364 Depth=1
	v_bfe_u32 v4, v10, 16, 1
	v_add3_u32 v40, v10, v4, s15
                                        ; implicit-def: $vgpr10
; %bb.528:                              ;   in Loop: Header=BB345_364 Depth=1
	s_andn2_saveexec_b64 s[22:23], s[4:5]
; %bb.529:                              ;   in Loop: Header=BB345_364 Depth=1
	v_or_b32_e32 v4, 0x10000, v10
	v_cmp_eq_u32_sdwa s[4:5], v10, v19 src0_sel:WORD_0 src1_sel:DWORD
	v_cndmask_b32_e64 v40, v4, v10, s[4:5]
; %bb.530:                              ;   in Loop: Header=BB345_364 Depth=1
	s_or_b64 exec, exec, s[22:23]
	v_lshrrev_b32_e32 v10, 16, v8
	v_cmp_ne_u16_sdwa s[4:5], v10, v19 src0_sel:BYTE_0 src1_sel:DWORD
	v_mov_b32_e32 v18, 0
	s_and_saveexec_b64 s[22:23], s[4:5]
	s_cbranch_execz .LBB345_536
; %bb.531:                              ;   in Loop: Header=BB345_364 Depth=1
	v_cmp_ne_u16_sdwa s[4:5], v10, s19 src0_sel:BYTE_0 src1_sel:DWORD
	v_bfrev_b32_e32 v18, 1
	s_and_saveexec_b64 s[24:25], s[4:5]
	s_cbranch_execz .LBB345_535
; %bb.532:                              ;   in Loop: Header=BB345_364 Depth=1
	v_bfe_u32 v20, v8, 16, 7
	v_cmp_ne_u32_e64 s[4:5], s28, v20
	v_mov_b32_e32 v18, 0x7f800001
	s_and_saveexec_b64 s[26:27], s[4:5]
	s_cbranch_execz .LBB345_534
; %bb.533:                              ;   in Loop: Header=BB345_364 Depth=1
	v_and_b32_e32 v4, 7, v10
	v_ffbh_u32_e32 v18, v4
	v_min_u32_e32 v18, 32, v18
	v_subrev_u32_e32 v21, 28, v18
	v_lshlrev_b64 v[42:43], v21, v[10:11]
	v_lshrrev_b32_e32 v5, 3, v20
	v_sub_u32_e32 v18, 29, v18
	v_and_b32_e32 v21, 7, v42
	v_cmp_gt_u32_e64 s[4:5], 8, v20
	v_cndmask_b32_e64 v5, v5, v18, s[4:5]
	v_cndmask_b32_e64 v4, v4, v21, s[4:5]
	v_lshlrev_b32_e32 v10, 24, v10
	v_lshlrev_b32_e32 v4, 20, v4
	v_and_b32_e32 v10, 0x80000000, v10
	v_lshl_add_u32 v5, v5, 23, v27
	v_or3_b32 v18, v10, v5, v4
.LBB345_534:                            ;   in Loop: Header=BB345_364 Depth=1
	s_or_b64 exec, exec, s[26:27]
.LBB345_535:                            ;   in Loop: Header=BB345_364 Depth=1
	s_or_b64 exec, exec, s[24:25]
.LBB345_536:                            ;   in Loop: Header=BB345_364 Depth=1
	s_or_b64 exec, exec, s[22:23]
	v_mul_f32_e32 v10, v24, v18
	v_and_b32_e32 v4, 0x7f800000, v10
	v_cmp_ne_u32_e64 s[4:5], s7, v4
                                        ; implicit-def: $vgpr23
	s_and_saveexec_b64 s[22:23], s[4:5]
	s_xor_b64 s[4:5], exec, s[22:23]
; %bb.537:                              ;   in Loop: Header=BB345_364 Depth=1
	v_bfe_u32 v4, v10, 16, 1
	v_add3_u32 v23, v10, v4, s15
                                        ; implicit-def: $vgpr10
; %bb.538:                              ;   in Loop: Header=BB345_364 Depth=1
	s_andn2_saveexec_b64 s[22:23], s[4:5]
; %bb.539:                              ;   in Loop: Header=BB345_364 Depth=1
	v_or_b32_e32 v4, 0x10000, v10
	v_cmp_eq_u32_sdwa s[4:5], v10, v19 src0_sel:WORD_0 src1_sel:DWORD
	v_cndmask_b32_e64 v23, v4, v10, s[4:5]
; %bb.540:                              ;   in Loop: Header=BB345_364 Depth=1
	s_or_b64 exec, exec, s[22:23]
	v_cmp_lt_u32_e64 s[4:5], s11, v8
	v_mov_b32_e32 v18, 0
	s_and_saveexec_b64 s[22:23], s[4:5]
	s_cbranch_execz .LBB345_546
; %bb.541:                              ;   in Loop: Header=BB345_364 Depth=1
	v_lshrrev_b32_e32 v10, 24, v8
	v_cmp_ne_u32_e64 s[4:5], s19, v10
	v_bfrev_b32_e32 v18, 1
	s_and_saveexec_b64 s[24:25], s[4:5]
	s_cbranch_execz .LBB345_545
; %bb.542:                              ;   in Loop: Header=BB345_364 Depth=1
	v_bfe_u32 v20, v8, 24, 7
	v_cmp_ne_u32_e64 s[4:5], s28, v20
	v_mov_b32_e32 v18, 0x7f800001
	s_and_saveexec_b64 s[26:27], s[4:5]
	s_cbranch_execz .LBB345_544
; %bb.543:                              ;   in Loop: Header=BB345_364 Depth=1
	v_and_b32_e32 v4, 7, v10
	v_ffbh_u32_e32 v18, v4
	v_min_u32_e32 v18, 32, v18
	v_subrev_u32_e32 v21, 28, v18
	v_lshlrev_b64 v[42:43], v21, v[10:11]
	v_lshrrev_b32_e32 v5, 3, v20
	v_sub_u32_e32 v18, 29, v18
	v_and_b32_e32 v21, 7, v42
	v_cmp_gt_u32_e64 s[4:5], 8, v20
	v_cndmask_b32_e64 v5, v5, v18, s[4:5]
	v_cndmask_b32_e64 v4, v4, v21, s[4:5]
	v_lshlrev_b32_e32 v10, 24, v10
	v_lshlrev_b32_e32 v4, 20, v4
	v_and_b32_e32 v10, 0x80000000, v10
	v_lshl_add_u32 v5, v5, 23, v27
	v_or3_b32 v18, v10, v5, v4
.LBB345_544:                            ;   in Loop: Header=BB345_364 Depth=1
	s_or_b64 exec, exec, s[26:27]
.LBB345_545:                            ;   in Loop: Header=BB345_364 Depth=1
	s_or_b64 exec, exec, s[24:25]
.LBB345_546:                            ;   in Loop: Header=BB345_364 Depth=1
	s_or_b64 exec, exec, s[22:23]
	v_mul_f32_e32 v10, v24, v18
	v_and_b32_e32 v4, 0x7f800000, v10
	v_cmp_ne_u32_e64 s[4:5], s7, v4
                                        ; implicit-def: $vgpr25
	s_and_saveexec_b64 s[22:23], s[4:5]
	s_xor_b64 s[4:5], exec, s[22:23]
; %bb.547:                              ;   in Loop: Header=BB345_364 Depth=1
	v_bfe_u32 v4, v10, 16, 1
	v_add3_u32 v25, v10, v4, s15
                                        ; implicit-def: $vgpr10
; %bb.548:                              ;   in Loop: Header=BB345_364 Depth=1
	s_andn2_saveexec_b64 s[22:23], s[4:5]
; %bb.549:                              ;   in Loop: Header=BB345_364 Depth=1
	v_or_b32_e32 v4, 0x10000, v10
	v_cmp_eq_u32_sdwa s[4:5], v10, v19 src0_sel:WORD_0 src1_sel:DWORD
	v_cndmask_b32_e64 v25, v4, v10, s[4:5]
; %bb.550:                              ;   in Loop: Header=BB345_364 Depth=1
	s_or_b64 exec, exec, s[22:23]
	v_mov_b32_e32 v18, v9
	v_cmp_ne_u16_sdwa s[4:5], v9, v19 src0_sel:BYTE_0 src1_sel:DWORD
	v_mov_b32_e32 v10, 0
	s_and_saveexec_b64 s[22:23], s[4:5]
	s_cbranch_execz .LBB345_556
; %bb.551:                              ;   in Loop: Header=BB345_364 Depth=1
	v_cmp_ne_u16_sdwa s[4:5], v9, s19 src0_sel:BYTE_0 src1_sel:DWORD
	v_bfrev_b32_e32 v10, 1
	s_and_saveexec_b64 s[24:25], s[4:5]
	s_cbranch_execz .LBB345_555
; %bb.552:                              ;   in Loop: Header=BB345_364 Depth=1
	v_and_b32_e32 v20, 0x7f, v9
	v_cmp_ne_u32_e64 s[4:5], s28, v20
	v_mov_b32_e32 v10, 0x7f800001
	s_and_saveexec_b64 s[26:27], s[4:5]
	s_cbranch_execz .LBB345_554
; %bb.553:                              ;   in Loop: Header=BB345_364 Depth=1
	v_and_b32_e32 v4, 7, v9
	v_ffbh_u32_e32 v4, v4
	v_min_u32_e32 v4, 32, v4
	v_lshrrev_b32_e32 v5, 3, v20
	v_subrev_u32_e32 v10, 28, v4
	v_sub_u32_e32 v4, 29, v4
	v_cmp_gt_u32_e64 s[4:5], 8, v20
	v_cndmask_b32_e64 v4, v5, v4, s[4:5]
	v_cndmask_b32_e64 v5, 0, v10, s[4:5]
	v_lshlrev_b64 v[20:21], v5, v[18:19]
	v_lshlrev_b32_e32 v5, 20, v20
	v_lshlrev_b32_e32 v10, 24, v18
	v_and_b32_e32 v5, 0x700000, v5
	v_and_b32_e32 v10, 0x80000000, v10
	v_lshl_add_u32 v4, v4, 23, v27
	v_or3_b32 v10, v10, v4, v5
.LBB345_554:                            ;   in Loop: Header=BB345_364 Depth=1
	s_or_b64 exec, exec, s[26:27]
.LBB345_555:                            ;   in Loop: Header=BB345_364 Depth=1
	s_or_b64 exec, exec, s[24:25]
.LBB345_556:                            ;   in Loop: Header=BB345_364 Depth=1
	s_or_b64 exec, exec, s[22:23]
	v_mul_f32_e32 v10, v24, v10
	v_and_b32_e32 v4, 0x7f800000, v10
	v_cmp_ne_u32_e64 s[4:5], s7, v4
                                        ; implicit-def: $vgpr20
	s_and_saveexec_b64 s[22:23], s[4:5]
	s_xor_b64 s[4:5], exec, s[22:23]
; %bb.557:                              ;   in Loop: Header=BB345_364 Depth=1
	v_bfe_u32 v4, v10, 16, 1
	v_add3_u32 v20, v10, v4, s15
                                        ; implicit-def: $vgpr10
; %bb.558:                              ;   in Loop: Header=BB345_364 Depth=1
	s_andn2_saveexec_b64 s[22:23], s[4:5]
; %bb.559:                              ;   in Loop: Header=BB345_364 Depth=1
	v_or_b32_e32 v4, 0x10000, v10
	v_cmp_eq_u32_sdwa s[4:5], v10, v19 src0_sel:WORD_0 src1_sel:DWORD
	v_cndmask_b32_e64 v20, v4, v10, s[4:5]
; %bb.560:                              ;   in Loop: Header=BB345_364 Depth=1
	s_or_b64 exec, exec, s[22:23]
	v_lshrrev_b16_e32 v10, 8, v18
	v_cmp_ne_u16_e64 s[4:5], 0, v10
	v_mov_b32_e32 v21, 0
	s_and_saveexec_b64 s[22:23], s[4:5]
	s_cbranch_execz .LBB345_566
; %bb.561:                              ;   in Loop: Header=BB345_364 Depth=1
	v_cmp_ne_u16_e64 s[4:5], s19, v10
	v_bfrev_b32_e32 v21, 1
	s_and_saveexec_b64 s[24:25], s[4:5]
	s_cbranch_execz .LBB345_565
; %bb.562:                              ;   in Loop: Header=BB345_364 Depth=1
	v_and_b32_e32 v41, 0x7f, v10
	v_cmp_ne_u32_e64 s[4:5], s28, v41
	v_mov_b32_e32 v21, 0x7f800001
	s_and_saveexec_b64 s[26:27], s[4:5]
	s_cbranch_execz .LBB345_564
; %bb.563:                              ;   in Loop: Header=BB345_364 Depth=1
	v_and_b32_e32 v4, 7, v10
	v_ffbh_u32_e32 v21, v4
	v_min_u32_e32 v21, 32, v21
	v_subrev_u32_e32 v22, 28, v21
	v_lshlrev_b64 v[42:43], v22, v[10:11]
	v_lshrrev_b32_e32 v5, 3, v41
	v_sub_u32_e32 v10, 29, v21
	v_and_b32_e32 v21, 7, v42
	v_cmp_gt_u32_e64 s[4:5], 8, v41
	v_cndmask_b32_e64 v5, v5, v10, s[4:5]
	v_cndmask_b32_e64 v4, v4, v21, s[4:5]
	v_lshlrev_b32_e32 v10, 16, v18
	v_lshlrev_b32_e32 v4, 20, v4
	v_and_b32_e32 v10, 0x80000000, v10
	v_lshl_add_u32 v5, v5, 23, v27
	v_or3_b32 v21, v10, v5, v4
.LBB345_564:                            ;   in Loop: Header=BB345_364 Depth=1
	s_or_b64 exec, exec, s[26:27]
.LBB345_565:                            ;   in Loop: Header=BB345_364 Depth=1
	s_or_b64 exec, exec, s[24:25]
.LBB345_566:                            ;   in Loop: Header=BB345_364 Depth=1
	s_or_b64 exec, exec, s[22:23]
	v_mul_f32_e32 v10, v24, v21
	v_and_b32_e32 v4, 0x7f800000, v10
	v_cmp_ne_u32_e64 s[4:5], s7, v4
                                        ; implicit-def: $vgpr18
	s_and_saveexec_b64 s[22:23], s[4:5]
	s_xor_b64 s[4:5], exec, s[22:23]
; %bb.567:                              ;   in Loop: Header=BB345_364 Depth=1
	v_bfe_u32 v4, v10, 16, 1
	v_add3_u32 v18, v10, v4, s15
                                        ; implicit-def: $vgpr10
; %bb.568:                              ;   in Loop: Header=BB345_364 Depth=1
	s_andn2_saveexec_b64 s[22:23], s[4:5]
; %bb.569:                              ;   in Loop: Header=BB345_364 Depth=1
	v_or_b32_e32 v4, 0x10000, v10
	v_cmp_eq_u32_sdwa s[4:5], v10, v19 src0_sel:WORD_0 src1_sel:DWORD
	v_cndmask_b32_e64 v18, v4, v10, s[4:5]
; %bb.570:                              ;   in Loop: Header=BB345_364 Depth=1
	s_or_b64 exec, exec, s[22:23]
	v_lshrrev_b32_e32 v10, 16, v9
	v_cmp_ne_u16_sdwa s[4:5], v10, v19 src0_sel:BYTE_0 src1_sel:DWORD
	v_mov_b32_e32 v21, 0
	s_and_saveexec_b64 s[22:23], s[4:5]
	s_cbranch_execz .LBB345_576
; %bb.571:                              ;   in Loop: Header=BB345_364 Depth=1
	v_cmp_ne_u16_sdwa s[4:5], v10, s19 src0_sel:BYTE_0 src1_sel:DWORD
	v_bfrev_b32_e32 v21, 1
	s_and_saveexec_b64 s[24:25], s[4:5]
	s_cbranch_execz .LBB345_575
; %bb.572:                              ;   in Loop: Header=BB345_364 Depth=1
	v_bfe_u32 v41, v9, 16, 7
	v_cmp_ne_u32_e64 s[4:5], s28, v41
	v_mov_b32_e32 v21, 0x7f800001
	s_and_saveexec_b64 s[26:27], s[4:5]
	s_cbranch_execz .LBB345_574
; %bb.573:                              ;   in Loop: Header=BB345_364 Depth=1
	v_and_b32_e32 v4, 7, v10
	v_ffbh_u32_e32 v21, v4
	v_min_u32_e32 v21, 32, v21
	v_subrev_u32_e32 v22, 28, v21
	v_lshlrev_b64 v[42:43], v22, v[10:11]
	v_lshrrev_b32_e32 v5, 3, v41
	v_sub_u32_e32 v21, 29, v21
	v_and_b32_e32 v22, 7, v42
	v_cmp_gt_u32_e64 s[4:5], 8, v41
	v_cndmask_b32_e64 v5, v5, v21, s[4:5]
	v_cndmask_b32_e64 v4, v4, v22, s[4:5]
	v_lshlrev_b32_e32 v10, 24, v10
	v_lshlrev_b32_e32 v4, 20, v4
	v_and_b32_e32 v10, 0x80000000, v10
	v_lshl_add_u32 v5, v5, 23, v27
	v_or3_b32 v21, v10, v5, v4
.LBB345_574:                            ;   in Loop: Header=BB345_364 Depth=1
	s_or_b64 exec, exec, s[26:27]
.LBB345_575:                            ;   in Loop: Header=BB345_364 Depth=1
	s_or_b64 exec, exec, s[24:25]
.LBB345_576:                            ;   in Loop: Header=BB345_364 Depth=1
	s_or_b64 exec, exec, s[22:23]
	v_mul_f32_e32 v10, v24, v21
	v_and_b32_e32 v4, 0x7f800000, v10
	v_cmp_ne_u32_e64 s[4:5], s7, v4
                                        ; implicit-def: $vgpr21
	s_and_saveexec_b64 s[22:23], s[4:5]
	s_xor_b64 s[4:5], exec, s[22:23]
; %bb.577:                              ;   in Loop: Header=BB345_364 Depth=1
	v_bfe_u32 v4, v10, 16, 1
	v_add3_u32 v21, v10, v4, s15
                                        ; implicit-def: $vgpr10
; %bb.578:                              ;   in Loop: Header=BB345_364 Depth=1
	s_andn2_saveexec_b64 s[22:23], s[4:5]
; %bb.579:                              ;   in Loop: Header=BB345_364 Depth=1
	v_or_b32_e32 v4, 0x10000, v10
	v_cmp_eq_u32_sdwa s[4:5], v10, v19 src0_sel:WORD_0 src1_sel:DWORD
	v_cndmask_b32_e64 v21, v4, v10, s[4:5]
; %bb.580:                              ;   in Loop: Header=BB345_364 Depth=1
	s_or_b64 exec, exec, s[22:23]
	v_cmp_lt_u64_e64 s[4:5], s[10:11], v[8:9]
	v_mov_b32_e32 v10, 0
	s_and_saveexec_b64 s[22:23], s[4:5]
	s_cbranch_execz .LBB345_586
; %bb.581:                              ;   in Loop: Header=BB345_364 Depth=1
	v_lshrrev_b32_e32 v8, 24, v9
	v_cmp_ne_u32_e64 s[4:5], s19, v8
	v_bfrev_b32_e32 v10, 1
	s_and_saveexec_b64 s[24:25], s[4:5]
	s_cbranch_execz .LBB345_585
; %bb.582:                              ;   in Loop: Header=BB345_364 Depth=1
	v_bfe_u32 v9, v9, 24, 7
	v_cmp_ne_u32_e64 s[4:5], s28, v9
	v_mov_b32_e32 v10, 0x7f800001
	s_and_saveexec_b64 s[26:27], s[4:5]
	s_cbranch_execz .LBB345_584
; %bb.583:                              ;   in Loop: Header=BB345_364 Depth=1
	v_and_b32_e32 v4, 7, v8
	v_ffbh_u32_e32 v10, v4
	v_min_u32_e32 v10, 32, v10
	v_subrev_u32_e32 v22, 28, v10
	v_lshlrev_b64 v[42:43], v22, v[8:9]
	v_lshrrev_b32_e32 v5, 3, v9
	v_sub_u32_e32 v10, 29, v10
	v_and_b32_e32 v22, 7, v42
	v_cmp_gt_u32_e64 s[4:5], 8, v9
	v_cndmask_b32_e64 v5, v5, v10, s[4:5]
	v_cndmask_b32_e64 v4, v4, v22, s[4:5]
	v_lshlrev_b32_e32 v8, 24, v8
	v_lshlrev_b32_e32 v4, 20, v4
	v_and_b32_e32 v8, 0x80000000, v8
	v_lshl_add_u32 v5, v5, 23, v27
	v_or3_b32 v10, v8, v5, v4
.LBB345_584:                            ;   in Loop: Header=BB345_364 Depth=1
	s_or_b64 exec, exec, s[26:27]
.LBB345_585:                            ;   in Loop: Header=BB345_364 Depth=1
	s_or_b64 exec, exec, s[24:25]
.LBB345_586:                            ;   in Loop: Header=BB345_364 Depth=1
	s_or_b64 exec, exec, s[22:23]
	v_mul_f32_e32 v9, v24, v10
	v_and_b32_e32 v4, 0x7f800000, v9
	v_cmp_ne_u32_e64 s[4:5], s7, v4
                                        ; implicit-def: $vgpr8
	s_and_saveexec_b64 s[22:23], s[4:5]
	s_xor_b64 s[4:5], exec, s[22:23]
; %bb.587:                              ;   in Loop: Header=BB345_364 Depth=1
	v_bfe_u32 v4, v9, 16, 1
	v_add3_u32 v8, v9, v4, s15
                                        ; implicit-def: $vgpr9
; %bb.588:                              ;   in Loop: Header=BB345_364 Depth=1
	s_andn2_saveexec_b64 s[22:23], s[4:5]
; %bb.589:                              ;   in Loop: Header=BB345_364 Depth=1
	v_or_b32_e32 v4, 0x10000, v9
	v_cmp_eq_u32_sdwa s[4:5], v9, v19 src0_sel:WORD_0 src1_sel:DWORD
	v_cndmask_b32_e64 v8, v4, v9, s[4:5]
; %bb.590:                              ;   in Loop: Header=BB345_364 Depth=1
	s_or_b64 exec, exec, s[22:23]
	v_lshrrev_b32_e32 v10, 16, v18
	v_lshrrev_b32_e32 v18, 16, v20
	;; [unrolled: 1-line block ×8, first 2 shown]
	s_and_saveexec_b64 s[22:23], vcc
	s_cbranch_execz .LBB345_592
; %bb.591:                              ;   in Loop: Header=BB345_364 Depth=1
	v_cmp_lt_i32_e64 s[4:5], v29, v30
	v_cndmask_b32_e64 v55, 0, v55, s[4:5]
	v_cmp_lt_i32_e64 s[4:5], v37, v30
	v_cndmask_b32_e64 v25, 0, v25, s[4:5]
	;; [unrolled: 2-line block ×4, first 2 shown]
	v_cmp_lt_i32_e64 s[4:5], v35, v30
	v_accvgpr_read_b32 v4, a11
	v_cndmask_b32_e64 v18, 0, v18, s[4:5]
	v_cmp_lt_i32_e64 s[4:5], v4, v30
	v_accvgpr_read_b32 v4, a10
	v_cndmask_b32_e64 v10, 0, v10, s[4:5]
	v_cmp_lt_i32_e64 s[4:5], v4, v30
	v_cndmask_b32_e64 v9, 0, v9, s[4:5]
	v_cmp_lt_i32_e64 s[4:5], v17, v30
	v_cndmask_b32_e64 v8, 0, v8, s[4:5]
.LBB345_592:                            ;   in Loop: Header=BB345_364 Depth=1
	s_or_b64 exec, exec, s[22:23]
	v_lshlrev_b32_e32 v4, 16, v55
	v_mul_f32_e32 v21, v39, v4
	v_and_b32_e32 v4, 0x7f800000, v21
	v_cmp_ne_u32_e64 s[4:5], s7, v4
                                        ; implicit-def: $vgpr55
	s_and_saveexec_b64 s[22:23], s[4:5]
	s_xor_b64 s[4:5], exec, s[22:23]
; %bb.593:                              ;   in Loop: Header=BB345_364 Depth=1
	v_bfe_u32 v4, v21, 16, 1
	v_add3_u32 v55, v21, v4, s15
                                        ; implicit-def: $vgpr21
; %bb.594:                              ;   in Loop: Header=BB345_364 Depth=1
	s_andn2_saveexec_b64 s[22:23], s[4:5]
; %bb.595:                              ;   in Loop: Header=BB345_364 Depth=1
	v_or_b32_e32 v4, 0x10000, v21
	v_cmp_eq_u32_sdwa s[4:5], v21, v19 src0_sel:WORD_0 src1_sel:DWORD
	v_cndmask_b32_e64 v55, v4, v21, s[4:5]
; %bb.596:                              ;   in Loop: Header=BB345_364 Depth=1
	s_or_b64 exec, exec, s[22:23]
	v_lshlrev_b32_e32 v4, 16, v25
	v_mul_f32_e32 v21, v48, v4
	v_and_b32_e32 v4, 0x7f800000, v21
	v_cmp_ne_u32_e64 s[4:5], s7, v4
                                        ; implicit-def: $vgpr40
	s_and_saveexec_b64 s[22:23], s[4:5]
	s_xor_b64 s[4:5], exec, s[22:23]
; %bb.597:                              ;   in Loop: Header=BB345_364 Depth=1
	v_bfe_u32 v4, v21, 16, 1
	v_add3_u32 v40, v21, v4, s15
                                        ; implicit-def: $vgpr21
; %bb.598:                              ;   in Loop: Header=BB345_364 Depth=1
	s_andn2_saveexec_b64 s[22:23], s[4:5]
; %bb.599:                              ;   in Loop: Header=BB345_364 Depth=1
	v_or_b32_e32 v4, 0x10000, v21
	v_cmp_eq_u32_sdwa s[4:5], v21, v19 src0_sel:WORD_0 src1_sel:DWORD
	v_cndmask_b32_e64 v40, v4, v21, s[4:5]
; %bb.600:                              ;   in Loop: Header=BB345_364 Depth=1
	s_or_b64 exec, exec, s[22:23]
	v_lshlrev_b32_e32 v4, 16, v23
	v_mul_f32_e32 v21, v49, v4
	v_and_b32_e32 v4, 0x7f800000, v21
	v_cmp_ne_u32_e64 s[4:5], s7, v4
                                        ; implicit-def: $vgpr41
	s_and_saveexec_b64 s[22:23], s[4:5]
	s_xor_b64 s[4:5], exec, s[22:23]
; %bb.601:                              ;   in Loop: Header=BB345_364 Depth=1
	v_bfe_u32 v4, v21, 16, 1
	v_add3_u32 v41, v21, v4, s15
                                        ; implicit-def: $vgpr21
; %bb.602:                              ;   in Loop: Header=BB345_364 Depth=1
	s_andn2_saveexec_b64 s[22:23], s[4:5]
; %bb.603:                              ;   in Loop: Header=BB345_364 Depth=1
	v_or_b32_e32 v4, 0x10000, v21
	v_cmp_eq_u32_sdwa s[4:5], v21, v19 src0_sel:WORD_0 src1_sel:DWORD
	v_cndmask_b32_e64 v41, v4, v21, s[4:5]
; %bb.604:                              ;   in Loop: Header=BB345_364 Depth=1
	s_or_b64 exec, exec, s[22:23]
	v_lshlrev_b32_e32 v4, 16, v20
	v_mul_f32_e32 v20, v50, v4
	v_and_b32_e32 v4, 0x7f800000, v20
	v_cmp_ne_u32_e64 s[4:5], s7, v4
                                        ; implicit-def: $vgpr42
	s_and_saveexec_b64 s[22:23], s[4:5]
	s_xor_b64 s[4:5], exec, s[22:23]
; %bb.605:                              ;   in Loop: Header=BB345_364 Depth=1
	v_bfe_u32 v4, v20, 16, 1
	v_add3_u32 v42, v20, v4, s15
                                        ; implicit-def: $vgpr20
; %bb.606:                              ;   in Loop: Header=BB345_364 Depth=1
	s_andn2_saveexec_b64 s[22:23], s[4:5]
; %bb.607:                              ;   in Loop: Header=BB345_364 Depth=1
	v_or_b32_e32 v4, 0x10000, v20
	v_cmp_eq_u32_sdwa s[4:5], v20, v19 src0_sel:WORD_0 src1_sel:DWORD
	v_cndmask_b32_e64 v42, v4, v20, s[4:5]
; %bb.608:                              ;   in Loop: Header=BB345_364 Depth=1
	s_or_b64 exec, exec, s[22:23]
	v_lshlrev_b32_e32 v4, 16, v18
	v_mul_f32_e32 v18, v51, v4
	v_and_b32_e32 v4, 0x7f800000, v18
	v_cmp_ne_u32_e64 s[4:5], s7, v4
                                        ; implicit-def: $vgpr43
	s_and_saveexec_b64 s[22:23], s[4:5]
	s_xor_b64 s[4:5], exec, s[22:23]
; %bb.609:                              ;   in Loop: Header=BB345_364 Depth=1
	v_bfe_u32 v4, v18, 16, 1
	v_add3_u32 v43, v18, v4, s15
                                        ; implicit-def: $vgpr18
; %bb.610:                              ;   in Loop: Header=BB345_364 Depth=1
	s_andn2_saveexec_b64 s[22:23], s[4:5]
; %bb.611:                              ;   in Loop: Header=BB345_364 Depth=1
	v_or_b32_e32 v4, 0x10000, v18
	v_cmp_eq_u32_sdwa s[4:5], v18, v19 src0_sel:WORD_0 src1_sel:DWORD
	v_cndmask_b32_e64 v43, v4, v18, s[4:5]
; %bb.612:                              ;   in Loop: Header=BB345_364 Depth=1
	s_or_b64 exec, exec, s[22:23]
	v_lshlrev_b32_e32 v4, 16, v10
	v_mul_f32_e32 v10, v52, v4
	v_and_b32_e32 v4, 0x7f800000, v10
	v_cmp_ne_u32_e64 s[4:5], s7, v4
                                        ; implicit-def: $vgpr44
	s_and_saveexec_b64 s[22:23], s[4:5]
	s_xor_b64 s[4:5], exec, s[22:23]
; %bb.613:                              ;   in Loop: Header=BB345_364 Depth=1
	v_bfe_u32 v4, v10, 16, 1
	v_add3_u32 v44, v10, v4, s15
                                        ; implicit-def: $vgpr10
; %bb.614:                              ;   in Loop: Header=BB345_364 Depth=1
	s_andn2_saveexec_b64 s[22:23], s[4:5]
; %bb.615:                              ;   in Loop: Header=BB345_364 Depth=1
	v_or_b32_e32 v4, 0x10000, v10
	v_cmp_eq_u32_sdwa s[4:5], v10, v19 src0_sel:WORD_0 src1_sel:DWORD
	v_cndmask_b32_e64 v44, v4, v10, s[4:5]
; %bb.616:                              ;   in Loop: Header=BB345_364 Depth=1
	s_or_b64 exec, exec, s[22:23]
	v_lshlrev_b32_e32 v4, 16, v9
	v_mul_f32_e32 v9, v53, v4
	v_and_b32_e32 v4, 0x7f800000, v9
	v_cmp_ne_u32_e64 s[4:5], s7, v4
                                        ; implicit-def: $vgpr45
	s_and_saveexec_b64 s[22:23], s[4:5]
	s_xor_b64 s[4:5], exec, s[22:23]
; %bb.617:                              ;   in Loop: Header=BB345_364 Depth=1
	v_bfe_u32 v4, v9, 16, 1
	v_add3_u32 v45, v9, v4, s15
                                        ; implicit-def: $vgpr9
; %bb.618:                              ;   in Loop: Header=BB345_364 Depth=1
	s_andn2_saveexec_b64 s[22:23], s[4:5]
; %bb.619:                              ;   in Loop: Header=BB345_364 Depth=1
	v_or_b32_e32 v4, 0x10000, v9
	v_cmp_eq_u32_sdwa s[4:5], v9, v19 src0_sel:WORD_0 src1_sel:DWORD
	v_cndmask_b32_e64 v45, v4, v9, s[4:5]
; %bb.620:                              ;   in Loop: Header=BB345_364 Depth=1
	s_or_b64 exec, exec, s[22:23]
	v_lshlrev_b32_e32 v4, 16, v8
	v_mul_f32_e32 v8, v54, v4
	v_and_b32_e32 v4, 0x7f800000, v8
	v_cmp_ne_u32_e64 s[4:5], s7, v4
                                        ; implicit-def: $vgpr46
	s_and_saveexec_b64 s[22:23], s[4:5]
	s_xor_b64 s[4:5], exec, s[22:23]
; %bb.621:                              ;   in Loop: Header=BB345_364 Depth=1
	v_bfe_u32 v4, v8, 16, 1
	v_add3_u32 v46, v8, v4, s15
                                        ; implicit-def: $vgpr8
; %bb.622:                              ;   in Loop: Header=BB345_364 Depth=1
	s_andn2_saveexec_b64 s[22:23], s[4:5]
; %bb.623:                              ;   in Loop: Header=BB345_364 Depth=1
	v_or_b32_e32 v4, 0x10000, v8
	v_cmp_eq_u32_sdwa s[4:5], v8, v19 src0_sel:WORD_0 src1_sel:DWORD
	v_cndmask_b32_e64 v46, v4, v8, s[4:5]
; %bb.624:                              ;   in Loop: Header=BB345_364 Depth=1
	s_or_b64 exec, exec, s[22:23]
	flat_load_dwordx2 v[8:9], v[6:7] offset:1024
	v_mov_b32_e32 v10, 0
	s_waitcnt vmcnt(0) lgkmcnt(0)
	v_cmp_ne_u16_sdwa s[4:5], v8, v19 src0_sel:BYTE_0 src1_sel:DWORD
	s_and_saveexec_b64 s[22:23], s[4:5]
	s_cbranch_execz .LBB345_630
; %bb.625:                              ;   in Loop: Header=BB345_364 Depth=1
	v_cmp_ne_u16_sdwa s[4:5], v8, s19 src0_sel:BYTE_0 src1_sel:DWORD
	v_bfrev_b32_e32 v10, 1
	s_and_saveexec_b64 s[24:25], s[4:5]
	s_cbranch_execz .LBB345_629
; %bb.626:                              ;   in Loop: Header=BB345_364 Depth=1
	v_and_b32_e32 v18, 0x7f, v8
	v_cmp_ne_u32_e64 s[4:5], s28, v18
	v_mov_b32_e32 v10, 0x7f800001
	s_and_saveexec_b64 s[26:27], s[4:5]
	s_cbranch_execz .LBB345_628
; %bb.627:                              ;   in Loop: Header=BB345_364 Depth=1
	v_and_b32_e32 v4, 7, v8
	v_ffbh_u32_e32 v4, v4
	v_min_u32_e32 v4, 32, v4
	v_lshrrev_b32_e32 v5, 3, v18
	v_subrev_u32_e32 v10, 28, v4
	v_sub_u32_e32 v4, 29, v4
	v_cmp_gt_u32_e64 s[4:5], 8, v18
	v_cndmask_b32_e64 v4, v5, v4, s[4:5]
	v_cndmask_b32_e64 v5, 0, v10, s[4:5]
	v_lshlrev_b64 v[20:21], v5, v[8:9]
	v_lshlrev_b32_e32 v5, 20, v20
	v_lshlrev_b32_e32 v10, 24, v8
	v_and_b32_e32 v5, 0x700000, v5
	v_and_b32_e32 v10, 0x80000000, v10
	v_lshl_add_u32 v4, v4, 23, v27
	v_or3_b32 v10, v10, v4, v5
.LBB345_628:                            ;   in Loop: Header=BB345_364 Depth=1
	s_or_b64 exec, exec, s[26:27]
.LBB345_629:                            ;   in Loop: Header=BB345_364 Depth=1
	s_or_b64 exec, exec, s[24:25]
.LBB345_630:                            ;   in Loop: Header=BB345_364 Depth=1
	s_or_b64 exec, exec, s[22:23]
	v_mul_f32_e32 v10, v24, v10
	v_and_b32_e32 v4, 0x7f800000, v10
	v_cmp_ne_u32_e64 s[4:5], s7, v4
                                        ; implicit-def: $vgpr47
	s_and_saveexec_b64 s[22:23], s[4:5]
	s_xor_b64 s[4:5], exec, s[22:23]
; %bb.631:                              ;   in Loop: Header=BB345_364 Depth=1
	v_bfe_u32 v4, v10, 16, 1
	v_add3_u32 v47, v10, v4, s15
                                        ; implicit-def: $vgpr10
; %bb.632:                              ;   in Loop: Header=BB345_364 Depth=1
	s_andn2_saveexec_b64 s[22:23], s[4:5]
; %bb.633:                              ;   in Loop: Header=BB345_364 Depth=1
	v_or_b32_e32 v4, 0x10000, v10
	v_cmp_eq_u32_sdwa s[4:5], v10, v19 src0_sel:WORD_0 src1_sel:DWORD
	v_cndmask_b32_e64 v47, v4, v10, s[4:5]
; %bb.634:                              ;   in Loop: Header=BB345_364 Depth=1
	s_or_b64 exec, exec, s[22:23]
	v_lshrrev_b16_e32 v10, 8, v8
	v_cmp_ne_u16_e64 s[4:5], 0, v10
	v_mov_b32_e32 v18, 0
	s_and_saveexec_b64 s[22:23], s[4:5]
	s_cbranch_execz .LBB345_640
; %bb.635:                              ;   in Loop: Header=BB345_364 Depth=1
	v_cmp_ne_u16_e64 s[4:5], s19, v10
	v_bfrev_b32_e32 v18, 1
	s_and_saveexec_b64 s[24:25], s[4:5]
	s_cbranch_execz .LBB345_639
; %bb.636:                              ;   in Loop: Header=BB345_364 Depth=1
	v_and_b32_e32 v20, 0x7f, v10
	v_cmp_ne_u32_e64 s[4:5], s28, v20
	v_mov_b32_e32 v18, 0x7f800001
	s_and_saveexec_b64 s[26:27], s[4:5]
	s_cbranch_execz .LBB345_638
; %bb.637:                              ;   in Loop: Header=BB345_364 Depth=1
	v_and_b32_e32 v4, 7, v10
	v_ffbh_u32_e32 v18, v4
	v_min_u32_e32 v18, 32, v18
	v_subrev_u32_e32 v21, 28, v18
	v_lshlrev_b64 v[56:57], v21, v[10:11]
	v_lshrrev_b32_e32 v5, 3, v20
	v_sub_u32_e32 v10, 29, v18
	v_and_b32_e32 v18, 7, v56
	v_cmp_gt_u32_e64 s[4:5], 8, v20
	v_cndmask_b32_e64 v5, v5, v10, s[4:5]
	v_cndmask_b32_e64 v4, v4, v18, s[4:5]
	v_lshlrev_b32_e32 v10, 16, v8
	v_lshlrev_b32_e32 v4, 20, v4
	v_and_b32_e32 v10, 0x80000000, v10
	v_lshl_add_u32 v5, v5, 23, v27
	v_or3_b32 v18, v10, v5, v4
.LBB345_638:                            ;   in Loop: Header=BB345_364 Depth=1
	s_or_b64 exec, exec, s[26:27]
.LBB345_639:                            ;   in Loop: Header=BB345_364 Depth=1
	s_or_b64 exec, exec, s[24:25]
.LBB345_640:                            ;   in Loop: Header=BB345_364 Depth=1
	s_or_b64 exec, exec, s[22:23]
	v_mul_f32_e32 v10, v24, v18
	v_and_b32_e32 v4, 0x7f800000, v10
	v_cmp_ne_u32_e64 s[4:5], s7, v4
                                        ; implicit-def: $vgpr56
	s_and_saveexec_b64 s[22:23], s[4:5]
	s_xor_b64 s[4:5], exec, s[22:23]
; %bb.641:                              ;   in Loop: Header=BB345_364 Depth=1
	v_bfe_u32 v4, v10, 16, 1
	v_add3_u32 v56, v10, v4, s15
                                        ; implicit-def: $vgpr10
; %bb.642:                              ;   in Loop: Header=BB345_364 Depth=1
	s_andn2_saveexec_b64 s[22:23], s[4:5]
; %bb.643:                              ;   in Loop: Header=BB345_364 Depth=1
	v_or_b32_e32 v4, 0x10000, v10
	v_cmp_eq_u32_sdwa s[4:5], v10, v19 src0_sel:WORD_0 src1_sel:DWORD
	v_cndmask_b32_e64 v56, v4, v10, s[4:5]
; %bb.644:                              ;   in Loop: Header=BB345_364 Depth=1
	s_or_b64 exec, exec, s[22:23]
	v_lshrrev_b32_e32 v10, 16, v8
	v_cmp_ne_u16_sdwa s[4:5], v10, v19 src0_sel:BYTE_0 src1_sel:DWORD
	v_mov_b32_e32 v18, 0
	s_and_saveexec_b64 s[22:23], s[4:5]
	s_cbranch_execz .LBB345_650
; %bb.645:                              ;   in Loop: Header=BB345_364 Depth=1
	v_cmp_ne_u16_sdwa s[4:5], v10, s19 src0_sel:BYTE_0 src1_sel:DWORD
	v_bfrev_b32_e32 v18, 1
	s_and_saveexec_b64 s[24:25], s[4:5]
	s_cbranch_execz .LBB345_649
; %bb.646:                              ;   in Loop: Header=BB345_364 Depth=1
	v_bfe_u32 v20, v8, 16, 7
	v_cmp_ne_u32_e64 s[4:5], s28, v20
	v_mov_b32_e32 v18, 0x7f800001
	s_and_saveexec_b64 s[26:27], s[4:5]
	s_cbranch_execz .LBB345_648
; %bb.647:                              ;   in Loop: Header=BB345_364 Depth=1
	v_and_b32_e32 v4, 7, v10
	v_ffbh_u32_e32 v18, v4
	v_min_u32_e32 v18, 32, v18
	v_subrev_u32_e32 v21, 28, v18
	v_lshlrev_b64 v[58:59], v21, v[10:11]
	v_lshrrev_b32_e32 v5, 3, v20
	v_sub_u32_e32 v18, 29, v18
	v_and_b32_e32 v21, 7, v58
	v_cmp_gt_u32_e64 s[4:5], 8, v20
	v_cndmask_b32_e64 v5, v5, v18, s[4:5]
	v_cndmask_b32_e64 v4, v4, v21, s[4:5]
	v_lshlrev_b32_e32 v10, 24, v10
	v_lshlrev_b32_e32 v4, 20, v4
	v_and_b32_e32 v10, 0x80000000, v10
	v_lshl_add_u32 v5, v5, 23, v27
	v_or3_b32 v18, v10, v5, v4
.LBB345_648:                            ;   in Loop: Header=BB345_364 Depth=1
	s_or_b64 exec, exec, s[26:27]
.LBB345_649:                            ;   in Loop: Header=BB345_364 Depth=1
	s_or_b64 exec, exec, s[24:25]
.LBB345_650:                            ;   in Loop: Header=BB345_364 Depth=1
	s_or_b64 exec, exec, s[22:23]
	v_mul_f32_e32 v10, v24, v18
	v_and_b32_e32 v4, 0x7f800000, v10
	v_cmp_ne_u32_e64 s[4:5], s7, v4
                                        ; implicit-def: $vgpr57
	s_and_saveexec_b64 s[22:23], s[4:5]
	s_xor_b64 s[4:5], exec, s[22:23]
; %bb.651:                              ;   in Loop: Header=BB345_364 Depth=1
	v_bfe_u32 v4, v10, 16, 1
	v_add3_u32 v57, v10, v4, s15
                                        ; implicit-def: $vgpr10
; %bb.652:                              ;   in Loop: Header=BB345_364 Depth=1
	s_andn2_saveexec_b64 s[22:23], s[4:5]
; %bb.653:                              ;   in Loop: Header=BB345_364 Depth=1
	v_or_b32_e32 v4, 0x10000, v10
	v_cmp_eq_u32_sdwa s[4:5], v10, v19 src0_sel:WORD_0 src1_sel:DWORD
	v_cndmask_b32_e64 v57, v4, v10, s[4:5]
; %bb.654:                              ;   in Loop: Header=BB345_364 Depth=1
	s_or_b64 exec, exec, s[22:23]
	v_cmp_lt_u32_e64 s[4:5], s11, v8
	v_mov_b32_e32 v18, 0
	s_and_saveexec_b64 s[22:23], s[4:5]
	s_cbranch_execz .LBB345_660
; %bb.655:                              ;   in Loop: Header=BB345_364 Depth=1
	v_lshrrev_b32_e32 v10, 24, v8
	v_cmp_ne_u32_e64 s[4:5], s19, v10
	v_bfrev_b32_e32 v18, 1
	s_and_saveexec_b64 s[24:25], s[4:5]
	s_cbranch_execz .LBB345_659
; %bb.656:                              ;   in Loop: Header=BB345_364 Depth=1
	v_bfe_u32 v20, v8, 24, 7
	v_cmp_ne_u32_e64 s[4:5], s28, v20
	v_mov_b32_e32 v18, 0x7f800001
	s_and_saveexec_b64 s[26:27], s[4:5]
	s_cbranch_execz .LBB345_658
; %bb.657:                              ;   in Loop: Header=BB345_364 Depth=1
	v_and_b32_e32 v4, 7, v10
	v_ffbh_u32_e32 v18, v4
	v_min_u32_e32 v18, 32, v18
	v_subrev_u32_e32 v21, 28, v18
	v_lshlrev_b64 v[58:59], v21, v[10:11]
	v_lshrrev_b32_e32 v5, 3, v20
	v_sub_u32_e32 v18, 29, v18
	v_and_b32_e32 v21, 7, v58
	v_cmp_gt_u32_e64 s[4:5], 8, v20
	v_cndmask_b32_e64 v5, v5, v18, s[4:5]
	v_cndmask_b32_e64 v4, v4, v21, s[4:5]
	v_lshlrev_b32_e32 v10, 24, v10
	v_lshlrev_b32_e32 v4, 20, v4
	v_and_b32_e32 v10, 0x80000000, v10
	v_lshl_add_u32 v5, v5, 23, v27
	v_or3_b32 v18, v10, v5, v4
.LBB345_658:                            ;   in Loop: Header=BB345_364 Depth=1
	s_or_b64 exec, exec, s[26:27]
.LBB345_659:                            ;   in Loop: Header=BB345_364 Depth=1
	s_or_b64 exec, exec, s[24:25]
.LBB345_660:                            ;   in Loop: Header=BB345_364 Depth=1
	s_or_b64 exec, exec, s[22:23]
	v_mul_f32_e32 v10, v24, v18
	v_and_b32_e32 v4, 0x7f800000, v10
	v_cmp_ne_u32_e64 s[4:5], s7, v4
                                        ; implicit-def: $vgpr23
	s_and_saveexec_b64 s[22:23], s[4:5]
	s_xor_b64 s[4:5], exec, s[22:23]
; %bb.661:                              ;   in Loop: Header=BB345_364 Depth=1
	v_bfe_u32 v4, v10, 16, 1
	v_add3_u32 v23, v10, v4, s15
                                        ; implicit-def: $vgpr10
; %bb.662:                              ;   in Loop: Header=BB345_364 Depth=1
	s_andn2_saveexec_b64 s[22:23], s[4:5]
; %bb.663:                              ;   in Loop: Header=BB345_364 Depth=1
	v_or_b32_e32 v4, 0x10000, v10
	v_cmp_eq_u32_sdwa s[4:5], v10, v19 src0_sel:WORD_0 src1_sel:DWORD
	v_cndmask_b32_e64 v23, v4, v10, s[4:5]
; %bb.664:                              ;   in Loop: Header=BB345_364 Depth=1
	s_or_b64 exec, exec, s[22:23]
	v_mov_b32_e32 v18, v9
	v_cmp_ne_u16_sdwa s[4:5], v9, v19 src0_sel:BYTE_0 src1_sel:DWORD
	v_mov_b32_e32 v10, 0
	s_and_saveexec_b64 s[22:23], s[4:5]
	s_cbranch_execz .LBB345_670
; %bb.665:                              ;   in Loop: Header=BB345_364 Depth=1
	v_cmp_ne_u16_sdwa s[4:5], v9, s19 src0_sel:BYTE_0 src1_sel:DWORD
	v_bfrev_b32_e32 v10, 1
	s_and_saveexec_b64 s[24:25], s[4:5]
	s_cbranch_execz .LBB345_669
; %bb.666:                              ;   in Loop: Header=BB345_364 Depth=1
	v_and_b32_e32 v20, 0x7f, v9
	v_cmp_ne_u32_e64 s[4:5], s28, v20
	v_mov_b32_e32 v10, 0x7f800001
	s_and_saveexec_b64 s[26:27], s[4:5]
	s_cbranch_execz .LBB345_668
; %bb.667:                              ;   in Loop: Header=BB345_364 Depth=1
	v_and_b32_e32 v4, 7, v9
	v_ffbh_u32_e32 v4, v4
	v_min_u32_e32 v4, 32, v4
	v_lshrrev_b32_e32 v5, 3, v20
	v_subrev_u32_e32 v10, 28, v4
	v_sub_u32_e32 v4, 29, v4
	v_cmp_gt_u32_e64 s[4:5], 8, v20
	v_cndmask_b32_e64 v4, v5, v4, s[4:5]
	v_cndmask_b32_e64 v5, 0, v10, s[4:5]
	v_lshlrev_b64 v[20:21], v5, v[18:19]
	v_lshlrev_b32_e32 v5, 20, v20
	v_lshlrev_b32_e32 v10, 24, v18
	v_and_b32_e32 v5, 0x700000, v5
	v_and_b32_e32 v10, 0x80000000, v10
	v_lshl_add_u32 v4, v4, 23, v27
	v_or3_b32 v10, v10, v4, v5
.LBB345_668:                            ;   in Loop: Header=BB345_364 Depth=1
	s_or_b64 exec, exec, s[26:27]
.LBB345_669:                            ;   in Loop: Header=BB345_364 Depth=1
	s_or_b64 exec, exec, s[24:25]
.LBB345_670:                            ;   in Loop: Header=BB345_364 Depth=1
	s_or_b64 exec, exec, s[22:23]
	v_mul_f32_e32 v10, v24, v10
	v_and_b32_e32 v4, 0x7f800000, v10
	v_cmp_ne_u32_e64 s[4:5], s7, v4
                                        ; implicit-def: $vgpr25
	s_and_saveexec_b64 s[22:23], s[4:5]
	s_xor_b64 s[4:5], exec, s[22:23]
; %bb.671:                              ;   in Loop: Header=BB345_364 Depth=1
	v_bfe_u32 v4, v10, 16, 1
	v_add3_u32 v25, v10, v4, s15
                                        ; implicit-def: $vgpr10
; %bb.672:                              ;   in Loop: Header=BB345_364 Depth=1
	s_andn2_saveexec_b64 s[22:23], s[4:5]
; %bb.673:                              ;   in Loop: Header=BB345_364 Depth=1
	v_or_b32_e32 v4, 0x10000, v10
	v_cmp_eq_u32_sdwa s[4:5], v10, v19 src0_sel:WORD_0 src1_sel:DWORD
	v_cndmask_b32_e64 v25, v4, v10, s[4:5]
; %bb.674:                              ;   in Loop: Header=BB345_364 Depth=1
	s_or_b64 exec, exec, s[22:23]
	v_lshrrev_b16_e32 v10, 8, v18
	v_cmp_ne_u16_e64 s[4:5], 0, v10
	v_mov_b32_e32 v20, 0
	s_and_saveexec_b64 s[22:23], s[4:5]
	s_cbranch_execz .LBB345_680
; %bb.675:                              ;   in Loop: Header=BB345_364 Depth=1
	v_cmp_ne_u16_e64 s[4:5], s19, v10
	v_bfrev_b32_e32 v20, 1
	s_and_saveexec_b64 s[24:25], s[4:5]
	s_cbranch_execz .LBB345_679
; %bb.676:                              ;   in Loop: Header=BB345_364 Depth=1
	v_and_b32_e32 v21, 0x7f, v10
	v_cmp_ne_u32_e64 s[4:5], s28, v21
	v_mov_b32_e32 v20, 0x7f800001
	s_and_saveexec_b64 s[26:27], s[4:5]
	s_cbranch_execz .LBB345_678
; %bb.677:                              ;   in Loop: Header=BB345_364 Depth=1
	v_and_b32_e32 v4, 7, v10
	v_ffbh_u32_e32 v20, v4
	v_min_u32_e32 v20, 32, v20
	v_subrev_u32_e32 v22, 28, v20
	v_lshlrev_b64 v[58:59], v22, v[10:11]
	v_lshrrev_b32_e32 v5, 3, v21
	v_sub_u32_e32 v10, 29, v20
	v_and_b32_e32 v20, 7, v58
	v_cmp_gt_u32_e64 s[4:5], 8, v21
	v_cndmask_b32_e64 v5, v5, v10, s[4:5]
	v_cndmask_b32_e64 v4, v4, v20, s[4:5]
	v_lshlrev_b32_e32 v10, 16, v18
	v_lshlrev_b32_e32 v4, 20, v4
	v_and_b32_e32 v10, 0x80000000, v10
	v_lshl_add_u32 v5, v5, 23, v27
	v_or3_b32 v20, v10, v5, v4
.LBB345_678:                            ;   in Loop: Header=BB345_364 Depth=1
	s_or_b64 exec, exec, s[26:27]
.LBB345_679:                            ;   in Loop: Header=BB345_364 Depth=1
	s_or_b64 exec, exec, s[24:25]
.LBB345_680:                            ;   in Loop: Header=BB345_364 Depth=1
	s_or_b64 exec, exec, s[22:23]
	v_mul_f32_e32 v10, v24, v20
	v_and_b32_e32 v4, 0x7f800000, v10
	v_cmp_ne_u32_e64 s[4:5], s7, v4
                                        ; implicit-def: $vgpr18
	s_and_saveexec_b64 s[22:23], s[4:5]
	s_xor_b64 s[4:5], exec, s[22:23]
; %bb.681:                              ;   in Loop: Header=BB345_364 Depth=1
	v_bfe_u32 v4, v10, 16, 1
	v_add3_u32 v18, v10, v4, s15
                                        ; implicit-def: $vgpr10
; %bb.682:                              ;   in Loop: Header=BB345_364 Depth=1
	s_andn2_saveexec_b64 s[22:23], s[4:5]
; %bb.683:                              ;   in Loop: Header=BB345_364 Depth=1
	v_or_b32_e32 v4, 0x10000, v10
	v_cmp_eq_u32_sdwa s[4:5], v10, v19 src0_sel:WORD_0 src1_sel:DWORD
	v_cndmask_b32_e64 v18, v4, v10, s[4:5]
; %bb.684:                              ;   in Loop: Header=BB345_364 Depth=1
	s_or_b64 exec, exec, s[22:23]
	v_lshrrev_b32_e32 v10, 16, v9
	v_cmp_ne_u16_sdwa s[4:5], v10, v19 src0_sel:BYTE_0 src1_sel:DWORD
	v_mov_b32_e32 v20, 0
	s_and_saveexec_b64 s[22:23], s[4:5]
	s_cbranch_execz .LBB345_690
; %bb.685:                              ;   in Loop: Header=BB345_364 Depth=1
	v_cmp_ne_u16_sdwa s[4:5], v10, s19 src0_sel:BYTE_0 src1_sel:DWORD
	v_bfrev_b32_e32 v20, 1
	s_and_saveexec_b64 s[24:25], s[4:5]
	s_cbranch_execz .LBB345_689
; %bb.686:                              ;   in Loop: Header=BB345_364 Depth=1
	v_bfe_u32 v21, v9, 16, 7
	v_cmp_ne_u32_e64 s[4:5], s28, v21
	v_mov_b32_e32 v20, 0x7f800001
	s_and_saveexec_b64 s[26:27], s[4:5]
	s_cbranch_execz .LBB345_688
; %bb.687:                              ;   in Loop: Header=BB345_364 Depth=1
	v_and_b32_e32 v4, 7, v10
	v_ffbh_u32_e32 v20, v4
	v_min_u32_e32 v20, 32, v20
	v_subrev_u32_e32 v22, 28, v20
	v_lshlrev_b64 v[58:59], v22, v[10:11]
	v_lshrrev_b32_e32 v5, 3, v21
	v_sub_u32_e32 v20, 29, v20
	v_and_b32_e32 v22, 7, v58
	v_cmp_gt_u32_e64 s[4:5], 8, v21
	v_cndmask_b32_e64 v5, v5, v20, s[4:5]
	v_cndmask_b32_e64 v4, v4, v22, s[4:5]
	v_lshlrev_b32_e32 v10, 24, v10
	v_lshlrev_b32_e32 v4, 20, v4
	v_and_b32_e32 v10, 0x80000000, v10
	v_lshl_add_u32 v5, v5, 23, v27
	v_or3_b32 v20, v10, v5, v4
.LBB345_688:                            ;   in Loop: Header=BB345_364 Depth=1
	s_or_b64 exec, exec, s[26:27]
.LBB345_689:                            ;   in Loop: Header=BB345_364 Depth=1
	s_or_b64 exec, exec, s[24:25]
.LBB345_690:                            ;   in Loop: Header=BB345_364 Depth=1
	s_or_b64 exec, exec, s[22:23]
	v_mul_f32_e32 v20, v24, v20
	v_and_b32_e32 v4, 0x7f800000, v20
	v_cmp_ne_u32_e64 s[4:5], s7, v4
                                        ; implicit-def: $vgpr10
	s_and_saveexec_b64 s[22:23], s[4:5]
	s_xor_b64 s[4:5], exec, s[22:23]
; %bb.691:                              ;   in Loop: Header=BB345_364 Depth=1
	v_bfe_u32 v4, v20, 16, 1
	v_add3_u32 v10, v20, v4, s15
                                        ; implicit-def: $vgpr20
; %bb.692:                              ;   in Loop: Header=BB345_364 Depth=1
	s_andn2_saveexec_b64 s[22:23], s[4:5]
; %bb.693:                              ;   in Loop: Header=BB345_364 Depth=1
	v_or_b32_e32 v4, 0x10000, v20
	v_cmp_eq_u32_sdwa s[4:5], v20, v19 src0_sel:WORD_0 src1_sel:DWORD
	v_cndmask_b32_e64 v10, v4, v20, s[4:5]
; %bb.694:                              ;   in Loop: Header=BB345_364 Depth=1
	s_or_b64 exec, exec, s[22:23]
	v_cmp_lt_u64_e64 s[4:5], s[10:11], v[8:9]
	v_mov_b32_e32 v20, 0
	s_and_saveexec_b64 s[22:23], s[4:5]
	s_cbranch_execz .LBB345_700
; %bb.695:                              ;   in Loop: Header=BB345_364 Depth=1
	v_lshrrev_b32_e32 v8, 24, v9
	v_cmp_ne_u32_e64 s[4:5], s19, v8
	v_bfrev_b32_e32 v20, 1
	s_and_saveexec_b64 s[24:25], s[4:5]
	s_cbranch_execz .LBB345_699
; %bb.696:                              ;   in Loop: Header=BB345_364 Depth=1
	v_bfe_u32 v9, v9, 24, 7
	v_cmp_ne_u32_e64 s[4:5], s28, v9
	v_mov_b32_e32 v20, 0x7f800001
	s_and_saveexec_b64 s[26:27], s[4:5]
	s_cbranch_execz .LBB345_698
; %bb.697:                              ;   in Loop: Header=BB345_364 Depth=1
	v_and_b32_e32 v4, 7, v8
	v_ffbh_u32_e32 v20, v4
	v_min_u32_e32 v22, 32, v20
	v_subrev_u32_e32 v20, 28, v22
	v_lshlrev_b64 v[20:21], v20, v[8:9]
	v_lshrrev_b32_e32 v5, 3, v9
	v_sub_u32_e32 v21, 29, v22
	v_and_b32_e32 v20, 7, v20
	v_cmp_gt_u32_e64 s[4:5], 8, v9
	v_cndmask_b32_e64 v5, v5, v21, s[4:5]
	v_cndmask_b32_e64 v4, v4, v20, s[4:5]
	v_lshlrev_b32_e32 v8, 24, v8
	v_lshlrev_b32_e32 v4, 20, v4
	v_and_b32_e32 v8, 0x80000000, v8
	v_lshl_add_u32 v5, v5, 23, v27
	v_or3_b32 v20, v8, v5, v4
.LBB345_698:                            ;   in Loop: Header=BB345_364 Depth=1
	s_or_b64 exec, exec, s[26:27]
.LBB345_699:                            ;   in Loop: Header=BB345_364 Depth=1
	s_or_b64 exec, exec, s[24:25]
.LBB345_700:                            ;   in Loop: Header=BB345_364 Depth=1
	s_or_b64 exec, exec, s[22:23]
	v_mul_f32_e32 v9, v24, v20
	v_and_b32_e32 v4, 0x7f800000, v9
	v_cmp_ne_u32_e64 s[4:5], s7, v4
                                        ; implicit-def: $vgpr8
	s_and_saveexec_b64 s[22:23], s[4:5]
	s_xor_b64 s[4:5], exec, s[22:23]
; %bb.701:                              ;   in Loop: Header=BB345_364 Depth=1
	v_bfe_u32 v4, v9, 16, 1
	v_add3_u32 v8, v9, v4, s15
                                        ; implicit-def: $vgpr9
; %bb.702:                              ;   in Loop: Header=BB345_364 Depth=1
	s_andn2_saveexec_b64 s[22:23], s[4:5]
; %bb.703:                              ;   in Loop: Header=BB345_364 Depth=1
	v_or_b32_e32 v4, 0x10000, v9
	v_cmp_eq_u32_sdwa s[4:5], v9, v19 src0_sel:WORD_0 src1_sel:DWORD
	v_cndmask_b32_e64 v8, v4, v9, s[4:5]
; %bb.704:                              ;   in Loop: Header=BB345_364 Depth=1
	s_or_b64 exec, exec, s[22:23]
	v_lshrrev_b32_e32 v20, 16, v18
	v_lshrrev_b32_e32 v21, 16, v25
	v_lshrrev_b32_e32 v23, 16, v23
	v_lshrrev_b32_e32 v25, 16, v57
	v_lshrrev_b32_e32 v56, 16, v56
	v_lshrrev_b32_e32 v9, 16, v47
	v_lshrrev_b32_e32 v18, 16, v10
	v_lshrrev_b32_e32 v8, 16, v8
	s_and_saveexec_b64 s[22:23], vcc
	s_cbranch_execz .LBB345_706
; %bb.705:                              ;   in Loop: Header=BB345_364 Depth=1
	v_cmp_lt_i32_e64 s[4:5], v29, v30
	v_cndmask_b32_e64 v9, 0, v9, s[4:5]
	v_cmp_lt_i32_e64 s[4:5], v37, v30
	v_cndmask_b32_e64 v56, 0, v56, s[4:5]
	v_cmp_lt_i32_e64 s[4:5], v36, v30
	v_cndmask_b32_e64 v25, 0, v25, s[4:5]
	v_cmp_lt_i32_e64 s[4:5], v31, v30
	v_cndmask_b32_e64 v23, 0, v23, s[4:5]
	v_cmp_lt_i32_e64 s[4:5], v35, v30
	v_accvgpr_read_b32 v4, a11
	v_cndmask_b32_e64 v21, 0, v21, s[4:5]
	v_cmp_lt_i32_e64 s[4:5], v4, v30
	v_accvgpr_read_b32 v4, a10
	v_cndmask_b32_e64 v20, 0, v20, s[4:5]
	v_cmp_lt_i32_e64 s[4:5], v4, v30
	v_cndmask_b32_e64 v18, 0, v18, s[4:5]
	v_cmp_lt_i32_e64 s[4:5], v17, v30
	v_cndmask_b32_e64 v8, 0, v8, s[4:5]
.LBB345_706:                            ;   in Loop: Header=BB345_364 Depth=1
	s_or_b64 exec, exec, s[22:23]
	v_lshlrev_b32_e32 v4, 16, v9
	v_mul_f32_e32 v10, v39, v4
	v_and_b32_e32 v4, 0x7f800000, v10
	v_cmp_ne_u32_e64 s[4:5], s7, v4
                                        ; implicit-def: $vgpr9
	s_and_saveexec_b64 s[22:23], s[4:5]
	s_xor_b64 s[4:5], exec, s[22:23]
; %bb.707:                              ;   in Loop: Header=BB345_364 Depth=1
	v_bfe_u32 v4, v10, 16, 1
	v_add3_u32 v9, v10, v4, s15
                                        ; implicit-def: $vgpr10
; %bb.708:                              ;   in Loop: Header=BB345_364 Depth=1
	s_andn2_saveexec_b64 s[22:23], s[4:5]
; %bb.709:                              ;   in Loop: Header=BB345_364 Depth=1
	v_or_b32_e32 v4, 0x10000, v10
	v_cmp_eq_u32_sdwa s[4:5], v10, v19 src0_sel:WORD_0 src1_sel:DWORD
	v_cndmask_b32_e64 v9, v4, v10, s[4:5]
; %bb.710:                              ;   in Loop: Header=BB345_364 Depth=1
	s_or_b64 exec, exec, s[22:23]
	v_lshlrev_b32_e32 v4, 16, v56
	v_mul_f32_e32 v47, v48, v4
	v_and_b32_e32 v4, 0x7f800000, v47
	v_cmp_ne_u32_e64 s[4:5], s7, v4
                                        ; implicit-def: $vgpr10
	s_and_saveexec_b64 s[22:23], s[4:5]
	s_xor_b64 s[4:5], exec, s[22:23]
; %bb.711:                              ;   in Loop: Header=BB345_364 Depth=1
	v_bfe_u32 v4, v47, 16, 1
	v_add3_u32 v10, v47, v4, s15
                                        ; implicit-def: $vgpr47
; %bb.712:                              ;   in Loop: Header=BB345_364 Depth=1
	s_andn2_saveexec_b64 s[22:23], s[4:5]
; %bb.713:                              ;   in Loop: Header=BB345_364 Depth=1
	v_or_b32_e32 v4, 0x10000, v47
	v_cmp_eq_u32_sdwa s[4:5], v47, v19 src0_sel:WORD_0 src1_sel:DWORD
	v_cndmask_b32_e64 v10, v4, v47, s[4:5]
; %bb.714:                              ;   in Loop: Header=BB345_364 Depth=1
	s_or_b64 exec, exec, s[22:23]
	v_lshlrev_b32_e32 v4, 16, v25
	v_mul_f32_e32 v25, v49, v4
	v_and_b32_e32 v4, 0x7f800000, v25
	v_cmp_ne_u32_e64 s[4:5], s7, v4
                                        ; implicit-def: $vgpr47
	s_and_saveexec_b64 s[22:23], s[4:5]
	s_xor_b64 s[4:5], exec, s[22:23]
; %bb.715:                              ;   in Loop: Header=BB345_364 Depth=1
	v_bfe_u32 v4, v25, 16, 1
	v_add3_u32 v47, v25, v4, s15
                                        ; implicit-def: $vgpr25
; %bb.716:                              ;   in Loop: Header=BB345_364 Depth=1
	s_andn2_saveexec_b64 s[22:23], s[4:5]
; %bb.717:                              ;   in Loop: Header=BB345_364 Depth=1
	v_or_b32_e32 v4, 0x10000, v25
	v_cmp_eq_u32_sdwa s[4:5], v25, v19 src0_sel:WORD_0 src1_sel:DWORD
	v_cndmask_b32_e64 v47, v4, v25, s[4:5]
; %bb.718:                              ;   in Loop: Header=BB345_364 Depth=1
	s_or_b64 exec, exec, s[22:23]
	v_lshlrev_b32_e32 v4, 16, v23
	v_mul_f32_e32 v23, v50, v4
	v_and_b32_e32 v4, 0x7f800000, v23
	v_cmp_ne_u32_e64 s[4:5], s7, v4
                                        ; implicit-def: $vgpr56
	s_and_saveexec_b64 s[22:23], s[4:5]
	s_xor_b64 s[4:5], exec, s[22:23]
; %bb.719:                              ;   in Loop: Header=BB345_364 Depth=1
	v_bfe_u32 v4, v23, 16, 1
	v_add3_u32 v56, v23, v4, s15
                                        ; implicit-def: $vgpr23
; %bb.720:                              ;   in Loop: Header=BB345_364 Depth=1
	s_andn2_saveexec_b64 s[22:23], s[4:5]
; %bb.721:                              ;   in Loop: Header=BB345_364 Depth=1
	v_or_b32_e32 v4, 0x10000, v23
	v_cmp_eq_u32_sdwa s[4:5], v23, v19 src0_sel:WORD_0 src1_sel:DWORD
	v_cndmask_b32_e64 v56, v4, v23, s[4:5]
; %bb.722:                              ;   in Loop: Header=BB345_364 Depth=1
	s_or_b64 exec, exec, s[22:23]
	v_lshlrev_b32_e32 v4, 16, v21
	v_mul_f32_e32 v21, v51, v4
	v_and_b32_e32 v4, 0x7f800000, v21
	v_cmp_ne_u32_e64 s[4:5], s7, v4
                                        ; implicit-def: $vgpr57
	s_and_saveexec_b64 s[22:23], s[4:5]
	s_xor_b64 s[4:5], exec, s[22:23]
; %bb.723:                              ;   in Loop: Header=BB345_364 Depth=1
	v_bfe_u32 v4, v21, 16, 1
	v_add3_u32 v57, v21, v4, s15
                                        ; implicit-def: $vgpr21
; %bb.724:                              ;   in Loop: Header=BB345_364 Depth=1
	s_andn2_saveexec_b64 s[22:23], s[4:5]
; %bb.725:                              ;   in Loop: Header=BB345_364 Depth=1
	v_or_b32_e32 v4, 0x10000, v21
	v_cmp_eq_u32_sdwa s[4:5], v21, v19 src0_sel:WORD_0 src1_sel:DWORD
	v_cndmask_b32_e64 v57, v4, v21, s[4:5]
; %bb.726:                              ;   in Loop: Header=BB345_364 Depth=1
	s_or_b64 exec, exec, s[22:23]
	v_lshlrev_b32_e32 v4, 16, v20
	v_mul_f32_e32 v20, v52, v4
	v_and_b32_e32 v4, 0x7f800000, v20
	v_cmp_ne_u32_e64 s[4:5], s7, v4
                                        ; implicit-def: $vgpr58
	s_and_saveexec_b64 s[22:23], s[4:5]
	s_xor_b64 s[4:5], exec, s[22:23]
; %bb.727:                              ;   in Loop: Header=BB345_364 Depth=1
	v_bfe_u32 v4, v20, 16, 1
	v_add3_u32 v58, v20, v4, s15
                                        ; implicit-def: $vgpr20
; %bb.728:                              ;   in Loop: Header=BB345_364 Depth=1
	s_andn2_saveexec_b64 s[22:23], s[4:5]
; %bb.729:                              ;   in Loop: Header=BB345_364 Depth=1
	v_or_b32_e32 v4, 0x10000, v20
	v_cmp_eq_u32_sdwa s[4:5], v20, v19 src0_sel:WORD_0 src1_sel:DWORD
	v_cndmask_b32_e64 v58, v4, v20, s[4:5]
; %bb.730:                              ;   in Loop: Header=BB345_364 Depth=1
	s_or_b64 exec, exec, s[22:23]
	v_lshlrev_b32_e32 v4, 16, v18
	v_mul_f32_e32 v18, v53, v4
	v_and_b32_e32 v4, 0x7f800000, v18
	v_cmp_ne_u32_e64 s[4:5], s7, v4
                                        ; implicit-def: $vgpr59
	s_and_saveexec_b64 s[22:23], s[4:5]
	s_xor_b64 s[4:5], exec, s[22:23]
; %bb.731:                              ;   in Loop: Header=BB345_364 Depth=1
	v_bfe_u32 v4, v18, 16, 1
	v_add3_u32 v59, v18, v4, s15
                                        ; implicit-def: $vgpr18
; %bb.732:                              ;   in Loop: Header=BB345_364 Depth=1
	s_andn2_saveexec_b64 s[22:23], s[4:5]
; %bb.733:                              ;   in Loop: Header=BB345_364 Depth=1
	v_or_b32_e32 v4, 0x10000, v18
	v_cmp_eq_u32_sdwa s[4:5], v18, v19 src0_sel:WORD_0 src1_sel:DWORD
	v_cndmask_b32_e64 v59, v4, v18, s[4:5]
; %bb.734:                              ;   in Loop: Header=BB345_364 Depth=1
	s_or_b64 exec, exec, s[22:23]
	v_lshlrev_b32_e32 v4, 16, v8
	v_mul_f32_e32 v8, v54, v4
	v_and_b32_e32 v4, 0x7f800000, v8
	v_cmp_ne_u32_e64 s[4:5], s7, v4
                                        ; implicit-def: $vgpr60
	s_and_saveexec_b64 s[22:23], s[4:5]
	s_xor_b64 s[4:5], exec, s[22:23]
; %bb.735:                              ;   in Loop: Header=BB345_364 Depth=1
	v_bfe_u32 v4, v8, 16, 1
	v_add3_u32 v60, v8, v4, s15
                                        ; implicit-def: $vgpr8
; %bb.736:                              ;   in Loop: Header=BB345_364 Depth=1
	s_andn2_saveexec_b64 s[22:23], s[4:5]
; %bb.737:                              ;   in Loop: Header=BB345_364 Depth=1
	v_or_b32_e32 v4, 0x10000, v8
	v_cmp_eq_u32_sdwa s[4:5], v8, v19 src0_sel:WORD_0 src1_sel:DWORD
	v_cndmask_b32_e64 v60, v4, v8, s[4:5]
; %bb.738:                              ;   in Loop: Header=BB345_364 Depth=1
	s_or_b64 exec, exec, s[22:23]
	flat_load_dwordx2 v[6:7], v[6:7] offset:1536
	v_mov_b32_e32 v8, 0
	s_waitcnt vmcnt(0) lgkmcnt(0)
	v_cmp_ne_u16_sdwa s[4:5], v6, v19 src0_sel:BYTE_0 src1_sel:DWORD
	s_and_saveexec_b64 s[22:23], s[4:5]
	s_cbranch_execz .LBB345_744
; %bb.739:                              ;   in Loop: Header=BB345_364 Depth=1
	v_cmp_ne_u16_sdwa s[4:5], v6, s19 src0_sel:BYTE_0 src1_sel:DWORD
	v_bfrev_b32_e32 v8, 1
	s_and_saveexec_b64 s[24:25], s[4:5]
	s_cbranch_execz .LBB345_743
; %bb.740:                              ;   in Loop: Header=BB345_364 Depth=1
	v_and_b32_e32 v18, 0x7f, v6
	v_cmp_ne_u32_e64 s[4:5], s28, v18
	v_mov_b32_e32 v8, 0x7f800001
	s_and_saveexec_b64 s[26:27], s[4:5]
	s_cbranch_execz .LBB345_742
; %bb.741:                              ;   in Loop: Header=BB345_364 Depth=1
	v_and_b32_e32 v4, 7, v6
	v_ffbh_u32_e32 v4, v4
	v_min_u32_e32 v4, 32, v4
	v_lshrrev_b32_e32 v5, 3, v18
	v_subrev_u32_e32 v8, 28, v4
	v_sub_u32_e32 v4, 29, v4
	v_cmp_gt_u32_e64 s[4:5], 8, v18
	v_cndmask_b32_e64 v4, v5, v4, s[4:5]
	v_cndmask_b32_e64 v5, 0, v8, s[4:5]
	v_lshlrev_b64 v[20:21], v5, v[6:7]
	v_lshlrev_b32_e32 v5, 20, v20
	v_lshlrev_b32_e32 v8, 24, v6
	v_and_b32_e32 v5, 0x700000, v5
	v_and_b32_e32 v8, 0x80000000, v8
	v_lshl_add_u32 v4, v4, 23, v27
	v_or3_b32 v8, v8, v4, v5
.LBB345_742:                            ;   in Loop: Header=BB345_364 Depth=1
	s_or_b64 exec, exec, s[26:27]
.LBB345_743:                            ;   in Loop: Header=BB345_364 Depth=1
	s_or_b64 exec, exec, s[24:25]
.LBB345_744:                            ;   in Loop: Header=BB345_364 Depth=1
	s_or_b64 exec, exec, s[22:23]
	v_mul_f32_e32 v8, v24, v8
	v_and_b32_e32 v4, 0x7f800000, v8
	v_cmp_ne_u32_e64 s[4:5], s7, v4
                                        ; implicit-def: $vgpr61
	s_and_saveexec_b64 s[22:23], s[4:5]
	s_xor_b64 s[4:5], exec, s[22:23]
; %bb.745:                              ;   in Loop: Header=BB345_364 Depth=1
	v_bfe_u32 v4, v8, 16, 1
	v_add3_u32 v61, v8, v4, s15
                                        ; implicit-def: $vgpr8
; %bb.746:                              ;   in Loop: Header=BB345_364 Depth=1
	s_andn2_saveexec_b64 s[22:23], s[4:5]
; %bb.747:                              ;   in Loop: Header=BB345_364 Depth=1
	v_or_b32_e32 v4, 0x10000, v8
	v_cmp_eq_u32_sdwa s[4:5], v8, v19 src0_sel:WORD_0 src1_sel:DWORD
	v_cndmask_b32_e64 v61, v4, v8, s[4:5]
; %bb.748:                              ;   in Loop: Header=BB345_364 Depth=1
	s_or_b64 exec, exec, s[22:23]
	v_lshrrev_b16_e32 v8, 8, v6
	v_cmp_ne_u16_e64 s[4:5], 0, v8
	v_mov_b32_e32 v18, 0
	s_and_saveexec_b64 s[22:23], s[4:5]
	s_cbranch_execz .LBB345_754
; %bb.749:                              ;   in Loop: Header=BB345_364 Depth=1
	v_cmp_ne_u16_e64 s[4:5], s19, v8
	v_bfrev_b32_e32 v18, 1
	s_and_saveexec_b64 s[24:25], s[4:5]
	s_cbranch_execz .LBB345_753
; %bb.750:                              ;   in Loop: Header=BB345_364 Depth=1
	v_and_b32_e32 v20, 0x7f, v8
	v_cmp_ne_u32_e64 s[4:5], s28, v20
	v_mov_b32_e32 v18, 0x7f800001
	s_and_saveexec_b64 s[26:27], s[4:5]
	s_cbranch_execz .LBB345_752
; %bb.751:                              ;   in Loop: Header=BB345_364 Depth=1
	v_and_b32_e32 v4, 7, v8
	v_ffbh_u32_e32 v18, v4
	v_min_u32_e32 v18, 32, v18
	v_subrev_u32_e32 v21, 28, v18
	v_lshlrev_b64 v[22:23], v21, v[8:9]
	v_lshrrev_b32_e32 v5, 3, v20
	v_sub_u32_e32 v8, 29, v18
	v_and_b32_e32 v18, 7, v22
	v_cmp_gt_u32_e64 s[4:5], 8, v20
	v_cndmask_b32_e64 v5, v5, v8, s[4:5]
	v_cndmask_b32_e64 v4, v4, v18, s[4:5]
	v_lshlrev_b32_e32 v8, 16, v6
	v_lshlrev_b32_e32 v4, 20, v4
	v_and_b32_e32 v8, 0x80000000, v8
	v_lshl_add_u32 v5, v5, 23, v27
	v_or3_b32 v18, v8, v5, v4
.LBB345_752:                            ;   in Loop: Header=BB345_364 Depth=1
	s_or_b64 exec, exec, s[26:27]
.LBB345_753:                            ;   in Loop: Header=BB345_364 Depth=1
	s_or_b64 exec, exec, s[24:25]
.LBB345_754:                            ;   in Loop: Header=BB345_364 Depth=1
	s_or_b64 exec, exec, s[22:23]
	v_mul_f32_e32 v8, v24, v18
	v_and_b32_e32 v4, 0x7f800000, v8
	v_cmp_ne_u32_e64 s[4:5], s7, v4
                                        ; implicit-def: $vgpr62
	s_and_saveexec_b64 s[22:23], s[4:5]
	s_xor_b64 s[4:5], exec, s[22:23]
; %bb.755:                              ;   in Loop: Header=BB345_364 Depth=1
	v_bfe_u32 v4, v8, 16, 1
	v_add3_u32 v62, v8, v4, s15
                                        ; implicit-def: $vgpr8
; %bb.756:                              ;   in Loop: Header=BB345_364 Depth=1
	s_andn2_saveexec_b64 s[22:23], s[4:5]
; %bb.757:                              ;   in Loop: Header=BB345_364 Depth=1
	v_or_b32_e32 v4, 0x10000, v8
	v_cmp_eq_u32_sdwa s[4:5], v8, v19 src0_sel:WORD_0 src1_sel:DWORD
	v_cndmask_b32_e64 v62, v4, v8, s[4:5]
; %bb.758:                              ;   in Loop: Header=BB345_364 Depth=1
	s_or_b64 exec, exec, s[22:23]
	v_lshrrev_b32_e32 v8, 16, v6
	v_cmp_ne_u16_sdwa s[4:5], v8, v19 src0_sel:BYTE_0 src1_sel:DWORD
	v_mov_b32_e32 v18, 0
	s_and_saveexec_b64 s[22:23], s[4:5]
	s_cbranch_execz .LBB345_764
; %bb.759:                              ;   in Loop: Header=BB345_364 Depth=1
	v_cmp_ne_u16_sdwa s[4:5], v8, s19 src0_sel:BYTE_0 src1_sel:DWORD
	v_bfrev_b32_e32 v18, 1
	s_and_saveexec_b64 s[24:25], s[4:5]
	s_cbranch_execz .LBB345_763
; %bb.760:                              ;   in Loop: Header=BB345_364 Depth=1
	v_bfe_u32 v20, v6, 16, 7
	v_cmp_ne_u32_e64 s[4:5], s28, v20
	v_mov_b32_e32 v18, 0x7f800001
	s_and_saveexec_b64 s[26:27], s[4:5]
	s_cbranch_execz .LBB345_762
; %bb.761:                              ;   in Loop: Header=BB345_364 Depth=1
	v_and_b32_e32 v4, 7, v8
	v_ffbh_u32_e32 v18, v4
	v_min_u32_e32 v18, 32, v18
	v_subrev_u32_e32 v21, 28, v18
	v_lshlrev_b64 v[22:23], v21, v[8:9]
	v_lshrrev_b32_e32 v5, 3, v20
	v_sub_u32_e32 v18, 29, v18
	v_and_b32_e32 v21, 7, v22
	v_cmp_gt_u32_e64 s[4:5], 8, v20
	v_cndmask_b32_e64 v5, v5, v18, s[4:5]
	v_cndmask_b32_e64 v4, v4, v21, s[4:5]
	v_lshlrev_b32_e32 v8, 24, v8
	v_lshlrev_b32_e32 v4, 20, v4
	v_and_b32_e32 v8, 0x80000000, v8
	v_lshl_add_u32 v5, v5, 23, v27
	v_or3_b32 v18, v8, v5, v4
.LBB345_762:                            ;   in Loop: Header=BB345_364 Depth=1
	s_or_b64 exec, exec, s[26:27]
.LBB345_763:                            ;   in Loop: Header=BB345_364 Depth=1
	s_or_b64 exec, exec, s[24:25]
.LBB345_764:                            ;   in Loop: Header=BB345_364 Depth=1
	s_or_b64 exec, exec, s[22:23]
	v_mul_f32_e32 v8, v24, v18
	v_and_b32_e32 v4, 0x7f800000, v8
	v_cmp_ne_u32_e64 s[4:5], s7, v4
                                        ; implicit-def: $vgpr23
	s_and_saveexec_b64 s[22:23], s[4:5]
	s_xor_b64 s[4:5], exec, s[22:23]
; %bb.765:                              ;   in Loop: Header=BB345_364 Depth=1
	v_bfe_u32 v4, v8, 16, 1
	v_add3_u32 v23, v8, v4, s15
                                        ; implicit-def: $vgpr8
; %bb.766:                              ;   in Loop: Header=BB345_364 Depth=1
	s_andn2_saveexec_b64 s[22:23], s[4:5]
; %bb.767:                              ;   in Loop: Header=BB345_364 Depth=1
	v_or_b32_e32 v4, 0x10000, v8
	v_cmp_eq_u32_sdwa s[4:5], v8, v19 src0_sel:WORD_0 src1_sel:DWORD
	v_cndmask_b32_e64 v23, v4, v8, s[4:5]
; %bb.768:                              ;   in Loop: Header=BB345_364 Depth=1
	s_or_b64 exec, exec, s[22:23]
	v_cmp_lt_u32_e64 s[4:5], s11, v6
	v_mov_b32_e32 v18, 0
	s_and_saveexec_b64 s[22:23], s[4:5]
	s_cbranch_execz .LBB345_774
; %bb.769:                              ;   in Loop: Header=BB345_364 Depth=1
	v_lshrrev_b32_e32 v8, 24, v6
	v_cmp_ne_u32_e64 s[4:5], s19, v8
	v_bfrev_b32_e32 v18, 1
	s_and_saveexec_b64 s[24:25], s[4:5]
	s_cbranch_execz .LBB345_773
; %bb.770:                              ;   in Loop: Header=BB345_364 Depth=1
	v_bfe_u32 v20, v6, 24, 7
	v_cmp_ne_u32_e64 s[4:5], s28, v20
	v_mov_b32_e32 v18, 0x7f800001
	s_and_saveexec_b64 s[26:27], s[4:5]
	s_cbranch_execz .LBB345_772
; %bb.771:                              ;   in Loop: Header=BB345_364 Depth=1
	v_and_b32_e32 v18, 7, v8
	v_ffbh_u32_e32 v4, v18
	v_min_u32_e32 v22, 32, v4
	v_subrev_u32_e32 v4, 28, v22
	v_lshlrev_b64 v[4:5], v4, v[8:9]
	v_lshrrev_b32_e32 v21, 3, v20
	v_sub_u32_e32 v5, 29, v22
	v_and_b32_e32 v4, 7, v4
	v_cmp_gt_u32_e64 s[4:5], 8, v20
	v_cndmask_b32_e64 v5, v21, v5, s[4:5]
	v_cndmask_b32_e64 v4, v18, v4, s[4:5]
	v_lshlrev_b32_e32 v8, 24, v8
	v_lshlrev_b32_e32 v4, 20, v4
	v_and_b32_e32 v8, 0x80000000, v8
	v_lshl_add_u32 v5, v5, 23, v27
	v_or3_b32 v18, v8, v5, v4
.LBB345_772:                            ;   in Loop: Header=BB345_364 Depth=1
	s_or_b64 exec, exec, s[26:27]
.LBB345_773:                            ;   in Loop: Header=BB345_364 Depth=1
	s_or_b64 exec, exec, s[24:25]
.LBB345_774:                            ;   in Loop: Header=BB345_364 Depth=1
	s_or_b64 exec, exec, s[22:23]
	v_mul_f32_e32 v8, v24, v18
	v_and_b32_e32 v4, 0x7f800000, v8
	v_cmp_ne_u32_e64 s[4:5], s7, v4
                                        ; implicit-def: $vgpr25
	s_and_saveexec_b64 s[22:23], s[4:5]
	s_xor_b64 s[4:5], exec, s[22:23]
; %bb.775:                              ;   in Loop: Header=BB345_364 Depth=1
	v_bfe_u32 v4, v8, 16, 1
	v_add3_u32 v25, v8, v4, s15
                                        ; implicit-def: $vgpr8
; %bb.776:                              ;   in Loop: Header=BB345_364 Depth=1
	s_andn2_saveexec_b64 s[22:23], s[4:5]
; %bb.777:                              ;   in Loop: Header=BB345_364 Depth=1
	v_or_b32_e32 v4, 0x10000, v8
	v_cmp_eq_u32_sdwa s[4:5], v8, v19 src0_sel:WORD_0 src1_sel:DWORD
	v_cndmask_b32_e64 v25, v4, v8, s[4:5]
; %bb.778:                              ;   in Loop: Header=BB345_364 Depth=1
	s_or_b64 exec, exec, s[22:23]
	v_mov_b32_e32 v18, v7
	v_cmp_ne_u16_sdwa s[4:5], v7, v19 src0_sel:BYTE_0 src1_sel:DWORD
	v_mov_b32_e32 v8, 0
	s_and_saveexec_b64 s[22:23], s[4:5]
	s_cbranch_execz .LBB345_784
; %bb.779:                              ;   in Loop: Header=BB345_364 Depth=1
	v_cmp_ne_u16_sdwa s[4:5], v7, s19 src0_sel:BYTE_0 src1_sel:DWORD
	v_bfrev_b32_e32 v8, 1
	s_and_saveexec_b64 s[24:25], s[4:5]
	s_cbranch_execz .LBB345_783
; %bb.780:                              ;   in Loop: Header=BB345_364 Depth=1
	v_and_b32_e32 v20, 0x7f, v7
	v_cmp_ne_u32_e64 s[4:5], s28, v20
	v_mov_b32_e32 v8, 0x7f800001
	s_and_saveexec_b64 s[26:27], s[4:5]
	s_cbranch_execz .LBB345_782
; %bb.781:                              ;   in Loop: Header=BB345_364 Depth=1
	v_and_b32_e32 v4, 7, v7
	v_ffbh_u32_e32 v4, v4
	v_min_u32_e32 v4, 32, v4
	v_lshrrev_b32_e32 v5, 3, v20
	v_subrev_u32_e32 v8, 28, v4
	v_sub_u32_e32 v4, 29, v4
	v_cmp_gt_u32_e64 s[4:5], 8, v20
	v_cndmask_b32_e64 v20, v5, v4, s[4:5]
	v_cndmask_b32_e64 v4, 0, v8, s[4:5]
	v_lshlrev_b64 v[4:5], v4, v[18:19]
	v_lshlrev_b32_e32 v4, 20, v4
	v_lshlrev_b32_e32 v5, 24, v18
	v_and_b32_e32 v4, 0x700000, v4
	v_and_b32_e32 v5, 0x80000000, v5
	v_lshl_add_u32 v8, v20, 23, v27
	v_or3_b32 v8, v5, v8, v4
.LBB345_782:                            ;   in Loop: Header=BB345_364 Depth=1
	s_or_b64 exec, exec, s[26:27]
.LBB345_783:                            ;   in Loop: Header=BB345_364 Depth=1
	s_or_b64 exec, exec, s[24:25]
.LBB345_784:                            ;   in Loop: Header=BB345_364 Depth=1
	s_or_b64 exec, exec, s[22:23]
	v_mul_f32_e32 v8, v24, v8
	v_and_b32_e32 v4, 0x7f800000, v8
	v_cmp_ne_u32_e64 s[4:5], s7, v4
                                        ; implicit-def: $vgpr20
	s_and_saveexec_b64 s[22:23], s[4:5]
	s_xor_b64 s[4:5], exec, s[22:23]
; %bb.785:                              ;   in Loop: Header=BB345_364 Depth=1
	v_bfe_u32 v4, v8, 16, 1
	v_add3_u32 v20, v8, v4, s15
                                        ; implicit-def: $vgpr8
; %bb.786:                              ;   in Loop: Header=BB345_364 Depth=1
	s_andn2_saveexec_b64 s[22:23], s[4:5]
; %bb.787:                              ;   in Loop: Header=BB345_364 Depth=1
	v_or_b32_e32 v4, 0x10000, v8
	v_cmp_eq_u32_sdwa s[4:5], v8, v19 src0_sel:WORD_0 src1_sel:DWORD
	v_cndmask_b32_e64 v20, v4, v8, s[4:5]
; %bb.788:                              ;   in Loop: Header=BB345_364 Depth=1
	s_or_b64 exec, exec, s[22:23]
	v_lshrrev_b16_e32 v8, 8, v18
	v_cmp_ne_u16_e64 s[4:5], 0, v8
	v_mov_b32_e32 v21, 0
	s_and_saveexec_b64 s[22:23], s[4:5]
	s_cbranch_execz .LBB345_794
; %bb.789:                              ;   in Loop: Header=BB345_364 Depth=1
	v_cmp_ne_u16_e64 s[4:5], s19, v8
	v_bfrev_b32_e32 v21, 1
	s_and_saveexec_b64 s[24:25], s[4:5]
	s_cbranch_execz .LBB345_793
; %bb.790:                              ;   in Loop: Header=BB345_364 Depth=1
	v_and_b32_e32 v27, 0x7f, v8
	v_cmp_ne_u32_e64 s[4:5], s28, v27
	v_mov_b32_e32 v21, 0x7f800001
	s_and_saveexec_b64 s[26:27], s[4:5]
	s_cbranch_execz .LBB345_792
; %bb.791:                              ;   in Loop: Header=BB345_364 Depth=1
	v_and_b32_e32 v21, 7, v8
	v_ffbh_u32_e32 v4, v21
	v_accvgpr_write_b32 a7, v29
	v_min_u32_e32 v29, 32, v4
	v_subrev_u32_e32 v4, 28, v29
	v_lshlrev_b64 v[4:5], v4, v[8:9]
	v_lshrrev_b32_e32 v22, 3, v27
	v_sub_u32_e32 v5, 29, v29
	v_and_b32_e32 v4, 7, v4
	v_cmp_gt_u32_e64 s[4:5], 8, v27
	v_cndmask_b32_e64 v5, v22, v5, s[4:5]
	v_cndmask_b32_e64 v4, v21, v4, s[4:5]
	v_lshlrev_b32_e32 v8, 16, v18
	v_bfrev_b32_e32 v18, 60
	v_lshlrev_b32_e32 v4, 20, v4
	v_and_b32_e32 v8, 0x80000000, v8
	v_lshl_add_u32 v5, v5, 23, v18
	v_accvgpr_read_b32 v29, a7
	v_or3_b32 v21, v8, v5, v4
.LBB345_792:                            ;   in Loop: Header=BB345_364 Depth=1
	s_or_b64 exec, exec, s[26:27]
	v_bfrev_b32_e32 v27, 60
.LBB345_793:                            ;   in Loop: Header=BB345_364 Depth=1
	s_or_b64 exec, exec, s[24:25]
.LBB345_794:                            ;   in Loop: Header=BB345_364 Depth=1
	s_or_b64 exec, exec, s[22:23]
	v_mul_f32_e32 v8, v24, v21
	v_and_b32_e32 v4, 0x7f800000, v8
	v_cmp_ne_u32_e64 s[4:5], s7, v4
                                        ; implicit-def: $vgpr18
	s_and_saveexec_b64 s[22:23], s[4:5]
	s_xor_b64 s[4:5], exec, s[22:23]
; %bb.795:                              ;   in Loop: Header=BB345_364 Depth=1
	v_bfe_u32 v4, v8, 16, 1
	v_add3_u32 v18, v8, v4, s15
                                        ; implicit-def: $vgpr8
; %bb.796:                              ;   in Loop: Header=BB345_364 Depth=1
	s_andn2_saveexec_b64 s[22:23], s[4:5]
; %bb.797:                              ;   in Loop: Header=BB345_364 Depth=1
	v_or_b32_e32 v4, 0x10000, v8
	v_cmp_eq_u32_sdwa s[4:5], v8, v19 src0_sel:WORD_0 src1_sel:DWORD
	v_cndmask_b32_e64 v18, v4, v8, s[4:5]
; %bb.798:                              ;   in Loop: Header=BB345_364 Depth=1
	s_or_b64 exec, exec, s[22:23]
	v_lshrrev_b32_e32 v8, 16, v7
	v_cmp_ne_u16_sdwa s[4:5], v8, v19 src0_sel:BYTE_0 src1_sel:DWORD
	v_mov_b32_e32 v21, 0
	s_and_saveexec_b64 s[22:23], s[4:5]
	s_cbranch_execz .LBB345_804
; %bb.799:                              ;   in Loop: Header=BB345_364 Depth=1
	v_cmp_ne_u16_sdwa s[4:5], v8, s19 src0_sel:BYTE_0 src1_sel:DWORD
	v_bfrev_b32_e32 v21, 1
	s_and_saveexec_b64 s[24:25], s[4:5]
	s_cbranch_execz .LBB345_803
; %bb.800:                              ;   in Loop: Header=BB345_364 Depth=1
	v_bfe_u32 v27, v7, 16, 7
	v_cmp_ne_u32_e64 s[4:5], s28, v27
	v_mov_b32_e32 v21, 0x7f800001
	s_and_saveexec_b64 s[26:27], s[4:5]
	s_cbranch_execz .LBB345_802
; %bb.801:                              ;   in Loop: Header=BB345_364 Depth=1
	v_and_b32_e32 v21, 7, v8
	v_ffbh_u32_e32 v4, v21
	v_accvgpr_write_b32 a7, v29
	v_min_u32_e32 v29, 32, v4
	v_subrev_u32_e32 v4, 28, v29
	v_lshlrev_b64 v[4:5], v4, v[8:9]
	v_lshrrev_b32_e32 v22, 3, v27
	v_sub_u32_e32 v5, 29, v29
	v_and_b32_e32 v4, 7, v4
	v_cmp_gt_u32_e64 s[4:5], 8, v27
	v_cndmask_b32_e64 v5, v22, v5, s[4:5]
	v_cndmask_b32_e64 v4, v21, v4, s[4:5]
	v_lshlrev_b32_e32 v8, 24, v8
	v_bfrev_b32_e32 v21, 60
	v_lshlrev_b32_e32 v4, 20, v4
	v_and_b32_e32 v8, 0x80000000, v8
	v_lshl_add_u32 v5, v5, 23, v21
	v_accvgpr_read_b32 v29, a7
	v_or3_b32 v21, v8, v5, v4
.LBB345_802:                            ;   in Loop: Header=BB345_364 Depth=1
	s_or_b64 exec, exec, s[26:27]
	v_bfrev_b32_e32 v27, 60
.LBB345_803:                            ;   in Loop: Header=BB345_364 Depth=1
	s_or_b64 exec, exec, s[24:25]
.LBB345_804:                            ;   in Loop: Header=BB345_364 Depth=1
	s_or_b64 exec, exec, s[22:23]
	v_mul_f32_e32 v21, v24, v21
	v_and_b32_e32 v4, 0x7f800000, v21
	v_cmp_ne_u32_e64 s[4:5], s7, v4
                                        ; implicit-def: $vgpr8
	s_and_saveexec_b64 s[22:23], s[4:5]
	s_xor_b64 s[4:5], exec, s[22:23]
; %bb.805:                              ;   in Loop: Header=BB345_364 Depth=1
	v_bfe_u32 v4, v21, 16, 1
	v_add3_u32 v8, v21, v4, s15
                                        ; implicit-def: $vgpr21
; %bb.806:                              ;   in Loop: Header=BB345_364 Depth=1
	s_andn2_saveexec_b64 s[22:23], s[4:5]
; %bb.807:                              ;   in Loop: Header=BB345_364 Depth=1
	v_or_b32_e32 v4, 0x10000, v21
	v_cmp_eq_u32_sdwa s[4:5], v21, v19 src0_sel:WORD_0 src1_sel:DWORD
	v_cndmask_b32_e64 v8, v4, v21, s[4:5]
; %bb.808:                              ;   in Loop: Header=BB345_364 Depth=1
	s_or_b64 exec, exec, s[22:23]
	v_cmp_lt_u64_e64 s[4:5], s[10:11], v[6:7]
	v_mov_b32_e32 v21, 0
	s_and_saveexec_b64 s[22:23], s[4:5]
	s_cbranch_execz .LBB345_814
; %bb.809:                              ;   in Loop: Header=BB345_364 Depth=1
	v_lshrrev_b32_e32 v6, 24, v7
	v_cmp_ne_u32_e64 s[4:5], s19, v6
	v_bfrev_b32_e32 v21, 1
	s_and_saveexec_b64 s[24:25], s[4:5]
	s_cbranch_execz .LBB345_813
; %bb.810:                              ;   in Loop: Header=BB345_364 Depth=1
	v_bfe_u32 v7, v7, 24, 7
	v_cmp_ne_u32_e64 s[4:5], s28, v7
	v_mov_b32_e32 v21, 0x7f800001
	s_and_saveexec_b64 s[26:27], s[4:5]
	s_cbranch_execz .LBB345_812
; %bb.811:                              ;   in Loop: Header=BB345_364 Depth=1
	v_and_b32_e32 v21, 7, v6
	v_ffbh_u32_e32 v4, v21
	v_min_u32_e32 v27, 32, v4
	v_subrev_u32_e32 v4, 28, v27
	v_lshlrev_b64 v[4:5], v4, v[6:7]
	v_lshrrev_b32_e32 v22, 3, v7
	v_sub_u32_e32 v5, 29, v27
	v_and_b32_e32 v4, 7, v4
	v_cmp_gt_u32_e64 s[4:5], 8, v7
	v_bfrev_b32_e32 v27, 60
	v_cndmask_b32_e64 v5, v22, v5, s[4:5]
	v_cndmask_b32_e64 v4, v21, v4, s[4:5]
	v_lshlrev_b32_e32 v6, 24, v6
	v_lshlrev_b32_e32 v4, 20, v4
	v_and_b32_e32 v6, 0x80000000, v6
	v_lshl_add_u32 v5, v5, 23, v27
	v_or3_b32 v21, v6, v5, v4
.LBB345_812:                            ;   in Loop: Header=BB345_364 Depth=1
	s_or_b64 exec, exec, s[26:27]
.LBB345_813:                            ;   in Loop: Header=BB345_364 Depth=1
	s_or_b64 exec, exec, s[24:25]
.LBB345_814:                            ;   in Loop: Header=BB345_364 Depth=1
	s_or_b64 exec, exec, s[22:23]
	v_mul_f32_e32 v7, v24, v21
	v_and_b32_e32 v4, 0x7f800000, v7
	v_cmp_ne_u32_e64 s[4:5], s7, v4
                                        ; implicit-def: $vgpr6
	s_and_saveexec_b64 s[22:23], s[4:5]
	s_xor_b64 s[4:5], exec, s[22:23]
; %bb.815:                              ;   in Loop: Header=BB345_364 Depth=1
	v_bfe_u32 v4, v7, 16, 1
	v_add3_u32 v6, v7, v4, s15
                                        ; implicit-def: $vgpr7
; %bb.816:                              ;   in Loop: Header=BB345_364 Depth=1
	s_andn2_saveexec_b64 s[22:23], s[4:5]
; %bb.817:                              ;   in Loop: Header=BB345_364 Depth=1
	v_or_b32_e32 v4, 0x10000, v7
	v_cmp_eq_u32_sdwa s[4:5], v7, v19 src0_sel:WORD_0 src1_sel:DWORD
	v_cndmask_b32_e64 v6, v4, v7, s[4:5]
; %bb.818:                              ;   in Loop: Header=BB345_364 Depth=1
	s_or_b64 exec, exec, s[22:23]
	v_lshrrev_b32_e32 v21, 16, v18
	v_lshrrev_b32_e32 v20, 16, v20
	;; [unrolled: 1-line block ×8, first 2 shown]
	s_and_saveexec_b64 s[4:5], vcc
	s_cbranch_execz .LBB345_820
; %bb.819:                              ;   in Loop: Header=BB345_364 Depth=1
	v_cmp_lt_i32_e32 vcc, v29, v30
	v_cndmask_b32_e32 v25, 0, v25, vcc
	v_cmp_lt_i32_e32 vcc, v37, v30
	v_cndmask_b32_e32 v23, 0, v23, vcc
	;; [unrolled: 2-line block ×4, first 2 shown]
	v_cmp_lt_i32_e32 vcc, v35, v30
	v_accvgpr_read_b32 v4, a11
	v_cndmask_b32_e32 v20, 0, v20, vcc
	v_cmp_lt_i32_e32 vcc, v4, v30
	v_accvgpr_read_b32 v4, a10
	v_cndmask_b32_e32 v21, 0, v21, vcc
	v_cmp_lt_i32_e32 vcc, v4, v30
	v_cndmask_b32_e32 v8, 0, v8, vcc
	v_cmp_lt_i32_e32 vcc, v17, v30
	v_cndmask_b32_e32 v6, 0, v6, vcc
.LBB345_820:                            ;   in Loop: Header=BB345_364 Depth=1
	s_or_b64 exec, exec, s[4:5]
	v_lshlrev_b32_e32 v4, 16, v25
	v_mul_f32_e32 v5, v39, v4
	v_and_b32_e32 v4, 0x7f800000, v5
	v_cmp_ne_u32_e32 vcc, s7, v4
                                        ; implicit-def: $vgpr4
	s_and_saveexec_b64 s[4:5], vcc
	s_xor_b64 s[4:5], exec, s[4:5]
; %bb.821:                              ;   in Loop: Header=BB345_364 Depth=1
	v_bfe_u32 v4, v5, 16, 1
	v_add3_u32 v4, v5, v4, s15
                                        ; implicit-def: $vgpr5
; %bb.822:                              ;   in Loop: Header=BB345_364 Depth=1
	s_andn2_saveexec_b64 s[4:5], s[4:5]
; %bb.823:                              ;   in Loop: Header=BB345_364 Depth=1
	v_or_b32_e32 v4, 0x10000, v5
	v_cmp_eq_u32_sdwa vcc, v5, v19 src0_sel:WORD_0 src1_sel:DWORD
	v_cndmask_b32_e32 v4, v4, v5, vcc
; %bb.824:                              ;   in Loop: Header=BB345_364 Depth=1
	s_or_b64 exec, exec, s[4:5]
	v_lshlrev_b32_e32 v5, 16, v23
	v_mul_f32_e32 v23, v48, v5
	v_and_b32_e32 v5, 0x7f800000, v23
	v_cmp_ne_u32_e32 vcc, s7, v5
                                        ; implicit-def: $vgpr5
	s_and_saveexec_b64 s[4:5], vcc
	s_xor_b64 s[4:5], exec, s[4:5]
; %bb.825:                              ;   in Loop: Header=BB345_364 Depth=1
	v_bfe_u32 v5, v23, 16, 1
	v_add3_u32 v5, v23, v5, s15
                                        ; implicit-def: $vgpr23
; %bb.826:                              ;   in Loop: Header=BB345_364 Depth=1
	s_andn2_saveexec_b64 s[4:5], s[4:5]
; %bb.827:                              ;   in Loop: Header=BB345_364 Depth=1
	v_or_b32_e32 v5, 0x10000, v23
	v_cmp_eq_u32_sdwa vcc, v23, v19 src0_sel:WORD_0 src1_sel:DWORD
	v_cndmask_b32_e32 v5, v5, v23, vcc
; %bb.828:                              ;   in Loop: Header=BB345_364 Depth=1
	s_or_b64 exec, exec, s[4:5]
	v_lshlrev_b32_e32 v7, 16, v7
	v_mul_f32_e32 v23, v49, v7
	v_and_b32_e32 v7, 0x7f800000, v23
	v_cmp_ne_u32_e32 vcc, s7, v7
                                        ; implicit-def: $vgpr7
	s_and_saveexec_b64 s[4:5], vcc
	s_xor_b64 s[4:5], exec, s[4:5]
; %bb.829:                              ;   in Loop: Header=BB345_364 Depth=1
	v_bfe_u32 v7, v23, 16, 1
	v_add3_u32 v7, v23, v7, s15
                                        ; implicit-def: $vgpr23
; %bb.830:                              ;   in Loop: Header=BB345_364 Depth=1
	s_andn2_saveexec_b64 s[4:5], s[4:5]
; %bb.831:                              ;   in Loop: Header=BB345_364 Depth=1
	v_or_b32_e32 v7, 0x10000, v23
	v_cmp_eq_u32_sdwa vcc, v23, v19 src0_sel:WORD_0 src1_sel:DWORD
	v_cndmask_b32_e32 v7, v7, v23, vcc
; %bb.832:                              ;   in Loop: Header=BB345_364 Depth=1
	s_or_b64 exec, exec, s[4:5]
	v_lshlrev_b32_e32 v18, 16, v18
	v_mul_f32_e32 v23, v50, v18
	v_and_b32_e32 v18, 0x7f800000, v23
	v_cmp_ne_u32_e32 vcc, s7, v18
                                        ; implicit-def: $vgpr18
	s_and_saveexec_b64 s[4:5], vcc
	s_xor_b64 s[4:5], exec, s[4:5]
; %bb.833:                              ;   in Loop: Header=BB345_364 Depth=1
	v_bfe_u32 v18, v23, 16, 1
	v_add3_u32 v18, v23, v18, s15
                                        ; implicit-def: $vgpr23
; %bb.834:                              ;   in Loop: Header=BB345_364 Depth=1
	s_andn2_saveexec_b64 s[4:5], s[4:5]
; %bb.835:                              ;   in Loop: Header=BB345_364 Depth=1
	v_or_b32_e32 v18, 0x10000, v23
	v_cmp_eq_u32_sdwa vcc, v23, v19 src0_sel:WORD_0 src1_sel:DWORD
	v_cndmask_b32_e32 v18, v18, v23, vcc
; %bb.836:                              ;   in Loop: Header=BB345_364 Depth=1
	s_or_b64 exec, exec, s[4:5]
	v_lshlrev_b32_e32 v20, 16, v20
	v_mul_f32_e32 v23, v51, v20
	v_and_b32_e32 v20, 0x7f800000, v23
	v_cmp_ne_u32_e32 vcc, s7, v20
                                        ; implicit-def: $vgpr20
	s_and_saveexec_b64 s[4:5], vcc
	s_xor_b64 s[4:5], exec, s[4:5]
; %bb.837:                              ;   in Loop: Header=BB345_364 Depth=1
	v_bfe_u32 v20, v23, 16, 1
	v_add3_u32 v20, v23, v20, s15
                                        ; implicit-def: $vgpr23
; %bb.838:                              ;   in Loop: Header=BB345_364 Depth=1
	s_andn2_saveexec_b64 s[4:5], s[4:5]
; %bb.839:                              ;   in Loop: Header=BB345_364 Depth=1
	v_or_b32_e32 v20, 0x10000, v23
	v_cmp_eq_u32_sdwa vcc, v23, v19 src0_sel:WORD_0 src1_sel:DWORD
	v_cndmask_b32_e32 v20, v20, v23, vcc
; %bb.840:                              ;   in Loop: Header=BB345_364 Depth=1
	s_or_b64 exec, exec, s[4:5]
	v_lshlrev_b32_e32 v21, 16, v21
	v_mul_f32_e32 v23, v52, v21
	v_and_b32_e32 v21, 0x7f800000, v23
	v_cmp_ne_u32_e32 vcc, s7, v21
                                        ; implicit-def: $vgpr21
	s_and_saveexec_b64 s[4:5], vcc
	s_xor_b64 s[4:5], exec, s[4:5]
; %bb.841:                              ;   in Loop: Header=BB345_364 Depth=1
	v_bfe_u32 v21, v23, 16, 1
	v_add3_u32 v21, v23, v21, s15
                                        ; implicit-def: $vgpr23
; %bb.842:                              ;   in Loop: Header=BB345_364 Depth=1
	s_andn2_saveexec_b64 s[4:5], s[4:5]
; %bb.843:                              ;   in Loop: Header=BB345_364 Depth=1
	v_or_b32_e32 v21, 0x10000, v23
	v_cmp_eq_u32_sdwa vcc, v23, v19 src0_sel:WORD_0 src1_sel:DWORD
	v_cndmask_b32_e32 v21, v21, v23, vcc
; %bb.844:                              ;   in Loop: Header=BB345_364 Depth=1
	s_or_b64 exec, exec, s[4:5]
	v_lshlrev_b32_e32 v8, 16, v8
	v_mul_f32_e32 v23, v53, v8
	v_and_b32_e32 v8, 0x7f800000, v23
	v_cmp_ne_u32_e32 vcc, s7, v8
                                        ; implicit-def: $vgpr8
	s_and_saveexec_b64 s[4:5], vcc
	s_xor_b64 s[4:5], exec, s[4:5]
; %bb.845:                              ;   in Loop: Header=BB345_364 Depth=1
	v_bfe_u32 v8, v23, 16, 1
	v_add3_u32 v8, v23, v8, s15
                                        ; implicit-def: $vgpr23
; %bb.846:                              ;   in Loop: Header=BB345_364 Depth=1
	s_andn2_saveexec_b64 s[4:5], s[4:5]
; %bb.847:                              ;   in Loop: Header=BB345_364 Depth=1
	v_or_b32_e32 v8, 0x10000, v23
	v_cmp_eq_u32_sdwa vcc, v23, v19 src0_sel:WORD_0 src1_sel:DWORD
	v_cndmask_b32_e32 v8, v8, v23, vcc
; %bb.848:                              ;   in Loop: Header=BB345_364 Depth=1
	s_or_b64 exec, exec, s[4:5]
	v_lshlrev_b32_e32 v6, 16, v6
	v_mul_f32_e32 v23, v54, v6
	v_and_b32_e32 v6, 0x7f800000, v23
	v_cmp_ne_u32_e32 vcc, s7, v6
                                        ; implicit-def: $vgpr6
	s_and_saveexec_b64 s[4:5], vcc
	s_xor_b64 s[4:5], exec, s[4:5]
; %bb.849:                              ;   in Loop: Header=BB345_364 Depth=1
	v_bfe_u32 v6, v23, 16, 1
	v_add3_u32 v6, v23, v6, s15
                                        ; implicit-def: $vgpr23
; %bb.850:                              ;   in Loop: Header=BB345_364 Depth=1
	s_andn2_saveexec_b64 s[4:5], s[4:5]
	s_cbranch_execz .LBB345_363
; %bb.851:                              ;   in Loop: Header=BB345_364 Depth=1
	v_or_b32_e32 v6, 0x10000, v23
	v_cmp_eq_u32_sdwa vcc, v23, v19 src0_sel:WORD_0 src1_sel:DWORD
	v_cndmask_b32_e32 v6, v6, v23, vcc
	s_branch .LBB345_363
.LBB345_852:
	s_or_b64 exec, exec, s[12:13]
	v_accvgpr_read_b32 v20, a0
	v_accvgpr_read_b32 v22, a1
	;; [unrolled: 1-line block ×4, first 2 shown]
.LBB345_853:
	s_or_b64 exec, exec, s[8:9]
	v_and_b32_e32 v4, 0x3c0, v28
	v_cmp_eq_u32_e32 vcc, 64, v4
	s_waitcnt lgkmcnt(0)
	s_barrier
	s_and_saveexec_b64 s[4:5], vcc
	s_cbranch_execz .LBB345_855
; %bb.854:
	s_ashr_i32 s19, s18, 31
	s_lshl_b64 s[8:9], s[18:19], 2
	s_getpc_b64 s[10:11]
	s_add_u32 s10, s10, llvm.amdgcn.dynlds.offset.table@rel32@lo+4
	s_addc_u32 s11, s11, llvm.amdgcn.dynlds.offset.table@rel32@hi+12
	s_add_u32 s8, s8, s10
	s_addc_u32 s9, s9, s11
	s_load_dword s7, s[8:9], 0x0
	v_lshlrev_b32_e32 v4, 2, v28
	s_waitcnt lgkmcnt(0)
	v_add_u32_e32 v6, s7, v4
	v_or_b32_e32 v4, 0x300, v4
	v_lshl_add_u32 v5, v21, 2, s7
	v_add_u32_e32 v4, s7, v4
	ds_write_b32 v5, v0
	ds_write_b32 v6, v1
	ds_write_b32 v5, v2 offset:512
	ds_write_b32 v4, v3
.LBB345_855:
	s_or_b64 exec, exec, s[4:5]
	v_cmp_gt_u32_e32 vcc, 64, v28
	s_waitcnt lgkmcnt(0)
	s_barrier
	s_and_saveexec_b64 s[4:5], vcc
	s_cbranch_execz .LBB345_857
; %bb.856:
	s_ashr_i32 s19, s18, 31
	s_lshl_b64 s[8:9], s[18:19], 2
	s_getpc_b64 s[10:11]
	s_add_u32 s10, s10, llvm.amdgcn.dynlds.offset.table@rel32@lo+4
	s_addc_u32 s11, s11, llvm.amdgcn.dynlds.offset.table@rel32@hi+12
	s_add_u32 s8, s8, s10
	s_addc_u32 s9, s9, s11
	s_load_dword s7, s[8:9], 0x0
	s_waitcnt lgkmcnt(0)
	v_lshl_add_u32 v6, v28, 2, s7
	ds_read2st64_b32 v[4:5], v6 offset0:2 offset1:3
	ds_read2st64_b32 v[6:7], v6 offset1:1
	s_waitcnt lgkmcnt(0)
	v_pk_add_f32 v[2:3], v[2:3], v[4:5]
	v_pk_add_f32 v[0:1], v[0:1], v[6:7]
.LBB345_857:
	s_or_b64 exec, exec, s[4:5]
	s_barrier
	s_and_b64 exec, exec, vcc
	s_cbranch_execz .LBB345_875
; %bb.858:
	s_mov_b32 s4, 0x7f800000
	v_and_b32_e32 v4, 0x7f800000, v0
	v_cmp_ne_u32_e32 vcc, s4, v4
                                        ; implicit-def: $vgpr6
	s_and_saveexec_b64 s[4:5], vcc
	s_xor_b64 s[4:5], exec, s[4:5]
; %bb.859:
	v_bfe_u32 v4, v0, 16, 1
	s_movk_i32 s7, 0x7fff
	v_add3_u32 v6, v0, v4, s7
; %bb.860:
	s_andn2_saveexec_b64 s[4:5], s[4:5]
; %bb.861:
	v_mov_b32_e32 v4, 0
	v_or_b32_e32 v5, 0x10000, v0
	v_cmp_eq_u32_sdwa vcc, v0, v4 src0_sel:WORD_0 src1_sel:DWORD
	v_cndmask_b32_e32 v6, v5, v0, vcc
; %bb.862:
	s_or_b64 exec, exec, s[4:5]
	s_lshl_b32 s4, s6, 8
	s_mul_i32 s6, s20, s21
	s_lshl_b32 s8, s14, 8
	s_ashr_i32 s5, s4, 31
	s_ashr_i32 s7, s6, 31
	;; [unrolled: 1-line block ×3, first 2 shown]
	s_lshl_b64 s[4:5], s[4:5], 1
	s_lshl_b64 s[6:7], s[6:7], 1
	;; [unrolled: 1-line block ×3, first 2 shown]
	s_add_u32 s6, s8, s6
	s_addc_u32 s7, s9, s7
	s_add_u32 s4, s6, s4
	s_addc_u32 s5, s7, s5
	v_mov_b32_e32 v0, s5
	v_add_co_u32_e32 v4, vcc, s4, v22
	v_addc_co_u32_e32 v0, vcc, v0, v20, vcc
	v_lshlrev_b32_e32 v5, 1, v28
	v_add_co_u32_e32 v4, vcc, v4, v5
	v_addc_co_u32_e32 v5, vcc, 0, v0, vcc
	s_mov_b32 s4, 0x7f800000
	v_and_b32_e32 v0, 0x7f800000, v1
	v_cmp_ne_u32_e32 vcc, s4, v0
	flat_store_short_d16_hi v[4:5], v6
                                        ; implicit-def: $vgpr0
	s_and_saveexec_b64 s[4:5], vcc
	s_xor_b64 s[4:5], exec, s[4:5]
; %bb.863:
	v_bfe_u32 v0, v1, 16, 1
	s_movk_i32 s6, 0x7fff
	v_add3_u32 v0, v1, v0, s6
; %bb.864:
	s_andn2_saveexec_b64 s[4:5], s[4:5]
; %bb.865:
	v_mov_b32_e32 v0, 0
	v_or_b32_e32 v6, 0x10000, v1
	v_cmp_eq_u32_sdwa vcc, v1, v0 src0_sel:WORD_0 src1_sel:DWORD
	v_cndmask_b32_e32 v0, v6, v1, vcc
; %bb.866:
	s_or_b64 exec, exec, s[4:5]
	flat_store_short_d16_hi v[4:5], v0 offset:128
	s_mov_b32 s4, 0x7f800000
	v_and_b32_e32 v0, 0x7f800000, v2
	v_cmp_ne_u32_e32 vcc, s4, v0
                                        ; implicit-def: $vgpr0
	s_and_saveexec_b64 s[4:5], vcc
	s_xor_b64 s[4:5], exec, s[4:5]
; %bb.867:
	v_bfe_u32 v0, v2, 16, 1
	s_movk_i32 s6, 0x7fff
	v_add3_u32 v0, v2, v0, s6
; %bb.868:
	s_andn2_saveexec_b64 s[4:5], s[4:5]
; %bb.869:
	v_mov_b32_e32 v0, 0
	v_or_b32_e32 v1, 0x10000, v2
	v_cmp_eq_u32_sdwa vcc, v2, v0 src0_sel:WORD_0 src1_sel:DWORD
	v_cndmask_b32_e32 v0, v1, v2, vcc
; %bb.870:
	s_or_b64 exec, exec, s[4:5]
	flat_store_short_d16_hi v[4:5], v0 offset:256
	s_mov_b32 s4, 0x7f800000
	v_and_b32_e32 v0, 0x7f800000, v3
	v_cmp_ne_u32_e32 vcc, s4, v0
                                        ; implicit-def: $vgpr6
	s_and_saveexec_b64 s[4:5], vcc
	s_xor_b64 s[4:5], exec, s[4:5]
; %bb.871:
	v_bfe_u32 v0, v3, 16, 1
	s_movk_i32 s6, 0x7fff
	v_add3_u32 v6, v3, v0, s6
                                        ; implicit-def: $vgpr0_vgpr1_vgpr2_vgpr3
; %bb.872:
	s_andn2_saveexec_b64 s[4:5], s[4:5]
; %bb.873:
	v_mov_b32_e32 v0, 0
	v_or_b32_e32 v1, 0x10000, v3
	v_cmp_eq_u32_sdwa vcc, v3, v0 src0_sel:WORD_0 src1_sel:DWORD
	v_cndmask_b32_e32 v6, v1, v3, vcc
; %bb.874:
	s_or_b64 exec, exec, s[4:5]
	flat_store_short_d16_hi v[4:5], v6 offset:384
.LBB345_875:
	s_or_b64 exec, exec, s[16:17]
	buffer_load_dword a55, off, s[0:3], s32 ; 4-byte Folded Reload
	buffer_load_dword a54, off, s[0:3], s32 offset:4 ; 4-byte Folded Reload
	buffer_load_dword a53, off, s[0:3], s32 offset:8 ; 4-byte Folded Reload
	;; [unrolled: 1-line block ×38, first 2 shown]
	v_readlane_b32 s30, v63, 6
	v_readlane_b32 s31, v63, 7
	;; [unrolled: 1-line block ×8, first 2 shown]
	s_or_saveexec_b64 s[4:5], -1
	buffer_load_dword v63, off, s[0:3], s32 offset:156 ; 4-byte Folded Reload
	s_mov_b64 exec, s[4:5]
	s_waitcnt vmcnt(0) lgkmcnt(0)
	s_setpc_b64 s[30:31]
.Lfunc_end345:
	.size	_ZN4vllm22paged_attention_kernelI14__hip_bfloat16hLi256ELi8ELi128ELNS_18Fp8KVCacheDataTypeE1ELb0ELi512EEEvPfS3_PT_PKS4_PKT0_SA_ifPKiSC_iPKfiiiSE_SE_iiiii, .Lfunc_end345-_ZN4vllm22paged_attention_kernelI14__hip_bfloat16hLi256ELi8ELi128ELNS_18Fp8KVCacheDataTypeE1ELb0ELi512EEEvPfS3_PT_PKS4_PKT0_SA_ifPKiSC_iPKfiiiSE_SE_iiiii
                                        ; -- End function
	.section	.AMDGPU.csdata,"",@progbits
; Function info:
; codeLenInByte = 27368
; NumSgprs: 44
; NumVgprs: 64
; NumAgprs: 56
; TotalNumVgprs: 120
; ScratchSize: 164
; MemoryBound: 0
	.section	.text._ZN4vllm25paged_attention_v2_kernelI14__hip_bfloat16hLi256ELi8ELi128ELNS_18Fp8KVCacheDataTypeE1ELb0ELi512EEEvPfS3_PT_PKS4_PKT0_SA_ifPKiSC_iPKfiiiSE_SE_iiiii,"axG",@progbits,_ZN4vllm25paged_attention_v2_kernelI14__hip_bfloat16hLi256ELi8ELi128ELNS_18Fp8KVCacheDataTypeE1ELb0ELi512EEEvPfS3_PT_PKS4_PKT0_SA_ifPKiSC_iPKfiiiSE_SE_iiiii,comdat
	.protected	_ZN4vllm25paged_attention_v2_kernelI14__hip_bfloat16hLi256ELi8ELi128ELNS_18Fp8KVCacheDataTypeE1ELb0ELi512EEEvPfS3_PT_PKS4_PKT0_SA_ifPKiSC_iPKfiiiSE_SE_iiiii ; -- Begin function _ZN4vllm25paged_attention_v2_kernelI14__hip_bfloat16hLi256ELi8ELi128ELNS_18Fp8KVCacheDataTypeE1ELb0ELi512EEEvPfS3_PT_PKS4_PKT0_SA_ifPKiSC_iPKfiiiSE_SE_iiiii
	.globl	_ZN4vllm25paged_attention_v2_kernelI14__hip_bfloat16hLi256ELi8ELi128ELNS_18Fp8KVCacheDataTypeE1ELb0ELi512EEEvPfS3_PT_PKS4_PKT0_SA_ifPKiSC_iPKfiiiSE_SE_iiiii
	.p2align	8
	.type	_ZN4vllm25paged_attention_v2_kernelI14__hip_bfloat16hLi256ELi8ELi128ELNS_18Fp8KVCacheDataTypeE1ELb0ELi512EEEvPfS3_PT_PKS4_PKT0_SA_ifPKiSC_iPKfiiiSE_SE_iiiii,@function
_ZN4vllm25paged_attention_v2_kernelI14__hip_bfloat16hLi256ELi8ELi128ELNS_18Fp8KVCacheDataTypeE1ELb0ELi512EEEvPfS3_PT_PKS4_PKT0_SA_ifPKiSC_iPKfiiiSE_SE_iiiii: ; @_ZN4vllm25paged_attention_v2_kernelI14__hip_bfloat16hLi256ELi8ELi128ELNS_18Fp8KVCacheDataTypeE1ELb0ELi512EEEvPfS3_PT_PKS4_PKT0_SA_ifPKiSC_iPKfiiiSE_SE_iiiii
; %bb.0:
	s_add_u32 flat_scratch_lo, s6, s11
	s_addc_u32 flat_scratch_hi, s7, 0
	s_add_u32 s0, s0, s11
	s_load_dwordx8 s[24:31], s[4:5], 0x0
	s_load_dwordx8 s[16:23], s[4:5], 0x20
	s_load_dwordx2 s[6:7], s[4:5], 0x40
	s_load_dwordx2 s[34:35], s[4:5], 0x50
	s_load_dword s11, s[4:5], 0x48
	s_load_dwordx8 s[36:43], s[4:5], 0x58
	s_addc_u32 s1, s1, 0
	s_mov_b32 s12, s8
	s_add_u32 s8, s4, 0x90
	s_mov_b32 s13, s9
	s_addc_u32 s9, s5, 0
	s_mov_b32 s14, s10
	s_mov_b32 s15, 20
	v_mov_b32_e32 v31, v0
	s_waitcnt lgkmcnt(0)
	v_mov_b32_e32 v0, s24
	v_mov_b32_e32 v1, s25
	;; [unrolled: 1-line block ×28, first 2 shown]
	s_mov_b32 s32, 0
	s_getpc_b64 s[4:5]
	s_add_u32 s4, s4, _ZN4vllm22paged_attention_kernelI14__hip_bfloat16hLi256ELi8ELi128ELNS_18Fp8KVCacheDataTypeE1ELb0ELi512EEEvPfS3_PT_PKS4_PKT0_SA_ifPKiSC_iPKfiiiSE_SE_iiiii@rel32@lo+4
	s_addc_u32 s5, s5, _ZN4vllm22paged_attention_kernelI14__hip_bfloat16hLi256ELi8ELi128ELNS_18Fp8KVCacheDataTypeE1ELb0ELi512EEEvPfS3_PT_PKS4_PKT0_SA_ifPKiSC_iPKfiiiSE_SE_iiiii@rel32@hi+12
	s_swappc_b64 s[30:31], s[4:5]
	s_endpgm
	.section	.rodata,"a",@progbits
	.p2align	6, 0x0
	.amdhsa_kernel _ZN4vllm25paged_attention_v2_kernelI14__hip_bfloat16hLi256ELi8ELi128ELNS_18Fp8KVCacheDataTypeE1ELb0ELi512EEEvPfS3_PT_PKS4_PKT0_SA_ifPKiSC_iPKfiiiSE_SE_iiiii
		.amdhsa_group_segment_fixed_size 528
		.amdhsa_private_segment_fixed_size 164
		.amdhsa_kernarg_size 400
		.amdhsa_user_sgpr_count 8
		.amdhsa_user_sgpr_private_segment_buffer 1
		.amdhsa_user_sgpr_dispatch_ptr 0
		.amdhsa_user_sgpr_queue_ptr 0
		.amdhsa_user_sgpr_kernarg_segment_ptr 1
		.amdhsa_user_sgpr_dispatch_id 0
		.amdhsa_user_sgpr_flat_scratch_init 1
		.amdhsa_user_sgpr_kernarg_preload_length 0
		.amdhsa_user_sgpr_kernarg_preload_offset 0
		.amdhsa_user_sgpr_private_segment_size 0
		.amdhsa_uses_dynamic_stack 0
		.amdhsa_system_sgpr_private_segment_wavefront_offset 1
		.amdhsa_system_sgpr_workgroup_id_x 1
		.amdhsa_system_sgpr_workgroup_id_y 1
		.amdhsa_system_sgpr_workgroup_id_z 1
		.amdhsa_system_sgpr_workgroup_info 0
		.amdhsa_system_vgpr_workitem_id 0
		.amdhsa_next_free_vgpr 120
		.amdhsa_next_free_sgpr 44
		.amdhsa_accum_offset 64
		.amdhsa_reserve_vcc 1
		.amdhsa_reserve_flat_scratch 1
		.amdhsa_float_round_mode_32 0
		.amdhsa_float_round_mode_16_64 0
		.amdhsa_float_denorm_mode_32 3
		.amdhsa_float_denorm_mode_16_64 3
		.amdhsa_dx10_clamp 1
		.amdhsa_ieee_mode 1
		.amdhsa_fp16_overflow 0
		.amdhsa_tg_split 0
		.amdhsa_exception_fp_ieee_invalid_op 0
		.amdhsa_exception_fp_denorm_src 0
		.amdhsa_exception_fp_ieee_div_zero 0
		.amdhsa_exception_fp_ieee_overflow 0
		.amdhsa_exception_fp_ieee_underflow 0
		.amdhsa_exception_fp_ieee_inexact 0
		.amdhsa_exception_int_div_zero 0
	.end_amdhsa_kernel
	.section	.text._ZN4vllm25paged_attention_v2_kernelI14__hip_bfloat16hLi256ELi8ELi128ELNS_18Fp8KVCacheDataTypeE1ELb0ELi512EEEvPfS3_PT_PKS4_PKT0_SA_ifPKiSC_iPKfiiiSE_SE_iiiii,"axG",@progbits,_ZN4vllm25paged_attention_v2_kernelI14__hip_bfloat16hLi256ELi8ELi128ELNS_18Fp8KVCacheDataTypeE1ELb0ELi512EEEvPfS3_PT_PKS4_PKT0_SA_ifPKiSC_iPKfiiiSE_SE_iiiii,comdat
.Lfunc_end346:
	.size	_ZN4vllm25paged_attention_v2_kernelI14__hip_bfloat16hLi256ELi8ELi128ELNS_18Fp8KVCacheDataTypeE1ELb0ELi512EEEvPfS3_PT_PKS4_PKT0_SA_ifPKiSC_iPKfiiiSE_SE_iiiii, .Lfunc_end346-_ZN4vllm25paged_attention_v2_kernelI14__hip_bfloat16hLi256ELi8ELi128ELNS_18Fp8KVCacheDataTypeE1ELb0ELi512EEEvPfS3_PT_PKS4_PKT0_SA_ifPKiSC_iPKfiiiSE_SE_iiiii
                                        ; -- End function
	.section	.AMDGPU.csdata,"",@progbits
; Kernel info:
; codeLenInByte = 244
; NumSgprs: 50
; NumVgprs: 64
; NumAgprs: 56
; TotalNumVgprs: 120
; ScratchSize: 164
; MemoryBound: 0
; FloatMode: 240
; IeeeMode: 1
; LDSByteSize: 528 bytes/workgroup (compile time only)
; SGPRBlocks: 6
; VGPRBlocks: 14
; NumSGPRsForWavesPerEU: 50
; NumVGPRsForWavesPerEU: 120
; AccumOffset: 64
; Occupancy: 4
; WaveLimiterHint : 1
; COMPUTE_PGM_RSRC2:SCRATCH_EN: 1
; COMPUTE_PGM_RSRC2:USER_SGPR: 8
; COMPUTE_PGM_RSRC2:TRAP_HANDLER: 0
; COMPUTE_PGM_RSRC2:TGID_X_EN: 1
; COMPUTE_PGM_RSRC2:TGID_Y_EN: 1
; COMPUTE_PGM_RSRC2:TGID_Z_EN: 1
; COMPUTE_PGM_RSRC2:TIDIG_COMP_CNT: 0
; COMPUTE_PGM_RSRC3_GFX90A:ACCUM_OFFSET: 15
; COMPUTE_PGM_RSRC3_GFX90A:TG_SPLIT: 0
	.section	.text._ZN4vllm25paged_attention_v2_kernelI14__hip_bfloat16hLi32ELi16ELi128ELNS_18Fp8KVCacheDataTypeE1ELb1ELi512EEEvPfS3_PT_PKS4_PKT0_SA_ifPKiSC_iPKfiiiSE_SE_iiiii,"axG",@progbits,_ZN4vllm25paged_attention_v2_kernelI14__hip_bfloat16hLi32ELi16ELi128ELNS_18Fp8KVCacheDataTypeE1ELb1ELi512EEEvPfS3_PT_PKS4_PKT0_SA_ifPKiSC_iPKfiiiSE_SE_iiiii,comdat
	.protected	_ZN4vllm25paged_attention_v2_kernelI14__hip_bfloat16hLi32ELi16ELi128ELNS_18Fp8KVCacheDataTypeE1ELb1ELi512EEEvPfS3_PT_PKS4_PKT0_SA_ifPKiSC_iPKfiiiSE_SE_iiiii ; -- Begin function _ZN4vllm25paged_attention_v2_kernelI14__hip_bfloat16hLi32ELi16ELi128ELNS_18Fp8KVCacheDataTypeE1ELb1ELi512EEEvPfS3_PT_PKS4_PKT0_SA_ifPKiSC_iPKfiiiSE_SE_iiiii
	.globl	_ZN4vllm25paged_attention_v2_kernelI14__hip_bfloat16hLi32ELi16ELi128ELNS_18Fp8KVCacheDataTypeE1ELb1ELi512EEEvPfS3_PT_PKS4_PKT0_SA_ifPKiSC_iPKfiiiSE_SE_iiiii
	.p2align	8
	.type	_ZN4vllm25paged_attention_v2_kernelI14__hip_bfloat16hLi32ELi16ELi128ELNS_18Fp8KVCacheDataTypeE1ELb1ELi512EEEvPfS3_PT_PKS4_PKT0_SA_ifPKiSC_iPKfiiiSE_SE_iiiii,@function
_ZN4vllm25paged_attention_v2_kernelI14__hip_bfloat16hLi32ELi16ELi128ELNS_18Fp8KVCacheDataTypeE1ELb1ELi512EEEvPfS3_PT_PKS4_PKT0_SA_ifPKiSC_iPKfiiiSE_SE_iiiii: ; @_ZN4vllm25paged_attention_v2_kernelI14__hip_bfloat16hLi32ELi16ELi128ELNS_18Fp8KVCacheDataTypeE1ELb1ELi512EEEvPfS3_PT_PKS4_PKT0_SA_ifPKiSC_iPKfiiiSE_SE_iiiii
; %bb.0:
	s_load_dwordx2 s[0:1], s[4:5], 0x40
	s_mov_b32 s34, s7
	s_ashr_i32 s35, s7, 31
	s_lshl_b64 s[2:3], s[34:35], 2
	s_waitcnt lgkmcnt(0)
	s_add_u32 s0, s0, s2
	s_addc_u32 s1, s1, s3
	s_load_dword s33, s[0:1], 0x0
	s_lshl_b32 s55, s8, 9
	s_waitcnt lgkmcnt(0)
	s_cmp_ge_i32 s55, s33
	s_cbranch_scc1 .LBB347_289
; %bb.1:
	s_load_dword s9, s[4:5], 0x90
	s_load_dwordx2 s[42:43], s[4:5], 0x30
	s_mov_b32 s56, 0
	s_waitcnt lgkmcnt(0)
	s_abs_i32 s2, s9
	s_abs_i32 s0, s42
	v_cvt_f32_u32_e32 v1, s0
	s_sub_i32 s3, 0, s0
	s_xor_b32 s1, s9, s42
	s_ashr_i32 s1, s1, 31
	v_rcp_iflag_f32_e32 v1, v1
	v_mul_f32_e32 v1, 0x4f7ffffe, v1
	v_cvt_u32_f32_e32 v1, v1
	v_readfirstlane_b32 s7, v1
	s_mul_i32 s3, s3, s7
	s_mul_hi_u32 s3, s7, s3
	s_add_i32 s7, s7, s3
	s_mul_hi_u32 s3, s2, s7
	s_mul_i32 s7, s3, s0
	s_sub_i32 s2, s2, s7
	s_add_i32 s10, s3, 1
	s_sub_i32 s7, s2, s0
	s_cmp_ge_u32 s2, s0
	s_cselect_b32 s3, s10, s3
	s_cselect_b32 s2, s7, s2
	s_add_i32 s7, s3, 1
	s_cmp_ge_u32 s2, s0
	s_cselect_b32 s0, s7, s3
	s_xor_b32 s0, s0, s1
	s_sub_i32 s11, s0, s1
	s_abs_i32 s2, s11
	v_cvt_f32_u32_e32 v1, s2
	s_load_dwordx2 s[0:1], s[4:5], 0x50
	s_sub_i32 s7, 0, s2
	s_abs_i32 s3, s6
	v_rcp_iflag_f32_e32 v1, v1
	v_mul_f32_e32 v1, 0x4f7ffffe, v1
	v_cvt_u32_f32_e32 v1, v1
	v_readfirstlane_b32 s10, v1
	s_mul_i32 s7, s7, s10
	s_mul_hi_u32 s7, s10, s7
	s_add_i32 s10, s10, s7
	s_waitcnt lgkmcnt(0)
	s_cmp_eq_u64 s[0:1], 0
	s_mul_hi_u32 s10, s3, s10
	s_cbranch_scc1 .LBB347_3
; %bb.2:
	s_ashr_i32 s7, s6, 31
	s_lshl_b64 s[12:13], s[6:7], 2
	s_add_u32 s0, s0, s12
	s_addc_u32 s1, s1, s13
	s_load_dword s56, s[0:1], 0x0
.LBB347_3:
	s_load_dwordx4 s[16:19], s[4:5], 0x58
	s_ashr_i32 s7, s6, 31
	s_ashr_i32 s11, s11, 31
	v_and_b32_e32 v2, 3, v0
	s_lshl_b32 s28, s6, 5
	v_cmp_gt_u32_e32 vcc, 16, v0
	s_and_saveexec_b64 s[0:1], vcc
	s_cbranch_execz .LBB347_5
; %bb.4:
	s_load_dwordx2 s[12:13], s[4:5], 0x18
	s_waitcnt lgkmcnt(0)
	s_mul_i32 s14, s34, s16
	s_ashr_i32 s15, s14, 31
	s_lshl_b64 s[14:15], s[14:15], 1
	v_lshlrev_b32_e32 v1, 2, v0
	s_add_u32 s14, s12, s14
	s_addc_u32 s15, s13, s15
	s_ashr_i32 s29, s28, 31
	s_lshl_b64 s[12:13], s[28:29], 1
	s_add_u32 s12, s14, s12
	s_addc_u32 s13, s15, s13
	global_load_dword v1, v1, s[12:13]
	v_and_b32_e32 v3, 0x3fc, v0
	v_lshl_add_u32 v3, v2, 4, v3
	s_waitcnt vmcnt(0)
	ds_write_b32 v3, v1
.LBB347_5:
	s_or_b64 exec, exec, s[0:1]
	s_mul_i32 s1, s10, s2
	s_sub_i32 s1, s3, s1
	s_xor_b32 s0, s7, s11
	s_add_i32 s3, s10, 1
	s_sub_i32 s7, s1, s2
	s_load_dwordx4 s[20:23], s[4:5], 0x78
	s_cmp_ge_u32 s1, s2
	s_cselect_b32 s3, s3, s10
	s_cselect_b32 s1, s7, s1
	s_add_i32 s7, s3, 1
	s_cmp_ge_u32 s1, s2
	s_cselect_b32 s1, s7, s3
	s_load_dword s7, s[4:5], 0x88
	s_waitcnt lgkmcnt(0)
	s_abs_i32 s29, s23
	v_cvt_f32_u32_e32 v1, s29
	s_xor_b32 s1, s1, s0
	s_sub_i32 s54, s1, s0
	s_sub_i32 s0, 0, s29
	v_rcp_iflag_f32_e32 v1, v1
	s_add_i32 s10, s33, -1
	s_abs_i32 s2, s10
	v_mul_f32_e32 v1, 0x4f7ffffe, v1
	v_cvt_u32_f32_e32 v1, v1
	s_barrier
	v_readfirstlane_b32 s35, v1
	s_mul_i32 s0, s0, s35
	s_mul_hi_u32 s0, s35, s0
	s_add_i32 s35, s35, s0
	s_cmp_lt_i32 s7, 0
	s_mul_hi_u32 s3, s2, s35
	s_cbranch_scc0 .LBB347_7
; %bb.6:
	s_mul_i32 s0, s20, s42
	s_add_i32 s0, s54, s0
	s_mul_i32 s0, s0, s7
	s_sub_i32 s42, 1, s0
	s_mov_b64 s[0:1], 0
	s_branch .LBB347_8
.LBB347_7:
	s_mov_b64 s[0:1], -1
                                        ; implicit-def: $sgpr42
.LBB347_8:
	s_load_dwordx2 s[36:37], s[4:5], 0x38
	s_ashr_i32 s10, s10, 31
	s_andn2_b64 vcc, exec, s[0:1]
	s_ashr_i32 s23, s23, 31
	s_cbranch_vccnz .LBB347_10
; %bb.9:
	s_mul_i32 s0, s9, s20
	s_add_i32 s0, s0, s6
	s_mul_i32 s0, s0, s7
	s_add_i32 s42, s0, 1
.LBB347_10:
	s_load_dwordx2 s[40:41], s[4:5], 0x28
	s_load_dword s0, s[4:5], 0x48
	s_load_dwordx4 s[24:27], s[4:5], 0x0
	s_load_dwordx2 s[30:31], s[4:5], 0x10
	s_load_dword s20, s[4:5], 0x98
	s_load_dwordx4 s[12:15], s[4:5], 0x68
	s_mul_i32 s1, s3, s29
	s_waitcnt lgkmcnt(0)
	s_mul_i32 s38, s34, s0
	s_sub_i32 s1, s2, s1
	s_ashr_i32 s39, s38, 31
	s_xor_b32 s0, s10, s23
	s_add_i32 s2, s3, 1
	s_sub_i32 s7, s1, s29
	s_cmp_ge_u32 s1, s29
	s_cselect_b32 s2, s2, s3
	s_cselect_b32 s1, s7, s1
	s_add_i32 s3, s2, 1
	s_cmp_ge_u32 s1, s29
	s_cselect_b32 s1, s3, s2
	s_xor_b32 s1, s1, s0
	s_sub_i32 s7, s1, s0
	s_add_i32 s0, s33, 15
	s_ashr_i32 s1, s0, 31
	s_lshr_b32 s1, s1, 28
	s_add_i32 s0, s0, s1
	s_lshl_b32 s16, s8, 5
	s_ashr_i32 s53, s0, 4
	s_add_i32 s0, s16, 32
	v_lshrrev_b32_e32 v9, 6, v0
	s_min_i32 s52, s0, s53
	v_or_b32_e32 v10, s16, v9
	v_cmp_gt_i32_e64 s[0:1], s52, v10
	v_mov_b32_e32 v23, 0xff7fffff
	s_mul_i32 s54, s54, s18
	v_ashrrev_i32_e32 v11, 31, v10
	v_lshl_add_u32 v1, v9, 4, s55
	v_mbcnt_lo_u32_b32 v17, -1, 0
	s_and_saveexec_b64 s[18:19], s[0:1]
	s_cbranch_execz .LBB347_100
; %bb.11:
	s_load_dwordx2 s[2:3], s[4:5], 0x20
	s_sub_i32 s57, s7, s21
	s_ashr_i32 s4, s54, 31
	v_cmp_eq_u32_e32 vcc, 0, v2
	v_lshlrev_b32_e32 v8, 1, v2
	s_waitcnt lgkmcnt(0)
	s_add_u32 s2, s2, s54
	s_addc_u32 s3, s3, s4
	s_abs_i32 s59, s22
	v_cvt_f32_u32_e32 v3, s59
	s_sub_i32 s4, 0, s59
	v_lshlrev_b32_e32 v21, 4, v2
	v_bfe_u32 v19, v0, 2, 4
	v_rcp_iflag_f32_e32 v3, v3
	v_lshlrev_b32_e32 v4, 4, v19
	v_mov_b32_e32 v5, s3
	v_add_co_u32_e64 v6, s[2:3], s2, v4
	v_mul_f32_e32 v3, 0x4f7ffffe, v3
	v_cvt_u32_f32_e32 v3, v3
	v_addc_co_u32_e64 v7, s[2:3], 0, v5, s[2:3]
	s_mov_b32 s58, s17
	v_mul_lo_u32 v2, s4, v3
	s_lshl_b64 s[4:5], s[38:39], 2
	v_mul_hi_u32 v2, v3, v2
	s_add_u32 s4, s36, s4
	v_add_u32_e32 v22, v3, v2
	v_lshlrev_b64 v[2:3], 2, v[10:11]
	s_addc_u32 s5, s37, s5
	v_mov_b32_e32 v4, s5
	v_add_co_u32_e64 v12, s[4:5], s4, v2
	v_lshlrev_b32_e32 v2, 2, v19
	v_lshl_or_b32 v2, v9, 6, v2
	v_add_u32_e32 v25, 0x50, v2
	v_subrev_u32_e32 v2, s33, v19
	v_mov_b32_e32 v20, 0
	v_cmp_neq_f32_e64 s[2:3], s56, 0
	v_addc_co_u32_e64 v13, s[4:5], v4, v3, s[4:5]
	v_lshl_add_u32 v24, v9, 4, s55
	v_add_u32_e32 v26, 1, v2
	s_mov_b64 s[44:45], 0
	v_mov_b32_e32 v27, 0xff7fffff
	s_movk_i32 s60, 0x80
	s_movk_i32 s61, 0x7f
	s_mov_b32 s62, 0x7f800000
	s_movk_i32 s63, 0x7fff
	v_bfrev_b32_e32 v28, 60
	v_mbcnt_hi_u32_b32 v29, -1, v17
	v_mov_b32_e32 v23, 0xff7fffff
	v_mov_b32_e32 v30, v10
	s_branch .LBB347_14
.LBB347_12:                             ;   in Loop: Header=BB347_14 Depth=1
	s_or_b64 exec, exec, s[46:47]
.LBB347_13:                             ;   in Loop: Header=BB347_14 Depth=1
	s_or_b64 exec, exec, s[10:11]
	v_add_co_u32_e64 v12, s[4:5], 8, v12
	v_add_u32_e32 v30, 2, v30
	v_addc_co_u32_e64 v13, s[4:5], 0, v13, s[4:5]
	v_cmp_le_i32_e64 s[4:5], s52, v30
	v_add_u32_e32 v24, 32, v24
	s_or_b64 s[44:45], s[4:5], s[44:45]
	v_add_u32_e32 v25, 0x80, v25
	s_andn2_b64 exec, exec, s[44:45]
	s_cbranch_execz .LBB347_99
.LBB347_14:                             ; =>This Inner Loop Header: Depth=1
	s_waitcnt lgkmcnt(0)
	v_sub_u32_e32 v3, 0, v24
	v_max_i32_e32 v3, v24, v3
	v_mul_hi_u32 v4, v3, s35
	v_mul_lo_u32 v5, v4, s29
	v_sub_u32_e32 v3, v3, v5
	v_add_u32_e32 v5, 1, v4
	v_cmp_le_u32_e64 s[4:5], s29, v3
	v_cndmask_b32_e64 v4, v4, v5, s[4:5]
	v_subrev_u32_e32 v5, s29, v3
	v_cndmask_b32_e64 v3, v3, v5, s[4:5]
	v_ashrrev_i32_e32 v2, 31, v24
	v_add_u32_e32 v5, 1, v4
	v_cmp_le_u32_e64 s[4:5], s29, v3
	v_xor_b32_e32 v2, s23, v2
	v_cndmask_b32_e64 v3, v4, v5, s[4:5]
	v_xor_b32_e32 v3, v3, v2
	v_sub_u32_e32 v2, v3, v2
	v_add_u32_e32 v3, s42, v2
	v_sub_u32_e32 v5, 0, v3
	v_ashrrev_i32_e32 v4, 31, v3
	v_max_i32_e32 v3, v3, v5
	v_mul_hi_u32 v5, v3, v22
	v_mul_lo_u32 v5, v5, s59
	v_sub_u32_e32 v3, v3, v5
	v_subrev_u32_e32 v5, s59, v3
	v_cmp_le_u32_e64 s[4:5], s59, v3
	v_cndmask_b32_e64 v3, v3, v5, s[4:5]
	v_subrev_u32_e32 v5, s59, v3
	v_cmp_le_u32_e64 s[4:5], s59, v3
	v_cndmask_b32_e64 v3, v3, v5, s[4:5]
	v_xor_b32_e32 v3, v3, v4
	v_sub_u32_e32 v3, v3, v4
	v_cmp_ne_u32_e64 s[4:5], 0, v3
	v_cmp_ge_i32_e64 s[10:11], s57, v2
	s_and_b64 s[4:5], s[4:5], s[10:11]
	s_and_b64 s[46:47], vcc, s[4:5]
	s_and_saveexec_b64 s[10:11], s[46:47]
	s_cbranch_execz .LBB347_16
; %bb.15:                               ;   in Loop: Header=BB347_14 Depth=1
	ds_write_b32 v25, v27
.LBB347_16:                             ;   in Loop: Header=BB347_14 Depth=1
	s_or_b64 exec, exec, s[10:11]
	s_xor_b64 s[4:5], s[4:5], -1
	s_and_saveexec_b64 s[10:11], s[4:5]
	s_cbranch_execz .LBB347_13
; %bb.17:                               ;   in Loop: Header=BB347_14 Depth=1
	global_load_dword v2, v[12:13], off
	s_load_dword s64, s[12:13], 0x0
	s_waitcnt vmcnt(0)
	v_mad_i64_i32 v[2:3], s[4:5], v2, s58, v[6:7]
	v_add_co_u32_e64 v14, s[4:5], v2, v8
	v_addc_co_u32_e64 v15, s[4:5], 0, v3, s[4:5]
	global_load_ushort v18, v[14:15], off
	ds_read_b128 v[2:5], v21
	s_waitcnt vmcnt(0)
	v_and_b32_e32 v16, 0xffff, v18
	v_cmp_ne_u16_sdwa s[4:5], v18, v20 src0_sel:BYTE_0 src1_sel:DWORD
	v_mov_b32_e32 v18, 0
	s_and_saveexec_b64 s[46:47], s[4:5]
	s_cbranch_execz .LBB347_23
; %bb.18:                               ;   in Loop: Header=BB347_14 Depth=1
	v_cmp_ne_u16_sdwa s[4:5], v16, s60 src0_sel:BYTE_0 src1_sel:DWORD
	v_bfrev_b32_e32 v18, 1
	s_and_saveexec_b64 s[48:49], s[4:5]
	s_cbranch_execz .LBB347_22
; %bb.19:                               ;   in Loop: Header=BB347_14 Depth=1
	v_and_b32_e32 v31, 0x7f, v16
	v_cmp_ne_u32_e64 s[4:5], s61, v31
	v_mov_b32_e32 v18, 0x7f800001
	s_and_saveexec_b64 s[50:51], s[4:5]
	s_cbranch_execz .LBB347_21
; %bb.20:                               ;   in Loop: Header=BB347_14 Depth=1
	v_and_b32_e32 v18, 7, v16
	v_ffbh_u32_e32 v32, v18
	v_min_u32_e32 v35, 32, v32
	v_subrev_u32_e32 v32, 28, v35
	v_lshlrev_b64 v[32:33], v32, v[16:17]
	v_lshrrev_b32_e32 v34, 3, v31
	v_sub_u32_e32 v33, 29, v35
	v_and_b32_e32 v32, 7, v32
	v_cmp_gt_u32_e64 s[4:5], 8, v31
	v_cndmask_b32_e64 v31, v34, v33, s[4:5]
	v_cndmask_b32_e64 v18, v18, v32, s[4:5]
	v_lshlrev_b32_e32 v32, 24, v16
	v_lshlrev_b32_e32 v18, 20, v18
	v_and_b32_e32 v32, 0x80000000, v32
	v_lshl_add_u32 v31, v31, 23, v28
	v_or3_b32 v18, v32, v31, v18
.LBB347_21:                             ;   in Loop: Header=BB347_14 Depth=1
	s_or_b64 exec, exec, s[50:51]
.LBB347_22:                             ;   in Loop: Header=BB347_14 Depth=1
	s_or_b64 exec, exec, s[48:49]
.LBB347_23:                             ;   in Loop: Header=BB347_14 Depth=1
	s_or_b64 exec, exec, s[46:47]
	s_waitcnt lgkmcnt(0)
	v_mul_f32_e32 v18, s64, v18
	v_and_b32_e32 v31, 0x7f800000, v18
	v_cmp_ne_u32_e64 s[4:5], s62, v31
                                        ; implicit-def: $vgpr31
	s_and_saveexec_b64 s[46:47], s[4:5]
	s_xor_b64 s[4:5], exec, s[46:47]
; %bb.24:                               ;   in Loop: Header=BB347_14 Depth=1
	v_bfe_u32 v31, v18, 16, 1
	v_add3_u32 v31, v18, v31, s63
                                        ; implicit-def: $vgpr18
; %bb.25:                               ;   in Loop: Header=BB347_14 Depth=1
	s_andn2_saveexec_b64 s[46:47], s[4:5]
; %bb.26:                               ;   in Loop: Header=BB347_14 Depth=1
	v_or_b32_e32 v31, 0x10000, v18
	v_cmp_eq_u32_sdwa s[4:5], v18, v20 src0_sel:WORD_0 src1_sel:DWORD
	v_cndmask_b32_e64 v31, v31, v18, s[4:5]
; %bb.27:                               ;   in Loop: Header=BB347_14 Depth=1
	s_or_b64 exec, exec, s[46:47]
	v_lshrrev_b16_e32 v18, 8, v16
	v_cmp_ne_u16_e64 s[4:5], 0, v18
	v_mov_b32_e32 v32, 0
	s_and_saveexec_b64 s[46:47], s[4:5]
	s_cbranch_execz .LBB347_33
; %bb.28:                               ;   in Loop: Header=BB347_14 Depth=1
	v_cmp_ne_u16_e64 s[4:5], s60, v18
	v_bfrev_b32_e32 v32, 1
	s_and_saveexec_b64 s[48:49], s[4:5]
	s_cbranch_execz .LBB347_32
; %bb.29:                               ;   in Loop: Header=BB347_14 Depth=1
	v_and_b32_e32 v33, 0x7f, v18
	v_cmp_ne_u32_e64 s[4:5], s61, v33
	v_mov_b32_e32 v32, 0x7f800001
	s_and_saveexec_b64 s[50:51], s[4:5]
	s_cbranch_execz .LBB347_31
; %bb.30:                               ;   in Loop: Header=BB347_14 Depth=1
	v_and_b32_e32 v32, 7, v18
	v_ffbh_u32_e32 v34, v32
	v_min_u32_e32 v37, 32, v34
	v_subrev_u32_e32 v34, 28, v37
	v_lshlrev_b64 v[34:35], v34, v[18:19]
	v_lshrrev_b32_e32 v36, 3, v33
	v_sub_u32_e32 v18, 29, v37
	v_and_b32_e32 v34, 7, v34
	v_cmp_gt_u32_e64 s[4:5], 8, v33
	v_cndmask_b32_e64 v18, v36, v18, s[4:5]
	v_cndmask_b32_e64 v32, v32, v34, s[4:5]
	v_lshlrev_b32_e32 v16, 16, v16
	v_lshlrev_b32_e32 v32, 20, v32
	v_and_b32_e32 v16, 0x80000000, v16
	v_lshl_add_u32 v18, v18, 23, v28
	v_or3_b32 v32, v16, v18, v32
.LBB347_31:                             ;   in Loop: Header=BB347_14 Depth=1
	s_or_b64 exec, exec, s[50:51]
.LBB347_32:                             ;   in Loop: Header=BB347_14 Depth=1
	s_or_b64 exec, exec, s[48:49]
.LBB347_33:                             ;   in Loop: Header=BB347_14 Depth=1
	s_or_b64 exec, exec, s[46:47]
	v_mul_f32_e32 v16, s64, v32
	v_and_b32_e32 v18, 0x7f800000, v16
	v_cmp_ne_u32_e64 s[4:5], s62, v18
                                        ; implicit-def: $vgpr32
	s_and_saveexec_b64 s[46:47], s[4:5]
	s_xor_b64 s[4:5], exec, s[46:47]
; %bb.34:                               ;   in Loop: Header=BB347_14 Depth=1
	v_bfe_u32 v18, v16, 16, 1
	v_add3_u32 v32, v16, v18, s63
                                        ; implicit-def: $vgpr16
; %bb.35:                               ;   in Loop: Header=BB347_14 Depth=1
	s_andn2_saveexec_b64 s[46:47], s[4:5]
; %bb.36:                               ;   in Loop: Header=BB347_14 Depth=1
	v_or_b32_e32 v18, 0x10000, v16
	v_cmp_eq_u32_sdwa s[4:5], v16, v20 src0_sel:WORD_0 src1_sel:DWORD
	v_cndmask_b32_e64 v32, v18, v16, s[4:5]
; %bb.37:                               ;   in Loop: Header=BB347_14 Depth=1
	s_or_b64 exec, exec, s[46:47]
	global_load_ushort v18, v[14:15], off offset:8
	s_waitcnt vmcnt(0)
	v_and_b32_e32 v16, 0xffff, v18
	v_cmp_ne_u16_sdwa s[4:5], v18, v20 src0_sel:BYTE_0 src1_sel:DWORD
	v_mov_b32_e32 v18, 0
	s_and_saveexec_b64 s[46:47], s[4:5]
	s_cbranch_execz .LBB347_43
; %bb.38:                               ;   in Loop: Header=BB347_14 Depth=1
	v_cmp_ne_u16_sdwa s[4:5], v16, s60 src0_sel:BYTE_0 src1_sel:DWORD
	v_bfrev_b32_e32 v18, 1
	s_and_saveexec_b64 s[48:49], s[4:5]
	s_cbranch_execz .LBB347_42
; %bb.39:                               ;   in Loop: Header=BB347_14 Depth=1
	v_and_b32_e32 v33, 0x7f, v16
	v_cmp_ne_u32_e64 s[4:5], s61, v33
	v_mov_b32_e32 v18, 0x7f800001
	s_and_saveexec_b64 s[50:51], s[4:5]
	s_cbranch_execz .LBB347_41
; %bb.40:                               ;   in Loop: Header=BB347_14 Depth=1
	v_and_b32_e32 v18, 7, v16
	v_ffbh_u32_e32 v34, v18
	v_min_u32_e32 v37, 32, v34
	v_subrev_u32_e32 v34, 28, v37
	v_lshlrev_b64 v[34:35], v34, v[16:17]
	v_lshrrev_b32_e32 v36, 3, v33
	v_sub_u32_e32 v35, 29, v37
	v_and_b32_e32 v34, 7, v34
	v_cmp_gt_u32_e64 s[4:5], 8, v33
	v_cndmask_b32_e64 v33, v36, v35, s[4:5]
	v_cndmask_b32_e64 v18, v18, v34, s[4:5]
	v_lshlrev_b32_e32 v34, 24, v16
	v_lshlrev_b32_e32 v18, 20, v18
	v_and_b32_e32 v34, 0x80000000, v34
	v_lshl_add_u32 v33, v33, 23, v28
	v_or3_b32 v18, v34, v33, v18
.LBB347_41:                             ;   in Loop: Header=BB347_14 Depth=1
	s_or_b64 exec, exec, s[50:51]
.LBB347_42:                             ;   in Loop: Header=BB347_14 Depth=1
	s_or_b64 exec, exec, s[48:49]
.LBB347_43:                             ;   in Loop: Header=BB347_14 Depth=1
	s_or_b64 exec, exec, s[46:47]
	v_mul_f32_e32 v18, s64, v18
	v_and_b32_e32 v33, 0x7f800000, v18
	v_cmp_ne_u32_e64 s[4:5], s62, v33
                                        ; implicit-def: $vgpr33
	s_and_saveexec_b64 s[46:47], s[4:5]
	s_xor_b64 s[4:5], exec, s[46:47]
; %bb.44:                               ;   in Loop: Header=BB347_14 Depth=1
	v_bfe_u32 v33, v18, 16, 1
	v_add3_u32 v33, v18, v33, s63
                                        ; implicit-def: $vgpr18
; %bb.45:                               ;   in Loop: Header=BB347_14 Depth=1
	s_andn2_saveexec_b64 s[46:47], s[4:5]
; %bb.46:                               ;   in Loop: Header=BB347_14 Depth=1
	v_or_b32_e32 v33, 0x10000, v18
	v_cmp_eq_u32_sdwa s[4:5], v18, v20 src0_sel:WORD_0 src1_sel:DWORD
	v_cndmask_b32_e64 v33, v33, v18, s[4:5]
; %bb.47:                               ;   in Loop: Header=BB347_14 Depth=1
	s_or_b64 exec, exec, s[46:47]
	v_lshrrev_b16_e32 v18, 8, v16
	v_cmp_ne_u16_e64 s[4:5], 0, v18
	v_mov_b32_e32 v34, 0
	s_and_saveexec_b64 s[46:47], s[4:5]
	s_cbranch_execz .LBB347_53
; %bb.48:                               ;   in Loop: Header=BB347_14 Depth=1
	v_cmp_ne_u16_e64 s[4:5], s60, v18
	v_bfrev_b32_e32 v34, 1
	s_and_saveexec_b64 s[48:49], s[4:5]
	s_cbranch_execz .LBB347_52
; %bb.49:                               ;   in Loop: Header=BB347_14 Depth=1
	v_and_b32_e32 v35, 0x7f, v18
	v_cmp_ne_u32_e64 s[4:5], s61, v35
	v_mov_b32_e32 v34, 0x7f800001
	s_and_saveexec_b64 s[50:51], s[4:5]
	s_cbranch_execz .LBB347_51
; %bb.50:                               ;   in Loop: Header=BB347_14 Depth=1
	v_and_b32_e32 v34, 7, v18
	v_ffbh_u32_e32 v36, v34
	v_min_u32_e32 v39, 32, v36
	v_subrev_u32_e32 v36, 28, v39
	v_lshlrev_b64 v[36:37], v36, v[18:19]
	v_lshrrev_b32_e32 v38, 3, v35
	v_sub_u32_e32 v18, 29, v39
	v_and_b32_e32 v36, 7, v36
	v_cmp_gt_u32_e64 s[4:5], 8, v35
	v_cndmask_b32_e64 v18, v38, v18, s[4:5]
	v_cndmask_b32_e64 v34, v34, v36, s[4:5]
	v_lshlrev_b32_e32 v16, 16, v16
	v_lshlrev_b32_e32 v34, 20, v34
	v_and_b32_e32 v16, 0x80000000, v16
	v_lshl_add_u32 v18, v18, 23, v28
	v_or3_b32 v34, v16, v18, v34
.LBB347_51:                             ;   in Loop: Header=BB347_14 Depth=1
	s_or_b64 exec, exec, s[50:51]
.LBB347_52:                             ;   in Loop: Header=BB347_14 Depth=1
	s_or_b64 exec, exec, s[48:49]
.LBB347_53:                             ;   in Loop: Header=BB347_14 Depth=1
	s_or_b64 exec, exec, s[46:47]
	v_mul_f32_e32 v16, s64, v34
	v_and_b32_e32 v18, 0x7f800000, v16
	v_cmp_ne_u32_e64 s[4:5], s62, v18
                                        ; implicit-def: $vgpr34
	s_and_saveexec_b64 s[46:47], s[4:5]
	s_xor_b64 s[4:5], exec, s[46:47]
; %bb.54:                               ;   in Loop: Header=BB347_14 Depth=1
	v_bfe_u32 v18, v16, 16, 1
	v_add3_u32 v34, v16, v18, s63
                                        ; implicit-def: $vgpr16
; %bb.55:                               ;   in Loop: Header=BB347_14 Depth=1
	s_andn2_saveexec_b64 s[46:47], s[4:5]
; %bb.56:                               ;   in Loop: Header=BB347_14 Depth=1
	v_or_b32_e32 v18, 0x10000, v16
	v_cmp_eq_u32_sdwa s[4:5], v16, v20 src0_sel:WORD_0 src1_sel:DWORD
	v_cndmask_b32_e64 v34, v18, v16, s[4:5]
; %bb.57:                               ;   in Loop: Header=BB347_14 Depth=1
	s_or_b64 exec, exec, s[46:47]
	global_load_ushort v18, v[14:15], off offset:256
	s_waitcnt vmcnt(0)
	v_and_b32_e32 v16, 0xffff, v18
	v_cmp_ne_u16_sdwa s[4:5], v18, v20 src0_sel:BYTE_0 src1_sel:DWORD
	v_mov_b32_e32 v18, 0
	s_and_saveexec_b64 s[46:47], s[4:5]
	s_cbranch_execz .LBB347_63
; %bb.58:                               ;   in Loop: Header=BB347_14 Depth=1
	v_cmp_ne_u16_sdwa s[4:5], v16, s60 src0_sel:BYTE_0 src1_sel:DWORD
	v_bfrev_b32_e32 v18, 1
	s_and_saveexec_b64 s[48:49], s[4:5]
	s_cbranch_execz .LBB347_62
; %bb.59:                               ;   in Loop: Header=BB347_14 Depth=1
	v_and_b32_e32 v35, 0x7f, v16
	v_cmp_ne_u32_e64 s[4:5], s61, v35
	v_mov_b32_e32 v18, 0x7f800001
	s_and_saveexec_b64 s[50:51], s[4:5]
	s_cbranch_execz .LBB347_61
; %bb.60:                               ;   in Loop: Header=BB347_14 Depth=1
	v_and_b32_e32 v18, 7, v16
	v_ffbh_u32_e32 v36, v18
	v_min_u32_e32 v39, 32, v36
	v_subrev_u32_e32 v36, 28, v39
	v_lshlrev_b64 v[36:37], v36, v[16:17]
	v_lshrrev_b32_e32 v38, 3, v35
	v_sub_u32_e32 v37, 29, v39
	v_and_b32_e32 v36, 7, v36
	v_cmp_gt_u32_e64 s[4:5], 8, v35
	v_cndmask_b32_e64 v35, v38, v37, s[4:5]
	v_cndmask_b32_e64 v18, v18, v36, s[4:5]
	v_lshlrev_b32_e32 v36, 24, v16
	v_lshlrev_b32_e32 v18, 20, v18
	v_and_b32_e32 v36, 0x80000000, v36
	v_lshl_add_u32 v35, v35, 23, v28
	v_or3_b32 v18, v36, v35, v18
.LBB347_61:                             ;   in Loop: Header=BB347_14 Depth=1
	s_or_b64 exec, exec, s[50:51]
.LBB347_62:                             ;   in Loop: Header=BB347_14 Depth=1
	s_or_b64 exec, exec, s[48:49]
.LBB347_63:                             ;   in Loop: Header=BB347_14 Depth=1
	s_or_b64 exec, exec, s[46:47]
	v_mul_f32_e32 v18, s64, v18
	v_and_b32_e32 v35, 0x7f800000, v18
	v_cmp_ne_u32_e64 s[4:5], s62, v35
                                        ; implicit-def: $vgpr35
	s_and_saveexec_b64 s[46:47], s[4:5]
	s_xor_b64 s[4:5], exec, s[46:47]
; %bb.64:                               ;   in Loop: Header=BB347_14 Depth=1
	v_bfe_u32 v35, v18, 16, 1
	v_add3_u32 v35, v18, v35, s63
                                        ; implicit-def: $vgpr18
; %bb.65:                               ;   in Loop: Header=BB347_14 Depth=1
	s_andn2_saveexec_b64 s[46:47], s[4:5]
; %bb.66:                               ;   in Loop: Header=BB347_14 Depth=1
	v_or_b32_e32 v35, 0x10000, v18
	v_cmp_eq_u32_sdwa s[4:5], v18, v20 src0_sel:WORD_0 src1_sel:DWORD
	v_cndmask_b32_e64 v35, v35, v18, s[4:5]
; %bb.67:                               ;   in Loop: Header=BB347_14 Depth=1
	s_or_b64 exec, exec, s[46:47]
	v_lshrrev_b16_e32 v18, 8, v16
	v_cmp_ne_u16_e64 s[4:5], 0, v18
	v_mov_b32_e32 v36, 0
	s_and_saveexec_b64 s[46:47], s[4:5]
	s_cbranch_execz .LBB347_73
; %bb.68:                               ;   in Loop: Header=BB347_14 Depth=1
	v_cmp_ne_u16_e64 s[4:5], s60, v18
	v_bfrev_b32_e32 v36, 1
	s_and_saveexec_b64 s[48:49], s[4:5]
	s_cbranch_execz .LBB347_72
; %bb.69:                               ;   in Loop: Header=BB347_14 Depth=1
	v_and_b32_e32 v37, 0x7f, v18
	v_cmp_ne_u32_e64 s[4:5], s61, v37
	v_mov_b32_e32 v36, 0x7f800001
	s_and_saveexec_b64 s[50:51], s[4:5]
	s_cbranch_execz .LBB347_71
; %bb.70:                               ;   in Loop: Header=BB347_14 Depth=1
	v_and_b32_e32 v36, 7, v18
	v_ffbh_u32_e32 v38, v36
	v_min_u32_e32 v41, 32, v38
	v_subrev_u32_e32 v38, 28, v41
	v_lshlrev_b64 v[38:39], v38, v[18:19]
	v_lshrrev_b32_e32 v40, 3, v37
	v_sub_u32_e32 v18, 29, v41
	v_and_b32_e32 v38, 7, v38
	v_cmp_gt_u32_e64 s[4:5], 8, v37
	v_cndmask_b32_e64 v18, v40, v18, s[4:5]
	v_cndmask_b32_e64 v36, v36, v38, s[4:5]
	v_lshlrev_b32_e32 v16, 16, v16
	v_lshlrev_b32_e32 v36, 20, v36
	v_and_b32_e32 v16, 0x80000000, v16
	v_lshl_add_u32 v18, v18, 23, v28
	v_or3_b32 v36, v16, v18, v36
.LBB347_71:                             ;   in Loop: Header=BB347_14 Depth=1
	s_or_b64 exec, exec, s[50:51]
.LBB347_72:                             ;   in Loop: Header=BB347_14 Depth=1
	s_or_b64 exec, exec, s[48:49]
.LBB347_73:                             ;   in Loop: Header=BB347_14 Depth=1
	s_or_b64 exec, exec, s[46:47]
	v_mul_f32_e32 v16, s64, v36
	v_and_b32_e32 v18, 0x7f800000, v16
	v_cmp_ne_u32_e64 s[4:5], s62, v18
                                        ; implicit-def: $vgpr18
	s_and_saveexec_b64 s[46:47], s[4:5]
	s_xor_b64 s[4:5], exec, s[46:47]
; %bb.74:                               ;   in Loop: Header=BB347_14 Depth=1
	v_bfe_u32 v18, v16, 16, 1
	v_add3_u32 v18, v16, v18, s63
                                        ; implicit-def: $vgpr16
; %bb.75:                               ;   in Loop: Header=BB347_14 Depth=1
	s_andn2_saveexec_b64 s[46:47], s[4:5]
; %bb.76:                               ;   in Loop: Header=BB347_14 Depth=1
	v_or_b32_e32 v18, 0x10000, v16
	v_cmp_eq_u32_sdwa s[4:5], v16, v20 src0_sel:WORD_0 src1_sel:DWORD
	v_cndmask_b32_e64 v18, v18, v16, s[4:5]
; %bb.77:                               ;   in Loop: Header=BB347_14 Depth=1
	s_or_b64 exec, exec, s[46:47]
	global_load_ushort v15, v[14:15], off offset:264
	s_waitcnt vmcnt(0)
	v_and_b32_e32 v14, 0xffff, v15
	v_cmp_ne_u16_sdwa s[4:5], v15, v20 src0_sel:BYTE_0 src1_sel:DWORD
	v_mov_b32_e32 v15, 0
	s_and_saveexec_b64 s[46:47], s[4:5]
	s_cbranch_execz .LBB347_83
; %bb.78:                               ;   in Loop: Header=BB347_14 Depth=1
	v_cmp_ne_u16_sdwa s[4:5], v14, s60 src0_sel:BYTE_0 src1_sel:DWORD
	v_bfrev_b32_e32 v15, 1
	s_and_saveexec_b64 s[48:49], s[4:5]
	s_cbranch_execz .LBB347_82
; %bb.79:                               ;   in Loop: Header=BB347_14 Depth=1
	v_and_b32_e32 v16, 0x7f, v14
	v_cmp_ne_u32_e64 s[4:5], s61, v16
	v_mov_b32_e32 v15, 0x7f800001
	s_and_saveexec_b64 s[50:51], s[4:5]
	s_cbranch_execz .LBB347_81
; %bb.80:                               ;   in Loop: Header=BB347_14 Depth=1
	v_and_b32_e32 v15, 7, v14
	v_ffbh_u32_e32 v36, v15
	v_min_u32_e32 v39, 32, v36
	v_subrev_u32_e32 v36, 28, v39
	v_lshlrev_b64 v[36:37], v36, v[14:15]
	v_lshrrev_b32_e32 v38, 3, v16
	v_sub_u32_e32 v37, 29, v39
	v_and_b32_e32 v36, 7, v36
	v_cmp_gt_u32_e64 s[4:5], 8, v16
	v_cndmask_b32_e64 v16, v38, v37, s[4:5]
	v_cndmask_b32_e64 v15, v15, v36, s[4:5]
	v_lshlrev_b32_e32 v36, 24, v14
	v_lshlrev_b32_e32 v15, 20, v15
	v_and_b32_e32 v36, 0x80000000, v36
	v_lshl_add_u32 v16, v16, 23, v28
	v_or3_b32 v15, v36, v16, v15
.LBB347_81:                             ;   in Loop: Header=BB347_14 Depth=1
	s_or_b64 exec, exec, s[50:51]
.LBB347_82:                             ;   in Loop: Header=BB347_14 Depth=1
	s_or_b64 exec, exec, s[48:49]
.LBB347_83:                             ;   in Loop: Header=BB347_14 Depth=1
	s_or_b64 exec, exec, s[46:47]
	v_mul_f32_e32 v16, s64, v15
	v_and_b32_e32 v15, 0x7f800000, v16
	v_cmp_ne_u32_e64 s[4:5], s62, v15
                                        ; implicit-def: $vgpr15
	s_and_saveexec_b64 s[46:47], s[4:5]
	s_xor_b64 s[4:5], exec, s[46:47]
; %bb.84:                               ;   in Loop: Header=BB347_14 Depth=1
	v_bfe_u32 v15, v16, 16, 1
	v_add3_u32 v15, v16, v15, s63
                                        ; implicit-def: $vgpr16
; %bb.85:                               ;   in Loop: Header=BB347_14 Depth=1
	s_andn2_saveexec_b64 s[46:47], s[4:5]
; %bb.86:                               ;   in Loop: Header=BB347_14 Depth=1
	v_or_b32_e32 v15, 0x10000, v16
	v_cmp_eq_u32_sdwa s[4:5], v16, v20 src0_sel:WORD_0 src1_sel:DWORD
	v_cndmask_b32_e64 v15, v15, v16, s[4:5]
; %bb.87:                               ;   in Loop: Header=BB347_14 Depth=1
	s_or_b64 exec, exec, s[46:47]
	v_lshrrev_b16_e32 v16, 8, v14
	v_cmp_ne_u16_e64 s[4:5], 0, v16
	v_mov_b32_e32 v36, 0
	s_and_saveexec_b64 s[46:47], s[4:5]
	s_cbranch_execz .LBB347_93
; %bb.88:                               ;   in Loop: Header=BB347_14 Depth=1
	v_cmp_ne_u16_e64 s[4:5], s60, v16
	v_bfrev_b32_e32 v36, 1
	s_and_saveexec_b64 s[48:49], s[4:5]
	s_cbranch_execz .LBB347_92
; %bb.89:                               ;   in Loop: Header=BB347_14 Depth=1
	v_and_b32_e32 v37, 0x7f, v16
	v_cmp_ne_u32_e64 s[4:5], s61, v37
	v_mov_b32_e32 v36, 0x7f800001
	s_and_saveexec_b64 s[50:51], s[4:5]
	s_cbranch_execz .LBB347_91
; %bb.90:                               ;   in Loop: Header=BB347_14 Depth=1
	v_and_b32_e32 v36, 7, v16
	v_ffbh_u32_e32 v38, v36
	v_min_u32_e32 v41, 32, v38
	v_subrev_u32_e32 v38, 28, v41
	v_lshlrev_b64 v[38:39], v38, v[16:17]
	v_lshrrev_b32_e32 v40, 3, v37
	v_sub_u32_e32 v16, 29, v41
	v_and_b32_e32 v38, 7, v38
	v_cmp_gt_u32_e64 s[4:5], 8, v37
	v_cndmask_b32_e64 v16, v40, v16, s[4:5]
	v_cndmask_b32_e64 v36, v36, v38, s[4:5]
	v_lshlrev_b32_e32 v14, 16, v14
	v_lshlrev_b32_e32 v36, 20, v36
	v_and_b32_e32 v14, 0x80000000, v14
	v_lshl_add_u32 v16, v16, 23, v28
	v_or3_b32 v36, v14, v16, v36
.LBB347_91:                             ;   in Loop: Header=BB347_14 Depth=1
	s_or_b64 exec, exec, s[50:51]
.LBB347_92:                             ;   in Loop: Header=BB347_14 Depth=1
	s_or_b64 exec, exec, s[48:49]
.LBB347_93:                             ;   in Loop: Header=BB347_14 Depth=1
	s_or_b64 exec, exec, s[46:47]
	v_mul_f32_e32 v16, s64, v36
	v_and_b32_e32 v14, 0x7f800000, v16
	v_cmp_ne_u32_e64 s[4:5], s62, v14
                                        ; implicit-def: $vgpr14
	s_and_saveexec_b64 s[46:47], s[4:5]
	s_xor_b64 s[4:5], exec, s[46:47]
; %bb.94:                               ;   in Loop: Header=BB347_14 Depth=1
	v_bfe_u32 v14, v16, 16, 1
	v_add3_u32 v14, v16, v14, s63
                                        ; implicit-def: $vgpr16
; %bb.95:                               ;   in Loop: Header=BB347_14 Depth=1
	s_andn2_saveexec_b64 s[46:47], s[4:5]
; %bb.96:                               ;   in Loop: Header=BB347_14 Depth=1
	v_or_b32_e32 v14, 0x10000, v16
	v_cmp_eq_u32_sdwa s[4:5], v16, v20 src0_sel:WORD_0 src1_sel:DWORD
	v_cndmask_b32_e64 v14, v14, v16, s[4:5]
; %bb.97:                               ;   in Loop: Header=BB347_14 Depth=1
	s_or_b64 exec, exec, s[46:47]
	v_and_b32_e32 v34, 0xffff0000, v34
	v_and_b32_e32 v33, 0xffff0000, v33
	v_lshlrev_b32_e32 v36, 16, v3
	v_and_b32_e32 v3, 0xffff0000, v3
	v_and_b32_e32 v16, 0xffff0000, v18
	;; [unrolled: 1-line block ×5, first 2 shown]
	v_lshlrev_b32_e32 v35, 16, v2
	v_and_b32_e32 v39, 64, v29
	v_and_b32_e32 v2, 0xffff0000, v2
	v_mul_f32_e32 v33, v36, v33
	v_mul_f32_e32 v3, v3, v34
	v_lshlrev_b32_e32 v37, 16, v4
	v_add_u32_e32 v39, 64, v39
	v_xor_b32_e32 v40, 2, v29
	v_and_b32_e32 v4, 0xffff0000, v4
	v_fmac_f32_e32 v33, v35, v31
	v_fmac_f32_e32 v3, v2, v32
	v_and_b32_e32 v15, 0xffff0000, v15
	v_lshlrev_b32_e32 v38, 16, v5
	v_cmp_lt_i32_e64 s[4:5], v40, v39
	v_and_b32_e32 v14, 0xffff0000, v14
	v_and_b32_e32 v5, 0xffff0000, v5
	v_fmac_f32_e32 v33, v37, v18
	v_fmac_f32_e32 v3, v4, v16
	v_cndmask_b32_e64 v40, v29, v40, s[4:5]
	v_fmac_f32_e32 v33, v38, v15
	v_fmac_f32_e32 v3, v5, v14
	v_lshlrev_b32_e32 v40, 2, v40
	v_add_f32_e32 v2, v33, v3
	ds_bpermute_b32 v3, v40, v2
	v_xor_b32_e32 v4, 1, v29
	v_cmp_lt_i32_e64 s[4:5], v4, v39
	v_cndmask_b32_e64 v4, v29, v4, s[4:5]
	v_lshlrev_b32_e32 v4, 2, v4
	s_waitcnt lgkmcnt(0)
	v_add_f32_e32 v2, v2, v3
	ds_bpermute_b32 v3, v4, v2
	s_and_saveexec_b64 s[46:47], vcc
	s_cbranch_execz .LBB347_12
; %bb.98:                               ;   in Loop: Header=BB347_14 Depth=1
	v_add_u32_e32 v4, v26, v24
	v_cvt_f32_i32_e32 v4, v4
	s_waitcnt lgkmcnt(0)
	v_add_f32_e32 v2, v2, v3
	v_add_u32_e32 v5, v19, v24
	v_cmp_gt_i32_e64 s[4:5], s33, v5
	v_mul_f32_e32 v3, s56, v4
	v_cndmask_b32_e64 v3, 0, v3, s[2:3]
	v_fmac_f32_e32 v3, s43, v2
	v_cndmask_b32_e64 v2, 0, v3, s[4:5]
	ds_write_b32 v25, v2
	v_max_f32_e32 v2, v23, v23
	v_max_f32_e32 v2, v2, v3
	v_cndmask_b32_e64 v23, v23, v2, s[4:5]
	s_branch .LBB347_12
.LBB347_99:
	s_or_b64 exec, exec, s[44:45]
.LBB347_100:
	s_or_b64 exec, exec, s[18:19]
	v_mbcnt_hi_u32_b32 v2, -1, v17
	s_waitcnt lgkmcnt(0)
	v_and_b32_e32 v3, 64, v2
	v_add_u32_e32 v3, 64, v3
	v_xor_b32_e32 v4, 32, v2
	v_cmp_lt_i32_e32 vcc, v4, v3
	v_cndmask_b32_e32 v4, v2, v4, vcc
	v_lshlrev_b32_e32 v5, 2, v4
	ds_bpermute_b32 v4, v5, v23
	v_xor_b32_e32 v7, 16, v2
	v_max_f32_e32 v6, v23, v23
	v_cmp_lt_i32_e32 vcc, v7, v3
	v_xor_b32_e32 v8, 8, v2
	s_waitcnt lgkmcnt(0)
	v_max_f32_e32 v4, v4, v4
	v_max_f32_e32 v4, v6, v4
	v_cndmask_b32_e32 v6, v2, v7, vcc
	v_lshlrev_b32_e32 v6, 2, v6
	ds_bpermute_b32 v7, v6, v4
	v_cmp_lt_i32_e32 vcc, v8, v3
	v_and_b32_e32 v18, 63, v0
	s_waitcnt lgkmcnt(0)
	v_max_f32_e32 v7, v7, v7
	v_max_f32_e32 v4, v4, v7
	v_cndmask_b32_e32 v7, v2, v8, vcc
	v_lshlrev_b32_e32 v12, 2, v7
	ds_bpermute_b32 v7, v12, v4
	v_xor_b32_e32 v8, 4, v2
	v_cmp_lt_i32_e32 vcc, v8, v3
	s_waitcnt lgkmcnt(0)
	v_max_f32_e32 v7, v7, v7
	v_max_f32_e32 v4, v4, v7
	v_cndmask_b32_e32 v7, v2, v8, vcc
	v_lshlrev_b32_e32 v13, 2, v7
	ds_bpermute_b32 v8, v13, v4
	v_cmp_eq_u32_e32 vcc, 0, v18
	v_lshlrev_b32_e32 v7, 2, v9
	s_and_saveexec_b64 s[2:3], vcc
	s_cbranch_execz .LBB347_102
; %bb.101:
	s_waitcnt lgkmcnt(0)
	v_max_f32_e32 v8, v8, v8
	v_max_f32_e32 v4, v4, v4
	;; [unrolled: 1-line block ×3, first 2 shown]
	ds_write_b32 v7, v4 offset:64
.LBB347_102:
	s_or_b64 exec, exec, s[2:3]
	v_cmp_gt_u32_e64 s[2:3], 2, v18
	v_mov_b32_e32 v4, 0xff7fffff
	s_waitcnt lgkmcnt(0)
	v_lshlrev_b32_e32 v8, 2, v18
	s_barrier
	s_and_saveexec_b64 s[4:5], s[2:3]
	s_cbranch_execz .LBB347_104
; %bb.103:
	ds_read_b32 v4, v8 offset:64
.LBB347_104:
	s_or_b64 exec, exec, s[4:5]
	v_xor_b32_e32 v14, 1, v2
	v_cmp_lt_i32_e64 s[4:5], v14, v3
	v_cndmask_b32_e64 v14, v2, v14, s[4:5]
	v_lshlrev_b32_e32 v19, 2, v14
	s_waitcnt lgkmcnt(0)
	ds_bpermute_b32 v14, v19, v4
	v_max_f32_e32 v4, v4, v4
	s_sub_i32 s4, s52, s16
	s_lshl_b32 s4, s4, 4
	s_add_i32 s4, s4, s55
	s_waitcnt lgkmcnt(0)
	v_max_f32_e32 v14, v14, v14
	v_max_f32_e32 v4, v4, v14
	v_lshlrev_b32_e32 v14, 2, v2
	v_and_b32_e32 v14, 0x100, v14
	ds_bpermute_b32 v4, v14, v4
	s_min_i32 s44, s4, s33
	s_sub_i32 s43, s44, s55
	v_cmp_gt_i32_e64 s[4:5], s43, v0
	v_mov_b32_e32 v15, 0
	s_and_saveexec_b64 s[12:13], s[4:5]
	s_cbranch_execz .LBB347_108
; %bb.105:
	v_mov_b32_e32 v15, 0x50
	v_lshl_add_u32 v16, v0, 2, v15
	s_mov_b64 s[18:19], 0
	v_mov_b32_e32 v15, 0
	v_mov_b32_e32 v17, v0
.LBB347_106:                            ; =>This Inner Loop Header: Depth=1
	ds_read_b32 v20, v16
	v_add_u32_e32 v17, 0x80, v17
	v_cmp_le_i32_e64 s[10:11], s43, v17
	s_or_b64 s[18:19], s[10:11], s[18:19]
	s_waitcnt lgkmcnt(0)
	v_sub_f32_e32 v20, v20, v4
	v_mul_f32_e32 v20, 0x3fb8aa3b, v20
	v_exp_f32_e32 v20, v20
	ds_write_b32 v16, v20
	v_add_f32_e32 v15, v15, v20
	v_add_u32_e32 v16, 0x200, v16
	s_andn2_b64 exec, exec, s[18:19]
	s_cbranch_execnz .LBB347_106
; %bb.107:
	s_or_b64 exec, exec, s[18:19]
.LBB347_108:
	s_or_b64 exec, exec, s[12:13]
	ds_bpermute_b32 v5, v5, v15
	s_waitcnt lgkmcnt(0)
	v_add_f32_e32 v5, v15, v5
	ds_bpermute_b32 v6, v6, v5
	s_waitcnt lgkmcnt(0)
	v_add_f32_e32 v5, v5, v6
	ds_bpermute_b32 v6, v12, v5
	v_xor_b32_e32 v12, 2, v2
	v_cmp_lt_i32_e64 s[10:11], v12, v3
	v_cndmask_b32_e64 v2, v2, v12, s[10:11]
	v_lshlrev_b32_e32 v2, 2, v2
	s_waitcnt lgkmcnt(0)
	v_add_f32_e32 v5, v5, v6
	ds_bpermute_b32 v6, v13, v5
	s_waitcnt lgkmcnt(0)
	v_add_f32_e32 v3, v5, v6
	ds_bpermute_b32 v2, v2, v3
	s_waitcnt lgkmcnt(0)
	v_add_f32_e32 v2, v3, v2
	ds_bpermute_b32 v3, v19, v2
	s_waitcnt lgkmcnt(0)
	v_add_f32_e32 v2, v2, v3
	s_and_saveexec_b64 s[10:11], vcc
	s_cbranch_execz .LBB347_110
; %bb.109:
	ds_write_b32 v7, v2 offset:72
.LBB347_110:
	s_or_b64 exec, exec, s[10:11]
	s_waitcnt lgkmcnt(0)
	s_barrier
	s_and_saveexec_b64 s[10:11], s[2:3]
	s_cbranch_execz .LBB347_112
; %bb.111:
	ds_read_b32 v2, v8 offset:72
.LBB347_112:
	s_or_b64 exec, exec, s[10:11]
	s_waitcnt lgkmcnt(0)
	ds_bpermute_b32 v3, v19, v2
	s_waitcnt lgkmcnt(0)
	v_add_f32_e32 v2, v2, v3
	ds_bpermute_b32 v5, v14, v2
	s_and_saveexec_b64 s[2:3], s[4:5]
	s_cbranch_execz .LBB347_125
; %bb.113:
	s_waitcnt lgkmcnt(0)
	v_add_f32_e32 v2, 0x358637bd, v5
	v_div_scale_f32 v3, s[4:5], v2, v2, 1.0
	v_rcp_f32_e32 v6, v3
	v_div_scale_f32 v7, vcc, 1.0, v2, 1.0
	s_movk_i32 s4, 0x7f
	v_fma_f32 v8, -v3, v6, 1.0
	v_fmac_f32_e32 v6, v8, v6
	v_mul_f32_e32 v8, v7, v6
	v_fma_f32 v12, -v3, v8, v7
	v_fmac_f32_e32 v8, v12, v6
	v_fma_f32 v3, -v3, v8, v7
	v_div_fmas_f32 v3, v3, v6, v8
	v_div_fixup_f32 v2, v3, v2, 1.0
	v_xad_u32 v3, v0, -1, s44
	v_subrev_u32_e32 v6, s55, v3
	v_cmp_lt_u32_e32 vcc, s4, v6
	s_mov_b64 s[10:11], -1
	v_mov_b32_e32 v3, v0
	s_and_saveexec_b64 s[4:5], vcc
	s_cbranch_execz .LBB347_122
; %bb.114:
	v_lshrrev_b32_e32 v6, 7, v6
	v_add_u32_e32 v8, -1, v6
	v_lshrrev_b32_e32 v7, 1, v8
	v_mov_b32_e32 v3, v2
	v_add_u32_e32 v7, 1, v7
	v_cmp_lt_u32_e32 vcc, 13, v8
	v_mov_b32_e32 v13, 0
	s_and_saveexec_b64 s[10:11], vcc
	s_cbranch_execz .LBB347_118
; %bb.115:
	v_mov_b32_e32 v12, 0x50
	v_and_b32_e32 v8, -8, v7
	v_lshl_add_u32 v12, v0, 2, v12
	s_mov_b32 s18, 0
	s_mov_b64 s[12:13], 0
.LBB347_116:                            ; =>This Inner Loop Header: Depth=1
	ds_read2st64_b32 v[14:15], v12 offset1:2
	ds_read2st64_b32 v[16:17], v12 offset0:4 offset1:6
	ds_read2st64_b32 v[20:21], v12 offset0:8 offset1:10
	;; [unrolled: 1-line block ×3, first 2 shown]
	v_add_u32_e32 v8, -8, v8
	s_waitcnt lgkmcnt(3)
	v_pk_mul_f32 v[14:15], v[2:3], v[14:15]
	s_waitcnt lgkmcnt(2)
	v_pk_mul_f32 v[16:17], v[2:3], v[16:17]
	ds_write2st64_b32 v12, v14, v15 offset1:2
	ds_write2st64_b32 v12, v16, v17 offset0:4 offset1:6
	ds_read2st64_b32 v[16:17], v12 offset0:16 offset1:18
	s_waitcnt lgkmcnt(4)
	v_pk_mul_f32 v[14:15], v[2:3], v[20:21]
	ds_write2st64_b32 v12, v14, v15 offset0:8 offset1:10
	s_waitcnt lgkmcnt(4)
	v_pk_mul_f32 v[14:15], v[2:3], v[22:23]
	ds_write2st64_b32 v12, v14, v15 offset0:12 offset1:14
	ds_read2st64_b32 v[14:15], v12 offset0:20 offset1:22
	s_waitcnt lgkmcnt(3)
	v_pk_mul_f32 v[16:17], v[2:3], v[16:17]
	ds_read2st64_b32 v[20:21], v12 offset0:24 offset1:26
	ds_write2st64_b32 v12, v16, v17 offset0:16 offset1:18
	ds_read2st64_b32 v[16:17], v12 offset0:28 offset1:30
	s_waitcnt lgkmcnt(3)
	v_pk_mul_f32 v[14:15], v[2:3], v[14:15]
	ds_write2st64_b32 v12, v14, v15 offset0:20 offset1:22
	s_waitcnt lgkmcnt(3)
	v_pk_mul_f32 v[14:15], v[2:3], v[20:21]
	ds_write2st64_b32 v12, v14, v15 offset0:24 offset1:26
	s_waitcnt lgkmcnt(2)
	v_pk_mul_f32 v[14:15], v[2:3], v[16:17]
	s_add_i32 s18, s18, 16
	v_cmp_eq_u32_e32 vcc, 0, v8
	ds_write2st64_b32 v12, v14, v15 offset0:28 offset1:30
	v_add_u32_e32 v12, 0x2000, v12
	s_or_b64 s[12:13], vcc, s[12:13]
	v_mov_b32_e32 v13, s18
	s_andn2_b64 exec, exec, s[12:13]
	s_cbranch_execnz .LBB347_116
; %bb.117:
	s_or_b64 exec, exec, s[12:13]
.LBB347_118:
	s_or_b64 exec, exec, s[10:11]
	v_and_b32_e32 v7, 7, v7
	v_cmp_ne_u32_e32 vcc, 0, v7
	s_and_saveexec_b64 s[10:11], vcc
	s_cbranch_execz .LBB347_121
; %bb.119:
	v_lshlrev_b32_e32 v8, 9, v13
	v_lshlrev_b32_e32 v12, 2, v0
	s_movk_i32 s12, 0x50
	v_add3_u32 v8, v8, v12, s12
	s_mov_b64 s[12:13], 0
.LBB347_120:                            ; =>This Inner Loop Header: Depth=1
	ds_read2st64_b32 v[12:13], v8 offset1:2
	v_add_u32_e32 v7, -1, v7
	v_cmp_eq_u32_e32 vcc, 0, v7
	s_or_b64 s[12:13], vcc, s[12:13]
	s_waitcnt lgkmcnt(0)
	v_pk_mul_f32 v[12:13], v[2:3], v[12:13]
	ds_write2st64_b32 v8, v12, v13 offset1:2
	v_add_u32_e32 v8, 0x400, v8
	s_andn2_b64 exec, exec, s[12:13]
	s_cbranch_execnz .LBB347_120
.LBB347_121:
	s_or_b64 exec, exec, s[10:11]
	v_add_u32_e32 v6, 1, v6
	v_and_b32_e32 v7, 0x3fffffe, v6
	v_cmp_ne_u32_e32 vcc, v6, v7
	v_lshl_add_u32 v3, v7, 7, v0
	s_orn2_b64 s[10:11], vcc, exec
.LBB347_122:
	s_or_b64 exec, exec, s[4:5]
	s_and_b64 exec, exec, s[10:11]
	s_cbranch_execz .LBB347_125
; %bb.123:
	v_mov_b32_e32 v6, 0x50
	v_lshl_add_u32 v6, v3, 2, v6
	s_mov_b64 s[4:5], 0
.LBB347_124:                            ; =>This Inner Loop Header: Depth=1
	ds_read_b32 v7, v6
	v_add_u32_e32 v3, 0x80, v3
	v_cmp_le_i32_e32 vcc, s43, v3
	s_or_b64 s[4:5], vcc, s[4:5]
	s_waitcnt lgkmcnt(0)
	v_mul_f32_e32 v7, v2, v7
	ds_write_b32 v6, v7
	v_add_u32_e32 v6, 0x200, v6
	s_andn2_b64 exec, exec, s[4:5]
	s_cbranch_execnz .LBB347_124
.LBB347_125:
	s_or_b64 exec, exec, s[2:3]
	s_mul_i32 s2, s20, s34
	v_cmp_eq_u32_e32 vcc, 0, v0
	s_mul_i32 s2, s2, s9
	s_waitcnt lgkmcnt(0)
	s_barrier
	s_and_saveexec_b64 s[4:5], vcc
	s_cbranch_execz .LBB347_127
; %bb.126:
	s_ashr_i32 s3, s2, 31
	s_lshl_b64 s[10:11], s[2:3], 2
	s_add_u32 s3, s26, s10
	s_mul_i32 s12, s20, s6
	s_addc_u32 s9, s27, s11
	s_ashr_i32 s13, s12, 31
	s_lshl_b64 s[12:13], s[12:13], 2
	s_add_u32 s3, s3, s12
	s_addc_u32 s6, s9, s13
	s_ashr_i32 s9, s8, 31
	s_lshl_b64 s[8:9], s[8:9], 2
	s_add_u32 s18, s3, s8
	s_addc_u32 s19, s6, s9
	s_add_u32 s3, s24, s10
	s_addc_u32 s6, s25, s11
	;; [unrolled: 2-line block ×3, first 2 shown]
	s_add_u32 s8, s3, s8
	v_mov_b32_e32 v2, 0
	s_addc_u32 s9, s6, s9
	global_store_dword v2, v4, s[18:19]
	global_store_dword v2, v5, s[8:9]
.LBB347_127:
	s_or_b64 exec, exec, s[4:5]
	v_mov_b32_e32 v22, 0
	s_and_saveexec_b64 s[4:5], s[0:1]
	s_cbranch_execz .LBB347_279
; %bb.128:
	s_sub_i32 s3, s7, s21
	s_ashr_i32 s0, s54, 31
	s_add_u32 s1, s40, s54
	s_addc_u32 s0, s41, s0
	s_abs_i32 s21, s22
	v_cvt_f32_u32_e32 v3, s21
	v_lshlrev_b32_e32 v2, 3, v0
	v_and_b32_e32 v20, 8, v2
	v_and_b32_e32 v2, 0x1f8, v2
	v_rcp_iflag_f32_e32 v3, v3
	v_add_co_u32_e32 v12, vcc, s1, v2
	v_mov_b32_e32 v4, s0
	v_mul_f32_e32 v2, 0x4f7ffffe, v3
	v_cvt_u32_f32_e32 v2, v2
	s_sub_i32 s0, 0, s21
	s_add_i32 s53, s53, -1
	v_addc_co_u32_e32 v13, vcc, 0, v4, vcc
	v_mul_lo_u32 v3, s0, v2
	v_mul_hi_u32 v3, v2, v3
	s_lshl_b64 s[0:1], s[38:39], 2
	v_add_u32_e32 v21, v2, v3
	v_lshlrev_b64 v[2:3], 2, v[10:11]
	s_add_u32 s0, s36, s0
	v_add_co_u32_e32 v14, vcc, s0, v2
	v_and_b32_e32 v2, 1, v0
	s_addc_u32 s1, s37, s1
	v_lshlrev_b32_e32 v2, 5, v2
	s_mov_b32 s6, -1
	v_mov_b32_e32 v4, s1
	v_lshl_or_b32 v2, v9, 6, v2
	s_mov_b32 s7, 0xffffff
	v_addc_co_u32_e32 v15, vcc, v4, v3, vcc
	v_add_u32_e32 v11, 0x50, v2
	s_mov_b64 s[8:9], 0
	v_mov_b32_e32 v17, 0
	s_mov_b32 s22, 0x7f800000
	s_movk_i32 s24, 0x7fff
	s_movk_i32 s25, 0x80
	;; [unrolled: 1-line block ×3, first 2 shown]
	v_bfrev_b32_e32 v23, 60
	v_mov_b32_e32 v22, 0
	s_branch .LBB347_131
.LBB347_129:                            ;   in Loop: Header=BB347_131 Depth=1
	s_or_b64 exec, exec, s[10:11]
	v_and_b32_e32 v7, 0xffff0000, v6
	v_and_b32_e32 v6, 0xffff0000, v8
	;; [unrolled: 1-line block ×8, first 2 shown]
	v_pk_add_f32 v[2:3], v[4:5], v[8:9]
	v_pk_add_f32 v[4:5], v[26:27], v[6:7]
	v_add_f32_e32 v2, v2, v3
	v_add_f32_e32 v2, v2, v4
	;; [unrolled: 1-line block ×4, first 2 shown]
.LBB347_130:                            ;   in Loop: Header=BB347_131 Depth=1
	s_or_b64 exec, exec, s[0:1]
	v_add_co_u32_e32 v14, vcc, 8, v14
	v_add_u32_e32 v10, 2, v10
	v_addc_co_u32_e32 v15, vcc, 0, v15, vcc
	v_cmp_le_i32_e32 vcc, s52, v10
	v_add_u32_e32 v1, 32, v1
	s_or_b64 s[8:9], vcc, s[8:9]
	v_add_u32_e32 v11, 0x80, v11
	s_andn2_b64 exec, exec, s[8:9]
	s_cbranch_execz .LBB347_278
.LBB347_131:                            ; =>This Inner Loop Header: Depth=1
	v_sub_u32_e32 v3, 0, v1
	v_max_i32_e32 v3, v1, v3
	v_mul_hi_u32 v4, v3, s35
	v_mul_lo_u32 v5, v4, s29
	v_sub_u32_e32 v3, v3, v5
	v_add_u32_e32 v5, 1, v4
	v_cmp_le_u32_e32 vcc, s29, v3
	v_cndmask_b32_e32 v4, v4, v5, vcc
	v_subrev_u32_e32 v5, s29, v3
	v_cndmask_b32_e32 v3, v3, v5, vcc
	v_ashrrev_i32_e32 v2, 31, v1
	v_add_u32_e32 v5, 1, v4
	v_cmp_le_u32_e32 vcc, s29, v3
	v_xor_b32_e32 v2, s23, v2
	v_cndmask_b32_e32 v3, v4, v5, vcc
	v_xor_b32_e32 v3, v3, v2
	v_sub_u32_e32 v2, v3, v2
	v_add_u32_e32 v3, s42, v2
	v_sub_u32_e32 v5, 0, v3
	v_ashrrev_i32_e32 v4, 31, v3
	v_max_i32_e32 v3, v3, v5
	v_mul_hi_u32 v5, v3, v21
	v_mul_lo_u32 v5, v5, s21
	v_sub_u32_e32 v3, v3, v5
	v_subrev_u32_e32 v5, s21, v3
	v_cmp_le_u32_e32 vcc, s21, v3
	v_cndmask_b32_e32 v3, v3, v5, vcc
	v_subrev_u32_e32 v5, s21, v3
	v_cmp_le_u32_e32 vcc, s21, v3
	v_cndmask_b32_e32 v3, v3, v5, vcc
	v_xor_b32_e32 v3, v3, v4
	v_sub_u32_e32 v3, v3, v4
	v_cmp_eq_u32_e32 vcc, 0, v3
	v_cmp_lt_i32_e64 s[0:1], s3, v2
	s_or_b64 s[10:11], vcc, s[0:1]
	s_and_saveexec_b64 s[0:1], s[10:11]
	s_cbranch_execz .LBB347_130
; %bb.132:                              ;   in Loop: Header=BB347_131 Depth=1
	global_load_dword v16, v[14:15], off
	ds_read2_b64 v[6:9], v11 offset1:1
	ds_read2_b64 v[2:5], v11 offset0:2 offset1:3
                                        ; implicit-def: $vgpr27
	s_waitcnt lgkmcnt(1)
	v_and_b32_e32 v24, 0x7f800000, v6
	v_cmp_ne_u32_e32 vcc, s22, v24
	s_and_saveexec_b64 s[10:11], vcc
	s_xor_b64 s[10:11], exec, s[10:11]
; %bb.133:                              ;   in Loop: Header=BB347_131 Depth=1
	v_bfe_u32 v24, v6, 16, 1
	v_add3_u32 v27, v6, v24, s24
; %bb.134:                              ;   in Loop: Header=BB347_131 Depth=1
	s_andn2_saveexec_b64 s[10:11], s[10:11]
; %bb.135:                              ;   in Loop: Header=BB347_131 Depth=1
	v_or_b32_e32 v24, 0x10000, v6
	v_cmp_eq_u32_sdwa vcc, v6, v17 src0_sel:WORD_0 src1_sel:DWORD
	v_cndmask_b32_e32 v27, v24, v6, vcc
; %bb.136:                              ;   in Loop: Header=BB347_131 Depth=1
	s_or_b64 exec, exec, s[10:11]
	v_and_b32_e32 v6, 0x7f800000, v7
	v_cmp_ne_u32_e32 vcc, s22, v6
                                        ; implicit-def: $vgpr26
	s_and_saveexec_b64 s[10:11], vcc
	s_xor_b64 s[10:11], exec, s[10:11]
; %bb.137:                              ;   in Loop: Header=BB347_131 Depth=1
	v_bfe_u32 v6, v7, 16, 1
	v_add3_u32 v26, v7, v6, s24
; %bb.138:                              ;   in Loop: Header=BB347_131 Depth=1
	s_andn2_saveexec_b64 s[10:11], s[10:11]
; %bb.139:                              ;   in Loop: Header=BB347_131 Depth=1
	v_or_b32_e32 v6, 0x10000, v7
	v_cmp_eq_u32_sdwa vcc, v7, v17 src0_sel:WORD_0 src1_sel:DWORD
	v_cndmask_b32_e32 v26, v6, v7, vcc
; %bb.140:                              ;   in Loop: Header=BB347_131 Depth=1
	s_or_b64 exec, exec, s[10:11]
	v_and_b32_e32 v6, 0x7f800000, v8
	v_cmp_ne_u32_e32 vcc, s22, v6
                                        ; implicit-def: $vgpr25
	s_and_saveexec_b64 s[10:11], vcc
	s_xor_b64 s[10:11], exec, s[10:11]
; %bb.141:                              ;   in Loop: Header=BB347_131 Depth=1
	v_bfe_u32 v6, v8, 16, 1
	v_add3_u32 v25, v8, v6, s24
; %bb.142:                              ;   in Loop: Header=BB347_131 Depth=1
	s_andn2_saveexec_b64 s[10:11], s[10:11]
; %bb.143:                              ;   in Loop: Header=BB347_131 Depth=1
	v_or_b32_e32 v6, 0x10000, v8
	v_cmp_eq_u32_sdwa vcc, v8, v17 src0_sel:WORD_0 src1_sel:DWORD
	v_cndmask_b32_e32 v25, v6, v8, vcc
; %bb.144:                              ;   in Loop: Header=BB347_131 Depth=1
	s_or_b64 exec, exec, s[10:11]
	v_and_b32_e32 v6, 0x7f800000, v9
	v_cmp_ne_u32_e32 vcc, s22, v6
                                        ; implicit-def: $vgpr24
	s_and_saveexec_b64 s[10:11], vcc
	s_xor_b64 s[10:11], exec, s[10:11]
; %bb.145:                              ;   in Loop: Header=BB347_131 Depth=1
	v_bfe_u32 v6, v9, 16, 1
	v_add3_u32 v24, v9, v6, s24
                                        ; implicit-def: $vgpr6_vgpr7_vgpr8_vgpr9
; %bb.146:                              ;   in Loop: Header=BB347_131 Depth=1
	s_andn2_saveexec_b64 s[10:11], s[10:11]
; %bb.147:                              ;   in Loop: Header=BB347_131 Depth=1
	v_or_b32_e32 v6, 0x10000, v9
	v_cmp_eq_u32_sdwa vcc, v9, v17 src0_sel:WORD_0 src1_sel:DWORD
	v_cndmask_b32_e32 v24, v6, v9, vcc
; %bb.148:                              ;   in Loop: Header=BB347_131 Depth=1
	s_or_b64 exec, exec, s[10:11]
	s_waitcnt lgkmcnt(0)
	v_and_b32_e32 v6, 0x7f800000, v2
	v_cmp_ne_u32_e32 vcc, s22, v6
                                        ; implicit-def: $vgpr9
	s_and_saveexec_b64 s[10:11], vcc
	s_xor_b64 s[10:11], exec, s[10:11]
; %bb.149:                              ;   in Loop: Header=BB347_131 Depth=1
	v_bfe_u32 v6, v2, 16, 1
	v_add3_u32 v9, v2, v6, s24
; %bb.150:                              ;   in Loop: Header=BB347_131 Depth=1
	s_andn2_saveexec_b64 s[10:11], s[10:11]
; %bb.151:                              ;   in Loop: Header=BB347_131 Depth=1
	v_or_b32_e32 v6, 0x10000, v2
	v_cmp_eq_u32_sdwa vcc, v2, v17 src0_sel:WORD_0 src1_sel:DWORD
	v_cndmask_b32_e32 v9, v6, v2, vcc
; %bb.152:                              ;   in Loop: Header=BB347_131 Depth=1
	s_or_b64 exec, exec, s[10:11]
	v_and_b32_e32 v2, 0x7f800000, v3
	v_cmp_ne_u32_e32 vcc, s22, v2
                                        ; implicit-def: $vgpr8
	s_and_saveexec_b64 s[10:11], vcc
	s_xor_b64 s[10:11], exec, s[10:11]
; %bb.153:                              ;   in Loop: Header=BB347_131 Depth=1
	v_bfe_u32 v2, v3, 16, 1
	v_add3_u32 v8, v3, v2, s24
; %bb.154:                              ;   in Loop: Header=BB347_131 Depth=1
	s_andn2_saveexec_b64 s[10:11], s[10:11]
; %bb.155:                              ;   in Loop: Header=BB347_131 Depth=1
	v_or_b32_e32 v2, 0x10000, v3
	v_cmp_eq_u32_sdwa vcc, v3, v17 src0_sel:WORD_0 src1_sel:DWORD
	v_cndmask_b32_e32 v8, v2, v3, vcc
; %bb.156:                              ;   in Loop: Header=BB347_131 Depth=1
	s_or_b64 exec, exec, s[10:11]
	v_and_b32_e32 v2, 0x7f800000, v4
	v_cmp_ne_u32_e32 vcc, s22, v2
                                        ; implicit-def: $vgpr7
	s_and_saveexec_b64 s[10:11], vcc
	s_xor_b64 s[10:11], exec, s[10:11]
; %bb.157:                              ;   in Loop: Header=BB347_131 Depth=1
	v_bfe_u32 v2, v4, 16, 1
	v_add3_u32 v7, v4, v2, s24
; %bb.158:                              ;   in Loop: Header=BB347_131 Depth=1
	s_andn2_saveexec_b64 s[10:11], s[10:11]
; %bb.159:                              ;   in Loop: Header=BB347_131 Depth=1
	v_or_b32_e32 v2, 0x10000, v4
	v_cmp_eq_u32_sdwa vcc, v4, v17 src0_sel:WORD_0 src1_sel:DWORD
	v_cndmask_b32_e32 v7, v2, v4, vcc
; %bb.160:                              ;   in Loop: Header=BB347_131 Depth=1
	s_or_b64 exec, exec, s[10:11]
	v_and_b32_e32 v2, 0x7f800000, v5
	v_cmp_ne_u32_e32 vcc, s22, v2
                                        ; implicit-def: $vgpr6
	s_and_saveexec_b64 s[10:11], vcc
	s_xor_b64 s[10:11], exec, s[10:11]
; %bb.161:                              ;   in Loop: Header=BB347_131 Depth=1
	v_bfe_u32 v2, v5, 16, 1
	v_add3_u32 v6, v5, v2, s24
                                        ; implicit-def: $vgpr2_vgpr3_vgpr4_vgpr5
; %bb.162:                              ;   in Loop: Header=BB347_131 Depth=1
	s_andn2_saveexec_b64 s[10:11], s[10:11]
; %bb.163:                              ;   in Loop: Header=BB347_131 Depth=1
	v_or_b32_e32 v2, 0x10000, v5
	v_cmp_eq_u32_sdwa vcc, v5, v17 src0_sel:WORD_0 src1_sel:DWORD
	v_cndmask_b32_e32 v6, v2, v5, vcc
; %bb.164:                              ;   in Loop: Header=BB347_131 Depth=1
	s_or_b64 exec, exec, s[10:11]
	s_waitcnt vmcnt(0)
	v_mad_i64_i32 v[2:3], s[10:11], v16, s17, v[12:13]
	global_load_dwordx2 v[2:3], v[2:3], off
	s_load_dword s27, s[14:15], 0x0
	v_mov_b32_e32 v4, 0
	s_waitcnt vmcnt(0)
	v_cmp_ne_u16_sdwa s[12:13], v2, v17 src0_sel:BYTE_0 src1_sel:DWORD
	s_and_saveexec_b64 s[10:11], s[12:13]
	s_cbranch_execz .LBB347_170
; %bb.165:                              ;   in Loop: Header=BB347_131 Depth=1
	v_cmp_ne_u16_sdwa s[18:19], v2, s25 src0_sel:BYTE_0 src1_sel:DWORD
	v_bfrev_b32_e32 v4, 1
	s_and_saveexec_b64 s[12:13], s[18:19]
	s_cbranch_execz .LBB347_169
; %bb.166:                              ;   in Loop: Header=BB347_131 Depth=1
	v_and_b32_e32 v5, 0x7f, v2
	v_cmp_ne_u32_e32 vcc, s26, v5
	v_mov_b32_e32 v4, 0x7f800001
	s_and_saveexec_b64 s[18:19], vcc
	s_cbranch_execz .LBB347_168
; %bb.167:                              ;   in Loop: Header=BB347_131 Depth=1
	v_and_b32_e32 v4, 7, v2
	v_ffbh_u32_e32 v4, v4
	v_min_u32_e32 v4, 32, v4
	v_lshrrev_b32_e32 v16, 3, v5
	v_subrev_u32_e32 v28, 28, v4
	v_sub_u32_e32 v4, 29, v4
	v_cmp_gt_u32_e32 vcc, 8, v5
	v_cndmask_b32_e32 v16, v16, v4, vcc
	v_cndmask_b32_e32 v4, 0, v28, vcc
	v_lshlrev_b64 v[4:5], v4, v[2:3]
	v_lshlrev_b32_e32 v4, 20, v4
	v_lshlrev_b32_e32 v5, 24, v2
	v_and_b32_e32 v4, 0x700000, v4
	v_and_b32_e32 v5, 0x80000000, v5
	v_lshl_add_u32 v16, v16, 23, v23
	v_or3_b32 v4, v5, v16, v4
.LBB347_168:                            ;   in Loop: Header=BB347_131 Depth=1
	s_or_b64 exec, exec, s[18:19]
.LBB347_169:                            ;   in Loop: Header=BB347_131 Depth=1
	s_or_b64 exec, exec, s[12:13]
.LBB347_170:                            ;   in Loop: Header=BB347_131 Depth=1
	s_or_b64 exec, exec, s[10:11]
	s_waitcnt lgkmcnt(0)
	v_mul_f32_e32 v4, s27, v4
	v_and_b32_e32 v5, 0x7f800000, v4
	v_cmp_ne_u32_e32 vcc, s22, v5
                                        ; implicit-def: $vgpr5
	s_and_saveexec_b64 s[10:11], vcc
	s_xor_b64 s[10:11], exec, s[10:11]
; %bb.171:                              ;   in Loop: Header=BB347_131 Depth=1
	v_bfe_u32 v5, v4, 16, 1
	v_add3_u32 v5, v4, v5, s24
                                        ; implicit-def: $vgpr4
; %bb.172:                              ;   in Loop: Header=BB347_131 Depth=1
	s_andn2_saveexec_b64 s[10:11], s[10:11]
; %bb.173:                              ;   in Loop: Header=BB347_131 Depth=1
	v_or_b32_e32 v5, 0x10000, v4
	v_cmp_eq_u32_sdwa vcc, v4, v17 src0_sel:WORD_0 src1_sel:DWORD
	v_cndmask_b32_e32 v5, v5, v4, vcc
; %bb.174:                              ;   in Loop: Header=BB347_131 Depth=1
	s_or_b64 exec, exec, s[10:11]
	v_lshrrev_b16_e32 v4, 8, v2
	v_cmp_ne_u16_e32 vcc, 0, v4
	v_mov_b32_e32 v16, 0
	s_and_saveexec_b64 s[10:11], vcc
	s_cbranch_execz .LBB347_180
; %bb.175:                              ;   in Loop: Header=BB347_131 Depth=1
	v_cmp_ne_u16_e32 vcc, s25, v4
	v_bfrev_b32_e32 v16, 1
	s_and_saveexec_b64 s[12:13], vcc
	s_cbranch_execz .LBB347_179
; %bb.176:                              ;   in Loop: Header=BB347_131 Depth=1
	v_and_b32_e32 v28, 0x7f, v4
	v_cmp_ne_u32_e32 vcc, s26, v28
	v_mov_b32_e32 v16, 0x7f800001
	s_and_saveexec_b64 s[18:19], vcc
	s_cbranch_execz .LBB347_178
; %bb.177:                              ;   in Loop: Header=BB347_131 Depth=1
	v_and_b32_e32 v16, 7, v4
	v_ffbh_u32_e32 v30, v16
	v_min_u32_e32 v32, 32, v30
	v_subrev_u32_e32 v30, 28, v32
	v_lshlrev_b64 v[30:31], v30, v[4:5]
	v_lshrrev_b32_e32 v29, 3, v28
	v_sub_u32_e32 v4, 29, v32
	v_and_b32_e32 v30, 7, v30
	v_cmp_gt_u32_e32 vcc, 8, v28
	v_cndmask_b32_e32 v4, v29, v4, vcc
	v_cndmask_b32_e32 v16, v16, v30, vcc
	v_lshlrev_b32_e32 v28, 16, v2
	v_lshlrev_b32_e32 v16, 20, v16
	v_and_b32_e32 v28, 0x80000000, v28
	v_lshl_add_u32 v4, v4, 23, v23
	v_or3_b32 v16, v28, v4, v16
.LBB347_178:                            ;   in Loop: Header=BB347_131 Depth=1
	s_or_b64 exec, exec, s[18:19]
.LBB347_179:                            ;   in Loop: Header=BB347_131 Depth=1
	s_or_b64 exec, exec, s[12:13]
.LBB347_180:                            ;   in Loop: Header=BB347_131 Depth=1
	s_or_b64 exec, exec, s[10:11]
	v_mul_f32_e32 v4, s27, v16
	v_and_b32_e32 v16, 0x7f800000, v4
	v_cmp_ne_u32_e32 vcc, s22, v16
                                        ; implicit-def: $vgpr28
	s_and_saveexec_b64 s[10:11], vcc
	s_xor_b64 s[10:11], exec, s[10:11]
; %bb.181:                              ;   in Loop: Header=BB347_131 Depth=1
	v_bfe_u32 v16, v4, 16, 1
	v_add3_u32 v28, v4, v16, s24
                                        ; implicit-def: $vgpr4
; %bb.182:                              ;   in Loop: Header=BB347_131 Depth=1
	s_andn2_saveexec_b64 s[10:11], s[10:11]
; %bb.183:                              ;   in Loop: Header=BB347_131 Depth=1
	v_or_b32_e32 v16, 0x10000, v4
	v_cmp_eq_u32_sdwa vcc, v4, v17 src0_sel:WORD_0 src1_sel:DWORD
	v_cndmask_b32_e32 v28, v16, v4, vcc
; %bb.184:                              ;   in Loop: Header=BB347_131 Depth=1
	s_or_b64 exec, exec, s[10:11]
	v_lshrrev_b32_e32 v4, 16, v2
	v_cmp_ne_u16_sdwa s[12:13], v4, v17 src0_sel:BYTE_0 src1_sel:DWORD
	v_mov_b32_e32 v16, 0
	s_and_saveexec_b64 s[10:11], s[12:13]
	s_cbranch_execz .LBB347_190
; %bb.185:                              ;   in Loop: Header=BB347_131 Depth=1
	v_cmp_ne_u16_sdwa s[18:19], v4, s25 src0_sel:BYTE_0 src1_sel:DWORD
	v_bfrev_b32_e32 v16, 1
	s_and_saveexec_b64 s[12:13], s[18:19]
	s_cbranch_execz .LBB347_189
; %bb.186:                              ;   in Loop: Header=BB347_131 Depth=1
	v_bfe_u32 v29, v2, 16, 7
	v_cmp_ne_u32_e32 vcc, s26, v29
	v_mov_b32_e32 v16, 0x7f800001
	s_and_saveexec_b64 s[18:19], vcc
	s_cbranch_execz .LBB347_188
; %bb.187:                              ;   in Loop: Header=BB347_131 Depth=1
	v_and_b32_e32 v16, 7, v4
	v_ffbh_u32_e32 v30, v16
	v_min_u32_e32 v33, 32, v30
	v_subrev_u32_e32 v30, 28, v33
	v_lshlrev_b64 v[30:31], v30, v[4:5]
	v_lshrrev_b32_e32 v32, 3, v29
	v_sub_u32_e32 v31, 29, v33
	v_and_b32_e32 v30, 7, v30
	v_cmp_gt_u32_e32 vcc, 8, v29
	v_cndmask_b32_e32 v29, v32, v31, vcc
	v_cndmask_b32_e32 v16, v16, v30, vcc
	v_lshlrev_b32_e32 v4, 24, v4
	v_lshlrev_b32_e32 v16, 20, v16
	v_and_b32_e32 v4, 0x80000000, v4
	v_lshl_add_u32 v29, v29, 23, v23
	v_or3_b32 v16, v4, v29, v16
.LBB347_188:                            ;   in Loop: Header=BB347_131 Depth=1
	s_or_b64 exec, exec, s[18:19]
.LBB347_189:                            ;   in Loop: Header=BB347_131 Depth=1
	s_or_b64 exec, exec, s[12:13]
.LBB347_190:                            ;   in Loop: Header=BB347_131 Depth=1
	s_or_b64 exec, exec, s[10:11]
	v_mul_f32_e32 v4, s27, v16
	v_and_b32_e32 v16, 0x7f800000, v4
	v_cmp_ne_u32_e32 vcc, s22, v16
                                        ; implicit-def: $vgpr29
	s_and_saveexec_b64 s[10:11], vcc
	s_xor_b64 s[10:11], exec, s[10:11]
; %bb.191:                              ;   in Loop: Header=BB347_131 Depth=1
	v_bfe_u32 v16, v4, 16, 1
	v_add3_u32 v29, v4, v16, s24
                                        ; implicit-def: $vgpr4
; %bb.192:                              ;   in Loop: Header=BB347_131 Depth=1
	s_andn2_saveexec_b64 s[10:11], s[10:11]
; %bb.193:                              ;   in Loop: Header=BB347_131 Depth=1
	v_or_b32_e32 v16, 0x10000, v4
	v_cmp_eq_u32_sdwa vcc, v4, v17 src0_sel:WORD_0 src1_sel:DWORD
	v_cndmask_b32_e32 v29, v16, v4, vcc
; %bb.194:                              ;   in Loop: Header=BB347_131 Depth=1
	s_or_b64 exec, exec, s[10:11]
	v_cmp_lt_u32_e32 vcc, s7, v2
	v_mov_b32_e32 v16, 0
	s_and_saveexec_b64 s[10:11], vcc
	s_cbranch_execz .LBB347_200
; %bb.195:                              ;   in Loop: Header=BB347_131 Depth=1
	v_lshrrev_b32_e32 v4, 24, v2
	v_cmp_ne_u32_e32 vcc, s25, v4
	v_bfrev_b32_e32 v16, 1
	s_and_saveexec_b64 s[12:13], vcc
	s_cbranch_execz .LBB347_199
; %bb.196:                              ;   in Loop: Header=BB347_131 Depth=1
	v_bfe_u32 v30, v2, 24, 7
	v_cmp_ne_u32_e32 vcc, s26, v30
	v_mov_b32_e32 v16, 0x7f800001
	s_and_saveexec_b64 s[18:19], vcc
	s_cbranch_execz .LBB347_198
; %bb.197:                              ;   in Loop: Header=BB347_131 Depth=1
	v_and_b32_e32 v16, 7, v4
	v_ffbh_u32_e32 v32, v16
	v_min_u32_e32 v34, 32, v32
	v_subrev_u32_e32 v32, 28, v34
	v_lshlrev_b64 v[32:33], v32, v[4:5]
	v_lshrrev_b32_e32 v31, 3, v30
	v_sub_u32_e32 v33, 29, v34
	v_and_b32_e32 v32, 7, v32
	v_cmp_gt_u32_e32 vcc, 8, v30
	v_cndmask_b32_e32 v30, v31, v33, vcc
	v_cndmask_b32_e32 v16, v16, v32, vcc
	v_lshlrev_b32_e32 v4, 24, v4
	v_lshlrev_b32_e32 v16, 20, v16
	v_and_b32_e32 v4, 0x80000000, v4
	v_lshl_add_u32 v30, v30, 23, v23
	v_or3_b32 v16, v4, v30, v16
.LBB347_198:                            ;   in Loop: Header=BB347_131 Depth=1
	s_or_b64 exec, exec, s[18:19]
.LBB347_199:                            ;   in Loop: Header=BB347_131 Depth=1
	s_or_b64 exec, exec, s[12:13]
.LBB347_200:                            ;   in Loop: Header=BB347_131 Depth=1
	s_or_b64 exec, exec, s[10:11]
	v_mul_f32_e32 v4, s27, v16
	v_and_b32_e32 v16, 0x7f800000, v4
	v_cmp_ne_u32_e32 vcc, s22, v16
                                        ; implicit-def: $vgpr30
	s_and_saveexec_b64 s[10:11], vcc
	s_xor_b64 s[10:11], exec, s[10:11]
; %bb.201:                              ;   in Loop: Header=BB347_131 Depth=1
	v_bfe_u32 v16, v4, 16, 1
	v_add3_u32 v30, v4, v16, s24
                                        ; implicit-def: $vgpr4
; %bb.202:                              ;   in Loop: Header=BB347_131 Depth=1
	s_andn2_saveexec_b64 s[10:11], s[10:11]
; %bb.203:                              ;   in Loop: Header=BB347_131 Depth=1
	v_or_b32_e32 v16, 0x10000, v4
	v_cmp_eq_u32_sdwa vcc, v4, v17 src0_sel:WORD_0 src1_sel:DWORD
	v_cndmask_b32_e32 v30, v16, v4, vcc
; %bb.204:                              ;   in Loop: Header=BB347_131 Depth=1
	s_or_b64 exec, exec, s[10:11]
	v_mov_b32_e32 v16, v3
	v_cmp_ne_u16_sdwa s[12:13], v3, v17 src0_sel:BYTE_0 src1_sel:DWORD
	v_mov_b32_e32 v4, 0
	s_and_saveexec_b64 s[10:11], s[12:13]
	s_cbranch_execz .LBB347_210
; %bb.205:                              ;   in Loop: Header=BB347_131 Depth=1
	v_cmp_ne_u16_sdwa s[18:19], v3, s25 src0_sel:BYTE_0 src1_sel:DWORD
	v_bfrev_b32_e32 v4, 1
	s_and_saveexec_b64 s[12:13], s[18:19]
	s_cbranch_execz .LBB347_209
; %bb.206:                              ;   in Loop: Header=BB347_131 Depth=1
	v_and_b32_e32 v31, 0x7f, v3
	v_cmp_ne_u32_e32 vcc, s26, v31
	v_mov_b32_e32 v4, 0x7f800001
	s_and_saveexec_b64 s[18:19], vcc
	s_cbranch_execz .LBB347_208
; %bb.207:                              ;   in Loop: Header=BB347_131 Depth=1
	v_and_b32_e32 v4, 7, v3
	v_ffbh_u32_e32 v4, v4
	v_min_u32_e32 v4, 32, v4
	v_subrev_u32_e32 v33, 28, v4
	v_cmp_gt_u32_e32 vcc, 8, v31
	v_lshrrev_b32_e32 v32, 3, v31
	v_sub_u32_e32 v4, 29, v4
	v_cndmask_b32_e32 v31, 0, v33, vcc
	v_cndmask_b32_e32 v4, v32, v4, vcc
	v_lshlrev_b64 v[32:33], v31, v[16:17]
	v_lshlrev_b32_e32 v31, 20, v32
	v_lshlrev_b32_e32 v32, 24, v16
	v_and_b32_e32 v31, 0x700000, v31
	v_and_b32_e32 v32, 0x80000000, v32
	v_lshl_add_u32 v4, v4, 23, v23
	v_or3_b32 v4, v32, v4, v31
.LBB347_208:                            ;   in Loop: Header=BB347_131 Depth=1
	s_or_b64 exec, exec, s[18:19]
.LBB347_209:                            ;   in Loop: Header=BB347_131 Depth=1
	s_or_b64 exec, exec, s[12:13]
.LBB347_210:                            ;   in Loop: Header=BB347_131 Depth=1
	s_or_b64 exec, exec, s[10:11]
	v_mul_f32_e32 v4, s27, v4
	v_and_b32_e32 v31, 0x7f800000, v4
	v_cmp_ne_u32_e32 vcc, s22, v31
                                        ; implicit-def: $vgpr31
	s_and_saveexec_b64 s[10:11], vcc
	s_xor_b64 s[10:11], exec, s[10:11]
; %bb.211:                              ;   in Loop: Header=BB347_131 Depth=1
	v_bfe_u32 v31, v4, 16, 1
	v_add3_u32 v31, v4, v31, s24
                                        ; implicit-def: $vgpr4
; %bb.212:                              ;   in Loop: Header=BB347_131 Depth=1
	s_andn2_saveexec_b64 s[10:11], s[10:11]
; %bb.213:                              ;   in Loop: Header=BB347_131 Depth=1
	v_or_b32_e32 v31, 0x10000, v4
	v_cmp_eq_u32_sdwa vcc, v4, v17 src0_sel:WORD_0 src1_sel:DWORD
	v_cndmask_b32_e32 v31, v31, v4, vcc
; %bb.214:                              ;   in Loop: Header=BB347_131 Depth=1
	s_or_b64 exec, exec, s[10:11]
	v_lshrrev_b16_e32 v4, 8, v16
	v_cmp_ne_u16_e32 vcc, 0, v4
	v_mov_b32_e32 v32, 0
	s_and_saveexec_b64 s[10:11], vcc
	s_cbranch_execz .LBB347_220
; %bb.215:                              ;   in Loop: Header=BB347_131 Depth=1
	v_cmp_ne_u16_e32 vcc, s25, v4
	v_bfrev_b32_e32 v32, 1
	s_and_saveexec_b64 s[12:13], vcc
	s_cbranch_execz .LBB347_219
; %bb.216:                              ;   in Loop: Header=BB347_131 Depth=1
	v_and_b32_e32 v33, 0x7f, v4
	v_cmp_ne_u32_e32 vcc, s26, v33
	v_mov_b32_e32 v32, 0x7f800001
	s_and_saveexec_b64 s[18:19], vcc
	s_cbranch_execz .LBB347_218
; %bb.217:                              ;   in Loop: Header=BB347_131 Depth=1
	v_and_b32_e32 v32, 7, v4
	v_ffbh_u32_e32 v34, v32
	v_min_u32_e32 v37, 32, v34
	v_subrev_u32_e32 v34, 28, v37
	v_lshlrev_b64 v[34:35], v34, v[4:5]
	v_lshrrev_b32_e32 v36, 3, v33
	v_sub_u32_e32 v4, 29, v37
	v_and_b32_e32 v34, 7, v34
	v_cmp_gt_u32_e32 vcc, 8, v33
	v_cndmask_b32_e32 v4, v36, v4, vcc
	v_cndmask_b32_e32 v32, v32, v34, vcc
	v_lshlrev_b32_e32 v16, 16, v16
	v_lshlrev_b32_e32 v32, 20, v32
	v_and_b32_e32 v16, 0x80000000, v16
	v_lshl_add_u32 v4, v4, 23, v23
	v_or3_b32 v32, v16, v4, v32
.LBB347_218:                            ;   in Loop: Header=BB347_131 Depth=1
	s_or_b64 exec, exec, s[18:19]
.LBB347_219:                            ;   in Loop: Header=BB347_131 Depth=1
	s_or_b64 exec, exec, s[12:13]
.LBB347_220:                            ;   in Loop: Header=BB347_131 Depth=1
	s_or_b64 exec, exec, s[10:11]
	v_mul_f32_e32 v4, s27, v32
	v_and_b32_e32 v16, 0x7f800000, v4
	v_cmp_ne_u32_e32 vcc, s22, v16
                                        ; implicit-def: $vgpr16
	s_and_saveexec_b64 s[10:11], vcc
	s_xor_b64 s[10:11], exec, s[10:11]
; %bb.221:                              ;   in Loop: Header=BB347_131 Depth=1
	v_bfe_u32 v16, v4, 16, 1
	v_add3_u32 v16, v4, v16, s24
                                        ; implicit-def: $vgpr4
; %bb.222:                              ;   in Loop: Header=BB347_131 Depth=1
	s_andn2_saveexec_b64 s[10:11], s[10:11]
; %bb.223:                              ;   in Loop: Header=BB347_131 Depth=1
	v_or_b32_e32 v16, 0x10000, v4
	v_cmp_eq_u32_sdwa vcc, v4, v17 src0_sel:WORD_0 src1_sel:DWORD
	v_cndmask_b32_e32 v16, v16, v4, vcc
; %bb.224:                              ;   in Loop: Header=BB347_131 Depth=1
	s_or_b64 exec, exec, s[10:11]
	v_lshrrev_b32_e32 v4, 16, v3
	v_cmp_ne_u16_sdwa s[12:13], v4, v17 src0_sel:BYTE_0 src1_sel:DWORD
	v_mov_b32_e32 v32, 0
	s_and_saveexec_b64 s[10:11], s[12:13]
	s_cbranch_execz .LBB347_230
; %bb.225:                              ;   in Loop: Header=BB347_131 Depth=1
	v_cmp_ne_u16_sdwa s[18:19], v4, s25 src0_sel:BYTE_0 src1_sel:DWORD
	v_bfrev_b32_e32 v32, 1
	s_and_saveexec_b64 s[12:13], s[18:19]
	s_cbranch_execz .LBB347_229
; %bb.226:                              ;   in Loop: Header=BB347_131 Depth=1
	v_bfe_u32 v33, v3, 16, 7
	v_cmp_ne_u32_e32 vcc, s26, v33
	v_mov_b32_e32 v32, 0x7f800001
	s_and_saveexec_b64 s[18:19], vcc
	s_cbranch_execz .LBB347_228
; %bb.227:                              ;   in Loop: Header=BB347_131 Depth=1
	v_and_b32_e32 v32, 7, v4
	v_ffbh_u32_e32 v34, v32
	v_min_u32_e32 v37, 32, v34
	v_subrev_u32_e32 v34, 28, v37
	v_lshlrev_b64 v[34:35], v34, v[4:5]
	v_lshrrev_b32_e32 v36, 3, v33
	v_sub_u32_e32 v35, 29, v37
	v_and_b32_e32 v34, 7, v34
	v_cmp_gt_u32_e32 vcc, 8, v33
	v_cndmask_b32_e32 v33, v36, v35, vcc
	v_cndmask_b32_e32 v32, v32, v34, vcc
	v_lshlrev_b32_e32 v4, 24, v4
	v_lshlrev_b32_e32 v32, 20, v32
	v_and_b32_e32 v4, 0x80000000, v4
	v_lshl_add_u32 v33, v33, 23, v23
	v_or3_b32 v32, v4, v33, v32
.LBB347_228:                            ;   in Loop: Header=BB347_131 Depth=1
	s_or_b64 exec, exec, s[18:19]
.LBB347_229:                            ;   in Loop: Header=BB347_131 Depth=1
	s_or_b64 exec, exec, s[12:13]
.LBB347_230:                            ;   in Loop: Header=BB347_131 Depth=1
	s_or_b64 exec, exec, s[10:11]
	v_mul_f32_e32 v32, s27, v32
	v_and_b32_e32 v4, 0x7f800000, v32
	v_cmp_ne_u32_e32 vcc, s22, v4
                                        ; implicit-def: $vgpr4
	s_and_saveexec_b64 s[10:11], vcc
	s_xor_b64 s[10:11], exec, s[10:11]
; %bb.231:                              ;   in Loop: Header=BB347_131 Depth=1
	v_bfe_u32 v4, v32, 16, 1
	v_add3_u32 v4, v32, v4, s24
                                        ; implicit-def: $vgpr32
; %bb.232:                              ;   in Loop: Header=BB347_131 Depth=1
	s_andn2_saveexec_b64 s[10:11], s[10:11]
; %bb.233:                              ;   in Loop: Header=BB347_131 Depth=1
	v_or_b32_e32 v4, 0x10000, v32
	v_cmp_eq_u32_sdwa vcc, v32, v17 src0_sel:WORD_0 src1_sel:DWORD
	v_cndmask_b32_e32 v4, v4, v32, vcc
; %bb.234:                              ;   in Loop: Header=BB347_131 Depth=1
	s_or_b64 exec, exec, s[10:11]
	v_cmp_lt_u64_e32 vcc, s[6:7], v[2:3]
	v_mov_b32_e32 v32, 0
	s_and_saveexec_b64 s[10:11], vcc
	s_cbranch_execz .LBB347_240
; %bb.235:                              ;   in Loop: Header=BB347_131 Depth=1
	v_lshrrev_b32_e32 v2, 24, v3
	v_cmp_ne_u32_e32 vcc, s25, v2
	v_bfrev_b32_e32 v32, 1
	s_and_saveexec_b64 s[12:13], vcc
	s_cbranch_execz .LBB347_239
; %bb.236:                              ;   in Loop: Header=BB347_131 Depth=1
	v_bfe_u32 v3, v3, 24, 7
	v_cmp_ne_u32_e32 vcc, s26, v3
	v_mov_b32_e32 v32, 0x7f800001
	s_and_saveexec_b64 s[18:19], vcc
	s_cbranch_execz .LBB347_238
; %bb.237:                              ;   in Loop: Header=BB347_131 Depth=1
	v_and_b32_e32 v34, 7, v2
	v_ffbh_u32_e32 v32, v34
	v_min_u32_e32 v36, 32, v32
	v_subrev_u32_e32 v32, 28, v36
	v_lshlrev_b64 v[32:33], v32, v[2:3]
	v_lshrrev_b32_e32 v35, 3, v3
	v_sub_u32_e32 v33, 29, v36
	v_and_b32_e32 v32, 7, v32
	v_cmp_gt_u32_e32 vcc, 8, v3
	v_cndmask_b32_e32 v3, v35, v33, vcc
	v_cndmask_b32_e32 v32, v34, v32, vcc
	v_lshlrev_b32_e32 v2, 24, v2
	v_lshlrev_b32_e32 v32, 20, v32
	v_and_b32_e32 v2, 0x80000000, v2
	v_lshl_add_u32 v3, v3, 23, v23
	v_or3_b32 v32, v2, v3, v32
.LBB347_238:                            ;   in Loop: Header=BB347_131 Depth=1
	s_or_b64 exec, exec, s[18:19]
.LBB347_239:                            ;   in Loop: Header=BB347_131 Depth=1
	s_or_b64 exec, exec, s[12:13]
.LBB347_240:                            ;   in Loop: Header=BB347_131 Depth=1
	s_or_b64 exec, exec, s[10:11]
	v_mul_f32_e32 v3, s27, v32
	v_and_b32_e32 v2, 0x7f800000, v3
	v_cmp_ne_u32_e32 vcc, s22, v2
                                        ; implicit-def: $vgpr2
	s_and_saveexec_b64 s[10:11], vcc
	s_xor_b64 s[10:11], exec, s[10:11]
; %bb.241:                              ;   in Loop: Header=BB347_131 Depth=1
	v_bfe_u32 v2, v3, 16, 1
	v_add3_u32 v2, v3, v2, s24
                                        ; implicit-def: $vgpr3
; %bb.242:                              ;   in Loop: Header=BB347_131 Depth=1
	s_andn2_saveexec_b64 s[10:11], s[10:11]
; %bb.243:                              ;   in Loop: Header=BB347_131 Depth=1
	v_or_b32_e32 v2, 0x10000, v3
	v_cmp_eq_u32_sdwa vcc, v3, v17 src0_sel:WORD_0 src1_sel:DWORD
	v_cndmask_b32_e32 v2, v2, v3, vcc
; %bb.244:                              ;   in Loop: Header=BB347_131 Depth=1
	s_or_b64 exec, exec, s[10:11]
	v_lshrrev_b32_e32 v16, 16, v16
	v_lshrrev_b32_e32 v31, 16, v31
	;; [unrolled: 1-line block ×8, first 2 shown]
	v_cmp_eq_u32_e32 vcc, s53, v10
	s_and_saveexec_b64 s[10:11], vcc
	s_cbranch_execz .LBB347_246
; %bb.245:                              ;   in Loop: Header=BB347_131 Depth=1
	v_add_u32_e32 v5, v20, v1
	v_cmp_gt_i32_e32 vcc, s33, v5
	v_add_u32_e32 v32, 1, v5
	v_cndmask_b32_e32 v3, 0, v3, vcc
	v_cmp_gt_i32_e32 vcc, s33, v32
	v_add_u32_e32 v32, 2, v5
	v_cndmask_b32_e32 v28, 0, v28, vcc
	;; [unrolled: 3-line block ×7, first 2 shown]
	v_cmp_gt_i32_e32 vcc, s33, v5
	v_cndmask_b32_e32 v2, 0, v2, vcc
.LBB347_246:                            ;   in Loop: Header=BB347_131 Depth=1
	s_or_b64 exec, exec, s[10:11]
	v_and_b32_e32 v5, 0xffff0000, v27
	v_lshlrev_b32_e32 v3, 16, v3
	v_mul_f32_e32 v5, v5, v3
	v_and_b32_e32 v3, 0x7f800000, v5
	v_cmp_ne_u32_e32 vcc, s22, v3
                                        ; implicit-def: $vgpr3
	s_and_saveexec_b64 s[10:11], vcc
	s_xor_b64 s[10:11], exec, s[10:11]
; %bb.247:                              ;   in Loop: Header=BB347_131 Depth=1
	v_bfe_u32 v3, v5, 16, 1
	v_add3_u32 v3, v5, v3, s24
                                        ; implicit-def: $vgpr5
; %bb.248:                              ;   in Loop: Header=BB347_131 Depth=1
	s_andn2_saveexec_b64 s[10:11], s[10:11]
; %bb.249:                              ;   in Loop: Header=BB347_131 Depth=1
	v_or_b32_e32 v3, 0x10000, v5
	v_cmp_eq_u32_sdwa vcc, v5, v17 src0_sel:WORD_0 src1_sel:DWORD
	v_cndmask_b32_e32 v3, v3, v5, vcc
; %bb.250:                              ;   in Loop: Header=BB347_131 Depth=1
	s_or_b64 exec, exec, s[10:11]
	v_and_b32_e32 v5, 0xffff0000, v26
	v_lshlrev_b32_e32 v26, 16, v28
	v_mul_f32_e32 v26, v5, v26
	v_and_b32_e32 v5, 0x7f800000, v26
	v_cmp_ne_u32_e32 vcc, s22, v5
                                        ; implicit-def: $vgpr5
	s_and_saveexec_b64 s[10:11], vcc
	s_xor_b64 s[10:11], exec, s[10:11]
; %bb.251:                              ;   in Loop: Header=BB347_131 Depth=1
	v_bfe_u32 v5, v26, 16, 1
	v_add3_u32 v5, v26, v5, s24
                                        ; implicit-def: $vgpr26
; %bb.252:                              ;   in Loop: Header=BB347_131 Depth=1
	s_andn2_saveexec_b64 s[10:11], s[10:11]
; %bb.253:                              ;   in Loop: Header=BB347_131 Depth=1
	v_or_b32_e32 v5, 0x10000, v26
	v_cmp_eq_u32_sdwa vcc, v26, v17 src0_sel:WORD_0 src1_sel:DWORD
	v_cndmask_b32_e32 v5, v5, v26, vcc
; %bb.254:                              ;   in Loop: Header=BB347_131 Depth=1
	s_or_b64 exec, exec, s[10:11]
	v_and_b32_e32 v25, 0xffff0000, v25
	v_lshlrev_b32_e32 v26, 16, v29
	v_mul_f32_e32 v26, v25, v26
	v_and_b32_e32 v25, 0x7f800000, v26
	v_cmp_ne_u32_e32 vcc, s22, v25
                                        ; implicit-def: $vgpr25
	s_and_saveexec_b64 s[10:11], vcc
	s_xor_b64 s[10:11], exec, s[10:11]
; %bb.255:                              ;   in Loop: Header=BB347_131 Depth=1
	v_bfe_u32 v25, v26, 16, 1
	v_add3_u32 v25, v26, v25, s24
                                        ; implicit-def: $vgpr26
; %bb.256:                              ;   in Loop: Header=BB347_131 Depth=1
	s_andn2_saveexec_b64 s[10:11], s[10:11]
; %bb.257:                              ;   in Loop: Header=BB347_131 Depth=1
	v_or_b32_e32 v25, 0x10000, v26
	v_cmp_eq_u32_sdwa vcc, v26, v17 src0_sel:WORD_0 src1_sel:DWORD
	v_cndmask_b32_e32 v25, v25, v26, vcc
; %bb.258:                              ;   in Loop: Header=BB347_131 Depth=1
	s_or_b64 exec, exec, s[10:11]
	v_and_b32_e32 v24, 0xffff0000, v24
	v_lshlrev_b32_e32 v26, 16, v30
	v_mul_f32_e32 v26, v24, v26
	v_and_b32_e32 v24, 0x7f800000, v26
	v_cmp_ne_u32_e32 vcc, s22, v24
                                        ; implicit-def: $vgpr24
	s_and_saveexec_b64 s[10:11], vcc
	s_xor_b64 s[10:11], exec, s[10:11]
; %bb.259:                              ;   in Loop: Header=BB347_131 Depth=1
	v_bfe_u32 v24, v26, 16, 1
	v_add3_u32 v24, v26, v24, s24
                                        ; implicit-def: $vgpr26
; %bb.260:                              ;   in Loop: Header=BB347_131 Depth=1
	s_andn2_saveexec_b64 s[10:11], s[10:11]
; %bb.261:                              ;   in Loop: Header=BB347_131 Depth=1
	v_or_b32_e32 v24, 0x10000, v26
	v_cmp_eq_u32_sdwa vcc, v26, v17 src0_sel:WORD_0 src1_sel:DWORD
	v_cndmask_b32_e32 v24, v24, v26, vcc
; %bb.262:                              ;   in Loop: Header=BB347_131 Depth=1
	s_or_b64 exec, exec, s[10:11]
	v_and_b32_e32 v9, 0xffff0000, v9
	v_lshlrev_b32_e32 v26, 16, v31
	v_mul_f32_e32 v26, v9, v26
	v_and_b32_e32 v9, 0x7f800000, v26
	v_cmp_ne_u32_e32 vcc, s22, v9
                                        ; implicit-def: $vgpr9
	s_and_saveexec_b64 s[10:11], vcc
	s_xor_b64 s[10:11], exec, s[10:11]
; %bb.263:                              ;   in Loop: Header=BB347_131 Depth=1
	v_bfe_u32 v9, v26, 16, 1
	v_add3_u32 v9, v26, v9, s24
                                        ; implicit-def: $vgpr26
; %bb.264:                              ;   in Loop: Header=BB347_131 Depth=1
	s_andn2_saveexec_b64 s[10:11], s[10:11]
; %bb.265:                              ;   in Loop: Header=BB347_131 Depth=1
	v_or_b32_e32 v9, 0x10000, v26
	v_cmp_eq_u32_sdwa vcc, v26, v17 src0_sel:WORD_0 src1_sel:DWORD
	v_cndmask_b32_e32 v9, v9, v26, vcc
; %bb.266:                              ;   in Loop: Header=BB347_131 Depth=1
	s_or_b64 exec, exec, s[10:11]
	v_and_b32_e32 v8, 0xffff0000, v8
	v_lshlrev_b32_e32 v16, 16, v16
	v_mul_f32_e32 v16, v8, v16
	v_and_b32_e32 v8, 0x7f800000, v16
	v_cmp_ne_u32_e32 vcc, s22, v8
                                        ; implicit-def: $vgpr8
	s_and_saveexec_b64 s[10:11], vcc
	s_xor_b64 s[10:11], exec, s[10:11]
; %bb.267:                              ;   in Loop: Header=BB347_131 Depth=1
	v_bfe_u32 v8, v16, 16, 1
	v_add3_u32 v8, v16, v8, s24
                                        ; implicit-def: $vgpr16
; %bb.268:                              ;   in Loop: Header=BB347_131 Depth=1
	s_andn2_saveexec_b64 s[10:11], s[10:11]
; %bb.269:                              ;   in Loop: Header=BB347_131 Depth=1
	v_or_b32_e32 v8, 0x10000, v16
	v_cmp_eq_u32_sdwa vcc, v16, v17 src0_sel:WORD_0 src1_sel:DWORD
	v_cndmask_b32_e32 v8, v8, v16, vcc
; %bb.270:                              ;   in Loop: Header=BB347_131 Depth=1
	s_or_b64 exec, exec, s[10:11]
	v_and_b32_e32 v7, 0xffff0000, v7
	v_lshlrev_b32_e32 v4, 16, v4
	v_mul_f32_e32 v7, v7, v4
	v_and_b32_e32 v4, 0x7f800000, v7
	v_cmp_ne_u32_e32 vcc, s22, v4
                                        ; implicit-def: $vgpr4
	s_and_saveexec_b64 s[10:11], vcc
	s_xor_b64 s[10:11], exec, s[10:11]
; %bb.271:                              ;   in Loop: Header=BB347_131 Depth=1
	v_bfe_u32 v4, v7, 16, 1
	v_add3_u32 v4, v7, v4, s24
                                        ; implicit-def: $vgpr7
; %bb.272:                              ;   in Loop: Header=BB347_131 Depth=1
	s_andn2_saveexec_b64 s[10:11], s[10:11]
; %bb.273:                              ;   in Loop: Header=BB347_131 Depth=1
	v_or_b32_e32 v4, 0x10000, v7
	v_cmp_eq_u32_sdwa vcc, v7, v17 src0_sel:WORD_0 src1_sel:DWORD
	v_cndmask_b32_e32 v4, v4, v7, vcc
; %bb.274:                              ;   in Loop: Header=BB347_131 Depth=1
	s_or_b64 exec, exec, s[10:11]
	v_and_b32_e32 v6, 0xffff0000, v6
	v_lshlrev_b32_e32 v2, 16, v2
	v_mul_f32_e32 v2, v6, v2
	v_and_b32_e32 v6, 0x7f800000, v2
	v_cmp_ne_u32_e32 vcc, s22, v6
                                        ; implicit-def: $vgpr6
	s_and_saveexec_b64 s[10:11], vcc
	s_xor_b64 s[10:11], exec, s[10:11]
; %bb.275:                              ;   in Loop: Header=BB347_131 Depth=1
	v_bfe_u32 v6, v2, 16, 1
	v_add3_u32 v6, v2, v6, s24
                                        ; implicit-def: $vgpr2
; %bb.276:                              ;   in Loop: Header=BB347_131 Depth=1
	s_andn2_saveexec_b64 s[10:11], s[10:11]
	s_cbranch_execz .LBB347_129
; %bb.277:                              ;   in Loop: Header=BB347_131 Depth=1
	v_or_b32_e32 v6, 0x10000, v2
	v_cmp_eq_u32_sdwa vcc, v2, v17 src0_sel:WORD_0 src1_sel:DWORD
	v_cndmask_b32_e32 v6, v6, v2, vcc
	s_branch .LBB347_129
.LBB347_278:
	s_or_b64 exec, exec, s[8:9]
.LBB347_279:
	s_or_b64 exec, exec, s[4:5]
	ds_bpermute_b32 v1, v19, v22
	v_and_b32_e32 v2, 0x3c1, v0
	v_cmp_eq_u32_e32 vcc, 64, v2
	s_waitcnt lgkmcnt(0)
	s_barrier
	v_add_f32_e32 v1, v22, v1
	s_and_saveexec_b64 s[0:1], vcc
	s_cbranch_execz .LBB347_281
; %bb.280:
	v_mov_b32_e32 v3, 0x50
	v_lshl_add_u32 v3, v18, 1, v3
	ds_write_b32 v3, v1
.LBB347_281:
	s_or_b64 exec, exec, s[0:1]
	v_cmp_eq_u32_e32 vcc, 0, v2
	s_waitcnt lgkmcnt(0)
	s_barrier
	s_and_saveexec_b64 s[0:1], vcc
	s_cbranch_execz .LBB347_283
; %bb.282:
	v_mov_b32_e32 v2, 0x50
	v_lshl_add_u32 v2, v0, 1, v2
	ds_read_b32 v2, v2
	s_waitcnt lgkmcnt(0)
	v_add_f32_e32 v1, v1, v2
.LBB347_283:
	s_or_b64 exec, exec, s[0:1]
	s_barrier
	s_and_saveexec_b64 s[0:1], vcc
	s_cbranch_execz .LBB347_289
; %bb.284:
	s_mov_b32 s0, 0x7f800000
	v_and_b32_e32 v2, 0x7f800000, v1
	v_cmp_ne_u32_e32 vcc, s0, v2
                                        ; implicit-def: $vgpr2
	s_and_saveexec_b64 s[0:1], vcc
	s_xor_b64 s[0:1], exec, s[0:1]
; %bb.285:
	v_bfe_u32 v2, v1, 16, 1
	s_movk_i32 s3, 0x7fff
	v_add3_u32 v2, v1, v2, s3
                                        ; implicit-def: $vgpr1
; %bb.286:
	s_andn2_saveexec_b64 s[0:1], s[0:1]
; %bb.287:
	v_mov_b32_e32 v2, 0
	v_or_b32_e32 v3, 0x10000, v1
	v_cmp_eq_u32_sdwa vcc, v1, v2 src0_sel:WORD_0 src1_sel:DWORD
	v_cndmask_b32_e32 v2, v3, v1, vcc
; %bb.288:
	s_or_b64 exec, exec, s[0:1]
	s_lshl_b32 s0, s2, 5
	s_ashr_i32 s1, s0, 31
	s_lshl_b64 s[0:1], s[0:1], 1
	s_add_u32 s2, s30, s0
	s_mul_i32 s0, s20, s28
	s_addc_u32 s3, s31, s1
	s_ashr_i32 s1, s0, 31
	s_lshl_b64 s[0:1], s[0:1], 1
	s_add_u32 s2, s2, s0
	s_addc_u32 s3, s3, s1
	s_ashr_i32 s17, s16, 31
	s_lshl_b64 s[0:1], s[16:17], 1
	s_add_u32 s0, s2, s0
	s_addc_u32 s1, s3, s1
	global_store_short_d16_hi v0, v2, s[0:1]
.LBB347_289:
	s_endpgm
	.section	.rodata,"a",@progbits
	.p2align	6, 0x0
	.amdhsa_kernel _ZN4vllm25paged_attention_v2_kernelI14__hip_bfloat16hLi32ELi16ELi128ELNS_18Fp8KVCacheDataTypeE1ELb1ELi512EEEvPfS3_PT_PKS4_PKT0_SA_ifPKiSC_iPKfiiiSE_SE_iiiii
		.amdhsa_group_segment_fixed_size 80
		.amdhsa_private_segment_fixed_size 0
		.amdhsa_kernarg_size 400
		.amdhsa_user_sgpr_count 6
		.amdhsa_user_sgpr_private_segment_buffer 1
		.amdhsa_user_sgpr_dispatch_ptr 0
		.amdhsa_user_sgpr_queue_ptr 0
		.amdhsa_user_sgpr_kernarg_segment_ptr 1
		.amdhsa_user_sgpr_dispatch_id 0
		.amdhsa_user_sgpr_flat_scratch_init 0
		.amdhsa_user_sgpr_kernarg_preload_length 0
		.amdhsa_user_sgpr_kernarg_preload_offset 0
		.amdhsa_user_sgpr_private_segment_size 0
		.amdhsa_uses_dynamic_stack 0
		.amdhsa_system_sgpr_private_segment_wavefront_offset 0
		.amdhsa_system_sgpr_workgroup_id_x 1
		.amdhsa_system_sgpr_workgroup_id_y 1
		.amdhsa_system_sgpr_workgroup_id_z 1
		.amdhsa_system_sgpr_workgroup_info 0
		.amdhsa_system_vgpr_workitem_id 0
		.amdhsa_next_free_vgpr 42
		.amdhsa_next_free_sgpr 65
		.amdhsa_accum_offset 44
		.amdhsa_reserve_vcc 1
		.amdhsa_reserve_flat_scratch 0
		.amdhsa_float_round_mode_32 0
		.amdhsa_float_round_mode_16_64 0
		.amdhsa_float_denorm_mode_32 3
		.amdhsa_float_denorm_mode_16_64 3
		.amdhsa_dx10_clamp 1
		.amdhsa_ieee_mode 1
		.amdhsa_fp16_overflow 0
		.amdhsa_tg_split 0
		.amdhsa_exception_fp_ieee_invalid_op 0
		.amdhsa_exception_fp_denorm_src 0
		.amdhsa_exception_fp_ieee_div_zero 0
		.amdhsa_exception_fp_ieee_overflow 0
		.amdhsa_exception_fp_ieee_underflow 0
		.amdhsa_exception_fp_ieee_inexact 0
		.amdhsa_exception_int_div_zero 0
	.end_amdhsa_kernel
	.section	.text._ZN4vllm25paged_attention_v2_kernelI14__hip_bfloat16hLi32ELi16ELi128ELNS_18Fp8KVCacheDataTypeE1ELb1ELi512EEEvPfS3_PT_PKS4_PKT0_SA_ifPKiSC_iPKfiiiSE_SE_iiiii,"axG",@progbits,_ZN4vllm25paged_attention_v2_kernelI14__hip_bfloat16hLi32ELi16ELi128ELNS_18Fp8KVCacheDataTypeE1ELb1ELi512EEEvPfS3_PT_PKS4_PKT0_SA_ifPKiSC_iPKfiiiSE_SE_iiiii,comdat
.Lfunc_end347:
	.size	_ZN4vllm25paged_attention_v2_kernelI14__hip_bfloat16hLi32ELi16ELi128ELNS_18Fp8KVCacheDataTypeE1ELb1ELi512EEEvPfS3_PT_PKS4_PKT0_SA_ifPKiSC_iPKfiiiSE_SE_iiiii, .Lfunc_end347-_ZN4vllm25paged_attention_v2_kernelI14__hip_bfloat16hLi32ELi16ELi128ELNS_18Fp8KVCacheDataTypeE1ELb1ELi512EEEvPfS3_PT_PKS4_PKT0_SA_ifPKiSC_iPKfiiiSE_SE_iiiii
                                        ; -- End function
	.section	.AMDGPU.csdata,"",@progbits
; Kernel info:
; codeLenInByte = 9380
; NumSgprs: 69
; NumVgprs: 42
; NumAgprs: 0
; TotalNumVgprs: 42
; ScratchSize: 0
; MemoryBound: 0
; FloatMode: 240
; IeeeMode: 1
; LDSByteSize: 80 bytes/workgroup (compile time only)
; SGPRBlocks: 8
; VGPRBlocks: 5
; NumSGPRsForWavesPerEU: 69
; NumVGPRsForWavesPerEU: 42
; AccumOffset: 44
; Occupancy: 8
; WaveLimiterHint : 1
; COMPUTE_PGM_RSRC2:SCRATCH_EN: 0
; COMPUTE_PGM_RSRC2:USER_SGPR: 6
; COMPUTE_PGM_RSRC2:TRAP_HANDLER: 0
; COMPUTE_PGM_RSRC2:TGID_X_EN: 1
; COMPUTE_PGM_RSRC2:TGID_Y_EN: 1
; COMPUTE_PGM_RSRC2:TGID_Z_EN: 1
; COMPUTE_PGM_RSRC2:TIDIG_COMP_CNT: 0
; COMPUTE_PGM_RSRC3_GFX90A:ACCUM_OFFSET: 10
; COMPUTE_PGM_RSRC3_GFX90A:TG_SPLIT: 0
	.section	.text._ZN4vllm25paged_attention_v2_kernelI14__hip_bfloat16hLi64ELi16ELi128ELNS_18Fp8KVCacheDataTypeE1ELb1ELi512EEEvPfS3_PT_PKS4_PKT0_SA_ifPKiSC_iPKfiiiSE_SE_iiiii,"axG",@progbits,_ZN4vllm25paged_attention_v2_kernelI14__hip_bfloat16hLi64ELi16ELi128ELNS_18Fp8KVCacheDataTypeE1ELb1ELi512EEEvPfS3_PT_PKS4_PKT0_SA_ifPKiSC_iPKfiiiSE_SE_iiiii,comdat
	.protected	_ZN4vllm25paged_attention_v2_kernelI14__hip_bfloat16hLi64ELi16ELi128ELNS_18Fp8KVCacheDataTypeE1ELb1ELi512EEEvPfS3_PT_PKS4_PKT0_SA_ifPKiSC_iPKfiiiSE_SE_iiiii ; -- Begin function _ZN4vllm25paged_attention_v2_kernelI14__hip_bfloat16hLi64ELi16ELi128ELNS_18Fp8KVCacheDataTypeE1ELb1ELi512EEEvPfS3_PT_PKS4_PKT0_SA_ifPKiSC_iPKfiiiSE_SE_iiiii
	.globl	_ZN4vllm25paged_attention_v2_kernelI14__hip_bfloat16hLi64ELi16ELi128ELNS_18Fp8KVCacheDataTypeE1ELb1ELi512EEEvPfS3_PT_PKS4_PKT0_SA_ifPKiSC_iPKfiiiSE_SE_iiiii
	.p2align	8
	.type	_ZN4vllm25paged_attention_v2_kernelI14__hip_bfloat16hLi64ELi16ELi128ELNS_18Fp8KVCacheDataTypeE1ELb1ELi512EEEvPfS3_PT_PKS4_PKT0_SA_ifPKiSC_iPKfiiiSE_SE_iiiii,@function
_ZN4vllm25paged_attention_v2_kernelI14__hip_bfloat16hLi64ELi16ELi128ELNS_18Fp8KVCacheDataTypeE1ELb1ELi512EEEvPfS3_PT_PKS4_PKT0_SA_ifPKiSC_iPKfiiiSE_SE_iiiii: ; @_ZN4vllm25paged_attention_v2_kernelI14__hip_bfloat16hLi64ELi16ELi128ELNS_18Fp8KVCacheDataTypeE1ELb1ELi512EEEvPfS3_PT_PKS4_PKT0_SA_ifPKiSC_iPKfiiiSE_SE_iiiii
; %bb.0:
	s_load_dwordx2 s[0:1], s[4:5], 0x40
	s_mov_b32 s28, s7
	s_ashr_i32 s29, s7, 31
	s_lshl_b64 s[2:3], s[28:29], 2
	s_waitcnt lgkmcnt(0)
	s_add_u32 s0, s0, s2
	s_addc_u32 s1, s1, s3
	s_load_dword s33, s[0:1], 0x0
	s_lshl_b32 s9, s8, 9
	s_waitcnt lgkmcnt(0)
	s_cmp_ge_i32 s9, s33
	s_cbranch_scc1 .LBB348_492
; %bb.1:
	s_load_dword s29, s[4:5], 0x90
	s_load_dwordx2 s[42:43], s[4:5], 0x30
	s_mov_b32 s55, 0
	s_waitcnt lgkmcnt(0)
	s_abs_i32 s2, s29
	s_abs_i32 s0, s42
	v_cvt_f32_u32_e32 v1, s0
	s_sub_i32 s3, 0, s0
	s_xor_b32 s1, s29, s42
	s_ashr_i32 s1, s1, 31
	v_rcp_iflag_f32_e32 v1, v1
	v_mul_f32_e32 v1, 0x4f7ffffe, v1
	v_cvt_u32_f32_e32 v1, v1
	v_readfirstlane_b32 s7, v1
	s_mul_i32 s3, s3, s7
	s_mul_hi_u32 s3, s7, s3
	s_add_i32 s7, s7, s3
	s_mul_hi_u32 s3, s2, s7
	s_mul_i32 s7, s3, s0
	s_sub_i32 s2, s2, s7
	s_add_i32 s10, s3, 1
	s_sub_i32 s7, s2, s0
	s_cmp_ge_u32 s2, s0
	s_cselect_b32 s3, s10, s3
	s_cselect_b32 s2, s7, s2
	s_add_i32 s7, s3, 1
	s_cmp_ge_u32 s2, s0
	s_cselect_b32 s0, s7, s3
	s_xor_b32 s0, s0, s1
	s_sub_i32 s11, s0, s1
	s_abs_i32 s2, s11
	v_cvt_f32_u32_e32 v1, s2
	s_load_dwordx2 s[0:1], s[4:5], 0x50
	s_sub_i32 s7, 0, s2
	s_abs_i32 s3, s6
	v_rcp_iflag_f32_e32 v1, v1
	v_mul_f32_e32 v1, 0x4f7ffffe, v1
	v_cvt_u32_f32_e32 v1, v1
	v_readfirstlane_b32 s10, v1
	s_mul_i32 s7, s7, s10
	s_mul_hi_u32 s7, s10, s7
	s_add_i32 s10, s10, s7
	s_waitcnt lgkmcnt(0)
	s_cmp_eq_u64 s[0:1], 0
	s_mul_hi_u32 s10, s3, s10
	s_cbranch_scc1 .LBB348_3
; %bb.2:
	s_ashr_i32 s7, s6, 31
	s_lshl_b64 s[12:13], s[6:7], 2
	s_add_u32 s0, s0, s12
	s_addc_u32 s1, s1, s13
	s_load_dword s55, s[0:1], 0x0
.LBB348_3:
	s_load_dwordx4 s[16:19], s[4:5], 0x58
	s_ashr_i32 s7, s6, 31
	s_ashr_i32 s11, s11, 31
	v_and_b32_e32 v2, 3, v0
	s_lshl_b32 s30, s6, 6
	v_cmp_gt_u32_e32 vcc, 32, v0
	s_and_saveexec_b64 s[0:1], vcc
	s_cbranch_execz .LBB348_5
; %bb.4:
	s_load_dwordx2 s[12:13], s[4:5], 0x18
	s_waitcnt lgkmcnt(0)
	s_mul_i32 s14, s28, s16
	s_ashr_i32 s15, s14, 31
	s_lshl_b64 s[14:15], s[14:15], 1
	v_lshlrev_b32_e32 v1, 2, v0
	s_add_u32 s14, s12, s14
	s_addc_u32 s15, s13, s15
	s_ashr_i32 s31, s30, 31
	s_lshl_b64 s[12:13], s[30:31], 1
	s_add_u32 s12, s14, s12
	s_addc_u32 s13, s15, s13
	global_load_dword v1, v1, s[12:13]
	v_and_b32_e32 v3, 0x3fc, v0
	v_lshl_add_u32 v3, v2, 5, v3
	s_waitcnt vmcnt(0)
	ds_write_b32 v3, v1
.LBB348_5:
	s_or_b64 exec, exec, s[0:1]
	s_mul_i32 s1, s10, s2
	s_sub_i32 s1, s3, s1
	s_xor_b32 s0, s7, s11
	s_add_i32 s3, s10, 1
	s_sub_i32 s7, s1, s2
	s_load_dwordx4 s[20:23], s[4:5], 0x78
	s_cmp_ge_u32 s1, s2
	s_cselect_b32 s3, s3, s10
	s_cselect_b32 s1, s7, s1
	s_add_i32 s7, s3, 1
	s_cmp_ge_u32 s1, s2
	s_cselect_b32 s1, s7, s3
	s_load_dword s7, s[4:5], 0x88
	s_waitcnt lgkmcnt(0)
	s_abs_i32 s31, s23
	v_cvt_f32_u32_e32 v1, s31
	s_xor_b32 s1, s1, s0
	s_sub_i32 s54, s1, s0
	s_sub_i32 s0, 0, s31
	v_rcp_iflag_f32_e32 v1, v1
	s_add_i32 s10, s33, -1
	s_abs_i32 s2, s10
	v_mul_f32_e32 v1, 0x4f7ffffe, v1
	v_cvt_u32_f32_e32 v1, v1
	s_barrier
	v_readfirstlane_b32 s52, v1
	s_mul_i32 s0, s0, s52
	s_mul_hi_u32 s0, s52, s0
	s_add_i32 s52, s52, s0
	s_cmp_lt_i32 s7, 0
	s_mul_hi_u32 s3, s2, s52
	s_cbranch_scc0 .LBB348_7
; %bb.6:
	s_mul_i32 s0, s20, s42
	s_add_i32 s0, s54, s0
	s_mul_i32 s0, s0, s7
	s_sub_i32 s42, 1, s0
	s_mov_b64 s[0:1], 0
	s_branch .LBB348_8
.LBB348_7:
	s_mov_b64 s[0:1], -1
                                        ; implicit-def: $sgpr42
.LBB348_8:
	s_load_dwordx2 s[36:37], s[4:5], 0x38
	s_ashr_i32 s10, s10, 31
	s_andn2_b64 vcc, exec, s[0:1]
	s_ashr_i32 s23, s23, 31
	s_cbranch_vccnz .LBB348_10
; %bb.9:
	s_mul_i32 s0, s29, s20
	s_add_i32 s0, s0, s6
	s_mul_i32 s0, s0, s7
	s_add_i32 s42, s0, 1
.LBB348_10:
	s_load_dwordx2 s[40:41], s[4:5], 0x28
	s_load_dword s0, s[4:5], 0x48
	s_load_dwordx4 s[24:27], s[4:5], 0x0
	s_load_dwordx2 s[34:35], s[4:5], 0x10
	s_load_dword s20, s[4:5], 0x98
	s_load_dwordx4 s[12:15], s[4:5], 0x68
	s_mul_i32 s1, s3, s31
	s_waitcnt lgkmcnt(0)
	s_mul_i32 s38, s28, s0
	s_sub_i32 s1, s2, s1
	s_ashr_i32 s39, s38, 31
	s_xor_b32 s0, s10, s23
	s_add_i32 s2, s3, 1
	s_sub_i32 s7, s1, s31
	s_cmp_ge_u32 s1, s31
	s_cselect_b32 s2, s2, s3
	s_cselect_b32 s1, s7, s1
	s_add_i32 s3, s2, 1
	s_cmp_ge_u32 s1, s31
	s_cselect_b32 s1, s3, s2
	s_xor_b32 s1, s1, s0
	s_sub_i32 s16, s1, s0
	s_add_i32 s0, s33, 15
	s_ashr_i32 s1, s0, 31
	s_lshr_b32 s1, s1, 28
	s_add_i32 s0, s0, s1
	s_lshl_b32 s56, s8, 5
	s_ashr_i32 s7, s0, 4
	s_add_i32 s0, s56, 32
	v_lshrrev_b32_e32 v25, 6, v0
	s_min_i32 s53, s0, s7
	v_or_b32_e32 v10, s56, v25
	v_cmp_gt_i32_e64 s[0:1], s53, v10
	v_mov_b32_e32 v27, 0xff7fffff
	s_mul_i32 s54, s54, s18
	v_ashrrev_i32_e32 v11, 31, v10
	v_lshl_add_u32 v1, v25, 4, s9
	v_mbcnt_lo_u32_b32 v15, -1, 0
	s_and_saveexec_b64 s[18:19], s[0:1]
	s_cbranch_execz .LBB348_180
; %bb.11:
	s_load_dwordx2 s[2:3], s[4:5], 0x20
	s_sub_i32 s57, s16, s21
	s_ashr_i32 s4, s54, 31
	v_cmp_eq_u32_e32 vcc, 0, v2
	v_lshlrev_b32_e32 v14, 1, v2
	s_waitcnt lgkmcnt(0)
	s_add_u32 s2, s2, s54
	s_addc_u32 s3, s3, s4
	s_abs_i32 s59, s22
	v_cvt_f32_u32_e32 v3, s59
	s_sub_i32 s4, 0, s59
	v_lshlrev_b32_e32 v24, 5, v2
	v_bfe_u32 v21, v0, 2, 4
	v_rcp_iflag_f32_e32 v3, v3
	v_lshlrev_b32_e32 v4, 4, v21
	v_mov_b32_e32 v5, s3
	v_add_co_u32_e64 v12, s[2:3], s2, v4
	v_mul_f32_e32 v3, 0x4f7ffffe, v3
	v_cvt_u32_f32_e32 v3, v3
	v_addc_co_u32_e64 v13, s[2:3], 0, v5, s[2:3]
	s_mov_b32 s58, s17
	v_mul_lo_u32 v2, s4, v3
	s_lshl_b64 s[4:5], s[38:39], 2
	v_mul_hi_u32 v2, v3, v2
	s_add_u32 s4, s36, s4
	v_add_u32_e32 v26, v3, v2
	v_lshlrev_b64 v[2:3], 2, v[10:11]
	s_addc_u32 s5, s37, s5
	v_mov_b32_e32 v4, s5
	v_add_co_u32_e64 v16, s[4:5], s4, v2
	v_lshlrev_b32_e32 v2, 2, v21
	v_lshl_or_b32 v2, v25, 6, v2
	v_add_u32_e32 v29, 0x90, v2
	v_subrev_u32_e32 v2, s33, v21
	v_mov_b32_e32 v23, 0
	v_cmp_neq_f32_e64 s[2:3], s55, 0
	v_addc_co_u32_e64 v17, s[4:5], v4, v3, s[4:5]
	v_lshl_add_u32 v28, v25, 4, s9
	v_add_u32_e32 v30, 1, v2
	s_mov_b64 s[44:45], 0
	v_mov_b32_e32 v31, 0xff7fffff
	s_movk_i32 s60, 0x80
	s_movk_i32 s61, 0x7f
	s_mov_b32 s62, 0x7f800000
	s_movk_i32 s63, 0x7fff
	v_bfrev_b32_e32 v32, 60
	v_mbcnt_hi_u32_b32 v33, -1, v15
	v_mov_b32_e32 v27, 0xff7fffff
	v_mov_b32_e32 v34, v10
	s_branch .LBB348_14
.LBB348_12:                             ;   in Loop: Header=BB348_14 Depth=1
	s_or_b64 exec, exec, s[46:47]
.LBB348_13:                             ;   in Loop: Header=BB348_14 Depth=1
	s_or_b64 exec, exec, s[10:11]
	v_add_co_u32_e64 v16, s[4:5], 8, v16
	v_add_u32_e32 v34, 2, v34
	v_addc_co_u32_e64 v17, s[4:5], 0, v17, s[4:5]
	v_cmp_le_i32_e64 s[4:5], s53, v34
	v_add_u32_e32 v28, 32, v28
	s_or_b64 s[44:45], s[4:5], s[44:45]
	v_add_u32_e32 v29, 0x80, v29
	s_andn2_b64 exec, exec, s[44:45]
	s_cbranch_execz .LBB348_179
.LBB348_14:                             ; =>This Inner Loop Header: Depth=1
	s_waitcnt lgkmcnt(0)
	v_sub_u32_e32 v3, 0, v28
	v_max_i32_e32 v3, v28, v3
	v_mul_hi_u32 v4, v3, s52
	v_mul_lo_u32 v5, v4, s31
	v_sub_u32_e32 v3, v3, v5
	v_add_u32_e32 v5, 1, v4
	v_cmp_le_u32_e64 s[4:5], s31, v3
	v_cndmask_b32_e64 v4, v4, v5, s[4:5]
	v_subrev_u32_e32 v5, s31, v3
	v_cndmask_b32_e64 v3, v3, v5, s[4:5]
	v_ashrrev_i32_e32 v2, 31, v28
	v_add_u32_e32 v5, 1, v4
	v_cmp_le_u32_e64 s[4:5], s31, v3
	v_xor_b32_e32 v2, s23, v2
	v_cndmask_b32_e64 v3, v4, v5, s[4:5]
	v_xor_b32_e32 v3, v3, v2
	v_sub_u32_e32 v2, v3, v2
	v_add_u32_e32 v3, s42, v2
	v_sub_u32_e32 v5, 0, v3
	v_ashrrev_i32_e32 v4, 31, v3
	v_max_i32_e32 v3, v3, v5
	v_mul_hi_u32 v5, v3, v26
	v_mul_lo_u32 v5, v5, s59
	v_sub_u32_e32 v3, v3, v5
	v_subrev_u32_e32 v5, s59, v3
	v_cmp_le_u32_e64 s[4:5], s59, v3
	v_cndmask_b32_e64 v3, v3, v5, s[4:5]
	v_subrev_u32_e32 v5, s59, v3
	v_cmp_le_u32_e64 s[4:5], s59, v3
	v_cndmask_b32_e64 v3, v3, v5, s[4:5]
	v_xor_b32_e32 v3, v3, v4
	v_sub_u32_e32 v3, v3, v4
	v_cmp_ne_u32_e64 s[4:5], 0, v3
	v_cmp_ge_i32_e64 s[10:11], s57, v2
	s_and_b64 s[4:5], s[4:5], s[10:11]
	s_and_b64 s[46:47], vcc, s[4:5]
	s_and_saveexec_b64 s[10:11], s[46:47]
	s_cbranch_execz .LBB348_16
; %bb.15:                               ;   in Loop: Header=BB348_14 Depth=1
	ds_write_b32 v29, v31
.LBB348_16:                             ;   in Loop: Header=BB348_14 Depth=1
	s_or_b64 exec, exec, s[10:11]
	s_xor_b64 s[4:5], s[4:5], -1
	s_and_saveexec_b64 s[10:11], s[4:5]
	s_cbranch_execz .LBB348_13
; %bb.17:                               ;   in Loop: Header=BB348_14 Depth=1
	global_load_dword v2, v[16:17], off
	s_waitcnt vmcnt(0)
	v_mad_i64_i32 v[2:3], s[4:5], v2, s58, v[12:13]
	v_add_co_u32_e64 v18, s[4:5], v2, v14
	v_addc_co_u32_e64 v19, s[4:5], 0, v3, s[4:5]
	global_load_ushort v22, v[18:19], off
	ds_read_b128 v[6:9], v24
	ds_read_b128 v[2:5], v24 offset:16
	s_load_dword s64, s[12:13], 0x0
	s_waitcnt vmcnt(0)
	v_and_b32_e32 v20, 0xffff, v22
	v_cmp_ne_u16_sdwa s[4:5], v22, v23 src0_sel:BYTE_0 src1_sel:DWORD
	v_mov_b32_e32 v22, 0
	s_and_saveexec_b64 s[46:47], s[4:5]
	s_cbranch_execz .LBB348_23
; %bb.18:                               ;   in Loop: Header=BB348_14 Depth=1
	v_cmp_ne_u16_sdwa s[4:5], v20, s60 src0_sel:BYTE_0 src1_sel:DWORD
	v_bfrev_b32_e32 v22, 1
	s_and_saveexec_b64 s[48:49], s[4:5]
	s_cbranch_execz .LBB348_22
; %bb.19:                               ;   in Loop: Header=BB348_14 Depth=1
	v_and_b32_e32 v35, 0x7f, v20
	v_cmp_ne_u32_e64 s[4:5], s61, v35
	v_mov_b32_e32 v22, 0x7f800001
	s_and_saveexec_b64 s[50:51], s[4:5]
	s_cbranch_execz .LBB348_21
; %bb.20:                               ;   in Loop: Header=BB348_14 Depth=1
	v_and_b32_e32 v22, 7, v20
	v_ffbh_u32_e32 v36, v22
	v_min_u32_e32 v39, 32, v36
	v_subrev_u32_e32 v36, 28, v39
	v_lshlrev_b64 v[36:37], v36, v[20:21]
	v_lshrrev_b32_e32 v38, 3, v35
	v_sub_u32_e32 v37, 29, v39
	v_and_b32_e32 v36, 7, v36
	v_cmp_gt_u32_e64 s[4:5], 8, v35
	v_cndmask_b32_e64 v35, v38, v37, s[4:5]
	v_cndmask_b32_e64 v22, v22, v36, s[4:5]
	v_lshlrev_b32_e32 v36, 24, v20
	v_lshlrev_b32_e32 v22, 20, v22
	v_and_b32_e32 v36, 0x80000000, v36
	v_lshl_add_u32 v35, v35, 23, v32
	v_or3_b32 v22, v36, v35, v22
.LBB348_21:                             ;   in Loop: Header=BB348_14 Depth=1
	s_or_b64 exec, exec, s[50:51]
.LBB348_22:                             ;   in Loop: Header=BB348_14 Depth=1
	s_or_b64 exec, exec, s[48:49]
.LBB348_23:                             ;   in Loop: Header=BB348_14 Depth=1
	s_or_b64 exec, exec, s[46:47]
	s_waitcnt lgkmcnt(0)
	v_mul_f32_e32 v22, s64, v22
	v_and_b32_e32 v35, 0x7f800000, v22
	v_cmp_ne_u32_e64 s[4:5], s62, v35
                                        ; implicit-def: $vgpr35
	s_and_saveexec_b64 s[46:47], s[4:5]
	s_xor_b64 s[4:5], exec, s[46:47]
; %bb.24:                               ;   in Loop: Header=BB348_14 Depth=1
	v_bfe_u32 v35, v22, 16, 1
	v_add3_u32 v35, v22, v35, s63
                                        ; implicit-def: $vgpr22
; %bb.25:                               ;   in Loop: Header=BB348_14 Depth=1
	s_andn2_saveexec_b64 s[46:47], s[4:5]
; %bb.26:                               ;   in Loop: Header=BB348_14 Depth=1
	v_or_b32_e32 v35, 0x10000, v22
	v_cmp_eq_u32_sdwa s[4:5], v22, v23 src0_sel:WORD_0 src1_sel:DWORD
	v_cndmask_b32_e64 v35, v35, v22, s[4:5]
; %bb.27:                               ;   in Loop: Header=BB348_14 Depth=1
	s_or_b64 exec, exec, s[46:47]
	v_lshrrev_b16_e32 v22, 8, v20
	v_cmp_ne_u16_e64 s[4:5], 0, v22
	v_mov_b32_e32 v36, 0
	s_and_saveexec_b64 s[46:47], s[4:5]
	s_cbranch_execz .LBB348_33
; %bb.28:                               ;   in Loop: Header=BB348_14 Depth=1
	v_cmp_ne_u16_e64 s[4:5], s60, v22
	v_bfrev_b32_e32 v36, 1
	s_and_saveexec_b64 s[48:49], s[4:5]
	s_cbranch_execz .LBB348_32
; %bb.29:                               ;   in Loop: Header=BB348_14 Depth=1
	v_and_b32_e32 v37, 0x7f, v22
	v_cmp_ne_u32_e64 s[4:5], s61, v37
	v_mov_b32_e32 v36, 0x7f800001
	s_and_saveexec_b64 s[50:51], s[4:5]
	s_cbranch_execz .LBB348_31
; %bb.30:                               ;   in Loop: Header=BB348_14 Depth=1
	v_and_b32_e32 v36, 7, v22
	v_ffbh_u32_e32 v38, v36
	v_min_u32_e32 v41, 32, v38
	v_subrev_u32_e32 v38, 28, v41
	v_lshlrev_b64 v[38:39], v38, v[22:23]
	v_lshrrev_b32_e32 v40, 3, v37
	v_sub_u32_e32 v22, 29, v41
	v_and_b32_e32 v38, 7, v38
	v_cmp_gt_u32_e64 s[4:5], 8, v37
	v_cndmask_b32_e64 v22, v40, v22, s[4:5]
	v_cndmask_b32_e64 v36, v36, v38, s[4:5]
	v_lshlrev_b32_e32 v20, 16, v20
	v_lshlrev_b32_e32 v36, 20, v36
	v_and_b32_e32 v20, 0x80000000, v20
	v_lshl_add_u32 v22, v22, 23, v32
	v_or3_b32 v36, v20, v22, v36
.LBB348_31:                             ;   in Loop: Header=BB348_14 Depth=1
	s_or_b64 exec, exec, s[50:51]
.LBB348_32:                             ;   in Loop: Header=BB348_14 Depth=1
	s_or_b64 exec, exec, s[48:49]
.LBB348_33:                             ;   in Loop: Header=BB348_14 Depth=1
	s_or_b64 exec, exec, s[46:47]
	v_mul_f32_e32 v20, s64, v36
	v_and_b32_e32 v22, 0x7f800000, v20
	v_cmp_ne_u32_e64 s[4:5], s62, v22
                                        ; implicit-def: $vgpr36
	s_and_saveexec_b64 s[46:47], s[4:5]
	s_xor_b64 s[4:5], exec, s[46:47]
; %bb.34:                               ;   in Loop: Header=BB348_14 Depth=1
	v_bfe_u32 v22, v20, 16, 1
	v_add3_u32 v36, v20, v22, s63
                                        ; implicit-def: $vgpr20
; %bb.35:                               ;   in Loop: Header=BB348_14 Depth=1
	s_andn2_saveexec_b64 s[46:47], s[4:5]
; %bb.36:                               ;   in Loop: Header=BB348_14 Depth=1
	v_or_b32_e32 v22, 0x10000, v20
	v_cmp_eq_u32_sdwa s[4:5], v20, v23 src0_sel:WORD_0 src1_sel:DWORD
	v_cndmask_b32_e64 v36, v22, v20, s[4:5]
; %bb.37:                               ;   in Loop: Header=BB348_14 Depth=1
	s_or_b64 exec, exec, s[46:47]
	global_load_ushort v22, v[18:19], off offset:8
	s_waitcnt vmcnt(0)
	v_and_b32_e32 v20, 0xffff, v22
	v_cmp_ne_u16_sdwa s[4:5], v22, v23 src0_sel:BYTE_0 src1_sel:DWORD
	v_mov_b32_e32 v22, 0
	s_and_saveexec_b64 s[46:47], s[4:5]
	s_cbranch_execz .LBB348_43
; %bb.38:                               ;   in Loop: Header=BB348_14 Depth=1
	v_cmp_ne_u16_sdwa s[4:5], v20, s60 src0_sel:BYTE_0 src1_sel:DWORD
	v_bfrev_b32_e32 v22, 1
	s_and_saveexec_b64 s[48:49], s[4:5]
	s_cbranch_execz .LBB348_42
; %bb.39:                               ;   in Loop: Header=BB348_14 Depth=1
	v_and_b32_e32 v37, 0x7f, v20
	v_cmp_ne_u32_e64 s[4:5], s61, v37
	v_mov_b32_e32 v22, 0x7f800001
	s_and_saveexec_b64 s[50:51], s[4:5]
	s_cbranch_execz .LBB348_41
; %bb.40:                               ;   in Loop: Header=BB348_14 Depth=1
	v_and_b32_e32 v22, 7, v20
	v_ffbh_u32_e32 v38, v22
	v_min_u32_e32 v41, 32, v38
	v_subrev_u32_e32 v38, 28, v41
	v_lshlrev_b64 v[38:39], v38, v[20:21]
	v_lshrrev_b32_e32 v40, 3, v37
	v_sub_u32_e32 v39, 29, v41
	v_and_b32_e32 v38, 7, v38
	v_cmp_gt_u32_e64 s[4:5], 8, v37
	v_cndmask_b32_e64 v37, v40, v39, s[4:5]
	v_cndmask_b32_e64 v22, v22, v38, s[4:5]
	v_lshlrev_b32_e32 v38, 24, v20
	v_lshlrev_b32_e32 v22, 20, v22
	v_and_b32_e32 v38, 0x80000000, v38
	v_lshl_add_u32 v37, v37, 23, v32
	v_or3_b32 v22, v38, v37, v22
.LBB348_41:                             ;   in Loop: Header=BB348_14 Depth=1
	s_or_b64 exec, exec, s[50:51]
.LBB348_42:                             ;   in Loop: Header=BB348_14 Depth=1
	s_or_b64 exec, exec, s[48:49]
.LBB348_43:                             ;   in Loop: Header=BB348_14 Depth=1
	s_or_b64 exec, exec, s[46:47]
	v_mul_f32_e32 v22, s64, v22
	v_and_b32_e32 v37, 0x7f800000, v22
	v_cmp_ne_u32_e64 s[4:5], s62, v37
                                        ; implicit-def: $vgpr37
	s_and_saveexec_b64 s[46:47], s[4:5]
	s_xor_b64 s[4:5], exec, s[46:47]
; %bb.44:                               ;   in Loop: Header=BB348_14 Depth=1
	v_bfe_u32 v37, v22, 16, 1
	v_add3_u32 v37, v22, v37, s63
                                        ; implicit-def: $vgpr22
; %bb.45:                               ;   in Loop: Header=BB348_14 Depth=1
	s_andn2_saveexec_b64 s[46:47], s[4:5]
; %bb.46:                               ;   in Loop: Header=BB348_14 Depth=1
	v_or_b32_e32 v37, 0x10000, v22
	v_cmp_eq_u32_sdwa s[4:5], v22, v23 src0_sel:WORD_0 src1_sel:DWORD
	v_cndmask_b32_e64 v37, v37, v22, s[4:5]
; %bb.47:                               ;   in Loop: Header=BB348_14 Depth=1
	s_or_b64 exec, exec, s[46:47]
	v_lshrrev_b16_e32 v22, 8, v20
	v_cmp_ne_u16_e64 s[4:5], 0, v22
	v_mov_b32_e32 v38, 0
	s_and_saveexec_b64 s[46:47], s[4:5]
	s_cbranch_execz .LBB348_53
; %bb.48:                               ;   in Loop: Header=BB348_14 Depth=1
	v_cmp_ne_u16_e64 s[4:5], s60, v22
	v_bfrev_b32_e32 v38, 1
	s_and_saveexec_b64 s[48:49], s[4:5]
	s_cbranch_execz .LBB348_52
; %bb.49:                               ;   in Loop: Header=BB348_14 Depth=1
	v_and_b32_e32 v39, 0x7f, v22
	v_cmp_ne_u32_e64 s[4:5], s61, v39
	v_mov_b32_e32 v38, 0x7f800001
	s_and_saveexec_b64 s[50:51], s[4:5]
	s_cbranch_execz .LBB348_51
; %bb.50:                               ;   in Loop: Header=BB348_14 Depth=1
	v_and_b32_e32 v38, 7, v22
	v_ffbh_u32_e32 v40, v38
	v_min_u32_e32 v43, 32, v40
	v_subrev_u32_e32 v40, 28, v43
	v_lshlrev_b64 v[40:41], v40, v[22:23]
	v_lshrrev_b32_e32 v42, 3, v39
	v_sub_u32_e32 v22, 29, v43
	v_and_b32_e32 v40, 7, v40
	v_cmp_gt_u32_e64 s[4:5], 8, v39
	v_cndmask_b32_e64 v22, v42, v22, s[4:5]
	v_cndmask_b32_e64 v38, v38, v40, s[4:5]
	v_lshlrev_b32_e32 v20, 16, v20
	v_lshlrev_b32_e32 v38, 20, v38
	v_and_b32_e32 v20, 0x80000000, v20
	v_lshl_add_u32 v22, v22, 23, v32
	v_or3_b32 v38, v20, v22, v38
.LBB348_51:                             ;   in Loop: Header=BB348_14 Depth=1
	s_or_b64 exec, exec, s[50:51]
.LBB348_52:                             ;   in Loop: Header=BB348_14 Depth=1
	s_or_b64 exec, exec, s[48:49]
.LBB348_53:                             ;   in Loop: Header=BB348_14 Depth=1
	s_or_b64 exec, exec, s[46:47]
	v_mul_f32_e32 v20, s64, v38
	v_and_b32_e32 v22, 0x7f800000, v20
	v_cmp_ne_u32_e64 s[4:5], s62, v22
                                        ; implicit-def: $vgpr38
	s_and_saveexec_b64 s[46:47], s[4:5]
	s_xor_b64 s[4:5], exec, s[46:47]
; %bb.54:                               ;   in Loop: Header=BB348_14 Depth=1
	v_bfe_u32 v22, v20, 16, 1
	v_add3_u32 v38, v20, v22, s63
                                        ; implicit-def: $vgpr20
; %bb.55:                               ;   in Loop: Header=BB348_14 Depth=1
	s_andn2_saveexec_b64 s[46:47], s[4:5]
; %bb.56:                               ;   in Loop: Header=BB348_14 Depth=1
	v_or_b32_e32 v22, 0x10000, v20
	v_cmp_eq_u32_sdwa s[4:5], v20, v23 src0_sel:WORD_0 src1_sel:DWORD
	v_cndmask_b32_e64 v38, v22, v20, s[4:5]
; %bb.57:                               ;   in Loop: Header=BB348_14 Depth=1
	s_or_b64 exec, exec, s[46:47]
	global_load_ushort v22, v[18:19], off offset:256
	s_waitcnt vmcnt(0)
	v_and_b32_e32 v20, 0xffff, v22
	v_cmp_ne_u16_sdwa s[4:5], v22, v23 src0_sel:BYTE_0 src1_sel:DWORD
	v_mov_b32_e32 v22, 0
	s_and_saveexec_b64 s[46:47], s[4:5]
	s_cbranch_execz .LBB348_63
; %bb.58:                               ;   in Loop: Header=BB348_14 Depth=1
	v_cmp_ne_u16_sdwa s[4:5], v20, s60 src0_sel:BYTE_0 src1_sel:DWORD
	v_bfrev_b32_e32 v22, 1
	s_and_saveexec_b64 s[48:49], s[4:5]
	s_cbranch_execz .LBB348_62
; %bb.59:                               ;   in Loop: Header=BB348_14 Depth=1
	v_and_b32_e32 v39, 0x7f, v20
	v_cmp_ne_u32_e64 s[4:5], s61, v39
	v_mov_b32_e32 v22, 0x7f800001
	s_and_saveexec_b64 s[50:51], s[4:5]
	s_cbranch_execz .LBB348_61
; %bb.60:                               ;   in Loop: Header=BB348_14 Depth=1
	v_and_b32_e32 v22, 7, v20
	v_ffbh_u32_e32 v40, v22
	v_min_u32_e32 v43, 32, v40
	v_subrev_u32_e32 v40, 28, v43
	v_lshlrev_b64 v[40:41], v40, v[20:21]
	v_lshrrev_b32_e32 v42, 3, v39
	v_sub_u32_e32 v41, 29, v43
	v_and_b32_e32 v40, 7, v40
	v_cmp_gt_u32_e64 s[4:5], 8, v39
	v_cndmask_b32_e64 v39, v42, v41, s[4:5]
	v_cndmask_b32_e64 v22, v22, v40, s[4:5]
	v_lshlrev_b32_e32 v40, 24, v20
	v_lshlrev_b32_e32 v22, 20, v22
	v_and_b32_e32 v40, 0x80000000, v40
	v_lshl_add_u32 v39, v39, 23, v32
	v_or3_b32 v22, v40, v39, v22
.LBB348_61:                             ;   in Loop: Header=BB348_14 Depth=1
	s_or_b64 exec, exec, s[50:51]
.LBB348_62:                             ;   in Loop: Header=BB348_14 Depth=1
	s_or_b64 exec, exec, s[48:49]
.LBB348_63:                             ;   in Loop: Header=BB348_14 Depth=1
	s_or_b64 exec, exec, s[46:47]
	v_mul_f32_e32 v22, s64, v22
	v_and_b32_e32 v39, 0x7f800000, v22
	v_cmp_ne_u32_e64 s[4:5], s62, v39
                                        ; implicit-def: $vgpr39
	s_and_saveexec_b64 s[46:47], s[4:5]
	s_xor_b64 s[4:5], exec, s[46:47]
; %bb.64:                               ;   in Loop: Header=BB348_14 Depth=1
	v_bfe_u32 v39, v22, 16, 1
	v_add3_u32 v39, v22, v39, s63
                                        ; implicit-def: $vgpr22
; %bb.65:                               ;   in Loop: Header=BB348_14 Depth=1
	s_andn2_saveexec_b64 s[46:47], s[4:5]
; %bb.66:                               ;   in Loop: Header=BB348_14 Depth=1
	v_or_b32_e32 v39, 0x10000, v22
	v_cmp_eq_u32_sdwa s[4:5], v22, v23 src0_sel:WORD_0 src1_sel:DWORD
	v_cndmask_b32_e64 v39, v39, v22, s[4:5]
; %bb.67:                               ;   in Loop: Header=BB348_14 Depth=1
	s_or_b64 exec, exec, s[46:47]
	v_lshrrev_b16_e32 v22, 8, v20
	v_cmp_ne_u16_e64 s[4:5], 0, v22
	v_mov_b32_e32 v40, 0
	s_and_saveexec_b64 s[46:47], s[4:5]
	s_cbranch_execz .LBB348_73
; %bb.68:                               ;   in Loop: Header=BB348_14 Depth=1
	v_cmp_ne_u16_e64 s[4:5], s60, v22
	v_bfrev_b32_e32 v40, 1
	s_and_saveexec_b64 s[48:49], s[4:5]
	s_cbranch_execz .LBB348_72
; %bb.69:                               ;   in Loop: Header=BB348_14 Depth=1
	v_and_b32_e32 v41, 0x7f, v22
	v_cmp_ne_u32_e64 s[4:5], s61, v41
	v_mov_b32_e32 v40, 0x7f800001
	s_and_saveexec_b64 s[50:51], s[4:5]
	s_cbranch_execz .LBB348_71
; %bb.70:                               ;   in Loop: Header=BB348_14 Depth=1
	v_and_b32_e32 v40, 7, v22
	v_ffbh_u32_e32 v42, v40
	v_min_u32_e32 v45, 32, v42
	v_subrev_u32_e32 v42, 28, v45
	v_lshlrev_b64 v[42:43], v42, v[22:23]
	v_lshrrev_b32_e32 v44, 3, v41
	v_sub_u32_e32 v22, 29, v45
	v_and_b32_e32 v42, 7, v42
	v_cmp_gt_u32_e64 s[4:5], 8, v41
	v_cndmask_b32_e64 v22, v44, v22, s[4:5]
	v_cndmask_b32_e64 v40, v40, v42, s[4:5]
	v_lshlrev_b32_e32 v20, 16, v20
	v_lshlrev_b32_e32 v40, 20, v40
	v_and_b32_e32 v20, 0x80000000, v20
	v_lshl_add_u32 v22, v22, 23, v32
	v_or3_b32 v40, v20, v22, v40
.LBB348_71:                             ;   in Loop: Header=BB348_14 Depth=1
	s_or_b64 exec, exec, s[50:51]
.LBB348_72:                             ;   in Loop: Header=BB348_14 Depth=1
	s_or_b64 exec, exec, s[48:49]
.LBB348_73:                             ;   in Loop: Header=BB348_14 Depth=1
	s_or_b64 exec, exec, s[46:47]
	v_mul_f32_e32 v20, s64, v40
	v_and_b32_e32 v22, 0x7f800000, v20
	v_cmp_ne_u32_e64 s[4:5], s62, v22
                                        ; implicit-def: $vgpr40
	s_and_saveexec_b64 s[46:47], s[4:5]
	s_xor_b64 s[4:5], exec, s[46:47]
; %bb.74:                               ;   in Loop: Header=BB348_14 Depth=1
	v_bfe_u32 v22, v20, 16, 1
	v_add3_u32 v40, v20, v22, s63
                                        ; implicit-def: $vgpr20
; %bb.75:                               ;   in Loop: Header=BB348_14 Depth=1
	s_andn2_saveexec_b64 s[46:47], s[4:5]
; %bb.76:                               ;   in Loop: Header=BB348_14 Depth=1
	v_or_b32_e32 v22, 0x10000, v20
	v_cmp_eq_u32_sdwa s[4:5], v20, v23 src0_sel:WORD_0 src1_sel:DWORD
	v_cndmask_b32_e64 v40, v22, v20, s[4:5]
; %bb.77:                               ;   in Loop: Header=BB348_14 Depth=1
	s_or_b64 exec, exec, s[46:47]
	global_load_ushort v22, v[18:19], off offset:264
	s_waitcnt vmcnt(0)
	v_and_b32_e32 v20, 0xffff, v22
	v_cmp_ne_u16_sdwa s[4:5], v22, v23 src0_sel:BYTE_0 src1_sel:DWORD
	v_mov_b32_e32 v22, 0
	s_and_saveexec_b64 s[46:47], s[4:5]
	s_cbranch_execz .LBB348_83
; %bb.78:                               ;   in Loop: Header=BB348_14 Depth=1
	v_cmp_ne_u16_sdwa s[4:5], v20, s60 src0_sel:BYTE_0 src1_sel:DWORD
	v_bfrev_b32_e32 v22, 1
	s_and_saveexec_b64 s[48:49], s[4:5]
	s_cbranch_execz .LBB348_82
; %bb.79:                               ;   in Loop: Header=BB348_14 Depth=1
	v_and_b32_e32 v41, 0x7f, v20
	v_cmp_ne_u32_e64 s[4:5], s61, v41
	v_mov_b32_e32 v22, 0x7f800001
	s_and_saveexec_b64 s[50:51], s[4:5]
	s_cbranch_execz .LBB348_81
; %bb.80:                               ;   in Loop: Header=BB348_14 Depth=1
	v_and_b32_e32 v22, 7, v20
	v_ffbh_u32_e32 v42, v22
	v_min_u32_e32 v45, 32, v42
	v_subrev_u32_e32 v42, 28, v45
	v_lshlrev_b64 v[42:43], v42, v[20:21]
	v_lshrrev_b32_e32 v44, 3, v41
	v_sub_u32_e32 v43, 29, v45
	v_and_b32_e32 v42, 7, v42
	v_cmp_gt_u32_e64 s[4:5], 8, v41
	v_cndmask_b32_e64 v41, v44, v43, s[4:5]
	v_cndmask_b32_e64 v22, v22, v42, s[4:5]
	v_lshlrev_b32_e32 v42, 24, v20
	v_lshlrev_b32_e32 v22, 20, v22
	v_and_b32_e32 v42, 0x80000000, v42
	v_lshl_add_u32 v41, v41, 23, v32
	v_or3_b32 v22, v42, v41, v22
.LBB348_81:                             ;   in Loop: Header=BB348_14 Depth=1
	s_or_b64 exec, exec, s[50:51]
.LBB348_82:                             ;   in Loop: Header=BB348_14 Depth=1
	s_or_b64 exec, exec, s[48:49]
.LBB348_83:                             ;   in Loop: Header=BB348_14 Depth=1
	s_or_b64 exec, exec, s[46:47]
	v_mul_f32_e32 v22, s64, v22
	v_and_b32_e32 v41, 0x7f800000, v22
	v_cmp_ne_u32_e64 s[4:5], s62, v41
                                        ; implicit-def: $vgpr41
	s_and_saveexec_b64 s[46:47], s[4:5]
	s_xor_b64 s[4:5], exec, s[46:47]
; %bb.84:                               ;   in Loop: Header=BB348_14 Depth=1
	v_bfe_u32 v41, v22, 16, 1
	v_add3_u32 v41, v22, v41, s63
                                        ; implicit-def: $vgpr22
; %bb.85:                               ;   in Loop: Header=BB348_14 Depth=1
	s_andn2_saveexec_b64 s[46:47], s[4:5]
; %bb.86:                               ;   in Loop: Header=BB348_14 Depth=1
	v_or_b32_e32 v41, 0x10000, v22
	v_cmp_eq_u32_sdwa s[4:5], v22, v23 src0_sel:WORD_0 src1_sel:DWORD
	v_cndmask_b32_e64 v41, v41, v22, s[4:5]
; %bb.87:                               ;   in Loop: Header=BB348_14 Depth=1
	s_or_b64 exec, exec, s[46:47]
	v_lshrrev_b16_e32 v22, 8, v20
	v_cmp_ne_u16_e64 s[4:5], 0, v22
	v_mov_b32_e32 v42, 0
	s_and_saveexec_b64 s[46:47], s[4:5]
	s_cbranch_execz .LBB348_93
; %bb.88:                               ;   in Loop: Header=BB348_14 Depth=1
	v_cmp_ne_u16_e64 s[4:5], s60, v22
	v_bfrev_b32_e32 v42, 1
	s_and_saveexec_b64 s[48:49], s[4:5]
	s_cbranch_execz .LBB348_92
; %bb.89:                               ;   in Loop: Header=BB348_14 Depth=1
	v_and_b32_e32 v43, 0x7f, v22
	v_cmp_ne_u32_e64 s[4:5], s61, v43
	v_mov_b32_e32 v42, 0x7f800001
	s_and_saveexec_b64 s[50:51], s[4:5]
	s_cbranch_execz .LBB348_91
; %bb.90:                               ;   in Loop: Header=BB348_14 Depth=1
	v_and_b32_e32 v42, 7, v22
	v_ffbh_u32_e32 v44, v42
	v_min_u32_e32 v47, 32, v44
	v_subrev_u32_e32 v44, 28, v47
	v_lshlrev_b64 v[44:45], v44, v[22:23]
	v_lshrrev_b32_e32 v46, 3, v43
	v_sub_u32_e32 v22, 29, v47
	v_and_b32_e32 v44, 7, v44
	v_cmp_gt_u32_e64 s[4:5], 8, v43
	v_cndmask_b32_e64 v22, v46, v22, s[4:5]
	v_cndmask_b32_e64 v42, v42, v44, s[4:5]
	v_lshlrev_b32_e32 v20, 16, v20
	v_lshlrev_b32_e32 v42, 20, v42
	v_and_b32_e32 v20, 0x80000000, v20
	v_lshl_add_u32 v22, v22, 23, v32
	v_or3_b32 v42, v20, v22, v42
.LBB348_91:                             ;   in Loop: Header=BB348_14 Depth=1
	s_or_b64 exec, exec, s[50:51]
.LBB348_92:                             ;   in Loop: Header=BB348_14 Depth=1
	s_or_b64 exec, exec, s[48:49]
.LBB348_93:                             ;   in Loop: Header=BB348_14 Depth=1
	s_or_b64 exec, exec, s[46:47]
	v_mul_f32_e32 v20, s64, v42
	v_and_b32_e32 v22, 0x7f800000, v20
	v_cmp_ne_u32_e64 s[4:5], s62, v22
                                        ; implicit-def: $vgpr42
	s_and_saveexec_b64 s[46:47], s[4:5]
	s_xor_b64 s[4:5], exec, s[46:47]
; %bb.94:                               ;   in Loop: Header=BB348_14 Depth=1
	v_bfe_u32 v22, v20, 16, 1
	v_add3_u32 v42, v20, v22, s63
                                        ; implicit-def: $vgpr20
; %bb.95:                               ;   in Loop: Header=BB348_14 Depth=1
	s_andn2_saveexec_b64 s[46:47], s[4:5]
; %bb.96:                               ;   in Loop: Header=BB348_14 Depth=1
	v_or_b32_e32 v22, 0x10000, v20
	v_cmp_eq_u32_sdwa s[4:5], v20, v23 src0_sel:WORD_0 src1_sel:DWORD
	v_cndmask_b32_e64 v42, v22, v20, s[4:5]
; %bb.97:                               ;   in Loop: Header=BB348_14 Depth=1
	s_or_b64 exec, exec, s[46:47]
	global_load_ushort v22, v[18:19], off offset:512
	s_waitcnt vmcnt(0)
	v_and_b32_e32 v20, 0xffff, v22
	v_cmp_ne_u16_sdwa s[4:5], v22, v23 src0_sel:BYTE_0 src1_sel:DWORD
	v_mov_b32_e32 v22, 0
	s_and_saveexec_b64 s[46:47], s[4:5]
	s_cbranch_execz .LBB348_103
; %bb.98:                               ;   in Loop: Header=BB348_14 Depth=1
	v_cmp_ne_u16_sdwa s[4:5], v20, s60 src0_sel:BYTE_0 src1_sel:DWORD
	v_bfrev_b32_e32 v22, 1
	s_and_saveexec_b64 s[48:49], s[4:5]
	s_cbranch_execz .LBB348_102
; %bb.99:                               ;   in Loop: Header=BB348_14 Depth=1
	v_and_b32_e32 v43, 0x7f, v20
	v_cmp_ne_u32_e64 s[4:5], s61, v43
	v_mov_b32_e32 v22, 0x7f800001
	s_and_saveexec_b64 s[50:51], s[4:5]
	s_cbranch_execz .LBB348_101
; %bb.100:                              ;   in Loop: Header=BB348_14 Depth=1
	v_and_b32_e32 v22, 7, v20
	v_ffbh_u32_e32 v44, v22
	v_min_u32_e32 v47, 32, v44
	v_subrev_u32_e32 v44, 28, v47
	v_lshlrev_b64 v[44:45], v44, v[20:21]
	v_lshrrev_b32_e32 v46, 3, v43
	v_sub_u32_e32 v45, 29, v47
	v_and_b32_e32 v44, 7, v44
	v_cmp_gt_u32_e64 s[4:5], 8, v43
	v_cndmask_b32_e64 v43, v46, v45, s[4:5]
	v_cndmask_b32_e64 v22, v22, v44, s[4:5]
	v_lshlrev_b32_e32 v44, 24, v20
	v_lshlrev_b32_e32 v22, 20, v22
	v_and_b32_e32 v44, 0x80000000, v44
	v_lshl_add_u32 v43, v43, 23, v32
	v_or3_b32 v22, v44, v43, v22
.LBB348_101:                            ;   in Loop: Header=BB348_14 Depth=1
	s_or_b64 exec, exec, s[50:51]
.LBB348_102:                            ;   in Loop: Header=BB348_14 Depth=1
	s_or_b64 exec, exec, s[48:49]
.LBB348_103:                            ;   in Loop: Header=BB348_14 Depth=1
	s_or_b64 exec, exec, s[46:47]
	v_mul_f32_e32 v22, s64, v22
	v_and_b32_e32 v43, 0x7f800000, v22
	v_cmp_ne_u32_e64 s[4:5], s62, v43
                                        ; implicit-def: $vgpr43
	s_and_saveexec_b64 s[46:47], s[4:5]
	s_xor_b64 s[4:5], exec, s[46:47]
; %bb.104:                              ;   in Loop: Header=BB348_14 Depth=1
	v_bfe_u32 v43, v22, 16, 1
	v_add3_u32 v43, v22, v43, s63
                                        ; implicit-def: $vgpr22
; %bb.105:                              ;   in Loop: Header=BB348_14 Depth=1
	s_andn2_saveexec_b64 s[46:47], s[4:5]
; %bb.106:                              ;   in Loop: Header=BB348_14 Depth=1
	v_or_b32_e32 v43, 0x10000, v22
	v_cmp_eq_u32_sdwa s[4:5], v22, v23 src0_sel:WORD_0 src1_sel:DWORD
	v_cndmask_b32_e64 v43, v43, v22, s[4:5]
; %bb.107:                              ;   in Loop: Header=BB348_14 Depth=1
	s_or_b64 exec, exec, s[46:47]
	v_lshrrev_b16_e32 v22, 8, v20
	v_cmp_ne_u16_e64 s[4:5], 0, v22
	v_mov_b32_e32 v44, 0
	s_and_saveexec_b64 s[46:47], s[4:5]
	s_cbranch_execz .LBB348_113
; %bb.108:                              ;   in Loop: Header=BB348_14 Depth=1
	v_cmp_ne_u16_e64 s[4:5], s60, v22
	v_bfrev_b32_e32 v44, 1
	s_and_saveexec_b64 s[48:49], s[4:5]
	s_cbranch_execz .LBB348_112
; %bb.109:                              ;   in Loop: Header=BB348_14 Depth=1
	v_and_b32_e32 v45, 0x7f, v22
	v_cmp_ne_u32_e64 s[4:5], s61, v45
	v_mov_b32_e32 v44, 0x7f800001
	s_and_saveexec_b64 s[50:51], s[4:5]
	s_cbranch_execz .LBB348_111
; %bb.110:                              ;   in Loop: Header=BB348_14 Depth=1
	v_and_b32_e32 v44, 7, v22
	v_ffbh_u32_e32 v46, v44
	v_min_u32_e32 v49, 32, v46
	v_subrev_u32_e32 v46, 28, v49
	v_lshlrev_b64 v[46:47], v46, v[22:23]
	v_lshrrev_b32_e32 v48, 3, v45
	v_sub_u32_e32 v22, 29, v49
	v_and_b32_e32 v46, 7, v46
	v_cmp_gt_u32_e64 s[4:5], 8, v45
	v_cndmask_b32_e64 v22, v48, v22, s[4:5]
	v_cndmask_b32_e64 v44, v44, v46, s[4:5]
	v_lshlrev_b32_e32 v20, 16, v20
	v_lshlrev_b32_e32 v44, 20, v44
	v_and_b32_e32 v20, 0x80000000, v20
	v_lshl_add_u32 v22, v22, 23, v32
	v_or3_b32 v44, v20, v22, v44
.LBB348_111:                            ;   in Loop: Header=BB348_14 Depth=1
	s_or_b64 exec, exec, s[50:51]
.LBB348_112:                            ;   in Loop: Header=BB348_14 Depth=1
	s_or_b64 exec, exec, s[48:49]
.LBB348_113:                            ;   in Loop: Header=BB348_14 Depth=1
	s_or_b64 exec, exec, s[46:47]
	v_mul_f32_e32 v20, s64, v44
	v_and_b32_e32 v22, 0x7f800000, v20
	v_cmp_ne_u32_e64 s[4:5], s62, v22
                                        ; implicit-def: $vgpr44
	s_and_saveexec_b64 s[46:47], s[4:5]
	s_xor_b64 s[4:5], exec, s[46:47]
; %bb.114:                              ;   in Loop: Header=BB348_14 Depth=1
	v_bfe_u32 v22, v20, 16, 1
	v_add3_u32 v44, v20, v22, s63
                                        ; implicit-def: $vgpr20
; %bb.115:                              ;   in Loop: Header=BB348_14 Depth=1
	s_andn2_saveexec_b64 s[46:47], s[4:5]
; %bb.116:                              ;   in Loop: Header=BB348_14 Depth=1
	v_or_b32_e32 v22, 0x10000, v20
	v_cmp_eq_u32_sdwa s[4:5], v20, v23 src0_sel:WORD_0 src1_sel:DWORD
	v_cndmask_b32_e64 v44, v22, v20, s[4:5]
; %bb.117:                              ;   in Loop: Header=BB348_14 Depth=1
	s_or_b64 exec, exec, s[46:47]
	global_load_ushort v22, v[18:19], off offset:520
	s_waitcnt vmcnt(0)
	v_and_b32_e32 v20, 0xffff, v22
	v_cmp_ne_u16_sdwa s[4:5], v22, v23 src0_sel:BYTE_0 src1_sel:DWORD
	v_mov_b32_e32 v22, 0
	s_and_saveexec_b64 s[46:47], s[4:5]
	s_cbranch_execz .LBB348_123
; %bb.118:                              ;   in Loop: Header=BB348_14 Depth=1
	v_cmp_ne_u16_sdwa s[4:5], v20, s60 src0_sel:BYTE_0 src1_sel:DWORD
	v_bfrev_b32_e32 v22, 1
	s_and_saveexec_b64 s[48:49], s[4:5]
	s_cbranch_execz .LBB348_122
; %bb.119:                              ;   in Loop: Header=BB348_14 Depth=1
	v_and_b32_e32 v45, 0x7f, v20
	v_cmp_ne_u32_e64 s[4:5], s61, v45
	v_mov_b32_e32 v22, 0x7f800001
	s_and_saveexec_b64 s[50:51], s[4:5]
	s_cbranch_execz .LBB348_121
; %bb.120:                              ;   in Loop: Header=BB348_14 Depth=1
	v_and_b32_e32 v22, 7, v20
	v_ffbh_u32_e32 v46, v22
	v_min_u32_e32 v49, 32, v46
	v_subrev_u32_e32 v46, 28, v49
	v_lshlrev_b64 v[46:47], v46, v[20:21]
	v_lshrrev_b32_e32 v48, 3, v45
	v_sub_u32_e32 v47, 29, v49
	v_and_b32_e32 v46, 7, v46
	v_cmp_gt_u32_e64 s[4:5], 8, v45
	v_cndmask_b32_e64 v45, v48, v47, s[4:5]
	v_cndmask_b32_e64 v22, v22, v46, s[4:5]
	v_lshlrev_b32_e32 v46, 24, v20
	v_lshlrev_b32_e32 v22, 20, v22
	v_and_b32_e32 v46, 0x80000000, v46
	v_lshl_add_u32 v45, v45, 23, v32
	v_or3_b32 v22, v46, v45, v22
.LBB348_121:                            ;   in Loop: Header=BB348_14 Depth=1
	s_or_b64 exec, exec, s[50:51]
.LBB348_122:                            ;   in Loop: Header=BB348_14 Depth=1
	s_or_b64 exec, exec, s[48:49]
.LBB348_123:                            ;   in Loop: Header=BB348_14 Depth=1
	s_or_b64 exec, exec, s[46:47]
	v_mul_f32_e32 v22, s64, v22
	v_and_b32_e32 v45, 0x7f800000, v22
	v_cmp_ne_u32_e64 s[4:5], s62, v45
                                        ; implicit-def: $vgpr45
	s_and_saveexec_b64 s[46:47], s[4:5]
	s_xor_b64 s[4:5], exec, s[46:47]
; %bb.124:                              ;   in Loop: Header=BB348_14 Depth=1
	v_bfe_u32 v45, v22, 16, 1
	v_add3_u32 v45, v22, v45, s63
                                        ; implicit-def: $vgpr22
; %bb.125:                              ;   in Loop: Header=BB348_14 Depth=1
	s_andn2_saveexec_b64 s[46:47], s[4:5]
; %bb.126:                              ;   in Loop: Header=BB348_14 Depth=1
	v_or_b32_e32 v45, 0x10000, v22
	v_cmp_eq_u32_sdwa s[4:5], v22, v23 src0_sel:WORD_0 src1_sel:DWORD
	v_cndmask_b32_e64 v45, v45, v22, s[4:5]
; %bb.127:                              ;   in Loop: Header=BB348_14 Depth=1
	s_or_b64 exec, exec, s[46:47]
	v_lshrrev_b16_e32 v22, 8, v20
	v_cmp_ne_u16_e64 s[4:5], 0, v22
	v_mov_b32_e32 v46, 0
	s_and_saveexec_b64 s[46:47], s[4:5]
	s_cbranch_execz .LBB348_133
; %bb.128:                              ;   in Loop: Header=BB348_14 Depth=1
	v_cmp_ne_u16_e64 s[4:5], s60, v22
	v_bfrev_b32_e32 v46, 1
	s_and_saveexec_b64 s[48:49], s[4:5]
	s_cbranch_execz .LBB348_132
; %bb.129:                              ;   in Loop: Header=BB348_14 Depth=1
	v_and_b32_e32 v47, 0x7f, v22
	v_cmp_ne_u32_e64 s[4:5], s61, v47
	v_mov_b32_e32 v46, 0x7f800001
	s_and_saveexec_b64 s[50:51], s[4:5]
	s_cbranch_execz .LBB348_131
; %bb.130:                              ;   in Loop: Header=BB348_14 Depth=1
	v_and_b32_e32 v46, 7, v22
	v_ffbh_u32_e32 v48, v46
	v_min_u32_e32 v51, 32, v48
	v_subrev_u32_e32 v48, 28, v51
	v_lshlrev_b64 v[48:49], v48, v[22:23]
	v_lshrrev_b32_e32 v50, 3, v47
	v_sub_u32_e32 v22, 29, v51
	v_and_b32_e32 v48, 7, v48
	v_cmp_gt_u32_e64 s[4:5], 8, v47
	v_cndmask_b32_e64 v22, v50, v22, s[4:5]
	v_cndmask_b32_e64 v46, v46, v48, s[4:5]
	v_lshlrev_b32_e32 v20, 16, v20
	v_lshlrev_b32_e32 v46, 20, v46
	v_and_b32_e32 v20, 0x80000000, v20
	v_lshl_add_u32 v22, v22, 23, v32
	v_or3_b32 v46, v20, v22, v46
.LBB348_131:                            ;   in Loop: Header=BB348_14 Depth=1
	s_or_b64 exec, exec, s[50:51]
.LBB348_132:                            ;   in Loop: Header=BB348_14 Depth=1
	s_or_b64 exec, exec, s[48:49]
.LBB348_133:                            ;   in Loop: Header=BB348_14 Depth=1
	s_or_b64 exec, exec, s[46:47]
	v_mul_f32_e32 v20, s64, v46
	v_and_b32_e32 v22, 0x7f800000, v20
	v_cmp_ne_u32_e64 s[4:5], s62, v22
                                        ; implicit-def: $vgpr46
	s_and_saveexec_b64 s[46:47], s[4:5]
	s_xor_b64 s[4:5], exec, s[46:47]
; %bb.134:                              ;   in Loop: Header=BB348_14 Depth=1
	v_bfe_u32 v22, v20, 16, 1
	v_add3_u32 v46, v20, v22, s63
                                        ; implicit-def: $vgpr20
; %bb.135:                              ;   in Loop: Header=BB348_14 Depth=1
	s_andn2_saveexec_b64 s[46:47], s[4:5]
; %bb.136:                              ;   in Loop: Header=BB348_14 Depth=1
	v_or_b32_e32 v22, 0x10000, v20
	v_cmp_eq_u32_sdwa s[4:5], v20, v23 src0_sel:WORD_0 src1_sel:DWORD
	v_cndmask_b32_e64 v46, v22, v20, s[4:5]
; %bb.137:                              ;   in Loop: Header=BB348_14 Depth=1
	s_or_b64 exec, exec, s[46:47]
	global_load_ushort v22, v[18:19], off offset:768
	s_waitcnt vmcnt(0)
	v_and_b32_e32 v20, 0xffff, v22
	v_cmp_ne_u16_sdwa s[4:5], v22, v23 src0_sel:BYTE_0 src1_sel:DWORD
	v_mov_b32_e32 v22, 0
	s_and_saveexec_b64 s[46:47], s[4:5]
	s_cbranch_execz .LBB348_143
; %bb.138:                              ;   in Loop: Header=BB348_14 Depth=1
	v_cmp_ne_u16_sdwa s[4:5], v20, s60 src0_sel:BYTE_0 src1_sel:DWORD
	v_bfrev_b32_e32 v22, 1
	s_and_saveexec_b64 s[48:49], s[4:5]
	s_cbranch_execz .LBB348_142
; %bb.139:                              ;   in Loop: Header=BB348_14 Depth=1
	v_and_b32_e32 v47, 0x7f, v20
	v_cmp_ne_u32_e64 s[4:5], s61, v47
	v_mov_b32_e32 v22, 0x7f800001
	s_and_saveexec_b64 s[50:51], s[4:5]
	s_cbranch_execz .LBB348_141
; %bb.140:                              ;   in Loop: Header=BB348_14 Depth=1
	v_and_b32_e32 v22, 7, v20
	v_ffbh_u32_e32 v48, v22
	v_min_u32_e32 v51, 32, v48
	v_subrev_u32_e32 v48, 28, v51
	v_lshlrev_b64 v[48:49], v48, v[20:21]
	v_lshrrev_b32_e32 v50, 3, v47
	v_sub_u32_e32 v49, 29, v51
	v_and_b32_e32 v48, 7, v48
	v_cmp_gt_u32_e64 s[4:5], 8, v47
	v_cndmask_b32_e64 v47, v50, v49, s[4:5]
	v_cndmask_b32_e64 v22, v22, v48, s[4:5]
	v_lshlrev_b32_e32 v48, 24, v20
	v_lshlrev_b32_e32 v22, 20, v22
	v_and_b32_e32 v48, 0x80000000, v48
	v_lshl_add_u32 v47, v47, 23, v32
	v_or3_b32 v22, v48, v47, v22
.LBB348_141:                            ;   in Loop: Header=BB348_14 Depth=1
	s_or_b64 exec, exec, s[50:51]
.LBB348_142:                            ;   in Loop: Header=BB348_14 Depth=1
	s_or_b64 exec, exec, s[48:49]
.LBB348_143:                            ;   in Loop: Header=BB348_14 Depth=1
	s_or_b64 exec, exec, s[46:47]
	v_mul_f32_e32 v22, s64, v22
	v_and_b32_e32 v47, 0x7f800000, v22
	v_cmp_ne_u32_e64 s[4:5], s62, v47
                                        ; implicit-def: $vgpr47
	s_and_saveexec_b64 s[46:47], s[4:5]
	s_xor_b64 s[4:5], exec, s[46:47]
; %bb.144:                              ;   in Loop: Header=BB348_14 Depth=1
	v_bfe_u32 v47, v22, 16, 1
	v_add3_u32 v47, v22, v47, s63
                                        ; implicit-def: $vgpr22
; %bb.145:                              ;   in Loop: Header=BB348_14 Depth=1
	s_andn2_saveexec_b64 s[46:47], s[4:5]
; %bb.146:                              ;   in Loop: Header=BB348_14 Depth=1
	v_or_b32_e32 v47, 0x10000, v22
	v_cmp_eq_u32_sdwa s[4:5], v22, v23 src0_sel:WORD_0 src1_sel:DWORD
	v_cndmask_b32_e64 v47, v47, v22, s[4:5]
; %bb.147:                              ;   in Loop: Header=BB348_14 Depth=1
	s_or_b64 exec, exec, s[46:47]
	v_lshrrev_b16_e32 v22, 8, v20
	v_cmp_ne_u16_e64 s[4:5], 0, v22
	v_mov_b32_e32 v48, 0
	s_and_saveexec_b64 s[46:47], s[4:5]
	s_cbranch_execz .LBB348_153
; %bb.148:                              ;   in Loop: Header=BB348_14 Depth=1
	v_cmp_ne_u16_e64 s[4:5], s60, v22
	v_bfrev_b32_e32 v48, 1
	s_and_saveexec_b64 s[48:49], s[4:5]
	s_cbranch_execz .LBB348_152
; %bb.149:                              ;   in Loop: Header=BB348_14 Depth=1
	v_and_b32_e32 v49, 0x7f, v22
	v_cmp_ne_u32_e64 s[4:5], s61, v49
	v_mov_b32_e32 v48, 0x7f800001
	s_and_saveexec_b64 s[50:51], s[4:5]
	s_cbranch_execz .LBB348_151
; %bb.150:                              ;   in Loop: Header=BB348_14 Depth=1
	v_and_b32_e32 v48, 7, v22
	v_ffbh_u32_e32 v50, v48
	v_min_u32_e32 v53, 32, v50
	v_subrev_u32_e32 v50, 28, v53
	v_lshlrev_b64 v[50:51], v50, v[22:23]
	v_lshrrev_b32_e32 v52, 3, v49
	v_sub_u32_e32 v22, 29, v53
	v_and_b32_e32 v50, 7, v50
	v_cmp_gt_u32_e64 s[4:5], 8, v49
	v_cndmask_b32_e64 v22, v52, v22, s[4:5]
	v_cndmask_b32_e64 v48, v48, v50, s[4:5]
	v_lshlrev_b32_e32 v20, 16, v20
	v_lshlrev_b32_e32 v48, 20, v48
	v_and_b32_e32 v20, 0x80000000, v20
	v_lshl_add_u32 v22, v22, 23, v32
	v_or3_b32 v48, v20, v22, v48
.LBB348_151:                            ;   in Loop: Header=BB348_14 Depth=1
	s_or_b64 exec, exec, s[50:51]
.LBB348_152:                            ;   in Loop: Header=BB348_14 Depth=1
	s_or_b64 exec, exec, s[48:49]
.LBB348_153:                            ;   in Loop: Header=BB348_14 Depth=1
	s_or_b64 exec, exec, s[46:47]
	v_mul_f32_e32 v20, s64, v48
	v_and_b32_e32 v22, 0x7f800000, v20
	v_cmp_ne_u32_e64 s[4:5], s62, v22
                                        ; implicit-def: $vgpr22
	s_and_saveexec_b64 s[46:47], s[4:5]
	s_xor_b64 s[4:5], exec, s[46:47]
; %bb.154:                              ;   in Loop: Header=BB348_14 Depth=1
	v_bfe_u32 v22, v20, 16, 1
	v_add3_u32 v22, v20, v22, s63
                                        ; implicit-def: $vgpr20
; %bb.155:                              ;   in Loop: Header=BB348_14 Depth=1
	s_andn2_saveexec_b64 s[46:47], s[4:5]
; %bb.156:                              ;   in Loop: Header=BB348_14 Depth=1
	v_or_b32_e32 v22, 0x10000, v20
	v_cmp_eq_u32_sdwa s[4:5], v20, v23 src0_sel:WORD_0 src1_sel:DWORD
	v_cndmask_b32_e64 v22, v22, v20, s[4:5]
; %bb.157:                              ;   in Loop: Header=BB348_14 Depth=1
	s_or_b64 exec, exec, s[46:47]
	global_load_ushort v19, v[18:19], off offset:776
	s_waitcnt vmcnt(0)
	v_and_b32_e32 v18, 0xffff, v19
	v_cmp_ne_u16_sdwa s[4:5], v19, v23 src0_sel:BYTE_0 src1_sel:DWORD
	v_mov_b32_e32 v19, 0
	s_and_saveexec_b64 s[46:47], s[4:5]
	s_cbranch_execz .LBB348_163
; %bb.158:                              ;   in Loop: Header=BB348_14 Depth=1
	v_cmp_ne_u16_sdwa s[4:5], v18, s60 src0_sel:BYTE_0 src1_sel:DWORD
	v_bfrev_b32_e32 v19, 1
	s_and_saveexec_b64 s[48:49], s[4:5]
	s_cbranch_execz .LBB348_162
; %bb.159:                              ;   in Loop: Header=BB348_14 Depth=1
	v_and_b32_e32 v20, 0x7f, v18
	v_cmp_ne_u32_e64 s[4:5], s61, v20
	v_mov_b32_e32 v19, 0x7f800001
	s_and_saveexec_b64 s[50:51], s[4:5]
	s_cbranch_execz .LBB348_161
; %bb.160:                              ;   in Loop: Header=BB348_14 Depth=1
	v_and_b32_e32 v19, 7, v18
	v_ffbh_u32_e32 v48, v19
	v_min_u32_e32 v51, 32, v48
	v_subrev_u32_e32 v48, 28, v51
	v_lshlrev_b64 v[48:49], v48, v[18:19]
	v_lshrrev_b32_e32 v50, 3, v20
	v_sub_u32_e32 v49, 29, v51
	v_and_b32_e32 v48, 7, v48
	v_cmp_gt_u32_e64 s[4:5], 8, v20
	v_cndmask_b32_e64 v20, v50, v49, s[4:5]
	v_cndmask_b32_e64 v19, v19, v48, s[4:5]
	v_lshlrev_b32_e32 v48, 24, v18
	v_lshlrev_b32_e32 v19, 20, v19
	v_and_b32_e32 v48, 0x80000000, v48
	v_lshl_add_u32 v20, v20, 23, v32
	v_or3_b32 v19, v48, v20, v19
.LBB348_161:                            ;   in Loop: Header=BB348_14 Depth=1
	s_or_b64 exec, exec, s[50:51]
.LBB348_162:                            ;   in Loop: Header=BB348_14 Depth=1
	s_or_b64 exec, exec, s[48:49]
.LBB348_163:                            ;   in Loop: Header=BB348_14 Depth=1
	s_or_b64 exec, exec, s[46:47]
	v_mul_f32_e32 v20, s64, v19
	v_and_b32_e32 v19, 0x7f800000, v20
	v_cmp_ne_u32_e64 s[4:5], s62, v19
                                        ; implicit-def: $vgpr19
	s_and_saveexec_b64 s[46:47], s[4:5]
	s_xor_b64 s[4:5], exec, s[46:47]
; %bb.164:                              ;   in Loop: Header=BB348_14 Depth=1
	v_bfe_u32 v19, v20, 16, 1
	v_add3_u32 v19, v20, v19, s63
                                        ; implicit-def: $vgpr20
; %bb.165:                              ;   in Loop: Header=BB348_14 Depth=1
	s_andn2_saveexec_b64 s[46:47], s[4:5]
; %bb.166:                              ;   in Loop: Header=BB348_14 Depth=1
	v_or_b32_e32 v19, 0x10000, v20
	v_cmp_eq_u32_sdwa s[4:5], v20, v23 src0_sel:WORD_0 src1_sel:DWORD
	v_cndmask_b32_e64 v19, v19, v20, s[4:5]
; %bb.167:                              ;   in Loop: Header=BB348_14 Depth=1
	s_or_b64 exec, exec, s[46:47]
	v_lshrrev_b16_e32 v20, 8, v18
	v_cmp_ne_u16_e64 s[4:5], 0, v20
	v_mov_b32_e32 v48, 0
	s_and_saveexec_b64 s[46:47], s[4:5]
	s_cbranch_execz .LBB348_173
; %bb.168:                              ;   in Loop: Header=BB348_14 Depth=1
	v_cmp_ne_u16_e64 s[4:5], s60, v20
	v_bfrev_b32_e32 v48, 1
	s_and_saveexec_b64 s[48:49], s[4:5]
	s_cbranch_execz .LBB348_172
; %bb.169:                              ;   in Loop: Header=BB348_14 Depth=1
	v_and_b32_e32 v49, 0x7f, v20
	v_cmp_ne_u32_e64 s[4:5], s61, v49
	v_mov_b32_e32 v48, 0x7f800001
	s_and_saveexec_b64 s[50:51], s[4:5]
	s_cbranch_execz .LBB348_171
; %bb.170:                              ;   in Loop: Header=BB348_14 Depth=1
	v_and_b32_e32 v48, 7, v20
	v_ffbh_u32_e32 v50, v48
	v_min_u32_e32 v53, 32, v50
	v_subrev_u32_e32 v50, 28, v53
	v_lshlrev_b64 v[50:51], v50, v[20:21]
	v_lshrrev_b32_e32 v52, 3, v49
	v_sub_u32_e32 v20, 29, v53
	v_and_b32_e32 v50, 7, v50
	v_cmp_gt_u32_e64 s[4:5], 8, v49
	v_cndmask_b32_e64 v20, v52, v20, s[4:5]
	v_cndmask_b32_e64 v48, v48, v50, s[4:5]
	v_lshlrev_b32_e32 v18, 16, v18
	v_lshlrev_b32_e32 v48, 20, v48
	v_and_b32_e32 v18, 0x80000000, v18
	v_lshl_add_u32 v20, v20, 23, v32
	v_or3_b32 v48, v18, v20, v48
.LBB348_171:                            ;   in Loop: Header=BB348_14 Depth=1
	s_or_b64 exec, exec, s[50:51]
.LBB348_172:                            ;   in Loop: Header=BB348_14 Depth=1
	s_or_b64 exec, exec, s[48:49]
.LBB348_173:                            ;   in Loop: Header=BB348_14 Depth=1
	s_or_b64 exec, exec, s[46:47]
	v_mul_f32_e32 v20, s64, v48
	v_and_b32_e32 v18, 0x7f800000, v20
	v_cmp_ne_u32_e64 s[4:5], s62, v18
                                        ; implicit-def: $vgpr18
	s_and_saveexec_b64 s[46:47], s[4:5]
	s_xor_b64 s[4:5], exec, s[46:47]
; %bb.174:                              ;   in Loop: Header=BB348_14 Depth=1
	v_bfe_u32 v18, v20, 16, 1
	v_add3_u32 v18, v20, v18, s63
                                        ; implicit-def: $vgpr20
; %bb.175:                              ;   in Loop: Header=BB348_14 Depth=1
	s_andn2_saveexec_b64 s[46:47], s[4:5]
; %bb.176:                              ;   in Loop: Header=BB348_14 Depth=1
	v_or_b32_e32 v18, 0x10000, v20
	v_cmp_eq_u32_sdwa s[4:5], v20, v23 src0_sel:WORD_0 src1_sel:DWORD
	v_cndmask_b32_e64 v18, v18, v20, s[4:5]
; %bb.177:                              ;   in Loop: Header=BB348_14 Depth=1
	s_or_b64 exec, exec, s[46:47]
	v_and_b32_e32 v38, 0xffff0000, v38
	v_and_b32_e32 v37, 0xffff0000, v37
	v_lshlrev_b32_e32 v48, 16, v7
	v_and_b32_e32 v7, 0xffff0000, v7
	v_and_b32_e32 v20, 0xffff0000, v22
	;; [unrolled: 1-line block ×5, first 2 shown]
	v_lshlrev_b32_e32 v47, 16, v6
	v_and_b32_e32 v6, 0xffff0000, v6
	v_mul_f32_e32 v37, v48, v37
	v_mul_f32_e32 v7, v7, v38
	v_and_b32_e32 v40, 0xffff0000, v40
	v_and_b32_e32 v39, 0xffff0000, v39
	v_lshlrev_b32_e32 v49, 16, v8
	v_and_b32_e32 v8, 0xffff0000, v8
	v_fmac_f32_e32 v37, v47, v35
	v_fmac_f32_e32 v7, v6, v36
	v_and_b32_e32 v42, 0xffff0000, v42
	v_and_b32_e32 v41, 0xffff0000, v41
	v_lshlrev_b32_e32 v50, 16, v9
	v_and_b32_e32 v9, 0xffff0000, v9
	v_fmac_f32_e32 v37, v49, v39
	v_fmac_f32_e32 v7, v8, v40
	;; [unrolled: 6-line block ×3, first 2 shown]
	v_and_b32_e32 v46, 0xffff0000, v46
	v_and_b32_e32 v45, 0xffff0000, v45
	v_lshlrev_b32_e32 v52, 16, v3
	v_and_b32_e32 v55, 64, v33
	v_and_b32_e32 v3, 0xffff0000, v3
	v_fmac_f32_e32 v37, v51, v43
	v_fmac_f32_e32 v7, v2, v44
	v_lshlrev_b32_e32 v53, 16, v4
	v_add_u32_e32 v55, 64, v55
	v_xor_b32_e32 v56, 2, v33
	v_and_b32_e32 v4, 0xffff0000, v4
	v_fmac_f32_e32 v37, v52, v45
	v_fmac_f32_e32 v7, v3, v46
	v_and_b32_e32 v19, 0xffff0000, v19
	v_lshlrev_b32_e32 v54, 16, v5
	v_cmp_lt_i32_e64 s[4:5], v56, v55
	v_and_b32_e32 v18, 0xffff0000, v18
	v_and_b32_e32 v5, 0xffff0000, v5
	v_fmac_f32_e32 v37, v53, v22
	v_fmac_f32_e32 v7, v4, v20
	v_cndmask_b32_e64 v56, v33, v56, s[4:5]
	v_fmac_f32_e32 v37, v54, v19
	v_fmac_f32_e32 v7, v5, v18
	v_lshlrev_b32_e32 v56, 2, v56
	v_add_f32_e32 v2, v37, v7
	ds_bpermute_b32 v3, v56, v2
	v_xor_b32_e32 v4, 1, v33
	v_cmp_lt_i32_e64 s[4:5], v4, v55
	v_cndmask_b32_e64 v4, v33, v4, s[4:5]
	v_lshlrev_b32_e32 v4, 2, v4
	s_waitcnt lgkmcnt(0)
	v_add_f32_e32 v2, v2, v3
	ds_bpermute_b32 v3, v4, v2
	s_and_saveexec_b64 s[46:47], vcc
	s_cbranch_execz .LBB348_12
; %bb.178:                              ;   in Loop: Header=BB348_14 Depth=1
	v_add_u32_e32 v4, v30, v28
	v_cvt_f32_i32_e32 v4, v4
	s_waitcnt lgkmcnt(0)
	v_add_f32_e32 v2, v2, v3
	v_add_u32_e32 v5, v21, v28
	v_cmp_gt_i32_e64 s[4:5], s33, v5
	v_mul_f32_e32 v3, s55, v4
	v_cndmask_b32_e64 v3, 0, v3, s[2:3]
	v_fmac_f32_e32 v3, s43, v2
	v_cndmask_b32_e64 v2, 0, v3, s[4:5]
	ds_write_b32 v29, v2
	v_max_f32_e32 v2, v27, v27
	v_max_f32_e32 v2, v2, v3
	v_cndmask_b32_e64 v27, v27, v2, s[4:5]
	s_branch .LBB348_12
.LBB348_179:
	s_or_b64 exec, exec, s[44:45]
.LBB348_180:
	s_or_b64 exec, exec, s[18:19]
	v_mbcnt_hi_u32_b32 v2, -1, v15
	s_waitcnt lgkmcnt(0)
	v_and_b32_e32 v3, 64, v2
	v_add_u32_e32 v3, 64, v3
	v_xor_b32_e32 v4, 32, v2
	v_cmp_lt_i32_e32 vcc, v4, v3
	v_cndmask_b32_e32 v4, v2, v4, vcc
	v_lshlrev_b32_e32 v5, 2, v4
	ds_bpermute_b32 v4, v5, v27
	v_xor_b32_e32 v7, 16, v2
	v_max_f32_e32 v6, v27, v27
	v_cmp_lt_i32_e32 vcc, v7, v3
	v_xor_b32_e32 v8, 8, v2
	s_waitcnt lgkmcnt(0)
	v_max_f32_e32 v4, v4, v4
	v_max_f32_e32 v4, v6, v4
	v_cndmask_b32_e32 v6, v2, v7, vcc
	v_lshlrev_b32_e32 v6, 2, v6
	ds_bpermute_b32 v7, v6, v4
	v_cmp_lt_i32_e32 vcc, v8, v3
	v_and_b32_e32 v20, 63, v0
	s_waitcnt lgkmcnt(0)
	v_max_f32_e32 v7, v7, v7
	v_max_f32_e32 v4, v4, v7
	v_cndmask_b32_e32 v7, v2, v8, vcc
	v_lshlrev_b32_e32 v9, 2, v7
	ds_bpermute_b32 v7, v9, v4
	v_xor_b32_e32 v8, 4, v2
	v_cmp_lt_i32_e32 vcc, v8, v3
	s_waitcnt lgkmcnt(0)
	v_max_f32_e32 v7, v7, v7
	v_max_f32_e32 v4, v4, v7
	v_cndmask_b32_e32 v7, v2, v8, vcc
	v_lshlrev_b32_e32 v12, 2, v7
	ds_bpermute_b32 v8, v12, v4
	v_cmp_eq_u32_e32 vcc, 0, v20
	v_lshlrev_b32_e32 v7, 2, v25
	s_and_saveexec_b64 s[2:3], vcc
	s_cbranch_execz .LBB348_182
; %bb.181:
	s_waitcnt lgkmcnt(0)
	v_max_f32_e32 v8, v8, v8
	v_max_f32_e32 v4, v4, v4
	;; [unrolled: 1-line block ×3, first 2 shown]
	ds_write_b32 v7, v4 offset:128
.LBB348_182:
	s_or_b64 exec, exec, s[2:3]
	v_cmp_gt_u32_e64 s[2:3], 2, v20
	v_mov_b32_e32 v4, 0xff7fffff
	s_waitcnt lgkmcnt(0)
	v_lshlrev_b32_e32 v8, 2, v20
	s_barrier
	s_and_saveexec_b64 s[4:5], s[2:3]
	s_cbranch_execz .LBB348_184
; %bb.183:
	ds_read_b32 v4, v8 offset:128
.LBB348_184:
	s_or_b64 exec, exec, s[4:5]
	v_xor_b32_e32 v13, 1, v2
	v_cmp_lt_i32_e64 s[4:5], v13, v3
	v_cndmask_b32_e64 v13, v2, v13, s[4:5]
	v_lshlrev_b32_e32 v21, 2, v13
	s_waitcnt lgkmcnt(0)
	ds_bpermute_b32 v13, v21, v4
	v_max_f32_e32 v4, v4, v4
	s_sub_i32 s4, s53, s56
	s_lshl_b32 s4, s4, 4
	s_add_i32 s4, s4, s9
	s_waitcnt lgkmcnt(0)
	v_max_f32_e32 v13, v13, v13
	v_max_f32_e32 v4, v4, v13
	v_lshlrev_b32_e32 v13, 2, v2
	v_and_b32_e32 v13, 0x100, v13
	ds_bpermute_b32 v4, v13, v4
	s_min_i32 s44, s4, s33
	s_sub_i32 s43, s44, s9
	v_cmp_gt_i32_e64 s[4:5], s43, v0
	v_mov_b32_e32 v14, 0
	s_and_saveexec_b64 s[12:13], s[4:5]
	s_cbranch_execz .LBB348_188
; %bb.185:
	v_mov_b32_e32 v14, 0x90
	v_lshl_add_u32 v15, v0, 2, v14
	s_mov_b64 s[18:19], 0
	v_mov_b32_e32 v14, 0
	v_mov_b32_e32 v16, v0
.LBB348_186:                            ; =>This Inner Loop Header: Depth=1
	ds_read_b32 v17, v15
	v_add_u32_e32 v16, 0x80, v16
	v_cmp_le_i32_e64 s[10:11], s43, v16
	s_or_b64 s[18:19], s[10:11], s[18:19]
	s_waitcnt lgkmcnt(0)
	v_sub_f32_e32 v17, v17, v4
	v_mul_f32_e32 v17, 0x3fb8aa3b, v17
	v_exp_f32_e32 v17, v17
	ds_write_b32 v15, v17
	v_add_f32_e32 v14, v14, v17
	v_add_u32_e32 v15, 0x200, v15
	s_andn2_b64 exec, exec, s[18:19]
	s_cbranch_execnz .LBB348_186
; %bb.187:
	s_or_b64 exec, exec, s[18:19]
.LBB348_188:
	s_or_b64 exec, exec, s[12:13]
	ds_bpermute_b32 v5, v5, v14
	s_waitcnt lgkmcnt(0)
	v_add_f32_e32 v5, v14, v5
	ds_bpermute_b32 v6, v6, v5
	s_waitcnt lgkmcnt(0)
	v_add_f32_e32 v5, v5, v6
	ds_bpermute_b32 v6, v9, v5
	v_xor_b32_e32 v9, 2, v2
	v_cmp_lt_i32_e64 s[10:11], v9, v3
	v_cndmask_b32_e64 v2, v2, v9, s[10:11]
	v_lshlrev_b32_e32 v2, 2, v2
	s_waitcnt lgkmcnt(0)
	v_add_f32_e32 v5, v5, v6
	ds_bpermute_b32 v6, v12, v5
	s_waitcnt lgkmcnt(0)
	v_add_f32_e32 v3, v5, v6
	ds_bpermute_b32 v2, v2, v3
	;; [unrolled: 3-line block ×3, first 2 shown]
	s_waitcnt lgkmcnt(0)
	v_add_f32_e32 v2, v2, v3
	s_and_saveexec_b64 s[10:11], vcc
	s_cbranch_execz .LBB348_190
; %bb.189:
	ds_write_b32 v7, v2 offset:136
.LBB348_190:
	s_or_b64 exec, exec, s[10:11]
	s_waitcnt lgkmcnt(0)
	s_barrier
	s_and_saveexec_b64 s[10:11], s[2:3]
	s_cbranch_execz .LBB348_192
; %bb.191:
	ds_read_b32 v2, v8 offset:136
.LBB348_192:
	s_or_b64 exec, exec, s[10:11]
	s_waitcnt lgkmcnt(0)
	ds_bpermute_b32 v3, v21, v2
	s_waitcnt lgkmcnt(0)
	v_add_f32_e32 v2, v2, v3
	ds_bpermute_b32 v5, v13, v2
	s_and_saveexec_b64 s[2:3], s[4:5]
	s_cbranch_execz .LBB348_205
; %bb.193:
	s_waitcnt lgkmcnt(0)
	v_add_f32_e32 v2, 0x358637bd, v5
	v_div_scale_f32 v3, s[4:5], v2, v2, 1.0
	v_rcp_f32_e32 v6, v3
	v_div_scale_f32 v7, vcc, 1.0, v2, 1.0
	s_movk_i32 s4, 0x7f
	v_fma_f32 v8, -v3, v6, 1.0
	v_fmac_f32_e32 v6, v8, v6
	v_mul_f32_e32 v8, v7, v6
	v_fma_f32 v9, -v3, v8, v7
	v_fmac_f32_e32 v8, v9, v6
	v_fma_f32 v3, -v3, v8, v7
	v_div_fmas_f32 v3, v3, v6, v8
	v_div_fixup_f32 v2, v3, v2, 1.0
	v_xad_u32 v3, v0, -1, s44
	v_subrev_u32_e32 v6, s9, v3
	v_cmp_lt_u32_e32 vcc, s4, v6
	s_mov_b64 s[10:11], -1
	v_mov_b32_e32 v3, v0
	s_and_saveexec_b64 s[4:5], vcc
	s_cbranch_execz .LBB348_202
; %bb.194:
	v_lshrrev_b32_e32 v6, 7, v6
	v_add_u32_e32 v8, -1, v6
	v_lshrrev_b32_e32 v7, 1, v8
	v_mov_b32_e32 v3, v2
	v_add_u32_e32 v7, 1, v7
	v_cmp_lt_u32_e32 vcc, 13, v8
	v_mov_b32_e32 v12, 0
	s_and_saveexec_b64 s[10:11], vcc
	s_cbranch_execz .LBB348_198
; %bb.195:
	v_mov_b32_e32 v9, 0x90
	v_and_b32_e32 v8, -8, v7
	v_lshl_add_u32 v9, v0, 2, v9
	s_mov_b32 s9, 0
	s_mov_b64 s[12:13], 0
.LBB348_196:                            ; =>This Inner Loop Header: Depth=1
	ds_read2st64_b32 v[12:13], v9 offset1:2
	ds_read2st64_b32 v[14:15], v9 offset0:4 offset1:6
	ds_read2st64_b32 v[16:17], v9 offset0:8 offset1:10
	;; [unrolled: 1-line block ×3, first 2 shown]
	v_add_u32_e32 v8, -8, v8
	s_waitcnt lgkmcnt(3)
	v_pk_mul_f32 v[12:13], v[2:3], v[12:13]
	s_waitcnt lgkmcnt(2)
	v_pk_mul_f32 v[14:15], v[2:3], v[14:15]
	ds_write2st64_b32 v9, v12, v13 offset1:2
	ds_write2st64_b32 v9, v14, v15 offset0:4 offset1:6
	ds_read2st64_b32 v[14:15], v9 offset0:16 offset1:18
	s_waitcnt lgkmcnt(4)
	v_pk_mul_f32 v[12:13], v[2:3], v[16:17]
	ds_write2st64_b32 v9, v12, v13 offset0:8 offset1:10
	s_waitcnt lgkmcnt(4)
	v_pk_mul_f32 v[12:13], v[2:3], v[18:19]
	ds_write2st64_b32 v9, v12, v13 offset0:12 offset1:14
	ds_read2st64_b32 v[12:13], v9 offset0:20 offset1:22
	s_waitcnt lgkmcnt(3)
	v_pk_mul_f32 v[14:15], v[2:3], v[14:15]
	ds_read2st64_b32 v[16:17], v9 offset0:24 offset1:26
	ds_write2st64_b32 v9, v14, v15 offset0:16 offset1:18
	ds_read2st64_b32 v[14:15], v9 offset0:28 offset1:30
	s_waitcnt lgkmcnt(3)
	v_pk_mul_f32 v[12:13], v[2:3], v[12:13]
	ds_write2st64_b32 v9, v12, v13 offset0:20 offset1:22
	s_waitcnt lgkmcnt(3)
	v_pk_mul_f32 v[12:13], v[2:3], v[16:17]
	ds_write2st64_b32 v9, v12, v13 offset0:24 offset1:26
	s_waitcnt lgkmcnt(2)
	v_pk_mul_f32 v[12:13], v[2:3], v[14:15]
	s_add_i32 s9, s9, 16
	v_cmp_eq_u32_e32 vcc, 0, v8
	ds_write2st64_b32 v9, v12, v13 offset0:28 offset1:30
	v_add_u32_e32 v9, 0x2000, v9
	s_or_b64 s[12:13], vcc, s[12:13]
	v_mov_b32_e32 v12, s9
	s_andn2_b64 exec, exec, s[12:13]
	s_cbranch_execnz .LBB348_196
; %bb.197:
	s_or_b64 exec, exec, s[12:13]
.LBB348_198:
	s_or_b64 exec, exec, s[10:11]
	v_and_b32_e32 v7, 7, v7
	v_cmp_ne_u32_e32 vcc, 0, v7
	s_and_saveexec_b64 s[10:11], vcc
	s_cbranch_execz .LBB348_201
; %bb.199:
	v_lshlrev_b32_e32 v8, 9, v12
	v_lshlrev_b32_e32 v9, 2, v0
	s_movk_i32 s9, 0x90
	v_add3_u32 v8, v8, v9, s9
	s_mov_b64 s[12:13], 0
.LBB348_200:                            ; =>This Inner Loop Header: Depth=1
	ds_read2st64_b32 v[12:13], v8 offset1:2
	v_add_u32_e32 v7, -1, v7
	v_cmp_eq_u32_e32 vcc, 0, v7
	s_or_b64 s[12:13], vcc, s[12:13]
	s_waitcnt lgkmcnt(0)
	v_pk_mul_f32 v[12:13], v[2:3], v[12:13]
	ds_write2st64_b32 v8, v12, v13 offset1:2
	v_add_u32_e32 v8, 0x400, v8
	s_andn2_b64 exec, exec, s[12:13]
	s_cbranch_execnz .LBB348_200
.LBB348_201:
	s_or_b64 exec, exec, s[10:11]
	v_add_u32_e32 v6, 1, v6
	v_and_b32_e32 v7, 0x3fffffe, v6
	v_cmp_ne_u32_e32 vcc, v6, v7
	v_lshl_add_u32 v3, v7, 7, v0
	s_orn2_b64 s[10:11], vcc, exec
.LBB348_202:
	s_or_b64 exec, exec, s[4:5]
	s_and_b64 exec, exec, s[10:11]
	s_cbranch_execz .LBB348_205
; %bb.203:
	v_mov_b32_e32 v6, 0x90
	v_lshl_add_u32 v6, v3, 2, v6
	s_mov_b64 s[4:5], 0
.LBB348_204:                            ; =>This Inner Loop Header: Depth=1
	ds_read_b32 v7, v6
	v_add_u32_e32 v3, 0x80, v3
	v_cmp_le_i32_e32 vcc, s43, v3
	s_or_b64 s[4:5], vcc, s[4:5]
	s_waitcnt lgkmcnt(0)
	v_mul_f32_e32 v7, v2, v7
	ds_write_b32 v6, v7
	v_add_u32_e32 v6, 0x200, v6
	s_andn2_b64 exec, exec, s[4:5]
	s_cbranch_execnz .LBB348_204
.LBB348_205:
	s_or_b64 exec, exec, s[2:3]
	v_cmp_eq_u32_e32 vcc, 0, v0
	s_waitcnt lgkmcnt(0)
	s_barrier
	s_and_saveexec_b64 s[2:3], vcc
	s_cbranch_execz .LBB348_207
; %bb.206:
	s_mul_i32 s4, s20, s28
	s_mul_i32 s4, s4, s29
	s_ashr_i32 s5, s4, 31
	s_lshl_b64 s[4:5], s[4:5], 2
	s_add_u32 s9, s26, s4
	s_mul_i32 s10, s20, s6
	s_addc_u32 s12, s27, s5
	s_ashr_i32 s11, s10, 31
	s_lshl_b64 s[10:11], s[10:11], 2
	s_add_u32 s6, s9, s10
	s_addc_u32 s19, s12, s11
	s_ashr_i32 s9, s8, 31
	s_lshl_b64 s[12:13], s[8:9], 2
	s_add_u32 s18, s6, s12
	s_addc_u32 s19, s19, s13
	s_add_u32 s4, s24, s4
	s_addc_u32 s5, s25, s5
	;; [unrolled: 2-line block ×3, first 2 shown]
	s_add_u32 s4, s4, s12
	v_mov_b32_e32 v2, 0
	s_addc_u32 s5, s5, s13
	global_store_dword v2, v4, s[18:19]
	global_store_dword v2, v5, s[4:5]
.LBB348_207:
	s_or_b64 exec, exec, s[2:3]
	v_mov_b32_e32 v15, 0
	v_and_b32_e32 v22, 1, v0
	v_mov_b32_e32 v14, v15
	s_and_saveexec_b64 s[2:3], s[0:1]
	s_cbranch_execz .LBB348_473
; %bb.208:
	s_sub_i32 s9, s16, s21
	s_ashr_i32 s0, s54, 31
	s_add_u32 s1, s40, s54
	s_addc_u32 s0, s41, s0
	s_abs_i32 s21, s22
	v_cvt_f32_u32_e32 v2, s21
	s_sub_i32 s6, 0, s21
	v_lshlrev_b32_e32 v3, 3, v0
	v_and_b32_e32 v23, 8, v3
	v_rcp_iflag_f32_e32 v2, v2
	v_and_b32_e32 v3, 0x1f8, v3
	s_add_i32 s24, s7, -1
	v_add_co_u32_e32 v12, vcc, s1, v3
	v_mul_f32_e32 v2, 0x4f7ffffe, v2
	v_cvt_u32_f32_e32 v2, v2
	s_mov_b32 s4, -1
	s_mov_b32 s22, s17
	s_mov_b32 s5, 0xffffff
	v_mul_lo_u32 v4, s6, v2
	v_mul_hi_u32 v4, v2, v4
	v_add_u32_e32 v24, v2, v4
	v_mov_b32_e32 v2, s0
	s_lshl_b64 s[0:1], s[38:39], 2
	v_addc_co_u32_e32 v13, vcc, 0, v2, vcc
	v_lshlrev_b64 v[2:3], 2, v[10:11]
	s_add_u32 s0, s36, s0
	s_addc_u32 s1, s37, s1
	v_add_co_u32_e32 v16, vcc, s0, v2
	v_lshlrev_b32_e32 v2, 5, v22
	v_mov_b32_e32 v4, s1
	v_lshl_or_b32 v2, v25, 6, v2
	v_mov_b32_e32 v25, 0
	v_addc_co_u32_e32 v17, vcc, v4, v3, vcc
	v_add_u32_e32 v11, 0x90, v2
	s_mov_b64 s[6:7], 0
	s_mov_b32 s25, 0x7f800000
	s_movk_i32 s26, 0x7fff
	s_movk_i32 s27, 0x80
	;; [unrolled: 1-line block ×3, first 2 shown]
	v_mov_b32_e32 v19, 0
	v_bfrev_b32_e32 v26, 60
	v_mov_b32_e32 v14, 0
	v_mov_b32_e32 v15, v25
	s_branch .LBB348_211
.LBB348_209:                            ;   in Loop: Header=BB348_211 Depth=1
	s_or_b64 exec, exec, s[0:1]
	v_and_b32_e32 v36, 0xffff0000, v9
	v_and_b32_e32 v9, 0xffff0000, v8
	;; [unrolled: 1-line block ×5, first 2 shown]
	v_pk_add_f32 v[6:7], v[6:7], v[8:9]
	v_and_b32_e32 v35, 0xffff0000, v37
	v_and_b32_e32 v34, 0xffff0000, v27
	;; [unrolled: 1-line block ×3, first 2 shown]
	v_mov_b32_e32 v8, v7
	v_pk_add_f32 v[6:7], v[6:7], v[8:9]
	v_pk_add_f32 v[8:9], v[36:37], v[34:35]
	;; [unrolled: 1-line block ×3, first 2 shown]
	v_mov_b32_e32 v8, v9
	v_pk_add_f32 v[6:7], v[6:7], v[8:9]
	v_and_b32_e32 v9, 0xffff0000, v3
	v_and_b32_e32 v5, 0xffff0000, v30
	;; [unrolled: 1-line block ×5, first 2 shown]
	v_pk_add_f32 v[2:3], v[2:3], v[4:5]
	v_and_b32_e32 v8, 0xffff0000, v32
	v_and_b32_e32 v33, 0xffff0000, v18
	;; [unrolled: 1-line block ×3, first 2 shown]
	v_mov_b32_e32 v4, v3
	v_pk_add_f32 v[2:3], v[2:3], v[4:5]
	v_pk_add_f32 v[4:5], v[32:33], v[8:9]
	;; [unrolled: 1-line block ×3, first 2 shown]
	v_mov_b32_e32 v4, v5
	v_pk_add_f32 v[2:3], v[2:3], v[4:5]
	v_mov_b32_e32 v3, v2
	v_pk_add_f32 v[6:7], v[14:15], v[6:7]
	v_pk_add_f32 v[2:3], v[14:15], v[2:3]
	v_mov_b32_e32 v7, v3
	v_pk_mov_b32 v[14:15], v[6:7], v[6:7] op_sel:[0,1]
.LBB348_210:                            ;   in Loop: Header=BB348_211 Depth=1
	s_or_b64 exec, exec, s[10:11]
	v_add_co_u32_e32 v16, vcc, 8, v16
	v_add_u32_e32 v10, 2, v10
	v_addc_co_u32_e32 v17, vcc, 0, v17, vcc
	v_cmp_le_i32_e32 vcc, s53, v10
	v_add_u32_e32 v1, 32, v1
	s_or_b64 s[6:7], vcc, s[6:7]
	v_add_u32_e32 v11, 0x80, v11
	s_andn2_b64 exec, exec, s[6:7]
	s_cbranch_execz .LBB348_472
.LBB348_211:                            ; =>This Inner Loop Header: Depth=1
	v_sub_u32_e32 v3, 0, v1
	v_max_i32_e32 v3, v1, v3
	v_mul_hi_u32 v4, v3, s52
	v_mul_lo_u32 v5, v4, s31
	v_sub_u32_e32 v3, v3, v5
	v_add_u32_e32 v5, 1, v4
	v_cmp_le_u32_e32 vcc, s31, v3
	v_cndmask_b32_e32 v4, v4, v5, vcc
	v_subrev_u32_e32 v5, s31, v3
	v_cndmask_b32_e32 v3, v3, v5, vcc
	v_ashrrev_i32_e32 v2, 31, v1
	v_add_u32_e32 v5, 1, v4
	v_cmp_le_u32_e32 vcc, s31, v3
	v_xor_b32_e32 v2, s23, v2
	v_cndmask_b32_e32 v3, v4, v5, vcc
	v_xor_b32_e32 v3, v3, v2
	v_sub_u32_e32 v2, v3, v2
	v_add_u32_e32 v3, s42, v2
	v_sub_u32_e32 v5, 0, v3
	v_ashrrev_i32_e32 v4, 31, v3
	v_max_i32_e32 v3, v3, v5
	v_mul_hi_u32 v5, v3, v24
	v_mul_lo_u32 v5, v5, s21
	v_sub_u32_e32 v3, v3, v5
	v_subrev_u32_e32 v5, s21, v3
	v_cmp_le_u32_e32 vcc, s21, v3
	v_cndmask_b32_e32 v3, v3, v5, vcc
	v_subrev_u32_e32 v5, s21, v3
	v_cmp_le_u32_e32 vcc, s21, v3
	v_cndmask_b32_e32 v3, v3, v5, vcc
	v_xor_b32_e32 v3, v3, v4
	v_sub_u32_e32 v3, v3, v4
	v_cmp_eq_u32_e32 vcc, 0, v3
	v_cmp_lt_i32_e64 s[0:1], s9, v2
	s_or_b64 s[0:1], vcc, s[0:1]
	s_and_saveexec_b64 s[10:11], s[0:1]
	s_cbranch_execz .LBB348_210
; %bb.212:                              ;   in Loop: Header=BB348_211 Depth=1
	global_load_dword v18, v[16:17], off
	ds_read2_b64 v[6:9], v11 offset1:1
	ds_read2_b64 v[2:5], v11 offset0:2 offset1:3
                                        ; implicit-def: $vgpr38
	s_waitcnt lgkmcnt(1)
	v_and_b32_e32 v27, 0x7f800000, v6
	v_cmp_ne_u32_e32 vcc, s25, v27
	s_and_saveexec_b64 s[0:1], vcc
	s_xor_b64 s[0:1], exec, s[0:1]
; %bb.213:                              ;   in Loop: Header=BB348_211 Depth=1
	v_bfe_u32 v27, v6, 16, 1
	v_add3_u32 v38, v6, v27, s26
; %bb.214:                              ;   in Loop: Header=BB348_211 Depth=1
	s_andn2_saveexec_b64 s[0:1], s[0:1]
; %bb.215:                              ;   in Loop: Header=BB348_211 Depth=1
	v_or_b32_e32 v27, 0x10000, v6
	v_cmp_eq_u32_sdwa vcc, v6, v25 src0_sel:WORD_0 src1_sel:DWORD
	v_cndmask_b32_e32 v38, v27, v6, vcc
; %bb.216:                              ;   in Loop: Header=BB348_211 Depth=1
	s_or_b64 exec, exec, s[0:1]
	v_and_b32_e32 v6, 0x7f800000, v7
	v_cmp_ne_u32_e32 vcc, s25, v6
                                        ; implicit-def: $vgpr39
	s_and_saveexec_b64 s[0:1], vcc
	s_xor_b64 s[0:1], exec, s[0:1]
; %bb.217:                              ;   in Loop: Header=BB348_211 Depth=1
	v_bfe_u32 v6, v7, 16, 1
	v_add3_u32 v39, v7, v6, s26
; %bb.218:                              ;   in Loop: Header=BB348_211 Depth=1
	s_andn2_saveexec_b64 s[0:1], s[0:1]
; %bb.219:                              ;   in Loop: Header=BB348_211 Depth=1
	v_or_b32_e32 v6, 0x10000, v7
	v_cmp_eq_u32_sdwa vcc, v7, v25 src0_sel:WORD_0 src1_sel:DWORD
	v_cndmask_b32_e32 v39, v6, v7, vcc
; %bb.220:                              ;   in Loop: Header=BB348_211 Depth=1
	s_or_b64 exec, exec, s[0:1]
	v_and_b32_e32 v6, 0x7f800000, v8
	v_cmp_ne_u32_e32 vcc, s25, v6
                                        ; implicit-def: $vgpr40
	s_and_saveexec_b64 s[0:1], vcc
	s_xor_b64 s[0:1], exec, s[0:1]
; %bb.221:                              ;   in Loop: Header=BB348_211 Depth=1
	v_bfe_u32 v6, v8, 16, 1
	v_add3_u32 v40, v8, v6, s26
; %bb.222:                              ;   in Loop: Header=BB348_211 Depth=1
	s_andn2_saveexec_b64 s[0:1], s[0:1]
; %bb.223:                              ;   in Loop: Header=BB348_211 Depth=1
	v_or_b32_e32 v6, 0x10000, v8
	v_cmp_eq_u32_sdwa vcc, v8, v25 src0_sel:WORD_0 src1_sel:DWORD
	v_cndmask_b32_e32 v40, v6, v8, vcc
; %bb.224:                              ;   in Loop: Header=BB348_211 Depth=1
	s_or_b64 exec, exec, s[0:1]
	v_and_b32_e32 v6, 0x7f800000, v9
	v_cmp_ne_u32_e32 vcc, s25, v6
                                        ; implicit-def: $vgpr41
	s_and_saveexec_b64 s[0:1], vcc
	s_xor_b64 s[0:1], exec, s[0:1]
; %bb.225:                              ;   in Loop: Header=BB348_211 Depth=1
	v_bfe_u32 v6, v9, 16, 1
	v_add3_u32 v41, v9, v6, s26
                                        ; implicit-def: $vgpr6_vgpr7_vgpr8_vgpr9
; %bb.226:                              ;   in Loop: Header=BB348_211 Depth=1
	s_andn2_saveexec_b64 s[0:1], s[0:1]
; %bb.227:                              ;   in Loop: Header=BB348_211 Depth=1
	v_or_b32_e32 v6, 0x10000, v9
	v_cmp_eq_u32_sdwa vcc, v9, v25 src0_sel:WORD_0 src1_sel:DWORD
	v_cndmask_b32_e32 v41, v6, v9, vcc
; %bb.228:                              ;   in Loop: Header=BB348_211 Depth=1
	s_or_b64 exec, exec, s[0:1]
	s_waitcnt lgkmcnt(0)
	v_and_b32_e32 v6, 0x7f800000, v2
	v_cmp_ne_u32_e32 vcc, s25, v6
                                        ; implicit-def: $vgpr9
	s_and_saveexec_b64 s[0:1], vcc
	s_xor_b64 s[0:1], exec, s[0:1]
; %bb.229:                              ;   in Loop: Header=BB348_211 Depth=1
	v_bfe_u32 v6, v2, 16, 1
	v_add3_u32 v9, v2, v6, s26
; %bb.230:                              ;   in Loop: Header=BB348_211 Depth=1
	s_andn2_saveexec_b64 s[0:1], s[0:1]
; %bb.231:                              ;   in Loop: Header=BB348_211 Depth=1
	v_or_b32_e32 v6, 0x10000, v2
	v_cmp_eq_u32_sdwa vcc, v2, v25 src0_sel:WORD_0 src1_sel:DWORD
	v_cndmask_b32_e32 v9, v6, v2, vcc
; %bb.232:                              ;   in Loop: Header=BB348_211 Depth=1
	s_or_b64 exec, exec, s[0:1]
	v_and_b32_e32 v2, 0x7f800000, v3
	v_cmp_ne_u32_e32 vcc, s25, v2
                                        ; implicit-def: $vgpr27
	s_and_saveexec_b64 s[0:1], vcc
	s_xor_b64 s[0:1], exec, s[0:1]
; %bb.233:                              ;   in Loop: Header=BB348_211 Depth=1
	v_bfe_u32 v2, v3, 16, 1
	v_add3_u32 v27, v3, v2, s26
; %bb.234:                              ;   in Loop: Header=BB348_211 Depth=1
	s_andn2_saveexec_b64 s[0:1], s[0:1]
; %bb.235:                              ;   in Loop: Header=BB348_211 Depth=1
	v_or_b32_e32 v2, 0x10000, v3
	v_cmp_eq_u32_sdwa vcc, v3, v25 src0_sel:WORD_0 src1_sel:DWORD
	v_cndmask_b32_e32 v27, v2, v3, vcc
; %bb.236:                              ;   in Loop: Header=BB348_211 Depth=1
	s_or_b64 exec, exec, s[0:1]
	v_and_b32_e32 v2, 0x7f800000, v4
	v_cmp_ne_u32_e32 vcc, s25, v2
                                        ; implicit-def: $vgpr28
	s_and_saveexec_b64 s[0:1], vcc
	s_xor_b64 s[0:1], exec, s[0:1]
; %bb.237:                              ;   in Loop: Header=BB348_211 Depth=1
	v_bfe_u32 v2, v4, 16, 1
	v_add3_u32 v28, v4, v2, s26
; %bb.238:                              ;   in Loop: Header=BB348_211 Depth=1
	s_andn2_saveexec_b64 s[0:1], s[0:1]
; %bb.239:                              ;   in Loop: Header=BB348_211 Depth=1
	v_or_b32_e32 v2, 0x10000, v4
	v_cmp_eq_u32_sdwa vcc, v4, v25 src0_sel:WORD_0 src1_sel:DWORD
	v_cndmask_b32_e32 v28, v2, v4, vcc
; %bb.240:                              ;   in Loop: Header=BB348_211 Depth=1
	s_or_b64 exec, exec, s[0:1]
	v_and_b32_e32 v2, 0x7f800000, v5
	v_cmp_ne_u32_e32 vcc, s25, v2
                                        ; implicit-def: $vgpr37
	s_and_saveexec_b64 s[0:1], vcc
	s_xor_b64 s[0:1], exec, s[0:1]
; %bb.241:                              ;   in Loop: Header=BB348_211 Depth=1
	v_bfe_u32 v2, v5, 16, 1
	v_add3_u32 v37, v5, v2, s26
                                        ; implicit-def: $vgpr2_vgpr3_vgpr4_vgpr5
; %bb.242:                              ;   in Loop: Header=BB348_211 Depth=1
	s_andn2_saveexec_b64 s[0:1], s[0:1]
; %bb.243:                              ;   in Loop: Header=BB348_211 Depth=1
	v_or_b32_e32 v2, 0x10000, v5
	v_cmp_eq_u32_sdwa vcc, v5, v25 src0_sel:WORD_0 src1_sel:DWORD
	v_cndmask_b32_e32 v37, v2, v5, vcc
; %bb.244:                              ;   in Loop: Header=BB348_211 Depth=1
	s_or_b64 exec, exec, s[0:1]
	s_waitcnt vmcnt(0)
	v_mad_i64_i32 v[2:3], s[0:1], v18, s22, v[12:13]
	global_load_dwordx2 v[4:5], v[2:3], off
	s_load_dword s37, s[14:15], 0x0
	v_mov_b32_e32 v6, 0
	s_waitcnt vmcnt(0)
	v_cmp_ne_u16_sdwa s[12:13], v4, v25 src0_sel:BYTE_0 src1_sel:DWORD
	s_and_saveexec_b64 s[0:1], s[12:13]
	s_cbranch_execz .LBB348_250
; %bb.245:                              ;   in Loop: Header=BB348_211 Depth=1
	v_cmp_ne_u16_sdwa s[16:17], v4, s27 src0_sel:BYTE_0 src1_sel:DWORD
	v_bfrev_b32_e32 v6, 1
	s_and_saveexec_b64 s[12:13], s[16:17]
	s_cbranch_execz .LBB348_249
; %bb.246:                              ;   in Loop: Header=BB348_211 Depth=1
	v_and_b32_e32 v7, 0x7f, v4
	v_cmp_ne_u32_e32 vcc, s36, v7
	v_mov_b32_e32 v6, 0x7f800001
	s_and_saveexec_b64 s[16:17], vcc
	s_cbranch_execz .LBB348_248
; %bb.247:                              ;   in Loop: Header=BB348_211 Depth=1
	v_and_b32_e32 v6, 7, v4
	v_ffbh_u32_e32 v6, v6
	v_min_u32_e32 v6, 32, v6
	v_lshrrev_b32_e32 v8, 3, v7
	v_subrev_u32_e32 v18, 28, v6
	v_sub_u32_e32 v6, 29, v6
	v_cmp_gt_u32_e32 vcc, 8, v7
	v_cndmask_b32_e32 v8, v8, v6, vcc
	v_cndmask_b32_e32 v6, 0, v18, vcc
	v_lshlrev_b64 v[6:7], v6, v[4:5]
	v_lshlrev_b32_e32 v6, 20, v6
	v_lshlrev_b32_e32 v7, 24, v4
	v_and_b32_e32 v6, 0x700000, v6
	v_and_b32_e32 v7, 0x80000000, v7
	v_lshl_add_u32 v8, v8, 23, v26
	v_or3_b32 v6, v7, v8, v6
.LBB348_248:                            ;   in Loop: Header=BB348_211 Depth=1
	s_or_b64 exec, exec, s[16:17]
.LBB348_249:                            ;   in Loop: Header=BB348_211 Depth=1
	s_or_b64 exec, exec, s[12:13]
.LBB348_250:                            ;   in Loop: Header=BB348_211 Depth=1
	s_or_b64 exec, exec, s[0:1]
	s_waitcnt lgkmcnt(0)
	v_mul_f32_e32 v6, s37, v6
	v_and_b32_e32 v7, 0x7f800000, v6
	v_cmp_ne_u32_e32 vcc, s25, v7
                                        ; implicit-def: $vgpr7
	s_and_saveexec_b64 s[0:1], vcc
	s_xor_b64 s[0:1], exec, s[0:1]
; %bb.251:                              ;   in Loop: Header=BB348_211 Depth=1
	v_bfe_u32 v7, v6, 16, 1
	v_add3_u32 v7, v6, v7, s26
                                        ; implicit-def: $vgpr6
; %bb.252:                              ;   in Loop: Header=BB348_211 Depth=1
	s_andn2_saveexec_b64 s[0:1], s[0:1]
; %bb.253:                              ;   in Loop: Header=BB348_211 Depth=1
	v_or_b32_e32 v7, 0x10000, v6
	v_cmp_eq_u32_sdwa vcc, v6, v25 src0_sel:WORD_0 src1_sel:DWORD
	v_cndmask_b32_e32 v7, v7, v6, vcc
; %bb.254:                              ;   in Loop: Header=BB348_211 Depth=1
	s_or_b64 exec, exec, s[0:1]
	v_lshrrev_b16_e32 v6, 8, v4
	v_cmp_ne_u16_e32 vcc, 0, v6
	v_mov_b32_e32 v8, 0
	s_and_saveexec_b64 s[0:1], vcc
	s_cbranch_execz .LBB348_260
; %bb.255:                              ;   in Loop: Header=BB348_211 Depth=1
	v_cmp_ne_u16_e32 vcc, s27, v6
	v_bfrev_b32_e32 v8, 1
	s_and_saveexec_b64 s[12:13], vcc
	s_cbranch_execz .LBB348_259
; %bb.256:                              ;   in Loop: Header=BB348_211 Depth=1
	v_and_b32_e32 v18, 0x7f, v6
	v_cmp_ne_u32_e32 vcc, s36, v18
	v_mov_b32_e32 v8, 0x7f800001
	s_and_saveexec_b64 s[16:17], vcc
	s_cbranch_execz .LBB348_258
; %bb.257:                              ;   in Loop: Header=BB348_211 Depth=1
	v_and_b32_e32 v8, 7, v6
	v_ffbh_u32_e32 v30, v8
	v_min_u32_e32 v32, 32, v30
	v_subrev_u32_e32 v30, 28, v32
	v_lshlrev_b64 v[30:31], v30, v[6:7]
	v_lshrrev_b32_e32 v29, 3, v18
	v_sub_u32_e32 v6, 29, v32
	v_and_b32_e32 v30, 7, v30
	v_cmp_gt_u32_e32 vcc, 8, v18
	v_cndmask_b32_e32 v6, v29, v6, vcc
	v_cndmask_b32_e32 v8, v8, v30, vcc
	v_lshlrev_b32_e32 v18, 16, v4
	v_lshlrev_b32_e32 v8, 20, v8
	v_and_b32_e32 v18, 0x80000000, v18
	v_lshl_add_u32 v6, v6, 23, v26
	v_or3_b32 v8, v18, v6, v8
.LBB348_258:                            ;   in Loop: Header=BB348_211 Depth=1
	s_or_b64 exec, exec, s[16:17]
.LBB348_259:                            ;   in Loop: Header=BB348_211 Depth=1
	s_or_b64 exec, exec, s[12:13]
.LBB348_260:                            ;   in Loop: Header=BB348_211 Depth=1
	s_or_b64 exec, exec, s[0:1]
	v_mul_f32_e32 v6, s37, v8
	v_and_b32_e32 v8, 0x7f800000, v6
	v_cmp_ne_u32_e32 vcc, s25, v8
                                        ; implicit-def: $vgpr8
	s_and_saveexec_b64 s[0:1], vcc
	s_xor_b64 s[0:1], exec, s[0:1]
; %bb.261:                              ;   in Loop: Header=BB348_211 Depth=1
	v_bfe_u32 v8, v6, 16, 1
	v_add3_u32 v8, v6, v8, s26
                                        ; implicit-def: $vgpr6
; %bb.262:                              ;   in Loop: Header=BB348_211 Depth=1
	s_andn2_saveexec_b64 s[0:1], s[0:1]
; %bb.263:                              ;   in Loop: Header=BB348_211 Depth=1
	v_or_b32_e32 v8, 0x10000, v6
	v_cmp_eq_u32_sdwa vcc, v6, v25 src0_sel:WORD_0 src1_sel:DWORD
	v_cndmask_b32_e32 v8, v8, v6, vcc
; %bb.264:                              ;   in Loop: Header=BB348_211 Depth=1
	s_or_b64 exec, exec, s[0:1]
	v_lshrrev_b32_e32 v6, 16, v4
	v_cmp_ne_u16_sdwa s[12:13], v6, v25 src0_sel:BYTE_0 src1_sel:DWORD
	v_mov_b32_e32 v18, 0
	s_and_saveexec_b64 s[0:1], s[12:13]
	s_cbranch_execz .LBB348_270
; %bb.265:                              ;   in Loop: Header=BB348_211 Depth=1
	v_cmp_ne_u16_sdwa s[16:17], v6, s27 src0_sel:BYTE_0 src1_sel:DWORD
	v_bfrev_b32_e32 v18, 1
	s_and_saveexec_b64 s[12:13], s[16:17]
	s_cbranch_execz .LBB348_269
; %bb.266:                              ;   in Loop: Header=BB348_211 Depth=1
	v_bfe_u32 v29, v4, 16, 7
	v_cmp_ne_u32_e32 vcc, s36, v29
	v_mov_b32_e32 v18, 0x7f800001
	s_and_saveexec_b64 s[16:17], vcc
	s_cbranch_execz .LBB348_268
; %bb.267:                              ;   in Loop: Header=BB348_211 Depth=1
	v_and_b32_e32 v18, 7, v6
	v_ffbh_u32_e32 v30, v18
	v_min_u32_e32 v33, 32, v30
	v_subrev_u32_e32 v30, 28, v33
	v_lshlrev_b64 v[30:31], v30, v[6:7]
	v_lshrrev_b32_e32 v32, 3, v29
	v_sub_u32_e32 v31, 29, v33
	v_and_b32_e32 v30, 7, v30
	v_cmp_gt_u32_e32 vcc, 8, v29
	v_cndmask_b32_e32 v29, v32, v31, vcc
	v_cndmask_b32_e32 v18, v18, v30, vcc
	v_lshlrev_b32_e32 v6, 24, v6
	v_lshlrev_b32_e32 v18, 20, v18
	v_and_b32_e32 v6, 0x80000000, v6
	v_lshl_add_u32 v29, v29, 23, v26
	v_or3_b32 v18, v6, v29, v18
.LBB348_268:                            ;   in Loop: Header=BB348_211 Depth=1
	s_or_b64 exec, exec, s[16:17]
.LBB348_269:                            ;   in Loop: Header=BB348_211 Depth=1
	s_or_b64 exec, exec, s[12:13]
.LBB348_270:                            ;   in Loop: Header=BB348_211 Depth=1
	s_or_b64 exec, exec, s[0:1]
	v_mul_f32_e32 v6, s37, v18
	v_and_b32_e32 v18, 0x7f800000, v6
	v_cmp_ne_u32_e32 vcc, s25, v18
                                        ; implicit-def: $vgpr30
	s_and_saveexec_b64 s[0:1], vcc
	s_xor_b64 s[0:1], exec, s[0:1]
; %bb.271:                              ;   in Loop: Header=BB348_211 Depth=1
	v_bfe_u32 v18, v6, 16, 1
	v_add3_u32 v30, v6, v18, s26
                                        ; implicit-def: $vgpr6
; %bb.272:                              ;   in Loop: Header=BB348_211 Depth=1
	s_andn2_saveexec_b64 s[0:1], s[0:1]
; %bb.273:                              ;   in Loop: Header=BB348_211 Depth=1
	v_or_b32_e32 v18, 0x10000, v6
	v_cmp_eq_u32_sdwa vcc, v6, v25 src0_sel:WORD_0 src1_sel:DWORD
	v_cndmask_b32_e32 v30, v18, v6, vcc
; %bb.274:                              ;   in Loop: Header=BB348_211 Depth=1
	s_or_b64 exec, exec, s[0:1]
	v_cmp_lt_u32_e32 vcc, s5, v4
	v_mov_b32_e32 v18, 0
	s_and_saveexec_b64 s[0:1], vcc
	s_cbranch_execz .LBB348_280
; %bb.275:                              ;   in Loop: Header=BB348_211 Depth=1
	v_lshrrev_b32_e32 v6, 24, v4
	v_cmp_ne_u32_e32 vcc, s27, v6
	v_bfrev_b32_e32 v18, 1
	s_and_saveexec_b64 s[12:13], vcc
	s_cbranch_execz .LBB348_279
; %bb.276:                              ;   in Loop: Header=BB348_211 Depth=1
	v_bfe_u32 v29, v4, 24, 7
	v_cmp_ne_u32_e32 vcc, s36, v29
	v_mov_b32_e32 v18, 0x7f800001
	s_and_saveexec_b64 s[16:17], vcc
	s_cbranch_execz .LBB348_278
; %bb.277:                              ;   in Loop: Header=BB348_211 Depth=1
	v_and_b32_e32 v18, 7, v6
	v_ffbh_u32_e32 v32, v18
	v_min_u32_e32 v34, 32, v32
	v_subrev_u32_e32 v32, 28, v34
	v_lshlrev_b64 v[32:33], v32, v[6:7]
	v_lshrrev_b32_e32 v31, 3, v29
	v_sub_u32_e32 v33, 29, v34
	v_and_b32_e32 v32, 7, v32
	v_cmp_gt_u32_e32 vcc, 8, v29
	v_cndmask_b32_e32 v29, v31, v33, vcc
	v_cndmask_b32_e32 v18, v18, v32, vcc
	v_lshlrev_b32_e32 v6, 24, v6
	v_lshlrev_b32_e32 v18, 20, v18
	v_and_b32_e32 v6, 0x80000000, v6
	v_lshl_add_u32 v29, v29, 23, v26
	v_or3_b32 v18, v6, v29, v18
.LBB348_278:                            ;   in Loop: Header=BB348_211 Depth=1
	s_or_b64 exec, exec, s[16:17]
.LBB348_279:                            ;   in Loop: Header=BB348_211 Depth=1
	s_or_b64 exec, exec, s[12:13]
.LBB348_280:                            ;   in Loop: Header=BB348_211 Depth=1
	s_or_b64 exec, exec, s[0:1]
	v_mul_f32_e32 v6, s37, v18
	v_and_b32_e32 v18, 0x7f800000, v6
	v_cmp_ne_u32_e32 vcc, s25, v18
                                        ; implicit-def: $vgpr31
	s_and_saveexec_b64 s[0:1], vcc
	s_xor_b64 s[0:1], exec, s[0:1]
; %bb.281:                              ;   in Loop: Header=BB348_211 Depth=1
	v_bfe_u32 v18, v6, 16, 1
	v_add3_u32 v31, v6, v18, s26
                                        ; implicit-def: $vgpr6
; %bb.282:                              ;   in Loop: Header=BB348_211 Depth=1
	s_andn2_saveexec_b64 s[0:1], s[0:1]
; %bb.283:                              ;   in Loop: Header=BB348_211 Depth=1
	v_or_b32_e32 v18, 0x10000, v6
	v_cmp_eq_u32_sdwa vcc, v6, v25 src0_sel:WORD_0 src1_sel:DWORD
	v_cndmask_b32_e32 v31, v18, v6, vcc
; %bb.284:                              ;   in Loop: Header=BB348_211 Depth=1
	s_or_b64 exec, exec, s[0:1]
	v_mov_b32_e32 v18, v5
	v_cmp_ne_u16_sdwa s[12:13], v5, v25 src0_sel:BYTE_0 src1_sel:DWORD
	v_mov_b32_e32 v6, 0
	s_and_saveexec_b64 s[0:1], s[12:13]
	s_cbranch_execz .LBB348_290
; %bb.285:                              ;   in Loop: Header=BB348_211 Depth=1
	v_cmp_ne_u16_sdwa s[16:17], v5, s27 src0_sel:BYTE_0 src1_sel:DWORD
	v_bfrev_b32_e32 v6, 1
	s_and_saveexec_b64 s[12:13], s[16:17]
	s_cbranch_execz .LBB348_289
; %bb.286:                              ;   in Loop: Header=BB348_211 Depth=1
	v_and_b32_e32 v29, 0x7f, v5
	v_cmp_ne_u32_e32 vcc, s36, v29
	v_mov_b32_e32 v6, 0x7f800001
	s_and_saveexec_b64 s[16:17], vcc
	s_cbranch_execz .LBB348_288
; %bb.287:                              ;   in Loop: Header=BB348_211 Depth=1
	v_and_b32_e32 v6, 7, v5
	v_ffbh_u32_e32 v6, v6
	v_min_u32_e32 v6, 32, v6
	v_subrev_u32_e32 v33, 28, v6
	v_cmp_gt_u32_e32 vcc, 8, v29
	v_lshrrev_b32_e32 v32, 3, v29
	v_sub_u32_e32 v6, 29, v6
	v_cndmask_b32_e32 v29, 0, v33, vcc
	v_cndmask_b32_e32 v6, v32, v6, vcc
	v_lshlrev_b64 v[32:33], v29, v[18:19]
	v_lshlrev_b32_e32 v29, 20, v32
	v_lshlrev_b32_e32 v32, 24, v18
	v_and_b32_e32 v29, 0x700000, v29
	v_and_b32_e32 v32, 0x80000000, v32
	v_lshl_add_u32 v6, v6, 23, v26
	v_or3_b32 v6, v32, v6, v29
.LBB348_288:                            ;   in Loop: Header=BB348_211 Depth=1
	s_or_b64 exec, exec, s[16:17]
.LBB348_289:                            ;   in Loop: Header=BB348_211 Depth=1
	s_or_b64 exec, exec, s[12:13]
.LBB348_290:                            ;   in Loop: Header=BB348_211 Depth=1
	s_or_b64 exec, exec, s[0:1]
	v_mul_f32_e32 v6, s37, v6
	v_and_b32_e32 v29, 0x7f800000, v6
	v_cmp_ne_u32_e32 vcc, s25, v29
                                        ; implicit-def: $vgpr32
	s_and_saveexec_b64 s[0:1], vcc
	s_xor_b64 s[0:1], exec, s[0:1]
; %bb.291:                              ;   in Loop: Header=BB348_211 Depth=1
	v_bfe_u32 v29, v6, 16, 1
	v_add3_u32 v32, v6, v29, s26
                                        ; implicit-def: $vgpr6
; %bb.292:                              ;   in Loop: Header=BB348_211 Depth=1
	s_andn2_saveexec_b64 s[0:1], s[0:1]
; %bb.293:                              ;   in Loop: Header=BB348_211 Depth=1
	v_or_b32_e32 v29, 0x10000, v6
	v_cmp_eq_u32_sdwa vcc, v6, v25 src0_sel:WORD_0 src1_sel:DWORD
	v_cndmask_b32_e32 v32, v29, v6, vcc
; %bb.294:                              ;   in Loop: Header=BB348_211 Depth=1
	s_or_b64 exec, exec, s[0:1]
	v_lshrrev_b16_e32 v6, 8, v18
	v_cmp_ne_u16_e32 vcc, 0, v6
	v_mov_b32_e32 v29, 0
	s_and_saveexec_b64 s[0:1], vcc
	s_cbranch_execz .LBB348_300
; %bb.295:                              ;   in Loop: Header=BB348_211 Depth=1
	v_cmp_ne_u16_e32 vcc, s27, v6
	v_bfrev_b32_e32 v29, 1
	s_and_saveexec_b64 s[12:13], vcc
	s_cbranch_execz .LBB348_299
; %bb.296:                              ;   in Loop: Header=BB348_211 Depth=1
	v_and_b32_e32 v33, 0x7f, v6
	v_cmp_ne_u32_e32 vcc, s36, v33
	v_mov_b32_e32 v29, 0x7f800001
	s_and_saveexec_b64 s[16:17], vcc
	s_cbranch_execz .LBB348_298
; %bb.297:                              ;   in Loop: Header=BB348_211 Depth=1
	v_and_b32_e32 v29, 7, v6
	v_ffbh_u32_e32 v34, v29
	v_min_u32_e32 v42, 32, v34
	v_subrev_u32_e32 v34, 28, v42
	v_lshlrev_b64 v[34:35], v34, v[6:7]
	v_lshrrev_b32_e32 v36, 3, v33
	v_sub_u32_e32 v6, 29, v42
	v_and_b32_e32 v34, 7, v34
	v_cmp_gt_u32_e32 vcc, 8, v33
	v_cndmask_b32_e32 v6, v36, v6, vcc
	v_cndmask_b32_e32 v29, v29, v34, vcc
	v_lshlrev_b32_e32 v18, 16, v18
	v_lshlrev_b32_e32 v29, 20, v29
	v_and_b32_e32 v18, 0x80000000, v18
	v_lshl_add_u32 v6, v6, 23, v26
	v_or3_b32 v29, v18, v6, v29
.LBB348_298:                            ;   in Loop: Header=BB348_211 Depth=1
	s_or_b64 exec, exec, s[16:17]
.LBB348_299:                            ;   in Loop: Header=BB348_211 Depth=1
	s_or_b64 exec, exec, s[12:13]
.LBB348_300:                            ;   in Loop: Header=BB348_211 Depth=1
	s_or_b64 exec, exec, s[0:1]
	v_mul_f32_e32 v6, s37, v29
	v_and_b32_e32 v18, 0x7f800000, v6
	v_cmp_ne_u32_e32 vcc, s25, v18
                                        ; implicit-def: $vgpr18
	s_and_saveexec_b64 s[0:1], vcc
	s_xor_b64 s[0:1], exec, s[0:1]
; %bb.301:                              ;   in Loop: Header=BB348_211 Depth=1
	v_bfe_u32 v18, v6, 16, 1
	v_add3_u32 v18, v6, v18, s26
                                        ; implicit-def: $vgpr6
; %bb.302:                              ;   in Loop: Header=BB348_211 Depth=1
	s_andn2_saveexec_b64 s[0:1], s[0:1]
; %bb.303:                              ;   in Loop: Header=BB348_211 Depth=1
	v_or_b32_e32 v18, 0x10000, v6
	v_cmp_eq_u32_sdwa vcc, v6, v25 src0_sel:WORD_0 src1_sel:DWORD
	v_cndmask_b32_e32 v18, v18, v6, vcc
; %bb.304:                              ;   in Loop: Header=BB348_211 Depth=1
	s_or_b64 exec, exec, s[0:1]
	v_lshrrev_b32_e32 v6, 16, v5
	v_cmp_ne_u16_sdwa s[12:13], v6, v25 src0_sel:BYTE_0 src1_sel:DWORD
	v_mov_b32_e32 v29, 0
	s_and_saveexec_b64 s[0:1], s[12:13]
	s_cbranch_execz .LBB348_310
; %bb.305:                              ;   in Loop: Header=BB348_211 Depth=1
	v_cmp_ne_u16_sdwa s[16:17], v6, s27 src0_sel:BYTE_0 src1_sel:DWORD
	v_bfrev_b32_e32 v29, 1
	s_and_saveexec_b64 s[12:13], s[16:17]
	s_cbranch_execz .LBB348_309
; %bb.306:                              ;   in Loop: Header=BB348_211 Depth=1
	v_bfe_u32 v33, v5, 16, 7
	v_cmp_ne_u32_e32 vcc, s36, v33
	v_mov_b32_e32 v29, 0x7f800001
	s_and_saveexec_b64 s[16:17], vcc
	s_cbranch_execz .LBB348_308
; %bb.307:                              ;   in Loop: Header=BB348_211 Depth=1
	v_and_b32_e32 v29, 7, v6
	v_ffbh_u32_e32 v34, v29
	v_min_u32_e32 v42, 32, v34
	v_subrev_u32_e32 v34, 28, v42
	v_lshlrev_b64 v[34:35], v34, v[6:7]
	v_lshrrev_b32_e32 v36, 3, v33
	v_sub_u32_e32 v35, 29, v42
	v_and_b32_e32 v34, 7, v34
	v_cmp_gt_u32_e32 vcc, 8, v33
	v_cndmask_b32_e32 v33, v36, v35, vcc
	v_cndmask_b32_e32 v29, v29, v34, vcc
	v_lshlrev_b32_e32 v6, 24, v6
	v_lshlrev_b32_e32 v29, 20, v29
	v_and_b32_e32 v6, 0x80000000, v6
	v_lshl_add_u32 v33, v33, 23, v26
	v_or3_b32 v29, v6, v33, v29
.LBB348_308:                            ;   in Loop: Header=BB348_211 Depth=1
	s_or_b64 exec, exec, s[16:17]
.LBB348_309:                            ;   in Loop: Header=BB348_211 Depth=1
	s_or_b64 exec, exec, s[12:13]
.LBB348_310:                            ;   in Loop: Header=BB348_211 Depth=1
	s_or_b64 exec, exec, s[0:1]
	v_mul_f32_e32 v29, s37, v29
	v_and_b32_e32 v6, 0x7f800000, v29
	v_cmp_ne_u32_e32 vcc, s25, v6
                                        ; implicit-def: $vgpr6
	s_and_saveexec_b64 s[0:1], vcc
	s_xor_b64 s[0:1], exec, s[0:1]
; %bb.311:                              ;   in Loop: Header=BB348_211 Depth=1
	v_bfe_u32 v6, v29, 16, 1
	v_add3_u32 v6, v29, v6, s26
                                        ; implicit-def: $vgpr29
; %bb.312:                              ;   in Loop: Header=BB348_211 Depth=1
	s_andn2_saveexec_b64 s[0:1], s[0:1]
; %bb.313:                              ;   in Loop: Header=BB348_211 Depth=1
	v_or_b32_e32 v6, 0x10000, v29
	v_cmp_eq_u32_sdwa vcc, v29, v25 src0_sel:WORD_0 src1_sel:DWORD
	v_cndmask_b32_e32 v6, v6, v29, vcc
; %bb.314:                              ;   in Loop: Header=BB348_211 Depth=1
	s_or_b64 exec, exec, s[0:1]
	v_cmp_lt_u64_e32 vcc, s[4:5], v[4:5]
	v_mov_b32_e32 v29, 0
	s_and_saveexec_b64 s[0:1], vcc
	s_cbranch_execz .LBB348_320
; %bb.315:                              ;   in Loop: Header=BB348_211 Depth=1
	v_lshrrev_b32_e32 v4, 24, v5
	v_cmp_ne_u32_e32 vcc, s27, v4
	v_bfrev_b32_e32 v29, 1
	s_and_saveexec_b64 s[12:13], vcc
	s_cbranch_execz .LBB348_319
; %bb.316:                              ;   in Loop: Header=BB348_211 Depth=1
	v_bfe_u32 v5, v5, 24, 7
	v_cmp_ne_u32_e32 vcc, s36, v5
	v_mov_b32_e32 v29, 0x7f800001
	s_and_saveexec_b64 s[16:17], vcc
	s_cbranch_execz .LBB348_318
; %bb.317:                              ;   in Loop: Header=BB348_211 Depth=1
	v_and_b32_e32 v29, 7, v4
	v_ffbh_u32_e32 v34, v29
	v_min_u32_e32 v36, 32, v34
	v_subrev_u32_e32 v34, 28, v36
	v_lshlrev_b64 v[34:35], v34, v[4:5]
	v_lshrrev_b32_e32 v33, 3, v5
	v_sub_u32_e32 v35, 29, v36
	v_and_b32_e32 v34, 7, v34
	v_cmp_gt_u32_e32 vcc, 8, v5
	v_cndmask_b32_e32 v5, v33, v35, vcc
	v_cndmask_b32_e32 v29, v29, v34, vcc
	v_lshlrev_b32_e32 v4, 24, v4
	v_lshlrev_b32_e32 v29, 20, v29
	v_and_b32_e32 v4, 0x80000000, v4
	v_lshl_add_u32 v5, v5, 23, v26
	v_or3_b32 v29, v4, v5, v29
.LBB348_318:                            ;   in Loop: Header=BB348_211 Depth=1
	s_or_b64 exec, exec, s[16:17]
.LBB348_319:                            ;   in Loop: Header=BB348_211 Depth=1
	s_or_b64 exec, exec, s[12:13]
.LBB348_320:                            ;   in Loop: Header=BB348_211 Depth=1
	s_or_b64 exec, exec, s[0:1]
	v_mul_f32_e32 v5, s37, v29
	v_and_b32_e32 v4, 0x7f800000, v5
	v_cmp_ne_u32_e32 vcc, s25, v4
                                        ; implicit-def: $vgpr4
	s_and_saveexec_b64 s[0:1], vcc
	s_xor_b64 s[0:1], exec, s[0:1]
; %bb.321:                              ;   in Loop: Header=BB348_211 Depth=1
	v_bfe_u32 v4, v5, 16, 1
	v_add3_u32 v4, v5, v4, s26
                                        ; implicit-def: $vgpr5
; %bb.322:                              ;   in Loop: Header=BB348_211 Depth=1
	s_andn2_saveexec_b64 s[0:1], s[0:1]
; %bb.323:                              ;   in Loop: Header=BB348_211 Depth=1
	v_or_b32_e32 v4, 0x10000, v5
	v_cmp_eq_u32_sdwa vcc, v5, v25 src0_sel:WORD_0 src1_sel:DWORD
	v_cndmask_b32_e32 v4, v4, v5, vcc
; %bb.324:                              ;   in Loop: Header=BB348_211 Depth=1
	s_or_b64 exec, exec, s[0:1]
	v_add_u32_e32 v29, v23, v1
	v_cmp_eq_u32_e32 vcc, s24, v10
	v_lshrrev_b32_e32 v44, 16, v18
	v_lshrrev_b32_e32 v43, 16, v32
	;; [unrolled: 1-line block ×8, first 2 shown]
	v_add_u32_e32 v36, 1, v29
	v_add_u32_e32 v35, 2, v29
	;; [unrolled: 1-line block ×7, first 2 shown]
	s_and_saveexec_b64 s[12:13], vcc
	s_cbranch_execz .LBB348_326
; %bb.325:                              ;   in Loop: Header=BB348_211 Depth=1
	v_cmp_gt_i32_e64 s[0:1], s33, v29
	v_cndmask_b32_e64 v5, 0, v5, s[0:1]
	v_cmp_gt_i32_e64 s[0:1], s33, v36
	v_cndmask_b32_e64 v8, 0, v8, s[0:1]
	;; [unrolled: 2-line block ×8, first 2 shown]
.LBB348_326:                            ;   in Loop: Header=BB348_211 Depth=1
	s_or_b64 exec, exec, s[12:13]
	v_and_b32_e32 v38, 0xffff0000, v38
	v_lshlrev_b32_e32 v5, 16, v5
	v_mul_f32_e32 v6, v38, v5
	v_and_b32_e32 v5, 0x7f800000, v6
	v_cmp_ne_u32_e64 s[0:1], s25, v5
                                        ; implicit-def: $vgpr5
	s_and_saveexec_b64 s[12:13], s[0:1]
	s_xor_b64 s[0:1], exec, s[12:13]
; %bb.327:                              ;   in Loop: Header=BB348_211 Depth=1
	v_bfe_u32 v5, v6, 16, 1
	v_add3_u32 v5, v6, v5, s26
                                        ; implicit-def: $vgpr6
; %bb.328:                              ;   in Loop: Header=BB348_211 Depth=1
	s_andn2_saveexec_b64 s[12:13], s[0:1]
; %bb.329:                              ;   in Loop: Header=BB348_211 Depth=1
	v_or_b32_e32 v5, 0x10000, v6
	v_cmp_eq_u32_sdwa s[0:1], v6, v25 src0_sel:WORD_0 src1_sel:DWORD
	v_cndmask_b32_e64 v5, v5, v6, s[0:1]
; %bb.330:                              ;   in Loop: Header=BB348_211 Depth=1
	s_or_b64 exec, exec, s[12:13]
	v_and_b32_e32 v39, 0xffff0000, v39
	v_lshlrev_b32_e32 v6, 16, v8
	v_mul_f32_e32 v7, v39, v6
	v_and_b32_e32 v6, 0x7f800000, v7
	v_cmp_ne_u32_e64 s[0:1], s25, v6
                                        ; implicit-def: $vgpr6
	s_and_saveexec_b64 s[12:13], s[0:1]
	s_xor_b64 s[0:1], exec, s[12:13]
; %bb.331:                              ;   in Loop: Header=BB348_211 Depth=1
	v_bfe_u32 v6, v7, 16, 1
	v_add3_u32 v6, v7, v6, s26
                                        ; implicit-def: $vgpr7
; %bb.332:                              ;   in Loop: Header=BB348_211 Depth=1
	s_andn2_saveexec_b64 s[12:13], s[0:1]
; %bb.333:                              ;   in Loop: Header=BB348_211 Depth=1
	v_or_b32_e32 v6, 0x10000, v7
	v_cmp_eq_u32_sdwa s[0:1], v7, v25 src0_sel:WORD_0 src1_sel:DWORD
	v_cndmask_b32_e64 v6, v6, v7, s[0:1]
; %bb.334:                              ;   in Loop: Header=BB348_211 Depth=1
	s_or_b64 exec, exec, s[12:13]
	v_and_b32_e32 v40, 0xffff0000, v40
	v_lshlrev_b32_e32 v7, 16, v45
	v_mul_f32_e32 v8, v40, v7
	v_and_b32_e32 v7, 0x7f800000, v8
	v_cmp_ne_u32_e64 s[0:1], s25, v7
                                        ; implicit-def: $vgpr7
	s_and_saveexec_b64 s[12:13], s[0:1]
	s_xor_b64 s[0:1], exec, s[12:13]
; %bb.335:                              ;   in Loop: Header=BB348_211 Depth=1
	v_bfe_u32 v7, v8, 16, 1
	v_add3_u32 v7, v8, v7, s26
                                        ; implicit-def: $vgpr8
; %bb.336:                              ;   in Loop: Header=BB348_211 Depth=1
	s_andn2_saveexec_b64 s[12:13], s[0:1]
; %bb.337:                              ;   in Loop: Header=BB348_211 Depth=1
	v_or_b32_e32 v7, 0x10000, v8
	v_cmp_eq_u32_sdwa s[0:1], v8, v25 src0_sel:WORD_0 src1_sel:DWORD
	v_cndmask_b32_e64 v7, v7, v8, s[0:1]
; %bb.338:                              ;   in Loop: Header=BB348_211 Depth=1
	s_or_b64 exec, exec, s[12:13]
	v_and_b32_e32 v41, 0xffff0000, v41
	v_lshlrev_b32_e32 v8, 16, v42
	v_mul_f32_e32 v42, v41, v8
	v_and_b32_e32 v8, 0x7f800000, v42
	v_cmp_ne_u32_e64 s[0:1], s25, v8
                                        ; implicit-def: $vgpr8
	s_and_saveexec_b64 s[12:13], s[0:1]
	s_xor_b64 s[0:1], exec, s[12:13]
; %bb.339:                              ;   in Loop: Header=BB348_211 Depth=1
	v_bfe_u32 v8, v42, 16, 1
	v_add3_u32 v8, v42, v8, s26
                                        ; implicit-def: $vgpr42
; %bb.340:                              ;   in Loop: Header=BB348_211 Depth=1
	s_andn2_saveexec_b64 s[12:13], s[0:1]
; %bb.341:                              ;   in Loop: Header=BB348_211 Depth=1
	v_or_b32_e32 v8, 0x10000, v42
	v_cmp_eq_u32_sdwa s[0:1], v42, v25 src0_sel:WORD_0 src1_sel:DWORD
	v_cndmask_b32_e64 v8, v8, v42, s[0:1]
; %bb.342:                              ;   in Loop: Header=BB348_211 Depth=1
	s_or_b64 exec, exec, s[12:13]
	v_and_b32_e32 v42, 0xffff0000, v9
	v_lshlrev_b32_e32 v9, 16, v43
	v_mul_f32_e32 v43, v42, v9
	v_and_b32_e32 v9, 0x7f800000, v43
	v_cmp_ne_u32_e64 s[0:1], s25, v9
                                        ; implicit-def: $vgpr9
	s_and_saveexec_b64 s[12:13], s[0:1]
	s_xor_b64 s[0:1], exec, s[12:13]
; %bb.343:                              ;   in Loop: Header=BB348_211 Depth=1
	v_bfe_u32 v9, v43, 16, 1
	v_add3_u32 v9, v43, v9, s26
                                        ; implicit-def: $vgpr43
; %bb.344:                              ;   in Loop: Header=BB348_211 Depth=1
	s_andn2_saveexec_b64 s[12:13], s[0:1]
; %bb.345:                              ;   in Loop: Header=BB348_211 Depth=1
	v_or_b32_e32 v9, 0x10000, v43
	v_cmp_eq_u32_sdwa s[0:1], v43, v25 src0_sel:WORD_0 src1_sel:DWORD
	v_cndmask_b32_e64 v9, v9, v43, s[0:1]
; %bb.346:                              ;   in Loop: Header=BB348_211 Depth=1
	s_or_b64 exec, exec, s[12:13]
	v_and_b32_e32 v43, 0xffff0000, v27
	v_lshlrev_b32_e32 v27, 16, v44
	v_mul_f32_e32 v44, v43, v27
	v_and_b32_e32 v27, 0x7f800000, v44
	v_cmp_ne_u32_e64 s[0:1], s25, v27
                                        ; implicit-def: $vgpr27
	s_and_saveexec_b64 s[12:13], s[0:1]
	s_xor_b64 s[0:1], exec, s[12:13]
; %bb.347:                              ;   in Loop: Header=BB348_211 Depth=1
	v_bfe_u32 v27, v44, 16, 1
	v_add3_u32 v27, v44, v27, s26
                                        ; implicit-def: $vgpr44
; %bb.348:                              ;   in Loop: Header=BB348_211 Depth=1
	s_andn2_saveexec_b64 s[12:13], s[0:1]
; %bb.349:                              ;   in Loop: Header=BB348_211 Depth=1
	v_or_b32_e32 v27, 0x10000, v44
	v_cmp_eq_u32_sdwa s[0:1], v44, v25 src0_sel:WORD_0 src1_sel:DWORD
	v_cndmask_b32_e64 v27, v27, v44, s[0:1]
; %bb.350:                              ;   in Loop: Header=BB348_211 Depth=1
	s_or_b64 exec, exec, s[12:13]
	v_and_b32_e32 v44, 0xffff0000, v28
	v_lshlrev_b32_e32 v18, 16, v18
	v_mul_f32_e32 v18, v44, v18
	v_and_b32_e32 v28, 0x7f800000, v18
	v_cmp_ne_u32_e64 s[0:1], s25, v28
                                        ; implicit-def: $vgpr28
	s_and_saveexec_b64 s[12:13], s[0:1]
	s_xor_b64 s[0:1], exec, s[12:13]
; %bb.351:                              ;   in Loop: Header=BB348_211 Depth=1
	v_bfe_u32 v28, v18, 16, 1
	v_add3_u32 v28, v18, v28, s26
                                        ; implicit-def: $vgpr18
; %bb.352:                              ;   in Loop: Header=BB348_211 Depth=1
	s_andn2_saveexec_b64 s[12:13], s[0:1]
; %bb.353:                              ;   in Loop: Header=BB348_211 Depth=1
	v_or_b32_e32 v28, 0x10000, v18
	v_cmp_eq_u32_sdwa s[0:1], v18, v25 src0_sel:WORD_0 src1_sel:DWORD
	v_cndmask_b32_e64 v28, v28, v18, s[0:1]
; %bb.354:                              ;   in Loop: Header=BB348_211 Depth=1
	s_or_b64 exec, exec, s[12:13]
	v_and_b32_e32 v45, 0xffff0000, v37
	v_lshlrev_b32_e32 v4, 16, v4
	v_mul_f32_e32 v4, v45, v4
	v_and_b32_e32 v18, 0x7f800000, v4
	v_cmp_ne_u32_e64 s[0:1], s25, v18
                                        ; implicit-def: $vgpr37
	s_and_saveexec_b64 s[12:13], s[0:1]
	s_xor_b64 s[0:1], exec, s[12:13]
; %bb.355:                              ;   in Loop: Header=BB348_211 Depth=1
	v_bfe_u32 v18, v4, 16, 1
	v_add3_u32 v37, v4, v18, s26
                                        ; implicit-def: $vgpr4
; %bb.356:                              ;   in Loop: Header=BB348_211 Depth=1
	s_andn2_saveexec_b64 s[12:13], s[0:1]
; %bb.357:                              ;   in Loop: Header=BB348_211 Depth=1
	v_or_b32_e32 v18, 0x10000, v4
	v_cmp_eq_u32_sdwa s[0:1], v4, v25 src0_sel:WORD_0 src1_sel:DWORD
	v_cndmask_b32_e64 v37, v18, v4, s[0:1]
; %bb.358:                              ;   in Loop: Header=BB348_211 Depth=1
	s_or_b64 exec, exec, s[12:13]
	global_load_dwordx2 v[2:3], v[2:3], off offset:512
	v_mov_b32_e32 v4, 0
	s_waitcnt vmcnt(0)
	v_cmp_ne_u16_sdwa s[0:1], v2, v25 src0_sel:BYTE_0 src1_sel:DWORD
	s_and_saveexec_b64 s[12:13], s[0:1]
	s_cbranch_execz .LBB348_364
; %bb.359:                              ;   in Loop: Header=BB348_211 Depth=1
	v_cmp_ne_u16_sdwa s[0:1], v2, s27 src0_sel:BYTE_0 src1_sel:DWORD
	v_bfrev_b32_e32 v4, 1
	s_and_saveexec_b64 s[16:17], s[0:1]
	s_cbranch_execz .LBB348_363
; %bb.360:                              ;   in Loop: Header=BB348_211 Depth=1
	v_and_b32_e32 v18, 0x7f, v2
	v_cmp_ne_u32_e64 s[0:1], s36, v18
	v_mov_b32_e32 v4, 0x7f800001
	s_and_saveexec_b64 s[18:19], s[0:1]
	s_cbranch_execz .LBB348_362
; %bb.361:                              ;   in Loop: Header=BB348_211 Depth=1
	v_and_b32_e32 v4, 7, v2
	v_ffbh_u32_e32 v4, v4
	v_min_u32_e32 v4, 32, v4
	v_subrev_u32_e32 v47, 28, v4
	v_cmp_gt_u32_e64 s[0:1], 8, v18
	v_lshrrev_b32_e32 v46, 3, v18
	v_sub_u32_e32 v4, 29, v4
	v_cndmask_b32_e64 v18, 0, v47, s[0:1]
	v_cndmask_b32_e64 v4, v46, v4, s[0:1]
	v_lshlrev_b64 v[46:47], v18, v[2:3]
	v_lshlrev_b32_e32 v18, 20, v46
	v_lshlrev_b32_e32 v46, 24, v2
	v_and_b32_e32 v18, 0x700000, v18
	v_and_b32_e32 v46, 0x80000000, v46
	v_lshl_add_u32 v4, v4, 23, v26
	v_or3_b32 v4, v46, v4, v18
.LBB348_362:                            ;   in Loop: Header=BB348_211 Depth=1
	s_or_b64 exec, exec, s[18:19]
.LBB348_363:                            ;   in Loop: Header=BB348_211 Depth=1
	s_or_b64 exec, exec, s[16:17]
.LBB348_364:                            ;   in Loop: Header=BB348_211 Depth=1
	s_or_b64 exec, exec, s[12:13]
	v_mul_f32_e32 v4, s37, v4
	v_and_b32_e32 v18, 0x7f800000, v4
	v_cmp_ne_u32_e64 s[0:1], s25, v18
                                        ; implicit-def: $vgpr46
	s_and_saveexec_b64 s[12:13], s[0:1]
	s_xor_b64 s[0:1], exec, s[12:13]
; %bb.365:                              ;   in Loop: Header=BB348_211 Depth=1
	v_bfe_u32 v18, v4, 16, 1
	v_add3_u32 v46, v4, v18, s26
                                        ; implicit-def: $vgpr4
; %bb.366:                              ;   in Loop: Header=BB348_211 Depth=1
	s_andn2_saveexec_b64 s[12:13], s[0:1]
; %bb.367:                              ;   in Loop: Header=BB348_211 Depth=1
	v_or_b32_e32 v18, 0x10000, v4
	v_cmp_eq_u32_sdwa s[0:1], v4, v25 src0_sel:WORD_0 src1_sel:DWORD
	v_cndmask_b32_e64 v46, v18, v4, s[0:1]
; %bb.368:                              ;   in Loop: Header=BB348_211 Depth=1
	s_or_b64 exec, exec, s[12:13]
	v_lshrrev_b16_e32 v4, 8, v2
	v_cmp_ne_u16_e64 s[0:1], 0, v4
	v_mov_b32_e32 v18, 0
	s_and_saveexec_b64 s[12:13], s[0:1]
	s_cbranch_execz .LBB348_374
; %bb.369:                              ;   in Loop: Header=BB348_211 Depth=1
	v_cmp_ne_u16_e64 s[0:1], s27, v4
	v_bfrev_b32_e32 v18, 1
	s_and_saveexec_b64 s[16:17], s[0:1]
	s_cbranch_execz .LBB348_373
; %bb.370:                              ;   in Loop: Header=BB348_211 Depth=1
	v_and_b32_e32 v47, 0x7f, v4
	v_cmp_ne_u32_e64 s[0:1], s36, v47
	v_mov_b32_e32 v18, 0x7f800001
	s_and_saveexec_b64 s[18:19], s[0:1]
	s_cbranch_execz .LBB348_372
; %bb.371:                              ;   in Loop: Header=BB348_211 Depth=1
	v_and_b32_e32 v18, 7, v4
	v_ffbh_u32_e32 v48, v18
	v_min_u32_e32 v51, 32, v48
	v_subrev_u32_e32 v48, 28, v51
	v_lshlrev_b64 v[48:49], v48, v[4:5]
	v_lshrrev_b32_e32 v50, 3, v47
	v_sub_u32_e32 v4, 29, v51
	v_and_b32_e32 v48, 7, v48
	v_cmp_gt_u32_e64 s[0:1], 8, v47
	v_cndmask_b32_e64 v4, v50, v4, s[0:1]
	v_cndmask_b32_e64 v18, v18, v48, s[0:1]
	v_lshlrev_b32_e32 v47, 16, v2
	v_lshlrev_b32_e32 v18, 20, v18
	v_and_b32_e32 v47, 0x80000000, v47
	v_lshl_add_u32 v4, v4, 23, v26
	v_or3_b32 v18, v47, v4, v18
.LBB348_372:                            ;   in Loop: Header=BB348_211 Depth=1
	s_or_b64 exec, exec, s[18:19]
.LBB348_373:                            ;   in Loop: Header=BB348_211 Depth=1
	s_or_b64 exec, exec, s[16:17]
.LBB348_374:                            ;   in Loop: Header=BB348_211 Depth=1
	s_or_b64 exec, exec, s[12:13]
	v_mul_f32_e32 v4, s37, v18
	v_and_b32_e32 v18, 0x7f800000, v4
	v_cmp_ne_u32_e64 s[0:1], s25, v18
                                        ; implicit-def: $vgpr47
	s_and_saveexec_b64 s[12:13], s[0:1]
	s_xor_b64 s[0:1], exec, s[12:13]
; %bb.375:                              ;   in Loop: Header=BB348_211 Depth=1
	v_bfe_u32 v18, v4, 16, 1
	v_add3_u32 v47, v4, v18, s26
                                        ; implicit-def: $vgpr4
; %bb.376:                              ;   in Loop: Header=BB348_211 Depth=1
	s_andn2_saveexec_b64 s[12:13], s[0:1]
; %bb.377:                              ;   in Loop: Header=BB348_211 Depth=1
	v_or_b32_e32 v18, 0x10000, v4
	v_cmp_eq_u32_sdwa s[0:1], v4, v25 src0_sel:WORD_0 src1_sel:DWORD
	v_cndmask_b32_e64 v47, v18, v4, s[0:1]
; %bb.378:                              ;   in Loop: Header=BB348_211 Depth=1
	s_or_b64 exec, exec, s[12:13]
	v_lshrrev_b32_e32 v4, 16, v2
	v_cmp_ne_u16_sdwa s[0:1], v4, v25 src0_sel:BYTE_0 src1_sel:DWORD
	v_mov_b32_e32 v18, 0
	s_and_saveexec_b64 s[12:13], s[0:1]
	s_cbranch_execz .LBB348_384
; %bb.379:                              ;   in Loop: Header=BB348_211 Depth=1
	v_cmp_ne_u16_sdwa s[0:1], v4, s27 src0_sel:BYTE_0 src1_sel:DWORD
	v_bfrev_b32_e32 v18, 1
	s_and_saveexec_b64 s[16:17], s[0:1]
	s_cbranch_execz .LBB348_383
; %bb.380:                              ;   in Loop: Header=BB348_211 Depth=1
	v_bfe_u32 v48, v2, 16, 7
	v_cmp_ne_u32_e64 s[0:1], s36, v48
	v_mov_b32_e32 v18, 0x7f800001
	s_and_saveexec_b64 s[18:19], s[0:1]
	s_cbranch_execz .LBB348_382
; %bb.381:                              ;   in Loop: Header=BB348_211 Depth=1
	v_and_b32_e32 v18, 7, v4
	v_ffbh_u32_e32 v50, v18
	v_min_u32_e32 v52, 32, v50
	v_subrev_u32_e32 v50, 28, v52
	v_lshlrev_b64 v[50:51], v50, v[4:5]
	v_lshrrev_b32_e32 v49, 3, v48
	v_sub_u32_e32 v51, 29, v52
	v_and_b32_e32 v50, 7, v50
	v_cmp_gt_u32_e64 s[0:1], 8, v48
	v_cndmask_b32_e64 v48, v49, v51, s[0:1]
	v_cndmask_b32_e64 v18, v18, v50, s[0:1]
	v_lshlrev_b32_e32 v4, 24, v4
	v_lshlrev_b32_e32 v18, 20, v18
	v_and_b32_e32 v4, 0x80000000, v4
	v_lshl_add_u32 v48, v48, 23, v26
	v_or3_b32 v18, v4, v48, v18
.LBB348_382:                            ;   in Loop: Header=BB348_211 Depth=1
	s_or_b64 exec, exec, s[18:19]
.LBB348_383:                            ;   in Loop: Header=BB348_211 Depth=1
	s_or_b64 exec, exec, s[16:17]
.LBB348_384:                            ;   in Loop: Header=BB348_211 Depth=1
	s_or_b64 exec, exec, s[12:13]
	v_mul_f32_e32 v4, s37, v18
	v_and_b32_e32 v18, 0x7f800000, v4
	v_cmp_ne_u32_e64 s[0:1], s25, v18
                                        ; implicit-def: $vgpr48
	s_and_saveexec_b64 s[12:13], s[0:1]
	s_xor_b64 s[0:1], exec, s[12:13]
; %bb.385:                              ;   in Loop: Header=BB348_211 Depth=1
	v_bfe_u32 v18, v4, 16, 1
	v_add3_u32 v48, v4, v18, s26
                                        ; implicit-def: $vgpr4
; %bb.386:                              ;   in Loop: Header=BB348_211 Depth=1
	s_andn2_saveexec_b64 s[12:13], s[0:1]
; %bb.387:                              ;   in Loop: Header=BB348_211 Depth=1
	v_or_b32_e32 v18, 0x10000, v4
	v_cmp_eq_u32_sdwa s[0:1], v4, v25 src0_sel:WORD_0 src1_sel:DWORD
	v_cndmask_b32_e64 v48, v18, v4, s[0:1]
; %bb.388:                              ;   in Loop: Header=BB348_211 Depth=1
	s_or_b64 exec, exec, s[12:13]
	v_cmp_lt_u32_e64 s[0:1], s5, v2
	v_mov_b32_e32 v18, 0
	s_and_saveexec_b64 s[12:13], s[0:1]
	s_cbranch_execz .LBB348_394
; %bb.389:                              ;   in Loop: Header=BB348_211 Depth=1
	v_lshrrev_b32_e32 v4, 24, v2
	v_cmp_ne_u32_e64 s[0:1], s27, v4
	v_bfrev_b32_e32 v18, 1
	s_and_saveexec_b64 s[16:17], s[0:1]
	s_cbranch_execz .LBB348_393
; %bb.390:                              ;   in Loop: Header=BB348_211 Depth=1
	v_bfe_u32 v49, v2, 24, 7
	v_cmp_ne_u32_e64 s[0:1], s36, v49
	v_mov_b32_e32 v18, 0x7f800001
	s_and_saveexec_b64 s[18:19], s[0:1]
	s_cbranch_execz .LBB348_392
; %bb.391:                              ;   in Loop: Header=BB348_211 Depth=1
	v_and_b32_e32 v18, 7, v4
	v_ffbh_u32_e32 v50, v18
	v_min_u32_e32 v53, 32, v50
	v_subrev_u32_e32 v50, 28, v53
	v_lshlrev_b64 v[50:51], v50, v[4:5]
	v_lshrrev_b32_e32 v52, 3, v49
	v_sub_u32_e32 v51, 29, v53
	v_and_b32_e32 v50, 7, v50
	v_cmp_gt_u32_e64 s[0:1], 8, v49
	v_cndmask_b32_e64 v49, v52, v51, s[0:1]
	v_cndmask_b32_e64 v18, v18, v50, s[0:1]
	v_lshlrev_b32_e32 v4, 24, v4
	v_lshlrev_b32_e32 v18, 20, v18
	v_and_b32_e32 v4, 0x80000000, v4
	v_lshl_add_u32 v49, v49, 23, v26
	v_or3_b32 v18, v4, v49, v18
.LBB348_392:                            ;   in Loop: Header=BB348_211 Depth=1
	s_or_b64 exec, exec, s[18:19]
.LBB348_393:                            ;   in Loop: Header=BB348_211 Depth=1
	s_or_b64 exec, exec, s[16:17]
.LBB348_394:                            ;   in Loop: Header=BB348_211 Depth=1
	s_or_b64 exec, exec, s[12:13]
	v_mul_f32_e32 v4, s37, v18
	v_and_b32_e32 v18, 0x7f800000, v4
	v_cmp_ne_u32_e64 s[0:1], s25, v18
                                        ; implicit-def: $vgpr49
	s_and_saveexec_b64 s[12:13], s[0:1]
	s_xor_b64 s[0:1], exec, s[12:13]
; %bb.395:                              ;   in Loop: Header=BB348_211 Depth=1
	v_bfe_u32 v18, v4, 16, 1
	v_add3_u32 v49, v4, v18, s26
                                        ; implicit-def: $vgpr4
; %bb.396:                              ;   in Loop: Header=BB348_211 Depth=1
	s_andn2_saveexec_b64 s[12:13], s[0:1]
; %bb.397:                              ;   in Loop: Header=BB348_211 Depth=1
	v_or_b32_e32 v18, 0x10000, v4
	v_cmp_eq_u32_sdwa s[0:1], v4, v25 src0_sel:WORD_0 src1_sel:DWORD
	v_cndmask_b32_e64 v49, v18, v4, s[0:1]
; %bb.398:                              ;   in Loop: Header=BB348_211 Depth=1
	s_or_b64 exec, exec, s[12:13]
	v_mov_b32_e32 v18, v3
	v_cmp_ne_u16_sdwa s[0:1], v3, v25 src0_sel:BYTE_0 src1_sel:DWORD
	v_mov_b32_e32 v4, 0
	s_and_saveexec_b64 s[12:13], s[0:1]
	s_cbranch_execz .LBB348_404
; %bb.399:                              ;   in Loop: Header=BB348_211 Depth=1
	v_cmp_ne_u16_sdwa s[0:1], v3, s27 src0_sel:BYTE_0 src1_sel:DWORD
	v_bfrev_b32_e32 v4, 1
	s_and_saveexec_b64 s[16:17], s[0:1]
	s_cbranch_execz .LBB348_403
; %bb.400:                              ;   in Loop: Header=BB348_211 Depth=1
	v_and_b32_e32 v50, 0x7f, v3
	v_cmp_ne_u32_e64 s[0:1], s36, v50
	v_mov_b32_e32 v4, 0x7f800001
	s_and_saveexec_b64 s[18:19], s[0:1]
	s_cbranch_execz .LBB348_402
; %bb.401:                              ;   in Loop: Header=BB348_211 Depth=1
	v_and_b32_e32 v4, 7, v3
	v_ffbh_u32_e32 v4, v4
	v_min_u32_e32 v4, 32, v4
	v_subrev_u32_e32 v52, 28, v4
	v_cmp_gt_u32_e64 s[0:1], 8, v50
	v_lshrrev_b32_e32 v51, 3, v50
	v_sub_u32_e32 v4, 29, v4
	v_cndmask_b32_e64 v50, 0, v52, s[0:1]
	v_cndmask_b32_e64 v4, v51, v4, s[0:1]
	v_lshlrev_b64 v[50:51], v50, v[18:19]
	v_lshlrev_b32_e32 v50, 20, v50
	v_lshlrev_b32_e32 v51, 24, v18
	v_and_b32_e32 v50, 0x700000, v50
	v_and_b32_e32 v51, 0x80000000, v51
	v_lshl_add_u32 v4, v4, 23, v26
	v_or3_b32 v4, v51, v4, v50
.LBB348_402:                            ;   in Loop: Header=BB348_211 Depth=1
	s_or_b64 exec, exec, s[18:19]
.LBB348_403:                            ;   in Loop: Header=BB348_211 Depth=1
	s_or_b64 exec, exec, s[16:17]
.LBB348_404:                            ;   in Loop: Header=BB348_211 Depth=1
	s_or_b64 exec, exec, s[12:13]
	v_mul_f32_e32 v4, s37, v4
	v_and_b32_e32 v50, 0x7f800000, v4
	v_cmp_ne_u32_e64 s[0:1], s25, v50
                                        ; implicit-def: $vgpr50
	s_and_saveexec_b64 s[12:13], s[0:1]
	s_xor_b64 s[0:1], exec, s[12:13]
; %bb.405:                              ;   in Loop: Header=BB348_211 Depth=1
	v_bfe_u32 v50, v4, 16, 1
	v_add3_u32 v50, v4, v50, s26
                                        ; implicit-def: $vgpr4
; %bb.406:                              ;   in Loop: Header=BB348_211 Depth=1
	s_andn2_saveexec_b64 s[12:13], s[0:1]
; %bb.407:                              ;   in Loop: Header=BB348_211 Depth=1
	v_or_b32_e32 v50, 0x10000, v4
	v_cmp_eq_u32_sdwa s[0:1], v4, v25 src0_sel:WORD_0 src1_sel:DWORD
	v_cndmask_b32_e64 v50, v50, v4, s[0:1]
; %bb.408:                              ;   in Loop: Header=BB348_211 Depth=1
	s_or_b64 exec, exec, s[12:13]
	v_lshrrev_b16_e32 v4, 8, v18
	v_cmp_ne_u16_e64 s[0:1], 0, v4
	v_mov_b32_e32 v51, 0
	s_and_saveexec_b64 s[12:13], s[0:1]
	s_cbranch_execz .LBB348_414
; %bb.409:                              ;   in Loop: Header=BB348_211 Depth=1
	v_cmp_ne_u16_e64 s[0:1], s27, v4
	v_bfrev_b32_e32 v51, 1
	s_and_saveexec_b64 s[16:17], s[0:1]
	s_cbranch_execz .LBB348_413
; %bb.410:                              ;   in Loop: Header=BB348_211 Depth=1
	v_and_b32_e32 v52, 0x7f, v4
	v_cmp_ne_u32_e64 s[0:1], s36, v52
	v_mov_b32_e32 v51, 0x7f800001
	s_and_saveexec_b64 s[18:19], s[0:1]
	s_cbranch_execz .LBB348_412
; %bb.411:                              ;   in Loop: Header=BB348_211 Depth=1
	v_and_b32_e32 v51, 7, v4
	v_ffbh_u32_e32 v54, v51
	v_min_u32_e32 v56, 32, v54
	v_subrev_u32_e32 v54, 28, v56
	v_lshlrev_b64 v[54:55], v54, v[4:5]
	v_lshrrev_b32_e32 v53, 3, v52
	v_sub_u32_e32 v4, 29, v56
	v_and_b32_e32 v54, 7, v54
	v_cmp_gt_u32_e64 s[0:1], 8, v52
	v_cndmask_b32_e64 v4, v53, v4, s[0:1]
	v_cndmask_b32_e64 v51, v51, v54, s[0:1]
	v_lshlrev_b32_e32 v18, 16, v18
	v_lshlrev_b32_e32 v51, 20, v51
	v_and_b32_e32 v18, 0x80000000, v18
	v_lshl_add_u32 v4, v4, 23, v26
	v_or3_b32 v51, v18, v4, v51
.LBB348_412:                            ;   in Loop: Header=BB348_211 Depth=1
	s_or_b64 exec, exec, s[18:19]
.LBB348_413:                            ;   in Loop: Header=BB348_211 Depth=1
	s_or_b64 exec, exec, s[16:17]
.LBB348_414:                            ;   in Loop: Header=BB348_211 Depth=1
	s_or_b64 exec, exec, s[12:13]
	v_mul_f32_e32 v4, s37, v51
	v_and_b32_e32 v18, 0x7f800000, v4
	v_cmp_ne_u32_e64 s[0:1], s25, v18
                                        ; implicit-def: $vgpr18
	s_and_saveexec_b64 s[12:13], s[0:1]
	s_xor_b64 s[0:1], exec, s[12:13]
; %bb.415:                              ;   in Loop: Header=BB348_211 Depth=1
	v_bfe_u32 v18, v4, 16, 1
	v_add3_u32 v18, v4, v18, s26
                                        ; implicit-def: $vgpr4
; %bb.416:                              ;   in Loop: Header=BB348_211 Depth=1
	s_andn2_saveexec_b64 s[12:13], s[0:1]
; %bb.417:                              ;   in Loop: Header=BB348_211 Depth=1
	v_or_b32_e32 v18, 0x10000, v4
	v_cmp_eq_u32_sdwa s[0:1], v4, v25 src0_sel:WORD_0 src1_sel:DWORD
	v_cndmask_b32_e64 v18, v18, v4, s[0:1]
; %bb.418:                              ;   in Loop: Header=BB348_211 Depth=1
	s_or_b64 exec, exec, s[12:13]
	v_lshrrev_b32_e32 v4, 16, v3
	v_cmp_ne_u16_sdwa s[0:1], v4, v25 src0_sel:BYTE_0 src1_sel:DWORD
	v_mov_b32_e32 v51, 0
	s_and_saveexec_b64 s[12:13], s[0:1]
	s_cbranch_execz .LBB348_424
; %bb.419:                              ;   in Loop: Header=BB348_211 Depth=1
	v_cmp_ne_u16_sdwa s[0:1], v4, s27 src0_sel:BYTE_0 src1_sel:DWORD
	v_bfrev_b32_e32 v51, 1
	s_and_saveexec_b64 s[16:17], s[0:1]
	s_cbranch_execz .LBB348_423
; %bb.420:                              ;   in Loop: Header=BB348_211 Depth=1
	v_bfe_u32 v52, v3, 16, 7
	v_cmp_ne_u32_e64 s[0:1], s36, v52
	v_mov_b32_e32 v51, 0x7f800001
	s_and_saveexec_b64 s[18:19], s[0:1]
	s_cbranch_execz .LBB348_422
; %bb.421:                              ;   in Loop: Header=BB348_211 Depth=1
	v_and_b32_e32 v51, 7, v4
	v_ffbh_u32_e32 v54, v51
	v_min_u32_e32 v56, 32, v54
	v_subrev_u32_e32 v54, 28, v56
	v_lshlrev_b64 v[54:55], v54, v[4:5]
	v_lshrrev_b32_e32 v53, 3, v52
	v_sub_u32_e32 v55, 29, v56
	v_and_b32_e32 v54, 7, v54
	v_cmp_gt_u32_e64 s[0:1], 8, v52
	v_cndmask_b32_e64 v52, v53, v55, s[0:1]
	v_cndmask_b32_e64 v51, v51, v54, s[0:1]
	v_lshlrev_b32_e32 v4, 24, v4
	v_lshlrev_b32_e32 v51, 20, v51
	v_and_b32_e32 v4, 0x80000000, v4
	v_lshl_add_u32 v52, v52, 23, v26
	v_or3_b32 v51, v4, v52, v51
.LBB348_422:                            ;   in Loop: Header=BB348_211 Depth=1
	s_or_b64 exec, exec, s[18:19]
.LBB348_423:                            ;   in Loop: Header=BB348_211 Depth=1
	s_or_b64 exec, exec, s[16:17]
.LBB348_424:                            ;   in Loop: Header=BB348_211 Depth=1
	s_or_b64 exec, exec, s[12:13]
	v_mul_f32_e32 v51, s37, v51
	v_and_b32_e32 v4, 0x7f800000, v51
	v_cmp_ne_u32_e64 s[0:1], s25, v4
                                        ; implicit-def: $vgpr4
	s_and_saveexec_b64 s[12:13], s[0:1]
	s_xor_b64 s[0:1], exec, s[12:13]
; %bb.425:                              ;   in Loop: Header=BB348_211 Depth=1
	v_bfe_u32 v4, v51, 16, 1
	v_add3_u32 v4, v51, v4, s26
                                        ; implicit-def: $vgpr51
; %bb.426:                              ;   in Loop: Header=BB348_211 Depth=1
	s_andn2_saveexec_b64 s[12:13], s[0:1]
; %bb.427:                              ;   in Loop: Header=BB348_211 Depth=1
	v_or_b32_e32 v4, 0x10000, v51
	v_cmp_eq_u32_sdwa s[0:1], v51, v25 src0_sel:WORD_0 src1_sel:DWORD
	v_cndmask_b32_e64 v4, v4, v51, s[0:1]
; %bb.428:                              ;   in Loop: Header=BB348_211 Depth=1
	s_or_b64 exec, exec, s[12:13]
	v_cmp_lt_u64_e64 s[0:1], s[4:5], v[2:3]
	v_mov_b32_e32 v51, 0
	s_and_saveexec_b64 s[12:13], s[0:1]
	s_cbranch_execz .LBB348_434
; %bb.429:                              ;   in Loop: Header=BB348_211 Depth=1
	v_lshrrev_b32_e32 v2, 24, v3
	v_cmp_ne_u32_e64 s[0:1], s27, v2
	v_bfrev_b32_e32 v51, 1
	s_and_saveexec_b64 s[16:17], s[0:1]
	s_cbranch_execz .LBB348_433
; %bb.430:                              ;   in Loop: Header=BB348_211 Depth=1
	v_bfe_u32 v3, v3, 24, 7
	v_cmp_ne_u32_e64 s[0:1], s36, v3
	v_mov_b32_e32 v51, 0x7f800001
	s_and_saveexec_b64 s[18:19], s[0:1]
	s_cbranch_execz .LBB348_432
; %bb.431:                              ;   in Loop: Header=BB348_211 Depth=1
	v_and_b32_e32 v51, 7, v2
	v_ffbh_u32_e32 v52, v51
	v_min_u32_e32 v55, 32, v52
	v_subrev_u32_e32 v52, 28, v55
	v_lshlrev_b64 v[52:53], v52, v[2:3]
	v_lshrrev_b32_e32 v54, 3, v3
	v_sub_u32_e32 v53, 29, v55
	v_and_b32_e32 v52, 7, v52
	v_cmp_gt_u32_e64 s[0:1], 8, v3
	v_cndmask_b32_e64 v3, v54, v53, s[0:1]
	v_cndmask_b32_e64 v51, v51, v52, s[0:1]
	v_lshlrev_b32_e32 v2, 24, v2
	v_lshlrev_b32_e32 v51, 20, v51
	v_and_b32_e32 v2, 0x80000000, v2
	v_lshl_add_u32 v3, v3, 23, v26
	v_or3_b32 v51, v2, v3, v51
.LBB348_432:                            ;   in Loop: Header=BB348_211 Depth=1
	s_or_b64 exec, exec, s[18:19]
.LBB348_433:                            ;   in Loop: Header=BB348_211 Depth=1
	s_or_b64 exec, exec, s[16:17]
.LBB348_434:                            ;   in Loop: Header=BB348_211 Depth=1
	s_or_b64 exec, exec, s[12:13]
	v_mul_f32_e32 v2, s37, v51
	v_and_b32_e32 v3, 0x7f800000, v2
	v_cmp_ne_u32_e64 s[0:1], s25, v3
                                        ; implicit-def: $vgpr3
	s_and_saveexec_b64 s[12:13], s[0:1]
	s_xor_b64 s[0:1], exec, s[12:13]
; %bb.435:                              ;   in Loop: Header=BB348_211 Depth=1
	v_bfe_u32 v3, v2, 16, 1
	v_add3_u32 v3, v2, v3, s26
                                        ; implicit-def: $vgpr2
; %bb.436:                              ;   in Loop: Header=BB348_211 Depth=1
	s_andn2_saveexec_b64 s[12:13], s[0:1]
; %bb.437:                              ;   in Loop: Header=BB348_211 Depth=1
	v_or_b32_e32 v3, 0x10000, v2
	v_cmp_eq_u32_sdwa s[0:1], v2, v25 src0_sel:WORD_0 src1_sel:DWORD
	v_cndmask_b32_e64 v3, v3, v2, s[0:1]
; %bb.438:                              ;   in Loop: Header=BB348_211 Depth=1
	s_or_b64 exec, exec, s[12:13]
	v_lshrrev_b32_e32 v51, 16, v18
	v_lshrrev_b32_e32 v50, 16, v50
	;; [unrolled: 1-line block ×8, first 2 shown]
	s_and_saveexec_b64 s[0:1], vcc
	s_cbranch_execz .LBB348_440
; %bb.439:                              ;   in Loop: Header=BB348_211 Depth=1
	v_cmp_gt_i32_e32 vcc, s33, v29
	v_cndmask_b32_e32 v2, 0, v2, vcc
	v_cmp_gt_i32_e32 vcc, s33, v36
	v_cndmask_b32_e32 v47, 0, v47, vcc
	;; [unrolled: 2-line block ×8, first 2 shown]
.LBB348_440:                            ;   in Loop: Header=BB348_211 Depth=1
	s_or_b64 exec, exec, s[0:1]
	v_lshlrev_b32_e32 v2, 16, v2
	v_mul_f32_e32 v4, v38, v2
	v_and_b32_e32 v2, 0x7f800000, v4
	v_cmp_ne_u32_e32 vcc, s25, v2
                                        ; implicit-def: $vgpr2
	s_and_saveexec_b64 s[0:1], vcc
	s_xor_b64 s[0:1], exec, s[0:1]
; %bb.441:                              ;   in Loop: Header=BB348_211 Depth=1
	v_bfe_u32 v2, v4, 16, 1
	v_add3_u32 v2, v4, v2, s26
                                        ; implicit-def: $vgpr4
; %bb.442:                              ;   in Loop: Header=BB348_211 Depth=1
	s_andn2_saveexec_b64 s[0:1], s[0:1]
; %bb.443:                              ;   in Loop: Header=BB348_211 Depth=1
	v_or_b32_e32 v2, 0x10000, v4
	v_cmp_eq_u32_sdwa vcc, v4, v25 src0_sel:WORD_0 src1_sel:DWORD
	v_cndmask_b32_e32 v2, v2, v4, vcc
; %bb.444:                              ;   in Loop: Header=BB348_211 Depth=1
	s_or_b64 exec, exec, s[0:1]
	v_lshlrev_b32_e32 v4, 16, v47
	v_mul_f32_e32 v29, v39, v4
	v_and_b32_e32 v4, 0x7f800000, v29
	v_cmp_ne_u32_e32 vcc, s25, v4
                                        ; implicit-def: $vgpr4
	s_and_saveexec_b64 s[0:1], vcc
	s_xor_b64 s[0:1], exec, s[0:1]
; %bb.445:                              ;   in Loop: Header=BB348_211 Depth=1
	v_bfe_u32 v4, v29, 16, 1
	v_add3_u32 v4, v29, v4, s26
                                        ; implicit-def: $vgpr29
; %bb.446:                              ;   in Loop: Header=BB348_211 Depth=1
	s_andn2_saveexec_b64 s[0:1], s[0:1]
; %bb.447:                              ;   in Loop: Header=BB348_211 Depth=1
	v_or_b32_e32 v4, 0x10000, v29
	v_cmp_eq_u32_sdwa vcc, v29, v25 src0_sel:WORD_0 src1_sel:DWORD
	v_cndmask_b32_e32 v4, v4, v29, vcc
; %bb.448:                              ;   in Loop: Header=BB348_211 Depth=1
	s_or_b64 exec, exec, s[0:1]
	v_lshlrev_b32_e32 v29, 16, v48
	v_mul_f32_e32 v30, v40, v29
	v_and_b32_e32 v29, 0x7f800000, v30
	v_cmp_ne_u32_e32 vcc, s25, v29
                                        ; implicit-def: $vgpr29
	s_and_saveexec_b64 s[0:1], vcc
	s_xor_b64 s[0:1], exec, s[0:1]
; %bb.449:                              ;   in Loop: Header=BB348_211 Depth=1
	v_bfe_u32 v29, v30, 16, 1
	v_add3_u32 v29, v30, v29, s26
                                        ; implicit-def: $vgpr30
; %bb.450:                              ;   in Loop: Header=BB348_211 Depth=1
	s_andn2_saveexec_b64 s[0:1], s[0:1]
; %bb.451:                              ;   in Loop: Header=BB348_211 Depth=1
	v_or_b32_e32 v29, 0x10000, v30
	v_cmp_eq_u32_sdwa vcc, v30, v25 src0_sel:WORD_0 src1_sel:DWORD
	v_cndmask_b32_e32 v29, v29, v30, vcc
; %bb.452:                              ;   in Loop: Header=BB348_211 Depth=1
	s_or_b64 exec, exec, s[0:1]
	v_lshlrev_b32_e32 v30, 16, v49
	v_mul_f32_e32 v31, v41, v30
	v_and_b32_e32 v30, 0x7f800000, v31
	v_cmp_ne_u32_e32 vcc, s25, v30
                                        ; implicit-def: $vgpr30
	s_and_saveexec_b64 s[0:1], vcc
	s_xor_b64 s[0:1], exec, s[0:1]
; %bb.453:                              ;   in Loop: Header=BB348_211 Depth=1
	v_bfe_u32 v30, v31, 16, 1
	v_add3_u32 v30, v31, v30, s26
                                        ; implicit-def: $vgpr31
; %bb.454:                              ;   in Loop: Header=BB348_211 Depth=1
	s_andn2_saveexec_b64 s[0:1], s[0:1]
; %bb.455:                              ;   in Loop: Header=BB348_211 Depth=1
	v_or_b32_e32 v30, 0x10000, v31
	v_cmp_eq_u32_sdwa vcc, v31, v25 src0_sel:WORD_0 src1_sel:DWORD
	v_cndmask_b32_e32 v30, v30, v31, vcc
; %bb.456:                              ;   in Loop: Header=BB348_211 Depth=1
	s_or_b64 exec, exec, s[0:1]
	v_lshlrev_b32_e32 v31, 16, v50
	v_mul_f32_e32 v32, v42, v31
	v_and_b32_e32 v31, 0x7f800000, v32
	v_cmp_ne_u32_e32 vcc, s25, v31
                                        ; implicit-def: $vgpr31
	s_and_saveexec_b64 s[0:1], vcc
	s_xor_b64 s[0:1], exec, s[0:1]
; %bb.457:                              ;   in Loop: Header=BB348_211 Depth=1
	v_bfe_u32 v31, v32, 16, 1
	v_add3_u32 v31, v32, v31, s26
                                        ; implicit-def: $vgpr32
; %bb.458:                              ;   in Loop: Header=BB348_211 Depth=1
	s_andn2_saveexec_b64 s[0:1], s[0:1]
; %bb.459:                              ;   in Loop: Header=BB348_211 Depth=1
	v_or_b32_e32 v31, 0x10000, v32
	v_cmp_eq_u32_sdwa vcc, v32, v25 src0_sel:WORD_0 src1_sel:DWORD
	v_cndmask_b32_e32 v31, v31, v32, vcc
; %bb.460:                              ;   in Loop: Header=BB348_211 Depth=1
	s_or_b64 exec, exec, s[0:1]
	v_lshlrev_b32_e32 v32, 16, v51
	v_mul_f32_e32 v33, v43, v32
	v_and_b32_e32 v32, 0x7f800000, v33
	v_cmp_ne_u32_e32 vcc, s25, v32
                                        ; implicit-def: $vgpr32
	s_and_saveexec_b64 s[0:1], vcc
	s_xor_b64 s[0:1], exec, s[0:1]
; %bb.461:                              ;   in Loop: Header=BB348_211 Depth=1
	v_bfe_u32 v32, v33, 16, 1
	v_add3_u32 v32, v33, v32, s26
                                        ; implicit-def: $vgpr33
; %bb.462:                              ;   in Loop: Header=BB348_211 Depth=1
	s_andn2_saveexec_b64 s[0:1], s[0:1]
; %bb.463:                              ;   in Loop: Header=BB348_211 Depth=1
	v_or_b32_e32 v32, 0x10000, v33
	v_cmp_eq_u32_sdwa vcc, v33, v25 src0_sel:WORD_0 src1_sel:DWORD
	v_cndmask_b32_e32 v32, v32, v33, vcc
; %bb.464:                              ;   in Loop: Header=BB348_211 Depth=1
	s_or_b64 exec, exec, s[0:1]
	v_lshlrev_b32_e32 v18, 16, v18
	v_mul_f32_e32 v33, v44, v18
	v_and_b32_e32 v18, 0x7f800000, v33
	v_cmp_ne_u32_e32 vcc, s25, v18
                                        ; implicit-def: $vgpr18
	s_and_saveexec_b64 s[0:1], vcc
	s_xor_b64 s[0:1], exec, s[0:1]
; %bb.465:                              ;   in Loop: Header=BB348_211 Depth=1
	v_bfe_u32 v18, v33, 16, 1
	v_add3_u32 v18, v33, v18, s26
                                        ; implicit-def: $vgpr33
; %bb.466:                              ;   in Loop: Header=BB348_211 Depth=1
	s_andn2_saveexec_b64 s[0:1], s[0:1]
; %bb.467:                              ;   in Loop: Header=BB348_211 Depth=1
	v_or_b32_e32 v18, 0x10000, v33
	v_cmp_eq_u32_sdwa vcc, v33, v25 src0_sel:WORD_0 src1_sel:DWORD
	v_cndmask_b32_e32 v18, v18, v33, vcc
; %bb.468:                              ;   in Loop: Header=BB348_211 Depth=1
	s_or_b64 exec, exec, s[0:1]
	v_lshlrev_b32_e32 v3, 16, v3
	v_mul_f32_e32 v33, v45, v3
	v_and_b32_e32 v3, 0x7f800000, v33
	v_cmp_ne_u32_e32 vcc, s25, v3
                                        ; implicit-def: $vgpr3
	s_and_saveexec_b64 s[0:1], vcc
	s_xor_b64 s[0:1], exec, s[0:1]
; %bb.469:                              ;   in Loop: Header=BB348_211 Depth=1
	v_bfe_u32 v3, v33, 16, 1
	v_add3_u32 v3, v33, v3, s26
                                        ; implicit-def: $vgpr33
; %bb.470:                              ;   in Loop: Header=BB348_211 Depth=1
	s_andn2_saveexec_b64 s[0:1], s[0:1]
	s_cbranch_execz .LBB348_209
; %bb.471:                              ;   in Loop: Header=BB348_211 Depth=1
	v_or_b32_e32 v3, 0x10000, v33
	v_cmp_eq_u32_sdwa vcc, v33, v25 src0_sel:WORD_0 src1_sel:DWORD
	v_cndmask_b32_e32 v3, v3, v33, vcc
	s_branch .LBB348_209
.LBB348_472:
	s_or_b64 exec, exec, s[6:7]
.LBB348_473:
	s_or_b64 exec, exec, s[2:3]
	ds_bpermute_b32 v2, v21, v14
	ds_bpermute_b32 v3, v21, v15
	v_and_b32_e32 v1, 0x3c1, v0
	v_cmp_eq_u32_e32 vcc, 64, v1
	s_waitcnt lgkmcnt(0)
	s_barrier
	v_pk_add_f32 v[2:3], v[14:15], v[2:3]
	s_and_saveexec_b64 s[0:1], vcc
	s_cbranch_execz .LBB348_475
; %bb.474:
	v_mov_b32_e32 v1, 0x90
	v_lshl_add_u32 v1, v20, 1, v1
	ds_write2_b32 v1, v2, v3 offset1:32
.LBB348_475:
	s_or_b64 exec, exec, s[0:1]
	v_cmp_gt_u32_e32 vcc, 64, v0
	s_waitcnt lgkmcnt(0)
	s_barrier
	s_and_saveexec_b64 s[2:3], vcc
	s_cbranch_execz .LBB348_481
; %bb.476:
	v_cmp_eq_u32_e64 s[0:1], 0, v22
	v_lshrrev_b32_e32 v1, 1, v0
	s_and_saveexec_b64 s[4:5], s[0:1]
	s_cbranch_execz .LBB348_478
; %bb.477:
	v_mov_b32_e32 v4, 0x90
	v_lshl_add_u32 v4, v1, 2, v4
	ds_read_b32 v4, v4
	s_waitcnt lgkmcnt(0)
	v_add_f32_e32 v2, v2, v4
.LBB348_478:
	s_or_b64 exec, exec, s[4:5]
	s_and_saveexec_b64 s[4:5], s[0:1]
	s_cbranch_execz .LBB348_480
; %bb.479:
	v_mov_b32_e32 v4, 0x90
	v_lshl_add_u32 v1, v1, 2, v4
	ds_read_b32 v1, v1 offset:128
	s_waitcnt lgkmcnt(0)
	v_add_f32_e32 v3, v3, v1
.LBB348_480:
	s_or_b64 exec, exec, s[4:5]
.LBB348_481:
	s_or_b64 exec, exec, s[2:3]
	s_barrier
	s_and_saveexec_b64 s[0:1], vcc
	s_cbranch_execz .LBB348_492
; %bb.482:
	v_cmp_eq_u32_e32 vcc, 0, v22
	s_and_b64 exec, exec, vcc
	s_cbranch_execz .LBB348_492
; %bb.483:
	s_mov_b32 s0, 0x7f800000
	v_and_b32_e32 v1, 0x7f800000, v2
	v_cmp_ne_u32_e32 vcc, s0, v1
                                        ; implicit-def: $vgpr4
	s_and_saveexec_b64 s[0:1], vcc
	s_xor_b64 s[0:1], exec, s[0:1]
; %bb.484:
	v_bfe_u32 v1, v2, 16, 1
	s_movk_i32 s2, 0x7fff
	v_add3_u32 v4, v2, v1, s2
; %bb.485:
	s_andn2_saveexec_b64 s[0:1], s[0:1]
; %bb.486:
	v_mov_b32_e32 v1, 0
	v_or_b32_e32 v4, 0x10000, v2
	v_cmp_eq_u32_sdwa vcc, v2, v1 src0_sel:WORD_0 src1_sel:DWORD
	v_cndmask_b32_e32 v4, v4, v2, vcc
; %bb.487:
	s_or_b64 exec, exec, s[0:1]
	s_mul_i32 s0, s20, s28
	s_mul_i32 s0, s0, s29
	s_lshl_b32 s0, s0, 6
	s_ashr_i32 s1, s0, 31
	s_lshl_b64 s[0:1], s[0:1], 1
	s_add_u32 s2, s34, s0
	s_mul_i32 s0, s20, s30
	s_addc_u32 s3, s35, s1
	s_ashr_i32 s1, s0, 31
	s_lshl_b64 s[0:1], s[0:1], 1
	s_add_u32 s2, s2, s0
	s_addc_u32 s3, s3, s1
	s_lshl_b32 s0, s8, 6
	s_ashr_i32 s1, s0, 31
	s_lshl_b64 s[0:1], s[0:1], 1
	s_add_u32 s0, s2, s0
	s_addc_u32 s1, s3, s1
	v_and_b32_e32 v2, 0x3fe, v0
	v_mov_b32_e32 v1, s1
	v_add_co_u32_e32 v0, vcc, s0, v2
	v_addc_co_u32_e32 v1, vcc, 0, v1, vcc
	global_store_short_d16_hi v2, v4, s[0:1]
	s_mov_b32 s0, 0x7f800000
	v_and_b32_e32 v2, 0x7f800000, v3
	v_cmp_ne_u32_e32 vcc, s0, v2
                                        ; implicit-def: $vgpr4
	s_and_saveexec_b64 s[0:1], vcc
	s_xor_b64 s[0:1], exec, s[0:1]
; %bb.488:
	v_bfe_u32 v2, v3, 16, 1
	s_movk_i32 s2, 0x7fff
	v_add3_u32 v4, v3, v2, s2
                                        ; implicit-def: $vgpr2_vgpr3
; %bb.489:
	s_andn2_saveexec_b64 s[0:1], s[0:1]
; %bb.490:
	v_mov_b32_e32 v2, 0
	v_or_b32_e32 v4, 0x10000, v3
	v_cmp_eq_u32_sdwa vcc, v3, v2 src0_sel:WORD_0 src1_sel:DWORD
	v_cndmask_b32_e32 v4, v4, v3, vcc
; %bb.491:
	s_or_b64 exec, exec, s[0:1]
	global_store_short_d16_hi v[0:1], v4, off offset:64
.LBB348_492:
	s_endpgm
	.section	.rodata,"a",@progbits
	.p2align	6, 0x0
	.amdhsa_kernel _ZN4vllm25paged_attention_v2_kernelI14__hip_bfloat16hLi64ELi16ELi128ELNS_18Fp8KVCacheDataTypeE1ELb1ELi512EEEvPfS3_PT_PKS4_PKT0_SA_ifPKiSC_iPKfiiiSE_SE_iiiii
		.amdhsa_group_segment_fixed_size 144
		.amdhsa_private_segment_fixed_size 0
		.amdhsa_kernarg_size 400
		.amdhsa_user_sgpr_count 6
		.amdhsa_user_sgpr_private_segment_buffer 1
		.amdhsa_user_sgpr_dispatch_ptr 0
		.amdhsa_user_sgpr_queue_ptr 0
		.amdhsa_user_sgpr_kernarg_segment_ptr 1
		.amdhsa_user_sgpr_dispatch_id 0
		.amdhsa_user_sgpr_flat_scratch_init 0
		.amdhsa_user_sgpr_kernarg_preload_length 0
		.amdhsa_user_sgpr_kernarg_preload_offset 0
		.amdhsa_user_sgpr_private_segment_size 0
		.amdhsa_uses_dynamic_stack 0
		.amdhsa_system_sgpr_private_segment_wavefront_offset 0
		.amdhsa_system_sgpr_workgroup_id_x 1
		.amdhsa_system_sgpr_workgroup_id_y 1
		.amdhsa_system_sgpr_workgroup_id_z 1
		.amdhsa_system_sgpr_workgroup_info 0
		.amdhsa_system_vgpr_workitem_id 0
		.amdhsa_next_free_vgpr 57
		.amdhsa_next_free_sgpr 65
		.amdhsa_accum_offset 60
		.amdhsa_reserve_vcc 1
		.amdhsa_reserve_flat_scratch 0
		.amdhsa_float_round_mode_32 0
		.amdhsa_float_round_mode_16_64 0
		.amdhsa_float_denorm_mode_32 3
		.amdhsa_float_denorm_mode_16_64 3
		.amdhsa_dx10_clamp 1
		.amdhsa_ieee_mode 1
		.amdhsa_fp16_overflow 0
		.amdhsa_tg_split 0
		.amdhsa_exception_fp_ieee_invalid_op 0
		.amdhsa_exception_fp_denorm_src 0
		.amdhsa_exception_fp_ieee_div_zero 0
		.amdhsa_exception_fp_ieee_overflow 0
		.amdhsa_exception_fp_ieee_underflow 0
		.amdhsa_exception_fp_ieee_inexact 0
		.amdhsa_exception_int_div_zero 0
	.end_amdhsa_kernel
	.section	.text._ZN4vllm25paged_attention_v2_kernelI14__hip_bfloat16hLi64ELi16ELi128ELNS_18Fp8KVCacheDataTypeE1ELb1ELi512EEEvPfS3_PT_PKS4_PKT0_SA_ifPKiSC_iPKfiiiSE_SE_iiiii,"axG",@progbits,_ZN4vllm25paged_attention_v2_kernelI14__hip_bfloat16hLi64ELi16ELi128ELNS_18Fp8KVCacheDataTypeE1ELb1ELi512EEEvPfS3_PT_PKS4_PKT0_SA_ifPKiSC_iPKfiiiSE_SE_iiiii,comdat
.Lfunc_end348:
	.size	_ZN4vllm25paged_attention_v2_kernelI14__hip_bfloat16hLi64ELi16ELi128ELNS_18Fp8KVCacheDataTypeE1ELb1ELi512EEEvPfS3_PT_PKS4_PKT0_SA_ifPKiSC_iPKfiiiSE_SE_iiiii, .Lfunc_end348-_ZN4vllm25paged_attention_v2_kernelI14__hip_bfloat16hLi64ELi16ELi128ELNS_18Fp8KVCacheDataTypeE1ELb1ELi512EEEvPfS3_PT_PKS4_PKT0_SA_ifPKiSC_iPKfiiiSE_SE_iiiii
                                        ; -- End function
	.section	.AMDGPU.csdata,"",@progbits
; Kernel info:
; codeLenInByte = 14908
; NumSgprs: 69
; NumVgprs: 57
; NumAgprs: 0
; TotalNumVgprs: 57
; ScratchSize: 0
; MemoryBound: 0
; FloatMode: 240
; IeeeMode: 1
; LDSByteSize: 144 bytes/workgroup (compile time only)
; SGPRBlocks: 8
; VGPRBlocks: 7
; NumSGPRsForWavesPerEU: 69
; NumVGPRsForWavesPerEU: 57
; AccumOffset: 60
; Occupancy: 8
; WaveLimiterHint : 1
; COMPUTE_PGM_RSRC2:SCRATCH_EN: 0
; COMPUTE_PGM_RSRC2:USER_SGPR: 6
; COMPUTE_PGM_RSRC2:TRAP_HANDLER: 0
; COMPUTE_PGM_RSRC2:TGID_X_EN: 1
; COMPUTE_PGM_RSRC2:TGID_Y_EN: 1
; COMPUTE_PGM_RSRC2:TGID_Z_EN: 1
; COMPUTE_PGM_RSRC2:TIDIG_COMP_CNT: 0
; COMPUTE_PGM_RSRC3_GFX90A:ACCUM_OFFSET: 14
; COMPUTE_PGM_RSRC3_GFX90A:TG_SPLIT: 0
	.section	.text._ZN4vllm25paged_attention_v2_kernelI14__hip_bfloat16hLi80ELi16ELi128ELNS_18Fp8KVCacheDataTypeE1ELb1ELi512EEEvPfS3_PT_PKS4_PKT0_SA_ifPKiSC_iPKfiiiSE_SE_iiiii,"axG",@progbits,_ZN4vllm25paged_attention_v2_kernelI14__hip_bfloat16hLi80ELi16ELi128ELNS_18Fp8KVCacheDataTypeE1ELb1ELi512EEEvPfS3_PT_PKS4_PKT0_SA_ifPKiSC_iPKfiiiSE_SE_iiiii,comdat
	.protected	_ZN4vllm25paged_attention_v2_kernelI14__hip_bfloat16hLi80ELi16ELi128ELNS_18Fp8KVCacheDataTypeE1ELb1ELi512EEEvPfS3_PT_PKS4_PKT0_SA_ifPKiSC_iPKfiiiSE_SE_iiiii ; -- Begin function _ZN4vllm25paged_attention_v2_kernelI14__hip_bfloat16hLi80ELi16ELi128ELNS_18Fp8KVCacheDataTypeE1ELb1ELi512EEEvPfS3_PT_PKS4_PKT0_SA_ifPKiSC_iPKfiiiSE_SE_iiiii
	.globl	_ZN4vllm25paged_attention_v2_kernelI14__hip_bfloat16hLi80ELi16ELi128ELNS_18Fp8KVCacheDataTypeE1ELb1ELi512EEEvPfS3_PT_PKS4_PKT0_SA_ifPKiSC_iPKfiiiSE_SE_iiiii
	.p2align	8
	.type	_ZN4vllm25paged_attention_v2_kernelI14__hip_bfloat16hLi80ELi16ELi128ELNS_18Fp8KVCacheDataTypeE1ELb1ELi512EEEvPfS3_PT_PKS4_PKT0_SA_ifPKiSC_iPKfiiiSE_SE_iiiii,@function
_ZN4vllm25paged_attention_v2_kernelI14__hip_bfloat16hLi80ELi16ELi128ELNS_18Fp8KVCacheDataTypeE1ELb1ELi512EEEvPfS3_PT_PKS4_PKT0_SA_ifPKiSC_iPKfiiiSE_SE_iiiii: ; @_ZN4vllm25paged_attention_v2_kernelI14__hip_bfloat16hLi80ELi16ELi128ELNS_18Fp8KVCacheDataTypeE1ELb1ELi512EEEvPfS3_PT_PKS4_PKT0_SA_ifPKiSC_iPKfiiiSE_SE_iiiii
; %bb.0:
	s_load_dwordx2 s[0:1], s[4:5], 0x40
	s_mov_b32 s34, s7
	s_ashr_i32 s35, s7, 31
	s_lshl_b64 s[2:3], s[34:35], 2
	s_waitcnt lgkmcnt(0)
	s_add_u32 s0, s0, s2
	s_addc_u32 s1, s1, s3
	s_load_dword s33, s[0:1], 0x0
	s_lshl_b32 s55, s8, 9
	s_waitcnt lgkmcnt(0)
	s_cmp_ge_i32 s55, s33
	s_cbranch_scc1 .LBB349_659
; %bb.1:
	s_load_dword s9, s[4:5], 0x90
	s_load_dwordx2 s[42:43], s[4:5], 0x30
	s_mov_b32 s56, 0
	s_waitcnt lgkmcnt(0)
	s_abs_i32 s2, s9
	s_abs_i32 s0, s42
	v_cvt_f32_u32_e32 v1, s0
	s_sub_i32 s3, 0, s0
	s_xor_b32 s1, s9, s42
	s_ashr_i32 s1, s1, 31
	v_rcp_iflag_f32_e32 v1, v1
	v_mul_f32_e32 v1, 0x4f7ffffe, v1
	v_cvt_u32_f32_e32 v1, v1
	v_readfirstlane_b32 s7, v1
	s_mul_i32 s3, s3, s7
	s_mul_hi_u32 s3, s7, s3
	s_add_i32 s7, s7, s3
	s_mul_hi_u32 s3, s2, s7
	s_mul_i32 s7, s3, s0
	s_sub_i32 s2, s2, s7
	s_add_i32 s10, s3, 1
	s_sub_i32 s7, s2, s0
	s_cmp_ge_u32 s2, s0
	s_cselect_b32 s3, s10, s3
	s_cselect_b32 s2, s7, s2
	s_add_i32 s7, s3, 1
	s_cmp_ge_u32 s2, s0
	s_cselect_b32 s0, s7, s3
	s_xor_b32 s0, s0, s1
	s_sub_i32 s11, s0, s1
	s_abs_i32 s2, s11
	v_cvt_f32_u32_e32 v1, s2
	s_load_dwordx2 s[0:1], s[4:5], 0x50
	s_sub_i32 s7, 0, s2
	s_abs_i32 s3, s6
	v_rcp_iflag_f32_e32 v1, v1
	v_mul_f32_e32 v1, 0x4f7ffffe, v1
	v_cvt_u32_f32_e32 v1, v1
	v_readfirstlane_b32 s10, v1
	s_mul_i32 s7, s7, s10
	s_mul_hi_u32 s7, s10, s7
	s_add_i32 s10, s10, s7
	s_waitcnt lgkmcnt(0)
	s_cmp_eq_u64 s[0:1], 0
	s_mul_hi_u32 s10, s3, s10
	s_cbranch_scc1 .LBB349_3
; %bb.2:
	s_ashr_i32 s7, s6, 31
	s_lshl_b64 s[12:13], s[6:7], 2
	s_add_u32 s0, s0, s12
	s_addc_u32 s1, s1, s13
	s_load_dword s56, s[0:1], 0x0
.LBB349_3:
	s_load_dwordx4 s[16:19], s[4:5], 0x58
	s_ashr_i32 s7, s6, 31
	s_ashr_i32 s11, s11, 31
	v_and_b32_e32 v2, 3, v0
	s_mul_i32 s28, s6, 0x50
	v_cmp_gt_u32_e32 vcc, 40, v0
	s_and_saveexec_b64 s[0:1], vcc
	s_cbranch_execz .LBB349_5
; %bb.4:
	s_load_dwordx2 s[12:13], s[4:5], 0x18
	s_waitcnt lgkmcnt(0)
	s_mul_i32 s14, s34, s16
	s_ashr_i32 s15, s14, 31
	s_lshl_b64 s[14:15], s[14:15], 1
	v_lshlrev_b32_e32 v1, 2, v0
	s_add_u32 s14, s12, s14
	s_addc_u32 s15, s13, s15
	s_ashr_i32 s29, s28, 31
	s_lshl_b64 s[12:13], s[28:29], 1
	s_add_u32 s12, s14, s12
	s_addc_u32 s13, s15, s13
	global_load_dword v1, v1, s[12:13]
	v_and_b32_e32 v3, 0x3fc, v0
	v_mad_u32_u24 v3, v2, 40, v3
	s_waitcnt vmcnt(0)
	ds_write_b32 v3, v1
.LBB349_5:
	s_or_b64 exec, exec, s[0:1]
	s_mul_i32 s1, s10, s2
	s_sub_i32 s1, s3, s1
	s_xor_b32 s0, s7, s11
	s_add_i32 s3, s10, 1
	s_sub_i32 s7, s1, s2
	s_load_dwordx4 s[20:23], s[4:5], 0x78
	s_cmp_ge_u32 s1, s2
	s_cselect_b32 s3, s3, s10
	s_load_dword s10, s[4:5], 0x88
	s_cselect_b32 s1, s7, s1
	s_add_i32 s7, s3, 1
	s_cmp_ge_u32 s1, s2
	s_cselect_b32 s1, s7, s3
	s_waitcnt lgkmcnt(0)
	s_abs_i32 s35, s23
	v_cvt_f32_u32_e32 v1, s35
	s_xor_b32 s1, s1, s0
	s_sub_i32 s2, s1, s0
	s_sub_i32 s0, 0, s35
	v_rcp_iflag_f32_e32 v1, v1
	s_add_i32 s11, s33, -1
	s_abs_i32 s3, s11
	v_mul_f32_e32 v1, 0x4f7ffffe, v1
	v_cvt_u32_f32_e32 v1, v1
	s_barrier
	v_readfirstlane_b32 s52, v1
	s_mul_i32 s0, s0, s52
	s_mul_hi_u32 s0, s52, s0
	s_add_i32 s52, s52, s0
	s_cmp_lt_i32 s10, 0
	s_mul_hi_u32 s7, s3, s52
	s_cbranch_scc0 .LBB349_7
; %bb.6:
	s_mul_i32 s0, s20, s42
	s_add_i32 s0, s2, s0
	s_mul_i32 s0, s0, s10
	s_sub_i32 s42, 1, s0
	s_mov_b64 s[0:1], 0
	s_branch .LBB349_8
.LBB349_7:
	s_mov_b64 s[0:1], -1
                                        ; implicit-def: $sgpr42
.LBB349_8:
	s_load_dwordx2 s[36:37], s[4:5], 0x38
	s_ashr_i32 s11, s11, 31
	s_andn2_b64 vcc, exec, s[0:1]
	s_ashr_i32 s53, s23, 31
	s_cbranch_vccnz .LBB349_10
; %bb.9:
	s_mul_i32 s0, s9, s20
	s_add_i32 s0, s0, s6
	s_mul_i32 s0, s0, s10
	s_add_i32 s42, s0, 1
.LBB349_10:
	s_load_dwordx2 s[40:41], s[4:5], 0x28
	s_load_dword s0, s[4:5], 0x48
	s_load_dwordx4 s[24:27], s[4:5], 0x0
	s_load_dwordx2 s[30:31], s[4:5], 0x10
	s_load_dword s29, s[4:5], 0x98
	s_load_dwordx4 s[12:15], s[4:5], 0x68
	s_mul_i32 s1, s7, s35
	s_waitcnt lgkmcnt(0)
	s_mul_i32 s38, s34, s0
	s_sub_i32 s1, s3, s1
	s_ashr_i32 s39, s38, 31
	s_xor_b32 s0, s11, s53
	s_add_i32 s3, s7, 1
	s_sub_i32 s10, s1, s35
	s_cmp_ge_u32 s1, s35
	s_cselect_b32 s3, s3, s7
	s_cselect_b32 s1, s10, s1
	s_add_i32 s7, s3, 1
	s_cmp_ge_u32 s1, s35
	s_cselect_b32 s1, s7, s3
	s_xor_b32 s1, s1, s0
	s_sub_i32 s16, s1, s0
	s_add_i32 s0, s33, 15
	s_ashr_i32 s1, s0, 31
	s_lshr_b32 s1, s1, 28
	s_add_i32 s0, s0, s1
	s_lshl_b32 s23, s8, 5
	s_ashr_i32 s7, s0, 4
	s_add_i32 s0, s23, 32
	v_lshrrev_b32_e32 v26, 6, v0
	s_min_i32 s54, s0, s7
	v_or_b32_e32 v14, s23, v26
	v_cmp_gt_i32_e64 s[0:1], s54, v14
	v_mov_b32_e32 v29, 0xff7fffff
	s_mul_i32 s20, s2, s18
	v_ashrrev_i32_e32 v15, 31, v14
	v_lshl_add_u32 v1, v26, 4, s55
	v_mbcnt_lo_u32_b32 v13, -1, 0
	s_and_saveexec_b64 s[18:19], s[0:1]
	s_cbranch_execz .LBB349_220
; %bb.11:
	s_load_dwordx2 s[2:3], s[4:5], 0x20
	s_sub_i32 s57, s16, s21
	s_ashr_i32 s4, s20, 31
	v_cmp_eq_u32_e32 vcc, 0, v2
	v_lshlrev_b32_e32 v12, 1, v2
	s_waitcnt lgkmcnt(0)
	s_add_u32 s2, s2, s20
	s_addc_u32 s3, s3, s4
	s_abs_i32 s59, s22
	v_cvt_f32_u32_e32 v3, s59
	s_sub_i32 s4, 0, s59
	v_mul_u32_u24_e32 v27, 40, v2
	v_bfe_u32 v23, v0, 2, 4
	v_rcp_iflag_f32_e32 v3, v3
	v_lshlrev_b32_e32 v4, 4, v23
	v_mov_b32_e32 v5, s3
	v_add_co_u32_e64 v10, s[2:3], s2, v4
	v_mul_f32_e32 v3, 0x4f7ffffe, v3
	v_cvt_u32_f32_e32 v3, v3
	v_addc_co_u32_e64 v11, s[2:3], 0, v5, s[2:3]
	s_mov_b32 s58, s17
	v_mul_lo_u32 v2, s4, v3
	s_lshl_b64 s[4:5], s[38:39], 2
	v_mul_hi_u32 v2, v3, v2
	s_add_u32 s4, s36, s4
	v_add_u32_e32 v28, v3, v2
	v_lshlrev_b64 v[2:3], 2, v[14:15]
	s_addc_u32 s5, s37, s5
	v_mov_b32_e32 v4, s5
	v_add_co_u32_e64 v16, s[4:5], s4, v2
	v_lshlrev_b32_e32 v2, 2, v23
	v_lshl_or_b32 v2, v26, 6, v2
	v_add_u32_e32 v31, 0xb0, v2
	v_subrev_u32_e32 v2, s33, v23
	v_mov_b32_e32 v25, 0
	v_cmp_neq_f32_e64 s[2:3], s56, 0
	v_addc_co_u32_e64 v17, s[4:5], v4, v3, s[4:5]
	v_lshl_add_u32 v30, v26, 4, s55
	v_add_u32_e32 v32, 1, v2
	s_mov_b64 s[44:45], 0
	v_mov_b32_e32 v33, 0xff7fffff
	s_movk_i32 s60, 0x80
	s_movk_i32 s61, 0x7f
	s_mov_b32 s62, 0x7f800000
	s_movk_i32 s63, 0x7fff
	v_bfrev_b32_e32 v34, 60
	v_mbcnt_hi_u32_b32 v35, -1, v13
	v_mov_b32_e32 v29, 0xff7fffff
	v_mov_b32_e32 v36, v14
	s_branch .LBB349_14
.LBB349_12:                             ;   in Loop: Header=BB349_14 Depth=1
	s_or_b64 exec, exec, s[46:47]
.LBB349_13:                             ;   in Loop: Header=BB349_14 Depth=1
	s_or_b64 exec, exec, s[10:11]
	v_add_co_u32_e64 v16, s[4:5], 8, v16
	v_add_u32_e32 v36, 2, v36
	v_addc_co_u32_e64 v17, s[4:5], 0, v17, s[4:5]
	v_cmp_le_i32_e64 s[4:5], s54, v36
	v_add_u32_e32 v30, 32, v30
	s_or_b64 s[44:45], s[4:5], s[44:45]
	v_add_u32_e32 v31, 0x80, v31
	s_andn2_b64 exec, exec, s[44:45]
	s_cbranch_execz .LBB349_219
.LBB349_14:                             ; =>This Inner Loop Header: Depth=1
	s_waitcnt lgkmcnt(0)
	v_sub_u32_e32 v3, 0, v30
	v_max_i32_e32 v3, v30, v3
	v_mul_hi_u32 v4, v3, s52
	v_mul_lo_u32 v5, v4, s35
	v_sub_u32_e32 v3, v3, v5
	v_add_u32_e32 v5, 1, v4
	v_cmp_le_u32_e64 s[4:5], s35, v3
	v_cndmask_b32_e64 v4, v4, v5, s[4:5]
	v_subrev_u32_e32 v5, s35, v3
	v_cndmask_b32_e64 v3, v3, v5, s[4:5]
	v_ashrrev_i32_e32 v2, 31, v30
	v_add_u32_e32 v5, 1, v4
	v_cmp_le_u32_e64 s[4:5], s35, v3
	v_xor_b32_e32 v2, s53, v2
	v_cndmask_b32_e64 v3, v4, v5, s[4:5]
	v_xor_b32_e32 v3, v3, v2
	v_sub_u32_e32 v2, v3, v2
	v_add_u32_e32 v3, s42, v2
	v_sub_u32_e32 v5, 0, v3
	v_ashrrev_i32_e32 v4, 31, v3
	v_max_i32_e32 v3, v3, v5
	v_mul_hi_u32 v5, v3, v28
	v_mul_lo_u32 v5, v5, s59
	v_sub_u32_e32 v3, v3, v5
	v_subrev_u32_e32 v5, s59, v3
	v_cmp_le_u32_e64 s[4:5], s59, v3
	v_cndmask_b32_e64 v3, v3, v5, s[4:5]
	v_subrev_u32_e32 v5, s59, v3
	v_cmp_le_u32_e64 s[4:5], s59, v3
	v_cndmask_b32_e64 v3, v3, v5, s[4:5]
	v_xor_b32_e32 v3, v3, v4
	v_sub_u32_e32 v3, v3, v4
	v_cmp_ne_u32_e64 s[4:5], 0, v3
	v_cmp_ge_i32_e64 s[10:11], s57, v2
	s_and_b64 s[4:5], s[4:5], s[10:11]
	s_and_b64 s[46:47], vcc, s[4:5]
	s_and_saveexec_b64 s[10:11], s[46:47]
	s_cbranch_execz .LBB349_16
; %bb.15:                               ;   in Loop: Header=BB349_14 Depth=1
	ds_write_b32 v31, v33
.LBB349_16:                             ;   in Loop: Header=BB349_14 Depth=1
	s_or_b64 exec, exec, s[10:11]
	s_xor_b64 s[4:5], s[4:5], -1
	s_and_saveexec_b64 s[10:11], s[4:5]
	s_cbranch_execz .LBB349_13
; %bb.17:                               ;   in Loop: Header=BB349_14 Depth=1
	global_load_dword v2, v[16:17], off
	s_waitcnt vmcnt(0)
	v_mad_i64_i32 v[2:3], s[4:5], v2, s58, v[10:11]
	v_add_co_u32_e64 v20, s[4:5], v2, v12
	v_addc_co_u32_e64 v21, s[4:5], 0, v3, s[4:5]
	global_load_ushort v24, v[20:21], off
	ds_read2_b64 v[6:9], v27 offset1:1
	ds_read2_b64 v[2:5], v27 offset0:2 offset1:3
	ds_read_b64 v[18:19], v27 offset:32
	s_load_dword s64, s[12:13], 0x0
	s_waitcnt vmcnt(0)
	v_and_b32_e32 v22, 0xffff, v24
	v_cmp_ne_u16_sdwa s[4:5], v24, v25 src0_sel:BYTE_0 src1_sel:DWORD
	v_mov_b32_e32 v24, 0
	s_and_saveexec_b64 s[46:47], s[4:5]
	s_cbranch_execz .LBB349_23
; %bb.18:                               ;   in Loop: Header=BB349_14 Depth=1
	v_cmp_ne_u16_sdwa s[4:5], v22, s60 src0_sel:BYTE_0 src1_sel:DWORD
	v_bfrev_b32_e32 v24, 1
	s_and_saveexec_b64 s[48:49], s[4:5]
	s_cbranch_execz .LBB349_22
; %bb.19:                               ;   in Loop: Header=BB349_14 Depth=1
	v_and_b32_e32 v37, 0x7f, v22
	v_cmp_ne_u32_e64 s[4:5], s61, v37
	v_mov_b32_e32 v24, 0x7f800001
	s_and_saveexec_b64 s[50:51], s[4:5]
	s_cbranch_execz .LBB349_21
; %bb.20:                               ;   in Loop: Header=BB349_14 Depth=1
	v_and_b32_e32 v24, 7, v22
	v_ffbh_u32_e32 v38, v24
	v_min_u32_e32 v41, 32, v38
	v_subrev_u32_e32 v38, 28, v41
	v_lshlrev_b64 v[38:39], v38, v[22:23]
	v_lshrrev_b32_e32 v40, 3, v37
	v_sub_u32_e32 v39, 29, v41
	v_and_b32_e32 v38, 7, v38
	v_cmp_gt_u32_e64 s[4:5], 8, v37
	v_cndmask_b32_e64 v37, v40, v39, s[4:5]
	v_cndmask_b32_e64 v24, v24, v38, s[4:5]
	v_lshlrev_b32_e32 v38, 24, v22
	v_lshlrev_b32_e32 v24, 20, v24
	v_and_b32_e32 v38, 0x80000000, v38
	v_lshl_add_u32 v37, v37, 23, v34
	v_or3_b32 v24, v38, v37, v24
.LBB349_21:                             ;   in Loop: Header=BB349_14 Depth=1
	s_or_b64 exec, exec, s[50:51]
.LBB349_22:                             ;   in Loop: Header=BB349_14 Depth=1
	s_or_b64 exec, exec, s[48:49]
.LBB349_23:                             ;   in Loop: Header=BB349_14 Depth=1
	s_or_b64 exec, exec, s[46:47]
	s_waitcnt lgkmcnt(0)
	v_mul_f32_e32 v24, s64, v24
	v_and_b32_e32 v37, 0x7f800000, v24
	v_cmp_ne_u32_e64 s[4:5], s62, v37
                                        ; implicit-def: $vgpr37
	s_and_saveexec_b64 s[46:47], s[4:5]
	s_xor_b64 s[4:5], exec, s[46:47]
; %bb.24:                               ;   in Loop: Header=BB349_14 Depth=1
	v_bfe_u32 v37, v24, 16, 1
	v_add3_u32 v37, v24, v37, s63
                                        ; implicit-def: $vgpr24
; %bb.25:                               ;   in Loop: Header=BB349_14 Depth=1
	s_andn2_saveexec_b64 s[46:47], s[4:5]
; %bb.26:                               ;   in Loop: Header=BB349_14 Depth=1
	v_or_b32_e32 v37, 0x10000, v24
	v_cmp_eq_u32_sdwa s[4:5], v24, v25 src0_sel:WORD_0 src1_sel:DWORD
	v_cndmask_b32_e64 v37, v37, v24, s[4:5]
; %bb.27:                               ;   in Loop: Header=BB349_14 Depth=1
	s_or_b64 exec, exec, s[46:47]
	v_lshrrev_b16_e32 v24, 8, v22
	v_cmp_ne_u16_e64 s[4:5], 0, v24
	v_mov_b32_e32 v38, 0
	s_and_saveexec_b64 s[46:47], s[4:5]
	s_cbranch_execz .LBB349_33
; %bb.28:                               ;   in Loop: Header=BB349_14 Depth=1
	v_cmp_ne_u16_e64 s[4:5], s60, v24
	v_bfrev_b32_e32 v38, 1
	s_and_saveexec_b64 s[48:49], s[4:5]
	s_cbranch_execz .LBB349_32
; %bb.29:                               ;   in Loop: Header=BB349_14 Depth=1
	v_and_b32_e32 v39, 0x7f, v24
	v_cmp_ne_u32_e64 s[4:5], s61, v39
	v_mov_b32_e32 v38, 0x7f800001
	s_and_saveexec_b64 s[50:51], s[4:5]
	s_cbranch_execz .LBB349_31
; %bb.30:                               ;   in Loop: Header=BB349_14 Depth=1
	v_and_b32_e32 v38, 7, v24
	v_ffbh_u32_e32 v40, v38
	v_min_u32_e32 v43, 32, v40
	v_subrev_u32_e32 v40, 28, v43
	v_lshlrev_b64 v[40:41], v40, v[24:25]
	v_lshrrev_b32_e32 v42, 3, v39
	v_sub_u32_e32 v24, 29, v43
	v_and_b32_e32 v40, 7, v40
	v_cmp_gt_u32_e64 s[4:5], 8, v39
	v_cndmask_b32_e64 v24, v42, v24, s[4:5]
	v_cndmask_b32_e64 v38, v38, v40, s[4:5]
	v_lshlrev_b32_e32 v22, 16, v22
	v_lshlrev_b32_e32 v38, 20, v38
	v_and_b32_e32 v22, 0x80000000, v22
	v_lshl_add_u32 v24, v24, 23, v34
	v_or3_b32 v38, v22, v24, v38
.LBB349_31:                             ;   in Loop: Header=BB349_14 Depth=1
	s_or_b64 exec, exec, s[50:51]
.LBB349_32:                             ;   in Loop: Header=BB349_14 Depth=1
	s_or_b64 exec, exec, s[48:49]
.LBB349_33:                             ;   in Loop: Header=BB349_14 Depth=1
	s_or_b64 exec, exec, s[46:47]
	v_mul_f32_e32 v22, s64, v38
	v_and_b32_e32 v24, 0x7f800000, v22
	v_cmp_ne_u32_e64 s[4:5], s62, v24
                                        ; implicit-def: $vgpr38
	s_and_saveexec_b64 s[46:47], s[4:5]
	s_xor_b64 s[4:5], exec, s[46:47]
; %bb.34:                               ;   in Loop: Header=BB349_14 Depth=1
	v_bfe_u32 v24, v22, 16, 1
	v_add3_u32 v38, v22, v24, s63
                                        ; implicit-def: $vgpr22
; %bb.35:                               ;   in Loop: Header=BB349_14 Depth=1
	s_andn2_saveexec_b64 s[46:47], s[4:5]
; %bb.36:                               ;   in Loop: Header=BB349_14 Depth=1
	v_or_b32_e32 v24, 0x10000, v22
	v_cmp_eq_u32_sdwa s[4:5], v22, v25 src0_sel:WORD_0 src1_sel:DWORD
	v_cndmask_b32_e64 v38, v24, v22, s[4:5]
; %bb.37:                               ;   in Loop: Header=BB349_14 Depth=1
	s_or_b64 exec, exec, s[46:47]
	global_load_ushort v24, v[20:21], off offset:8
	s_waitcnt vmcnt(0)
	v_and_b32_e32 v22, 0xffff, v24
	v_cmp_ne_u16_sdwa s[4:5], v24, v25 src0_sel:BYTE_0 src1_sel:DWORD
	v_mov_b32_e32 v24, 0
	s_and_saveexec_b64 s[46:47], s[4:5]
	s_cbranch_execz .LBB349_43
; %bb.38:                               ;   in Loop: Header=BB349_14 Depth=1
	v_cmp_ne_u16_sdwa s[4:5], v22, s60 src0_sel:BYTE_0 src1_sel:DWORD
	v_bfrev_b32_e32 v24, 1
	s_and_saveexec_b64 s[48:49], s[4:5]
	s_cbranch_execz .LBB349_42
; %bb.39:                               ;   in Loop: Header=BB349_14 Depth=1
	v_and_b32_e32 v39, 0x7f, v22
	v_cmp_ne_u32_e64 s[4:5], s61, v39
	v_mov_b32_e32 v24, 0x7f800001
	s_and_saveexec_b64 s[50:51], s[4:5]
	s_cbranch_execz .LBB349_41
; %bb.40:                               ;   in Loop: Header=BB349_14 Depth=1
	v_and_b32_e32 v24, 7, v22
	v_ffbh_u32_e32 v40, v24
	v_min_u32_e32 v43, 32, v40
	v_subrev_u32_e32 v40, 28, v43
	v_lshlrev_b64 v[40:41], v40, v[22:23]
	v_lshrrev_b32_e32 v42, 3, v39
	v_sub_u32_e32 v41, 29, v43
	v_and_b32_e32 v40, 7, v40
	v_cmp_gt_u32_e64 s[4:5], 8, v39
	v_cndmask_b32_e64 v39, v42, v41, s[4:5]
	v_cndmask_b32_e64 v24, v24, v40, s[4:5]
	v_lshlrev_b32_e32 v40, 24, v22
	v_lshlrev_b32_e32 v24, 20, v24
	v_and_b32_e32 v40, 0x80000000, v40
	v_lshl_add_u32 v39, v39, 23, v34
	v_or3_b32 v24, v40, v39, v24
.LBB349_41:                             ;   in Loop: Header=BB349_14 Depth=1
	s_or_b64 exec, exec, s[50:51]
.LBB349_42:                             ;   in Loop: Header=BB349_14 Depth=1
	s_or_b64 exec, exec, s[48:49]
.LBB349_43:                             ;   in Loop: Header=BB349_14 Depth=1
	s_or_b64 exec, exec, s[46:47]
	v_mul_f32_e32 v24, s64, v24
	v_and_b32_e32 v39, 0x7f800000, v24
	v_cmp_ne_u32_e64 s[4:5], s62, v39
                                        ; implicit-def: $vgpr39
	s_and_saveexec_b64 s[46:47], s[4:5]
	s_xor_b64 s[4:5], exec, s[46:47]
; %bb.44:                               ;   in Loop: Header=BB349_14 Depth=1
	v_bfe_u32 v39, v24, 16, 1
	v_add3_u32 v39, v24, v39, s63
                                        ; implicit-def: $vgpr24
; %bb.45:                               ;   in Loop: Header=BB349_14 Depth=1
	s_andn2_saveexec_b64 s[46:47], s[4:5]
; %bb.46:                               ;   in Loop: Header=BB349_14 Depth=1
	v_or_b32_e32 v39, 0x10000, v24
	v_cmp_eq_u32_sdwa s[4:5], v24, v25 src0_sel:WORD_0 src1_sel:DWORD
	v_cndmask_b32_e64 v39, v39, v24, s[4:5]
; %bb.47:                               ;   in Loop: Header=BB349_14 Depth=1
	s_or_b64 exec, exec, s[46:47]
	v_lshrrev_b16_e32 v24, 8, v22
	v_cmp_ne_u16_e64 s[4:5], 0, v24
	v_mov_b32_e32 v40, 0
	s_and_saveexec_b64 s[46:47], s[4:5]
	s_cbranch_execz .LBB349_53
; %bb.48:                               ;   in Loop: Header=BB349_14 Depth=1
	v_cmp_ne_u16_e64 s[4:5], s60, v24
	v_bfrev_b32_e32 v40, 1
	s_and_saveexec_b64 s[48:49], s[4:5]
	s_cbranch_execz .LBB349_52
; %bb.49:                               ;   in Loop: Header=BB349_14 Depth=1
	v_and_b32_e32 v41, 0x7f, v24
	v_cmp_ne_u32_e64 s[4:5], s61, v41
	v_mov_b32_e32 v40, 0x7f800001
	s_and_saveexec_b64 s[50:51], s[4:5]
	s_cbranch_execz .LBB349_51
; %bb.50:                               ;   in Loop: Header=BB349_14 Depth=1
	v_and_b32_e32 v40, 7, v24
	v_ffbh_u32_e32 v42, v40
	v_min_u32_e32 v45, 32, v42
	v_subrev_u32_e32 v42, 28, v45
	v_lshlrev_b64 v[42:43], v42, v[24:25]
	v_lshrrev_b32_e32 v44, 3, v41
	v_sub_u32_e32 v24, 29, v45
	v_and_b32_e32 v42, 7, v42
	v_cmp_gt_u32_e64 s[4:5], 8, v41
	v_cndmask_b32_e64 v24, v44, v24, s[4:5]
	v_cndmask_b32_e64 v40, v40, v42, s[4:5]
	v_lshlrev_b32_e32 v22, 16, v22
	v_lshlrev_b32_e32 v40, 20, v40
	v_and_b32_e32 v22, 0x80000000, v22
	v_lshl_add_u32 v24, v24, 23, v34
	v_or3_b32 v40, v22, v24, v40
.LBB349_51:                             ;   in Loop: Header=BB349_14 Depth=1
	s_or_b64 exec, exec, s[50:51]
.LBB349_52:                             ;   in Loop: Header=BB349_14 Depth=1
	s_or_b64 exec, exec, s[48:49]
.LBB349_53:                             ;   in Loop: Header=BB349_14 Depth=1
	s_or_b64 exec, exec, s[46:47]
	v_mul_f32_e32 v22, s64, v40
	v_and_b32_e32 v24, 0x7f800000, v22
	v_cmp_ne_u32_e64 s[4:5], s62, v24
                                        ; implicit-def: $vgpr40
	s_and_saveexec_b64 s[46:47], s[4:5]
	s_xor_b64 s[4:5], exec, s[46:47]
; %bb.54:                               ;   in Loop: Header=BB349_14 Depth=1
	v_bfe_u32 v24, v22, 16, 1
	v_add3_u32 v40, v22, v24, s63
                                        ; implicit-def: $vgpr22
; %bb.55:                               ;   in Loop: Header=BB349_14 Depth=1
	s_andn2_saveexec_b64 s[46:47], s[4:5]
; %bb.56:                               ;   in Loop: Header=BB349_14 Depth=1
	v_or_b32_e32 v24, 0x10000, v22
	v_cmp_eq_u32_sdwa s[4:5], v22, v25 src0_sel:WORD_0 src1_sel:DWORD
	v_cndmask_b32_e64 v40, v24, v22, s[4:5]
; %bb.57:                               ;   in Loop: Header=BB349_14 Depth=1
	s_or_b64 exec, exec, s[46:47]
	global_load_ushort v24, v[20:21], off offset:256
	s_waitcnt vmcnt(0)
	v_and_b32_e32 v22, 0xffff, v24
	v_cmp_ne_u16_sdwa s[4:5], v24, v25 src0_sel:BYTE_0 src1_sel:DWORD
	v_mov_b32_e32 v24, 0
	s_and_saveexec_b64 s[46:47], s[4:5]
	s_cbranch_execz .LBB349_63
; %bb.58:                               ;   in Loop: Header=BB349_14 Depth=1
	v_cmp_ne_u16_sdwa s[4:5], v22, s60 src0_sel:BYTE_0 src1_sel:DWORD
	v_bfrev_b32_e32 v24, 1
	s_and_saveexec_b64 s[48:49], s[4:5]
	s_cbranch_execz .LBB349_62
; %bb.59:                               ;   in Loop: Header=BB349_14 Depth=1
	v_and_b32_e32 v41, 0x7f, v22
	v_cmp_ne_u32_e64 s[4:5], s61, v41
	v_mov_b32_e32 v24, 0x7f800001
	s_and_saveexec_b64 s[50:51], s[4:5]
	s_cbranch_execz .LBB349_61
; %bb.60:                               ;   in Loop: Header=BB349_14 Depth=1
	v_and_b32_e32 v24, 7, v22
	v_ffbh_u32_e32 v42, v24
	v_min_u32_e32 v45, 32, v42
	v_subrev_u32_e32 v42, 28, v45
	v_lshlrev_b64 v[42:43], v42, v[22:23]
	v_lshrrev_b32_e32 v44, 3, v41
	v_sub_u32_e32 v43, 29, v45
	v_and_b32_e32 v42, 7, v42
	v_cmp_gt_u32_e64 s[4:5], 8, v41
	v_cndmask_b32_e64 v41, v44, v43, s[4:5]
	v_cndmask_b32_e64 v24, v24, v42, s[4:5]
	v_lshlrev_b32_e32 v42, 24, v22
	v_lshlrev_b32_e32 v24, 20, v24
	v_and_b32_e32 v42, 0x80000000, v42
	v_lshl_add_u32 v41, v41, 23, v34
	v_or3_b32 v24, v42, v41, v24
.LBB349_61:                             ;   in Loop: Header=BB349_14 Depth=1
	s_or_b64 exec, exec, s[50:51]
.LBB349_62:                             ;   in Loop: Header=BB349_14 Depth=1
	s_or_b64 exec, exec, s[48:49]
.LBB349_63:                             ;   in Loop: Header=BB349_14 Depth=1
	s_or_b64 exec, exec, s[46:47]
	v_mul_f32_e32 v24, s64, v24
	v_and_b32_e32 v41, 0x7f800000, v24
	v_cmp_ne_u32_e64 s[4:5], s62, v41
                                        ; implicit-def: $vgpr41
	s_and_saveexec_b64 s[46:47], s[4:5]
	s_xor_b64 s[4:5], exec, s[46:47]
; %bb.64:                               ;   in Loop: Header=BB349_14 Depth=1
	v_bfe_u32 v41, v24, 16, 1
	v_add3_u32 v41, v24, v41, s63
                                        ; implicit-def: $vgpr24
; %bb.65:                               ;   in Loop: Header=BB349_14 Depth=1
	s_andn2_saveexec_b64 s[46:47], s[4:5]
; %bb.66:                               ;   in Loop: Header=BB349_14 Depth=1
	v_or_b32_e32 v41, 0x10000, v24
	v_cmp_eq_u32_sdwa s[4:5], v24, v25 src0_sel:WORD_0 src1_sel:DWORD
	v_cndmask_b32_e64 v41, v41, v24, s[4:5]
; %bb.67:                               ;   in Loop: Header=BB349_14 Depth=1
	s_or_b64 exec, exec, s[46:47]
	v_lshrrev_b16_e32 v24, 8, v22
	v_cmp_ne_u16_e64 s[4:5], 0, v24
	v_mov_b32_e32 v42, 0
	s_and_saveexec_b64 s[46:47], s[4:5]
	s_cbranch_execz .LBB349_73
; %bb.68:                               ;   in Loop: Header=BB349_14 Depth=1
	v_cmp_ne_u16_e64 s[4:5], s60, v24
	v_bfrev_b32_e32 v42, 1
	s_and_saveexec_b64 s[48:49], s[4:5]
	s_cbranch_execz .LBB349_72
; %bb.69:                               ;   in Loop: Header=BB349_14 Depth=1
	v_and_b32_e32 v43, 0x7f, v24
	v_cmp_ne_u32_e64 s[4:5], s61, v43
	v_mov_b32_e32 v42, 0x7f800001
	s_and_saveexec_b64 s[50:51], s[4:5]
	s_cbranch_execz .LBB349_71
; %bb.70:                               ;   in Loop: Header=BB349_14 Depth=1
	v_and_b32_e32 v42, 7, v24
	v_ffbh_u32_e32 v44, v42
	v_min_u32_e32 v47, 32, v44
	v_subrev_u32_e32 v44, 28, v47
	v_lshlrev_b64 v[44:45], v44, v[24:25]
	v_lshrrev_b32_e32 v46, 3, v43
	v_sub_u32_e32 v24, 29, v47
	v_and_b32_e32 v44, 7, v44
	v_cmp_gt_u32_e64 s[4:5], 8, v43
	v_cndmask_b32_e64 v24, v46, v24, s[4:5]
	v_cndmask_b32_e64 v42, v42, v44, s[4:5]
	v_lshlrev_b32_e32 v22, 16, v22
	v_lshlrev_b32_e32 v42, 20, v42
	v_and_b32_e32 v22, 0x80000000, v22
	v_lshl_add_u32 v24, v24, 23, v34
	v_or3_b32 v42, v22, v24, v42
.LBB349_71:                             ;   in Loop: Header=BB349_14 Depth=1
	s_or_b64 exec, exec, s[50:51]
.LBB349_72:                             ;   in Loop: Header=BB349_14 Depth=1
	s_or_b64 exec, exec, s[48:49]
.LBB349_73:                             ;   in Loop: Header=BB349_14 Depth=1
	s_or_b64 exec, exec, s[46:47]
	v_mul_f32_e32 v22, s64, v42
	v_and_b32_e32 v24, 0x7f800000, v22
	v_cmp_ne_u32_e64 s[4:5], s62, v24
                                        ; implicit-def: $vgpr42
	s_and_saveexec_b64 s[46:47], s[4:5]
	s_xor_b64 s[4:5], exec, s[46:47]
; %bb.74:                               ;   in Loop: Header=BB349_14 Depth=1
	v_bfe_u32 v24, v22, 16, 1
	v_add3_u32 v42, v22, v24, s63
                                        ; implicit-def: $vgpr22
; %bb.75:                               ;   in Loop: Header=BB349_14 Depth=1
	s_andn2_saveexec_b64 s[46:47], s[4:5]
; %bb.76:                               ;   in Loop: Header=BB349_14 Depth=1
	v_or_b32_e32 v24, 0x10000, v22
	v_cmp_eq_u32_sdwa s[4:5], v22, v25 src0_sel:WORD_0 src1_sel:DWORD
	v_cndmask_b32_e64 v42, v24, v22, s[4:5]
; %bb.77:                               ;   in Loop: Header=BB349_14 Depth=1
	s_or_b64 exec, exec, s[46:47]
	global_load_ushort v24, v[20:21], off offset:264
	s_waitcnt vmcnt(0)
	v_and_b32_e32 v22, 0xffff, v24
	v_cmp_ne_u16_sdwa s[4:5], v24, v25 src0_sel:BYTE_0 src1_sel:DWORD
	v_mov_b32_e32 v24, 0
	s_and_saveexec_b64 s[46:47], s[4:5]
	s_cbranch_execz .LBB349_83
; %bb.78:                               ;   in Loop: Header=BB349_14 Depth=1
	v_cmp_ne_u16_sdwa s[4:5], v22, s60 src0_sel:BYTE_0 src1_sel:DWORD
	v_bfrev_b32_e32 v24, 1
	s_and_saveexec_b64 s[48:49], s[4:5]
	s_cbranch_execz .LBB349_82
; %bb.79:                               ;   in Loop: Header=BB349_14 Depth=1
	v_and_b32_e32 v43, 0x7f, v22
	v_cmp_ne_u32_e64 s[4:5], s61, v43
	v_mov_b32_e32 v24, 0x7f800001
	s_and_saveexec_b64 s[50:51], s[4:5]
	s_cbranch_execz .LBB349_81
; %bb.80:                               ;   in Loop: Header=BB349_14 Depth=1
	v_and_b32_e32 v24, 7, v22
	v_ffbh_u32_e32 v44, v24
	v_min_u32_e32 v47, 32, v44
	v_subrev_u32_e32 v44, 28, v47
	v_lshlrev_b64 v[44:45], v44, v[22:23]
	v_lshrrev_b32_e32 v46, 3, v43
	v_sub_u32_e32 v45, 29, v47
	v_and_b32_e32 v44, 7, v44
	v_cmp_gt_u32_e64 s[4:5], 8, v43
	v_cndmask_b32_e64 v43, v46, v45, s[4:5]
	v_cndmask_b32_e64 v24, v24, v44, s[4:5]
	v_lshlrev_b32_e32 v44, 24, v22
	v_lshlrev_b32_e32 v24, 20, v24
	v_and_b32_e32 v44, 0x80000000, v44
	v_lshl_add_u32 v43, v43, 23, v34
	v_or3_b32 v24, v44, v43, v24
.LBB349_81:                             ;   in Loop: Header=BB349_14 Depth=1
	s_or_b64 exec, exec, s[50:51]
.LBB349_82:                             ;   in Loop: Header=BB349_14 Depth=1
	s_or_b64 exec, exec, s[48:49]
.LBB349_83:                             ;   in Loop: Header=BB349_14 Depth=1
	s_or_b64 exec, exec, s[46:47]
	v_mul_f32_e32 v24, s64, v24
	v_and_b32_e32 v43, 0x7f800000, v24
	v_cmp_ne_u32_e64 s[4:5], s62, v43
                                        ; implicit-def: $vgpr43
	s_and_saveexec_b64 s[46:47], s[4:5]
	s_xor_b64 s[4:5], exec, s[46:47]
; %bb.84:                               ;   in Loop: Header=BB349_14 Depth=1
	v_bfe_u32 v43, v24, 16, 1
	v_add3_u32 v43, v24, v43, s63
                                        ; implicit-def: $vgpr24
; %bb.85:                               ;   in Loop: Header=BB349_14 Depth=1
	s_andn2_saveexec_b64 s[46:47], s[4:5]
; %bb.86:                               ;   in Loop: Header=BB349_14 Depth=1
	v_or_b32_e32 v43, 0x10000, v24
	v_cmp_eq_u32_sdwa s[4:5], v24, v25 src0_sel:WORD_0 src1_sel:DWORD
	v_cndmask_b32_e64 v43, v43, v24, s[4:5]
; %bb.87:                               ;   in Loop: Header=BB349_14 Depth=1
	s_or_b64 exec, exec, s[46:47]
	v_lshrrev_b16_e32 v24, 8, v22
	v_cmp_ne_u16_e64 s[4:5], 0, v24
	v_mov_b32_e32 v44, 0
	s_and_saveexec_b64 s[46:47], s[4:5]
	s_cbranch_execz .LBB349_93
; %bb.88:                               ;   in Loop: Header=BB349_14 Depth=1
	v_cmp_ne_u16_e64 s[4:5], s60, v24
	v_bfrev_b32_e32 v44, 1
	s_and_saveexec_b64 s[48:49], s[4:5]
	s_cbranch_execz .LBB349_92
; %bb.89:                               ;   in Loop: Header=BB349_14 Depth=1
	v_and_b32_e32 v45, 0x7f, v24
	v_cmp_ne_u32_e64 s[4:5], s61, v45
	v_mov_b32_e32 v44, 0x7f800001
	s_and_saveexec_b64 s[50:51], s[4:5]
	s_cbranch_execz .LBB349_91
; %bb.90:                               ;   in Loop: Header=BB349_14 Depth=1
	v_and_b32_e32 v44, 7, v24
	v_ffbh_u32_e32 v46, v44
	v_min_u32_e32 v49, 32, v46
	v_subrev_u32_e32 v46, 28, v49
	v_lshlrev_b64 v[46:47], v46, v[24:25]
	v_lshrrev_b32_e32 v48, 3, v45
	v_sub_u32_e32 v24, 29, v49
	v_and_b32_e32 v46, 7, v46
	v_cmp_gt_u32_e64 s[4:5], 8, v45
	v_cndmask_b32_e64 v24, v48, v24, s[4:5]
	v_cndmask_b32_e64 v44, v44, v46, s[4:5]
	v_lshlrev_b32_e32 v22, 16, v22
	v_lshlrev_b32_e32 v44, 20, v44
	v_and_b32_e32 v22, 0x80000000, v22
	v_lshl_add_u32 v24, v24, 23, v34
	v_or3_b32 v44, v22, v24, v44
.LBB349_91:                             ;   in Loop: Header=BB349_14 Depth=1
	s_or_b64 exec, exec, s[50:51]
.LBB349_92:                             ;   in Loop: Header=BB349_14 Depth=1
	s_or_b64 exec, exec, s[48:49]
.LBB349_93:                             ;   in Loop: Header=BB349_14 Depth=1
	s_or_b64 exec, exec, s[46:47]
	v_mul_f32_e32 v22, s64, v44
	v_and_b32_e32 v24, 0x7f800000, v22
	v_cmp_ne_u32_e64 s[4:5], s62, v24
                                        ; implicit-def: $vgpr44
	s_and_saveexec_b64 s[46:47], s[4:5]
	s_xor_b64 s[4:5], exec, s[46:47]
; %bb.94:                               ;   in Loop: Header=BB349_14 Depth=1
	v_bfe_u32 v24, v22, 16, 1
	v_add3_u32 v44, v22, v24, s63
                                        ; implicit-def: $vgpr22
; %bb.95:                               ;   in Loop: Header=BB349_14 Depth=1
	s_andn2_saveexec_b64 s[46:47], s[4:5]
; %bb.96:                               ;   in Loop: Header=BB349_14 Depth=1
	v_or_b32_e32 v24, 0x10000, v22
	v_cmp_eq_u32_sdwa s[4:5], v22, v25 src0_sel:WORD_0 src1_sel:DWORD
	v_cndmask_b32_e64 v44, v24, v22, s[4:5]
; %bb.97:                               ;   in Loop: Header=BB349_14 Depth=1
	s_or_b64 exec, exec, s[46:47]
	global_load_ushort v24, v[20:21], off offset:512
	s_waitcnt vmcnt(0)
	v_and_b32_e32 v22, 0xffff, v24
	v_cmp_ne_u16_sdwa s[4:5], v24, v25 src0_sel:BYTE_0 src1_sel:DWORD
	v_mov_b32_e32 v24, 0
	s_and_saveexec_b64 s[46:47], s[4:5]
	s_cbranch_execz .LBB349_103
; %bb.98:                               ;   in Loop: Header=BB349_14 Depth=1
	v_cmp_ne_u16_sdwa s[4:5], v22, s60 src0_sel:BYTE_0 src1_sel:DWORD
	v_bfrev_b32_e32 v24, 1
	s_and_saveexec_b64 s[48:49], s[4:5]
	s_cbranch_execz .LBB349_102
; %bb.99:                               ;   in Loop: Header=BB349_14 Depth=1
	v_and_b32_e32 v45, 0x7f, v22
	v_cmp_ne_u32_e64 s[4:5], s61, v45
	v_mov_b32_e32 v24, 0x7f800001
	s_and_saveexec_b64 s[50:51], s[4:5]
	s_cbranch_execz .LBB349_101
; %bb.100:                              ;   in Loop: Header=BB349_14 Depth=1
	v_and_b32_e32 v24, 7, v22
	v_ffbh_u32_e32 v46, v24
	v_min_u32_e32 v49, 32, v46
	v_subrev_u32_e32 v46, 28, v49
	v_lshlrev_b64 v[46:47], v46, v[22:23]
	v_lshrrev_b32_e32 v48, 3, v45
	v_sub_u32_e32 v47, 29, v49
	v_and_b32_e32 v46, 7, v46
	v_cmp_gt_u32_e64 s[4:5], 8, v45
	v_cndmask_b32_e64 v45, v48, v47, s[4:5]
	v_cndmask_b32_e64 v24, v24, v46, s[4:5]
	v_lshlrev_b32_e32 v46, 24, v22
	v_lshlrev_b32_e32 v24, 20, v24
	v_and_b32_e32 v46, 0x80000000, v46
	v_lshl_add_u32 v45, v45, 23, v34
	v_or3_b32 v24, v46, v45, v24
.LBB349_101:                            ;   in Loop: Header=BB349_14 Depth=1
	s_or_b64 exec, exec, s[50:51]
.LBB349_102:                            ;   in Loop: Header=BB349_14 Depth=1
	s_or_b64 exec, exec, s[48:49]
.LBB349_103:                            ;   in Loop: Header=BB349_14 Depth=1
	s_or_b64 exec, exec, s[46:47]
	v_mul_f32_e32 v24, s64, v24
	v_and_b32_e32 v45, 0x7f800000, v24
	v_cmp_ne_u32_e64 s[4:5], s62, v45
                                        ; implicit-def: $vgpr45
	s_and_saveexec_b64 s[46:47], s[4:5]
	s_xor_b64 s[4:5], exec, s[46:47]
; %bb.104:                              ;   in Loop: Header=BB349_14 Depth=1
	v_bfe_u32 v45, v24, 16, 1
	v_add3_u32 v45, v24, v45, s63
                                        ; implicit-def: $vgpr24
; %bb.105:                              ;   in Loop: Header=BB349_14 Depth=1
	s_andn2_saveexec_b64 s[46:47], s[4:5]
; %bb.106:                              ;   in Loop: Header=BB349_14 Depth=1
	v_or_b32_e32 v45, 0x10000, v24
	v_cmp_eq_u32_sdwa s[4:5], v24, v25 src0_sel:WORD_0 src1_sel:DWORD
	v_cndmask_b32_e64 v45, v45, v24, s[4:5]
; %bb.107:                              ;   in Loop: Header=BB349_14 Depth=1
	s_or_b64 exec, exec, s[46:47]
	v_lshrrev_b16_e32 v24, 8, v22
	v_cmp_ne_u16_e64 s[4:5], 0, v24
	v_mov_b32_e32 v46, 0
	s_and_saveexec_b64 s[46:47], s[4:5]
	s_cbranch_execz .LBB349_113
; %bb.108:                              ;   in Loop: Header=BB349_14 Depth=1
	v_cmp_ne_u16_e64 s[4:5], s60, v24
	v_bfrev_b32_e32 v46, 1
	s_and_saveexec_b64 s[48:49], s[4:5]
	s_cbranch_execz .LBB349_112
; %bb.109:                              ;   in Loop: Header=BB349_14 Depth=1
	v_and_b32_e32 v47, 0x7f, v24
	v_cmp_ne_u32_e64 s[4:5], s61, v47
	v_mov_b32_e32 v46, 0x7f800001
	s_and_saveexec_b64 s[50:51], s[4:5]
	s_cbranch_execz .LBB349_111
; %bb.110:                              ;   in Loop: Header=BB349_14 Depth=1
	v_and_b32_e32 v46, 7, v24
	v_ffbh_u32_e32 v48, v46
	v_min_u32_e32 v51, 32, v48
	v_subrev_u32_e32 v48, 28, v51
	v_lshlrev_b64 v[48:49], v48, v[24:25]
	v_lshrrev_b32_e32 v50, 3, v47
	v_sub_u32_e32 v24, 29, v51
	v_and_b32_e32 v48, 7, v48
	v_cmp_gt_u32_e64 s[4:5], 8, v47
	v_cndmask_b32_e64 v24, v50, v24, s[4:5]
	v_cndmask_b32_e64 v46, v46, v48, s[4:5]
	v_lshlrev_b32_e32 v22, 16, v22
	v_lshlrev_b32_e32 v46, 20, v46
	v_and_b32_e32 v22, 0x80000000, v22
	v_lshl_add_u32 v24, v24, 23, v34
	v_or3_b32 v46, v22, v24, v46
.LBB349_111:                            ;   in Loop: Header=BB349_14 Depth=1
	s_or_b64 exec, exec, s[50:51]
.LBB349_112:                            ;   in Loop: Header=BB349_14 Depth=1
	s_or_b64 exec, exec, s[48:49]
.LBB349_113:                            ;   in Loop: Header=BB349_14 Depth=1
	s_or_b64 exec, exec, s[46:47]
	v_mul_f32_e32 v22, s64, v46
	v_and_b32_e32 v24, 0x7f800000, v22
	v_cmp_ne_u32_e64 s[4:5], s62, v24
                                        ; implicit-def: $vgpr46
	s_and_saveexec_b64 s[46:47], s[4:5]
	s_xor_b64 s[4:5], exec, s[46:47]
; %bb.114:                              ;   in Loop: Header=BB349_14 Depth=1
	v_bfe_u32 v24, v22, 16, 1
	v_add3_u32 v46, v22, v24, s63
                                        ; implicit-def: $vgpr22
; %bb.115:                              ;   in Loop: Header=BB349_14 Depth=1
	s_andn2_saveexec_b64 s[46:47], s[4:5]
; %bb.116:                              ;   in Loop: Header=BB349_14 Depth=1
	v_or_b32_e32 v24, 0x10000, v22
	v_cmp_eq_u32_sdwa s[4:5], v22, v25 src0_sel:WORD_0 src1_sel:DWORD
	v_cndmask_b32_e64 v46, v24, v22, s[4:5]
; %bb.117:                              ;   in Loop: Header=BB349_14 Depth=1
	s_or_b64 exec, exec, s[46:47]
	global_load_ushort v24, v[20:21], off offset:520
	s_waitcnt vmcnt(0)
	v_and_b32_e32 v22, 0xffff, v24
	v_cmp_ne_u16_sdwa s[4:5], v24, v25 src0_sel:BYTE_0 src1_sel:DWORD
	v_mov_b32_e32 v24, 0
	s_and_saveexec_b64 s[46:47], s[4:5]
	s_cbranch_execz .LBB349_123
; %bb.118:                              ;   in Loop: Header=BB349_14 Depth=1
	v_cmp_ne_u16_sdwa s[4:5], v22, s60 src0_sel:BYTE_0 src1_sel:DWORD
	v_bfrev_b32_e32 v24, 1
	s_and_saveexec_b64 s[48:49], s[4:5]
	s_cbranch_execz .LBB349_122
; %bb.119:                              ;   in Loop: Header=BB349_14 Depth=1
	v_and_b32_e32 v47, 0x7f, v22
	v_cmp_ne_u32_e64 s[4:5], s61, v47
	v_mov_b32_e32 v24, 0x7f800001
	s_and_saveexec_b64 s[50:51], s[4:5]
	s_cbranch_execz .LBB349_121
; %bb.120:                              ;   in Loop: Header=BB349_14 Depth=1
	v_and_b32_e32 v24, 7, v22
	v_ffbh_u32_e32 v48, v24
	v_min_u32_e32 v51, 32, v48
	v_subrev_u32_e32 v48, 28, v51
	v_lshlrev_b64 v[48:49], v48, v[22:23]
	v_lshrrev_b32_e32 v50, 3, v47
	v_sub_u32_e32 v49, 29, v51
	v_and_b32_e32 v48, 7, v48
	v_cmp_gt_u32_e64 s[4:5], 8, v47
	v_cndmask_b32_e64 v47, v50, v49, s[4:5]
	v_cndmask_b32_e64 v24, v24, v48, s[4:5]
	v_lshlrev_b32_e32 v48, 24, v22
	v_lshlrev_b32_e32 v24, 20, v24
	v_and_b32_e32 v48, 0x80000000, v48
	v_lshl_add_u32 v47, v47, 23, v34
	v_or3_b32 v24, v48, v47, v24
.LBB349_121:                            ;   in Loop: Header=BB349_14 Depth=1
	s_or_b64 exec, exec, s[50:51]
.LBB349_122:                            ;   in Loop: Header=BB349_14 Depth=1
	s_or_b64 exec, exec, s[48:49]
.LBB349_123:                            ;   in Loop: Header=BB349_14 Depth=1
	s_or_b64 exec, exec, s[46:47]
	v_mul_f32_e32 v24, s64, v24
	v_and_b32_e32 v47, 0x7f800000, v24
	v_cmp_ne_u32_e64 s[4:5], s62, v47
                                        ; implicit-def: $vgpr47
	s_and_saveexec_b64 s[46:47], s[4:5]
	s_xor_b64 s[4:5], exec, s[46:47]
; %bb.124:                              ;   in Loop: Header=BB349_14 Depth=1
	v_bfe_u32 v47, v24, 16, 1
	v_add3_u32 v47, v24, v47, s63
                                        ; implicit-def: $vgpr24
; %bb.125:                              ;   in Loop: Header=BB349_14 Depth=1
	s_andn2_saveexec_b64 s[46:47], s[4:5]
; %bb.126:                              ;   in Loop: Header=BB349_14 Depth=1
	v_or_b32_e32 v47, 0x10000, v24
	v_cmp_eq_u32_sdwa s[4:5], v24, v25 src0_sel:WORD_0 src1_sel:DWORD
	v_cndmask_b32_e64 v47, v47, v24, s[4:5]
; %bb.127:                              ;   in Loop: Header=BB349_14 Depth=1
	s_or_b64 exec, exec, s[46:47]
	v_lshrrev_b16_e32 v24, 8, v22
	v_cmp_ne_u16_e64 s[4:5], 0, v24
	v_mov_b32_e32 v48, 0
	s_and_saveexec_b64 s[46:47], s[4:5]
	s_cbranch_execz .LBB349_133
; %bb.128:                              ;   in Loop: Header=BB349_14 Depth=1
	v_cmp_ne_u16_e64 s[4:5], s60, v24
	v_bfrev_b32_e32 v48, 1
	s_and_saveexec_b64 s[48:49], s[4:5]
	s_cbranch_execz .LBB349_132
; %bb.129:                              ;   in Loop: Header=BB349_14 Depth=1
	v_and_b32_e32 v49, 0x7f, v24
	v_cmp_ne_u32_e64 s[4:5], s61, v49
	v_mov_b32_e32 v48, 0x7f800001
	s_and_saveexec_b64 s[50:51], s[4:5]
	s_cbranch_execz .LBB349_131
; %bb.130:                              ;   in Loop: Header=BB349_14 Depth=1
	v_and_b32_e32 v48, 7, v24
	v_ffbh_u32_e32 v50, v48
	v_min_u32_e32 v53, 32, v50
	v_subrev_u32_e32 v50, 28, v53
	v_lshlrev_b64 v[50:51], v50, v[24:25]
	v_lshrrev_b32_e32 v52, 3, v49
	v_sub_u32_e32 v24, 29, v53
	v_and_b32_e32 v50, 7, v50
	v_cmp_gt_u32_e64 s[4:5], 8, v49
	v_cndmask_b32_e64 v24, v52, v24, s[4:5]
	v_cndmask_b32_e64 v48, v48, v50, s[4:5]
	v_lshlrev_b32_e32 v22, 16, v22
	v_lshlrev_b32_e32 v48, 20, v48
	v_and_b32_e32 v22, 0x80000000, v22
	v_lshl_add_u32 v24, v24, 23, v34
	v_or3_b32 v48, v22, v24, v48
.LBB349_131:                            ;   in Loop: Header=BB349_14 Depth=1
	s_or_b64 exec, exec, s[50:51]
.LBB349_132:                            ;   in Loop: Header=BB349_14 Depth=1
	s_or_b64 exec, exec, s[48:49]
.LBB349_133:                            ;   in Loop: Header=BB349_14 Depth=1
	s_or_b64 exec, exec, s[46:47]
	v_mul_f32_e32 v22, s64, v48
	v_and_b32_e32 v24, 0x7f800000, v22
	v_cmp_ne_u32_e64 s[4:5], s62, v24
                                        ; implicit-def: $vgpr48
	s_and_saveexec_b64 s[46:47], s[4:5]
	s_xor_b64 s[4:5], exec, s[46:47]
; %bb.134:                              ;   in Loop: Header=BB349_14 Depth=1
	v_bfe_u32 v24, v22, 16, 1
	v_add3_u32 v48, v22, v24, s63
                                        ; implicit-def: $vgpr22
; %bb.135:                              ;   in Loop: Header=BB349_14 Depth=1
	s_andn2_saveexec_b64 s[46:47], s[4:5]
; %bb.136:                              ;   in Loop: Header=BB349_14 Depth=1
	v_or_b32_e32 v24, 0x10000, v22
	v_cmp_eq_u32_sdwa s[4:5], v22, v25 src0_sel:WORD_0 src1_sel:DWORD
	v_cndmask_b32_e64 v48, v24, v22, s[4:5]
; %bb.137:                              ;   in Loop: Header=BB349_14 Depth=1
	s_or_b64 exec, exec, s[46:47]
	global_load_ushort v24, v[20:21], off offset:768
	s_waitcnt vmcnt(0)
	v_and_b32_e32 v22, 0xffff, v24
	v_cmp_ne_u16_sdwa s[4:5], v24, v25 src0_sel:BYTE_0 src1_sel:DWORD
	v_mov_b32_e32 v24, 0
	s_and_saveexec_b64 s[46:47], s[4:5]
	s_cbranch_execz .LBB349_143
; %bb.138:                              ;   in Loop: Header=BB349_14 Depth=1
	v_cmp_ne_u16_sdwa s[4:5], v22, s60 src0_sel:BYTE_0 src1_sel:DWORD
	v_bfrev_b32_e32 v24, 1
	s_and_saveexec_b64 s[48:49], s[4:5]
	s_cbranch_execz .LBB349_142
; %bb.139:                              ;   in Loop: Header=BB349_14 Depth=1
	v_and_b32_e32 v49, 0x7f, v22
	v_cmp_ne_u32_e64 s[4:5], s61, v49
	v_mov_b32_e32 v24, 0x7f800001
	s_and_saveexec_b64 s[50:51], s[4:5]
	s_cbranch_execz .LBB349_141
; %bb.140:                              ;   in Loop: Header=BB349_14 Depth=1
	v_and_b32_e32 v24, 7, v22
	v_ffbh_u32_e32 v50, v24
	v_min_u32_e32 v53, 32, v50
	v_subrev_u32_e32 v50, 28, v53
	v_lshlrev_b64 v[50:51], v50, v[22:23]
	v_lshrrev_b32_e32 v52, 3, v49
	v_sub_u32_e32 v51, 29, v53
	v_and_b32_e32 v50, 7, v50
	v_cmp_gt_u32_e64 s[4:5], 8, v49
	v_cndmask_b32_e64 v49, v52, v51, s[4:5]
	v_cndmask_b32_e64 v24, v24, v50, s[4:5]
	v_lshlrev_b32_e32 v50, 24, v22
	v_lshlrev_b32_e32 v24, 20, v24
	v_and_b32_e32 v50, 0x80000000, v50
	v_lshl_add_u32 v49, v49, 23, v34
	v_or3_b32 v24, v50, v49, v24
.LBB349_141:                            ;   in Loop: Header=BB349_14 Depth=1
	s_or_b64 exec, exec, s[50:51]
.LBB349_142:                            ;   in Loop: Header=BB349_14 Depth=1
	s_or_b64 exec, exec, s[48:49]
.LBB349_143:                            ;   in Loop: Header=BB349_14 Depth=1
	s_or_b64 exec, exec, s[46:47]
	v_mul_f32_e32 v24, s64, v24
	v_and_b32_e32 v49, 0x7f800000, v24
	v_cmp_ne_u32_e64 s[4:5], s62, v49
                                        ; implicit-def: $vgpr49
	s_and_saveexec_b64 s[46:47], s[4:5]
	s_xor_b64 s[4:5], exec, s[46:47]
; %bb.144:                              ;   in Loop: Header=BB349_14 Depth=1
	v_bfe_u32 v49, v24, 16, 1
	v_add3_u32 v49, v24, v49, s63
                                        ; implicit-def: $vgpr24
; %bb.145:                              ;   in Loop: Header=BB349_14 Depth=1
	s_andn2_saveexec_b64 s[46:47], s[4:5]
; %bb.146:                              ;   in Loop: Header=BB349_14 Depth=1
	v_or_b32_e32 v49, 0x10000, v24
	v_cmp_eq_u32_sdwa s[4:5], v24, v25 src0_sel:WORD_0 src1_sel:DWORD
	v_cndmask_b32_e64 v49, v49, v24, s[4:5]
; %bb.147:                              ;   in Loop: Header=BB349_14 Depth=1
	s_or_b64 exec, exec, s[46:47]
	v_lshrrev_b16_e32 v24, 8, v22
	v_cmp_ne_u16_e64 s[4:5], 0, v24
	v_mov_b32_e32 v50, 0
	s_and_saveexec_b64 s[46:47], s[4:5]
	s_cbranch_execz .LBB349_153
; %bb.148:                              ;   in Loop: Header=BB349_14 Depth=1
	v_cmp_ne_u16_e64 s[4:5], s60, v24
	v_bfrev_b32_e32 v50, 1
	s_and_saveexec_b64 s[48:49], s[4:5]
	s_cbranch_execz .LBB349_152
; %bb.149:                              ;   in Loop: Header=BB349_14 Depth=1
	v_and_b32_e32 v51, 0x7f, v24
	v_cmp_ne_u32_e64 s[4:5], s61, v51
	v_mov_b32_e32 v50, 0x7f800001
	s_and_saveexec_b64 s[50:51], s[4:5]
	s_cbranch_execz .LBB349_151
; %bb.150:                              ;   in Loop: Header=BB349_14 Depth=1
	v_and_b32_e32 v50, 7, v24
	v_ffbh_u32_e32 v52, v50
	v_min_u32_e32 v55, 32, v52
	v_subrev_u32_e32 v52, 28, v55
	v_lshlrev_b64 v[52:53], v52, v[24:25]
	v_lshrrev_b32_e32 v54, 3, v51
	v_sub_u32_e32 v24, 29, v55
	v_and_b32_e32 v52, 7, v52
	v_cmp_gt_u32_e64 s[4:5], 8, v51
	v_cndmask_b32_e64 v24, v54, v24, s[4:5]
	v_cndmask_b32_e64 v50, v50, v52, s[4:5]
	v_lshlrev_b32_e32 v22, 16, v22
	v_lshlrev_b32_e32 v50, 20, v50
	v_and_b32_e32 v22, 0x80000000, v22
	v_lshl_add_u32 v24, v24, 23, v34
	v_or3_b32 v50, v22, v24, v50
.LBB349_151:                            ;   in Loop: Header=BB349_14 Depth=1
	s_or_b64 exec, exec, s[50:51]
.LBB349_152:                            ;   in Loop: Header=BB349_14 Depth=1
	s_or_b64 exec, exec, s[48:49]
.LBB349_153:                            ;   in Loop: Header=BB349_14 Depth=1
	s_or_b64 exec, exec, s[46:47]
	v_mul_f32_e32 v22, s64, v50
	v_and_b32_e32 v24, 0x7f800000, v22
	v_cmp_ne_u32_e64 s[4:5], s62, v24
                                        ; implicit-def: $vgpr50
	s_and_saveexec_b64 s[46:47], s[4:5]
	s_xor_b64 s[4:5], exec, s[46:47]
; %bb.154:                              ;   in Loop: Header=BB349_14 Depth=1
	v_bfe_u32 v24, v22, 16, 1
	v_add3_u32 v50, v22, v24, s63
                                        ; implicit-def: $vgpr22
; %bb.155:                              ;   in Loop: Header=BB349_14 Depth=1
	s_andn2_saveexec_b64 s[46:47], s[4:5]
; %bb.156:                              ;   in Loop: Header=BB349_14 Depth=1
	v_or_b32_e32 v24, 0x10000, v22
	v_cmp_eq_u32_sdwa s[4:5], v22, v25 src0_sel:WORD_0 src1_sel:DWORD
	v_cndmask_b32_e64 v50, v24, v22, s[4:5]
; %bb.157:                              ;   in Loop: Header=BB349_14 Depth=1
	s_or_b64 exec, exec, s[46:47]
	global_load_ushort v24, v[20:21], off offset:776
	s_waitcnt vmcnt(0)
	v_and_b32_e32 v22, 0xffff, v24
	v_cmp_ne_u16_sdwa s[4:5], v24, v25 src0_sel:BYTE_0 src1_sel:DWORD
	v_mov_b32_e32 v24, 0
	s_and_saveexec_b64 s[46:47], s[4:5]
	s_cbranch_execz .LBB349_163
; %bb.158:                              ;   in Loop: Header=BB349_14 Depth=1
	v_cmp_ne_u16_sdwa s[4:5], v22, s60 src0_sel:BYTE_0 src1_sel:DWORD
	v_bfrev_b32_e32 v24, 1
	s_and_saveexec_b64 s[48:49], s[4:5]
	s_cbranch_execz .LBB349_162
; %bb.159:                              ;   in Loop: Header=BB349_14 Depth=1
	v_and_b32_e32 v51, 0x7f, v22
	v_cmp_ne_u32_e64 s[4:5], s61, v51
	v_mov_b32_e32 v24, 0x7f800001
	s_and_saveexec_b64 s[50:51], s[4:5]
	s_cbranch_execz .LBB349_161
; %bb.160:                              ;   in Loop: Header=BB349_14 Depth=1
	v_and_b32_e32 v24, 7, v22
	v_ffbh_u32_e32 v52, v24
	v_min_u32_e32 v55, 32, v52
	v_subrev_u32_e32 v52, 28, v55
	v_lshlrev_b64 v[52:53], v52, v[22:23]
	v_lshrrev_b32_e32 v54, 3, v51
	v_sub_u32_e32 v53, 29, v55
	v_and_b32_e32 v52, 7, v52
	v_cmp_gt_u32_e64 s[4:5], 8, v51
	v_cndmask_b32_e64 v51, v54, v53, s[4:5]
	v_cndmask_b32_e64 v24, v24, v52, s[4:5]
	v_lshlrev_b32_e32 v52, 24, v22
	v_lshlrev_b32_e32 v24, 20, v24
	v_and_b32_e32 v52, 0x80000000, v52
	v_lshl_add_u32 v51, v51, 23, v34
	v_or3_b32 v24, v52, v51, v24
.LBB349_161:                            ;   in Loop: Header=BB349_14 Depth=1
	s_or_b64 exec, exec, s[50:51]
.LBB349_162:                            ;   in Loop: Header=BB349_14 Depth=1
	s_or_b64 exec, exec, s[48:49]
.LBB349_163:                            ;   in Loop: Header=BB349_14 Depth=1
	s_or_b64 exec, exec, s[46:47]
	v_mul_f32_e32 v24, s64, v24
	v_and_b32_e32 v51, 0x7f800000, v24
	v_cmp_ne_u32_e64 s[4:5], s62, v51
                                        ; implicit-def: $vgpr51
	s_and_saveexec_b64 s[46:47], s[4:5]
	s_xor_b64 s[4:5], exec, s[46:47]
; %bb.164:                              ;   in Loop: Header=BB349_14 Depth=1
	v_bfe_u32 v51, v24, 16, 1
	v_add3_u32 v51, v24, v51, s63
                                        ; implicit-def: $vgpr24
; %bb.165:                              ;   in Loop: Header=BB349_14 Depth=1
	s_andn2_saveexec_b64 s[46:47], s[4:5]
; %bb.166:                              ;   in Loop: Header=BB349_14 Depth=1
	v_or_b32_e32 v51, 0x10000, v24
	v_cmp_eq_u32_sdwa s[4:5], v24, v25 src0_sel:WORD_0 src1_sel:DWORD
	v_cndmask_b32_e64 v51, v51, v24, s[4:5]
; %bb.167:                              ;   in Loop: Header=BB349_14 Depth=1
	s_or_b64 exec, exec, s[46:47]
	v_lshrrev_b16_e32 v24, 8, v22
	v_cmp_ne_u16_e64 s[4:5], 0, v24
	v_mov_b32_e32 v52, 0
	s_and_saveexec_b64 s[46:47], s[4:5]
	s_cbranch_execz .LBB349_173
; %bb.168:                              ;   in Loop: Header=BB349_14 Depth=1
	v_cmp_ne_u16_e64 s[4:5], s60, v24
	v_bfrev_b32_e32 v52, 1
	s_and_saveexec_b64 s[48:49], s[4:5]
	s_cbranch_execz .LBB349_172
; %bb.169:                              ;   in Loop: Header=BB349_14 Depth=1
	v_and_b32_e32 v53, 0x7f, v24
	v_cmp_ne_u32_e64 s[4:5], s61, v53
	v_mov_b32_e32 v52, 0x7f800001
	s_and_saveexec_b64 s[50:51], s[4:5]
	s_cbranch_execz .LBB349_171
; %bb.170:                              ;   in Loop: Header=BB349_14 Depth=1
	v_and_b32_e32 v52, 7, v24
	v_ffbh_u32_e32 v54, v52
	v_min_u32_e32 v57, 32, v54
	v_subrev_u32_e32 v54, 28, v57
	v_lshlrev_b64 v[54:55], v54, v[24:25]
	v_lshrrev_b32_e32 v56, 3, v53
	v_sub_u32_e32 v24, 29, v57
	v_and_b32_e32 v54, 7, v54
	v_cmp_gt_u32_e64 s[4:5], 8, v53
	v_cndmask_b32_e64 v24, v56, v24, s[4:5]
	v_cndmask_b32_e64 v52, v52, v54, s[4:5]
	v_lshlrev_b32_e32 v22, 16, v22
	v_lshlrev_b32_e32 v52, 20, v52
	v_and_b32_e32 v22, 0x80000000, v22
	v_lshl_add_u32 v24, v24, 23, v34
	v_or3_b32 v52, v22, v24, v52
.LBB349_171:                            ;   in Loop: Header=BB349_14 Depth=1
	s_or_b64 exec, exec, s[50:51]
.LBB349_172:                            ;   in Loop: Header=BB349_14 Depth=1
	s_or_b64 exec, exec, s[48:49]
.LBB349_173:                            ;   in Loop: Header=BB349_14 Depth=1
	s_or_b64 exec, exec, s[46:47]
	v_mul_f32_e32 v22, s64, v52
	v_and_b32_e32 v24, 0x7f800000, v22
	v_cmp_ne_u32_e64 s[4:5], s62, v24
                                        ; implicit-def: $vgpr52
	s_and_saveexec_b64 s[46:47], s[4:5]
	s_xor_b64 s[4:5], exec, s[46:47]
; %bb.174:                              ;   in Loop: Header=BB349_14 Depth=1
	v_bfe_u32 v24, v22, 16, 1
	v_add3_u32 v52, v22, v24, s63
                                        ; implicit-def: $vgpr22
; %bb.175:                              ;   in Loop: Header=BB349_14 Depth=1
	s_andn2_saveexec_b64 s[46:47], s[4:5]
; %bb.176:                              ;   in Loop: Header=BB349_14 Depth=1
	v_or_b32_e32 v24, 0x10000, v22
	v_cmp_eq_u32_sdwa s[4:5], v22, v25 src0_sel:WORD_0 src1_sel:DWORD
	v_cndmask_b32_e64 v52, v24, v22, s[4:5]
; %bb.177:                              ;   in Loop: Header=BB349_14 Depth=1
	s_or_b64 exec, exec, s[46:47]
	global_load_ushort v24, v[20:21], off offset:1024
	s_waitcnt vmcnt(0)
	v_and_b32_e32 v22, 0xffff, v24
	v_cmp_ne_u16_sdwa s[4:5], v24, v25 src0_sel:BYTE_0 src1_sel:DWORD
	v_mov_b32_e32 v24, 0
	s_and_saveexec_b64 s[46:47], s[4:5]
	s_cbranch_execz .LBB349_183
; %bb.178:                              ;   in Loop: Header=BB349_14 Depth=1
	v_cmp_ne_u16_sdwa s[4:5], v22, s60 src0_sel:BYTE_0 src1_sel:DWORD
	v_bfrev_b32_e32 v24, 1
	s_and_saveexec_b64 s[48:49], s[4:5]
	s_cbranch_execz .LBB349_182
; %bb.179:                              ;   in Loop: Header=BB349_14 Depth=1
	v_and_b32_e32 v53, 0x7f, v22
	v_cmp_ne_u32_e64 s[4:5], s61, v53
	v_mov_b32_e32 v24, 0x7f800001
	s_and_saveexec_b64 s[50:51], s[4:5]
	s_cbranch_execz .LBB349_181
; %bb.180:                              ;   in Loop: Header=BB349_14 Depth=1
	v_and_b32_e32 v24, 7, v22
	v_ffbh_u32_e32 v54, v24
	v_min_u32_e32 v57, 32, v54
	v_subrev_u32_e32 v54, 28, v57
	v_lshlrev_b64 v[54:55], v54, v[22:23]
	v_lshrrev_b32_e32 v56, 3, v53
	v_sub_u32_e32 v55, 29, v57
	v_and_b32_e32 v54, 7, v54
	v_cmp_gt_u32_e64 s[4:5], 8, v53
	v_cndmask_b32_e64 v53, v56, v55, s[4:5]
	v_cndmask_b32_e64 v24, v24, v54, s[4:5]
	v_lshlrev_b32_e32 v54, 24, v22
	v_lshlrev_b32_e32 v24, 20, v24
	v_and_b32_e32 v54, 0x80000000, v54
	v_lshl_add_u32 v53, v53, 23, v34
	v_or3_b32 v24, v54, v53, v24
.LBB349_181:                            ;   in Loop: Header=BB349_14 Depth=1
	s_or_b64 exec, exec, s[50:51]
.LBB349_182:                            ;   in Loop: Header=BB349_14 Depth=1
	s_or_b64 exec, exec, s[48:49]
.LBB349_183:                            ;   in Loop: Header=BB349_14 Depth=1
	s_or_b64 exec, exec, s[46:47]
	v_mul_f32_e32 v24, s64, v24
	v_and_b32_e32 v53, 0x7f800000, v24
	v_cmp_ne_u32_e64 s[4:5], s62, v53
                                        ; implicit-def: $vgpr53
	s_and_saveexec_b64 s[46:47], s[4:5]
	s_xor_b64 s[4:5], exec, s[46:47]
; %bb.184:                              ;   in Loop: Header=BB349_14 Depth=1
	v_bfe_u32 v53, v24, 16, 1
	v_add3_u32 v53, v24, v53, s63
                                        ; implicit-def: $vgpr24
; %bb.185:                              ;   in Loop: Header=BB349_14 Depth=1
	s_andn2_saveexec_b64 s[46:47], s[4:5]
; %bb.186:                              ;   in Loop: Header=BB349_14 Depth=1
	v_or_b32_e32 v53, 0x10000, v24
	v_cmp_eq_u32_sdwa s[4:5], v24, v25 src0_sel:WORD_0 src1_sel:DWORD
	v_cndmask_b32_e64 v53, v53, v24, s[4:5]
; %bb.187:                              ;   in Loop: Header=BB349_14 Depth=1
	s_or_b64 exec, exec, s[46:47]
	v_lshrrev_b16_e32 v24, 8, v22
	v_cmp_ne_u16_e64 s[4:5], 0, v24
	v_mov_b32_e32 v54, 0
	s_and_saveexec_b64 s[46:47], s[4:5]
	s_cbranch_execz .LBB349_193
; %bb.188:                              ;   in Loop: Header=BB349_14 Depth=1
	v_cmp_ne_u16_e64 s[4:5], s60, v24
	v_bfrev_b32_e32 v54, 1
	s_and_saveexec_b64 s[48:49], s[4:5]
	s_cbranch_execz .LBB349_192
; %bb.189:                              ;   in Loop: Header=BB349_14 Depth=1
	v_and_b32_e32 v55, 0x7f, v24
	v_cmp_ne_u32_e64 s[4:5], s61, v55
	v_mov_b32_e32 v54, 0x7f800001
	s_and_saveexec_b64 s[50:51], s[4:5]
	s_cbranch_execz .LBB349_191
; %bb.190:                              ;   in Loop: Header=BB349_14 Depth=1
	v_and_b32_e32 v54, 7, v24
	v_ffbh_u32_e32 v56, v54
	v_min_u32_e32 v59, 32, v56
	v_subrev_u32_e32 v56, 28, v59
	v_lshlrev_b64 v[56:57], v56, v[24:25]
	v_lshrrev_b32_e32 v58, 3, v55
	v_sub_u32_e32 v24, 29, v59
	v_and_b32_e32 v56, 7, v56
	v_cmp_gt_u32_e64 s[4:5], 8, v55
	v_cndmask_b32_e64 v24, v58, v24, s[4:5]
	v_cndmask_b32_e64 v54, v54, v56, s[4:5]
	v_lshlrev_b32_e32 v22, 16, v22
	v_lshlrev_b32_e32 v54, 20, v54
	v_and_b32_e32 v22, 0x80000000, v22
	v_lshl_add_u32 v24, v24, 23, v34
	v_or3_b32 v54, v22, v24, v54
.LBB349_191:                            ;   in Loop: Header=BB349_14 Depth=1
	s_or_b64 exec, exec, s[50:51]
.LBB349_192:                            ;   in Loop: Header=BB349_14 Depth=1
	s_or_b64 exec, exec, s[48:49]
.LBB349_193:                            ;   in Loop: Header=BB349_14 Depth=1
	s_or_b64 exec, exec, s[46:47]
	v_mul_f32_e32 v22, s64, v54
	v_and_b32_e32 v24, 0x7f800000, v22
	v_cmp_ne_u32_e64 s[4:5], s62, v24
                                        ; implicit-def: $vgpr24
	s_and_saveexec_b64 s[46:47], s[4:5]
	s_xor_b64 s[4:5], exec, s[46:47]
; %bb.194:                              ;   in Loop: Header=BB349_14 Depth=1
	v_bfe_u32 v24, v22, 16, 1
	v_add3_u32 v24, v22, v24, s63
                                        ; implicit-def: $vgpr22
; %bb.195:                              ;   in Loop: Header=BB349_14 Depth=1
	s_andn2_saveexec_b64 s[46:47], s[4:5]
; %bb.196:                              ;   in Loop: Header=BB349_14 Depth=1
	v_or_b32_e32 v24, 0x10000, v22
	v_cmp_eq_u32_sdwa s[4:5], v22, v25 src0_sel:WORD_0 src1_sel:DWORD
	v_cndmask_b32_e64 v24, v24, v22, s[4:5]
; %bb.197:                              ;   in Loop: Header=BB349_14 Depth=1
	s_or_b64 exec, exec, s[46:47]
	global_load_ushort v21, v[20:21], off offset:1032
	s_waitcnt vmcnt(0)
	v_and_b32_e32 v20, 0xffff, v21
	v_cmp_ne_u16_sdwa s[4:5], v21, v25 src0_sel:BYTE_0 src1_sel:DWORD
	v_mov_b32_e32 v21, 0
	s_and_saveexec_b64 s[46:47], s[4:5]
	s_cbranch_execz .LBB349_203
; %bb.198:                              ;   in Loop: Header=BB349_14 Depth=1
	v_cmp_ne_u16_sdwa s[4:5], v20, s60 src0_sel:BYTE_0 src1_sel:DWORD
	v_bfrev_b32_e32 v21, 1
	s_and_saveexec_b64 s[48:49], s[4:5]
	s_cbranch_execz .LBB349_202
; %bb.199:                              ;   in Loop: Header=BB349_14 Depth=1
	v_and_b32_e32 v22, 0x7f, v20
	v_cmp_ne_u32_e64 s[4:5], s61, v22
	v_mov_b32_e32 v21, 0x7f800001
	s_and_saveexec_b64 s[50:51], s[4:5]
	s_cbranch_execz .LBB349_201
; %bb.200:                              ;   in Loop: Header=BB349_14 Depth=1
	v_and_b32_e32 v21, 7, v20
	v_ffbh_u32_e32 v54, v21
	v_min_u32_e32 v57, 32, v54
	v_subrev_u32_e32 v54, 28, v57
	v_lshlrev_b64 v[54:55], v54, v[20:21]
	v_lshrrev_b32_e32 v56, 3, v22
	v_sub_u32_e32 v55, 29, v57
	v_and_b32_e32 v54, 7, v54
	v_cmp_gt_u32_e64 s[4:5], 8, v22
	v_cndmask_b32_e64 v22, v56, v55, s[4:5]
	v_cndmask_b32_e64 v21, v21, v54, s[4:5]
	v_lshlrev_b32_e32 v54, 24, v20
	v_lshlrev_b32_e32 v21, 20, v21
	v_and_b32_e32 v54, 0x80000000, v54
	v_lshl_add_u32 v22, v22, 23, v34
	v_or3_b32 v21, v54, v22, v21
.LBB349_201:                            ;   in Loop: Header=BB349_14 Depth=1
	s_or_b64 exec, exec, s[50:51]
.LBB349_202:                            ;   in Loop: Header=BB349_14 Depth=1
	s_or_b64 exec, exec, s[48:49]
.LBB349_203:                            ;   in Loop: Header=BB349_14 Depth=1
	s_or_b64 exec, exec, s[46:47]
	v_mul_f32_e32 v22, s64, v21
	v_and_b32_e32 v21, 0x7f800000, v22
	v_cmp_ne_u32_e64 s[4:5], s62, v21
                                        ; implicit-def: $vgpr21
	s_and_saveexec_b64 s[46:47], s[4:5]
	s_xor_b64 s[4:5], exec, s[46:47]
; %bb.204:                              ;   in Loop: Header=BB349_14 Depth=1
	v_bfe_u32 v21, v22, 16, 1
	v_add3_u32 v21, v22, v21, s63
                                        ; implicit-def: $vgpr22
; %bb.205:                              ;   in Loop: Header=BB349_14 Depth=1
	s_andn2_saveexec_b64 s[46:47], s[4:5]
; %bb.206:                              ;   in Loop: Header=BB349_14 Depth=1
	v_or_b32_e32 v21, 0x10000, v22
	v_cmp_eq_u32_sdwa s[4:5], v22, v25 src0_sel:WORD_0 src1_sel:DWORD
	v_cndmask_b32_e64 v21, v21, v22, s[4:5]
; %bb.207:                              ;   in Loop: Header=BB349_14 Depth=1
	s_or_b64 exec, exec, s[46:47]
	v_lshrrev_b16_e32 v22, 8, v20
	v_cmp_ne_u16_e64 s[4:5], 0, v22
	v_mov_b32_e32 v54, 0
	s_and_saveexec_b64 s[46:47], s[4:5]
	s_cbranch_execz .LBB349_213
; %bb.208:                              ;   in Loop: Header=BB349_14 Depth=1
	v_cmp_ne_u16_e64 s[4:5], s60, v22
	v_bfrev_b32_e32 v54, 1
	s_and_saveexec_b64 s[48:49], s[4:5]
	s_cbranch_execz .LBB349_212
; %bb.209:                              ;   in Loop: Header=BB349_14 Depth=1
	v_and_b32_e32 v55, 0x7f, v22
	v_cmp_ne_u32_e64 s[4:5], s61, v55
	v_mov_b32_e32 v54, 0x7f800001
	s_and_saveexec_b64 s[50:51], s[4:5]
	s_cbranch_execz .LBB349_211
; %bb.210:                              ;   in Loop: Header=BB349_14 Depth=1
	v_and_b32_e32 v54, 7, v22
	v_ffbh_u32_e32 v56, v54
	v_min_u32_e32 v59, 32, v56
	v_subrev_u32_e32 v56, 28, v59
	v_lshlrev_b64 v[56:57], v56, v[22:23]
	v_lshrrev_b32_e32 v58, 3, v55
	v_sub_u32_e32 v22, 29, v59
	v_and_b32_e32 v56, 7, v56
	v_cmp_gt_u32_e64 s[4:5], 8, v55
	v_cndmask_b32_e64 v22, v58, v22, s[4:5]
	v_cndmask_b32_e64 v54, v54, v56, s[4:5]
	v_lshlrev_b32_e32 v20, 16, v20
	v_lshlrev_b32_e32 v54, 20, v54
	v_and_b32_e32 v20, 0x80000000, v20
	v_lshl_add_u32 v22, v22, 23, v34
	v_or3_b32 v54, v20, v22, v54
.LBB349_211:                            ;   in Loop: Header=BB349_14 Depth=1
	s_or_b64 exec, exec, s[50:51]
.LBB349_212:                            ;   in Loop: Header=BB349_14 Depth=1
	s_or_b64 exec, exec, s[48:49]
.LBB349_213:                            ;   in Loop: Header=BB349_14 Depth=1
	s_or_b64 exec, exec, s[46:47]
	v_mul_f32_e32 v22, s64, v54
	v_and_b32_e32 v20, 0x7f800000, v22
	v_cmp_ne_u32_e64 s[4:5], s62, v20
                                        ; implicit-def: $vgpr20
	s_and_saveexec_b64 s[46:47], s[4:5]
	s_xor_b64 s[4:5], exec, s[46:47]
; %bb.214:                              ;   in Loop: Header=BB349_14 Depth=1
	v_bfe_u32 v20, v22, 16, 1
	v_add3_u32 v20, v22, v20, s63
                                        ; implicit-def: $vgpr22
; %bb.215:                              ;   in Loop: Header=BB349_14 Depth=1
	s_andn2_saveexec_b64 s[46:47], s[4:5]
; %bb.216:                              ;   in Loop: Header=BB349_14 Depth=1
	v_or_b32_e32 v20, 0x10000, v22
	v_cmp_eq_u32_sdwa s[4:5], v22, v25 src0_sel:WORD_0 src1_sel:DWORD
	v_cndmask_b32_e64 v20, v20, v22, s[4:5]
; %bb.217:                              ;   in Loop: Header=BB349_14 Depth=1
	s_or_b64 exec, exec, s[46:47]
	v_and_b32_e32 v40, 0xffff0000, v40
	v_and_b32_e32 v39, 0xffff0000, v39
	v_lshlrev_b32_e32 v54, 16, v7
	v_and_b32_e32 v7, 0xffff0000, v7
	v_and_b32_e32 v22, 0xffff0000, v24
	v_and_b32_e32 v24, 0xffff0000, v53
	v_and_b32_e32 v38, 0xffff0000, v38
	v_and_b32_e32 v37, 0xffff0000, v37
	v_lshlrev_b32_e32 v53, 16, v6
	v_and_b32_e32 v6, 0xffff0000, v6
	v_mul_f32_e32 v39, v54, v39
	v_mul_f32_e32 v7, v7, v40
	v_and_b32_e32 v42, 0xffff0000, v42
	v_and_b32_e32 v41, 0xffff0000, v41
	v_lshlrev_b32_e32 v55, 16, v8
	v_and_b32_e32 v8, 0xffff0000, v8
	v_fmac_f32_e32 v39, v53, v37
	v_fmac_f32_e32 v7, v6, v38
	v_and_b32_e32 v44, 0xffff0000, v44
	v_and_b32_e32 v43, 0xffff0000, v43
	v_lshlrev_b32_e32 v56, 16, v9
	v_and_b32_e32 v9, 0xffff0000, v9
	v_fmac_f32_e32 v39, v55, v41
	v_fmac_f32_e32 v7, v8, v42
	;; [unrolled: 6-line block ×5, first 2 shown]
	v_and_b32_e32 v52, 0xffff0000, v52
	v_and_b32_e32 v51, 0xffff0000, v51
	v_lshlrev_b32_e32 v60, 16, v5
	v_and_b32_e32 v63, 64, v35
	v_and_b32_e32 v5, 0xffff0000, v5
	v_fmac_f32_e32 v39, v59, v49
	v_fmac_f32_e32 v7, v4, v50
	v_lshlrev_b32_e32 v61, 16, v18
	v_add_u32_e32 v63, 64, v63
	v_xor_b32_e32 v64, 2, v35
	v_and_b32_e32 v18, 0xffff0000, v18
	v_fmac_f32_e32 v39, v60, v51
	v_fmac_f32_e32 v7, v5, v52
	v_and_b32_e32 v21, 0xffff0000, v21
	v_lshlrev_b32_e32 v62, 16, v19
	v_cmp_lt_i32_e64 s[4:5], v64, v63
	v_and_b32_e32 v20, 0xffff0000, v20
	v_and_b32_e32 v19, 0xffff0000, v19
	v_fmac_f32_e32 v39, v61, v24
	v_fmac_f32_e32 v7, v18, v22
	v_cndmask_b32_e64 v64, v35, v64, s[4:5]
	v_fmac_f32_e32 v39, v62, v21
	v_fmac_f32_e32 v7, v19, v20
	v_lshlrev_b32_e32 v64, 2, v64
	v_add_f32_e32 v2, v39, v7
	ds_bpermute_b32 v3, v64, v2
	v_xor_b32_e32 v4, 1, v35
	v_cmp_lt_i32_e64 s[4:5], v4, v63
	v_cndmask_b32_e64 v4, v35, v4, s[4:5]
	v_lshlrev_b32_e32 v4, 2, v4
	s_waitcnt lgkmcnt(0)
	v_add_f32_e32 v2, v2, v3
	ds_bpermute_b32 v3, v4, v2
	s_and_saveexec_b64 s[46:47], vcc
	s_cbranch_execz .LBB349_12
; %bb.218:                              ;   in Loop: Header=BB349_14 Depth=1
	v_add_u32_e32 v4, v32, v30
	v_cvt_f32_i32_e32 v4, v4
	s_waitcnt lgkmcnt(0)
	v_add_f32_e32 v2, v2, v3
	v_add_u32_e32 v5, v23, v30
	v_cmp_gt_i32_e64 s[4:5], s33, v5
	v_mul_f32_e32 v3, s56, v4
	v_cndmask_b32_e64 v3, 0, v3, s[2:3]
	v_fmac_f32_e32 v3, s43, v2
	v_cndmask_b32_e64 v2, 0, v3, s[4:5]
	ds_write_b32 v31, v2
	v_max_f32_e32 v2, v29, v29
	v_max_f32_e32 v2, v2, v3
	v_cndmask_b32_e64 v29, v29, v2, s[4:5]
	s_branch .LBB349_12
.LBB349_219:
	s_or_b64 exec, exec, s[44:45]
.LBB349_220:
	s_or_b64 exec, exec, s[18:19]
	v_mbcnt_hi_u32_b32 v2, -1, v13
	s_waitcnt lgkmcnt(0)
	v_and_b32_e32 v3, 64, v2
	v_add_u32_e32 v3, 64, v3
	v_xor_b32_e32 v4, 32, v2
	v_cmp_lt_i32_e32 vcc, v4, v3
	v_cndmask_b32_e32 v4, v2, v4, vcc
	v_lshlrev_b32_e32 v6, 2, v4
	ds_bpermute_b32 v4, v6, v29
	v_xor_b32_e32 v7, 16, v2
	v_max_f32_e32 v5, v29, v29
	v_cmp_lt_i32_e32 vcc, v7, v3
	v_xor_b32_e32 v8, 8, v2
	s_waitcnt lgkmcnt(0)
	v_max_f32_e32 v4, v4, v4
	v_max_f32_e32 v4, v5, v4
	v_cndmask_b32_e32 v5, v2, v7, vcc
	v_lshlrev_b32_e32 v7, 2, v5
	ds_bpermute_b32 v5, v7, v4
	v_cmp_lt_i32_e32 vcc, v8, v3
	s_waitcnt lgkmcnt(0)
	v_max_f32_e32 v5, v5, v5
	v_max_f32_e32 v4, v4, v5
	v_cndmask_b32_e32 v5, v2, v8, vcc
	v_lshlrev_b32_e32 v10, 2, v5
	ds_bpermute_b32 v5, v10, v4
	v_xor_b32_e32 v8, 4, v2
	v_cmp_lt_i32_e32 vcc, v8, v3
	s_waitcnt lgkmcnt(0)
	v_max_f32_e32 v5, v5, v5
	v_max_f32_e32 v5, v4, v5
	v_cndmask_b32_e32 v4, v2, v8, vcc
	v_lshlrev_b32_e32 v11, 2, v4
	ds_bpermute_b32 v9, v11, v5
	v_and_b32_e32 v4, 63, v0
	v_cmp_eq_u32_e32 vcc, 0, v4
	v_lshlrev_b32_e32 v8, 2, v26
	s_and_saveexec_b64 s[2:3], vcc
	s_cbranch_execz .LBB349_222
; %bb.221:
	s_waitcnt lgkmcnt(0)
	v_max_f32_e32 v9, v9, v9
	v_max_f32_e32 v5, v5, v5
	;; [unrolled: 1-line block ×3, first 2 shown]
	ds_write_b32 v8, v5 offset:160
.LBB349_222:
	s_or_b64 exec, exec, s[2:3]
	v_cmp_gt_u32_e64 s[2:3], 2, v4
	v_mov_b32_e32 v5, 0xff7fffff
	s_waitcnt lgkmcnt(0)
	v_lshlrev_b32_e32 v9, 2, v4
	s_barrier
	s_and_saveexec_b64 s[4:5], s[2:3]
	s_cbranch_execz .LBB349_224
; %bb.223:
	ds_read_b32 v5, v9 offset:160
.LBB349_224:
	s_or_b64 exec, exec, s[4:5]
	v_xor_b32_e32 v12, 1, v2
	v_cmp_lt_i32_e64 s[4:5], v12, v3
	v_cndmask_b32_e64 v12, v2, v12, s[4:5]
	v_lshlrev_b32_e32 v13, 2, v12
	s_waitcnt lgkmcnt(0)
	ds_bpermute_b32 v12, v13, v5
	v_max_f32_e32 v5, v5, v5
	s_sub_i32 s4, s54, s23
	s_lshl_b32 s4, s4, 4
	s_add_i32 s4, s4, s55
	s_waitcnt lgkmcnt(0)
	v_max_f32_e32 v12, v12, v12
	v_max_f32_e32 v5, v5, v12
	v_lshlrev_b32_e32 v12, 2, v2
	v_and_b32_e32 v12, 0x100, v12
	ds_bpermute_b32 v5, v12, v5
	s_min_i32 s43, s4, s33
	s_sub_i32 s23, s43, s55
	v_cmp_gt_i32_e64 s[4:5], s23, v0
	v_mov_b32_e32 v16, 0
	s_and_saveexec_b64 s[12:13], s[4:5]
	s_cbranch_execz .LBB349_228
; %bb.225:
	v_mov_b32_e32 v16, 0xb0
	v_lshl_add_u32 v17, v0, 2, v16
	s_mov_b64 s[18:19], 0
	v_mov_b32_e32 v16, 0
	v_mov_b32_e32 v18, v0
.LBB349_226:                            ; =>This Inner Loop Header: Depth=1
	ds_read_b32 v19, v17
	v_add_u32_e32 v18, 0x80, v18
	v_cmp_le_i32_e64 s[10:11], s23, v18
	s_or_b64 s[18:19], s[10:11], s[18:19]
	s_waitcnt lgkmcnt(0)
	v_sub_f32_e32 v19, v19, v5
	v_mul_f32_e32 v19, 0x3fb8aa3b, v19
	v_exp_f32_e32 v19, v19
	ds_write_b32 v17, v19
	v_add_f32_e32 v16, v16, v19
	v_add_u32_e32 v17, 0x200, v17
	s_andn2_b64 exec, exec, s[18:19]
	s_cbranch_execnz .LBB349_226
; %bb.227:
	s_or_b64 exec, exec, s[18:19]
.LBB349_228:
	s_or_b64 exec, exec, s[12:13]
	ds_bpermute_b32 v6, v6, v16
	s_waitcnt lgkmcnt(0)
	v_add_f32_e32 v6, v16, v6
	ds_bpermute_b32 v7, v7, v6
	s_waitcnt lgkmcnt(0)
	v_add_f32_e32 v6, v6, v7
	ds_bpermute_b32 v7, v10, v6
	v_xor_b32_e32 v10, 2, v2
	v_cmp_lt_i32_e64 s[10:11], v10, v3
	v_cndmask_b32_e64 v2, v2, v10, s[10:11]
	v_lshlrev_b32_e32 v2, 2, v2
	s_waitcnt lgkmcnt(0)
	v_add_f32_e32 v6, v6, v7
	ds_bpermute_b32 v7, v11, v6
	s_waitcnt lgkmcnt(0)
	v_add_f32_e32 v3, v6, v7
	ds_bpermute_b32 v2, v2, v3
	;; [unrolled: 3-line block ×3, first 2 shown]
	s_waitcnt lgkmcnt(0)
	v_add_f32_e32 v2, v2, v3
	s_and_saveexec_b64 s[10:11], vcc
	s_cbranch_execz .LBB349_230
; %bb.229:
	ds_write_b32 v8, v2 offset:168
.LBB349_230:
	s_or_b64 exec, exec, s[10:11]
	s_waitcnt lgkmcnt(0)
	s_barrier
	s_and_saveexec_b64 s[10:11], s[2:3]
	s_cbranch_execz .LBB349_232
; %bb.231:
	ds_read_b32 v2, v9 offset:168
.LBB349_232:
	s_or_b64 exec, exec, s[10:11]
	s_waitcnt lgkmcnt(0)
	ds_bpermute_b32 v3, v13, v2
	s_waitcnt lgkmcnt(0)
	v_add_f32_e32 v2, v2, v3
	ds_bpermute_b32 v6, v12, v2
	s_and_saveexec_b64 s[2:3], s[4:5]
	s_cbranch_execz .LBB349_245
; %bb.233:
	s_waitcnt lgkmcnt(0)
	v_add_f32_e32 v2, 0x358637bd, v6
	v_div_scale_f32 v3, s[4:5], v2, v2, 1.0
	v_rcp_f32_e32 v7, v3
	v_div_scale_f32 v8, vcc, 1.0, v2, 1.0
	s_movk_i32 s4, 0x7f
	v_fma_f32 v9, -v3, v7, 1.0
	v_fmac_f32_e32 v7, v9, v7
	v_mul_f32_e32 v9, v8, v7
	v_fma_f32 v10, -v3, v9, v8
	v_fmac_f32_e32 v9, v10, v7
	v_fma_f32 v3, -v3, v9, v8
	v_div_fmas_f32 v3, v3, v7, v9
	v_div_fixup_f32 v2, v3, v2, 1.0
	v_xad_u32 v3, v0, -1, s43
	v_subrev_u32_e32 v7, s55, v3
	v_cmp_lt_u32_e32 vcc, s4, v7
	s_mov_b64 s[10:11], -1
	v_mov_b32_e32 v3, v0
	s_and_saveexec_b64 s[4:5], vcc
	s_cbranch_execz .LBB349_242
; %bb.234:
	v_lshrrev_b32_e32 v7, 7, v7
	v_add_u32_e32 v9, -1, v7
	v_lshrrev_b32_e32 v8, 1, v9
	v_mov_b32_e32 v3, v2
	v_add_u32_e32 v8, 1, v8
	v_cmp_lt_u32_e32 vcc, 13, v9
	v_mov_b32_e32 v11, 0
	s_and_saveexec_b64 s[10:11], vcc
	s_cbranch_execz .LBB349_238
; %bb.235:
	v_mov_b32_e32 v10, 0xb0
	v_and_b32_e32 v9, -8, v8
	v_lshl_add_u32 v10, v0, 2, v10
	s_mov_b32 s18, 0
	s_mov_b64 s[12:13], 0
.LBB349_236:                            ; =>This Inner Loop Header: Depth=1
	ds_read2st64_b32 v[16:17], v10 offset1:2
	ds_read2st64_b32 v[18:19], v10 offset0:4 offset1:6
	ds_read2st64_b32 v[20:21], v10 offset0:8 offset1:10
	;; [unrolled: 1-line block ×3, first 2 shown]
	v_add_u32_e32 v9, -8, v9
	s_waitcnt lgkmcnt(3)
	v_pk_mul_f32 v[16:17], v[2:3], v[16:17]
	s_waitcnt lgkmcnt(2)
	v_pk_mul_f32 v[18:19], v[2:3], v[18:19]
	ds_write2st64_b32 v10, v16, v17 offset1:2
	ds_write2st64_b32 v10, v18, v19 offset0:4 offset1:6
	ds_read2st64_b32 v[18:19], v10 offset0:16 offset1:18
	s_waitcnt lgkmcnt(4)
	v_pk_mul_f32 v[16:17], v[2:3], v[20:21]
	ds_write2st64_b32 v10, v16, v17 offset0:8 offset1:10
	s_waitcnt lgkmcnt(4)
	v_pk_mul_f32 v[16:17], v[2:3], v[22:23]
	ds_write2st64_b32 v10, v16, v17 offset0:12 offset1:14
	ds_read2st64_b32 v[16:17], v10 offset0:20 offset1:22
	s_waitcnt lgkmcnt(3)
	v_pk_mul_f32 v[18:19], v[2:3], v[18:19]
	ds_read2st64_b32 v[20:21], v10 offset0:24 offset1:26
	ds_write2st64_b32 v10, v18, v19 offset0:16 offset1:18
	ds_read2st64_b32 v[18:19], v10 offset0:28 offset1:30
	s_waitcnt lgkmcnt(3)
	v_pk_mul_f32 v[16:17], v[2:3], v[16:17]
	ds_write2st64_b32 v10, v16, v17 offset0:20 offset1:22
	s_waitcnt lgkmcnt(3)
	v_pk_mul_f32 v[16:17], v[2:3], v[20:21]
	ds_write2st64_b32 v10, v16, v17 offset0:24 offset1:26
	s_waitcnt lgkmcnt(2)
	v_pk_mul_f32 v[16:17], v[2:3], v[18:19]
	s_add_i32 s18, s18, 16
	v_cmp_eq_u32_e32 vcc, 0, v9
	ds_write2st64_b32 v10, v16, v17 offset0:28 offset1:30
	v_add_u32_e32 v10, 0x2000, v10
	s_or_b64 s[12:13], vcc, s[12:13]
	v_mov_b32_e32 v11, s18
	s_andn2_b64 exec, exec, s[12:13]
	s_cbranch_execnz .LBB349_236
; %bb.237:
	s_or_b64 exec, exec, s[12:13]
.LBB349_238:
	s_or_b64 exec, exec, s[10:11]
	v_and_b32_e32 v8, 7, v8
	v_cmp_ne_u32_e32 vcc, 0, v8
	s_and_saveexec_b64 s[10:11], vcc
	s_cbranch_execz .LBB349_241
; %bb.239:
	v_lshlrev_b32_e32 v9, 9, v11
	v_lshlrev_b32_e32 v10, 2, v0
	s_movk_i32 s12, 0xb0
	v_add3_u32 v9, v9, v10, s12
	s_mov_b64 s[12:13], 0
.LBB349_240:                            ; =>This Inner Loop Header: Depth=1
	ds_read2st64_b32 v[10:11], v9 offset1:2
	v_add_u32_e32 v8, -1, v8
	v_cmp_eq_u32_e32 vcc, 0, v8
	s_or_b64 s[12:13], vcc, s[12:13]
	s_waitcnt lgkmcnt(0)
	v_pk_mul_f32 v[10:11], v[2:3], v[10:11]
	ds_write2st64_b32 v9, v10, v11 offset1:2
	v_add_u32_e32 v9, 0x400, v9
	s_andn2_b64 exec, exec, s[12:13]
	s_cbranch_execnz .LBB349_240
.LBB349_241:
	s_or_b64 exec, exec, s[10:11]
	v_add_u32_e32 v7, 1, v7
	v_and_b32_e32 v8, 0x3fffffe, v7
	v_cmp_ne_u32_e32 vcc, v7, v8
	v_lshl_add_u32 v3, v8, 7, v0
	s_orn2_b64 s[10:11], vcc, exec
.LBB349_242:
	s_or_b64 exec, exec, s[4:5]
	s_and_b64 exec, exec, s[10:11]
	s_cbranch_execz .LBB349_245
; %bb.243:
	v_mov_b32_e32 v7, 0xb0
	v_lshl_add_u32 v7, v3, 2, v7
	s_mov_b64 s[4:5], 0
.LBB349_244:                            ; =>This Inner Loop Header: Depth=1
	ds_read_b32 v8, v7
	v_add_u32_e32 v3, 0x80, v3
	v_cmp_le_i32_e32 vcc, s23, v3
	s_or_b64 s[4:5], vcc, s[4:5]
	s_waitcnt lgkmcnt(0)
	v_mul_f32_e32 v8, v2, v8
	ds_write_b32 v7, v8
	v_add_u32_e32 v7, 0x200, v7
	s_andn2_b64 exec, exec, s[4:5]
	s_cbranch_execnz .LBB349_244
.LBB349_245:
	s_or_b64 exec, exec, s[2:3]
	s_mul_i32 s2, s29, s34
	v_cmp_eq_u32_e32 vcc, 0, v0
	s_mul_i32 s10, s2, s9
	s_waitcnt lgkmcnt(0)
	s_barrier
	s_and_saveexec_b64 s[2:3], vcc
	s_cbranch_execz .LBB349_247
; %bb.246:
	s_ashr_i32 s11, s10, 31
	s_lshl_b64 s[4:5], s[10:11], 2
	s_add_u32 s9, s26, s4
	s_mul_i32 s12, s29, s6
	s_addc_u32 s11, s27, s5
	s_ashr_i32 s13, s12, 31
	s_lshl_b64 s[12:13], s[12:13], 2
	s_add_u32 s6, s9, s12
	s_addc_u32 s11, s11, s13
	s_ashr_i32 s9, s8, 31
	s_lshl_b64 s[18:19], s[8:9], 2
	s_add_u32 s26, s6, s18
	s_addc_u32 s27, s11, s19
	s_add_u32 s4, s24, s4
	s_addc_u32 s5, s25, s5
	;; [unrolled: 2-line block ×3, first 2 shown]
	s_add_u32 s4, s4, s18
	v_mov_b32_e32 v2, 0
	s_addc_u32 s5, s5, s19
	global_store_dword v2, v5, s[26:27]
	global_store_dword v2, v6, s[4:5]
.LBB349_247:
	s_or_b64 exec, exec, s[2:3]
	s_mov_b32 s4, 0
	v_mov_b32_e32 v12, 0
	v_lshrrev_b32_e32 v21, 1, v4
	v_and_b32_e32 v17, 1, v0
	v_mov_b32_e32 v11, 0
	v_mov_b32_e32 v10, 0
	s_and_saveexec_b64 s[12:13], s[0:1]
	s_cbranch_execz .LBB349_629
; %bb.248:
	s_sub_i32 s9, s16, s21
	s_ashr_i32 s0, s20, 31
	s_add_u32 s16, s40, s20
	v_lshlrev_b32_e32 v2, 3, v0
	s_mov_b32 s11, s17
	s_addc_u32 s17, s41, s0
	s_abs_i32 s34, s22
	v_and_b32_e32 v24, 8, v2
	v_cvt_f32_u32_e32 v2, s34
	v_or_b32_e32 v3, 64, v21
	s_movk_i32 s0, 0x50
	v_cmp_gt_u32_e32 vcc, s0, v3
	v_rcp_iflag_f32_e32 v2, v2
	s_sub_i32 s0, 0, s34
	s_add_i32 s40, s7, -1
	v_lshl_or_b32 v20, v3, 4, v24
	v_mul_f32_e32 v2, 0x4f7ffffe, v2
	v_cvt_u32_f32_e32 v2, v2
	s_mov_b32 s6, s4
	s_mov_b32 s18, -1
	s_mov_b32 s5, s4
	v_mul_lo_u32 v3, s0, v2
	s_lshl_b64 s[0:1], s[38:39], 2
	v_mul_hi_u32 v3, v2, v3
	s_add_u32 s0, s36, s0
	v_add_u32_e32 v25, v2, v3
	v_lshlrev_b64 v[2:3], 2, v[14:15]
	s_addc_u32 s1, s37, s1
	v_mov_b32_e32 v4, s1
	v_add_co_u32_e64 v22, s[0:1], s0, v2
	v_lshlrev_b32_e32 v2, 5, v17
	v_lshl_or_b32 v2, v26, 6, v2
	v_mov_b32_e32 v12, s6
	s_mov_b32 s19, 0xffffff
	v_lshl_or_b32 v16, v21, 4, v24
	v_mov_b32_e32 v19, 0
	v_addc_co_u32_e64 v23, s[0:1], v4, v3, s[0:1]
	v_add_u32_e32 v15, 0xb0, v2
	s_mov_b64 s[20:21], 0
	v_mov_b32_e32 v11, s5
	v_mov_b32_e32 v10, s4
	s_mov_b32 s36, 0x7f800000
	s_movk_i32 s37, 0x7fff
	s_movk_i32 s38, 0x80
	;; [unrolled: 1-line block ×3, first 2 shown]
	v_bfrev_b32_e32 v26, 60
	s_branch .LBB349_252
.LBB349_249:                            ;   in Loop: Header=BB349_252 Depth=1
	s_or_b64 exec, exec, s[2:3]
	v_and_b32_e32 v28, 0xffff0000, v9
	v_and_b32_e32 v9, 0xffff0000, v4
	;; [unrolled: 1-line block ×8, first 2 shown]
	v_pk_add_f32 v[2:3], v[4:5], v[30:31]
	v_pk_add_f32 v[4:5], v[8:9], v[28:29]
	v_add_f32_e32 v2, v2, v3
	v_add_f32_e32 v2, v2, v4
	;; [unrolled: 1-line block ×4, first 2 shown]
.LBB349_250:                            ;   in Loop: Header=BB349_252 Depth=1
	s_or_b64 exec, exec, s[6:7]
.LBB349_251:                            ;   in Loop: Header=BB349_252 Depth=1
	s_or_b64 exec, exec, s[4:5]
	v_add_co_u32_e64 v22, s[0:1], 8, v22
	v_add_u32_e32 v14, 2, v14
	v_addc_co_u32_e64 v23, s[0:1], 0, v23, s[0:1]
	v_cmp_le_i32_e64 s[0:1], s54, v14
	v_add_u32_e32 v1, 32, v1
	s_or_b64 s[20:21], s[0:1], s[20:21]
	v_add_u32_e32 v15, 0x80, v15
	s_andn2_b64 exec, exec, s[20:21]
	s_cbranch_execz .LBB349_628
.LBB349_252:                            ; =>This Inner Loop Header: Depth=1
	v_sub_u32_e32 v3, 0, v1
	v_max_i32_e32 v3, v1, v3
	v_mul_hi_u32 v4, v3, s52
	v_mul_lo_u32 v5, v4, s35
	v_sub_u32_e32 v3, v3, v5
	v_add_u32_e32 v5, 1, v4
	v_cmp_le_u32_e64 s[0:1], s35, v3
	v_cndmask_b32_e64 v4, v4, v5, s[0:1]
	v_subrev_u32_e32 v5, s35, v3
	v_cndmask_b32_e64 v3, v3, v5, s[0:1]
	v_ashrrev_i32_e32 v2, 31, v1
	v_add_u32_e32 v5, 1, v4
	v_cmp_le_u32_e64 s[0:1], s35, v3
	v_xor_b32_e32 v2, s53, v2
	v_cndmask_b32_e64 v3, v4, v5, s[0:1]
	v_xor_b32_e32 v3, v3, v2
	v_sub_u32_e32 v2, v3, v2
	v_add_u32_e32 v3, s42, v2
	v_sub_u32_e32 v5, 0, v3
	v_ashrrev_i32_e32 v4, 31, v3
	v_max_i32_e32 v3, v3, v5
	v_mul_hi_u32 v5, v3, v25
	v_mul_lo_u32 v5, v5, s34
	v_sub_u32_e32 v3, v3, v5
	v_subrev_u32_e32 v5, s34, v3
	v_cmp_le_u32_e64 s[0:1], s34, v3
	v_cndmask_b32_e64 v3, v3, v5, s[0:1]
	v_subrev_u32_e32 v5, s34, v3
	v_cmp_le_u32_e64 s[0:1], s34, v3
	v_cndmask_b32_e64 v3, v3, v5, s[0:1]
	v_xor_b32_e32 v3, v3, v4
	v_sub_u32_e32 v3, v3, v4
	v_cmp_eq_u32_e64 s[0:1], 0, v3
	v_cmp_lt_i32_e64 s[2:3], s9, v2
	s_or_b64 s[0:1], s[0:1], s[2:3]
	s_and_saveexec_b64 s[4:5], s[0:1]
	s_cbranch_execz .LBB349_251
; %bb.253:                              ;   in Loop: Header=BB349_252 Depth=1
	global_load_dword v18, v[22:23], off
	ds_read2_b64 v[6:9], v15 offset1:1
	ds_read2_b64 v[2:5], v15 offset0:2 offset1:3
                                        ; implicit-def: $vgpr33
	s_waitcnt lgkmcnt(1)
	v_and_b32_e32 v27, 0x7f800000, v6
	v_cmp_ne_u32_e64 s[0:1], s36, v27
	s_and_saveexec_b64 s[2:3], s[0:1]
	s_xor_b64 s[0:1], exec, s[2:3]
; %bb.254:                              ;   in Loop: Header=BB349_252 Depth=1
	v_bfe_u32 v27, v6, 16, 1
	v_add3_u32 v33, v6, v27, s37
; %bb.255:                              ;   in Loop: Header=BB349_252 Depth=1
	s_andn2_saveexec_b64 s[2:3], s[0:1]
; %bb.256:                              ;   in Loop: Header=BB349_252 Depth=1
	v_or_b32_e32 v27, 0x10000, v6
	v_cmp_eq_u32_sdwa s[0:1], v6, v19 src0_sel:WORD_0 src1_sel:DWORD
	v_cndmask_b32_e64 v33, v27, v6, s[0:1]
; %bb.257:                              ;   in Loop: Header=BB349_252 Depth=1
	s_or_b64 exec, exec, s[2:3]
	v_and_b32_e32 v6, 0x7f800000, v7
	v_cmp_ne_u32_e64 s[0:1], s36, v6
                                        ; implicit-def: $vgpr34
	s_and_saveexec_b64 s[2:3], s[0:1]
	s_xor_b64 s[0:1], exec, s[2:3]
; %bb.258:                              ;   in Loop: Header=BB349_252 Depth=1
	v_bfe_u32 v6, v7, 16, 1
	v_add3_u32 v34, v7, v6, s37
; %bb.259:                              ;   in Loop: Header=BB349_252 Depth=1
	s_andn2_saveexec_b64 s[2:3], s[0:1]
; %bb.260:                              ;   in Loop: Header=BB349_252 Depth=1
	v_or_b32_e32 v6, 0x10000, v7
	v_cmp_eq_u32_sdwa s[0:1], v7, v19 src0_sel:WORD_0 src1_sel:DWORD
	v_cndmask_b32_e64 v34, v6, v7, s[0:1]
; %bb.261:                              ;   in Loop: Header=BB349_252 Depth=1
	s_or_b64 exec, exec, s[2:3]
	v_and_b32_e32 v6, 0x7f800000, v8
	v_cmp_ne_u32_e64 s[0:1], s36, v6
                                        ; implicit-def: $vgpr27
	s_and_saveexec_b64 s[2:3], s[0:1]
	s_xor_b64 s[0:1], exec, s[2:3]
; %bb.262:                              ;   in Loop: Header=BB349_252 Depth=1
	v_bfe_u32 v6, v8, 16, 1
	v_add3_u32 v27, v8, v6, s37
; %bb.263:                              ;   in Loop: Header=BB349_252 Depth=1
	s_andn2_saveexec_b64 s[2:3], s[0:1]
; %bb.264:                              ;   in Loop: Header=BB349_252 Depth=1
	v_or_b32_e32 v6, 0x10000, v8
	v_cmp_eq_u32_sdwa s[0:1], v8, v19 src0_sel:WORD_0 src1_sel:DWORD
	v_cndmask_b32_e64 v27, v6, v8, s[0:1]
; %bb.265:                              ;   in Loop: Header=BB349_252 Depth=1
	s_or_b64 exec, exec, s[2:3]
	v_and_b32_e32 v6, 0x7f800000, v9
	v_cmp_ne_u32_e64 s[0:1], s36, v6
                                        ; implicit-def: $vgpr28
	s_and_saveexec_b64 s[2:3], s[0:1]
	s_xor_b64 s[0:1], exec, s[2:3]
; %bb.266:                              ;   in Loop: Header=BB349_252 Depth=1
	v_bfe_u32 v6, v9, 16, 1
	v_add3_u32 v28, v9, v6, s37
                                        ; implicit-def: $vgpr6_vgpr7_vgpr8_vgpr9
; %bb.267:                              ;   in Loop: Header=BB349_252 Depth=1
	s_andn2_saveexec_b64 s[2:3], s[0:1]
; %bb.268:                              ;   in Loop: Header=BB349_252 Depth=1
	v_or_b32_e32 v6, 0x10000, v9
	v_cmp_eq_u32_sdwa s[0:1], v9, v19 src0_sel:WORD_0 src1_sel:DWORD
	v_cndmask_b32_e64 v28, v6, v9, s[0:1]
; %bb.269:                              ;   in Loop: Header=BB349_252 Depth=1
	s_or_b64 exec, exec, s[2:3]
	s_waitcnt lgkmcnt(0)
	v_and_b32_e32 v6, 0x7f800000, v2
	v_cmp_ne_u32_e64 s[0:1], s36, v6
                                        ; implicit-def: $vgpr29
	s_and_saveexec_b64 s[2:3], s[0:1]
	s_xor_b64 s[0:1], exec, s[2:3]
; %bb.270:                              ;   in Loop: Header=BB349_252 Depth=1
	v_bfe_u32 v6, v2, 16, 1
	v_add3_u32 v29, v2, v6, s37
; %bb.271:                              ;   in Loop: Header=BB349_252 Depth=1
	s_andn2_saveexec_b64 s[2:3], s[0:1]
; %bb.272:                              ;   in Loop: Header=BB349_252 Depth=1
	v_or_b32_e32 v6, 0x10000, v2
	v_cmp_eq_u32_sdwa s[0:1], v2, v19 src0_sel:WORD_0 src1_sel:DWORD
	v_cndmask_b32_e64 v29, v6, v2, s[0:1]
; %bb.273:                              ;   in Loop: Header=BB349_252 Depth=1
	s_or_b64 exec, exec, s[2:3]
	v_and_b32_e32 v2, 0x7f800000, v3
	v_cmp_ne_u32_e64 s[0:1], s36, v2
                                        ; implicit-def: $vgpr30
	s_and_saveexec_b64 s[2:3], s[0:1]
	s_xor_b64 s[0:1], exec, s[2:3]
; %bb.274:                              ;   in Loop: Header=BB349_252 Depth=1
	v_bfe_u32 v2, v3, 16, 1
	v_add3_u32 v30, v3, v2, s37
; %bb.275:                              ;   in Loop: Header=BB349_252 Depth=1
	s_andn2_saveexec_b64 s[2:3], s[0:1]
; %bb.276:                              ;   in Loop: Header=BB349_252 Depth=1
	v_or_b32_e32 v2, 0x10000, v3
	v_cmp_eq_u32_sdwa s[0:1], v3, v19 src0_sel:WORD_0 src1_sel:DWORD
	v_cndmask_b32_e64 v30, v2, v3, s[0:1]
; %bb.277:                              ;   in Loop: Header=BB349_252 Depth=1
	s_or_b64 exec, exec, s[2:3]
	v_and_b32_e32 v2, 0x7f800000, v4
	v_cmp_ne_u32_e64 s[0:1], s36, v2
                                        ; implicit-def: $vgpr31
	s_and_saveexec_b64 s[2:3], s[0:1]
	s_xor_b64 s[0:1], exec, s[2:3]
; %bb.278:                              ;   in Loop: Header=BB349_252 Depth=1
	v_bfe_u32 v2, v4, 16, 1
	v_add3_u32 v31, v4, v2, s37
; %bb.279:                              ;   in Loop: Header=BB349_252 Depth=1
	s_andn2_saveexec_b64 s[2:3], s[0:1]
; %bb.280:                              ;   in Loop: Header=BB349_252 Depth=1
	v_or_b32_e32 v2, 0x10000, v4
	v_cmp_eq_u32_sdwa s[0:1], v4, v19 src0_sel:WORD_0 src1_sel:DWORD
	v_cndmask_b32_e64 v31, v2, v4, s[0:1]
; %bb.281:                              ;   in Loop: Header=BB349_252 Depth=1
	s_or_b64 exec, exec, s[2:3]
	v_and_b32_e32 v2, 0x7f800000, v5
	v_cmp_ne_u32_e64 s[0:1], s36, v2
                                        ; implicit-def: $vgpr32
	s_and_saveexec_b64 s[2:3], s[0:1]
	s_xor_b64 s[0:1], exec, s[2:3]
; %bb.282:                              ;   in Loop: Header=BB349_252 Depth=1
	v_bfe_u32 v2, v5, 16, 1
	v_add3_u32 v32, v5, v2, s37
                                        ; implicit-def: $vgpr2_vgpr3_vgpr4_vgpr5
; %bb.283:                              ;   in Loop: Header=BB349_252 Depth=1
	s_andn2_saveexec_b64 s[2:3], s[0:1]
; %bb.284:                              ;   in Loop: Header=BB349_252 Depth=1
	v_or_b32_e32 v2, 0x10000, v5
	v_cmp_eq_u32_sdwa s[0:1], v5, v19 src0_sel:WORD_0 src1_sel:DWORD
	v_cndmask_b32_e64 v32, v2, v5, s[0:1]
; %bb.285:                              ;   in Loop: Header=BB349_252 Depth=1
	s_or_b64 exec, exec, s[2:3]
	v_pk_mov_b32 v[2:3], s[16:17], s[16:17] op_sel:[0,1]
	s_waitcnt vmcnt(0)
	v_mad_i64_i32 v[2:3], s[0:1], v18, s11, v[2:3]
	v_add_co_u32_e64 v4, s[0:1], v2, v16
	v_addc_co_u32_e64 v5, s[0:1], 0, v3, s[0:1]
	global_load_dwordx2 v[6:7], v[4:5], off
	s_load_dword s41, s[14:15], 0x0
	v_mov_b32_e32 v8, 0
	s_waitcnt vmcnt(0)
	v_cmp_ne_u16_sdwa s[0:1], v6, v19 src0_sel:BYTE_0 src1_sel:DWORD
	s_and_saveexec_b64 s[2:3], s[0:1]
	s_cbranch_execz .LBB349_291
; %bb.286:                              ;   in Loop: Header=BB349_252 Depth=1
	v_cmp_ne_u16_sdwa s[0:1], v6, s38 src0_sel:BYTE_0 src1_sel:DWORD
	v_bfrev_b32_e32 v8, 1
	s_and_saveexec_b64 s[6:7], s[0:1]
	s_cbranch_execz .LBB349_290
; %bb.287:                              ;   in Loop: Header=BB349_252 Depth=1
	v_and_b32_e32 v9, 0x7f, v6
	v_cmp_ne_u32_e64 s[0:1], s39, v9
	v_mov_b32_e32 v8, 0x7f800001
	s_and_saveexec_b64 s[22:23], s[0:1]
	s_cbranch_execz .LBB349_289
; %bb.288:                              ;   in Loop: Header=BB349_252 Depth=1
	v_and_b32_e32 v8, 7, v6
	v_ffbh_u32_e32 v8, v8
	v_min_u32_e32 v8, 32, v8
	v_lshrrev_b32_e32 v18, 3, v9
	v_subrev_u32_e32 v35, 28, v8
	v_sub_u32_e32 v8, 29, v8
	v_cmp_gt_u32_e64 s[0:1], 8, v9
	v_cndmask_b32_e64 v18, v18, v8, s[0:1]
	v_cndmask_b32_e64 v8, 0, v35, s[0:1]
	v_lshlrev_b64 v[8:9], v8, v[6:7]
	v_lshlrev_b32_e32 v8, 20, v8
	v_lshlrev_b32_e32 v9, 24, v6
	v_and_b32_e32 v8, 0x700000, v8
	v_and_b32_e32 v9, 0x80000000, v9
	v_lshl_add_u32 v18, v18, 23, v26
	v_or3_b32 v8, v9, v18, v8
.LBB349_289:                            ;   in Loop: Header=BB349_252 Depth=1
	s_or_b64 exec, exec, s[22:23]
.LBB349_290:                            ;   in Loop: Header=BB349_252 Depth=1
	s_or_b64 exec, exec, s[6:7]
.LBB349_291:                            ;   in Loop: Header=BB349_252 Depth=1
	s_or_b64 exec, exec, s[2:3]
	s_waitcnt lgkmcnt(0)
	v_mul_f32_e32 v8, s41, v8
	v_and_b32_e32 v9, 0x7f800000, v8
	v_cmp_ne_u32_e64 s[0:1], s36, v9
                                        ; implicit-def: $vgpr9
	s_and_saveexec_b64 s[2:3], s[0:1]
	s_xor_b64 s[0:1], exec, s[2:3]
; %bb.292:                              ;   in Loop: Header=BB349_252 Depth=1
	v_bfe_u32 v9, v8, 16, 1
	v_add3_u32 v9, v8, v9, s37
                                        ; implicit-def: $vgpr8
; %bb.293:                              ;   in Loop: Header=BB349_252 Depth=1
	s_andn2_saveexec_b64 s[2:3], s[0:1]
; %bb.294:                              ;   in Loop: Header=BB349_252 Depth=1
	v_or_b32_e32 v9, 0x10000, v8
	v_cmp_eq_u32_sdwa s[0:1], v8, v19 src0_sel:WORD_0 src1_sel:DWORD
	v_cndmask_b32_e64 v9, v9, v8, s[0:1]
; %bb.295:                              ;   in Loop: Header=BB349_252 Depth=1
	s_or_b64 exec, exec, s[2:3]
	v_lshrrev_b16_e32 v8, 8, v6
	v_cmp_ne_u16_e64 s[0:1], 0, v8
	v_mov_b32_e32 v18, 0
	s_and_saveexec_b64 s[2:3], s[0:1]
	s_cbranch_execz .LBB349_301
; %bb.296:                              ;   in Loop: Header=BB349_252 Depth=1
	v_cmp_ne_u16_e64 s[0:1], s38, v8
	v_bfrev_b32_e32 v18, 1
	s_and_saveexec_b64 s[6:7], s[0:1]
	s_cbranch_execz .LBB349_300
; %bb.297:                              ;   in Loop: Header=BB349_252 Depth=1
	v_and_b32_e32 v35, 0x7f, v8
	v_cmp_ne_u32_e64 s[0:1], s39, v35
	v_mov_b32_e32 v18, 0x7f800001
	s_and_saveexec_b64 s[22:23], s[0:1]
	s_cbranch_execz .LBB349_299
; %bb.298:                              ;   in Loop: Header=BB349_252 Depth=1
	v_and_b32_e32 v18, 7, v8
	v_ffbh_u32_e32 v36, v18
	v_min_u32_e32 v39, 32, v36
	v_subrev_u32_e32 v36, 28, v39
	v_lshlrev_b64 v[36:37], v36, v[8:9]
	v_lshrrev_b32_e32 v38, 3, v35
	v_sub_u32_e32 v8, 29, v39
	v_and_b32_e32 v36, 7, v36
	v_cmp_gt_u32_e64 s[0:1], 8, v35
	v_cndmask_b32_e64 v8, v38, v8, s[0:1]
	v_cndmask_b32_e64 v18, v18, v36, s[0:1]
	v_lshlrev_b32_e32 v35, 16, v6
	v_lshlrev_b32_e32 v18, 20, v18
	v_and_b32_e32 v35, 0x80000000, v35
	v_lshl_add_u32 v8, v8, 23, v26
	v_or3_b32 v18, v35, v8, v18
.LBB349_299:                            ;   in Loop: Header=BB349_252 Depth=1
	s_or_b64 exec, exec, s[22:23]
.LBB349_300:                            ;   in Loop: Header=BB349_252 Depth=1
	s_or_b64 exec, exec, s[6:7]
.LBB349_301:                            ;   in Loop: Header=BB349_252 Depth=1
	s_or_b64 exec, exec, s[2:3]
	v_mul_f32_e32 v8, s41, v18
	v_and_b32_e32 v18, 0x7f800000, v8
	v_cmp_ne_u32_e64 s[0:1], s36, v18
                                        ; implicit-def: $vgpr35
	s_and_saveexec_b64 s[2:3], s[0:1]
	s_xor_b64 s[0:1], exec, s[2:3]
; %bb.302:                              ;   in Loop: Header=BB349_252 Depth=1
	v_bfe_u32 v18, v8, 16, 1
	v_add3_u32 v35, v8, v18, s37
                                        ; implicit-def: $vgpr8
; %bb.303:                              ;   in Loop: Header=BB349_252 Depth=1
	s_andn2_saveexec_b64 s[2:3], s[0:1]
; %bb.304:                              ;   in Loop: Header=BB349_252 Depth=1
	v_or_b32_e32 v18, 0x10000, v8
	v_cmp_eq_u32_sdwa s[0:1], v8, v19 src0_sel:WORD_0 src1_sel:DWORD
	v_cndmask_b32_e64 v35, v18, v8, s[0:1]
; %bb.305:                              ;   in Loop: Header=BB349_252 Depth=1
	s_or_b64 exec, exec, s[2:3]
	v_lshrrev_b32_e32 v8, 16, v6
	v_cmp_ne_u16_sdwa s[0:1], v8, v19 src0_sel:BYTE_0 src1_sel:DWORD
	v_mov_b32_e32 v18, 0
	s_and_saveexec_b64 s[2:3], s[0:1]
	s_cbranch_execz .LBB349_311
; %bb.306:                              ;   in Loop: Header=BB349_252 Depth=1
	v_cmp_ne_u16_sdwa s[0:1], v8, s38 src0_sel:BYTE_0 src1_sel:DWORD
	v_bfrev_b32_e32 v18, 1
	s_and_saveexec_b64 s[6:7], s[0:1]
	s_cbranch_execz .LBB349_310
; %bb.307:                              ;   in Loop: Header=BB349_252 Depth=1
	v_bfe_u32 v36, v6, 16, 7
	v_cmp_ne_u32_e64 s[0:1], s39, v36
	v_mov_b32_e32 v18, 0x7f800001
	s_and_saveexec_b64 s[22:23], s[0:1]
	s_cbranch_execz .LBB349_309
; %bb.308:                              ;   in Loop: Header=BB349_252 Depth=1
	v_and_b32_e32 v18, 7, v8
	v_ffbh_u32_e32 v38, v18
	v_min_u32_e32 v40, 32, v38
	v_subrev_u32_e32 v38, 28, v40
	v_lshlrev_b64 v[38:39], v38, v[8:9]
	v_lshrrev_b32_e32 v37, 3, v36
	v_sub_u32_e32 v39, 29, v40
	v_and_b32_e32 v38, 7, v38
	v_cmp_gt_u32_e64 s[0:1], 8, v36
	v_cndmask_b32_e64 v36, v37, v39, s[0:1]
	v_cndmask_b32_e64 v18, v18, v38, s[0:1]
	v_lshlrev_b32_e32 v8, 24, v8
	v_lshlrev_b32_e32 v18, 20, v18
	v_and_b32_e32 v8, 0x80000000, v8
	v_lshl_add_u32 v36, v36, 23, v26
	v_or3_b32 v18, v8, v36, v18
.LBB349_309:                            ;   in Loop: Header=BB349_252 Depth=1
	s_or_b64 exec, exec, s[22:23]
.LBB349_310:                            ;   in Loop: Header=BB349_252 Depth=1
	s_or_b64 exec, exec, s[6:7]
.LBB349_311:                            ;   in Loop: Header=BB349_252 Depth=1
	s_or_b64 exec, exec, s[2:3]
	v_mul_f32_e32 v8, s41, v18
	v_and_b32_e32 v18, 0x7f800000, v8
	v_cmp_ne_u32_e64 s[0:1], s36, v18
                                        ; implicit-def: $vgpr36
	s_and_saveexec_b64 s[2:3], s[0:1]
	s_xor_b64 s[0:1], exec, s[2:3]
; %bb.312:                              ;   in Loop: Header=BB349_252 Depth=1
	v_bfe_u32 v18, v8, 16, 1
	v_add3_u32 v36, v8, v18, s37
                                        ; implicit-def: $vgpr8
; %bb.313:                              ;   in Loop: Header=BB349_252 Depth=1
	s_andn2_saveexec_b64 s[2:3], s[0:1]
; %bb.314:                              ;   in Loop: Header=BB349_252 Depth=1
	v_or_b32_e32 v18, 0x10000, v8
	v_cmp_eq_u32_sdwa s[0:1], v8, v19 src0_sel:WORD_0 src1_sel:DWORD
	v_cndmask_b32_e64 v36, v18, v8, s[0:1]
; %bb.315:                              ;   in Loop: Header=BB349_252 Depth=1
	s_or_b64 exec, exec, s[2:3]
	v_cmp_lt_u32_e64 s[0:1], s19, v6
	v_mov_b32_e32 v18, 0
	s_and_saveexec_b64 s[2:3], s[0:1]
	s_cbranch_execz .LBB349_321
; %bb.316:                              ;   in Loop: Header=BB349_252 Depth=1
	v_lshrrev_b32_e32 v8, 24, v6
	v_cmp_ne_u32_e64 s[0:1], s38, v8
	v_bfrev_b32_e32 v18, 1
	s_and_saveexec_b64 s[6:7], s[0:1]
	s_cbranch_execz .LBB349_320
; %bb.317:                              ;   in Loop: Header=BB349_252 Depth=1
	v_bfe_u32 v37, v6, 24, 7
	v_cmp_ne_u32_e64 s[0:1], s39, v37
	v_mov_b32_e32 v18, 0x7f800001
	s_and_saveexec_b64 s[22:23], s[0:1]
	s_cbranch_execz .LBB349_319
; %bb.318:                              ;   in Loop: Header=BB349_252 Depth=1
	v_and_b32_e32 v18, 7, v8
	v_ffbh_u32_e32 v38, v18
	v_min_u32_e32 v41, 32, v38
	v_subrev_u32_e32 v38, 28, v41
	v_lshlrev_b64 v[38:39], v38, v[8:9]
	v_lshrrev_b32_e32 v40, 3, v37
	v_sub_u32_e32 v39, 29, v41
	v_and_b32_e32 v38, 7, v38
	v_cmp_gt_u32_e64 s[0:1], 8, v37
	v_cndmask_b32_e64 v37, v40, v39, s[0:1]
	v_cndmask_b32_e64 v18, v18, v38, s[0:1]
	v_lshlrev_b32_e32 v8, 24, v8
	v_lshlrev_b32_e32 v18, 20, v18
	v_and_b32_e32 v8, 0x80000000, v8
	v_lshl_add_u32 v37, v37, 23, v26
	v_or3_b32 v18, v8, v37, v18
.LBB349_319:                            ;   in Loop: Header=BB349_252 Depth=1
	s_or_b64 exec, exec, s[22:23]
.LBB349_320:                            ;   in Loop: Header=BB349_252 Depth=1
	s_or_b64 exec, exec, s[6:7]
.LBB349_321:                            ;   in Loop: Header=BB349_252 Depth=1
	s_or_b64 exec, exec, s[2:3]
	v_mul_f32_e32 v8, s41, v18
	v_and_b32_e32 v18, 0x7f800000, v8
	v_cmp_ne_u32_e64 s[0:1], s36, v18
                                        ; implicit-def: $vgpr37
	s_and_saveexec_b64 s[2:3], s[0:1]
	s_xor_b64 s[0:1], exec, s[2:3]
; %bb.322:                              ;   in Loop: Header=BB349_252 Depth=1
	v_bfe_u32 v18, v8, 16, 1
	v_add3_u32 v37, v8, v18, s37
                                        ; implicit-def: $vgpr8
; %bb.323:                              ;   in Loop: Header=BB349_252 Depth=1
	s_andn2_saveexec_b64 s[2:3], s[0:1]
; %bb.324:                              ;   in Loop: Header=BB349_252 Depth=1
	v_or_b32_e32 v18, 0x10000, v8
	v_cmp_eq_u32_sdwa s[0:1], v8, v19 src0_sel:WORD_0 src1_sel:DWORD
	v_cndmask_b32_e64 v37, v18, v8, s[0:1]
; %bb.325:                              ;   in Loop: Header=BB349_252 Depth=1
	s_or_b64 exec, exec, s[2:3]
	v_mov_b32_e32 v18, v7
	v_cmp_ne_u16_sdwa s[0:1], v7, v19 src0_sel:BYTE_0 src1_sel:DWORD
	v_mov_b32_e32 v8, 0
	s_and_saveexec_b64 s[2:3], s[0:1]
	s_cbranch_execz .LBB349_331
; %bb.326:                              ;   in Loop: Header=BB349_252 Depth=1
	v_cmp_ne_u16_sdwa s[0:1], v7, s38 src0_sel:BYTE_0 src1_sel:DWORD
	v_bfrev_b32_e32 v8, 1
	s_and_saveexec_b64 s[6:7], s[0:1]
	s_cbranch_execz .LBB349_330
; %bb.327:                              ;   in Loop: Header=BB349_252 Depth=1
	v_and_b32_e32 v38, 0x7f, v7
	v_cmp_ne_u32_e64 s[0:1], s39, v38
	v_mov_b32_e32 v8, 0x7f800001
	s_and_saveexec_b64 s[22:23], s[0:1]
	s_cbranch_execz .LBB349_329
; %bb.328:                              ;   in Loop: Header=BB349_252 Depth=1
	v_and_b32_e32 v8, 7, v7
	v_ffbh_u32_e32 v8, v8
	v_min_u32_e32 v8, 32, v8
	v_subrev_u32_e32 v40, 28, v8
	v_cmp_gt_u32_e64 s[0:1], 8, v38
	v_lshrrev_b32_e32 v39, 3, v38
	v_sub_u32_e32 v8, 29, v8
	v_cndmask_b32_e64 v38, 0, v40, s[0:1]
	v_cndmask_b32_e64 v8, v39, v8, s[0:1]
	v_lshlrev_b64 v[38:39], v38, v[18:19]
	v_lshlrev_b32_e32 v38, 20, v38
	v_lshlrev_b32_e32 v39, 24, v18
	v_and_b32_e32 v38, 0x700000, v38
	v_and_b32_e32 v39, 0x80000000, v39
	v_lshl_add_u32 v8, v8, 23, v26
	v_or3_b32 v8, v39, v8, v38
.LBB349_329:                            ;   in Loop: Header=BB349_252 Depth=1
	s_or_b64 exec, exec, s[22:23]
.LBB349_330:                            ;   in Loop: Header=BB349_252 Depth=1
	s_or_b64 exec, exec, s[6:7]
.LBB349_331:                            ;   in Loop: Header=BB349_252 Depth=1
	s_or_b64 exec, exec, s[2:3]
	v_mul_f32_e32 v8, s41, v8
	v_and_b32_e32 v38, 0x7f800000, v8
	v_cmp_ne_u32_e64 s[0:1], s36, v38
                                        ; implicit-def: $vgpr38
	s_and_saveexec_b64 s[2:3], s[0:1]
	s_xor_b64 s[0:1], exec, s[2:3]
; %bb.332:                              ;   in Loop: Header=BB349_252 Depth=1
	v_bfe_u32 v38, v8, 16, 1
	v_add3_u32 v38, v8, v38, s37
                                        ; implicit-def: $vgpr8
; %bb.333:                              ;   in Loop: Header=BB349_252 Depth=1
	s_andn2_saveexec_b64 s[2:3], s[0:1]
; %bb.334:                              ;   in Loop: Header=BB349_252 Depth=1
	v_or_b32_e32 v38, 0x10000, v8
	v_cmp_eq_u32_sdwa s[0:1], v8, v19 src0_sel:WORD_0 src1_sel:DWORD
	v_cndmask_b32_e64 v38, v38, v8, s[0:1]
; %bb.335:                              ;   in Loop: Header=BB349_252 Depth=1
	s_or_b64 exec, exec, s[2:3]
	v_lshrrev_b16_e32 v8, 8, v18
	v_cmp_ne_u16_e64 s[0:1], 0, v8
	v_mov_b32_e32 v39, 0
	s_and_saveexec_b64 s[2:3], s[0:1]
	s_cbranch_execz .LBB349_341
; %bb.336:                              ;   in Loop: Header=BB349_252 Depth=1
	v_cmp_ne_u16_e64 s[0:1], s38, v8
	v_bfrev_b32_e32 v39, 1
	s_and_saveexec_b64 s[6:7], s[0:1]
	s_cbranch_execz .LBB349_340
; %bb.337:                              ;   in Loop: Header=BB349_252 Depth=1
	v_and_b32_e32 v40, 0x7f, v8
	v_cmp_ne_u32_e64 s[0:1], s39, v40
	v_mov_b32_e32 v39, 0x7f800001
	s_and_saveexec_b64 s[22:23], s[0:1]
	s_cbranch_execz .LBB349_339
; %bb.338:                              ;   in Loop: Header=BB349_252 Depth=1
	v_and_b32_e32 v39, 7, v8
	v_ffbh_u32_e32 v42, v39
	v_min_u32_e32 v44, 32, v42
	v_subrev_u32_e32 v42, 28, v44
	v_lshlrev_b64 v[42:43], v42, v[8:9]
	v_lshrrev_b32_e32 v41, 3, v40
	v_sub_u32_e32 v8, 29, v44
	v_and_b32_e32 v42, 7, v42
	v_cmp_gt_u32_e64 s[0:1], 8, v40
	v_cndmask_b32_e64 v8, v41, v8, s[0:1]
	v_cndmask_b32_e64 v39, v39, v42, s[0:1]
	v_lshlrev_b32_e32 v18, 16, v18
	v_lshlrev_b32_e32 v39, 20, v39
	v_and_b32_e32 v18, 0x80000000, v18
	v_lshl_add_u32 v8, v8, 23, v26
	v_or3_b32 v39, v18, v8, v39
.LBB349_339:                            ;   in Loop: Header=BB349_252 Depth=1
	s_or_b64 exec, exec, s[22:23]
.LBB349_340:                            ;   in Loop: Header=BB349_252 Depth=1
	s_or_b64 exec, exec, s[6:7]
.LBB349_341:                            ;   in Loop: Header=BB349_252 Depth=1
	s_or_b64 exec, exec, s[2:3]
	v_mul_f32_e32 v8, s41, v39
	v_and_b32_e32 v18, 0x7f800000, v8
	v_cmp_ne_u32_e64 s[0:1], s36, v18
                                        ; implicit-def: $vgpr18
	s_and_saveexec_b64 s[2:3], s[0:1]
	s_xor_b64 s[0:1], exec, s[2:3]
; %bb.342:                              ;   in Loop: Header=BB349_252 Depth=1
	v_bfe_u32 v18, v8, 16, 1
	v_add3_u32 v18, v8, v18, s37
                                        ; implicit-def: $vgpr8
; %bb.343:                              ;   in Loop: Header=BB349_252 Depth=1
	s_andn2_saveexec_b64 s[2:3], s[0:1]
; %bb.344:                              ;   in Loop: Header=BB349_252 Depth=1
	v_or_b32_e32 v18, 0x10000, v8
	v_cmp_eq_u32_sdwa s[0:1], v8, v19 src0_sel:WORD_0 src1_sel:DWORD
	v_cndmask_b32_e64 v18, v18, v8, s[0:1]
; %bb.345:                              ;   in Loop: Header=BB349_252 Depth=1
	s_or_b64 exec, exec, s[2:3]
	v_lshrrev_b32_e32 v8, 16, v7
	v_cmp_ne_u16_sdwa s[0:1], v8, v19 src0_sel:BYTE_0 src1_sel:DWORD
	v_mov_b32_e32 v39, 0
	s_and_saveexec_b64 s[2:3], s[0:1]
	s_cbranch_execz .LBB349_351
; %bb.346:                              ;   in Loop: Header=BB349_252 Depth=1
	v_cmp_ne_u16_sdwa s[0:1], v8, s38 src0_sel:BYTE_0 src1_sel:DWORD
	v_bfrev_b32_e32 v39, 1
	s_and_saveexec_b64 s[6:7], s[0:1]
	s_cbranch_execz .LBB349_350
; %bb.347:                              ;   in Loop: Header=BB349_252 Depth=1
	v_bfe_u32 v40, v7, 16, 7
	v_cmp_ne_u32_e64 s[0:1], s39, v40
	v_mov_b32_e32 v39, 0x7f800001
	s_and_saveexec_b64 s[22:23], s[0:1]
	s_cbranch_execz .LBB349_349
; %bb.348:                              ;   in Loop: Header=BB349_252 Depth=1
	v_and_b32_e32 v39, 7, v8
	v_ffbh_u32_e32 v42, v39
	v_min_u32_e32 v44, 32, v42
	v_subrev_u32_e32 v42, 28, v44
	v_lshlrev_b64 v[42:43], v42, v[8:9]
	v_lshrrev_b32_e32 v41, 3, v40
	v_sub_u32_e32 v43, 29, v44
	v_and_b32_e32 v42, 7, v42
	v_cmp_gt_u32_e64 s[0:1], 8, v40
	v_cndmask_b32_e64 v40, v41, v43, s[0:1]
	v_cndmask_b32_e64 v39, v39, v42, s[0:1]
	v_lshlrev_b32_e32 v8, 24, v8
	v_lshlrev_b32_e32 v39, 20, v39
	v_and_b32_e32 v8, 0x80000000, v8
	v_lshl_add_u32 v40, v40, 23, v26
	v_or3_b32 v39, v8, v40, v39
.LBB349_349:                            ;   in Loop: Header=BB349_252 Depth=1
	s_or_b64 exec, exec, s[22:23]
.LBB349_350:                            ;   in Loop: Header=BB349_252 Depth=1
	s_or_b64 exec, exec, s[6:7]
.LBB349_351:                            ;   in Loop: Header=BB349_252 Depth=1
	s_or_b64 exec, exec, s[2:3]
	v_mul_f32_e32 v39, s41, v39
	v_and_b32_e32 v8, 0x7f800000, v39
	v_cmp_ne_u32_e64 s[0:1], s36, v8
                                        ; implicit-def: $vgpr8
	s_and_saveexec_b64 s[2:3], s[0:1]
	s_xor_b64 s[0:1], exec, s[2:3]
; %bb.352:                              ;   in Loop: Header=BB349_252 Depth=1
	v_bfe_u32 v8, v39, 16, 1
	v_add3_u32 v8, v39, v8, s37
                                        ; implicit-def: $vgpr39
; %bb.353:                              ;   in Loop: Header=BB349_252 Depth=1
	s_andn2_saveexec_b64 s[2:3], s[0:1]
; %bb.354:                              ;   in Loop: Header=BB349_252 Depth=1
	v_or_b32_e32 v8, 0x10000, v39
	v_cmp_eq_u32_sdwa s[0:1], v39, v19 src0_sel:WORD_0 src1_sel:DWORD
	v_cndmask_b32_e64 v8, v8, v39, s[0:1]
; %bb.355:                              ;   in Loop: Header=BB349_252 Depth=1
	s_or_b64 exec, exec, s[2:3]
	v_cmp_lt_u64_e64 s[0:1], s[18:19], v[6:7]
	v_mov_b32_e32 v39, 0
	s_and_saveexec_b64 s[2:3], s[0:1]
	s_cbranch_execz .LBB349_361
; %bb.356:                              ;   in Loop: Header=BB349_252 Depth=1
	v_lshrrev_b32_e32 v6, 24, v7
	v_cmp_ne_u32_e64 s[0:1], s38, v6
	v_bfrev_b32_e32 v39, 1
	s_and_saveexec_b64 s[6:7], s[0:1]
	s_cbranch_execz .LBB349_360
; %bb.357:                              ;   in Loop: Header=BB349_252 Depth=1
	v_bfe_u32 v7, v7, 24, 7
	v_cmp_ne_u32_e64 s[0:1], s39, v7
	v_mov_b32_e32 v39, 0x7f800001
	s_and_saveexec_b64 s[22:23], s[0:1]
	s_cbranch_execz .LBB349_359
; %bb.358:                              ;   in Loop: Header=BB349_252 Depth=1
	v_and_b32_e32 v39, 7, v6
	v_ffbh_u32_e32 v40, v39
	v_min_u32_e32 v43, 32, v40
	v_subrev_u32_e32 v40, 28, v43
	v_lshlrev_b64 v[40:41], v40, v[6:7]
	v_lshrrev_b32_e32 v42, 3, v7
	v_sub_u32_e32 v41, 29, v43
	v_and_b32_e32 v40, 7, v40
	v_cmp_gt_u32_e64 s[0:1], 8, v7
	v_cndmask_b32_e64 v7, v42, v41, s[0:1]
	v_cndmask_b32_e64 v39, v39, v40, s[0:1]
	v_lshlrev_b32_e32 v6, 24, v6
	v_lshlrev_b32_e32 v39, 20, v39
	v_and_b32_e32 v6, 0x80000000, v6
	v_lshl_add_u32 v7, v7, 23, v26
	v_or3_b32 v39, v6, v7, v39
.LBB349_359:                            ;   in Loop: Header=BB349_252 Depth=1
	s_or_b64 exec, exec, s[22:23]
.LBB349_360:                            ;   in Loop: Header=BB349_252 Depth=1
	s_or_b64 exec, exec, s[6:7]
.LBB349_361:                            ;   in Loop: Header=BB349_252 Depth=1
	s_or_b64 exec, exec, s[2:3]
	v_mul_f32_e32 v7, s41, v39
	v_and_b32_e32 v6, 0x7f800000, v7
	v_cmp_ne_u32_e64 s[0:1], s36, v6
                                        ; implicit-def: $vgpr6
	s_and_saveexec_b64 s[2:3], s[0:1]
	s_xor_b64 s[0:1], exec, s[2:3]
; %bb.362:                              ;   in Loop: Header=BB349_252 Depth=1
	v_bfe_u32 v6, v7, 16, 1
	v_add3_u32 v6, v7, v6, s37
                                        ; implicit-def: $vgpr7
; %bb.363:                              ;   in Loop: Header=BB349_252 Depth=1
	s_andn2_saveexec_b64 s[2:3], s[0:1]
; %bb.364:                              ;   in Loop: Header=BB349_252 Depth=1
	v_or_b32_e32 v6, 0x10000, v7
	v_cmp_eq_u32_sdwa s[0:1], v7, v19 src0_sel:WORD_0 src1_sel:DWORD
	v_cndmask_b32_e64 v6, v6, v7, s[0:1]
; %bb.365:                              ;   in Loop: Header=BB349_252 Depth=1
	s_or_b64 exec, exec, s[2:3]
	v_cmp_eq_u32_e64 s[0:1], s40, v14
	v_add_u32_e32 v7, v24, v1
	v_lshrrev_b32_e32 v39, 16, v18
	v_lshrrev_b32_e32 v38, 16, v38
	;; [unrolled: 1-line block ×8, first 2 shown]
	s_and_saveexec_b64 s[6:7], s[0:1]
	s_cbranch_execz .LBB349_367
; %bb.366:                              ;   in Loop: Header=BB349_252 Depth=1
	v_cmp_gt_i32_e64 s[2:3], s33, v7
	v_add_u32_e32 v8, 1, v7
	v_cndmask_b32_e64 v9, 0, v9, s[2:3]
	v_cmp_gt_i32_e64 s[2:3], s33, v8
	v_add_u32_e32 v8, 2, v7
	v_cndmask_b32_e64 v35, 0, v35, s[2:3]
	;; [unrolled: 3-line block ×7, first 2 shown]
	v_cmp_gt_i32_e64 s[2:3], s33, v8
	v_cndmask_b32_e64 v6, 0, v6, s[2:3]
.LBB349_367:                            ;   in Loop: Header=BB349_252 Depth=1
	s_or_b64 exec, exec, s[6:7]
	v_and_b32_e32 v8, 0xffff0000, v33
	v_lshlrev_b32_e32 v9, 16, v9
	v_mul_f32_e32 v9, v8, v9
	v_and_b32_e32 v33, 0x7f800000, v9
	v_cmp_ne_u32_e64 s[2:3], s36, v33
                                        ; implicit-def: $vgpr33
	s_and_saveexec_b64 s[6:7], s[2:3]
	s_xor_b64 s[2:3], exec, s[6:7]
; %bb.368:                              ;   in Loop: Header=BB349_252 Depth=1
	v_bfe_u32 v33, v9, 16, 1
	v_add3_u32 v33, v9, v33, s37
                                        ; implicit-def: $vgpr9
; %bb.369:                              ;   in Loop: Header=BB349_252 Depth=1
	s_andn2_saveexec_b64 s[6:7], s[2:3]
; %bb.370:                              ;   in Loop: Header=BB349_252 Depth=1
	v_or_b32_e32 v33, 0x10000, v9
	v_cmp_eq_u32_sdwa s[2:3], v9, v19 src0_sel:WORD_0 src1_sel:DWORD
	v_cndmask_b32_e64 v33, v33, v9, s[2:3]
; %bb.371:                              ;   in Loop: Header=BB349_252 Depth=1
	s_or_b64 exec, exec, s[6:7]
	v_and_b32_e32 v9, 0xffff0000, v34
	v_lshlrev_b32_e32 v34, 16, v35
	v_mul_f32_e32 v35, v9, v34
	v_and_b32_e32 v34, 0x7f800000, v35
	v_cmp_ne_u32_e64 s[2:3], s36, v34
                                        ; implicit-def: $vgpr34
	s_and_saveexec_b64 s[6:7], s[2:3]
	s_xor_b64 s[2:3], exec, s[6:7]
; %bb.372:                              ;   in Loop: Header=BB349_252 Depth=1
	v_bfe_u32 v34, v35, 16, 1
	v_add3_u32 v34, v35, v34, s37
                                        ; implicit-def: $vgpr35
; %bb.373:                              ;   in Loop: Header=BB349_252 Depth=1
	s_andn2_saveexec_b64 s[6:7], s[2:3]
; %bb.374:                              ;   in Loop: Header=BB349_252 Depth=1
	v_or_b32_e32 v34, 0x10000, v35
	v_cmp_eq_u32_sdwa s[2:3], v35, v19 src0_sel:WORD_0 src1_sel:DWORD
	v_cndmask_b32_e64 v34, v34, v35, s[2:3]
; %bb.375:                              ;   in Loop: Header=BB349_252 Depth=1
	s_or_b64 exec, exec, s[6:7]
	v_and_b32_e32 v27, 0xffff0000, v27
	v_lshlrev_b32_e32 v35, 16, v36
	v_mul_f32_e32 v36, v27, v35
	v_and_b32_e32 v35, 0x7f800000, v36
	v_cmp_ne_u32_e64 s[2:3], s36, v35
                                        ; implicit-def: $vgpr35
	s_and_saveexec_b64 s[6:7], s[2:3]
	s_xor_b64 s[2:3], exec, s[6:7]
; %bb.376:                              ;   in Loop: Header=BB349_252 Depth=1
	v_bfe_u32 v35, v36, 16, 1
	v_add3_u32 v35, v36, v35, s37
                                        ; implicit-def: $vgpr36
; %bb.377:                              ;   in Loop: Header=BB349_252 Depth=1
	s_andn2_saveexec_b64 s[6:7], s[2:3]
; %bb.378:                              ;   in Loop: Header=BB349_252 Depth=1
	v_or_b32_e32 v35, 0x10000, v36
	v_cmp_eq_u32_sdwa s[2:3], v36, v19 src0_sel:WORD_0 src1_sel:DWORD
	v_cndmask_b32_e64 v35, v35, v36, s[2:3]
; %bb.379:                              ;   in Loop: Header=BB349_252 Depth=1
	s_or_b64 exec, exec, s[6:7]
	v_and_b32_e32 v28, 0xffff0000, v28
	v_lshlrev_b32_e32 v36, 16, v37
	v_mul_f32_e32 v37, v28, v36
	v_and_b32_e32 v36, 0x7f800000, v37
	v_cmp_ne_u32_e64 s[2:3], s36, v36
                                        ; implicit-def: $vgpr36
	s_and_saveexec_b64 s[6:7], s[2:3]
	s_xor_b64 s[2:3], exec, s[6:7]
; %bb.380:                              ;   in Loop: Header=BB349_252 Depth=1
	v_bfe_u32 v36, v37, 16, 1
	v_add3_u32 v36, v37, v36, s37
                                        ; implicit-def: $vgpr37
; %bb.381:                              ;   in Loop: Header=BB349_252 Depth=1
	s_andn2_saveexec_b64 s[6:7], s[2:3]
; %bb.382:                              ;   in Loop: Header=BB349_252 Depth=1
	v_or_b32_e32 v36, 0x10000, v37
	v_cmp_eq_u32_sdwa s[2:3], v37, v19 src0_sel:WORD_0 src1_sel:DWORD
	v_cndmask_b32_e64 v36, v36, v37, s[2:3]
; %bb.383:                              ;   in Loop: Header=BB349_252 Depth=1
	s_or_b64 exec, exec, s[6:7]
	v_and_b32_e32 v29, 0xffff0000, v29
	v_lshlrev_b32_e32 v37, 16, v38
	v_mul_f32_e32 v38, v29, v37
	v_and_b32_e32 v37, 0x7f800000, v38
	v_cmp_ne_u32_e64 s[2:3], s36, v37
                                        ; implicit-def: $vgpr37
	s_and_saveexec_b64 s[6:7], s[2:3]
	s_xor_b64 s[2:3], exec, s[6:7]
; %bb.384:                              ;   in Loop: Header=BB349_252 Depth=1
	v_bfe_u32 v37, v38, 16, 1
	v_add3_u32 v37, v38, v37, s37
                                        ; implicit-def: $vgpr38
; %bb.385:                              ;   in Loop: Header=BB349_252 Depth=1
	s_andn2_saveexec_b64 s[6:7], s[2:3]
; %bb.386:                              ;   in Loop: Header=BB349_252 Depth=1
	v_or_b32_e32 v37, 0x10000, v38
	v_cmp_eq_u32_sdwa s[2:3], v38, v19 src0_sel:WORD_0 src1_sel:DWORD
	v_cndmask_b32_e64 v37, v37, v38, s[2:3]
; %bb.387:                              ;   in Loop: Header=BB349_252 Depth=1
	s_or_b64 exec, exec, s[6:7]
	v_and_b32_e32 v30, 0xffff0000, v30
	v_lshlrev_b32_e32 v38, 16, v39
	v_mul_f32_e32 v39, v30, v38
	v_and_b32_e32 v38, 0x7f800000, v39
	v_cmp_ne_u32_e64 s[2:3], s36, v38
                                        ; implicit-def: $vgpr38
	s_and_saveexec_b64 s[6:7], s[2:3]
	s_xor_b64 s[2:3], exec, s[6:7]
; %bb.388:                              ;   in Loop: Header=BB349_252 Depth=1
	v_bfe_u32 v38, v39, 16, 1
	v_add3_u32 v38, v39, v38, s37
                                        ; implicit-def: $vgpr39
; %bb.389:                              ;   in Loop: Header=BB349_252 Depth=1
	s_andn2_saveexec_b64 s[6:7], s[2:3]
; %bb.390:                              ;   in Loop: Header=BB349_252 Depth=1
	v_or_b32_e32 v38, 0x10000, v39
	v_cmp_eq_u32_sdwa s[2:3], v39, v19 src0_sel:WORD_0 src1_sel:DWORD
	v_cndmask_b32_e64 v38, v38, v39, s[2:3]
; %bb.391:                              ;   in Loop: Header=BB349_252 Depth=1
	s_or_b64 exec, exec, s[6:7]
	v_and_b32_e32 v31, 0xffff0000, v31
	v_lshlrev_b32_e32 v18, 16, v18
	v_mul_f32_e32 v18, v31, v18
	v_and_b32_e32 v39, 0x7f800000, v18
	v_cmp_ne_u32_e64 s[2:3], s36, v39
                                        ; implicit-def: $vgpr39
	s_and_saveexec_b64 s[6:7], s[2:3]
	s_xor_b64 s[2:3], exec, s[6:7]
; %bb.392:                              ;   in Loop: Header=BB349_252 Depth=1
	v_bfe_u32 v39, v18, 16, 1
	v_add3_u32 v39, v18, v39, s37
                                        ; implicit-def: $vgpr18
; %bb.393:                              ;   in Loop: Header=BB349_252 Depth=1
	s_andn2_saveexec_b64 s[6:7], s[2:3]
; %bb.394:                              ;   in Loop: Header=BB349_252 Depth=1
	v_or_b32_e32 v39, 0x10000, v18
	v_cmp_eq_u32_sdwa s[2:3], v18, v19 src0_sel:WORD_0 src1_sel:DWORD
	v_cndmask_b32_e64 v39, v39, v18, s[2:3]
; %bb.395:                              ;   in Loop: Header=BB349_252 Depth=1
	s_or_b64 exec, exec, s[6:7]
	v_and_b32_e32 v32, 0xffff0000, v32
	v_lshlrev_b32_e32 v6, 16, v6
	v_mul_f32_e32 v6, v32, v6
	v_and_b32_e32 v18, 0x7f800000, v6
	v_cmp_ne_u32_e64 s[2:3], s36, v18
                                        ; implicit-def: $vgpr40
	s_and_saveexec_b64 s[6:7], s[2:3]
	s_xor_b64 s[2:3], exec, s[6:7]
; %bb.396:                              ;   in Loop: Header=BB349_252 Depth=1
	v_bfe_u32 v18, v6, 16, 1
	v_add3_u32 v40, v6, v18, s37
                                        ; implicit-def: $vgpr6
; %bb.397:                              ;   in Loop: Header=BB349_252 Depth=1
	s_andn2_saveexec_b64 s[6:7], s[2:3]
; %bb.398:                              ;   in Loop: Header=BB349_252 Depth=1
	v_or_b32_e32 v18, 0x10000, v6
	v_cmp_eq_u32_sdwa s[2:3], v6, v19 src0_sel:WORD_0 src1_sel:DWORD
	v_cndmask_b32_e64 v40, v18, v6, s[2:3]
; %bb.399:                              ;   in Loop: Header=BB349_252 Depth=1
	s_or_b64 exec, exec, s[6:7]
	global_load_dwordx2 v[4:5], v[4:5], off offset:512
	v_mov_b32_e32 v6, 0
	s_waitcnt vmcnt(0)
	v_cmp_ne_u16_sdwa s[2:3], v4, v19 src0_sel:BYTE_0 src1_sel:DWORD
	s_and_saveexec_b64 s[6:7], s[2:3]
	s_cbranch_execz .LBB349_405
; %bb.400:                              ;   in Loop: Header=BB349_252 Depth=1
	v_cmp_ne_u16_sdwa s[2:3], v4, s38 src0_sel:BYTE_0 src1_sel:DWORD
	v_bfrev_b32_e32 v6, 1
	s_and_saveexec_b64 s[22:23], s[2:3]
	s_cbranch_execz .LBB349_404
; %bb.401:                              ;   in Loop: Header=BB349_252 Depth=1
	v_and_b32_e32 v18, 0x7f, v4
	v_cmp_ne_u32_e64 s[2:3], s39, v18
	v_mov_b32_e32 v6, 0x7f800001
	s_and_saveexec_b64 s[24:25], s[2:3]
	s_cbranch_execz .LBB349_403
; %bb.402:                              ;   in Loop: Header=BB349_252 Depth=1
	v_and_b32_e32 v6, 7, v4
	v_ffbh_u32_e32 v6, v6
	v_min_u32_e32 v6, 32, v6
	v_subrev_u32_e32 v42, 28, v6
	v_cmp_gt_u32_e64 s[2:3], 8, v18
	v_lshrrev_b32_e32 v41, 3, v18
	v_cndmask_b32_e64 v18, 0, v42, s[2:3]
	v_sub_u32_e32 v6, 29, v6
	v_lshlrev_b64 v[42:43], v18, v[4:5]
	v_cndmask_b32_e64 v6, v41, v6, s[2:3]
	v_lshlrev_b32_e32 v18, 20, v42
	v_lshlrev_b32_e32 v41, 24, v4
	v_and_b32_e32 v18, 0x700000, v18
	v_and_b32_e32 v41, 0x80000000, v41
	v_lshl_add_u32 v6, v6, 23, v26
	v_or3_b32 v6, v41, v6, v18
.LBB349_403:                            ;   in Loop: Header=BB349_252 Depth=1
	s_or_b64 exec, exec, s[24:25]
.LBB349_404:                            ;   in Loop: Header=BB349_252 Depth=1
	s_or_b64 exec, exec, s[22:23]
.LBB349_405:                            ;   in Loop: Header=BB349_252 Depth=1
	s_or_b64 exec, exec, s[6:7]
	v_mul_f32_e32 v6, s41, v6
	v_and_b32_e32 v18, 0x7f800000, v6
	v_cmp_ne_u32_e64 s[2:3], s36, v18
                                        ; implicit-def: $vgpr41
	s_and_saveexec_b64 s[6:7], s[2:3]
	s_xor_b64 s[2:3], exec, s[6:7]
; %bb.406:                              ;   in Loop: Header=BB349_252 Depth=1
	v_bfe_u32 v18, v6, 16, 1
	v_add3_u32 v41, v6, v18, s37
                                        ; implicit-def: $vgpr6
; %bb.407:                              ;   in Loop: Header=BB349_252 Depth=1
	s_andn2_saveexec_b64 s[6:7], s[2:3]
; %bb.408:                              ;   in Loop: Header=BB349_252 Depth=1
	v_or_b32_e32 v18, 0x10000, v6
	v_cmp_eq_u32_sdwa s[2:3], v6, v19 src0_sel:WORD_0 src1_sel:DWORD
	v_cndmask_b32_e64 v41, v18, v6, s[2:3]
; %bb.409:                              ;   in Loop: Header=BB349_252 Depth=1
	s_or_b64 exec, exec, s[6:7]
	v_lshrrev_b16_e32 v6, 8, v4
	v_cmp_ne_u16_e64 s[2:3], 0, v6
	v_mov_b32_e32 v18, 0
	s_and_saveexec_b64 s[6:7], s[2:3]
	s_cbranch_execz .LBB349_415
; %bb.410:                              ;   in Loop: Header=BB349_252 Depth=1
	v_cmp_ne_u16_e64 s[2:3], s38, v6
	v_bfrev_b32_e32 v18, 1
	s_and_saveexec_b64 s[22:23], s[2:3]
	s_cbranch_execz .LBB349_414
; %bb.411:                              ;   in Loop: Header=BB349_252 Depth=1
	v_and_b32_e32 v42, 0x7f, v6
	v_cmp_ne_u32_e64 s[2:3], s39, v42
	v_mov_b32_e32 v18, 0x7f800001
	s_and_saveexec_b64 s[24:25], s[2:3]
	s_cbranch_execz .LBB349_413
; %bb.412:                              ;   in Loop: Header=BB349_252 Depth=1
	v_and_b32_e32 v18, 7, v6
	v_ffbh_u32_e32 v44, v18
	v_min_u32_e32 v46, 32, v44
	v_subrev_u32_e32 v44, 28, v46
	v_lshlrev_b64 v[44:45], v44, v[6:7]
	v_lshrrev_b32_e32 v43, 3, v42
	v_sub_u32_e32 v6, 29, v46
	v_and_b32_e32 v44, 7, v44
	v_cmp_gt_u32_e64 s[2:3], 8, v42
	v_cndmask_b32_e64 v6, v43, v6, s[2:3]
	v_cndmask_b32_e64 v18, v18, v44, s[2:3]
	v_lshlrev_b32_e32 v42, 16, v4
	v_lshlrev_b32_e32 v18, 20, v18
	v_and_b32_e32 v42, 0x80000000, v42
	v_lshl_add_u32 v6, v6, 23, v26
	v_or3_b32 v18, v42, v6, v18
.LBB349_413:                            ;   in Loop: Header=BB349_252 Depth=1
	s_or_b64 exec, exec, s[24:25]
.LBB349_414:                            ;   in Loop: Header=BB349_252 Depth=1
	s_or_b64 exec, exec, s[22:23]
.LBB349_415:                            ;   in Loop: Header=BB349_252 Depth=1
	s_or_b64 exec, exec, s[6:7]
	v_mul_f32_e32 v6, s41, v18
	v_and_b32_e32 v18, 0x7f800000, v6
	v_cmp_ne_u32_e64 s[2:3], s36, v18
                                        ; implicit-def: $vgpr42
	s_and_saveexec_b64 s[6:7], s[2:3]
	s_xor_b64 s[2:3], exec, s[6:7]
; %bb.416:                              ;   in Loop: Header=BB349_252 Depth=1
	v_bfe_u32 v18, v6, 16, 1
	v_add3_u32 v42, v6, v18, s37
                                        ; implicit-def: $vgpr6
; %bb.417:                              ;   in Loop: Header=BB349_252 Depth=1
	s_andn2_saveexec_b64 s[6:7], s[2:3]
; %bb.418:                              ;   in Loop: Header=BB349_252 Depth=1
	v_or_b32_e32 v18, 0x10000, v6
	v_cmp_eq_u32_sdwa s[2:3], v6, v19 src0_sel:WORD_0 src1_sel:DWORD
	v_cndmask_b32_e64 v42, v18, v6, s[2:3]
; %bb.419:                              ;   in Loop: Header=BB349_252 Depth=1
	s_or_b64 exec, exec, s[6:7]
	v_lshrrev_b32_e32 v6, 16, v4
	v_cmp_ne_u16_sdwa s[2:3], v6, v19 src0_sel:BYTE_0 src1_sel:DWORD
	v_mov_b32_e32 v18, 0
	s_and_saveexec_b64 s[6:7], s[2:3]
	s_cbranch_execz .LBB349_425
; %bb.420:                              ;   in Loop: Header=BB349_252 Depth=1
	v_cmp_ne_u16_sdwa s[2:3], v6, s38 src0_sel:BYTE_0 src1_sel:DWORD
	v_bfrev_b32_e32 v18, 1
	s_and_saveexec_b64 s[22:23], s[2:3]
	s_cbranch_execz .LBB349_424
; %bb.421:                              ;   in Loop: Header=BB349_252 Depth=1
	v_bfe_u32 v43, v4, 16, 7
	v_cmp_ne_u32_e64 s[2:3], s39, v43
	v_mov_b32_e32 v18, 0x7f800001
	s_and_saveexec_b64 s[24:25], s[2:3]
	s_cbranch_execz .LBB349_423
; %bb.422:                              ;   in Loop: Header=BB349_252 Depth=1
	v_and_b32_e32 v18, 7, v6
	v_ffbh_u32_e32 v44, v18
	v_min_u32_e32 v47, 32, v44
	v_subrev_u32_e32 v44, 28, v47
	v_lshlrev_b64 v[44:45], v44, v[6:7]
	v_lshrrev_b32_e32 v46, 3, v43
	v_sub_u32_e32 v45, 29, v47
	v_and_b32_e32 v44, 7, v44
	v_cmp_gt_u32_e64 s[2:3], 8, v43
	v_cndmask_b32_e64 v43, v46, v45, s[2:3]
	v_cndmask_b32_e64 v18, v18, v44, s[2:3]
	v_lshlrev_b32_e32 v6, 24, v6
	v_lshlrev_b32_e32 v18, 20, v18
	v_and_b32_e32 v6, 0x80000000, v6
	v_lshl_add_u32 v43, v43, 23, v26
	v_or3_b32 v18, v6, v43, v18
.LBB349_423:                            ;   in Loop: Header=BB349_252 Depth=1
	s_or_b64 exec, exec, s[24:25]
.LBB349_424:                            ;   in Loop: Header=BB349_252 Depth=1
	s_or_b64 exec, exec, s[22:23]
.LBB349_425:                            ;   in Loop: Header=BB349_252 Depth=1
	s_or_b64 exec, exec, s[6:7]
	v_mul_f32_e32 v6, s41, v18
	v_and_b32_e32 v18, 0x7f800000, v6
	v_cmp_ne_u32_e64 s[2:3], s36, v18
                                        ; implicit-def: $vgpr43
	s_and_saveexec_b64 s[6:7], s[2:3]
	s_xor_b64 s[2:3], exec, s[6:7]
; %bb.426:                              ;   in Loop: Header=BB349_252 Depth=1
	v_bfe_u32 v18, v6, 16, 1
	v_add3_u32 v43, v6, v18, s37
                                        ; implicit-def: $vgpr6
; %bb.427:                              ;   in Loop: Header=BB349_252 Depth=1
	s_andn2_saveexec_b64 s[6:7], s[2:3]
; %bb.428:                              ;   in Loop: Header=BB349_252 Depth=1
	v_or_b32_e32 v18, 0x10000, v6
	v_cmp_eq_u32_sdwa s[2:3], v6, v19 src0_sel:WORD_0 src1_sel:DWORD
	v_cndmask_b32_e64 v43, v18, v6, s[2:3]
; %bb.429:                              ;   in Loop: Header=BB349_252 Depth=1
	s_or_b64 exec, exec, s[6:7]
	v_cmp_lt_u32_e64 s[2:3], s19, v4
	v_mov_b32_e32 v18, 0
	s_and_saveexec_b64 s[6:7], s[2:3]
	s_cbranch_execz .LBB349_435
; %bb.430:                              ;   in Loop: Header=BB349_252 Depth=1
	v_lshrrev_b32_e32 v6, 24, v4
	v_cmp_ne_u32_e64 s[2:3], s38, v6
	v_bfrev_b32_e32 v18, 1
	s_and_saveexec_b64 s[22:23], s[2:3]
	s_cbranch_execz .LBB349_434
; %bb.431:                              ;   in Loop: Header=BB349_252 Depth=1
	v_bfe_u32 v44, v4, 24, 7
	v_cmp_ne_u32_e64 s[2:3], s39, v44
	v_mov_b32_e32 v18, 0x7f800001
	s_and_saveexec_b64 s[24:25], s[2:3]
	s_cbranch_execz .LBB349_433
; %bb.432:                              ;   in Loop: Header=BB349_252 Depth=1
	v_and_b32_e32 v18, 7, v6
	v_ffbh_u32_e32 v46, v18
	v_min_u32_e32 v48, 32, v46
	v_subrev_u32_e32 v46, 28, v48
	v_lshlrev_b64 v[46:47], v46, v[6:7]
	v_lshrrev_b32_e32 v45, 3, v44
	v_sub_u32_e32 v47, 29, v48
	v_and_b32_e32 v46, 7, v46
	v_cmp_gt_u32_e64 s[2:3], 8, v44
	v_cndmask_b32_e64 v44, v45, v47, s[2:3]
	v_cndmask_b32_e64 v18, v18, v46, s[2:3]
	v_lshlrev_b32_e32 v6, 24, v6
	v_lshlrev_b32_e32 v18, 20, v18
	v_and_b32_e32 v6, 0x80000000, v6
	v_lshl_add_u32 v44, v44, 23, v26
	v_or3_b32 v18, v6, v44, v18
.LBB349_433:                            ;   in Loop: Header=BB349_252 Depth=1
	s_or_b64 exec, exec, s[24:25]
.LBB349_434:                            ;   in Loop: Header=BB349_252 Depth=1
	s_or_b64 exec, exec, s[22:23]
.LBB349_435:                            ;   in Loop: Header=BB349_252 Depth=1
	s_or_b64 exec, exec, s[6:7]
	v_mul_f32_e32 v6, s41, v18
	v_and_b32_e32 v18, 0x7f800000, v6
	v_cmp_ne_u32_e64 s[2:3], s36, v18
                                        ; implicit-def: $vgpr44
	s_and_saveexec_b64 s[6:7], s[2:3]
	s_xor_b64 s[2:3], exec, s[6:7]
; %bb.436:                              ;   in Loop: Header=BB349_252 Depth=1
	v_bfe_u32 v18, v6, 16, 1
	v_add3_u32 v44, v6, v18, s37
                                        ; implicit-def: $vgpr6
; %bb.437:                              ;   in Loop: Header=BB349_252 Depth=1
	s_andn2_saveexec_b64 s[6:7], s[2:3]
; %bb.438:                              ;   in Loop: Header=BB349_252 Depth=1
	v_or_b32_e32 v18, 0x10000, v6
	v_cmp_eq_u32_sdwa s[2:3], v6, v19 src0_sel:WORD_0 src1_sel:DWORD
	v_cndmask_b32_e64 v44, v18, v6, s[2:3]
; %bb.439:                              ;   in Loop: Header=BB349_252 Depth=1
	s_or_b64 exec, exec, s[6:7]
	v_mov_b32_e32 v18, v5
	v_cmp_ne_u16_sdwa s[2:3], v5, v19 src0_sel:BYTE_0 src1_sel:DWORD
	v_mov_b32_e32 v6, 0
	s_and_saveexec_b64 s[6:7], s[2:3]
	s_cbranch_execz .LBB349_445
; %bb.440:                              ;   in Loop: Header=BB349_252 Depth=1
	v_cmp_ne_u16_sdwa s[2:3], v5, s38 src0_sel:BYTE_0 src1_sel:DWORD
	v_bfrev_b32_e32 v6, 1
	s_and_saveexec_b64 s[22:23], s[2:3]
	s_cbranch_execz .LBB349_444
; %bb.441:                              ;   in Loop: Header=BB349_252 Depth=1
	v_and_b32_e32 v45, 0x7f, v5
	v_cmp_ne_u32_e64 s[2:3], s39, v45
	v_mov_b32_e32 v6, 0x7f800001
	s_and_saveexec_b64 s[24:25], s[2:3]
	s_cbranch_execz .LBB349_443
; %bb.442:                              ;   in Loop: Header=BB349_252 Depth=1
	v_and_b32_e32 v6, 7, v5
	v_ffbh_u32_e32 v6, v6
	v_min_u32_e32 v6, 32, v6
	v_subrev_u32_e32 v47, 28, v6
	v_cmp_gt_u32_e64 s[2:3], 8, v45
	v_lshrrev_b32_e32 v46, 3, v45
	v_sub_u32_e32 v6, 29, v6
	v_cndmask_b32_e64 v45, 0, v47, s[2:3]
	v_cndmask_b32_e64 v6, v46, v6, s[2:3]
	v_lshlrev_b64 v[46:47], v45, v[18:19]
	v_lshlrev_b32_e32 v45, 20, v46
	v_lshlrev_b32_e32 v46, 24, v18
	v_and_b32_e32 v45, 0x700000, v45
	v_and_b32_e32 v46, 0x80000000, v46
	v_lshl_add_u32 v6, v6, 23, v26
	v_or3_b32 v6, v46, v6, v45
.LBB349_443:                            ;   in Loop: Header=BB349_252 Depth=1
	s_or_b64 exec, exec, s[24:25]
.LBB349_444:                            ;   in Loop: Header=BB349_252 Depth=1
	s_or_b64 exec, exec, s[22:23]
.LBB349_445:                            ;   in Loop: Header=BB349_252 Depth=1
	s_or_b64 exec, exec, s[6:7]
	v_mul_f32_e32 v6, s41, v6
	v_and_b32_e32 v45, 0x7f800000, v6
	v_cmp_ne_u32_e64 s[2:3], s36, v45
                                        ; implicit-def: $vgpr45
	s_and_saveexec_b64 s[6:7], s[2:3]
	s_xor_b64 s[2:3], exec, s[6:7]
; %bb.446:                              ;   in Loop: Header=BB349_252 Depth=1
	v_bfe_u32 v45, v6, 16, 1
	v_add3_u32 v45, v6, v45, s37
                                        ; implicit-def: $vgpr6
; %bb.447:                              ;   in Loop: Header=BB349_252 Depth=1
	s_andn2_saveexec_b64 s[6:7], s[2:3]
; %bb.448:                              ;   in Loop: Header=BB349_252 Depth=1
	v_or_b32_e32 v45, 0x10000, v6
	v_cmp_eq_u32_sdwa s[2:3], v6, v19 src0_sel:WORD_0 src1_sel:DWORD
	v_cndmask_b32_e64 v45, v45, v6, s[2:3]
; %bb.449:                              ;   in Loop: Header=BB349_252 Depth=1
	s_or_b64 exec, exec, s[6:7]
	v_lshrrev_b16_e32 v6, 8, v18
	v_cmp_ne_u16_e64 s[2:3], 0, v6
	v_mov_b32_e32 v46, 0
	s_and_saveexec_b64 s[6:7], s[2:3]
	s_cbranch_execz .LBB349_455
; %bb.450:                              ;   in Loop: Header=BB349_252 Depth=1
	v_cmp_ne_u16_e64 s[2:3], s38, v6
	v_bfrev_b32_e32 v46, 1
	s_and_saveexec_b64 s[22:23], s[2:3]
	s_cbranch_execz .LBB349_454
; %bb.451:                              ;   in Loop: Header=BB349_252 Depth=1
	v_and_b32_e32 v47, 0x7f, v6
	v_cmp_ne_u32_e64 s[2:3], s39, v47
	v_mov_b32_e32 v46, 0x7f800001
	s_and_saveexec_b64 s[24:25], s[2:3]
	s_cbranch_execz .LBB349_453
; %bb.452:                              ;   in Loop: Header=BB349_252 Depth=1
	v_and_b32_e32 v46, 7, v6
	v_ffbh_u32_e32 v48, v46
	v_min_u32_e32 v51, 32, v48
	v_subrev_u32_e32 v48, 28, v51
	v_lshlrev_b64 v[48:49], v48, v[6:7]
	v_lshrrev_b32_e32 v50, 3, v47
	v_sub_u32_e32 v6, 29, v51
	v_and_b32_e32 v48, 7, v48
	v_cmp_gt_u32_e64 s[2:3], 8, v47
	v_cndmask_b32_e64 v6, v50, v6, s[2:3]
	v_cndmask_b32_e64 v46, v46, v48, s[2:3]
	v_lshlrev_b32_e32 v18, 16, v18
	v_lshlrev_b32_e32 v46, 20, v46
	v_and_b32_e32 v18, 0x80000000, v18
	v_lshl_add_u32 v6, v6, 23, v26
	v_or3_b32 v46, v18, v6, v46
.LBB349_453:                            ;   in Loop: Header=BB349_252 Depth=1
	s_or_b64 exec, exec, s[24:25]
.LBB349_454:                            ;   in Loop: Header=BB349_252 Depth=1
	s_or_b64 exec, exec, s[22:23]
.LBB349_455:                            ;   in Loop: Header=BB349_252 Depth=1
	s_or_b64 exec, exec, s[6:7]
	v_mul_f32_e32 v6, s41, v46
	v_and_b32_e32 v18, 0x7f800000, v6
	v_cmp_ne_u32_e64 s[2:3], s36, v18
                                        ; implicit-def: $vgpr18
	s_and_saveexec_b64 s[6:7], s[2:3]
	s_xor_b64 s[2:3], exec, s[6:7]
; %bb.456:                              ;   in Loop: Header=BB349_252 Depth=1
	v_bfe_u32 v18, v6, 16, 1
	v_add3_u32 v18, v6, v18, s37
                                        ; implicit-def: $vgpr6
; %bb.457:                              ;   in Loop: Header=BB349_252 Depth=1
	s_andn2_saveexec_b64 s[6:7], s[2:3]
; %bb.458:                              ;   in Loop: Header=BB349_252 Depth=1
	v_or_b32_e32 v18, 0x10000, v6
	v_cmp_eq_u32_sdwa s[2:3], v6, v19 src0_sel:WORD_0 src1_sel:DWORD
	v_cndmask_b32_e64 v18, v18, v6, s[2:3]
; %bb.459:                              ;   in Loop: Header=BB349_252 Depth=1
	s_or_b64 exec, exec, s[6:7]
	v_lshrrev_b32_e32 v6, 16, v5
	v_cmp_ne_u16_sdwa s[2:3], v6, v19 src0_sel:BYTE_0 src1_sel:DWORD
	v_mov_b32_e32 v46, 0
	s_and_saveexec_b64 s[6:7], s[2:3]
	s_cbranch_execz .LBB349_465
; %bb.460:                              ;   in Loop: Header=BB349_252 Depth=1
	v_cmp_ne_u16_sdwa s[2:3], v6, s38 src0_sel:BYTE_0 src1_sel:DWORD
	v_bfrev_b32_e32 v46, 1
	s_and_saveexec_b64 s[22:23], s[2:3]
	s_cbranch_execz .LBB349_464
; %bb.461:                              ;   in Loop: Header=BB349_252 Depth=1
	v_bfe_u32 v47, v5, 16, 7
	v_cmp_ne_u32_e64 s[2:3], s39, v47
	v_mov_b32_e32 v46, 0x7f800001
	s_and_saveexec_b64 s[24:25], s[2:3]
	s_cbranch_execz .LBB349_463
; %bb.462:                              ;   in Loop: Header=BB349_252 Depth=1
	v_and_b32_e32 v46, 7, v6
	v_ffbh_u32_e32 v48, v46
	v_min_u32_e32 v51, 32, v48
	v_subrev_u32_e32 v48, 28, v51
	v_lshlrev_b64 v[48:49], v48, v[6:7]
	v_lshrrev_b32_e32 v50, 3, v47
	v_sub_u32_e32 v49, 29, v51
	v_and_b32_e32 v48, 7, v48
	v_cmp_gt_u32_e64 s[2:3], 8, v47
	v_cndmask_b32_e64 v47, v50, v49, s[2:3]
	v_cndmask_b32_e64 v46, v46, v48, s[2:3]
	v_lshlrev_b32_e32 v6, 24, v6
	v_lshlrev_b32_e32 v46, 20, v46
	v_and_b32_e32 v6, 0x80000000, v6
	v_lshl_add_u32 v47, v47, 23, v26
	v_or3_b32 v46, v6, v47, v46
.LBB349_463:                            ;   in Loop: Header=BB349_252 Depth=1
	s_or_b64 exec, exec, s[24:25]
.LBB349_464:                            ;   in Loop: Header=BB349_252 Depth=1
	s_or_b64 exec, exec, s[22:23]
.LBB349_465:                            ;   in Loop: Header=BB349_252 Depth=1
	s_or_b64 exec, exec, s[6:7]
	v_mul_f32_e32 v46, s41, v46
	v_and_b32_e32 v6, 0x7f800000, v46
	v_cmp_ne_u32_e64 s[2:3], s36, v6
                                        ; implicit-def: $vgpr6
	s_and_saveexec_b64 s[6:7], s[2:3]
	s_xor_b64 s[2:3], exec, s[6:7]
; %bb.466:                              ;   in Loop: Header=BB349_252 Depth=1
	v_bfe_u32 v6, v46, 16, 1
	v_add3_u32 v6, v46, v6, s37
                                        ; implicit-def: $vgpr46
; %bb.467:                              ;   in Loop: Header=BB349_252 Depth=1
	s_andn2_saveexec_b64 s[6:7], s[2:3]
; %bb.468:                              ;   in Loop: Header=BB349_252 Depth=1
	v_or_b32_e32 v6, 0x10000, v46
	v_cmp_eq_u32_sdwa s[2:3], v46, v19 src0_sel:WORD_0 src1_sel:DWORD
	v_cndmask_b32_e64 v6, v6, v46, s[2:3]
; %bb.469:                              ;   in Loop: Header=BB349_252 Depth=1
	s_or_b64 exec, exec, s[6:7]
	v_cmp_lt_u64_e64 s[2:3], s[18:19], v[4:5]
	v_mov_b32_e32 v46, 0
	s_and_saveexec_b64 s[6:7], s[2:3]
	s_cbranch_execz .LBB349_475
; %bb.470:                              ;   in Loop: Header=BB349_252 Depth=1
	v_lshrrev_b32_e32 v4, 24, v5
	v_cmp_ne_u32_e64 s[2:3], s38, v4
	v_bfrev_b32_e32 v46, 1
	s_and_saveexec_b64 s[22:23], s[2:3]
	s_cbranch_execz .LBB349_474
; %bb.471:                              ;   in Loop: Header=BB349_252 Depth=1
	v_bfe_u32 v5, v5, 24, 7
	v_cmp_ne_u32_e64 s[2:3], s39, v5
	v_mov_b32_e32 v46, 0x7f800001
	s_and_saveexec_b64 s[24:25], s[2:3]
	s_cbranch_execz .LBB349_473
; %bb.472:                              ;   in Loop: Header=BB349_252 Depth=1
	v_and_b32_e32 v48, 7, v4
	v_ffbh_u32_e32 v46, v48
	v_min_u32_e32 v50, 32, v46
	v_subrev_u32_e32 v46, 28, v50
	v_lshlrev_b64 v[46:47], v46, v[4:5]
	v_lshrrev_b32_e32 v49, 3, v5
	v_sub_u32_e32 v47, 29, v50
	v_and_b32_e32 v46, 7, v46
	v_cmp_gt_u32_e64 s[2:3], 8, v5
	v_cndmask_b32_e64 v5, v49, v47, s[2:3]
	v_cndmask_b32_e64 v46, v48, v46, s[2:3]
	v_lshlrev_b32_e32 v4, 24, v4
	v_lshlrev_b32_e32 v46, 20, v46
	v_and_b32_e32 v4, 0x80000000, v4
	v_lshl_add_u32 v5, v5, 23, v26
	v_or3_b32 v46, v4, v5, v46
.LBB349_473:                            ;   in Loop: Header=BB349_252 Depth=1
	s_or_b64 exec, exec, s[24:25]
.LBB349_474:                            ;   in Loop: Header=BB349_252 Depth=1
	s_or_b64 exec, exec, s[22:23]
.LBB349_475:                            ;   in Loop: Header=BB349_252 Depth=1
	s_or_b64 exec, exec, s[6:7]
	v_mul_f32_e32 v5, s41, v46
	v_and_b32_e32 v4, 0x7f800000, v5
	v_cmp_ne_u32_e64 s[2:3], s36, v4
                                        ; implicit-def: $vgpr4
	s_and_saveexec_b64 s[6:7], s[2:3]
	s_xor_b64 s[2:3], exec, s[6:7]
; %bb.476:                              ;   in Loop: Header=BB349_252 Depth=1
	v_bfe_u32 v4, v5, 16, 1
	v_add3_u32 v4, v5, v4, s37
                                        ; implicit-def: $vgpr5
; %bb.477:                              ;   in Loop: Header=BB349_252 Depth=1
	s_andn2_saveexec_b64 s[6:7], s[2:3]
; %bb.478:                              ;   in Loop: Header=BB349_252 Depth=1
	v_or_b32_e32 v4, 0x10000, v5
	v_cmp_eq_u32_sdwa s[2:3], v5, v19 src0_sel:WORD_0 src1_sel:DWORD
	v_cndmask_b32_e64 v4, v4, v5, s[2:3]
; %bb.479:                              ;   in Loop: Header=BB349_252 Depth=1
	s_or_b64 exec, exec, s[6:7]
	v_lshrrev_b32_e32 v46, 16, v18
	v_lshrrev_b32_e32 v45, 16, v45
	;; [unrolled: 1-line block ×8, first 2 shown]
	s_and_saveexec_b64 s[6:7], s[0:1]
	s_cbranch_execz .LBB349_481
; %bb.480:                              ;   in Loop: Header=BB349_252 Depth=1
	v_cmp_gt_i32_e64 s[2:3], s33, v7
	v_add_u32_e32 v41, 1, v7
	v_cndmask_b32_e64 v5, 0, v5, s[2:3]
	v_cmp_gt_i32_e64 s[2:3], s33, v41
	v_add_u32_e32 v41, 2, v7
	v_cndmask_b32_e64 v18, 0, v18, s[2:3]
	;; [unrolled: 3-line block ×7, first 2 shown]
	v_cmp_gt_i32_e64 s[2:3], s33, v41
	v_cndmask_b32_e64 v4, 0, v4, s[2:3]
.LBB349_481:                            ;   in Loop: Header=BB349_252 Depth=1
	s_or_b64 exec, exec, s[6:7]
	v_lshlrev_b32_e32 v5, 16, v5
	v_mul_f32_e32 v41, v8, v5
	v_and_b32_e32 v5, 0x7f800000, v41
	v_cmp_ne_u32_e64 s[2:3], s36, v5
                                        ; implicit-def: $vgpr5
	s_and_saveexec_b64 s[6:7], s[2:3]
	s_xor_b64 s[2:3], exec, s[6:7]
; %bb.482:                              ;   in Loop: Header=BB349_252 Depth=1
	v_bfe_u32 v5, v41, 16, 1
	v_add3_u32 v5, v41, v5, s37
                                        ; implicit-def: $vgpr41
; %bb.483:                              ;   in Loop: Header=BB349_252 Depth=1
	s_andn2_saveexec_b64 s[6:7], s[2:3]
; %bb.484:                              ;   in Loop: Header=BB349_252 Depth=1
	v_or_b32_e32 v5, 0x10000, v41
	v_cmp_eq_u32_sdwa s[2:3], v41, v19 src0_sel:WORD_0 src1_sel:DWORD
	v_cndmask_b32_e64 v5, v5, v41, s[2:3]
; %bb.485:                              ;   in Loop: Header=BB349_252 Depth=1
	s_or_b64 exec, exec, s[6:7]
	v_lshlrev_b32_e32 v18, 16, v18
	v_mul_f32_e32 v41, v9, v18
	v_and_b32_e32 v18, 0x7f800000, v41
	v_cmp_ne_u32_e64 s[2:3], s36, v18
                                        ; implicit-def: $vgpr18
	s_and_saveexec_b64 s[6:7], s[2:3]
	s_xor_b64 s[2:3], exec, s[6:7]
; %bb.486:                              ;   in Loop: Header=BB349_252 Depth=1
	v_bfe_u32 v18, v41, 16, 1
	v_add3_u32 v18, v41, v18, s37
                                        ; implicit-def: $vgpr41
; %bb.487:                              ;   in Loop: Header=BB349_252 Depth=1
	s_andn2_saveexec_b64 s[6:7], s[2:3]
; %bb.488:                              ;   in Loop: Header=BB349_252 Depth=1
	v_or_b32_e32 v18, 0x10000, v41
	v_cmp_eq_u32_sdwa s[2:3], v41, v19 src0_sel:WORD_0 src1_sel:DWORD
	v_cndmask_b32_e64 v18, v18, v41, s[2:3]
; %bb.489:                              ;   in Loop: Header=BB349_252 Depth=1
	s_or_b64 exec, exec, s[6:7]
	v_lshlrev_b32_e32 v41, 16, v43
	v_mul_f32_e32 v42, v27, v41
	v_and_b32_e32 v41, 0x7f800000, v42
	v_cmp_ne_u32_e64 s[2:3], s36, v41
                                        ; implicit-def: $vgpr41
	s_and_saveexec_b64 s[6:7], s[2:3]
	s_xor_b64 s[2:3], exec, s[6:7]
; %bb.490:                              ;   in Loop: Header=BB349_252 Depth=1
	v_bfe_u32 v41, v42, 16, 1
	v_add3_u32 v41, v42, v41, s37
                                        ; implicit-def: $vgpr42
; %bb.491:                              ;   in Loop: Header=BB349_252 Depth=1
	s_andn2_saveexec_b64 s[6:7], s[2:3]
; %bb.492:                              ;   in Loop: Header=BB349_252 Depth=1
	v_or_b32_e32 v41, 0x10000, v42
	v_cmp_eq_u32_sdwa s[2:3], v42, v19 src0_sel:WORD_0 src1_sel:DWORD
	v_cndmask_b32_e64 v41, v41, v42, s[2:3]
; %bb.493:                              ;   in Loop: Header=BB349_252 Depth=1
	s_or_b64 exec, exec, s[6:7]
	v_lshlrev_b32_e32 v42, 16, v44
	v_mul_f32_e32 v43, v28, v42
	v_and_b32_e32 v42, 0x7f800000, v43
	v_cmp_ne_u32_e64 s[2:3], s36, v42
                                        ; implicit-def: $vgpr42
	s_and_saveexec_b64 s[6:7], s[2:3]
	s_xor_b64 s[2:3], exec, s[6:7]
; %bb.494:                              ;   in Loop: Header=BB349_252 Depth=1
	v_bfe_u32 v42, v43, 16, 1
	v_add3_u32 v42, v43, v42, s37
                                        ; implicit-def: $vgpr43
; %bb.495:                              ;   in Loop: Header=BB349_252 Depth=1
	s_andn2_saveexec_b64 s[6:7], s[2:3]
; %bb.496:                              ;   in Loop: Header=BB349_252 Depth=1
	v_or_b32_e32 v42, 0x10000, v43
	v_cmp_eq_u32_sdwa s[2:3], v43, v19 src0_sel:WORD_0 src1_sel:DWORD
	v_cndmask_b32_e64 v42, v42, v43, s[2:3]
; %bb.497:                              ;   in Loop: Header=BB349_252 Depth=1
	s_or_b64 exec, exec, s[6:7]
	v_lshlrev_b32_e32 v43, 16, v45
	v_mul_f32_e32 v44, v29, v43
	v_and_b32_e32 v43, 0x7f800000, v44
	v_cmp_ne_u32_e64 s[2:3], s36, v43
                                        ; implicit-def: $vgpr43
	s_and_saveexec_b64 s[6:7], s[2:3]
	s_xor_b64 s[2:3], exec, s[6:7]
; %bb.498:                              ;   in Loop: Header=BB349_252 Depth=1
	v_bfe_u32 v43, v44, 16, 1
	v_add3_u32 v43, v44, v43, s37
                                        ; implicit-def: $vgpr44
; %bb.499:                              ;   in Loop: Header=BB349_252 Depth=1
	s_andn2_saveexec_b64 s[6:7], s[2:3]
; %bb.500:                              ;   in Loop: Header=BB349_252 Depth=1
	v_or_b32_e32 v43, 0x10000, v44
	v_cmp_eq_u32_sdwa s[2:3], v44, v19 src0_sel:WORD_0 src1_sel:DWORD
	v_cndmask_b32_e64 v43, v43, v44, s[2:3]
; %bb.501:                              ;   in Loop: Header=BB349_252 Depth=1
	s_or_b64 exec, exec, s[6:7]
	v_lshlrev_b32_e32 v44, 16, v46
	v_mul_f32_e32 v45, v30, v44
	v_and_b32_e32 v44, 0x7f800000, v45
	v_cmp_ne_u32_e64 s[2:3], s36, v44
                                        ; implicit-def: $vgpr44
	s_and_saveexec_b64 s[6:7], s[2:3]
	s_xor_b64 s[2:3], exec, s[6:7]
; %bb.502:                              ;   in Loop: Header=BB349_252 Depth=1
	v_bfe_u32 v44, v45, 16, 1
	v_add3_u32 v44, v45, v44, s37
                                        ; implicit-def: $vgpr45
; %bb.503:                              ;   in Loop: Header=BB349_252 Depth=1
	s_andn2_saveexec_b64 s[6:7], s[2:3]
; %bb.504:                              ;   in Loop: Header=BB349_252 Depth=1
	v_or_b32_e32 v44, 0x10000, v45
	v_cmp_eq_u32_sdwa s[2:3], v45, v19 src0_sel:WORD_0 src1_sel:DWORD
	v_cndmask_b32_e64 v44, v44, v45, s[2:3]
; %bb.505:                              ;   in Loop: Header=BB349_252 Depth=1
	s_or_b64 exec, exec, s[6:7]
	v_lshlrev_b32_e32 v6, 16, v6
	v_mul_f32_e32 v45, v31, v6
	v_and_b32_e32 v6, 0x7f800000, v45
	v_cmp_ne_u32_e64 s[2:3], s36, v6
                                        ; implicit-def: $vgpr6
	s_and_saveexec_b64 s[6:7], s[2:3]
	s_xor_b64 s[2:3], exec, s[6:7]
; %bb.506:                              ;   in Loop: Header=BB349_252 Depth=1
	v_bfe_u32 v6, v45, 16, 1
	v_add3_u32 v6, v45, v6, s37
                                        ; implicit-def: $vgpr45
; %bb.507:                              ;   in Loop: Header=BB349_252 Depth=1
	s_andn2_saveexec_b64 s[6:7], s[2:3]
; %bb.508:                              ;   in Loop: Header=BB349_252 Depth=1
	v_or_b32_e32 v6, 0x10000, v45
	v_cmp_eq_u32_sdwa s[2:3], v45, v19 src0_sel:WORD_0 src1_sel:DWORD
	v_cndmask_b32_e64 v6, v6, v45, s[2:3]
; %bb.509:                              ;   in Loop: Header=BB349_252 Depth=1
	s_or_b64 exec, exec, s[6:7]
	v_lshlrev_b32_e32 v4, 16, v4
	v_mul_f32_e32 v45, v32, v4
	v_and_b32_e32 v4, 0x7f800000, v45
	v_cmp_ne_u32_e64 s[2:3], s36, v4
                                        ; implicit-def: $vgpr4
	s_and_saveexec_b64 s[6:7], s[2:3]
	s_xor_b64 s[2:3], exec, s[6:7]
; %bb.510:                              ;   in Loop: Header=BB349_252 Depth=1
	v_bfe_u32 v4, v45, 16, 1
	v_add3_u32 v4, v45, v4, s37
                                        ; implicit-def: $vgpr45
; %bb.511:                              ;   in Loop: Header=BB349_252 Depth=1
	s_andn2_saveexec_b64 s[6:7], s[2:3]
; %bb.512:                              ;   in Loop: Header=BB349_252 Depth=1
	v_or_b32_e32 v4, 0x10000, v45
	v_cmp_eq_u32_sdwa s[2:3], v45, v19 src0_sel:WORD_0 src1_sel:DWORD
	v_cndmask_b32_e64 v4, v4, v45, s[2:3]
; %bb.513:                              ;   in Loop: Header=BB349_252 Depth=1
	s_or_b64 exec, exec, s[6:7]
	v_and_b32_e32 v46, 0xffff0000, v38
	v_and_b32_e32 v38, 0xffff0000, v37
	;; [unrolled: 1-line block ×8, first 2 shown]
	v_pk_add_f32 v[34:35], v[34:35], v[36:37]
	v_pk_add_f32 v[36:37], v[38:39], v[46:47]
	v_add_f32_e32 v33, v34, v35
	v_add_f32_e32 v33, v33, v36
	v_and_b32_e32 v39, 0xffff0000, v42
	v_and_b32_e32 v38, 0xffff0000, v18
	;; [unrolled: 1-line block ×4, first 2 shown]
	v_add_f32_e32 v33, v33, v37
	v_and_b32_e32 v35, 0xffff0000, v4
	v_and_b32_e32 v34, 0xffff0000, v44
	;; [unrolled: 1-line block ×4, first 2 shown]
	v_pk_add_f32 v[4:5], v[40:41], v[38:39]
	v_pk_add_f32 v[34:35], v[36:37], v[34:35]
	v_add_f32_e32 v4, v4, v5
	v_add_f32_e32 v4, v4, v34
	;; [unrolled: 1-line block ×5, first 2 shown]
	s_and_saveexec_b64 s[6:7], vcc
	s_cbranch_execz .LBB349_250
; %bb.514:                              ;   in Loop: Header=BB349_252 Depth=1
	v_add_co_u32_e64 v2, s[2:3], v2, v20
	v_addc_co_u32_e64 v3, s[2:3], 0, v3, s[2:3]
	global_load_dwordx2 v[2:3], v[2:3], off
	v_mov_b32_e32 v4, 0
	s_waitcnt vmcnt(0)
	v_cmp_ne_u16_sdwa s[2:3], v2, v19 src0_sel:BYTE_0 src1_sel:DWORD
	s_and_saveexec_b64 s[22:23], s[2:3]
	s_cbranch_execz .LBB349_520
; %bb.515:                              ;   in Loop: Header=BB349_252 Depth=1
	v_cmp_ne_u16_sdwa s[2:3], v2, s38 src0_sel:BYTE_0 src1_sel:DWORD
	v_bfrev_b32_e32 v4, 1
	s_and_saveexec_b64 s[24:25], s[2:3]
	s_cbranch_execz .LBB349_519
; %bb.516:                              ;   in Loop: Header=BB349_252 Depth=1
	v_and_b32_e32 v5, 0x7f, v2
	v_cmp_ne_u32_e64 s[2:3], s39, v5
	v_mov_b32_e32 v4, 0x7f800001
	s_and_saveexec_b64 s[26:27], s[2:3]
	s_cbranch_execz .LBB349_518
; %bb.517:                              ;   in Loop: Header=BB349_252 Depth=1
	v_and_b32_e32 v4, 7, v2
	v_ffbh_u32_e32 v4, v4
	v_min_u32_e32 v4, 32, v4
	v_lshrrev_b32_e32 v6, 3, v5
	v_subrev_u32_e32 v18, 28, v4
	v_sub_u32_e32 v4, 29, v4
	v_cmp_gt_u32_e64 s[2:3], 8, v5
	v_cndmask_b32_e64 v6, v6, v4, s[2:3]
	v_cndmask_b32_e64 v4, 0, v18, s[2:3]
	v_lshlrev_b64 v[4:5], v4, v[2:3]
	v_lshlrev_b32_e32 v4, 20, v4
	v_lshlrev_b32_e32 v5, 24, v2
	v_and_b32_e32 v4, 0x700000, v4
	v_and_b32_e32 v5, 0x80000000, v5
	v_lshl_add_u32 v6, v6, 23, v26
	v_or3_b32 v4, v5, v6, v4
.LBB349_518:                            ;   in Loop: Header=BB349_252 Depth=1
	s_or_b64 exec, exec, s[26:27]
.LBB349_519:                            ;   in Loop: Header=BB349_252 Depth=1
	s_or_b64 exec, exec, s[24:25]
.LBB349_520:                            ;   in Loop: Header=BB349_252 Depth=1
	s_or_b64 exec, exec, s[22:23]
	v_mul_f32_e32 v4, s41, v4
	v_and_b32_e32 v5, 0x7f800000, v4
	v_cmp_ne_u32_e64 s[2:3], s36, v5
                                        ; implicit-def: $vgpr5
	s_and_saveexec_b64 s[22:23], s[2:3]
	s_xor_b64 s[2:3], exec, s[22:23]
; %bb.521:                              ;   in Loop: Header=BB349_252 Depth=1
	v_bfe_u32 v5, v4, 16, 1
	v_add3_u32 v5, v4, v5, s37
                                        ; implicit-def: $vgpr4
; %bb.522:                              ;   in Loop: Header=BB349_252 Depth=1
	s_andn2_saveexec_b64 s[22:23], s[2:3]
; %bb.523:                              ;   in Loop: Header=BB349_252 Depth=1
	v_or_b32_e32 v5, 0x10000, v4
	v_cmp_eq_u32_sdwa s[2:3], v4, v19 src0_sel:WORD_0 src1_sel:DWORD
	v_cndmask_b32_e64 v5, v5, v4, s[2:3]
; %bb.524:                              ;   in Loop: Header=BB349_252 Depth=1
	s_or_b64 exec, exec, s[22:23]
	v_lshrrev_b16_e32 v4, 8, v2
	v_cmp_ne_u16_e64 s[2:3], 0, v4
	v_mov_b32_e32 v6, 0
	s_and_saveexec_b64 s[22:23], s[2:3]
	s_cbranch_execz .LBB349_530
; %bb.525:                              ;   in Loop: Header=BB349_252 Depth=1
	v_cmp_ne_u16_e64 s[2:3], s38, v4
	v_bfrev_b32_e32 v6, 1
	s_and_saveexec_b64 s[24:25], s[2:3]
	s_cbranch_execz .LBB349_529
; %bb.526:                              ;   in Loop: Header=BB349_252 Depth=1
	v_and_b32_e32 v18, 0x7f, v4
	v_cmp_ne_u32_e64 s[2:3], s39, v18
	v_mov_b32_e32 v6, 0x7f800001
	s_and_saveexec_b64 s[26:27], s[2:3]
	s_cbranch_execz .LBB349_528
; %bb.527:                              ;   in Loop: Header=BB349_252 Depth=1
	v_and_b32_e32 v6, 7, v4
	v_ffbh_u32_e32 v34, v6
	v_min_u32_e32 v36, 32, v34
	v_subrev_u32_e32 v34, 28, v36
	v_lshlrev_b64 v[34:35], v34, v[4:5]
	v_lshrrev_b32_e32 v33, 3, v18
	v_sub_u32_e32 v4, 29, v36
	v_and_b32_e32 v34, 7, v34
	v_cmp_gt_u32_e64 s[2:3], 8, v18
	v_cndmask_b32_e64 v4, v33, v4, s[2:3]
	v_cndmask_b32_e64 v6, v6, v34, s[2:3]
	v_lshlrev_b32_e32 v18, 16, v2
	v_lshlrev_b32_e32 v6, 20, v6
	v_and_b32_e32 v18, 0x80000000, v18
	v_lshl_add_u32 v4, v4, 23, v26
	v_or3_b32 v6, v18, v4, v6
.LBB349_528:                            ;   in Loop: Header=BB349_252 Depth=1
	s_or_b64 exec, exec, s[26:27]
.LBB349_529:                            ;   in Loop: Header=BB349_252 Depth=1
	s_or_b64 exec, exec, s[24:25]
.LBB349_530:                            ;   in Loop: Header=BB349_252 Depth=1
	s_or_b64 exec, exec, s[22:23]
	v_mul_f32_e32 v4, s41, v6
	v_and_b32_e32 v6, 0x7f800000, v4
	v_cmp_ne_u32_e64 s[2:3], s36, v6
                                        ; implicit-def: $vgpr6
	s_and_saveexec_b64 s[22:23], s[2:3]
	s_xor_b64 s[2:3], exec, s[22:23]
; %bb.531:                              ;   in Loop: Header=BB349_252 Depth=1
	v_bfe_u32 v6, v4, 16, 1
	v_add3_u32 v6, v4, v6, s37
                                        ; implicit-def: $vgpr4
; %bb.532:                              ;   in Loop: Header=BB349_252 Depth=1
	s_andn2_saveexec_b64 s[22:23], s[2:3]
; %bb.533:                              ;   in Loop: Header=BB349_252 Depth=1
	v_or_b32_e32 v6, 0x10000, v4
	v_cmp_eq_u32_sdwa s[2:3], v4, v19 src0_sel:WORD_0 src1_sel:DWORD
	v_cndmask_b32_e64 v6, v6, v4, s[2:3]
; %bb.534:                              ;   in Loop: Header=BB349_252 Depth=1
	s_or_b64 exec, exec, s[22:23]
	v_lshrrev_b32_e32 v4, 16, v2
	v_cmp_ne_u16_sdwa s[2:3], v4, v19 src0_sel:BYTE_0 src1_sel:DWORD
	v_mov_b32_e32 v18, 0
	s_and_saveexec_b64 s[22:23], s[2:3]
	s_cbranch_execz .LBB349_540
; %bb.535:                              ;   in Loop: Header=BB349_252 Depth=1
	v_cmp_ne_u16_sdwa s[2:3], v4, s38 src0_sel:BYTE_0 src1_sel:DWORD
	v_bfrev_b32_e32 v18, 1
	s_and_saveexec_b64 s[24:25], s[2:3]
	s_cbranch_execz .LBB349_539
; %bb.536:                              ;   in Loop: Header=BB349_252 Depth=1
	v_bfe_u32 v33, v2, 16, 7
	v_cmp_ne_u32_e64 s[2:3], s39, v33
	v_mov_b32_e32 v18, 0x7f800001
	s_and_saveexec_b64 s[26:27], s[2:3]
	s_cbranch_execz .LBB349_538
; %bb.537:                              ;   in Loop: Header=BB349_252 Depth=1
	v_and_b32_e32 v18, 7, v4
	v_ffbh_u32_e32 v34, v18
	v_min_u32_e32 v37, 32, v34
	v_subrev_u32_e32 v34, 28, v37
	v_lshlrev_b64 v[34:35], v34, v[4:5]
	v_lshrrev_b32_e32 v36, 3, v33
	v_sub_u32_e32 v35, 29, v37
	v_and_b32_e32 v34, 7, v34
	v_cmp_gt_u32_e64 s[2:3], 8, v33
	v_cndmask_b32_e64 v33, v36, v35, s[2:3]
	v_cndmask_b32_e64 v18, v18, v34, s[2:3]
	v_lshlrev_b32_e32 v4, 24, v4
	v_lshlrev_b32_e32 v18, 20, v18
	v_and_b32_e32 v4, 0x80000000, v4
	v_lshl_add_u32 v33, v33, 23, v26
	v_or3_b32 v18, v4, v33, v18
.LBB349_538:                            ;   in Loop: Header=BB349_252 Depth=1
	s_or_b64 exec, exec, s[26:27]
.LBB349_539:                            ;   in Loop: Header=BB349_252 Depth=1
	s_or_b64 exec, exec, s[24:25]
.LBB349_540:                            ;   in Loop: Header=BB349_252 Depth=1
	s_or_b64 exec, exec, s[22:23]
	v_mul_f32_e32 v4, s41, v18
	v_and_b32_e32 v18, 0x7f800000, v4
	v_cmp_ne_u32_e64 s[2:3], s36, v18
                                        ; implicit-def: $vgpr33
	s_and_saveexec_b64 s[22:23], s[2:3]
	s_xor_b64 s[2:3], exec, s[22:23]
; %bb.541:                              ;   in Loop: Header=BB349_252 Depth=1
	v_bfe_u32 v18, v4, 16, 1
	v_add3_u32 v33, v4, v18, s37
                                        ; implicit-def: $vgpr4
; %bb.542:                              ;   in Loop: Header=BB349_252 Depth=1
	s_andn2_saveexec_b64 s[22:23], s[2:3]
; %bb.543:                              ;   in Loop: Header=BB349_252 Depth=1
	v_or_b32_e32 v18, 0x10000, v4
	v_cmp_eq_u32_sdwa s[2:3], v4, v19 src0_sel:WORD_0 src1_sel:DWORD
	v_cndmask_b32_e64 v33, v18, v4, s[2:3]
; %bb.544:                              ;   in Loop: Header=BB349_252 Depth=1
	s_or_b64 exec, exec, s[22:23]
	v_cmp_lt_u32_e64 s[2:3], s19, v2
	v_mov_b32_e32 v18, 0
	s_and_saveexec_b64 s[22:23], s[2:3]
	s_cbranch_execz .LBB349_550
; %bb.545:                              ;   in Loop: Header=BB349_252 Depth=1
	v_lshrrev_b32_e32 v4, 24, v2
	v_cmp_ne_u32_e64 s[2:3], s38, v4
	v_bfrev_b32_e32 v18, 1
	s_and_saveexec_b64 s[24:25], s[2:3]
	s_cbranch_execz .LBB349_549
; %bb.546:                              ;   in Loop: Header=BB349_252 Depth=1
	v_bfe_u32 v34, v2, 24, 7
	v_cmp_ne_u32_e64 s[2:3], s39, v34
	v_mov_b32_e32 v18, 0x7f800001
	s_and_saveexec_b64 s[26:27], s[2:3]
	s_cbranch_execz .LBB349_548
; %bb.547:                              ;   in Loop: Header=BB349_252 Depth=1
	v_and_b32_e32 v18, 7, v4
	v_ffbh_u32_e32 v36, v18
	v_min_u32_e32 v38, 32, v36
	v_subrev_u32_e32 v36, 28, v38
	v_lshlrev_b64 v[36:37], v36, v[4:5]
	v_lshrrev_b32_e32 v35, 3, v34
	v_sub_u32_e32 v37, 29, v38
	v_and_b32_e32 v36, 7, v36
	v_cmp_gt_u32_e64 s[2:3], 8, v34
	v_cndmask_b32_e64 v34, v35, v37, s[2:3]
	v_cndmask_b32_e64 v18, v18, v36, s[2:3]
	v_lshlrev_b32_e32 v4, 24, v4
	v_lshlrev_b32_e32 v18, 20, v18
	v_and_b32_e32 v4, 0x80000000, v4
	v_lshl_add_u32 v34, v34, 23, v26
	v_or3_b32 v18, v4, v34, v18
.LBB349_548:                            ;   in Loop: Header=BB349_252 Depth=1
	s_or_b64 exec, exec, s[26:27]
.LBB349_549:                            ;   in Loop: Header=BB349_252 Depth=1
	s_or_b64 exec, exec, s[24:25]
.LBB349_550:                            ;   in Loop: Header=BB349_252 Depth=1
	s_or_b64 exec, exec, s[22:23]
	v_mul_f32_e32 v4, s41, v18
	v_and_b32_e32 v18, 0x7f800000, v4
	v_cmp_ne_u32_e64 s[2:3], s36, v18
                                        ; implicit-def: $vgpr34
	s_and_saveexec_b64 s[22:23], s[2:3]
	s_xor_b64 s[2:3], exec, s[22:23]
; %bb.551:                              ;   in Loop: Header=BB349_252 Depth=1
	v_bfe_u32 v18, v4, 16, 1
	v_add3_u32 v34, v4, v18, s37
                                        ; implicit-def: $vgpr4
; %bb.552:                              ;   in Loop: Header=BB349_252 Depth=1
	s_andn2_saveexec_b64 s[22:23], s[2:3]
; %bb.553:                              ;   in Loop: Header=BB349_252 Depth=1
	v_or_b32_e32 v18, 0x10000, v4
	v_cmp_eq_u32_sdwa s[2:3], v4, v19 src0_sel:WORD_0 src1_sel:DWORD
	v_cndmask_b32_e64 v34, v18, v4, s[2:3]
; %bb.554:                              ;   in Loop: Header=BB349_252 Depth=1
	s_or_b64 exec, exec, s[22:23]
	v_mov_b32_e32 v18, v3
	v_cmp_ne_u16_sdwa s[2:3], v3, v19 src0_sel:BYTE_0 src1_sel:DWORD
	v_mov_b32_e32 v4, 0
	s_and_saveexec_b64 s[22:23], s[2:3]
	s_cbranch_execz .LBB349_560
; %bb.555:                              ;   in Loop: Header=BB349_252 Depth=1
	v_cmp_ne_u16_sdwa s[2:3], v3, s38 src0_sel:BYTE_0 src1_sel:DWORD
	v_bfrev_b32_e32 v4, 1
	s_and_saveexec_b64 s[24:25], s[2:3]
	s_cbranch_execz .LBB349_559
; %bb.556:                              ;   in Loop: Header=BB349_252 Depth=1
	v_and_b32_e32 v35, 0x7f, v3
	v_cmp_ne_u32_e64 s[2:3], s39, v35
	v_mov_b32_e32 v4, 0x7f800001
	s_and_saveexec_b64 s[26:27], s[2:3]
	s_cbranch_execz .LBB349_558
; %bb.557:                              ;   in Loop: Header=BB349_252 Depth=1
	v_and_b32_e32 v4, 7, v3
	v_ffbh_u32_e32 v4, v4
	v_min_u32_e32 v4, 32, v4
	v_subrev_u32_e32 v37, 28, v4
	v_cmp_gt_u32_e64 s[2:3], 8, v35
	v_lshrrev_b32_e32 v36, 3, v35
	v_sub_u32_e32 v4, 29, v4
	v_cndmask_b32_e64 v35, 0, v37, s[2:3]
	v_cndmask_b32_e64 v4, v36, v4, s[2:3]
	v_lshlrev_b64 v[36:37], v35, v[18:19]
	v_lshlrev_b32_e32 v35, 20, v36
	v_lshlrev_b32_e32 v36, 24, v18
	v_and_b32_e32 v35, 0x700000, v35
	v_and_b32_e32 v36, 0x80000000, v36
	v_lshl_add_u32 v4, v4, 23, v26
	v_or3_b32 v4, v36, v4, v35
.LBB349_558:                            ;   in Loop: Header=BB349_252 Depth=1
	s_or_b64 exec, exec, s[26:27]
.LBB349_559:                            ;   in Loop: Header=BB349_252 Depth=1
	s_or_b64 exec, exec, s[24:25]
.LBB349_560:                            ;   in Loop: Header=BB349_252 Depth=1
	s_or_b64 exec, exec, s[22:23]
	v_mul_f32_e32 v4, s41, v4
	v_and_b32_e32 v35, 0x7f800000, v4
	v_cmp_ne_u32_e64 s[2:3], s36, v35
                                        ; implicit-def: $vgpr35
	s_and_saveexec_b64 s[22:23], s[2:3]
	s_xor_b64 s[2:3], exec, s[22:23]
; %bb.561:                              ;   in Loop: Header=BB349_252 Depth=1
	v_bfe_u32 v35, v4, 16, 1
	v_add3_u32 v35, v4, v35, s37
                                        ; implicit-def: $vgpr4
; %bb.562:                              ;   in Loop: Header=BB349_252 Depth=1
	s_andn2_saveexec_b64 s[22:23], s[2:3]
; %bb.563:                              ;   in Loop: Header=BB349_252 Depth=1
	v_or_b32_e32 v35, 0x10000, v4
	v_cmp_eq_u32_sdwa s[2:3], v4, v19 src0_sel:WORD_0 src1_sel:DWORD
	v_cndmask_b32_e64 v35, v35, v4, s[2:3]
; %bb.564:                              ;   in Loop: Header=BB349_252 Depth=1
	s_or_b64 exec, exec, s[22:23]
	v_lshrrev_b16_e32 v4, 8, v18
	v_cmp_ne_u16_e64 s[2:3], 0, v4
	v_mov_b32_e32 v36, 0
	s_and_saveexec_b64 s[22:23], s[2:3]
	s_cbranch_execz .LBB349_570
; %bb.565:                              ;   in Loop: Header=BB349_252 Depth=1
	v_cmp_ne_u16_e64 s[2:3], s38, v4
	v_bfrev_b32_e32 v36, 1
	s_and_saveexec_b64 s[24:25], s[2:3]
	s_cbranch_execz .LBB349_569
; %bb.566:                              ;   in Loop: Header=BB349_252 Depth=1
	v_and_b32_e32 v37, 0x7f, v4
	v_cmp_ne_u32_e64 s[2:3], s39, v37
	v_mov_b32_e32 v36, 0x7f800001
	s_and_saveexec_b64 s[26:27], s[2:3]
	s_cbranch_execz .LBB349_568
; %bb.567:                              ;   in Loop: Header=BB349_252 Depth=1
	v_and_b32_e32 v36, 7, v4
	v_ffbh_u32_e32 v38, v36
	v_min_u32_e32 v41, 32, v38
	v_subrev_u32_e32 v38, 28, v41
	v_lshlrev_b64 v[38:39], v38, v[4:5]
	v_lshrrev_b32_e32 v40, 3, v37
	v_sub_u32_e32 v4, 29, v41
	v_and_b32_e32 v38, 7, v38
	v_cmp_gt_u32_e64 s[2:3], 8, v37
	v_cndmask_b32_e64 v4, v40, v4, s[2:3]
	v_cndmask_b32_e64 v36, v36, v38, s[2:3]
	v_lshlrev_b32_e32 v18, 16, v18
	v_lshlrev_b32_e32 v36, 20, v36
	v_and_b32_e32 v18, 0x80000000, v18
	v_lshl_add_u32 v4, v4, 23, v26
	v_or3_b32 v36, v18, v4, v36
.LBB349_568:                            ;   in Loop: Header=BB349_252 Depth=1
	s_or_b64 exec, exec, s[26:27]
.LBB349_569:                            ;   in Loop: Header=BB349_252 Depth=1
	s_or_b64 exec, exec, s[24:25]
.LBB349_570:                            ;   in Loop: Header=BB349_252 Depth=1
	s_or_b64 exec, exec, s[22:23]
	v_mul_f32_e32 v4, s41, v36
	v_and_b32_e32 v18, 0x7f800000, v4
	v_cmp_ne_u32_e64 s[2:3], s36, v18
                                        ; implicit-def: $vgpr18
	s_and_saveexec_b64 s[22:23], s[2:3]
	s_xor_b64 s[2:3], exec, s[22:23]
; %bb.571:                              ;   in Loop: Header=BB349_252 Depth=1
	v_bfe_u32 v18, v4, 16, 1
	v_add3_u32 v18, v4, v18, s37
                                        ; implicit-def: $vgpr4
; %bb.572:                              ;   in Loop: Header=BB349_252 Depth=1
	s_andn2_saveexec_b64 s[22:23], s[2:3]
; %bb.573:                              ;   in Loop: Header=BB349_252 Depth=1
	v_or_b32_e32 v18, 0x10000, v4
	v_cmp_eq_u32_sdwa s[2:3], v4, v19 src0_sel:WORD_0 src1_sel:DWORD
	v_cndmask_b32_e64 v18, v18, v4, s[2:3]
; %bb.574:                              ;   in Loop: Header=BB349_252 Depth=1
	s_or_b64 exec, exec, s[22:23]
	v_lshrrev_b32_e32 v4, 16, v3
	v_cmp_ne_u16_sdwa s[2:3], v4, v19 src0_sel:BYTE_0 src1_sel:DWORD
	v_mov_b32_e32 v36, 0
	s_and_saveexec_b64 s[22:23], s[2:3]
	s_cbranch_execz .LBB349_580
; %bb.575:                              ;   in Loop: Header=BB349_252 Depth=1
	v_cmp_ne_u16_sdwa s[2:3], v4, s38 src0_sel:BYTE_0 src1_sel:DWORD
	v_bfrev_b32_e32 v36, 1
	s_and_saveexec_b64 s[24:25], s[2:3]
	s_cbranch_execz .LBB349_579
; %bb.576:                              ;   in Loop: Header=BB349_252 Depth=1
	v_bfe_u32 v37, v3, 16, 7
	v_cmp_ne_u32_e64 s[2:3], s39, v37
	v_mov_b32_e32 v36, 0x7f800001
	s_and_saveexec_b64 s[26:27], s[2:3]
	s_cbranch_execz .LBB349_578
; %bb.577:                              ;   in Loop: Header=BB349_252 Depth=1
	v_and_b32_e32 v36, 7, v4
	v_ffbh_u32_e32 v38, v36
	v_min_u32_e32 v41, 32, v38
	v_subrev_u32_e32 v38, 28, v41
	v_lshlrev_b64 v[38:39], v38, v[4:5]
	v_lshrrev_b32_e32 v40, 3, v37
	v_sub_u32_e32 v39, 29, v41
	v_and_b32_e32 v38, 7, v38
	v_cmp_gt_u32_e64 s[2:3], 8, v37
	v_cndmask_b32_e64 v37, v40, v39, s[2:3]
	v_cndmask_b32_e64 v36, v36, v38, s[2:3]
	v_lshlrev_b32_e32 v4, 24, v4
	v_lshlrev_b32_e32 v36, 20, v36
	v_and_b32_e32 v4, 0x80000000, v4
	v_lshl_add_u32 v37, v37, 23, v26
	v_or3_b32 v36, v4, v37, v36
.LBB349_578:                            ;   in Loop: Header=BB349_252 Depth=1
	s_or_b64 exec, exec, s[26:27]
.LBB349_579:                            ;   in Loop: Header=BB349_252 Depth=1
	s_or_b64 exec, exec, s[24:25]
.LBB349_580:                            ;   in Loop: Header=BB349_252 Depth=1
	s_or_b64 exec, exec, s[22:23]
	v_mul_f32_e32 v36, s41, v36
	v_and_b32_e32 v4, 0x7f800000, v36
	v_cmp_ne_u32_e64 s[2:3], s36, v4
                                        ; implicit-def: $vgpr4
	s_and_saveexec_b64 s[22:23], s[2:3]
	s_xor_b64 s[2:3], exec, s[22:23]
; %bb.581:                              ;   in Loop: Header=BB349_252 Depth=1
	v_bfe_u32 v4, v36, 16, 1
	v_add3_u32 v4, v36, v4, s37
                                        ; implicit-def: $vgpr36
; %bb.582:                              ;   in Loop: Header=BB349_252 Depth=1
	s_andn2_saveexec_b64 s[22:23], s[2:3]
; %bb.583:                              ;   in Loop: Header=BB349_252 Depth=1
	v_or_b32_e32 v4, 0x10000, v36
	v_cmp_eq_u32_sdwa s[2:3], v36, v19 src0_sel:WORD_0 src1_sel:DWORD
	v_cndmask_b32_e64 v4, v4, v36, s[2:3]
; %bb.584:                              ;   in Loop: Header=BB349_252 Depth=1
	s_or_b64 exec, exec, s[22:23]
	v_cmp_lt_u64_e64 s[2:3], s[18:19], v[2:3]
	v_mov_b32_e32 v36, 0
	s_and_saveexec_b64 s[22:23], s[2:3]
	s_cbranch_execz .LBB349_590
; %bb.585:                              ;   in Loop: Header=BB349_252 Depth=1
	v_lshrrev_b32_e32 v2, 24, v3
	v_cmp_ne_u32_e64 s[2:3], s38, v2
	v_bfrev_b32_e32 v36, 1
	s_and_saveexec_b64 s[24:25], s[2:3]
	s_cbranch_execz .LBB349_589
; %bb.586:                              ;   in Loop: Header=BB349_252 Depth=1
	v_bfe_u32 v3, v3, 24, 7
	v_cmp_ne_u32_e64 s[2:3], s39, v3
	v_mov_b32_e32 v36, 0x7f800001
	s_and_saveexec_b64 s[26:27], s[2:3]
	s_cbranch_execz .LBB349_588
; %bb.587:                              ;   in Loop: Header=BB349_252 Depth=1
	v_and_b32_e32 v38, 7, v2
	v_ffbh_u32_e32 v36, v38
	v_min_u32_e32 v40, 32, v36
	v_subrev_u32_e32 v36, 28, v40
	v_lshlrev_b64 v[36:37], v36, v[2:3]
	v_lshrrev_b32_e32 v39, 3, v3
	v_sub_u32_e32 v37, 29, v40
	v_and_b32_e32 v36, 7, v36
	v_cmp_gt_u32_e64 s[2:3], 8, v3
	v_cndmask_b32_e64 v3, v39, v37, s[2:3]
	v_cndmask_b32_e64 v36, v38, v36, s[2:3]
	v_lshlrev_b32_e32 v2, 24, v2
	v_lshlrev_b32_e32 v36, 20, v36
	v_and_b32_e32 v2, 0x80000000, v2
	v_lshl_add_u32 v3, v3, 23, v26
	v_or3_b32 v36, v2, v3, v36
.LBB349_588:                            ;   in Loop: Header=BB349_252 Depth=1
	s_or_b64 exec, exec, s[26:27]
.LBB349_589:                            ;   in Loop: Header=BB349_252 Depth=1
	s_or_b64 exec, exec, s[24:25]
.LBB349_590:                            ;   in Loop: Header=BB349_252 Depth=1
	s_or_b64 exec, exec, s[22:23]
	v_mul_f32_e32 v3, s41, v36
	v_and_b32_e32 v2, 0x7f800000, v3
	v_cmp_ne_u32_e64 s[2:3], s36, v2
                                        ; implicit-def: $vgpr2
	s_and_saveexec_b64 s[22:23], s[2:3]
	s_xor_b64 s[2:3], exec, s[22:23]
; %bb.591:                              ;   in Loop: Header=BB349_252 Depth=1
	v_bfe_u32 v2, v3, 16, 1
	v_add3_u32 v2, v3, v2, s37
                                        ; implicit-def: $vgpr3
; %bb.592:                              ;   in Loop: Header=BB349_252 Depth=1
	s_andn2_saveexec_b64 s[22:23], s[2:3]
; %bb.593:                              ;   in Loop: Header=BB349_252 Depth=1
	v_or_b32_e32 v2, 0x10000, v3
	v_cmp_eq_u32_sdwa s[2:3], v3, v19 src0_sel:WORD_0 src1_sel:DWORD
	v_cndmask_b32_e64 v2, v2, v3, s[2:3]
; %bb.594:                              ;   in Loop: Header=BB349_252 Depth=1
	s_or_b64 exec, exec, s[22:23]
	v_lshrrev_b32_e32 v18, 16, v18
	v_lshrrev_b32_e32 v35, 16, v35
	v_lshrrev_b32_e32 v34, 16, v34
	v_lshrrev_b32_e32 v33, 16, v33
	v_lshrrev_b32_e32 v6, 16, v6
	v_lshrrev_b32_e32 v3, 16, v5
	v_lshrrev_b32_e32 v4, 16, v4
	v_lshrrev_b32_e32 v2, 16, v2
	s_and_saveexec_b64 s[2:3], s[0:1]
	s_cbranch_execz .LBB349_596
; %bb.595:                              ;   in Loop: Header=BB349_252 Depth=1
	v_cmp_gt_i32_e64 s[0:1], s33, v7
	v_add_u32_e32 v5, 1, v7
	v_cndmask_b32_e64 v3, 0, v3, s[0:1]
	v_cmp_gt_i32_e64 s[0:1], s33, v5
	v_add_u32_e32 v5, 2, v7
	v_cndmask_b32_e64 v6, 0, v6, s[0:1]
	;; [unrolled: 3-line block ×7, first 2 shown]
	v_cmp_gt_i32_e64 s[0:1], s33, v5
	v_cndmask_b32_e64 v2, 0, v2, s[0:1]
.LBB349_596:                            ;   in Loop: Header=BB349_252 Depth=1
	s_or_b64 exec, exec, s[2:3]
	v_lshlrev_b32_e32 v3, 16, v3
	v_mul_f32_e32 v5, v8, v3
	v_and_b32_e32 v3, 0x7f800000, v5
	v_cmp_ne_u32_e64 s[0:1], s36, v3
                                        ; implicit-def: $vgpr3
	s_and_saveexec_b64 s[2:3], s[0:1]
	s_xor_b64 s[0:1], exec, s[2:3]
; %bb.597:                              ;   in Loop: Header=BB349_252 Depth=1
	v_bfe_u32 v3, v5, 16, 1
	v_add3_u32 v3, v5, v3, s37
                                        ; implicit-def: $vgpr5
; %bb.598:                              ;   in Loop: Header=BB349_252 Depth=1
	s_andn2_saveexec_b64 s[2:3], s[0:1]
; %bb.599:                              ;   in Loop: Header=BB349_252 Depth=1
	v_or_b32_e32 v3, 0x10000, v5
	v_cmp_eq_u32_sdwa s[0:1], v5, v19 src0_sel:WORD_0 src1_sel:DWORD
	v_cndmask_b32_e64 v3, v3, v5, s[0:1]
; %bb.600:                              ;   in Loop: Header=BB349_252 Depth=1
	s_or_b64 exec, exec, s[2:3]
	v_lshlrev_b32_e32 v5, 16, v6
	v_mul_f32_e32 v6, v9, v5
	v_and_b32_e32 v5, 0x7f800000, v6
	v_cmp_ne_u32_e64 s[0:1], s36, v5
                                        ; implicit-def: $vgpr5
	s_and_saveexec_b64 s[2:3], s[0:1]
	s_xor_b64 s[0:1], exec, s[2:3]
; %bb.601:                              ;   in Loop: Header=BB349_252 Depth=1
	v_bfe_u32 v5, v6, 16, 1
	v_add3_u32 v5, v6, v5, s37
                                        ; implicit-def: $vgpr6
; %bb.602:                              ;   in Loop: Header=BB349_252 Depth=1
	s_andn2_saveexec_b64 s[2:3], s[0:1]
; %bb.603:                              ;   in Loop: Header=BB349_252 Depth=1
	v_or_b32_e32 v5, 0x10000, v6
	v_cmp_eq_u32_sdwa s[0:1], v6, v19 src0_sel:WORD_0 src1_sel:DWORD
	v_cndmask_b32_e64 v5, v5, v6, s[0:1]
; %bb.604:                              ;   in Loop: Header=BB349_252 Depth=1
	s_or_b64 exec, exec, s[2:3]
	v_lshlrev_b32_e32 v6, 16, v33
	v_mul_f32_e32 v7, v27, v6
	v_and_b32_e32 v6, 0x7f800000, v7
	v_cmp_ne_u32_e64 s[0:1], s36, v6
                                        ; implicit-def: $vgpr6
	s_and_saveexec_b64 s[2:3], s[0:1]
	s_xor_b64 s[0:1], exec, s[2:3]
; %bb.605:                              ;   in Loop: Header=BB349_252 Depth=1
	v_bfe_u32 v6, v7, 16, 1
	v_add3_u32 v6, v7, v6, s37
                                        ; implicit-def: $vgpr7
; %bb.606:                              ;   in Loop: Header=BB349_252 Depth=1
	s_andn2_saveexec_b64 s[2:3], s[0:1]
; %bb.607:                              ;   in Loop: Header=BB349_252 Depth=1
	v_or_b32_e32 v6, 0x10000, v7
	v_cmp_eq_u32_sdwa s[0:1], v7, v19 src0_sel:WORD_0 src1_sel:DWORD
	v_cndmask_b32_e64 v6, v6, v7, s[0:1]
; %bb.608:                              ;   in Loop: Header=BB349_252 Depth=1
	s_or_b64 exec, exec, s[2:3]
	v_lshlrev_b32_e32 v7, 16, v34
	v_mul_f32_e32 v8, v28, v7
	v_and_b32_e32 v7, 0x7f800000, v8
	v_cmp_ne_u32_e64 s[0:1], s36, v7
                                        ; implicit-def: $vgpr7
	s_and_saveexec_b64 s[2:3], s[0:1]
	s_xor_b64 s[0:1], exec, s[2:3]
; %bb.609:                              ;   in Loop: Header=BB349_252 Depth=1
	v_bfe_u32 v7, v8, 16, 1
	v_add3_u32 v7, v8, v7, s37
                                        ; implicit-def: $vgpr8
; %bb.610:                              ;   in Loop: Header=BB349_252 Depth=1
	s_andn2_saveexec_b64 s[2:3], s[0:1]
; %bb.611:                              ;   in Loop: Header=BB349_252 Depth=1
	v_or_b32_e32 v7, 0x10000, v8
	v_cmp_eq_u32_sdwa s[0:1], v8, v19 src0_sel:WORD_0 src1_sel:DWORD
	v_cndmask_b32_e64 v7, v7, v8, s[0:1]
; %bb.612:                              ;   in Loop: Header=BB349_252 Depth=1
	s_or_b64 exec, exec, s[2:3]
	v_lshlrev_b32_e32 v8, 16, v35
	v_mul_f32_e32 v9, v29, v8
	v_and_b32_e32 v8, 0x7f800000, v9
	v_cmp_ne_u32_e64 s[0:1], s36, v8
                                        ; implicit-def: $vgpr8
	s_and_saveexec_b64 s[2:3], s[0:1]
	s_xor_b64 s[0:1], exec, s[2:3]
; %bb.613:                              ;   in Loop: Header=BB349_252 Depth=1
	v_bfe_u32 v8, v9, 16, 1
	v_add3_u32 v8, v9, v8, s37
                                        ; implicit-def: $vgpr9
; %bb.614:                              ;   in Loop: Header=BB349_252 Depth=1
	s_andn2_saveexec_b64 s[2:3], s[0:1]
; %bb.615:                              ;   in Loop: Header=BB349_252 Depth=1
	v_or_b32_e32 v8, 0x10000, v9
	v_cmp_eq_u32_sdwa s[0:1], v9, v19 src0_sel:WORD_0 src1_sel:DWORD
	v_cndmask_b32_e64 v8, v8, v9, s[0:1]
; %bb.616:                              ;   in Loop: Header=BB349_252 Depth=1
	s_or_b64 exec, exec, s[2:3]
	v_lshlrev_b32_e32 v9, 16, v18
	v_mul_f32_e32 v18, v30, v9
	v_and_b32_e32 v9, 0x7f800000, v18
	v_cmp_ne_u32_e64 s[0:1], s36, v9
                                        ; implicit-def: $vgpr9
	s_and_saveexec_b64 s[2:3], s[0:1]
	s_xor_b64 s[0:1], exec, s[2:3]
; %bb.617:                              ;   in Loop: Header=BB349_252 Depth=1
	v_bfe_u32 v9, v18, 16, 1
	v_add3_u32 v9, v18, v9, s37
                                        ; implicit-def: $vgpr18
; %bb.618:                              ;   in Loop: Header=BB349_252 Depth=1
	s_andn2_saveexec_b64 s[2:3], s[0:1]
; %bb.619:                              ;   in Loop: Header=BB349_252 Depth=1
	v_or_b32_e32 v9, 0x10000, v18
	v_cmp_eq_u32_sdwa s[0:1], v18, v19 src0_sel:WORD_0 src1_sel:DWORD
	v_cndmask_b32_e64 v9, v9, v18, s[0:1]
; %bb.620:                              ;   in Loop: Header=BB349_252 Depth=1
	s_or_b64 exec, exec, s[2:3]
	v_lshlrev_b32_e32 v4, 16, v4
	v_mul_f32_e32 v18, v31, v4
	v_and_b32_e32 v4, 0x7f800000, v18
	v_cmp_ne_u32_e64 s[0:1], s36, v4
                                        ; implicit-def: $vgpr4
	s_and_saveexec_b64 s[2:3], s[0:1]
	s_xor_b64 s[0:1], exec, s[2:3]
; %bb.621:                              ;   in Loop: Header=BB349_252 Depth=1
	v_bfe_u32 v4, v18, 16, 1
	v_add3_u32 v4, v18, v4, s37
                                        ; implicit-def: $vgpr18
; %bb.622:                              ;   in Loop: Header=BB349_252 Depth=1
	s_andn2_saveexec_b64 s[2:3], s[0:1]
; %bb.623:                              ;   in Loop: Header=BB349_252 Depth=1
	v_or_b32_e32 v4, 0x10000, v18
	v_cmp_eq_u32_sdwa s[0:1], v18, v19 src0_sel:WORD_0 src1_sel:DWORD
	v_cndmask_b32_e64 v4, v4, v18, s[0:1]
; %bb.624:                              ;   in Loop: Header=BB349_252 Depth=1
	s_or_b64 exec, exec, s[2:3]
	v_lshlrev_b32_e32 v2, 16, v2
	v_mul_f32_e32 v2, v32, v2
	v_and_b32_e32 v18, 0x7f800000, v2
	v_cmp_ne_u32_e64 s[0:1], s36, v18
                                        ; implicit-def: $vgpr18
	s_and_saveexec_b64 s[2:3], s[0:1]
	s_xor_b64 s[0:1], exec, s[2:3]
; %bb.625:                              ;   in Loop: Header=BB349_252 Depth=1
	v_bfe_u32 v18, v2, 16, 1
	v_add3_u32 v18, v2, v18, s37
                                        ; implicit-def: $vgpr2
; %bb.626:                              ;   in Loop: Header=BB349_252 Depth=1
	s_andn2_saveexec_b64 s[2:3], s[0:1]
	s_cbranch_execz .LBB349_249
; %bb.627:                              ;   in Loop: Header=BB349_252 Depth=1
	v_or_b32_e32 v18, 0x10000, v2
	v_cmp_eq_u32_sdwa s[0:1], v2, v19 src0_sel:WORD_0 src1_sel:DWORD
	v_cndmask_b32_e64 v18, v18, v2, s[0:1]
	s_branch .LBB349_249
.LBB349_628:
	s_or_b64 exec, exec, s[20:21]
.LBB349_629:
	s_or_b64 exec, exec, s[12:13]
	ds_bpermute_b32 v2, v13, v10
	ds_bpermute_b32 v3, v13, v11
	;; [unrolled: 1-line block ×3, first 2 shown]
	s_waitcnt lgkmcnt(0)
	s_barrier
	v_pk_add_f32 v[4:5], v[10:11], v[2:3]
	v_add_f32_e32 v2, v12, v1
	v_and_b32_e32 v1, 0x3c0, v0
	v_cmp_eq_u32_e32 vcc, 64, v1
	s_and_saveexec_b64 s[2:3], vcc
	s_cbranch_execz .LBB349_634
; %bb.630:
	v_cmp_eq_u32_e32 vcc, 0, v17
	s_and_saveexec_b64 s[0:1], vcc
	s_cbranch_execz .LBB349_632
; %bb.631:
	v_mov_b32_e32 v1, 0xb0
	v_lshl_add_u32 v1, v21, 2, v1
	ds_write2_b32 v1, v4, v5 offset1:32
.LBB349_632:
	s_or_b64 exec, exec, s[0:1]
	v_or_b32_e32 v1, 64, v21
	s_movk_i32 s0, 0x50
	v_cmp_gt_u32_e64 s[0:1], s0, v1
	s_and_b64 s[0:1], vcc, s[0:1]
	s_and_b64 exec, exec, s[0:1]
	s_cbranch_execz .LBB349_634
; %bb.633:
	v_mov_b32_e32 v1, 0xb0
	v_lshl_add_u32 v1, v21, 2, v1
	ds_write_b32 v1, v2 offset:256
.LBB349_634:
	s_or_b64 exec, exec, s[2:3]
	v_cmp_gt_u32_e32 vcc, 64, v0
	v_cmp_lt_u32_e64 s[0:1], 63, v0
	s_waitcnt lgkmcnt(0)
	s_barrier
	s_and_saveexec_b64 s[2:3], s[0:1]
	s_xor_b64 s[0:1], exec, s[2:3]
	s_or_saveexec_b64 s[4:5], s[0:1]
	v_lshrrev_b32_e32 v3, 1, v0
	s_xor_b64 exec, exec, s[4:5]
	s_cbranch_execz .LBB349_642
; %bb.635:
	v_cmp_eq_u32_e64 s[0:1], 0, v17
	s_and_saveexec_b64 s[2:3], s[0:1]
	s_cbranch_execz .LBB349_637
; %bb.636:
	v_mov_b32_e32 v0, 0xb0
	v_lshl_add_u32 v0, v3, 2, v0
	ds_read_b32 v0, v0
	s_waitcnt lgkmcnt(0)
	v_add_f32_e32 v4, v4, v0
.LBB349_637:
	s_or_b64 exec, exec, s[2:3]
	s_and_saveexec_b64 s[2:3], s[0:1]
	s_cbranch_execz .LBB349_639
; %bb.638:
	v_mov_b32_e32 v0, 0xb0
	v_lshl_add_u32 v0, v3, 2, v0
	ds_read_b32 v0, v0 offset:128
	s_waitcnt lgkmcnt(0)
	v_add_f32_e32 v5, v5, v0
.LBB349_639:
	s_or_b64 exec, exec, s[2:3]
	v_or_b32_e32 v0, 64, v3
	s_movk_i32 s2, 0x50
	v_cmp_gt_u32_e64 s[2:3], s2, v0
	s_and_b64 s[2:3], s[0:1], s[2:3]
	s_and_saveexec_b64 s[0:1], s[2:3]
	s_cbranch_execz .LBB349_641
; %bb.640:
	v_mov_b32_e32 v0, 0xb0
	v_lshl_add_u32 v0, v3, 2, v0
	ds_read_b32 v0, v0 offset:256
	s_waitcnt lgkmcnt(0)
	v_add_f32_e32 v2, v2, v0
.LBB349_641:
	s_or_b64 exec, exec, s[0:1]
.LBB349_642:
	s_or_b64 exec, exec, s[4:5]
	s_barrier
	s_and_saveexec_b64 s[0:1], vcc
	s_cbranch_execz .LBB349_659
; %bb.643:
	s_mul_i32 s0, s10, 0x50
	s_ashr_i32 s1, s0, 31
	s_lshl_b64 s[0:1], s[0:1], 1
	s_add_u32 s2, s30, s0
	s_mul_i32 s0, s29, s28
	s_addc_u32 s3, s31, s1
	s_ashr_i32 s1, s0, 31
	s_lshl_b64 s[0:1], s[0:1], 1
	s_add_u32 s2, s2, s0
	s_mul_i32 s0, s8, 0x50
	s_addc_u32 s3, s3, s1
	s_ashr_i32 s1, s0, 31
	s_lshl_b64 s[0:1], s[0:1], 1
	s_add_u32 s2, s2, s0
	s_addc_u32 s3, s3, s1
	v_cmp_eq_u32_e32 vcc, 0, v17
	s_and_saveexec_b64 s[4:5], vcc
	s_cbranch_execz .LBB349_653
; %bb.644:
	s_mov_b32 s0, 0x7f800000
	v_and_b32_e32 v0, 0x7f800000, v4
	v_cmp_ne_u32_e64 s[0:1], s0, v0
                                        ; implicit-def: $vgpr6
	s_and_saveexec_b64 s[6:7], s[0:1]
	s_xor_b64 s[0:1], exec, s[6:7]
; %bb.645:
	v_bfe_u32 v0, v4, 16, 1
	s_movk_i32 s6, 0x7fff
	v_add3_u32 v6, v4, v0, s6
; %bb.646:
	s_andn2_saveexec_b64 s[6:7], s[0:1]
; %bb.647:
	v_mov_b32_e32 v0, 0
	v_or_b32_e32 v1, 0x10000, v4
	v_cmp_eq_u32_sdwa s[0:1], v4, v0 src0_sel:WORD_0 src1_sel:DWORD
	v_cndmask_b32_e64 v6, v1, v4, s[0:1]
; %bb.648:
	s_or_b64 exec, exec, s[6:7]
	v_lshlrev_b32_e32 v4, 1, v3
	v_mov_b32_e32 v1, s3
	v_add_co_u32_e64 v0, s[0:1], s2, v4
	v_addc_co_u32_e64 v1, s[0:1], 0, v1, s[0:1]
	global_store_short_d16_hi v4, v6, s[2:3]
	s_mov_b32 s0, 0x7f800000
	v_and_b32_e32 v4, 0x7f800000, v5
	v_cmp_ne_u32_e64 s[0:1], s0, v4
                                        ; implicit-def: $vgpr7
	s_and_saveexec_b64 s[6:7], s[0:1]
	s_xor_b64 s[0:1], exec, s[6:7]
; %bb.649:
	v_bfe_u32 v4, v5, 16, 1
	s_movk_i32 s6, 0x7fff
	v_add3_u32 v7, v5, v4, s6
                                        ; implicit-def: $vgpr4_vgpr5_vgpr6
; %bb.650:
	s_andn2_saveexec_b64 s[6:7], s[0:1]
; %bb.651:
	v_mov_b32_e32 v4, 0
	v_or_b32_e32 v6, 0x10000, v5
	v_cmp_eq_u32_sdwa s[0:1], v5, v4 src0_sel:WORD_0 src1_sel:DWORD
	v_cndmask_b32_e64 v7, v6, v5, s[0:1]
; %bb.652:
	s_or_b64 exec, exec, s[6:7]
	global_store_short_d16_hi v[0:1], v7, off offset:64
.LBB349_653:
	s_or_b64 exec, exec, s[4:5]
	v_or_b32_e32 v0, 64, v3
	s_movk_i32 s0, 0x50
	v_cmp_gt_u32_e64 s[0:1], s0, v0
	s_and_b64 s[0:1], vcc, s[0:1]
	s_and_b64 exec, exec, s[0:1]
	s_cbranch_execz .LBB349_659
; %bb.654:
	s_mov_b32 s0, 0x7f800000
	v_and_b32_e32 v0, 0x7f800000, v2
	v_cmp_ne_u32_e32 vcc, s0, v0
                                        ; implicit-def: $vgpr0
	s_and_saveexec_b64 s[0:1], vcc
	s_xor_b64 s[0:1], exec, s[0:1]
; %bb.655:
	v_bfe_u32 v0, v2, 16, 1
	s_movk_i32 s4, 0x7fff
	v_add3_u32 v0, v2, v0, s4
                                        ; implicit-def: $vgpr2
; %bb.656:
	s_andn2_saveexec_b64 s[0:1], s[0:1]
; %bb.657:
	v_mov_b32_e32 v0, 0
	v_or_b32_e32 v1, 0x10000, v2
	v_cmp_eq_u32_sdwa vcc, v2, v0 src0_sel:WORD_0 src1_sel:DWORD
	v_cndmask_b32_e32 v0, v1, v2, vcc
; %bb.658:
	s_or_b64 exec, exec, s[0:1]
	v_lshlrev_b32_e32 v1, 1, v3
	global_store_short_d16_hi v1, v0, s[2:3] offset:128
.LBB349_659:
	s_endpgm
	.section	.rodata,"a",@progbits
	.p2align	6, 0x0
	.amdhsa_kernel _ZN4vllm25paged_attention_v2_kernelI14__hip_bfloat16hLi80ELi16ELi128ELNS_18Fp8KVCacheDataTypeE1ELb1ELi512EEEvPfS3_PT_PKS4_PKT0_SA_ifPKiSC_iPKfiiiSE_SE_iiiii
		.amdhsa_group_segment_fixed_size 176
		.amdhsa_private_segment_fixed_size 0
		.amdhsa_kernarg_size 400
		.amdhsa_user_sgpr_count 6
		.amdhsa_user_sgpr_private_segment_buffer 1
		.amdhsa_user_sgpr_dispatch_ptr 0
		.amdhsa_user_sgpr_queue_ptr 0
		.amdhsa_user_sgpr_kernarg_segment_ptr 1
		.amdhsa_user_sgpr_dispatch_id 0
		.amdhsa_user_sgpr_flat_scratch_init 0
		.amdhsa_user_sgpr_kernarg_preload_length 0
		.amdhsa_user_sgpr_kernarg_preload_offset 0
		.amdhsa_user_sgpr_private_segment_size 0
		.amdhsa_uses_dynamic_stack 0
		.amdhsa_system_sgpr_private_segment_wavefront_offset 0
		.amdhsa_system_sgpr_workgroup_id_x 1
		.amdhsa_system_sgpr_workgroup_id_y 1
		.amdhsa_system_sgpr_workgroup_id_z 1
		.amdhsa_system_sgpr_workgroup_info 0
		.amdhsa_system_vgpr_workitem_id 0
		.amdhsa_next_free_vgpr 65
		.amdhsa_next_free_sgpr 65
		.amdhsa_accum_offset 68
		.amdhsa_reserve_vcc 1
		.amdhsa_reserve_flat_scratch 0
		.amdhsa_float_round_mode_32 0
		.amdhsa_float_round_mode_16_64 0
		.amdhsa_float_denorm_mode_32 3
		.amdhsa_float_denorm_mode_16_64 3
		.amdhsa_dx10_clamp 1
		.amdhsa_ieee_mode 1
		.amdhsa_fp16_overflow 0
		.amdhsa_tg_split 0
		.amdhsa_exception_fp_ieee_invalid_op 0
		.amdhsa_exception_fp_denorm_src 0
		.amdhsa_exception_fp_ieee_div_zero 0
		.amdhsa_exception_fp_ieee_overflow 0
		.amdhsa_exception_fp_ieee_underflow 0
		.amdhsa_exception_fp_ieee_inexact 0
		.amdhsa_exception_int_div_zero 0
	.end_amdhsa_kernel
	.section	.text._ZN4vllm25paged_attention_v2_kernelI14__hip_bfloat16hLi80ELi16ELi128ELNS_18Fp8KVCacheDataTypeE1ELb1ELi512EEEvPfS3_PT_PKS4_PKT0_SA_ifPKiSC_iPKfiiiSE_SE_iiiii,"axG",@progbits,_ZN4vllm25paged_attention_v2_kernelI14__hip_bfloat16hLi80ELi16ELi128ELNS_18Fp8KVCacheDataTypeE1ELb1ELi512EEEvPfS3_PT_PKS4_PKT0_SA_ifPKiSC_iPKfiiiSE_SE_iiiii,comdat
.Lfunc_end349:
	.size	_ZN4vllm25paged_attention_v2_kernelI14__hip_bfloat16hLi80ELi16ELi128ELNS_18Fp8KVCacheDataTypeE1ELb1ELi512EEEvPfS3_PT_PKS4_PKT0_SA_ifPKiSC_iPKfiiiSE_SE_iiiii, .Lfunc_end349-_ZN4vllm25paged_attention_v2_kernelI14__hip_bfloat16hLi80ELi16ELi128ELNS_18Fp8KVCacheDataTypeE1ELb1ELi512EEEvPfS3_PT_PKS4_PKT0_SA_ifPKiSC_iPKfiiiSE_SE_iiiii
                                        ; -- End function
	.section	.AMDGPU.csdata,"",@progbits
; Kernel info:
; codeLenInByte = 19880
; NumSgprs: 69
; NumVgprs: 65
; NumAgprs: 0
; TotalNumVgprs: 65
; ScratchSize: 0
; MemoryBound: 0
; FloatMode: 240
; IeeeMode: 1
; LDSByteSize: 176 bytes/workgroup (compile time only)
; SGPRBlocks: 8
; VGPRBlocks: 8
; NumSGPRsForWavesPerEU: 69
; NumVGPRsForWavesPerEU: 65
; AccumOffset: 68
; Occupancy: 7
; WaveLimiterHint : 1
; COMPUTE_PGM_RSRC2:SCRATCH_EN: 0
; COMPUTE_PGM_RSRC2:USER_SGPR: 6
; COMPUTE_PGM_RSRC2:TRAP_HANDLER: 0
; COMPUTE_PGM_RSRC2:TGID_X_EN: 1
; COMPUTE_PGM_RSRC2:TGID_Y_EN: 1
; COMPUTE_PGM_RSRC2:TGID_Z_EN: 1
; COMPUTE_PGM_RSRC2:TIDIG_COMP_CNT: 0
; COMPUTE_PGM_RSRC3_GFX90A:ACCUM_OFFSET: 16
; COMPUTE_PGM_RSRC3_GFX90A:TG_SPLIT: 0
	.section	.text._ZN4vllm25paged_attention_v2_kernelI14__hip_bfloat16hLi96ELi16ELi128ELNS_18Fp8KVCacheDataTypeE1ELb1ELi512EEEvPfS3_PT_PKS4_PKT0_SA_ifPKiSC_iPKfiiiSE_SE_iiiii,"axG",@progbits,_ZN4vllm25paged_attention_v2_kernelI14__hip_bfloat16hLi96ELi16ELi128ELNS_18Fp8KVCacheDataTypeE1ELb1ELi512EEEvPfS3_PT_PKS4_PKT0_SA_ifPKiSC_iPKfiiiSE_SE_iiiii,comdat
	.protected	_ZN4vllm25paged_attention_v2_kernelI14__hip_bfloat16hLi96ELi16ELi128ELNS_18Fp8KVCacheDataTypeE1ELb1ELi512EEEvPfS3_PT_PKS4_PKT0_SA_ifPKiSC_iPKfiiiSE_SE_iiiii ; -- Begin function _ZN4vllm25paged_attention_v2_kernelI14__hip_bfloat16hLi96ELi16ELi128ELNS_18Fp8KVCacheDataTypeE1ELb1ELi512EEEvPfS3_PT_PKS4_PKT0_SA_ifPKiSC_iPKfiiiSE_SE_iiiii
	.globl	_ZN4vllm25paged_attention_v2_kernelI14__hip_bfloat16hLi96ELi16ELi128ELNS_18Fp8KVCacheDataTypeE1ELb1ELi512EEEvPfS3_PT_PKS4_PKT0_SA_ifPKiSC_iPKfiiiSE_SE_iiiii
	.p2align	8
	.type	_ZN4vllm25paged_attention_v2_kernelI14__hip_bfloat16hLi96ELi16ELi128ELNS_18Fp8KVCacheDataTypeE1ELb1ELi512EEEvPfS3_PT_PKS4_PKT0_SA_ifPKiSC_iPKfiiiSE_SE_iiiii,@function
_ZN4vllm25paged_attention_v2_kernelI14__hip_bfloat16hLi96ELi16ELi128ELNS_18Fp8KVCacheDataTypeE1ELb1ELi512EEEvPfS3_PT_PKS4_PKT0_SA_ifPKiSC_iPKfiiiSE_SE_iiiii: ; @_ZN4vllm25paged_attention_v2_kernelI14__hip_bfloat16hLi96ELi16ELi128ELNS_18Fp8KVCacheDataTypeE1ELb1ELi512EEEvPfS3_PT_PKS4_PKT0_SA_ifPKiSC_iPKfiiiSE_SE_iiiii
; %bb.0:
	s_load_dwordx2 s[0:1], s[4:5], 0x40
	s_mov_b32 s28, s7
	s_ashr_i32 s29, s7, 31
	s_lshl_b64 s[2:3], s[28:29], 2
	s_waitcnt lgkmcnt(0)
	s_add_u32 s0, s0, s2
	s_addc_u32 s1, s1, s3
	s_load_dword s33, s[0:1], 0x0
	s_lshl_b32 s9, s8, 9
	s_waitcnt lgkmcnt(0)
	s_cmp_ge_i32 s9, s33
	s_cbranch_scc1 .LBB350_690
; %bb.1:
	s_load_dword s29, s[4:5], 0x90
	s_load_dwordx2 s[42:43], s[4:5], 0x30
	s_mov_b32 s55, 0
	s_waitcnt lgkmcnt(0)
	s_abs_i32 s2, s29
	s_abs_i32 s0, s42
	v_cvt_f32_u32_e32 v1, s0
	s_sub_i32 s3, 0, s0
	s_xor_b32 s1, s29, s42
	s_ashr_i32 s1, s1, 31
	v_rcp_iflag_f32_e32 v1, v1
	v_mul_f32_e32 v1, 0x4f7ffffe, v1
	v_cvt_u32_f32_e32 v1, v1
	v_readfirstlane_b32 s7, v1
	s_mul_i32 s3, s3, s7
	s_mul_hi_u32 s3, s7, s3
	s_add_i32 s7, s7, s3
	s_mul_hi_u32 s3, s2, s7
	s_mul_i32 s7, s3, s0
	s_sub_i32 s2, s2, s7
	s_add_i32 s10, s3, 1
	s_sub_i32 s7, s2, s0
	s_cmp_ge_u32 s2, s0
	s_cselect_b32 s3, s10, s3
	s_cselect_b32 s2, s7, s2
	s_add_i32 s7, s3, 1
	s_cmp_ge_u32 s2, s0
	s_cselect_b32 s0, s7, s3
	s_xor_b32 s0, s0, s1
	s_sub_i32 s11, s0, s1
	s_abs_i32 s2, s11
	v_cvt_f32_u32_e32 v1, s2
	s_load_dwordx2 s[0:1], s[4:5], 0x50
	s_sub_i32 s7, 0, s2
	s_abs_i32 s3, s6
	v_rcp_iflag_f32_e32 v1, v1
	v_mul_f32_e32 v1, 0x4f7ffffe, v1
	v_cvt_u32_f32_e32 v1, v1
	v_readfirstlane_b32 s10, v1
	s_mul_i32 s7, s7, s10
	s_mul_hi_u32 s7, s10, s7
	s_add_i32 s10, s10, s7
	s_waitcnt lgkmcnt(0)
	s_cmp_eq_u64 s[0:1], 0
	s_mul_hi_u32 s10, s3, s10
	s_cbranch_scc1 .LBB350_3
; %bb.2:
	s_ashr_i32 s7, s6, 31
	s_lshl_b64 s[12:13], s[6:7], 2
	s_add_u32 s0, s0, s12
	s_addc_u32 s1, s1, s13
	s_load_dword s55, s[0:1], 0x0
.LBB350_3:
	s_load_dwordx4 s[16:19], s[4:5], 0x58
	s_ashr_i32 s7, s6, 31
	s_ashr_i32 s11, s11, 31
	v_and_b32_e32 v2, 3, v0
	s_mul_i32 s30, s6, 0x60
	v_cmp_gt_u32_e32 vcc, 48, v0
	s_and_saveexec_b64 s[0:1], vcc
	s_cbranch_execz .LBB350_5
; %bb.4:
	s_load_dwordx2 s[12:13], s[4:5], 0x18
	s_waitcnt lgkmcnt(0)
	s_mul_i32 s14, s28, s16
	s_ashr_i32 s15, s14, 31
	s_lshl_b64 s[14:15], s[14:15], 1
	v_lshlrev_b32_e32 v1, 2, v0
	s_add_u32 s14, s12, s14
	s_addc_u32 s15, s13, s15
	s_ashr_i32 s31, s30, 31
	s_lshl_b64 s[12:13], s[30:31], 1
	s_add_u32 s12, s14, s12
	s_addc_u32 s13, s15, s13
	global_load_dword v1, v1, s[12:13]
	v_and_b32_e32 v3, 0x3fc, v0
	v_mad_u32_u24 v3, v2, 48, v3
	s_waitcnt vmcnt(0)
	ds_write_b32 v3, v1
.LBB350_5:
	s_or_b64 exec, exec, s[0:1]
	s_mul_i32 s1, s10, s2
	s_sub_i32 s1, s3, s1
	s_xor_b32 s0, s7, s11
	s_add_i32 s3, s10, 1
	s_sub_i32 s7, s1, s2
	s_load_dwordx4 s[20:23], s[4:5], 0x78
	s_cmp_ge_u32 s1, s2
	s_cselect_b32 s3, s3, s10
	s_cselect_b32 s1, s7, s1
	s_add_i32 s7, s3, 1
	s_cmp_ge_u32 s1, s2
	s_cselect_b32 s1, s7, s3
	s_load_dword s7, s[4:5], 0x88
	s_waitcnt lgkmcnt(0)
	s_abs_i32 s31, s23
	v_cvt_f32_u32_e32 v1, s31
	s_xor_b32 s1, s1, s0
	s_sub_i32 s54, s1, s0
	s_sub_i32 s0, 0, s31
	v_rcp_iflag_f32_e32 v1, v1
	s_add_i32 s10, s33, -1
	s_abs_i32 s2, s10
	v_mul_f32_e32 v1, 0x4f7ffffe, v1
	v_cvt_u32_f32_e32 v1, v1
	s_barrier
	v_readfirstlane_b32 s52, v1
	s_mul_i32 s0, s0, s52
	s_mul_hi_u32 s0, s52, s0
	s_add_i32 s52, s52, s0
	s_cmp_lt_i32 s7, 0
	s_mul_hi_u32 s3, s2, s52
	s_cbranch_scc0 .LBB350_7
; %bb.6:
	s_mul_i32 s0, s20, s42
	s_add_i32 s0, s54, s0
	s_mul_i32 s0, s0, s7
	s_sub_i32 s42, 1, s0
	s_mov_b64 s[0:1], 0
	s_branch .LBB350_8
.LBB350_7:
	s_mov_b64 s[0:1], -1
                                        ; implicit-def: $sgpr42
.LBB350_8:
	s_load_dwordx2 s[36:37], s[4:5], 0x38
	s_ashr_i32 s10, s10, 31
	s_andn2_b64 vcc, exec, s[0:1]
	s_ashr_i32 s23, s23, 31
	s_cbranch_vccnz .LBB350_10
; %bb.9:
	s_mul_i32 s0, s29, s20
	s_add_i32 s0, s0, s6
	s_mul_i32 s0, s0, s7
	s_add_i32 s42, s0, 1
.LBB350_10:
	s_load_dwordx2 s[40:41], s[4:5], 0x28
	s_load_dword s0, s[4:5], 0x48
	s_load_dwordx4 s[24:27], s[4:5], 0x0
	s_load_dwordx2 s[34:35], s[4:5], 0x10
	s_load_dword s20, s[4:5], 0x98
	s_load_dwordx4 s[12:15], s[4:5], 0x68
	s_mul_i32 s1, s3, s31
	s_waitcnt lgkmcnt(0)
	s_mul_i32 s38, s28, s0
	s_sub_i32 s1, s2, s1
	s_ashr_i32 s39, s38, 31
	s_xor_b32 s0, s10, s23
	s_add_i32 s2, s3, 1
	s_sub_i32 s7, s1, s31
	s_cmp_ge_u32 s1, s31
	s_cselect_b32 s2, s2, s3
	s_cselect_b32 s1, s7, s1
	s_add_i32 s3, s2, 1
	s_cmp_ge_u32 s1, s31
	s_cselect_b32 s1, s3, s2
	s_xor_b32 s1, s1, s0
	s_sub_i32 s16, s1, s0
	s_add_i32 s0, s33, 15
	s_ashr_i32 s1, s0, 31
	s_lshr_b32 s1, s1, 28
	s_add_i32 s0, s0, s1
	s_lshl_b32 s56, s8, 5
	s_ashr_i32 s7, s0, 4
	s_add_i32 s0, s56, 32
	v_lshrrev_b32_e32 v27, 6, v0
	s_min_i32 s53, s0, s7
	v_or_b32_e32 v14, s56, v27
	v_cmp_gt_i32_e64 s[0:1], s53, v14
	v_mov_b32_e32 v31, 0xff7fffff
	s_mul_i32 s54, s54, s18
	v_ashrrev_i32_e32 v15, 31, v14
	v_lshl_add_u32 v1, v27, 4, s9
	v_mbcnt_lo_u32_b32 v19, -1, 0
	s_and_saveexec_b64 s[18:19], s[0:1]
	s_cbranch_execz .LBB350_260
; %bb.11:
	s_load_dwordx2 s[2:3], s[4:5], 0x20
	s_sub_i32 s57, s16, s21
	s_ashr_i32 s4, s54, 31
	v_cmp_eq_u32_e32 vcc, 0, v2
	v_lshlrev_b32_e32 v18, 1, v2
	s_waitcnt lgkmcnt(0)
	s_add_u32 s2, s2, s54
	s_addc_u32 s3, s3, s4
	s_abs_i32 s59, s22
	v_cvt_f32_u32_e32 v3, s59
	s_sub_i32 s4, 0, s59
	v_mul_u32_u24_e32 v29, 48, v2
	v_bfe_u32 v25, v0, 2, 4
	v_rcp_iflag_f32_e32 v3, v3
	v_lshlrev_b32_e32 v4, 4, v25
	v_mov_b32_e32 v5, s3
	v_add_co_u32_e64 v16, s[2:3], s2, v4
	v_mul_f32_e32 v3, 0x4f7ffffe, v3
	v_cvt_u32_f32_e32 v3, v3
	v_addc_co_u32_e64 v17, s[2:3], 0, v5, s[2:3]
	s_mov_b32 s58, s17
	v_mul_lo_u32 v2, s4, v3
	s_lshl_b64 s[4:5], s[38:39], 2
	v_mul_hi_u32 v2, v3, v2
	s_add_u32 s4, s36, s4
	v_add_u32_e32 v30, v3, v2
	v_lshlrev_b64 v[2:3], 2, v[14:15]
	s_addc_u32 s5, s37, s5
	v_mov_b32_e32 v4, s5
	v_add_co_u32_e64 v20, s[4:5], s4, v2
	v_lshlrev_b32_e32 v2, 2, v25
	v_lshl_or_b32 v2, v27, 6, v2
	v_add_u32_e32 v33, 0xd0, v2
	v_subrev_u32_e32 v2, s33, v25
	v_mov_b32_e32 v28, 0
	v_cmp_neq_f32_e64 s[2:3], s55, 0
	v_addc_co_u32_e64 v21, s[4:5], v4, v3, s[4:5]
	v_lshl_add_u32 v32, v27, 4, s9
	v_add_u32_e32 v34, 1, v2
	s_mov_b64 s[44:45], 0
	v_mov_b32_e32 v35, 0xff7fffff
	s_movk_i32 s60, 0x80
	s_movk_i32 s61, 0x7f
	s_mov_b32 s62, 0x7f800000
	s_movk_i32 s63, 0x7fff
	v_bfrev_b32_e32 v36, 60
	v_mbcnt_hi_u32_b32 v37, -1, v19
	v_mov_b32_e32 v31, 0xff7fffff
	v_mov_b32_e32 v38, v14
	s_branch .LBB350_14
.LBB350_12:                             ;   in Loop: Header=BB350_14 Depth=1
	s_or_b64 exec, exec, s[46:47]
.LBB350_13:                             ;   in Loop: Header=BB350_14 Depth=1
	s_or_b64 exec, exec, s[10:11]
	v_add_co_u32_e64 v20, s[4:5], 8, v20
	v_add_u32_e32 v38, 2, v38
	v_addc_co_u32_e64 v21, s[4:5], 0, v21, s[4:5]
	v_cmp_le_i32_e64 s[4:5], s53, v38
	v_add_u32_e32 v32, 32, v32
	s_or_b64 s[44:45], s[4:5], s[44:45]
	v_add_u32_e32 v33, 0x80, v33
	s_andn2_b64 exec, exec, s[44:45]
	s_cbranch_execz .LBB350_259
.LBB350_14:                             ; =>This Inner Loop Header: Depth=1
	s_waitcnt lgkmcnt(0)
	v_sub_u32_e32 v3, 0, v32
	v_max_i32_e32 v3, v32, v3
	v_mul_hi_u32 v4, v3, s52
	v_mul_lo_u32 v5, v4, s31
	v_sub_u32_e32 v3, v3, v5
	v_add_u32_e32 v5, 1, v4
	v_cmp_le_u32_e64 s[4:5], s31, v3
	v_cndmask_b32_e64 v4, v4, v5, s[4:5]
	v_subrev_u32_e32 v5, s31, v3
	v_cndmask_b32_e64 v3, v3, v5, s[4:5]
	v_ashrrev_i32_e32 v2, 31, v32
	v_add_u32_e32 v5, 1, v4
	v_cmp_le_u32_e64 s[4:5], s31, v3
	v_xor_b32_e32 v2, s23, v2
	v_cndmask_b32_e64 v3, v4, v5, s[4:5]
	v_xor_b32_e32 v3, v3, v2
	v_sub_u32_e32 v2, v3, v2
	v_add_u32_e32 v3, s42, v2
	v_sub_u32_e32 v5, 0, v3
	v_ashrrev_i32_e32 v4, 31, v3
	v_max_i32_e32 v3, v3, v5
	v_mul_hi_u32 v5, v3, v30
	v_mul_lo_u32 v5, v5, s59
	v_sub_u32_e32 v3, v3, v5
	v_subrev_u32_e32 v5, s59, v3
	v_cmp_le_u32_e64 s[4:5], s59, v3
	v_cndmask_b32_e64 v3, v3, v5, s[4:5]
	v_subrev_u32_e32 v5, s59, v3
	v_cmp_le_u32_e64 s[4:5], s59, v3
	v_cndmask_b32_e64 v3, v3, v5, s[4:5]
	v_xor_b32_e32 v3, v3, v4
	v_sub_u32_e32 v3, v3, v4
	v_cmp_ne_u32_e64 s[4:5], 0, v3
	v_cmp_ge_i32_e64 s[10:11], s57, v2
	s_and_b64 s[4:5], s[4:5], s[10:11]
	s_and_b64 s[46:47], vcc, s[4:5]
	s_and_saveexec_b64 s[10:11], s[46:47]
	s_cbranch_execz .LBB350_16
; %bb.15:                               ;   in Loop: Header=BB350_14 Depth=1
	ds_write_b32 v33, v35
.LBB350_16:                             ;   in Loop: Header=BB350_14 Depth=1
	s_or_b64 exec, exec, s[10:11]
	s_xor_b64 s[4:5], s[4:5], -1
	s_and_saveexec_b64 s[10:11], s[4:5]
	s_cbranch_execz .LBB350_13
; %bb.17:                               ;   in Loop: Header=BB350_14 Depth=1
	global_load_dword v2, v[20:21], off
	s_waitcnt vmcnt(0)
	v_mad_i64_i32 v[2:3], s[4:5], v2, s58, v[16:17]
	v_add_co_u32_e64 v22, s[4:5], v2, v18
	v_addc_co_u32_e64 v23, s[4:5], 0, v3, s[4:5]
	global_load_ushort v26, v[22:23], off
	ds_read_b128 v[10:13], v29
	ds_read_b128 v[6:9], v29 offset:16
	ds_read_b128 v[2:5], v29 offset:32
	s_load_dword s64, s[12:13], 0x0
	s_waitcnt vmcnt(0)
	v_and_b32_e32 v24, 0xffff, v26
	v_cmp_ne_u16_sdwa s[4:5], v26, v28 src0_sel:BYTE_0 src1_sel:DWORD
	v_mov_b32_e32 v26, 0
	s_and_saveexec_b64 s[46:47], s[4:5]
	s_cbranch_execz .LBB350_23
; %bb.18:                               ;   in Loop: Header=BB350_14 Depth=1
	v_cmp_ne_u16_sdwa s[4:5], v24, s60 src0_sel:BYTE_0 src1_sel:DWORD
	v_bfrev_b32_e32 v26, 1
	s_and_saveexec_b64 s[48:49], s[4:5]
	s_cbranch_execz .LBB350_22
; %bb.19:                               ;   in Loop: Header=BB350_14 Depth=1
	v_and_b32_e32 v39, 0x7f, v24
	v_cmp_ne_u32_e64 s[4:5], s61, v39
	v_mov_b32_e32 v26, 0x7f800001
	s_and_saveexec_b64 s[50:51], s[4:5]
	s_cbranch_execz .LBB350_21
; %bb.20:                               ;   in Loop: Header=BB350_14 Depth=1
	v_and_b32_e32 v26, 7, v24
	v_ffbh_u32_e32 v40, v26
	v_min_u32_e32 v43, 32, v40
	v_subrev_u32_e32 v40, 28, v43
	v_lshlrev_b64 v[40:41], v40, v[24:25]
	v_lshrrev_b32_e32 v42, 3, v39
	v_sub_u32_e32 v41, 29, v43
	v_and_b32_e32 v40, 7, v40
	v_cmp_gt_u32_e64 s[4:5], 8, v39
	v_cndmask_b32_e64 v39, v42, v41, s[4:5]
	v_cndmask_b32_e64 v26, v26, v40, s[4:5]
	v_lshlrev_b32_e32 v40, 24, v24
	v_lshlrev_b32_e32 v26, 20, v26
	v_and_b32_e32 v40, 0x80000000, v40
	v_lshl_add_u32 v39, v39, 23, v36
	v_or3_b32 v26, v40, v39, v26
.LBB350_21:                             ;   in Loop: Header=BB350_14 Depth=1
	s_or_b64 exec, exec, s[50:51]
.LBB350_22:                             ;   in Loop: Header=BB350_14 Depth=1
	s_or_b64 exec, exec, s[48:49]
.LBB350_23:                             ;   in Loop: Header=BB350_14 Depth=1
	s_or_b64 exec, exec, s[46:47]
	s_waitcnt lgkmcnt(0)
	v_mul_f32_e32 v26, s64, v26
	v_and_b32_e32 v39, 0x7f800000, v26
	v_cmp_ne_u32_e64 s[4:5], s62, v39
                                        ; implicit-def: $vgpr39
	s_and_saveexec_b64 s[46:47], s[4:5]
	s_xor_b64 s[4:5], exec, s[46:47]
; %bb.24:                               ;   in Loop: Header=BB350_14 Depth=1
	v_bfe_u32 v39, v26, 16, 1
	v_add3_u32 v39, v26, v39, s63
                                        ; implicit-def: $vgpr26
; %bb.25:                               ;   in Loop: Header=BB350_14 Depth=1
	s_andn2_saveexec_b64 s[46:47], s[4:5]
; %bb.26:                               ;   in Loop: Header=BB350_14 Depth=1
	v_or_b32_e32 v39, 0x10000, v26
	v_cmp_eq_u32_sdwa s[4:5], v26, v28 src0_sel:WORD_0 src1_sel:DWORD
	v_cndmask_b32_e64 v39, v39, v26, s[4:5]
; %bb.27:                               ;   in Loop: Header=BB350_14 Depth=1
	s_or_b64 exec, exec, s[46:47]
	v_lshrrev_b16_e32 v26, 8, v24
	v_cmp_ne_u16_e64 s[4:5], 0, v26
	v_mov_b32_e32 v40, 0
	s_and_saveexec_b64 s[46:47], s[4:5]
	s_cbranch_execz .LBB350_33
; %bb.28:                               ;   in Loop: Header=BB350_14 Depth=1
	v_cmp_ne_u16_e64 s[4:5], s60, v26
	v_bfrev_b32_e32 v40, 1
	s_and_saveexec_b64 s[48:49], s[4:5]
	s_cbranch_execz .LBB350_32
; %bb.29:                               ;   in Loop: Header=BB350_14 Depth=1
	v_and_b32_e32 v41, 0x7f, v26
	v_cmp_ne_u32_e64 s[4:5], s61, v41
	v_mov_b32_e32 v40, 0x7f800001
	s_and_saveexec_b64 s[50:51], s[4:5]
	s_cbranch_execz .LBB350_31
; %bb.30:                               ;   in Loop: Header=BB350_14 Depth=1
	v_and_b32_e32 v40, 7, v26
	v_ffbh_u32_e32 v42, v40
	v_min_u32_e32 v45, 32, v42
	v_subrev_u32_e32 v42, 28, v45
	v_lshlrev_b64 v[42:43], v42, v[26:27]
	v_lshrrev_b32_e32 v44, 3, v41
	v_sub_u32_e32 v26, 29, v45
	v_and_b32_e32 v42, 7, v42
	v_cmp_gt_u32_e64 s[4:5], 8, v41
	v_cndmask_b32_e64 v26, v44, v26, s[4:5]
	v_cndmask_b32_e64 v40, v40, v42, s[4:5]
	v_lshlrev_b32_e32 v24, 16, v24
	v_lshlrev_b32_e32 v40, 20, v40
	v_and_b32_e32 v24, 0x80000000, v24
	v_lshl_add_u32 v26, v26, 23, v36
	v_or3_b32 v40, v24, v26, v40
.LBB350_31:                             ;   in Loop: Header=BB350_14 Depth=1
	s_or_b64 exec, exec, s[50:51]
.LBB350_32:                             ;   in Loop: Header=BB350_14 Depth=1
	s_or_b64 exec, exec, s[48:49]
.LBB350_33:                             ;   in Loop: Header=BB350_14 Depth=1
	s_or_b64 exec, exec, s[46:47]
	v_mul_f32_e32 v24, s64, v40
	v_and_b32_e32 v26, 0x7f800000, v24
	v_cmp_ne_u32_e64 s[4:5], s62, v26
                                        ; implicit-def: $vgpr40
	s_and_saveexec_b64 s[46:47], s[4:5]
	s_xor_b64 s[4:5], exec, s[46:47]
; %bb.34:                               ;   in Loop: Header=BB350_14 Depth=1
	v_bfe_u32 v26, v24, 16, 1
	v_add3_u32 v40, v24, v26, s63
                                        ; implicit-def: $vgpr24
; %bb.35:                               ;   in Loop: Header=BB350_14 Depth=1
	s_andn2_saveexec_b64 s[46:47], s[4:5]
; %bb.36:                               ;   in Loop: Header=BB350_14 Depth=1
	v_or_b32_e32 v26, 0x10000, v24
	v_cmp_eq_u32_sdwa s[4:5], v24, v28 src0_sel:WORD_0 src1_sel:DWORD
	v_cndmask_b32_e64 v40, v26, v24, s[4:5]
; %bb.37:                               ;   in Loop: Header=BB350_14 Depth=1
	s_or_b64 exec, exec, s[46:47]
	global_load_ushort v26, v[22:23], off offset:8
	s_waitcnt vmcnt(0)
	v_and_b32_e32 v24, 0xffff, v26
	v_cmp_ne_u16_sdwa s[4:5], v26, v28 src0_sel:BYTE_0 src1_sel:DWORD
	v_mov_b32_e32 v26, 0
	s_and_saveexec_b64 s[46:47], s[4:5]
	s_cbranch_execz .LBB350_43
; %bb.38:                               ;   in Loop: Header=BB350_14 Depth=1
	v_cmp_ne_u16_sdwa s[4:5], v24, s60 src0_sel:BYTE_0 src1_sel:DWORD
	v_bfrev_b32_e32 v26, 1
	s_and_saveexec_b64 s[48:49], s[4:5]
	s_cbranch_execz .LBB350_42
; %bb.39:                               ;   in Loop: Header=BB350_14 Depth=1
	v_and_b32_e32 v41, 0x7f, v24
	v_cmp_ne_u32_e64 s[4:5], s61, v41
	v_mov_b32_e32 v26, 0x7f800001
	s_and_saveexec_b64 s[50:51], s[4:5]
	s_cbranch_execz .LBB350_41
; %bb.40:                               ;   in Loop: Header=BB350_14 Depth=1
	v_and_b32_e32 v26, 7, v24
	v_ffbh_u32_e32 v42, v26
	v_min_u32_e32 v45, 32, v42
	v_subrev_u32_e32 v42, 28, v45
	v_lshlrev_b64 v[42:43], v42, v[24:25]
	v_lshrrev_b32_e32 v44, 3, v41
	v_sub_u32_e32 v43, 29, v45
	v_and_b32_e32 v42, 7, v42
	v_cmp_gt_u32_e64 s[4:5], 8, v41
	v_cndmask_b32_e64 v41, v44, v43, s[4:5]
	v_cndmask_b32_e64 v26, v26, v42, s[4:5]
	v_lshlrev_b32_e32 v42, 24, v24
	v_lshlrev_b32_e32 v26, 20, v26
	v_and_b32_e32 v42, 0x80000000, v42
	v_lshl_add_u32 v41, v41, 23, v36
	v_or3_b32 v26, v42, v41, v26
.LBB350_41:                             ;   in Loop: Header=BB350_14 Depth=1
	s_or_b64 exec, exec, s[50:51]
.LBB350_42:                             ;   in Loop: Header=BB350_14 Depth=1
	s_or_b64 exec, exec, s[48:49]
.LBB350_43:                             ;   in Loop: Header=BB350_14 Depth=1
	s_or_b64 exec, exec, s[46:47]
	v_mul_f32_e32 v26, s64, v26
	v_and_b32_e32 v41, 0x7f800000, v26
	v_cmp_ne_u32_e64 s[4:5], s62, v41
                                        ; implicit-def: $vgpr41
	s_and_saveexec_b64 s[46:47], s[4:5]
	s_xor_b64 s[4:5], exec, s[46:47]
; %bb.44:                               ;   in Loop: Header=BB350_14 Depth=1
	v_bfe_u32 v41, v26, 16, 1
	v_add3_u32 v41, v26, v41, s63
                                        ; implicit-def: $vgpr26
; %bb.45:                               ;   in Loop: Header=BB350_14 Depth=1
	s_andn2_saveexec_b64 s[46:47], s[4:5]
; %bb.46:                               ;   in Loop: Header=BB350_14 Depth=1
	v_or_b32_e32 v41, 0x10000, v26
	v_cmp_eq_u32_sdwa s[4:5], v26, v28 src0_sel:WORD_0 src1_sel:DWORD
	v_cndmask_b32_e64 v41, v41, v26, s[4:5]
; %bb.47:                               ;   in Loop: Header=BB350_14 Depth=1
	s_or_b64 exec, exec, s[46:47]
	v_lshrrev_b16_e32 v26, 8, v24
	v_cmp_ne_u16_e64 s[4:5], 0, v26
	v_mov_b32_e32 v42, 0
	s_and_saveexec_b64 s[46:47], s[4:5]
	s_cbranch_execz .LBB350_53
; %bb.48:                               ;   in Loop: Header=BB350_14 Depth=1
	v_cmp_ne_u16_e64 s[4:5], s60, v26
	v_bfrev_b32_e32 v42, 1
	s_and_saveexec_b64 s[48:49], s[4:5]
	s_cbranch_execz .LBB350_52
; %bb.49:                               ;   in Loop: Header=BB350_14 Depth=1
	v_and_b32_e32 v43, 0x7f, v26
	v_cmp_ne_u32_e64 s[4:5], s61, v43
	v_mov_b32_e32 v42, 0x7f800001
	s_and_saveexec_b64 s[50:51], s[4:5]
	s_cbranch_execz .LBB350_51
; %bb.50:                               ;   in Loop: Header=BB350_14 Depth=1
	v_and_b32_e32 v42, 7, v26
	v_ffbh_u32_e32 v44, v42
	v_min_u32_e32 v47, 32, v44
	v_subrev_u32_e32 v44, 28, v47
	v_lshlrev_b64 v[44:45], v44, v[26:27]
	v_lshrrev_b32_e32 v46, 3, v43
	v_sub_u32_e32 v26, 29, v47
	v_and_b32_e32 v44, 7, v44
	v_cmp_gt_u32_e64 s[4:5], 8, v43
	v_cndmask_b32_e64 v26, v46, v26, s[4:5]
	v_cndmask_b32_e64 v42, v42, v44, s[4:5]
	v_lshlrev_b32_e32 v24, 16, v24
	v_lshlrev_b32_e32 v42, 20, v42
	v_and_b32_e32 v24, 0x80000000, v24
	v_lshl_add_u32 v26, v26, 23, v36
	v_or3_b32 v42, v24, v26, v42
.LBB350_51:                             ;   in Loop: Header=BB350_14 Depth=1
	s_or_b64 exec, exec, s[50:51]
.LBB350_52:                             ;   in Loop: Header=BB350_14 Depth=1
	s_or_b64 exec, exec, s[48:49]
.LBB350_53:                             ;   in Loop: Header=BB350_14 Depth=1
	s_or_b64 exec, exec, s[46:47]
	v_mul_f32_e32 v24, s64, v42
	v_and_b32_e32 v26, 0x7f800000, v24
	v_cmp_ne_u32_e64 s[4:5], s62, v26
                                        ; implicit-def: $vgpr42
	s_and_saveexec_b64 s[46:47], s[4:5]
	s_xor_b64 s[4:5], exec, s[46:47]
; %bb.54:                               ;   in Loop: Header=BB350_14 Depth=1
	v_bfe_u32 v26, v24, 16, 1
	v_add3_u32 v42, v24, v26, s63
                                        ; implicit-def: $vgpr24
; %bb.55:                               ;   in Loop: Header=BB350_14 Depth=1
	s_andn2_saveexec_b64 s[46:47], s[4:5]
; %bb.56:                               ;   in Loop: Header=BB350_14 Depth=1
	v_or_b32_e32 v26, 0x10000, v24
	v_cmp_eq_u32_sdwa s[4:5], v24, v28 src0_sel:WORD_0 src1_sel:DWORD
	v_cndmask_b32_e64 v42, v26, v24, s[4:5]
; %bb.57:                               ;   in Loop: Header=BB350_14 Depth=1
	s_or_b64 exec, exec, s[46:47]
	global_load_ushort v26, v[22:23], off offset:256
	s_waitcnt vmcnt(0)
	v_and_b32_e32 v24, 0xffff, v26
	v_cmp_ne_u16_sdwa s[4:5], v26, v28 src0_sel:BYTE_0 src1_sel:DWORD
	v_mov_b32_e32 v26, 0
	s_and_saveexec_b64 s[46:47], s[4:5]
	s_cbranch_execz .LBB350_63
; %bb.58:                               ;   in Loop: Header=BB350_14 Depth=1
	v_cmp_ne_u16_sdwa s[4:5], v24, s60 src0_sel:BYTE_0 src1_sel:DWORD
	v_bfrev_b32_e32 v26, 1
	s_and_saveexec_b64 s[48:49], s[4:5]
	s_cbranch_execz .LBB350_62
; %bb.59:                               ;   in Loop: Header=BB350_14 Depth=1
	v_and_b32_e32 v43, 0x7f, v24
	v_cmp_ne_u32_e64 s[4:5], s61, v43
	v_mov_b32_e32 v26, 0x7f800001
	s_and_saveexec_b64 s[50:51], s[4:5]
	s_cbranch_execz .LBB350_61
; %bb.60:                               ;   in Loop: Header=BB350_14 Depth=1
	v_and_b32_e32 v26, 7, v24
	v_ffbh_u32_e32 v44, v26
	v_min_u32_e32 v47, 32, v44
	v_subrev_u32_e32 v44, 28, v47
	v_lshlrev_b64 v[44:45], v44, v[24:25]
	v_lshrrev_b32_e32 v46, 3, v43
	v_sub_u32_e32 v45, 29, v47
	v_and_b32_e32 v44, 7, v44
	v_cmp_gt_u32_e64 s[4:5], 8, v43
	v_cndmask_b32_e64 v43, v46, v45, s[4:5]
	v_cndmask_b32_e64 v26, v26, v44, s[4:5]
	v_lshlrev_b32_e32 v44, 24, v24
	v_lshlrev_b32_e32 v26, 20, v26
	v_and_b32_e32 v44, 0x80000000, v44
	v_lshl_add_u32 v43, v43, 23, v36
	v_or3_b32 v26, v44, v43, v26
.LBB350_61:                             ;   in Loop: Header=BB350_14 Depth=1
	s_or_b64 exec, exec, s[50:51]
.LBB350_62:                             ;   in Loop: Header=BB350_14 Depth=1
	s_or_b64 exec, exec, s[48:49]
.LBB350_63:                             ;   in Loop: Header=BB350_14 Depth=1
	s_or_b64 exec, exec, s[46:47]
	v_mul_f32_e32 v26, s64, v26
	v_and_b32_e32 v43, 0x7f800000, v26
	v_cmp_ne_u32_e64 s[4:5], s62, v43
                                        ; implicit-def: $vgpr43
	s_and_saveexec_b64 s[46:47], s[4:5]
	s_xor_b64 s[4:5], exec, s[46:47]
; %bb.64:                               ;   in Loop: Header=BB350_14 Depth=1
	v_bfe_u32 v43, v26, 16, 1
	v_add3_u32 v43, v26, v43, s63
                                        ; implicit-def: $vgpr26
; %bb.65:                               ;   in Loop: Header=BB350_14 Depth=1
	s_andn2_saveexec_b64 s[46:47], s[4:5]
; %bb.66:                               ;   in Loop: Header=BB350_14 Depth=1
	v_or_b32_e32 v43, 0x10000, v26
	v_cmp_eq_u32_sdwa s[4:5], v26, v28 src0_sel:WORD_0 src1_sel:DWORD
	v_cndmask_b32_e64 v43, v43, v26, s[4:5]
; %bb.67:                               ;   in Loop: Header=BB350_14 Depth=1
	s_or_b64 exec, exec, s[46:47]
	v_lshrrev_b16_e32 v26, 8, v24
	v_cmp_ne_u16_e64 s[4:5], 0, v26
	v_mov_b32_e32 v44, 0
	s_and_saveexec_b64 s[46:47], s[4:5]
	s_cbranch_execz .LBB350_73
; %bb.68:                               ;   in Loop: Header=BB350_14 Depth=1
	v_cmp_ne_u16_e64 s[4:5], s60, v26
	v_bfrev_b32_e32 v44, 1
	s_and_saveexec_b64 s[48:49], s[4:5]
	s_cbranch_execz .LBB350_72
; %bb.69:                               ;   in Loop: Header=BB350_14 Depth=1
	v_and_b32_e32 v45, 0x7f, v26
	v_cmp_ne_u32_e64 s[4:5], s61, v45
	v_mov_b32_e32 v44, 0x7f800001
	s_and_saveexec_b64 s[50:51], s[4:5]
	s_cbranch_execz .LBB350_71
; %bb.70:                               ;   in Loop: Header=BB350_14 Depth=1
	v_and_b32_e32 v44, 7, v26
	v_ffbh_u32_e32 v46, v44
	v_min_u32_e32 v49, 32, v46
	v_subrev_u32_e32 v46, 28, v49
	v_lshlrev_b64 v[46:47], v46, v[26:27]
	v_lshrrev_b32_e32 v48, 3, v45
	v_sub_u32_e32 v26, 29, v49
	v_and_b32_e32 v46, 7, v46
	v_cmp_gt_u32_e64 s[4:5], 8, v45
	v_cndmask_b32_e64 v26, v48, v26, s[4:5]
	v_cndmask_b32_e64 v44, v44, v46, s[4:5]
	v_lshlrev_b32_e32 v24, 16, v24
	v_lshlrev_b32_e32 v44, 20, v44
	v_and_b32_e32 v24, 0x80000000, v24
	v_lshl_add_u32 v26, v26, 23, v36
	v_or3_b32 v44, v24, v26, v44
.LBB350_71:                             ;   in Loop: Header=BB350_14 Depth=1
	s_or_b64 exec, exec, s[50:51]
.LBB350_72:                             ;   in Loop: Header=BB350_14 Depth=1
	s_or_b64 exec, exec, s[48:49]
.LBB350_73:                             ;   in Loop: Header=BB350_14 Depth=1
	s_or_b64 exec, exec, s[46:47]
	v_mul_f32_e32 v24, s64, v44
	v_and_b32_e32 v26, 0x7f800000, v24
	v_cmp_ne_u32_e64 s[4:5], s62, v26
                                        ; implicit-def: $vgpr44
	s_and_saveexec_b64 s[46:47], s[4:5]
	s_xor_b64 s[4:5], exec, s[46:47]
; %bb.74:                               ;   in Loop: Header=BB350_14 Depth=1
	v_bfe_u32 v26, v24, 16, 1
	v_add3_u32 v44, v24, v26, s63
                                        ; implicit-def: $vgpr24
; %bb.75:                               ;   in Loop: Header=BB350_14 Depth=1
	s_andn2_saveexec_b64 s[46:47], s[4:5]
; %bb.76:                               ;   in Loop: Header=BB350_14 Depth=1
	v_or_b32_e32 v26, 0x10000, v24
	v_cmp_eq_u32_sdwa s[4:5], v24, v28 src0_sel:WORD_0 src1_sel:DWORD
	v_cndmask_b32_e64 v44, v26, v24, s[4:5]
; %bb.77:                               ;   in Loop: Header=BB350_14 Depth=1
	s_or_b64 exec, exec, s[46:47]
	global_load_ushort v26, v[22:23], off offset:264
	s_waitcnt vmcnt(0)
	v_and_b32_e32 v24, 0xffff, v26
	v_cmp_ne_u16_sdwa s[4:5], v26, v28 src0_sel:BYTE_0 src1_sel:DWORD
	v_mov_b32_e32 v26, 0
	s_and_saveexec_b64 s[46:47], s[4:5]
	s_cbranch_execz .LBB350_83
; %bb.78:                               ;   in Loop: Header=BB350_14 Depth=1
	v_cmp_ne_u16_sdwa s[4:5], v24, s60 src0_sel:BYTE_0 src1_sel:DWORD
	v_bfrev_b32_e32 v26, 1
	s_and_saveexec_b64 s[48:49], s[4:5]
	s_cbranch_execz .LBB350_82
; %bb.79:                               ;   in Loop: Header=BB350_14 Depth=1
	v_and_b32_e32 v45, 0x7f, v24
	v_cmp_ne_u32_e64 s[4:5], s61, v45
	v_mov_b32_e32 v26, 0x7f800001
	s_and_saveexec_b64 s[50:51], s[4:5]
	s_cbranch_execz .LBB350_81
; %bb.80:                               ;   in Loop: Header=BB350_14 Depth=1
	v_and_b32_e32 v26, 7, v24
	v_ffbh_u32_e32 v46, v26
	v_min_u32_e32 v49, 32, v46
	v_subrev_u32_e32 v46, 28, v49
	v_lshlrev_b64 v[46:47], v46, v[24:25]
	v_lshrrev_b32_e32 v48, 3, v45
	v_sub_u32_e32 v47, 29, v49
	v_and_b32_e32 v46, 7, v46
	v_cmp_gt_u32_e64 s[4:5], 8, v45
	v_cndmask_b32_e64 v45, v48, v47, s[4:5]
	v_cndmask_b32_e64 v26, v26, v46, s[4:5]
	v_lshlrev_b32_e32 v46, 24, v24
	v_lshlrev_b32_e32 v26, 20, v26
	v_and_b32_e32 v46, 0x80000000, v46
	v_lshl_add_u32 v45, v45, 23, v36
	v_or3_b32 v26, v46, v45, v26
.LBB350_81:                             ;   in Loop: Header=BB350_14 Depth=1
	s_or_b64 exec, exec, s[50:51]
.LBB350_82:                             ;   in Loop: Header=BB350_14 Depth=1
	s_or_b64 exec, exec, s[48:49]
.LBB350_83:                             ;   in Loop: Header=BB350_14 Depth=1
	s_or_b64 exec, exec, s[46:47]
	v_mul_f32_e32 v26, s64, v26
	v_and_b32_e32 v45, 0x7f800000, v26
	v_cmp_ne_u32_e64 s[4:5], s62, v45
                                        ; implicit-def: $vgpr45
	s_and_saveexec_b64 s[46:47], s[4:5]
	s_xor_b64 s[4:5], exec, s[46:47]
; %bb.84:                               ;   in Loop: Header=BB350_14 Depth=1
	v_bfe_u32 v45, v26, 16, 1
	v_add3_u32 v45, v26, v45, s63
                                        ; implicit-def: $vgpr26
; %bb.85:                               ;   in Loop: Header=BB350_14 Depth=1
	s_andn2_saveexec_b64 s[46:47], s[4:5]
; %bb.86:                               ;   in Loop: Header=BB350_14 Depth=1
	v_or_b32_e32 v45, 0x10000, v26
	v_cmp_eq_u32_sdwa s[4:5], v26, v28 src0_sel:WORD_0 src1_sel:DWORD
	v_cndmask_b32_e64 v45, v45, v26, s[4:5]
; %bb.87:                               ;   in Loop: Header=BB350_14 Depth=1
	s_or_b64 exec, exec, s[46:47]
	v_lshrrev_b16_e32 v26, 8, v24
	v_cmp_ne_u16_e64 s[4:5], 0, v26
	v_mov_b32_e32 v46, 0
	s_and_saveexec_b64 s[46:47], s[4:5]
	s_cbranch_execz .LBB350_93
; %bb.88:                               ;   in Loop: Header=BB350_14 Depth=1
	v_cmp_ne_u16_e64 s[4:5], s60, v26
	v_bfrev_b32_e32 v46, 1
	s_and_saveexec_b64 s[48:49], s[4:5]
	s_cbranch_execz .LBB350_92
; %bb.89:                               ;   in Loop: Header=BB350_14 Depth=1
	v_and_b32_e32 v47, 0x7f, v26
	v_cmp_ne_u32_e64 s[4:5], s61, v47
	v_mov_b32_e32 v46, 0x7f800001
	s_and_saveexec_b64 s[50:51], s[4:5]
	s_cbranch_execz .LBB350_91
; %bb.90:                               ;   in Loop: Header=BB350_14 Depth=1
	v_and_b32_e32 v46, 7, v26
	v_ffbh_u32_e32 v48, v46
	v_min_u32_e32 v51, 32, v48
	v_subrev_u32_e32 v48, 28, v51
	v_lshlrev_b64 v[48:49], v48, v[26:27]
	v_lshrrev_b32_e32 v50, 3, v47
	v_sub_u32_e32 v26, 29, v51
	v_and_b32_e32 v48, 7, v48
	v_cmp_gt_u32_e64 s[4:5], 8, v47
	v_cndmask_b32_e64 v26, v50, v26, s[4:5]
	v_cndmask_b32_e64 v46, v46, v48, s[4:5]
	v_lshlrev_b32_e32 v24, 16, v24
	v_lshlrev_b32_e32 v46, 20, v46
	v_and_b32_e32 v24, 0x80000000, v24
	v_lshl_add_u32 v26, v26, 23, v36
	v_or3_b32 v46, v24, v26, v46
.LBB350_91:                             ;   in Loop: Header=BB350_14 Depth=1
	s_or_b64 exec, exec, s[50:51]
.LBB350_92:                             ;   in Loop: Header=BB350_14 Depth=1
	s_or_b64 exec, exec, s[48:49]
.LBB350_93:                             ;   in Loop: Header=BB350_14 Depth=1
	s_or_b64 exec, exec, s[46:47]
	v_mul_f32_e32 v24, s64, v46
	v_and_b32_e32 v26, 0x7f800000, v24
	v_cmp_ne_u32_e64 s[4:5], s62, v26
                                        ; implicit-def: $vgpr46
	s_and_saveexec_b64 s[46:47], s[4:5]
	s_xor_b64 s[4:5], exec, s[46:47]
; %bb.94:                               ;   in Loop: Header=BB350_14 Depth=1
	v_bfe_u32 v26, v24, 16, 1
	v_add3_u32 v46, v24, v26, s63
                                        ; implicit-def: $vgpr24
; %bb.95:                               ;   in Loop: Header=BB350_14 Depth=1
	s_andn2_saveexec_b64 s[46:47], s[4:5]
; %bb.96:                               ;   in Loop: Header=BB350_14 Depth=1
	v_or_b32_e32 v26, 0x10000, v24
	v_cmp_eq_u32_sdwa s[4:5], v24, v28 src0_sel:WORD_0 src1_sel:DWORD
	v_cndmask_b32_e64 v46, v26, v24, s[4:5]
; %bb.97:                               ;   in Loop: Header=BB350_14 Depth=1
	s_or_b64 exec, exec, s[46:47]
	global_load_ushort v26, v[22:23], off offset:512
	s_waitcnt vmcnt(0)
	v_and_b32_e32 v24, 0xffff, v26
	v_cmp_ne_u16_sdwa s[4:5], v26, v28 src0_sel:BYTE_0 src1_sel:DWORD
	v_mov_b32_e32 v26, 0
	s_and_saveexec_b64 s[46:47], s[4:5]
	s_cbranch_execz .LBB350_103
; %bb.98:                               ;   in Loop: Header=BB350_14 Depth=1
	v_cmp_ne_u16_sdwa s[4:5], v24, s60 src0_sel:BYTE_0 src1_sel:DWORD
	v_bfrev_b32_e32 v26, 1
	s_and_saveexec_b64 s[48:49], s[4:5]
	s_cbranch_execz .LBB350_102
; %bb.99:                               ;   in Loop: Header=BB350_14 Depth=1
	v_and_b32_e32 v47, 0x7f, v24
	v_cmp_ne_u32_e64 s[4:5], s61, v47
	v_mov_b32_e32 v26, 0x7f800001
	s_and_saveexec_b64 s[50:51], s[4:5]
	s_cbranch_execz .LBB350_101
; %bb.100:                              ;   in Loop: Header=BB350_14 Depth=1
	v_and_b32_e32 v26, 7, v24
	v_ffbh_u32_e32 v48, v26
	v_min_u32_e32 v51, 32, v48
	v_subrev_u32_e32 v48, 28, v51
	v_lshlrev_b64 v[48:49], v48, v[24:25]
	v_lshrrev_b32_e32 v50, 3, v47
	v_sub_u32_e32 v49, 29, v51
	v_and_b32_e32 v48, 7, v48
	v_cmp_gt_u32_e64 s[4:5], 8, v47
	v_cndmask_b32_e64 v47, v50, v49, s[4:5]
	v_cndmask_b32_e64 v26, v26, v48, s[4:5]
	v_lshlrev_b32_e32 v48, 24, v24
	v_lshlrev_b32_e32 v26, 20, v26
	v_and_b32_e32 v48, 0x80000000, v48
	v_lshl_add_u32 v47, v47, 23, v36
	v_or3_b32 v26, v48, v47, v26
.LBB350_101:                            ;   in Loop: Header=BB350_14 Depth=1
	s_or_b64 exec, exec, s[50:51]
.LBB350_102:                            ;   in Loop: Header=BB350_14 Depth=1
	s_or_b64 exec, exec, s[48:49]
.LBB350_103:                            ;   in Loop: Header=BB350_14 Depth=1
	s_or_b64 exec, exec, s[46:47]
	v_mul_f32_e32 v26, s64, v26
	v_and_b32_e32 v47, 0x7f800000, v26
	v_cmp_ne_u32_e64 s[4:5], s62, v47
                                        ; implicit-def: $vgpr47
	s_and_saveexec_b64 s[46:47], s[4:5]
	s_xor_b64 s[4:5], exec, s[46:47]
; %bb.104:                              ;   in Loop: Header=BB350_14 Depth=1
	v_bfe_u32 v47, v26, 16, 1
	v_add3_u32 v47, v26, v47, s63
                                        ; implicit-def: $vgpr26
; %bb.105:                              ;   in Loop: Header=BB350_14 Depth=1
	s_andn2_saveexec_b64 s[46:47], s[4:5]
; %bb.106:                              ;   in Loop: Header=BB350_14 Depth=1
	v_or_b32_e32 v47, 0x10000, v26
	v_cmp_eq_u32_sdwa s[4:5], v26, v28 src0_sel:WORD_0 src1_sel:DWORD
	v_cndmask_b32_e64 v47, v47, v26, s[4:5]
; %bb.107:                              ;   in Loop: Header=BB350_14 Depth=1
	s_or_b64 exec, exec, s[46:47]
	v_lshrrev_b16_e32 v26, 8, v24
	v_cmp_ne_u16_e64 s[4:5], 0, v26
	v_mov_b32_e32 v48, 0
	s_and_saveexec_b64 s[46:47], s[4:5]
	s_cbranch_execz .LBB350_113
; %bb.108:                              ;   in Loop: Header=BB350_14 Depth=1
	v_cmp_ne_u16_e64 s[4:5], s60, v26
	v_bfrev_b32_e32 v48, 1
	s_and_saveexec_b64 s[48:49], s[4:5]
	s_cbranch_execz .LBB350_112
; %bb.109:                              ;   in Loop: Header=BB350_14 Depth=1
	v_and_b32_e32 v49, 0x7f, v26
	v_cmp_ne_u32_e64 s[4:5], s61, v49
	v_mov_b32_e32 v48, 0x7f800001
	s_and_saveexec_b64 s[50:51], s[4:5]
	s_cbranch_execz .LBB350_111
; %bb.110:                              ;   in Loop: Header=BB350_14 Depth=1
	v_and_b32_e32 v48, 7, v26
	v_ffbh_u32_e32 v50, v48
	v_min_u32_e32 v53, 32, v50
	v_subrev_u32_e32 v50, 28, v53
	v_lshlrev_b64 v[50:51], v50, v[26:27]
	v_lshrrev_b32_e32 v52, 3, v49
	v_sub_u32_e32 v26, 29, v53
	v_and_b32_e32 v50, 7, v50
	v_cmp_gt_u32_e64 s[4:5], 8, v49
	v_cndmask_b32_e64 v26, v52, v26, s[4:5]
	v_cndmask_b32_e64 v48, v48, v50, s[4:5]
	v_lshlrev_b32_e32 v24, 16, v24
	v_lshlrev_b32_e32 v48, 20, v48
	v_and_b32_e32 v24, 0x80000000, v24
	v_lshl_add_u32 v26, v26, 23, v36
	v_or3_b32 v48, v24, v26, v48
.LBB350_111:                            ;   in Loop: Header=BB350_14 Depth=1
	s_or_b64 exec, exec, s[50:51]
.LBB350_112:                            ;   in Loop: Header=BB350_14 Depth=1
	s_or_b64 exec, exec, s[48:49]
.LBB350_113:                            ;   in Loop: Header=BB350_14 Depth=1
	s_or_b64 exec, exec, s[46:47]
	v_mul_f32_e32 v24, s64, v48
	v_and_b32_e32 v26, 0x7f800000, v24
	v_cmp_ne_u32_e64 s[4:5], s62, v26
                                        ; implicit-def: $vgpr48
	s_and_saveexec_b64 s[46:47], s[4:5]
	s_xor_b64 s[4:5], exec, s[46:47]
; %bb.114:                              ;   in Loop: Header=BB350_14 Depth=1
	v_bfe_u32 v26, v24, 16, 1
	v_add3_u32 v48, v24, v26, s63
                                        ; implicit-def: $vgpr24
; %bb.115:                              ;   in Loop: Header=BB350_14 Depth=1
	s_andn2_saveexec_b64 s[46:47], s[4:5]
; %bb.116:                              ;   in Loop: Header=BB350_14 Depth=1
	v_or_b32_e32 v26, 0x10000, v24
	v_cmp_eq_u32_sdwa s[4:5], v24, v28 src0_sel:WORD_0 src1_sel:DWORD
	v_cndmask_b32_e64 v48, v26, v24, s[4:5]
; %bb.117:                              ;   in Loop: Header=BB350_14 Depth=1
	s_or_b64 exec, exec, s[46:47]
	global_load_ushort v26, v[22:23], off offset:520
	s_waitcnt vmcnt(0)
	v_and_b32_e32 v24, 0xffff, v26
	v_cmp_ne_u16_sdwa s[4:5], v26, v28 src0_sel:BYTE_0 src1_sel:DWORD
	v_mov_b32_e32 v26, 0
	s_and_saveexec_b64 s[46:47], s[4:5]
	s_cbranch_execz .LBB350_123
; %bb.118:                              ;   in Loop: Header=BB350_14 Depth=1
	v_cmp_ne_u16_sdwa s[4:5], v24, s60 src0_sel:BYTE_0 src1_sel:DWORD
	v_bfrev_b32_e32 v26, 1
	s_and_saveexec_b64 s[48:49], s[4:5]
	s_cbranch_execz .LBB350_122
; %bb.119:                              ;   in Loop: Header=BB350_14 Depth=1
	v_and_b32_e32 v49, 0x7f, v24
	v_cmp_ne_u32_e64 s[4:5], s61, v49
	v_mov_b32_e32 v26, 0x7f800001
	s_and_saveexec_b64 s[50:51], s[4:5]
	s_cbranch_execz .LBB350_121
; %bb.120:                              ;   in Loop: Header=BB350_14 Depth=1
	v_and_b32_e32 v26, 7, v24
	v_ffbh_u32_e32 v50, v26
	v_min_u32_e32 v53, 32, v50
	v_subrev_u32_e32 v50, 28, v53
	v_lshlrev_b64 v[50:51], v50, v[24:25]
	v_lshrrev_b32_e32 v52, 3, v49
	v_sub_u32_e32 v51, 29, v53
	v_and_b32_e32 v50, 7, v50
	v_cmp_gt_u32_e64 s[4:5], 8, v49
	v_cndmask_b32_e64 v49, v52, v51, s[4:5]
	v_cndmask_b32_e64 v26, v26, v50, s[4:5]
	v_lshlrev_b32_e32 v50, 24, v24
	v_lshlrev_b32_e32 v26, 20, v26
	v_and_b32_e32 v50, 0x80000000, v50
	v_lshl_add_u32 v49, v49, 23, v36
	v_or3_b32 v26, v50, v49, v26
.LBB350_121:                            ;   in Loop: Header=BB350_14 Depth=1
	s_or_b64 exec, exec, s[50:51]
.LBB350_122:                            ;   in Loop: Header=BB350_14 Depth=1
	s_or_b64 exec, exec, s[48:49]
.LBB350_123:                            ;   in Loop: Header=BB350_14 Depth=1
	s_or_b64 exec, exec, s[46:47]
	v_mul_f32_e32 v26, s64, v26
	v_and_b32_e32 v49, 0x7f800000, v26
	v_cmp_ne_u32_e64 s[4:5], s62, v49
                                        ; implicit-def: $vgpr49
	s_and_saveexec_b64 s[46:47], s[4:5]
	s_xor_b64 s[4:5], exec, s[46:47]
; %bb.124:                              ;   in Loop: Header=BB350_14 Depth=1
	v_bfe_u32 v49, v26, 16, 1
	v_add3_u32 v49, v26, v49, s63
                                        ; implicit-def: $vgpr26
; %bb.125:                              ;   in Loop: Header=BB350_14 Depth=1
	s_andn2_saveexec_b64 s[46:47], s[4:5]
; %bb.126:                              ;   in Loop: Header=BB350_14 Depth=1
	v_or_b32_e32 v49, 0x10000, v26
	v_cmp_eq_u32_sdwa s[4:5], v26, v28 src0_sel:WORD_0 src1_sel:DWORD
	v_cndmask_b32_e64 v49, v49, v26, s[4:5]
; %bb.127:                              ;   in Loop: Header=BB350_14 Depth=1
	s_or_b64 exec, exec, s[46:47]
	v_lshrrev_b16_e32 v26, 8, v24
	v_cmp_ne_u16_e64 s[4:5], 0, v26
	v_mov_b32_e32 v50, 0
	s_and_saveexec_b64 s[46:47], s[4:5]
	s_cbranch_execz .LBB350_133
; %bb.128:                              ;   in Loop: Header=BB350_14 Depth=1
	v_cmp_ne_u16_e64 s[4:5], s60, v26
	v_bfrev_b32_e32 v50, 1
	s_and_saveexec_b64 s[48:49], s[4:5]
	s_cbranch_execz .LBB350_132
; %bb.129:                              ;   in Loop: Header=BB350_14 Depth=1
	v_and_b32_e32 v51, 0x7f, v26
	v_cmp_ne_u32_e64 s[4:5], s61, v51
	v_mov_b32_e32 v50, 0x7f800001
	s_and_saveexec_b64 s[50:51], s[4:5]
	s_cbranch_execz .LBB350_131
; %bb.130:                              ;   in Loop: Header=BB350_14 Depth=1
	v_and_b32_e32 v50, 7, v26
	v_ffbh_u32_e32 v52, v50
	v_min_u32_e32 v55, 32, v52
	v_subrev_u32_e32 v52, 28, v55
	v_lshlrev_b64 v[52:53], v52, v[26:27]
	v_lshrrev_b32_e32 v54, 3, v51
	v_sub_u32_e32 v26, 29, v55
	v_and_b32_e32 v52, 7, v52
	v_cmp_gt_u32_e64 s[4:5], 8, v51
	v_cndmask_b32_e64 v26, v54, v26, s[4:5]
	v_cndmask_b32_e64 v50, v50, v52, s[4:5]
	v_lshlrev_b32_e32 v24, 16, v24
	v_lshlrev_b32_e32 v50, 20, v50
	v_and_b32_e32 v24, 0x80000000, v24
	v_lshl_add_u32 v26, v26, 23, v36
	v_or3_b32 v50, v24, v26, v50
.LBB350_131:                            ;   in Loop: Header=BB350_14 Depth=1
	s_or_b64 exec, exec, s[50:51]
.LBB350_132:                            ;   in Loop: Header=BB350_14 Depth=1
	s_or_b64 exec, exec, s[48:49]
.LBB350_133:                            ;   in Loop: Header=BB350_14 Depth=1
	s_or_b64 exec, exec, s[46:47]
	v_mul_f32_e32 v24, s64, v50
	v_and_b32_e32 v26, 0x7f800000, v24
	v_cmp_ne_u32_e64 s[4:5], s62, v26
                                        ; implicit-def: $vgpr50
	s_and_saveexec_b64 s[46:47], s[4:5]
	s_xor_b64 s[4:5], exec, s[46:47]
; %bb.134:                              ;   in Loop: Header=BB350_14 Depth=1
	v_bfe_u32 v26, v24, 16, 1
	v_add3_u32 v50, v24, v26, s63
                                        ; implicit-def: $vgpr24
; %bb.135:                              ;   in Loop: Header=BB350_14 Depth=1
	s_andn2_saveexec_b64 s[46:47], s[4:5]
; %bb.136:                              ;   in Loop: Header=BB350_14 Depth=1
	v_or_b32_e32 v26, 0x10000, v24
	v_cmp_eq_u32_sdwa s[4:5], v24, v28 src0_sel:WORD_0 src1_sel:DWORD
	v_cndmask_b32_e64 v50, v26, v24, s[4:5]
; %bb.137:                              ;   in Loop: Header=BB350_14 Depth=1
	s_or_b64 exec, exec, s[46:47]
	global_load_ushort v26, v[22:23], off offset:768
	s_waitcnt vmcnt(0)
	v_and_b32_e32 v24, 0xffff, v26
	v_cmp_ne_u16_sdwa s[4:5], v26, v28 src0_sel:BYTE_0 src1_sel:DWORD
	v_mov_b32_e32 v26, 0
	s_and_saveexec_b64 s[46:47], s[4:5]
	s_cbranch_execz .LBB350_143
; %bb.138:                              ;   in Loop: Header=BB350_14 Depth=1
	v_cmp_ne_u16_sdwa s[4:5], v24, s60 src0_sel:BYTE_0 src1_sel:DWORD
	v_bfrev_b32_e32 v26, 1
	s_and_saveexec_b64 s[48:49], s[4:5]
	s_cbranch_execz .LBB350_142
; %bb.139:                              ;   in Loop: Header=BB350_14 Depth=1
	v_and_b32_e32 v51, 0x7f, v24
	v_cmp_ne_u32_e64 s[4:5], s61, v51
	v_mov_b32_e32 v26, 0x7f800001
	s_and_saveexec_b64 s[50:51], s[4:5]
	s_cbranch_execz .LBB350_141
; %bb.140:                              ;   in Loop: Header=BB350_14 Depth=1
	v_and_b32_e32 v26, 7, v24
	v_ffbh_u32_e32 v52, v26
	v_min_u32_e32 v55, 32, v52
	v_subrev_u32_e32 v52, 28, v55
	v_lshlrev_b64 v[52:53], v52, v[24:25]
	v_lshrrev_b32_e32 v54, 3, v51
	v_sub_u32_e32 v53, 29, v55
	v_and_b32_e32 v52, 7, v52
	v_cmp_gt_u32_e64 s[4:5], 8, v51
	v_cndmask_b32_e64 v51, v54, v53, s[4:5]
	v_cndmask_b32_e64 v26, v26, v52, s[4:5]
	v_lshlrev_b32_e32 v52, 24, v24
	v_lshlrev_b32_e32 v26, 20, v26
	v_and_b32_e32 v52, 0x80000000, v52
	v_lshl_add_u32 v51, v51, 23, v36
	v_or3_b32 v26, v52, v51, v26
.LBB350_141:                            ;   in Loop: Header=BB350_14 Depth=1
	s_or_b64 exec, exec, s[50:51]
.LBB350_142:                            ;   in Loop: Header=BB350_14 Depth=1
	s_or_b64 exec, exec, s[48:49]
.LBB350_143:                            ;   in Loop: Header=BB350_14 Depth=1
	s_or_b64 exec, exec, s[46:47]
	v_mul_f32_e32 v26, s64, v26
	v_and_b32_e32 v51, 0x7f800000, v26
	v_cmp_ne_u32_e64 s[4:5], s62, v51
                                        ; implicit-def: $vgpr51
	s_and_saveexec_b64 s[46:47], s[4:5]
	s_xor_b64 s[4:5], exec, s[46:47]
; %bb.144:                              ;   in Loop: Header=BB350_14 Depth=1
	v_bfe_u32 v51, v26, 16, 1
	v_add3_u32 v51, v26, v51, s63
                                        ; implicit-def: $vgpr26
; %bb.145:                              ;   in Loop: Header=BB350_14 Depth=1
	s_andn2_saveexec_b64 s[46:47], s[4:5]
; %bb.146:                              ;   in Loop: Header=BB350_14 Depth=1
	v_or_b32_e32 v51, 0x10000, v26
	v_cmp_eq_u32_sdwa s[4:5], v26, v28 src0_sel:WORD_0 src1_sel:DWORD
	v_cndmask_b32_e64 v51, v51, v26, s[4:5]
; %bb.147:                              ;   in Loop: Header=BB350_14 Depth=1
	s_or_b64 exec, exec, s[46:47]
	v_lshrrev_b16_e32 v26, 8, v24
	v_cmp_ne_u16_e64 s[4:5], 0, v26
	v_mov_b32_e32 v52, 0
	s_and_saveexec_b64 s[46:47], s[4:5]
	s_cbranch_execz .LBB350_153
; %bb.148:                              ;   in Loop: Header=BB350_14 Depth=1
	v_cmp_ne_u16_e64 s[4:5], s60, v26
	v_bfrev_b32_e32 v52, 1
	s_and_saveexec_b64 s[48:49], s[4:5]
	s_cbranch_execz .LBB350_152
; %bb.149:                              ;   in Loop: Header=BB350_14 Depth=1
	v_and_b32_e32 v53, 0x7f, v26
	v_cmp_ne_u32_e64 s[4:5], s61, v53
	v_mov_b32_e32 v52, 0x7f800001
	s_and_saveexec_b64 s[50:51], s[4:5]
	s_cbranch_execz .LBB350_151
; %bb.150:                              ;   in Loop: Header=BB350_14 Depth=1
	v_and_b32_e32 v52, 7, v26
	v_ffbh_u32_e32 v54, v52
	v_min_u32_e32 v57, 32, v54
	v_subrev_u32_e32 v54, 28, v57
	v_lshlrev_b64 v[54:55], v54, v[26:27]
	v_lshrrev_b32_e32 v56, 3, v53
	v_sub_u32_e32 v26, 29, v57
	v_and_b32_e32 v54, 7, v54
	v_cmp_gt_u32_e64 s[4:5], 8, v53
	v_cndmask_b32_e64 v26, v56, v26, s[4:5]
	v_cndmask_b32_e64 v52, v52, v54, s[4:5]
	v_lshlrev_b32_e32 v24, 16, v24
	v_lshlrev_b32_e32 v52, 20, v52
	v_and_b32_e32 v24, 0x80000000, v24
	v_lshl_add_u32 v26, v26, 23, v36
	v_or3_b32 v52, v24, v26, v52
.LBB350_151:                            ;   in Loop: Header=BB350_14 Depth=1
	s_or_b64 exec, exec, s[50:51]
.LBB350_152:                            ;   in Loop: Header=BB350_14 Depth=1
	s_or_b64 exec, exec, s[48:49]
.LBB350_153:                            ;   in Loop: Header=BB350_14 Depth=1
	s_or_b64 exec, exec, s[46:47]
	v_mul_f32_e32 v24, s64, v52
	v_and_b32_e32 v26, 0x7f800000, v24
	v_cmp_ne_u32_e64 s[4:5], s62, v26
                                        ; implicit-def: $vgpr52
	s_and_saveexec_b64 s[46:47], s[4:5]
	s_xor_b64 s[4:5], exec, s[46:47]
; %bb.154:                              ;   in Loop: Header=BB350_14 Depth=1
	v_bfe_u32 v26, v24, 16, 1
	v_add3_u32 v52, v24, v26, s63
                                        ; implicit-def: $vgpr24
; %bb.155:                              ;   in Loop: Header=BB350_14 Depth=1
	s_andn2_saveexec_b64 s[46:47], s[4:5]
; %bb.156:                              ;   in Loop: Header=BB350_14 Depth=1
	v_or_b32_e32 v26, 0x10000, v24
	v_cmp_eq_u32_sdwa s[4:5], v24, v28 src0_sel:WORD_0 src1_sel:DWORD
	v_cndmask_b32_e64 v52, v26, v24, s[4:5]
; %bb.157:                              ;   in Loop: Header=BB350_14 Depth=1
	s_or_b64 exec, exec, s[46:47]
	global_load_ushort v26, v[22:23], off offset:776
	s_waitcnt vmcnt(0)
	v_and_b32_e32 v24, 0xffff, v26
	v_cmp_ne_u16_sdwa s[4:5], v26, v28 src0_sel:BYTE_0 src1_sel:DWORD
	v_mov_b32_e32 v26, 0
	s_and_saveexec_b64 s[46:47], s[4:5]
	s_cbranch_execz .LBB350_163
; %bb.158:                              ;   in Loop: Header=BB350_14 Depth=1
	v_cmp_ne_u16_sdwa s[4:5], v24, s60 src0_sel:BYTE_0 src1_sel:DWORD
	v_bfrev_b32_e32 v26, 1
	s_and_saveexec_b64 s[48:49], s[4:5]
	s_cbranch_execz .LBB350_162
; %bb.159:                              ;   in Loop: Header=BB350_14 Depth=1
	v_and_b32_e32 v53, 0x7f, v24
	v_cmp_ne_u32_e64 s[4:5], s61, v53
	v_mov_b32_e32 v26, 0x7f800001
	s_and_saveexec_b64 s[50:51], s[4:5]
	s_cbranch_execz .LBB350_161
; %bb.160:                              ;   in Loop: Header=BB350_14 Depth=1
	v_and_b32_e32 v26, 7, v24
	v_ffbh_u32_e32 v54, v26
	v_min_u32_e32 v57, 32, v54
	v_subrev_u32_e32 v54, 28, v57
	v_lshlrev_b64 v[54:55], v54, v[24:25]
	v_lshrrev_b32_e32 v56, 3, v53
	v_sub_u32_e32 v55, 29, v57
	v_and_b32_e32 v54, 7, v54
	v_cmp_gt_u32_e64 s[4:5], 8, v53
	v_cndmask_b32_e64 v53, v56, v55, s[4:5]
	v_cndmask_b32_e64 v26, v26, v54, s[4:5]
	v_lshlrev_b32_e32 v54, 24, v24
	v_lshlrev_b32_e32 v26, 20, v26
	v_and_b32_e32 v54, 0x80000000, v54
	v_lshl_add_u32 v53, v53, 23, v36
	v_or3_b32 v26, v54, v53, v26
.LBB350_161:                            ;   in Loop: Header=BB350_14 Depth=1
	s_or_b64 exec, exec, s[50:51]
.LBB350_162:                            ;   in Loop: Header=BB350_14 Depth=1
	s_or_b64 exec, exec, s[48:49]
.LBB350_163:                            ;   in Loop: Header=BB350_14 Depth=1
	s_or_b64 exec, exec, s[46:47]
	v_mul_f32_e32 v26, s64, v26
	v_and_b32_e32 v53, 0x7f800000, v26
	v_cmp_ne_u32_e64 s[4:5], s62, v53
                                        ; implicit-def: $vgpr53
	s_and_saveexec_b64 s[46:47], s[4:5]
	s_xor_b64 s[4:5], exec, s[46:47]
; %bb.164:                              ;   in Loop: Header=BB350_14 Depth=1
	v_bfe_u32 v53, v26, 16, 1
	v_add3_u32 v53, v26, v53, s63
                                        ; implicit-def: $vgpr26
; %bb.165:                              ;   in Loop: Header=BB350_14 Depth=1
	s_andn2_saveexec_b64 s[46:47], s[4:5]
; %bb.166:                              ;   in Loop: Header=BB350_14 Depth=1
	v_or_b32_e32 v53, 0x10000, v26
	v_cmp_eq_u32_sdwa s[4:5], v26, v28 src0_sel:WORD_0 src1_sel:DWORD
	v_cndmask_b32_e64 v53, v53, v26, s[4:5]
; %bb.167:                              ;   in Loop: Header=BB350_14 Depth=1
	s_or_b64 exec, exec, s[46:47]
	v_lshrrev_b16_e32 v26, 8, v24
	v_cmp_ne_u16_e64 s[4:5], 0, v26
	v_mov_b32_e32 v54, 0
	s_and_saveexec_b64 s[46:47], s[4:5]
	s_cbranch_execz .LBB350_173
; %bb.168:                              ;   in Loop: Header=BB350_14 Depth=1
	v_cmp_ne_u16_e64 s[4:5], s60, v26
	v_bfrev_b32_e32 v54, 1
	s_and_saveexec_b64 s[48:49], s[4:5]
	s_cbranch_execz .LBB350_172
; %bb.169:                              ;   in Loop: Header=BB350_14 Depth=1
	v_and_b32_e32 v55, 0x7f, v26
	v_cmp_ne_u32_e64 s[4:5], s61, v55
	v_mov_b32_e32 v54, 0x7f800001
	s_and_saveexec_b64 s[50:51], s[4:5]
	s_cbranch_execz .LBB350_171
; %bb.170:                              ;   in Loop: Header=BB350_14 Depth=1
	v_and_b32_e32 v54, 7, v26
	v_ffbh_u32_e32 v56, v54
	v_min_u32_e32 v59, 32, v56
	v_subrev_u32_e32 v56, 28, v59
	v_lshlrev_b64 v[56:57], v56, v[26:27]
	v_lshrrev_b32_e32 v58, 3, v55
	v_sub_u32_e32 v26, 29, v59
	v_and_b32_e32 v56, 7, v56
	v_cmp_gt_u32_e64 s[4:5], 8, v55
	v_cndmask_b32_e64 v26, v58, v26, s[4:5]
	v_cndmask_b32_e64 v54, v54, v56, s[4:5]
	v_lshlrev_b32_e32 v24, 16, v24
	v_lshlrev_b32_e32 v54, 20, v54
	v_and_b32_e32 v24, 0x80000000, v24
	v_lshl_add_u32 v26, v26, 23, v36
	v_or3_b32 v54, v24, v26, v54
.LBB350_171:                            ;   in Loop: Header=BB350_14 Depth=1
	s_or_b64 exec, exec, s[50:51]
.LBB350_172:                            ;   in Loop: Header=BB350_14 Depth=1
	s_or_b64 exec, exec, s[48:49]
.LBB350_173:                            ;   in Loop: Header=BB350_14 Depth=1
	s_or_b64 exec, exec, s[46:47]
	v_mul_f32_e32 v24, s64, v54
	v_and_b32_e32 v26, 0x7f800000, v24
	v_cmp_ne_u32_e64 s[4:5], s62, v26
                                        ; implicit-def: $vgpr54
	s_and_saveexec_b64 s[46:47], s[4:5]
	s_xor_b64 s[4:5], exec, s[46:47]
; %bb.174:                              ;   in Loop: Header=BB350_14 Depth=1
	v_bfe_u32 v26, v24, 16, 1
	v_add3_u32 v54, v24, v26, s63
                                        ; implicit-def: $vgpr24
; %bb.175:                              ;   in Loop: Header=BB350_14 Depth=1
	s_andn2_saveexec_b64 s[46:47], s[4:5]
; %bb.176:                              ;   in Loop: Header=BB350_14 Depth=1
	v_or_b32_e32 v26, 0x10000, v24
	v_cmp_eq_u32_sdwa s[4:5], v24, v28 src0_sel:WORD_0 src1_sel:DWORD
	v_cndmask_b32_e64 v54, v26, v24, s[4:5]
; %bb.177:                              ;   in Loop: Header=BB350_14 Depth=1
	s_or_b64 exec, exec, s[46:47]
	global_load_ushort v26, v[22:23], off offset:1024
	s_waitcnt vmcnt(0)
	v_and_b32_e32 v24, 0xffff, v26
	v_cmp_ne_u16_sdwa s[4:5], v26, v28 src0_sel:BYTE_0 src1_sel:DWORD
	v_mov_b32_e32 v26, 0
	s_and_saveexec_b64 s[46:47], s[4:5]
	s_cbranch_execz .LBB350_183
; %bb.178:                              ;   in Loop: Header=BB350_14 Depth=1
	v_cmp_ne_u16_sdwa s[4:5], v24, s60 src0_sel:BYTE_0 src1_sel:DWORD
	v_bfrev_b32_e32 v26, 1
	s_and_saveexec_b64 s[48:49], s[4:5]
	s_cbranch_execz .LBB350_182
; %bb.179:                              ;   in Loop: Header=BB350_14 Depth=1
	v_and_b32_e32 v55, 0x7f, v24
	v_cmp_ne_u32_e64 s[4:5], s61, v55
	v_mov_b32_e32 v26, 0x7f800001
	s_and_saveexec_b64 s[50:51], s[4:5]
	s_cbranch_execz .LBB350_181
; %bb.180:                              ;   in Loop: Header=BB350_14 Depth=1
	v_and_b32_e32 v26, 7, v24
	v_ffbh_u32_e32 v56, v26
	v_min_u32_e32 v59, 32, v56
	v_subrev_u32_e32 v56, 28, v59
	v_lshlrev_b64 v[56:57], v56, v[24:25]
	v_lshrrev_b32_e32 v58, 3, v55
	v_sub_u32_e32 v57, 29, v59
	v_and_b32_e32 v56, 7, v56
	v_cmp_gt_u32_e64 s[4:5], 8, v55
	v_cndmask_b32_e64 v55, v58, v57, s[4:5]
	v_cndmask_b32_e64 v26, v26, v56, s[4:5]
	v_lshlrev_b32_e32 v56, 24, v24
	v_lshlrev_b32_e32 v26, 20, v26
	v_and_b32_e32 v56, 0x80000000, v56
	v_lshl_add_u32 v55, v55, 23, v36
	v_or3_b32 v26, v56, v55, v26
.LBB350_181:                            ;   in Loop: Header=BB350_14 Depth=1
	s_or_b64 exec, exec, s[50:51]
.LBB350_182:                            ;   in Loop: Header=BB350_14 Depth=1
	s_or_b64 exec, exec, s[48:49]
.LBB350_183:                            ;   in Loop: Header=BB350_14 Depth=1
	s_or_b64 exec, exec, s[46:47]
	v_mul_f32_e32 v26, s64, v26
	v_and_b32_e32 v55, 0x7f800000, v26
	v_cmp_ne_u32_e64 s[4:5], s62, v55
                                        ; implicit-def: $vgpr55
	s_and_saveexec_b64 s[46:47], s[4:5]
	s_xor_b64 s[4:5], exec, s[46:47]
; %bb.184:                              ;   in Loop: Header=BB350_14 Depth=1
	v_bfe_u32 v55, v26, 16, 1
	v_add3_u32 v55, v26, v55, s63
                                        ; implicit-def: $vgpr26
; %bb.185:                              ;   in Loop: Header=BB350_14 Depth=1
	s_andn2_saveexec_b64 s[46:47], s[4:5]
; %bb.186:                              ;   in Loop: Header=BB350_14 Depth=1
	v_or_b32_e32 v55, 0x10000, v26
	v_cmp_eq_u32_sdwa s[4:5], v26, v28 src0_sel:WORD_0 src1_sel:DWORD
	v_cndmask_b32_e64 v55, v55, v26, s[4:5]
; %bb.187:                              ;   in Loop: Header=BB350_14 Depth=1
	s_or_b64 exec, exec, s[46:47]
	v_lshrrev_b16_e32 v26, 8, v24
	v_cmp_ne_u16_e64 s[4:5], 0, v26
	v_mov_b32_e32 v56, 0
	s_and_saveexec_b64 s[46:47], s[4:5]
	s_cbranch_execz .LBB350_193
; %bb.188:                              ;   in Loop: Header=BB350_14 Depth=1
	v_cmp_ne_u16_e64 s[4:5], s60, v26
	v_bfrev_b32_e32 v56, 1
	s_and_saveexec_b64 s[48:49], s[4:5]
	s_cbranch_execz .LBB350_192
; %bb.189:                              ;   in Loop: Header=BB350_14 Depth=1
	v_and_b32_e32 v57, 0x7f, v26
	v_cmp_ne_u32_e64 s[4:5], s61, v57
	v_mov_b32_e32 v56, 0x7f800001
	s_and_saveexec_b64 s[50:51], s[4:5]
	s_cbranch_execz .LBB350_191
; %bb.190:                              ;   in Loop: Header=BB350_14 Depth=1
	v_and_b32_e32 v56, 7, v26
	v_ffbh_u32_e32 v58, v56
	v_min_u32_e32 v61, 32, v58
	v_subrev_u32_e32 v58, 28, v61
	v_lshlrev_b64 v[58:59], v58, v[26:27]
	v_lshrrev_b32_e32 v60, 3, v57
	v_sub_u32_e32 v26, 29, v61
	v_and_b32_e32 v58, 7, v58
	v_cmp_gt_u32_e64 s[4:5], 8, v57
	v_cndmask_b32_e64 v26, v60, v26, s[4:5]
	v_cndmask_b32_e64 v56, v56, v58, s[4:5]
	v_lshlrev_b32_e32 v24, 16, v24
	v_lshlrev_b32_e32 v56, 20, v56
	v_and_b32_e32 v24, 0x80000000, v24
	v_lshl_add_u32 v26, v26, 23, v36
	v_or3_b32 v56, v24, v26, v56
.LBB350_191:                            ;   in Loop: Header=BB350_14 Depth=1
	s_or_b64 exec, exec, s[50:51]
.LBB350_192:                            ;   in Loop: Header=BB350_14 Depth=1
	s_or_b64 exec, exec, s[48:49]
.LBB350_193:                            ;   in Loop: Header=BB350_14 Depth=1
	s_or_b64 exec, exec, s[46:47]
	v_mul_f32_e32 v24, s64, v56
	v_and_b32_e32 v26, 0x7f800000, v24
	v_cmp_ne_u32_e64 s[4:5], s62, v26
                                        ; implicit-def: $vgpr56
	s_and_saveexec_b64 s[46:47], s[4:5]
	s_xor_b64 s[4:5], exec, s[46:47]
; %bb.194:                              ;   in Loop: Header=BB350_14 Depth=1
	v_bfe_u32 v26, v24, 16, 1
	v_add3_u32 v56, v24, v26, s63
                                        ; implicit-def: $vgpr24
; %bb.195:                              ;   in Loop: Header=BB350_14 Depth=1
	s_andn2_saveexec_b64 s[46:47], s[4:5]
; %bb.196:                              ;   in Loop: Header=BB350_14 Depth=1
	v_or_b32_e32 v26, 0x10000, v24
	v_cmp_eq_u32_sdwa s[4:5], v24, v28 src0_sel:WORD_0 src1_sel:DWORD
	v_cndmask_b32_e64 v56, v26, v24, s[4:5]
; %bb.197:                              ;   in Loop: Header=BB350_14 Depth=1
	s_or_b64 exec, exec, s[46:47]
	global_load_ushort v26, v[22:23], off offset:1032
	s_waitcnt vmcnt(0)
	v_and_b32_e32 v24, 0xffff, v26
	v_cmp_ne_u16_sdwa s[4:5], v26, v28 src0_sel:BYTE_0 src1_sel:DWORD
	v_mov_b32_e32 v26, 0
	s_and_saveexec_b64 s[46:47], s[4:5]
	s_cbranch_execz .LBB350_203
; %bb.198:                              ;   in Loop: Header=BB350_14 Depth=1
	v_cmp_ne_u16_sdwa s[4:5], v24, s60 src0_sel:BYTE_0 src1_sel:DWORD
	v_bfrev_b32_e32 v26, 1
	s_and_saveexec_b64 s[48:49], s[4:5]
	s_cbranch_execz .LBB350_202
; %bb.199:                              ;   in Loop: Header=BB350_14 Depth=1
	v_and_b32_e32 v57, 0x7f, v24
	v_cmp_ne_u32_e64 s[4:5], s61, v57
	v_mov_b32_e32 v26, 0x7f800001
	s_and_saveexec_b64 s[50:51], s[4:5]
	s_cbranch_execz .LBB350_201
; %bb.200:                              ;   in Loop: Header=BB350_14 Depth=1
	v_and_b32_e32 v26, 7, v24
	v_ffbh_u32_e32 v58, v26
	v_min_u32_e32 v61, 32, v58
	v_subrev_u32_e32 v58, 28, v61
	v_lshlrev_b64 v[58:59], v58, v[24:25]
	v_lshrrev_b32_e32 v60, 3, v57
	v_sub_u32_e32 v59, 29, v61
	v_and_b32_e32 v58, 7, v58
	v_cmp_gt_u32_e64 s[4:5], 8, v57
	v_cndmask_b32_e64 v57, v60, v59, s[4:5]
	v_cndmask_b32_e64 v26, v26, v58, s[4:5]
	v_lshlrev_b32_e32 v58, 24, v24
	v_lshlrev_b32_e32 v26, 20, v26
	v_and_b32_e32 v58, 0x80000000, v58
	v_lshl_add_u32 v57, v57, 23, v36
	v_or3_b32 v26, v58, v57, v26
.LBB350_201:                            ;   in Loop: Header=BB350_14 Depth=1
	s_or_b64 exec, exec, s[50:51]
.LBB350_202:                            ;   in Loop: Header=BB350_14 Depth=1
	s_or_b64 exec, exec, s[48:49]
.LBB350_203:                            ;   in Loop: Header=BB350_14 Depth=1
	s_or_b64 exec, exec, s[46:47]
	v_mul_f32_e32 v26, s64, v26
	v_and_b32_e32 v57, 0x7f800000, v26
	v_cmp_ne_u32_e64 s[4:5], s62, v57
                                        ; implicit-def: $vgpr57
	s_and_saveexec_b64 s[46:47], s[4:5]
	s_xor_b64 s[4:5], exec, s[46:47]
; %bb.204:                              ;   in Loop: Header=BB350_14 Depth=1
	v_bfe_u32 v57, v26, 16, 1
	v_add3_u32 v57, v26, v57, s63
                                        ; implicit-def: $vgpr26
; %bb.205:                              ;   in Loop: Header=BB350_14 Depth=1
	s_andn2_saveexec_b64 s[46:47], s[4:5]
; %bb.206:                              ;   in Loop: Header=BB350_14 Depth=1
	v_or_b32_e32 v57, 0x10000, v26
	v_cmp_eq_u32_sdwa s[4:5], v26, v28 src0_sel:WORD_0 src1_sel:DWORD
	v_cndmask_b32_e64 v57, v57, v26, s[4:5]
; %bb.207:                              ;   in Loop: Header=BB350_14 Depth=1
	s_or_b64 exec, exec, s[46:47]
	v_lshrrev_b16_e32 v26, 8, v24
	v_cmp_ne_u16_e64 s[4:5], 0, v26
	v_mov_b32_e32 v58, 0
	s_and_saveexec_b64 s[46:47], s[4:5]
	s_cbranch_execz .LBB350_213
; %bb.208:                              ;   in Loop: Header=BB350_14 Depth=1
	v_cmp_ne_u16_e64 s[4:5], s60, v26
	v_bfrev_b32_e32 v58, 1
	s_and_saveexec_b64 s[48:49], s[4:5]
	s_cbranch_execz .LBB350_212
; %bb.209:                              ;   in Loop: Header=BB350_14 Depth=1
	v_and_b32_e32 v59, 0x7f, v26
	v_cmp_ne_u32_e64 s[4:5], s61, v59
	v_mov_b32_e32 v58, 0x7f800001
	s_and_saveexec_b64 s[50:51], s[4:5]
	s_cbranch_execz .LBB350_211
; %bb.210:                              ;   in Loop: Header=BB350_14 Depth=1
	v_and_b32_e32 v58, 7, v26
	v_ffbh_u32_e32 v60, v58
	v_min_u32_e32 v63, 32, v60
	v_subrev_u32_e32 v60, 28, v63
	v_lshlrev_b64 v[60:61], v60, v[26:27]
	v_lshrrev_b32_e32 v62, 3, v59
	v_sub_u32_e32 v26, 29, v63
	v_and_b32_e32 v60, 7, v60
	v_cmp_gt_u32_e64 s[4:5], 8, v59
	v_cndmask_b32_e64 v26, v62, v26, s[4:5]
	v_cndmask_b32_e64 v58, v58, v60, s[4:5]
	v_lshlrev_b32_e32 v24, 16, v24
	v_lshlrev_b32_e32 v58, 20, v58
	v_and_b32_e32 v24, 0x80000000, v24
	v_lshl_add_u32 v26, v26, 23, v36
	v_or3_b32 v58, v24, v26, v58
.LBB350_211:                            ;   in Loop: Header=BB350_14 Depth=1
	s_or_b64 exec, exec, s[50:51]
.LBB350_212:                            ;   in Loop: Header=BB350_14 Depth=1
	s_or_b64 exec, exec, s[48:49]
.LBB350_213:                            ;   in Loop: Header=BB350_14 Depth=1
	s_or_b64 exec, exec, s[46:47]
	v_mul_f32_e32 v24, s64, v58
	v_and_b32_e32 v26, 0x7f800000, v24
	v_cmp_ne_u32_e64 s[4:5], s62, v26
                                        ; implicit-def: $vgpr58
	s_and_saveexec_b64 s[46:47], s[4:5]
	s_xor_b64 s[4:5], exec, s[46:47]
; %bb.214:                              ;   in Loop: Header=BB350_14 Depth=1
	v_bfe_u32 v26, v24, 16, 1
	v_add3_u32 v58, v24, v26, s63
                                        ; implicit-def: $vgpr24
; %bb.215:                              ;   in Loop: Header=BB350_14 Depth=1
	s_andn2_saveexec_b64 s[46:47], s[4:5]
; %bb.216:                              ;   in Loop: Header=BB350_14 Depth=1
	v_or_b32_e32 v26, 0x10000, v24
	v_cmp_eq_u32_sdwa s[4:5], v24, v28 src0_sel:WORD_0 src1_sel:DWORD
	v_cndmask_b32_e64 v58, v26, v24, s[4:5]
; %bb.217:                              ;   in Loop: Header=BB350_14 Depth=1
	s_or_b64 exec, exec, s[46:47]
	global_load_ushort v26, v[22:23], off offset:1280
	s_waitcnt vmcnt(0)
	v_and_b32_e32 v24, 0xffff, v26
	v_cmp_ne_u16_sdwa s[4:5], v26, v28 src0_sel:BYTE_0 src1_sel:DWORD
	v_mov_b32_e32 v26, 0
	s_and_saveexec_b64 s[46:47], s[4:5]
	s_cbranch_execz .LBB350_223
; %bb.218:                              ;   in Loop: Header=BB350_14 Depth=1
	v_cmp_ne_u16_sdwa s[4:5], v24, s60 src0_sel:BYTE_0 src1_sel:DWORD
	v_bfrev_b32_e32 v26, 1
	s_and_saveexec_b64 s[48:49], s[4:5]
	s_cbranch_execz .LBB350_222
; %bb.219:                              ;   in Loop: Header=BB350_14 Depth=1
	v_and_b32_e32 v59, 0x7f, v24
	v_cmp_ne_u32_e64 s[4:5], s61, v59
	v_mov_b32_e32 v26, 0x7f800001
	s_and_saveexec_b64 s[50:51], s[4:5]
	s_cbranch_execz .LBB350_221
; %bb.220:                              ;   in Loop: Header=BB350_14 Depth=1
	v_and_b32_e32 v26, 7, v24
	v_ffbh_u32_e32 v60, v26
	v_min_u32_e32 v63, 32, v60
	v_subrev_u32_e32 v60, 28, v63
	v_lshlrev_b64 v[60:61], v60, v[24:25]
	v_lshrrev_b32_e32 v62, 3, v59
	v_sub_u32_e32 v61, 29, v63
	v_and_b32_e32 v60, 7, v60
	v_cmp_gt_u32_e64 s[4:5], 8, v59
	v_cndmask_b32_e64 v59, v62, v61, s[4:5]
	v_cndmask_b32_e64 v26, v26, v60, s[4:5]
	v_lshlrev_b32_e32 v60, 24, v24
	v_lshlrev_b32_e32 v26, 20, v26
	v_and_b32_e32 v60, 0x80000000, v60
	v_lshl_add_u32 v59, v59, 23, v36
	v_or3_b32 v26, v60, v59, v26
.LBB350_221:                            ;   in Loop: Header=BB350_14 Depth=1
	s_or_b64 exec, exec, s[50:51]
.LBB350_222:                            ;   in Loop: Header=BB350_14 Depth=1
	s_or_b64 exec, exec, s[48:49]
.LBB350_223:                            ;   in Loop: Header=BB350_14 Depth=1
	s_or_b64 exec, exec, s[46:47]
	v_mul_f32_e32 v26, s64, v26
	v_and_b32_e32 v59, 0x7f800000, v26
	v_cmp_ne_u32_e64 s[4:5], s62, v59
                                        ; implicit-def: $vgpr59
	s_and_saveexec_b64 s[46:47], s[4:5]
	s_xor_b64 s[4:5], exec, s[46:47]
; %bb.224:                              ;   in Loop: Header=BB350_14 Depth=1
	v_bfe_u32 v59, v26, 16, 1
	v_add3_u32 v59, v26, v59, s63
                                        ; implicit-def: $vgpr26
; %bb.225:                              ;   in Loop: Header=BB350_14 Depth=1
	s_andn2_saveexec_b64 s[46:47], s[4:5]
; %bb.226:                              ;   in Loop: Header=BB350_14 Depth=1
	v_or_b32_e32 v59, 0x10000, v26
	v_cmp_eq_u32_sdwa s[4:5], v26, v28 src0_sel:WORD_0 src1_sel:DWORD
	v_cndmask_b32_e64 v59, v59, v26, s[4:5]
; %bb.227:                              ;   in Loop: Header=BB350_14 Depth=1
	s_or_b64 exec, exec, s[46:47]
	v_lshrrev_b16_e32 v26, 8, v24
	v_cmp_ne_u16_e64 s[4:5], 0, v26
	v_mov_b32_e32 v60, 0
	s_and_saveexec_b64 s[46:47], s[4:5]
	s_cbranch_execz .LBB350_233
; %bb.228:                              ;   in Loop: Header=BB350_14 Depth=1
	v_cmp_ne_u16_e64 s[4:5], s60, v26
	v_bfrev_b32_e32 v60, 1
	s_and_saveexec_b64 s[48:49], s[4:5]
	s_cbranch_execz .LBB350_232
; %bb.229:                              ;   in Loop: Header=BB350_14 Depth=1
	v_and_b32_e32 v61, 0x7f, v26
	v_cmp_ne_u32_e64 s[4:5], s61, v61
	v_mov_b32_e32 v60, 0x7f800001
	s_and_saveexec_b64 s[50:51], s[4:5]
	s_cbranch_execz .LBB350_231
; %bb.230:                              ;   in Loop: Header=BB350_14 Depth=1
	v_and_b32_e32 v60, 7, v26
	v_ffbh_u32_e32 v62, v60
	v_min_u32_e32 v65, 32, v62
	v_subrev_u32_e32 v62, 28, v65
	v_lshlrev_b64 v[62:63], v62, v[26:27]
	v_lshrrev_b32_e32 v64, 3, v61
	v_sub_u32_e32 v26, 29, v65
	v_and_b32_e32 v62, 7, v62
	v_cmp_gt_u32_e64 s[4:5], 8, v61
	v_cndmask_b32_e64 v26, v64, v26, s[4:5]
	v_cndmask_b32_e64 v60, v60, v62, s[4:5]
	v_lshlrev_b32_e32 v24, 16, v24
	v_lshlrev_b32_e32 v60, 20, v60
	v_and_b32_e32 v24, 0x80000000, v24
	v_lshl_add_u32 v26, v26, 23, v36
	v_or3_b32 v60, v24, v26, v60
.LBB350_231:                            ;   in Loop: Header=BB350_14 Depth=1
	s_or_b64 exec, exec, s[50:51]
.LBB350_232:                            ;   in Loop: Header=BB350_14 Depth=1
	s_or_b64 exec, exec, s[48:49]
.LBB350_233:                            ;   in Loop: Header=BB350_14 Depth=1
	s_or_b64 exec, exec, s[46:47]
	v_mul_f32_e32 v24, s64, v60
	v_and_b32_e32 v26, 0x7f800000, v24
	v_cmp_ne_u32_e64 s[4:5], s62, v26
                                        ; implicit-def: $vgpr26
	s_and_saveexec_b64 s[46:47], s[4:5]
	s_xor_b64 s[4:5], exec, s[46:47]
; %bb.234:                              ;   in Loop: Header=BB350_14 Depth=1
	v_bfe_u32 v26, v24, 16, 1
	v_add3_u32 v26, v24, v26, s63
                                        ; implicit-def: $vgpr24
; %bb.235:                              ;   in Loop: Header=BB350_14 Depth=1
	s_andn2_saveexec_b64 s[46:47], s[4:5]
; %bb.236:                              ;   in Loop: Header=BB350_14 Depth=1
	v_or_b32_e32 v26, 0x10000, v24
	v_cmp_eq_u32_sdwa s[4:5], v24, v28 src0_sel:WORD_0 src1_sel:DWORD
	v_cndmask_b32_e64 v26, v26, v24, s[4:5]
; %bb.237:                              ;   in Loop: Header=BB350_14 Depth=1
	s_or_b64 exec, exec, s[46:47]
	global_load_ushort v23, v[22:23], off offset:1288
	s_waitcnt vmcnt(0)
	v_and_b32_e32 v22, 0xffff, v23
	v_cmp_ne_u16_sdwa s[4:5], v23, v28 src0_sel:BYTE_0 src1_sel:DWORD
	v_mov_b32_e32 v23, 0
	s_and_saveexec_b64 s[46:47], s[4:5]
	s_cbranch_execz .LBB350_243
; %bb.238:                              ;   in Loop: Header=BB350_14 Depth=1
	v_cmp_ne_u16_sdwa s[4:5], v22, s60 src0_sel:BYTE_0 src1_sel:DWORD
	v_bfrev_b32_e32 v23, 1
	s_and_saveexec_b64 s[48:49], s[4:5]
	s_cbranch_execz .LBB350_242
; %bb.239:                              ;   in Loop: Header=BB350_14 Depth=1
	v_and_b32_e32 v24, 0x7f, v22
	v_cmp_ne_u32_e64 s[4:5], s61, v24
	v_mov_b32_e32 v23, 0x7f800001
	s_and_saveexec_b64 s[50:51], s[4:5]
	s_cbranch_execz .LBB350_241
; %bb.240:                              ;   in Loop: Header=BB350_14 Depth=1
	v_and_b32_e32 v23, 7, v22
	v_ffbh_u32_e32 v60, v23
	v_min_u32_e32 v63, 32, v60
	v_subrev_u32_e32 v60, 28, v63
	v_lshlrev_b64 v[60:61], v60, v[22:23]
	v_lshrrev_b32_e32 v62, 3, v24
	v_sub_u32_e32 v61, 29, v63
	v_and_b32_e32 v60, 7, v60
	v_cmp_gt_u32_e64 s[4:5], 8, v24
	v_cndmask_b32_e64 v24, v62, v61, s[4:5]
	v_cndmask_b32_e64 v23, v23, v60, s[4:5]
	v_lshlrev_b32_e32 v60, 24, v22
	v_lshlrev_b32_e32 v23, 20, v23
	v_and_b32_e32 v60, 0x80000000, v60
	v_lshl_add_u32 v24, v24, 23, v36
	v_or3_b32 v23, v60, v24, v23
.LBB350_241:                            ;   in Loop: Header=BB350_14 Depth=1
	s_or_b64 exec, exec, s[50:51]
.LBB350_242:                            ;   in Loop: Header=BB350_14 Depth=1
	s_or_b64 exec, exec, s[48:49]
.LBB350_243:                            ;   in Loop: Header=BB350_14 Depth=1
	s_or_b64 exec, exec, s[46:47]
	v_mul_f32_e32 v24, s64, v23
	v_and_b32_e32 v23, 0x7f800000, v24
	v_cmp_ne_u32_e64 s[4:5], s62, v23
                                        ; implicit-def: $vgpr23
	s_and_saveexec_b64 s[46:47], s[4:5]
	s_xor_b64 s[4:5], exec, s[46:47]
; %bb.244:                              ;   in Loop: Header=BB350_14 Depth=1
	v_bfe_u32 v23, v24, 16, 1
	v_add3_u32 v23, v24, v23, s63
                                        ; implicit-def: $vgpr24
; %bb.245:                              ;   in Loop: Header=BB350_14 Depth=1
	s_andn2_saveexec_b64 s[46:47], s[4:5]
; %bb.246:                              ;   in Loop: Header=BB350_14 Depth=1
	v_or_b32_e32 v23, 0x10000, v24
	v_cmp_eq_u32_sdwa s[4:5], v24, v28 src0_sel:WORD_0 src1_sel:DWORD
	v_cndmask_b32_e64 v23, v23, v24, s[4:5]
; %bb.247:                              ;   in Loop: Header=BB350_14 Depth=1
	s_or_b64 exec, exec, s[46:47]
	v_lshrrev_b16_e32 v24, 8, v22
	v_cmp_ne_u16_e64 s[4:5], 0, v24
	v_mov_b32_e32 v60, 0
	s_and_saveexec_b64 s[46:47], s[4:5]
	s_cbranch_execz .LBB350_253
; %bb.248:                              ;   in Loop: Header=BB350_14 Depth=1
	v_cmp_ne_u16_e64 s[4:5], s60, v24
	v_bfrev_b32_e32 v60, 1
	s_and_saveexec_b64 s[48:49], s[4:5]
	s_cbranch_execz .LBB350_252
; %bb.249:                              ;   in Loop: Header=BB350_14 Depth=1
	v_and_b32_e32 v61, 0x7f, v24
	v_cmp_ne_u32_e64 s[4:5], s61, v61
	v_mov_b32_e32 v60, 0x7f800001
	s_and_saveexec_b64 s[50:51], s[4:5]
	s_cbranch_execz .LBB350_251
; %bb.250:                              ;   in Loop: Header=BB350_14 Depth=1
	v_and_b32_e32 v60, 7, v24
	v_ffbh_u32_e32 v62, v60
	v_min_u32_e32 v65, 32, v62
	v_subrev_u32_e32 v62, 28, v65
	v_lshlrev_b64 v[62:63], v62, v[24:25]
	v_lshrrev_b32_e32 v64, 3, v61
	v_sub_u32_e32 v24, 29, v65
	v_and_b32_e32 v62, 7, v62
	v_cmp_gt_u32_e64 s[4:5], 8, v61
	v_cndmask_b32_e64 v24, v64, v24, s[4:5]
	v_cndmask_b32_e64 v60, v60, v62, s[4:5]
	v_lshlrev_b32_e32 v22, 16, v22
	v_lshlrev_b32_e32 v60, 20, v60
	v_and_b32_e32 v22, 0x80000000, v22
	v_lshl_add_u32 v24, v24, 23, v36
	v_or3_b32 v60, v22, v24, v60
.LBB350_251:                            ;   in Loop: Header=BB350_14 Depth=1
	s_or_b64 exec, exec, s[50:51]
.LBB350_252:                            ;   in Loop: Header=BB350_14 Depth=1
	s_or_b64 exec, exec, s[48:49]
.LBB350_253:                            ;   in Loop: Header=BB350_14 Depth=1
	s_or_b64 exec, exec, s[46:47]
	v_mul_f32_e32 v24, s64, v60
	v_and_b32_e32 v22, 0x7f800000, v24
	v_cmp_ne_u32_e64 s[4:5], s62, v22
                                        ; implicit-def: $vgpr22
	s_and_saveexec_b64 s[46:47], s[4:5]
	s_xor_b64 s[4:5], exec, s[46:47]
; %bb.254:                              ;   in Loop: Header=BB350_14 Depth=1
	v_bfe_u32 v22, v24, 16, 1
	v_add3_u32 v22, v24, v22, s63
                                        ; implicit-def: $vgpr24
; %bb.255:                              ;   in Loop: Header=BB350_14 Depth=1
	s_andn2_saveexec_b64 s[46:47], s[4:5]
; %bb.256:                              ;   in Loop: Header=BB350_14 Depth=1
	v_or_b32_e32 v22, 0x10000, v24
	v_cmp_eq_u32_sdwa s[4:5], v24, v28 src0_sel:WORD_0 src1_sel:DWORD
	v_cndmask_b32_e64 v22, v22, v24, s[4:5]
; %bb.257:                              ;   in Loop: Header=BB350_14 Depth=1
	s_or_b64 exec, exec, s[46:47]
	v_and_b32_e32 v42, 0xffff0000, v42
	v_and_b32_e32 v41, 0xffff0000, v41
	v_lshlrev_b32_e32 v60, 16, v11
	v_and_b32_e32 v11, 0xffff0000, v11
	v_and_b32_e32 v24, 0xffff0000, v26
	;; [unrolled: 1-line block ×5, first 2 shown]
	v_lshlrev_b32_e32 v59, 16, v10
	v_and_b32_e32 v10, 0xffff0000, v10
	v_mul_f32_e32 v41, v60, v41
	v_mul_f32_e32 v11, v11, v42
	v_and_b32_e32 v44, 0xffff0000, v44
	v_and_b32_e32 v43, 0xffff0000, v43
	v_lshlrev_b32_e32 v61, 16, v12
	v_and_b32_e32 v12, 0xffff0000, v12
	v_fmac_f32_e32 v41, v59, v39
	v_fmac_f32_e32 v11, v10, v40
	v_and_b32_e32 v46, 0xffff0000, v46
	v_and_b32_e32 v45, 0xffff0000, v45
	v_lshlrev_b32_e32 v62, 16, v13
	v_and_b32_e32 v13, 0xffff0000, v13
	v_fmac_f32_e32 v41, v61, v43
	v_fmac_f32_e32 v11, v12, v44
	;; [unrolled: 6-line block ×7, first 2 shown]
	v_and_b32_e32 v58, 0xffff0000, v58
	v_and_b32_e32 v57, 0xffff0000, v57
	v_lshlrev_b32_e32 v68, 16, v3
	v_and_b32_e32 v71, 64, v37
	v_and_b32_e32 v3, 0xffff0000, v3
	v_fmac_f32_e32 v41, v67, v55
	v_fmac_f32_e32 v11, v2, v56
	v_lshlrev_b32_e32 v69, 16, v4
	v_add_u32_e32 v71, 64, v71
	v_xor_b32_e32 v72, 2, v37
	v_and_b32_e32 v4, 0xffff0000, v4
	v_fmac_f32_e32 v41, v68, v57
	v_fmac_f32_e32 v11, v3, v58
	v_and_b32_e32 v23, 0xffff0000, v23
	v_lshlrev_b32_e32 v70, 16, v5
	v_cmp_lt_i32_e64 s[4:5], v72, v71
	v_and_b32_e32 v22, 0xffff0000, v22
	v_and_b32_e32 v5, 0xffff0000, v5
	v_fmac_f32_e32 v41, v69, v26
	v_fmac_f32_e32 v11, v4, v24
	v_cndmask_b32_e64 v72, v37, v72, s[4:5]
	v_fmac_f32_e32 v41, v70, v23
	v_fmac_f32_e32 v11, v5, v22
	v_lshlrev_b32_e32 v72, 2, v72
	v_add_f32_e32 v2, v41, v11
	ds_bpermute_b32 v3, v72, v2
	v_xor_b32_e32 v4, 1, v37
	v_cmp_lt_i32_e64 s[4:5], v4, v71
	v_cndmask_b32_e64 v4, v37, v4, s[4:5]
	v_lshlrev_b32_e32 v4, 2, v4
	s_waitcnt lgkmcnt(0)
	v_add_f32_e32 v2, v2, v3
	ds_bpermute_b32 v3, v4, v2
	s_and_saveexec_b64 s[46:47], vcc
	s_cbranch_execz .LBB350_12
; %bb.258:                              ;   in Loop: Header=BB350_14 Depth=1
	v_add_u32_e32 v4, v34, v32
	v_cvt_f32_i32_e32 v4, v4
	s_waitcnt lgkmcnt(0)
	v_add_f32_e32 v2, v2, v3
	v_add_u32_e32 v5, v25, v32
	v_cmp_gt_i32_e64 s[4:5], s33, v5
	v_mul_f32_e32 v3, s55, v4
	v_cndmask_b32_e64 v3, 0, v3, s[2:3]
	v_fmac_f32_e32 v3, s43, v2
	v_cndmask_b32_e64 v2, 0, v3, s[4:5]
	ds_write_b32 v33, v2
	v_max_f32_e32 v2, v31, v31
	v_max_f32_e32 v2, v2, v3
	v_cndmask_b32_e64 v31, v31, v2, s[4:5]
	s_branch .LBB350_12
.LBB350_259:
	s_or_b64 exec, exec, s[44:45]
.LBB350_260:
	s_or_b64 exec, exec, s[18:19]
	v_mbcnt_hi_u32_b32 v2, -1, v19
	s_waitcnt lgkmcnt(0)
	v_and_b32_e32 v3, 64, v2
	v_add_u32_e32 v3, 64, v3
	v_xor_b32_e32 v4, 32, v2
	v_cmp_lt_i32_e32 vcc, v4, v3
	v_cndmask_b32_e32 v4, v2, v4, vcc
	v_lshlrev_b32_e32 v5, 2, v4
	ds_bpermute_b32 v4, v5, v31
	v_xor_b32_e32 v7, 16, v2
	v_max_f32_e32 v6, v31, v31
	v_cmp_lt_i32_e32 vcc, v7, v3
	v_xor_b32_e32 v8, 8, v2
	s_waitcnt lgkmcnt(0)
	v_max_f32_e32 v4, v4, v4
	v_max_f32_e32 v4, v6, v4
	v_cndmask_b32_e32 v6, v2, v7, vcc
	v_lshlrev_b32_e32 v6, 2, v6
	ds_bpermute_b32 v7, v6, v4
	v_cmp_lt_i32_e32 vcc, v8, v3
	v_and_b32_e32 v13, 63, v0
	s_waitcnt lgkmcnt(0)
	v_max_f32_e32 v7, v7, v7
	v_max_f32_e32 v4, v4, v7
	v_cndmask_b32_e32 v7, v2, v8, vcc
	v_lshlrev_b32_e32 v9, 2, v7
	ds_bpermute_b32 v7, v9, v4
	v_xor_b32_e32 v8, 4, v2
	v_cmp_lt_i32_e32 vcc, v8, v3
	s_waitcnt lgkmcnt(0)
	v_max_f32_e32 v7, v7, v7
	v_max_f32_e32 v4, v4, v7
	v_cndmask_b32_e32 v7, v2, v8, vcc
	v_lshlrev_b32_e32 v10, 2, v7
	ds_bpermute_b32 v8, v10, v4
	v_cmp_eq_u32_e32 vcc, 0, v13
	v_lshlrev_b32_e32 v7, 2, v27
	s_and_saveexec_b64 s[2:3], vcc
	s_cbranch_execz .LBB350_262
; %bb.261:
	s_waitcnt lgkmcnt(0)
	v_max_f32_e32 v8, v8, v8
	v_max_f32_e32 v4, v4, v4
	v_max_f32_e32 v4, v4, v8
	ds_write_b32 v7, v4 offset:192
.LBB350_262:
	s_or_b64 exec, exec, s[2:3]
	v_cmp_gt_u32_e64 s[2:3], 2, v13
	v_mov_b32_e32 v4, 0xff7fffff
	s_waitcnt lgkmcnt(0)
	v_lshlrev_b32_e32 v8, 2, v13
	s_barrier
	s_and_saveexec_b64 s[4:5], s[2:3]
	s_cbranch_execz .LBB350_264
; %bb.263:
	ds_read_b32 v4, v8 offset:192
.LBB350_264:
	s_or_b64 exec, exec, s[4:5]
	v_xor_b32_e32 v11, 1, v2
	v_cmp_lt_i32_e64 s[4:5], v11, v3
	v_cndmask_b32_e64 v11, v2, v11, s[4:5]
	v_lshlrev_b32_e32 v22, 2, v11
	s_waitcnt lgkmcnt(0)
	ds_bpermute_b32 v11, v22, v4
	v_max_f32_e32 v4, v4, v4
	s_sub_i32 s4, s53, s56
	s_lshl_b32 s4, s4, 4
	s_add_i32 s4, s4, s9
	s_waitcnt lgkmcnt(0)
	v_max_f32_e32 v11, v11, v11
	v_max_f32_e32 v4, v4, v11
	v_lshlrev_b32_e32 v11, 2, v2
	v_and_b32_e32 v11, 0x100, v11
	ds_bpermute_b32 v4, v11, v4
	s_min_i32 s44, s4, s33
	s_sub_i32 s43, s44, s9
	v_cmp_gt_i32_e64 s[4:5], s43, v0
	v_mov_b32_e32 v12, 0
	s_and_saveexec_b64 s[12:13], s[4:5]
	s_cbranch_execz .LBB350_268
; %bb.265:
	v_mov_b32_e32 v12, 0xd0
	v_lshl_add_u32 v16, v0, 2, v12
	s_mov_b64 s[18:19], 0
	v_mov_b32_e32 v12, 0
	v_mov_b32_e32 v17, v0
.LBB350_266:                            ; =>This Inner Loop Header: Depth=1
	ds_read_b32 v18, v16
	v_add_u32_e32 v17, 0x80, v17
	v_cmp_le_i32_e64 s[10:11], s43, v17
	s_or_b64 s[18:19], s[10:11], s[18:19]
	s_waitcnt lgkmcnt(0)
	v_sub_f32_e32 v18, v18, v4
	v_mul_f32_e32 v18, 0x3fb8aa3b, v18
	v_exp_f32_e32 v18, v18
	ds_write_b32 v16, v18
	v_add_f32_e32 v12, v12, v18
	v_add_u32_e32 v16, 0x200, v16
	s_andn2_b64 exec, exec, s[18:19]
	s_cbranch_execnz .LBB350_266
; %bb.267:
	s_or_b64 exec, exec, s[18:19]
.LBB350_268:
	s_or_b64 exec, exec, s[12:13]
	ds_bpermute_b32 v5, v5, v12
	s_waitcnt lgkmcnt(0)
	v_add_f32_e32 v5, v12, v5
	ds_bpermute_b32 v6, v6, v5
	s_waitcnt lgkmcnt(0)
	v_add_f32_e32 v5, v5, v6
	ds_bpermute_b32 v6, v9, v5
	v_xor_b32_e32 v9, 2, v2
	v_cmp_lt_i32_e64 s[10:11], v9, v3
	v_cndmask_b32_e64 v2, v2, v9, s[10:11]
	v_lshlrev_b32_e32 v2, 2, v2
	s_waitcnt lgkmcnt(0)
	v_add_f32_e32 v5, v5, v6
	ds_bpermute_b32 v6, v10, v5
	s_waitcnt lgkmcnt(0)
	v_add_f32_e32 v3, v5, v6
	ds_bpermute_b32 v2, v2, v3
	;; [unrolled: 3-line block ×3, first 2 shown]
	s_waitcnt lgkmcnt(0)
	v_add_f32_e32 v2, v2, v3
	s_and_saveexec_b64 s[10:11], vcc
	s_cbranch_execz .LBB350_270
; %bb.269:
	ds_write_b32 v7, v2 offset:200
.LBB350_270:
	s_or_b64 exec, exec, s[10:11]
	s_waitcnt lgkmcnt(0)
	s_barrier
	s_and_saveexec_b64 s[10:11], s[2:3]
	s_cbranch_execz .LBB350_272
; %bb.271:
	ds_read_b32 v2, v8 offset:200
.LBB350_272:
	s_or_b64 exec, exec, s[10:11]
	s_waitcnt lgkmcnt(0)
	ds_bpermute_b32 v3, v22, v2
	s_waitcnt lgkmcnt(0)
	v_add_f32_e32 v2, v2, v3
	ds_bpermute_b32 v5, v11, v2
	s_and_saveexec_b64 s[2:3], s[4:5]
	s_cbranch_execz .LBB350_285
; %bb.273:
	s_waitcnt lgkmcnt(0)
	v_add_f32_e32 v2, 0x358637bd, v5
	v_div_scale_f32 v3, s[4:5], v2, v2, 1.0
	v_rcp_f32_e32 v6, v3
	v_div_scale_f32 v7, vcc, 1.0, v2, 1.0
	s_movk_i32 s4, 0x7f
	v_fma_f32 v8, -v3, v6, 1.0
	v_fmac_f32_e32 v6, v8, v6
	v_mul_f32_e32 v8, v7, v6
	v_fma_f32 v9, -v3, v8, v7
	v_fmac_f32_e32 v8, v9, v6
	v_fma_f32 v3, -v3, v8, v7
	v_div_fmas_f32 v3, v3, v6, v8
	v_div_fixup_f32 v2, v3, v2, 1.0
	v_xad_u32 v3, v0, -1, s44
	v_subrev_u32_e32 v6, s9, v3
	v_cmp_lt_u32_e32 vcc, s4, v6
	s_mov_b64 s[10:11], -1
	v_mov_b32_e32 v3, v0
	s_and_saveexec_b64 s[4:5], vcc
	s_cbranch_execz .LBB350_282
; %bb.274:
	v_lshrrev_b32_e32 v6, 7, v6
	v_add_u32_e32 v8, -1, v6
	v_lshrrev_b32_e32 v7, 1, v8
	v_mov_b32_e32 v3, v2
	v_add_u32_e32 v7, 1, v7
	v_cmp_lt_u32_e32 vcc, 13, v8
	v_mov_b32_e32 v10, 0
	s_and_saveexec_b64 s[10:11], vcc
	s_cbranch_execz .LBB350_278
; %bb.275:
	v_mov_b32_e32 v9, 0xd0
	v_and_b32_e32 v8, -8, v7
	v_lshl_add_u32 v9, v0, 2, v9
	s_mov_b32 s9, 0
	s_mov_b64 s[12:13], 0
.LBB350_276:                            ; =>This Inner Loop Header: Depth=1
	ds_read2st64_b32 v[10:11], v9 offset1:2
	ds_read2st64_b32 v[16:17], v9 offset0:4 offset1:6
	ds_read2st64_b32 v[18:19], v9 offset0:8 offset1:10
	ds_read2st64_b32 v[20:21], v9 offset0:12 offset1:14
	v_add_u32_e32 v8, -8, v8
	s_waitcnt lgkmcnt(3)
	v_pk_mul_f32 v[10:11], v[2:3], v[10:11]
	s_waitcnt lgkmcnt(2)
	v_pk_mul_f32 v[16:17], v[2:3], v[16:17]
	ds_write2st64_b32 v9, v10, v11 offset1:2
	ds_write2st64_b32 v9, v16, v17 offset0:4 offset1:6
	ds_read2st64_b32 v[16:17], v9 offset0:16 offset1:18
	s_waitcnt lgkmcnt(4)
	v_pk_mul_f32 v[10:11], v[2:3], v[18:19]
	ds_write2st64_b32 v9, v10, v11 offset0:8 offset1:10
	s_waitcnt lgkmcnt(4)
	v_pk_mul_f32 v[10:11], v[2:3], v[20:21]
	ds_write2st64_b32 v9, v10, v11 offset0:12 offset1:14
	ds_read2st64_b32 v[10:11], v9 offset0:20 offset1:22
	s_waitcnt lgkmcnt(3)
	v_pk_mul_f32 v[16:17], v[2:3], v[16:17]
	ds_read2st64_b32 v[18:19], v9 offset0:24 offset1:26
	ds_write2st64_b32 v9, v16, v17 offset0:16 offset1:18
	ds_read2st64_b32 v[16:17], v9 offset0:28 offset1:30
	s_waitcnt lgkmcnt(3)
	v_pk_mul_f32 v[10:11], v[2:3], v[10:11]
	ds_write2st64_b32 v9, v10, v11 offset0:20 offset1:22
	s_waitcnt lgkmcnt(3)
	v_pk_mul_f32 v[10:11], v[2:3], v[18:19]
	ds_write2st64_b32 v9, v10, v11 offset0:24 offset1:26
	s_waitcnt lgkmcnt(2)
	v_pk_mul_f32 v[10:11], v[2:3], v[16:17]
	s_add_i32 s9, s9, 16
	v_cmp_eq_u32_e32 vcc, 0, v8
	ds_write2st64_b32 v9, v10, v11 offset0:28 offset1:30
	v_add_u32_e32 v9, 0x2000, v9
	s_or_b64 s[12:13], vcc, s[12:13]
	v_mov_b32_e32 v10, s9
	s_andn2_b64 exec, exec, s[12:13]
	s_cbranch_execnz .LBB350_276
; %bb.277:
	s_or_b64 exec, exec, s[12:13]
.LBB350_278:
	s_or_b64 exec, exec, s[10:11]
	v_and_b32_e32 v7, 7, v7
	v_cmp_ne_u32_e32 vcc, 0, v7
	s_and_saveexec_b64 s[10:11], vcc
	s_cbranch_execz .LBB350_281
; %bb.279:
	v_lshlrev_b32_e32 v8, 9, v10
	v_lshlrev_b32_e32 v9, 2, v0
	s_movk_i32 s9, 0xd0
	v_add3_u32 v8, v8, v9, s9
	s_mov_b64 s[12:13], 0
.LBB350_280:                            ; =>This Inner Loop Header: Depth=1
	ds_read2st64_b32 v[10:11], v8 offset1:2
	v_add_u32_e32 v7, -1, v7
	v_cmp_eq_u32_e32 vcc, 0, v7
	s_or_b64 s[12:13], vcc, s[12:13]
	s_waitcnt lgkmcnt(0)
	v_pk_mul_f32 v[10:11], v[2:3], v[10:11]
	ds_write2st64_b32 v8, v10, v11 offset1:2
	v_add_u32_e32 v8, 0x400, v8
	s_andn2_b64 exec, exec, s[12:13]
	s_cbranch_execnz .LBB350_280
.LBB350_281:
	s_or_b64 exec, exec, s[10:11]
	v_add_u32_e32 v6, 1, v6
	v_and_b32_e32 v7, 0x3fffffe, v6
	v_cmp_ne_u32_e32 vcc, v6, v7
	v_lshl_add_u32 v3, v7, 7, v0
	s_orn2_b64 s[10:11], vcc, exec
.LBB350_282:
	s_or_b64 exec, exec, s[4:5]
	s_and_b64 exec, exec, s[10:11]
	s_cbranch_execz .LBB350_285
; %bb.283:
	v_mov_b32_e32 v6, 0xd0
	v_lshl_add_u32 v6, v3, 2, v6
	s_mov_b64 s[4:5], 0
.LBB350_284:                            ; =>This Inner Loop Header: Depth=1
	ds_read_b32 v7, v6
	v_add_u32_e32 v3, 0x80, v3
	v_cmp_le_i32_e32 vcc, s43, v3
	s_or_b64 s[4:5], vcc, s[4:5]
	s_waitcnt lgkmcnt(0)
	v_mul_f32_e32 v7, v2, v7
	ds_write_b32 v6, v7
	v_add_u32_e32 v6, 0x200, v6
	s_andn2_b64 exec, exec, s[4:5]
	s_cbranch_execnz .LBB350_284
.LBB350_285:
	s_or_b64 exec, exec, s[2:3]
	v_cmp_eq_u32_e32 vcc, 0, v0
	s_waitcnt lgkmcnt(0)
	s_barrier
	s_and_saveexec_b64 s[2:3], vcc
	s_cbranch_execz .LBB350_287
; %bb.286:
	s_mul_i32 s4, s20, s28
	s_mul_i32 s4, s4, s29
	s_ashr_i32 s5, s4, 31
	s_lshl_b64 s[4:5], s[4:5], 2
	s_add_u32 s9, s26, s4
	s_mul_i32 s10, s20, s6
	s_addc_u32 s12, s27, s5
	s_ashr_i32 s11, s10, 31
	s_lshl_b64 s[10:11], s[10:11], 2
	s_add_u32 s6, s9, s10
	s_addc_u32 s19, s12, s11
	s_ashr_i32 s9, s8, 31
	s_lshl_b64 s[12:13], s[8:9], 2
	s_add_u32 s18, s6, s12
	s_addc_u32 s19, s19, s13
	s_add_u32 s4, s24, s4
	s_addc_u32 s5, s25, s5
	;; [unrolled: 2-line block ×3, first 2 shown]
	s_add_u32 s4, s4, s12
	v_mov_b32_e32 v2, 0
	s_addc_u32 s5, s5, s13
	global_store_dword v2, v4, s[18:19]
	global_store_dword v2, v5, s[4:5]
.LBB350_287:
	s_or_b64 exec, exec, s[2:3]
	s_mov_b32 s4, 0
	v_mov_b32_e32 v12, 0
	v_and_b32_e32 v23, 1, v0
	v_mov_b32_e32 v11, 0
	v_mov_b32_e32 v10, 0
	s_and_saveexec_b64 s[2:3], s[0:1]
	s_cbranch_execz .LBB350_667
; %bb.288:
	s_sub_i32 s9, s16, s21
	s_ashr_i32 s0, s54, 31
	s_add_u32 s1, s40, s54
	s_addc_u32 s0, s41, s0
	s_abs_i32 s21, s22
	v_cvt_f32_u32_e32 v2, s21
	s_sub_i32 s5, 0, s21
	v_lshlrev_b32_e32 v3, 3, v0
	v_and_b32_e32 v24, 8, v3
	v_rcp_iflag_f32_e32 v2, v2
	v_and_b32_e32 v3, 0x1f8, v3
	s_add_i32 s24, s7, -1
	v_add_co_u32_e32 v16, vcc, s1, v3
	v_mul_f32_e32 v2, 0x4f7ffffe, v2
	v_cvt_u32_f32_e32 v2, v2
	s_mov_b32 s6, s4
	s_mov_b32 s10, -1
	s_mov_b32 s22, s17
	v_mul_lo_u32 v4, s5, v2
	v_mul_hi_u32 v4, v2, v4
	v_add_u32_e32 v25, v2, v4
	v_mov_b32_e32 v2, s0
	s_lshl_b64 s[0:1], s[38:39], 2
	v_addc_co_u32_e32 v17, vcc, 0, v2, vcc
	v_lshlrev_b64 v[2:3], 2, v[14:15]
	s_add_u32 s0, s36, s0
	s_addc_u32 s1, s37, s1
	v_add_co_u32_e32 v18, vcc, s0, v2
	v_lshlrev_b32_e32 v2, 5, v23
	v_mov_b32_e32 v4, s1
	v_lshl_or_b32 v2, v27, 6, v2
	s_mov_b32 s5, s4
	v_mov_b32_e32 v12, s6
	s_mov_b32 s11, 0xffffff
	v_addc_co_u32_e32 v19, vcc, v4, v3, vcc
	v_add_u32_e32 v15, 0xd0, v2
	s_mov_b64 s[12:13], 0
	v_mov_b32_e32 v11, s5
	v_mov_b32_e32 v10, s4
	s_mov_b32 s25, 0x7f800000
	s_movk_i32 s26, 0x7fff
	s_movk_i32 s27, 0x80
	;; [unrolled: 1-line block ×3, first 2 shown]
	v_mov_b32_e32 v21, 0
	v_bfrev_b32_e32 v26, 60
	s_branch .LBB350_291
.LBB350_289:                            ;   in Loop: Header=BB350_291 Depth=1
	s_or_b64 exec, exec, s[0:1]
	v_and_b32_e32 v37, 0xffff0000, v39
	v_and_b32_e32 v39, 0xffff0000, v27
	v_and_b32_e32 v38, 0xffff0000, v8
	v_and_b32_e32 v9, 0xffff0000, v9
	v_and_b32_e32 v8, 0xffff0000, v7
	v_and_b32_e32 v36, 0xffff0000, v29
	v_and_b32_e32 v29, 0xffff0000, v30
	v_and_b32_e32 v28, 0xffff0000, v28
	v_pk_add_f32 v[8:9], v[8:9], v[38:39]
	v_pk_add_f32 v[28:29], v[28:29], v[36:37]
	v_add_f32_e32 v7, v8, v9
	v_add_f32_e32 v7, v7, v28
	v_add_f32_e32 v7, v7, v29
	v_add_f32_e32 v10, v10, v7
	v_and_b32_e32 v7, 0xffff0000, v49
	v_and_b32_e32 v6, 0xffff0000, v6
	v_and_b32_e32 v37, 0xffff0000, v48
	v_and_b32_e32 v36, 0xffff0000, v5
	v_and_b32_e32 v9, 0xffff0000, v53
	v_and_b32_e32 v8, 0xffff0000, v51
	v_and_b32_e32 v29, 0xffff0000, v52
	v_and_b32_e32 v28, 0xffff0000, v50
	v_pk_add_f32 v[6:7], v[36:37], v[6:7]
	v_pk_add_f32 v[8:9], v[28:29], v[8:9]
	v_add_f32_e32 v5, v6, v7
	v_add_f32_e32 v5, v5, v8
	v_add_f32_e32 v5, v5, v9
	v_add_f32_e32 v11, v11, v5
	;; [unrolled: 14-line block ×3, first 2 shown]
.LBB350_290:                            ;   in Loop: Header=BB350_291 Depth=1
	s_or_b64 exec, exec, s[4:5]
	v_add_co_u32_e32 v18, vcc, 8, v18
	v_add_u32_e32 v14, 2, v14
	v_addc_co_u32_e32 v19, vcc, 0, v19, vcc
	v_cmp_le_i32_e32 vcc, s53, v14
	v_add_u32_e32 v1, 32, v1
	s_or_b64 s[12:13], vcc, s[12:13]
	v_add_u32_e32 v15, 0x80, v15
	s_andn2_b64 exec, exec, s[12:13]
	s_cbranch_execz .LBB350_666
.LBB350_291:                            ; =>This Inner Loop Header: Depth=1
	v_sub_u32_e32 v3, 0, v1
	v_max_i32_e32 v3, v1, v3
	v_mul_hi_u32 v4, v3, s52
	v_mul_lo_u32 v5, v4, s31
	v_sub_u32_e32 v3, v3, v5
	v_add_u32_e32 v5, 1, v4
	v_cmp_le_u32_e32 vcc, s31, v3
	v_cndmask_b32_e32 v4, v4, v5, vcc
	v_subrev_u32_e32 v5, s31, v3
	v_cndmask_b32_e32 v3, v3, v5, vcc
	v_ashrrev_i32_e32 v2, 31, v1
	v_add_u32_e32 v5, 1, v4
	v_cmp_le_u32_e32 vcc, s31, v3
	v_xor_b32_e32 v2, s23, v2
	v_cndmask_b32_e32 v3, v4, v5, vcc
	v_xor_b32_e32 v3, v3, v2
	v_sub_u32_e32 v2, v3, v2
	v_add_u32_e32 v3, s42, v2
	v_sub_u32_e32 v5, 0, v3
	v_ashrrev_i32_e32 v4, 31, v3
	v_max_i32_e32 v3, v3, v5
	v_mul_hi_u32 v5, v3, v25
	v_mul_lo_u32 v5, v5, s21
	v_sub_u32_e32 v3, v3, v5
	v_subrev_u32_e32 v5, s21, v3
	v_cmp_le_u32_e32 vcc, s21, v3
	v_cndmask_b32_e32 v3, v3, v5, vcc
	v_subrev_u32_e32 v5, s21, v3
	v_cmp_le_u32_e32 vcc, s21, v3
	v_cndmask_b32_e32 v3, v3, v5, vcc
	v_xor_b32_e32 v3, v3, v4
	v_sub_u32_e32 v3, v3, v4
	v_cmp_eq_u32_e32 vcc, 0, v3
	v_cmp_lt_i32_e64 s[0:1], s9, v2
	s_or_b64 s[0:1], vcc, s[0:1]
	s_and_saveexec_b64 s[4:5], s[0:1]
	s_cbranch_execz .LBB350_290
; %bb.292:                              ;   in Loop: Header=BB350_291 Depth=1
	global_load_dword v20, v[18:19], off
	ds_read2_b64 v[6:9], v15 offset1:1
	ds_read2_b64 v[2:5], v15 offset0:2 offset1:3
                                        ; implicit-def: $vgpr40
	s_waitcnt lgkmcnt(1)
	v_and_b32_e32 v27, 0x7f800000, v6
	v_cmp_ne_u32_e32 vcc, s25, v27
	s_and_saveexec_b64 s[0:1], vcc
	s_xor_b64 s[0:1], exec, s[0:1]
; %bb.293:                              ;   in Loop: Header=BB350_291 Depth=1
	v_bfe_u32 v27, v6, 16, 1
	v_add3_u32 v40, v6, v27, s26
; %bb.294:                              ;   in Loop: Header=BB350_291 Depth=1
	s_andn2_saveexec_b64 s[0:1], s[0:1]
; %bb.295:                              ;   in Loop: Header=BB350_291 Depth=1
	v_or_b32_e32 v27, 0x10000, v6
	v_cmp_eq_u32_sdwa vcc, v6, v21 src0_sel:WORD_0 src1_sel:DWORD
	v_cndmask_b32_e32 v40, v27, v6, vcc
; %bb.296:                              ;   in Loop: Header=BB350_291 Depth=1
	s_or_b64 exec, exec, s[0:1]
	v_and_b32_e32 v6, 0x7f800000, v7
	v_cmp_ne_u32_e32 vcc, s25, v6
                                        ; implicit-def: $vgpr41
	s_and_saveexec_b64 s[0:1], vcc
	s_xor_b64 s[0:1], exec, s[0:1]
; %bb.297:                              ;   in Loop: Header=BB350_291 Depth=1
	v_bfe_u32 v6, v7, 16, 1
	v_add3_u32 v41, v7, v6, s26
; %bb.298:                              ;   in Loop: Header=BB350_291 Depth=1
	s_andn2_saveexec_b64 s[0:1], s[0:1]
; %bb.299:                              ;   in Loop: Header=BB350_291 Depth=1
	v_or_b32_e32 v6, 0x10000, v7
	v_cmp_eq_u32_sdwa vcc, v7, v21 src0_sel:WORD_0 src1_sel:DWORD
	v_cndmask_b32_e32 v41, v6, v7, vcc
; %bb.300:                              ;   in Loop: Header=BB350_291 Depth=1
	s_or_b64 exec, exec, s[0:1]
	v_and_b32_e32 v6, 0x7f800000, v8
	v_cmp_ne_u32_e32 vcc, s25, v6
                                        ; implicit-def: $vgpr42
	s_and_saveexec_b64 s[0:1], vcc
	s_xor_b64 s[0:1], exec, s[0:1]
; %bb.301:                              ;   in Loop: Header=BB350_291 Depth=1
	v_bfe_u32 v6, v8, 16, 1
	v_add3_u32 v42, v8, v6, s26
; %bb.302:                              ;   in Loop: Header=BB350_291 Depth=1
	s_andn2_saveexec_b64 s[0:1], s[0:1]
; %bb.303:                              ;   in Loop: Header=BB350_291 Depth=1
	v_or_b32_e32 v6, 0x10000, v8
	v_cmp_eq_u32_sdwa vcc, v8, v21 src0_sel:WORD_0 src1_sel:DWORD
	v_cndmask_b32_e32 v42, v6, v8, vcc
; %bb.304:                              ;   in Loop: Header=BB350_291 Depth=1
	s_or_b64 exec, exec, s[0:1]
	v_and_b32_e32 v6, 0x7f800000, v9
	v_cmp_ne_u32_e32 vcc, s25, v6
                                        ; implicit-def: $vgpr27
	s_and_saveexec_b64 s[0:1], vcc
	s_xor_b64 s[0:1], exec, s[0:1]
; %bb.305:                              ;   in Loop: Header=BB350_291 Depth=1
	v_bfe_u32 v6, v9, 16, 1
	v_add3_u32 v27, v9, v6, s26
                                        ; implicit-def: $vgpr6_vgpr7_vgpr8_vgpr9
; %bb.306:                              ;   in Loop: Header=BB350_291 Depth=1
	s_andn2_saveexec_b64 s[0:1], s[0:1]
; %bb.307:                              ;   in Loop: Header=BB350_291 Depth=1
	v_or_b32_e32 v6, 0x10000, v9
	v_cmp_eq_u32_sdwa vcc, v9, v21 src0_sel:WORD_0 src1_sel:DWORD
	v_cndmask_b32_e32 v27, v6, v9, vcc
; %bb.308:                              ;   in Loop: Header=BB350_291 Depth=1
	s_or_b64 exec, exec, s[0:1]
	s_waitcnt lgkmcnt(0)
	v_and_b32_e32 v6, 0x7f800000, v2
	v_cmp_ne_u32_e32 vcc, s25, v6
                                        ; implicit-def: $vgpr28
	s_and_saveexec_b64 s[0:1], vcc
	s_xor_b64 s[0:1], exec, s[0:1]
; %bb.309:                              ;   in Loop: Header=BB350_291 Depth=1
	v_bfe_u32 v6, v2, 16, 1
	v_add3_u32 v28, v2, v6, s26
; %bb.310:                              ;   in Loop: Header=BB350_291 Depth=1
	s_andn2_saveexec_b64 s[0:1], s[0:1]
; %bb.311:                              ;   in Loop: Header=BB350_291 Depth=1
	v_or_b32_e32 v6, 0x10000, v2
	v_cmp_eq_u32_sdwa vcc, v2, v21 src0_sel:WORD_0 src1_sel:DWORD
	v_cndmask_b32_e32 v28, v6, v2, vcc
; %bb.312:                              ;   in Loop: Header=BB350_291 Depth=1
	s_or_b64 exec, exec, s[0:1]
	v_and_b32_e32 v2, 0x7f800000, v3
	v_cmp_ne_u32_e32 vcc, s25, v2
                                        ; implicit-def: $vgpr29
	s_and_saveexec_b64 s[0:1], vcc
	s_xor_b64 s[0:1], exec, s[0:1]
; %bb.313:                              ;   in Loop: Header=BB350_291 Depth=1
	v_bfe_u32 v2, v3, 16, 1
	v_add3_u32 v29, v3, v2, s26
; %bb.314:                              ;   in Loop: Header=BB350_291 Depth=1
	s_andn2_saveexec_b64 s[0:1], s[0:1]
; %bb.315:                              ;   in Loop: Header=BB350_291 Depth=1
	v_or_b32_e32 v2, 0x10000, v3
	v_cmp_eq_u32_sdwa vcc, v3, v21 src0_sel:WORD_0 src1_sel:DWORD
	v_cndmask_b32_e32 v29, v2, v3, vcc
; %bb.316:                              ;   in Loop: Header=BB350_291 Depth=1
	s_or_b64 exec, exec, s[0:1]
	v_and_b32_e32 v2, 0x7f800000, v4
	v_cmp_ne_u32_e32 vcc, s25, v2
                                        ; implicit-def: $vgpr30
	s_and_saveexec_b64 s[0:1], vcc
	s_xor_b64 s[0:1], exec, s[0:1]
; %bb.317:                              ;   in Loop: Header=BB350_291 Depth=1
	v_bfe_u32 v2, v4, 16, 1
	v_add3_u32 v30, v4, v2, s26
; %bb.318:                              ;   in Loop: Header=BB350_291 Depth=1
	s_andn2_saveexec_b64 s[0:1], s[0:1]
; %bb.319:                              ;   in Loop: Header=BB350_291 Depth=1
	v_or_b32_e32 v2, 0x10000, v4
	v_cmp_eq_u32_sdwa vcc, v4, v21 src0_sel:WORD_0 src1_sel:DWORD
	v_cndmask_b32_e32 v30, v2, v4, vcc
; %bb.320:                              ;   in Loop: Header=BB350_291 Depth=1
	s_or_b64 exec, exec, s[0:1]
	v_and_b32_e32 v2, 0x7f800000, v5
	v_cmp_ne_u32_e32 vcc, s25, v2
                                        ; implicit-def: $vgpr39
	s_and_saveexec_b64 s[0:1], vcc
	s_xor_b64 s[0:1], exec, s[0:1]
; %bb.321:                              ;   in Loop: Header=BB350_291 Depth=1
	v_bfe_u32 v2, v5, 16, 1
	v_add3_u32 v39, v5, v2, s26
                                        ; implicit-def: $vgpr2_vgpr3_vgpr4_vgpr5
; %bb.322:                              ;   in Loop: Header=BB350_291 Depth=1
	s_andn2_saveexec_b64 s[0:1], s[0:1]
; %bb.323:                              ;   in Loop: Header=BB350_291 Depth=1
	v_or_b32_e32 v2, 0x10000, v5
	v_cmp_eq_u32_sdwa vcc, v5, v21 src0_sel:WORD_0 src1_sel:DWORD
	v_cndmask_b32_e32 v39, v2, v5, vcc
; %bb.324:                              ;   in Loop: Header=BB350_291 Depth=1
	s_or_b64 exec, exec, s[0:1]
	s_waitcnt vmcnt(0)
	v_mad_i64_i32 v[2:3], s[0:1], v20, s22, v[16:17]
	global_load_dwordx2 v[4:5], v[2:3], off
	s_load_dword s37, s[14:15], 0x0
	v_mov_b32_e32 v6, 0
	s_waitcnt vmcnt(0)
	v_cmp_ne_u16_sdwa s[6:7], v4, v21 src0_sel:BYTE_0 src1_sel:DWORD
	s_and_saveexec_b64 s[0:1], s[6:7]
	s_cbranch_execz .LBB350_330
; %bb.325:                              ;   in Loop: Header=BB350_291 Depth=1
	v_cmp_ne_u16_sdwa s[16:17], v4, s27 src0_sel:BYTE_0 src1_sel:DWORD
	v_bfrev_b32_e32 v6, 1
	s_and_saveexec_b64 s[6:7], s[16:17]
	s_cbranch_execz .LBB350_329
; %bb.326:                              ;   in Loop: Header=BB350_291 Depth=1
	v_and_b32_e32 v7, 0x7f, v4
	v_cmp_ne_u32_e32 vcc, s36, v7
	v_mov_b32_e32 v6, 0x7f800001
	s_and_saveexec_b64 s[16:17], vcc
	s_cbranch_execz .LBB350_328
; %bb.327:                              ;   in Loop: Header=BB350_291 Depth=1
	v_and_b32_e32 v6, 7, v4
	v_ffbh_u32_e32 v6, v6
	v_min_u32_e32 v6, 32, v6
	v_lshrrev_b32_e32 v8, 3, v7
	v_subrev_u32_e32 v9, 28, v6
	v_sub_u32_e32 v6, 29, v6
	v_cmp_gt_u32_e32 vcc, 8, v7
	v_cndmask_b32_e32 v8, v8, v6, vcc
	v_cndmask_b32_e32 v6, 0, v9, vcc
	v_lshlrev_b64 v[6:7], v6, v[4:5]
	v_lshlrev_b32_e32 v6, 20, v6
	v_lshlrev_b32_e32 v7, 24, v4
	v_and_b32_e32 v6, 0x700000, v6
	v_and_b32_e32 v7, 0x80000000, v7
	v_lshl_add_u32 v8, v8, 23, v26
	v_or3_b32 v6, v7, v8, v6
.LBB350_328:                            ;   in Loop: Header=BB350_291 Depth=1
	s_or_b64 exec, exec, s[16:17]
.LBB350_329:                            ;   in Loop: Header=BB350_291 Depth=1
	s_or_b64 exec, exec, s[6:7]
.LBB350_330:                            ;   in Loop: Header=BB350_291 Depth=1
	s_or_b64 exec, exec, s[0:1]
	s_waitcnt lgkmcnt(0)
	v_mul_f32_e32 v6, s37, v6
	v_and_b32_e32 v7, 0x7f800000, v6
	v_cmp_ne_u32_e32 vcc, s25, v7
                                        ; implicit-def: $vgpr7
	s_and_saveexec_b64 s[0:1], vcc
	s_xor_b64 s[0:1], exec, s[0:1]
; %bb.331:                              ;   in Loop: Header=BB350_291 Depth=1
	v_bfe_u32 v7, v6, 16, 1
	v_add3_u32 v7, v6, v7, s26
                                        ; implicit-def: $vgpr6
; %bb.332:                              ;   in Loop: Header=BB350_291 Depth=1
	s_andn2_saveexec_b64 s[0:1], s[0:1]
; %bb.333:                              ;   in Loop: Header=BB350_291 Depth=1
	v_or_b32_e32 v7, 0x10000, v6
	v_cmp_eq_u32_sdwa vcc, v6, v21 src0_sel:WORD_0 src1_sel:DWORD
	v_cndmask_b32_e32 v7, v7, v6, vcc
; %bb.334:                              ;   in Loop: Header=BB350_291 Depth=1
	s_or_b64 exec, exec, s[0:1]
	v_lshrrev_b16_e32 v6, 8, v4
	v_cmp_ne_u16_e32 vcc, 0, v6
	v_mov_b32_e32 v8, 0
	s_and_saveexec_b64 s[0:1], vcc
	s_cbranch_execz .LBB350_340
; %bb.335:                              ;   in Loop: Header=BB350_291 Depth=1
	v_cmp_ne_u16_e32 vcc, s27, v6
	v_bfrev_b32_e32 v8, 1
	s_and_saveexec_b64 s[6:7], vcc
	s_cbranch_execz .LBB350_339
; %bb.336:                              ;   in Loop: Header=BB350_291 Depth=1
	v_and_b32_e32 v9, 0x7f, v6
	v_cmp_ne_u32_e32 vcc, s36, v9
	v_mov_b32_e32 v8, 0x7f800001
	s_and_saveexec_b64 s[16:17], vcc
	s_cbranch_execz .LBB350_338
; %bb.337:                              ;   in Loop: Header=BB350_291 Depth=1
	v_and_b32_e32 v8, 7, v6
	v_ffbh_u32_e32 v31, v8
	v_min_u32_e32 v31, 32, v31
	v_subrev_u32_e32 v32, 28, v31
	v_lshlrev_b64 v[32:33], v32, v[6:7]
	v_lshrrev_b32_e32 v20, 3, v9
	v_sub_u32_e32 v6, 29, v31
	v_and_b32_e32 v31, 7, v32
	v_cmp_gt_u32_e32 vcc, 8, v9
	v_cndmask_b32_e32 v6, v20, v6, vcc
	v_cndmask_b32_e32 v8, v8, v31, vcc
	v_lshlrev_b32_e32 v9, 16, v4
	v_lshlrev_b32_e32 v8, 20, v8
	v_and_b32_e32 v9, 0x80000000, v9
	v_lshl_add_u32 v6, v6, 23, v26
	v_or3_b32 v8, v9, v6, v8
.LBB350_338:                            ;   in Loop: Header=BB350_291 Depth=1
	s_or_b64 exec, exec, s[16:17]
.LBB350_339:                            ;   in Loop: Header=BB350_291 Depth=1
	s_or_b64 exec, exec, s[6:7]
.LBB350_340:                            ;   in Loop: Header=BB350_291 Depth=1
	s_or_b64 exec, exec, s[0:1]
	v_mul_f32_e32 v6, s37, v8
	v_and_b32_e32 v8, 0x7f800000, v6
	v_cmp_ne_u32_e32 vcc, s25, v8
                                        ; implicit-def: $vgpr8
	s_and_saveexec_b64 s[0:1], vcc
	s_xor_b64 s[0:1], exec, s[0:1]
; %bb.341:                              ;   in Loop: Header=BB350_291 Depth=1
	v_bfe_u32 v8, v6, 16, 1
	v_add3_u32 v8, v6, v8, s26
                                        ; implicit-def: $vgpr6
; %bb.342:                              ;   in Loop: Header=BB350_291 Depth=1
	s_andn2_saveexec_b64 s[0:1], s[0:1]
; %bb.343:                              ;   in Loop: Header=BB350_291 Depth=1
	v_or_b32_e32 v8, 0x10000, v6
	v_cmp_eq_u32_sdwa vcc, v6, v21 src0_sel:WORD_0 src1_sel:DWORD
	v_cndmask_b32_e32 v8, v8, v6, vcc
; %bb.344:                              ;   in Loop: Header=BB350_291 Depth=1
	s_or_b64 exec, exec, s[0:1]
	v_lshrrev_b32_e32 v6, 16, v4
	v_cmp_ne_u16_sdwa s[6:7], v6, v21 src0_sel:BYTE_0 src1_sel:DWORD
	v_mov_b32_e32 v9, 0
	s_and_saveexec_b64 s[0:1], s[6:7]
	s_cbranch_execz .LBB350_350
; %bb.345:                              ;   in Loop: Header=BB350_291 Depth=1
	v_cmp_ne_u16_sdwa s[16:17], v6, s27 src0_sel:BYTE_0 src1_sel:DWORD
	v_bfrev_b32_e32 v9, 1
	s_and_saveexec_b64 s[6:7], s[16:17]
	s_cbranch_execz .LBB350_349
; %bb.346:                              ;   in Loop: Header=BB350_291 Depth=1
	v_bfe_u32 v20, v4, 16, 7
	v_cmp_ne_u32_e32 vcc, s36, v20
	v_mov_b32_e32 v9, 0x7f800001
	s_and_saveexec_b64 s[16:17], vcc
	s_cbranch_execz .LBB350_348
; %bb.347:                              ;   in Loop: Header=BB350_291 Depth=1
	v_and_b32_e32 v9, 7, v6
	v_ffbh_u32_e32 v32, v9
	v_min_u32_e32 v34, 32, v32
	v_subrev_u32_e32 v32, 28, v34
	v_lshlrev_b64 v[32:33], v32, v[6:7]
	v_lshrrev_b32_e32 v31, 3, v20
	v_sub_u32_e32 v33, 29, v34
	v_and_b32_e32 v32, 7, v32
	v_cmp_gt_u32_e32 vcc, 8, v20
	v_cndmask_b32_e32 v20, v31, v33, vcc
	v_cndmask_b32_e32 v9, v9, v32, vcc
	v_lshlrev_b32_e32 v6, 24, v6
	v_lshlrev_b32_e32 v9, 20, v9
	v_and_b32_e32 v6, 0x80000000, v6
	v_lshl_add_u32 v20, v20, 23, v26
	v_or3_b32 v9, v6, v20, v9
.LBB350_348:                            ;   in Loop: Header=BB350_291 Depth=1
	s_or_b64 exec, exec, s[16:17]
.LBB350_349:                            ;   in Loop: Header=BB350_291 Depth=1
	s_or_b64 exec, exec, s[6:7]
.LBB350_350:                            ;   in Loop: Header=BB350_291 Depth=1
	s_or_b64 exec, exec, s[0:1]
	v_mul_f32_e32 v6, s37, v9
	v_and_b32_e32 v9, 0x7f800000, v6
	v_cmp_ne_u32_e32 vcc, s25, v9
                                        ; implicit-def: $vgpr9
	s_and_saveexec_b64 s[0:1], vcc
	s_xor_b64 s[0:1], exec, s[0:1]
; %bb.351:                              ;   in Loop: Header=BB350_291 Depth=1
	v_bfe_u32 v9, v6, 16, 1
	v_add3_u32 v9, v6, v9, s26
                                        ; implicit-def: $vgpr6
; %bb.352:                              ;   in Loop: Header=BB350_291 Depth=1
	s_andn2_saveexec_b64 s[0:1], s[0:1]
; %bb.353:                              ;   in Loop: Header=BB350_291 Depth=1
	v_or_b32_e32 v9, 0x10000, v6
	v_cmp_eq_u32_sdwa vcc, v6, v21 src0_sel:WORD_0 src1_sel:DWORD
	v_cndmask_b32_e32 v9, v9, v6, vcc
; %bb.354:                              ;   in Loop: Header=BB350_291 Depth=1
	s_or_b64 exec, exec, s[0:1]
	v_cmp_lt_u32_e32 vcc, s11, v4
	v_mov_b32_e32 v20, 0
	s_and_saveexec_b64 s[0:1], vcc
	s_cbranch_execz .LBB350_360
; %bb.355:                              ;   in Loop: Header=BB350_291 Depth=1
	v_lshrrev_b32_e32 v6, 24, v4
	v_cmp_ne_u32_e32 vcc, s27, v6
	v_bfrev_b32_e32 v20, 1
	s_and_saveexec_b64 s[6:7], vcc
	s_cbranch_execz .LBB350_359
; %bb.356:                              ;   in Loop: Header=BB350_291 Depth=1
	v_bfe_u32 v31, v4, 24, 7
	v_cmp_ne_u32_e32 vcc, s36, v31
	v_mov_b32_e32 v20, 0x7f800001
	s_and_saveexec_b64 s[16:17], vcc
	s_cbranch_execz .LBB350_358
; %bb.357:                              ;   in Loop: Header=BB350_291 Depth=1
	v_and_b32_e32 v20, 7, v6
	v_ffbh_u32_e32 v32, v20
	v_min_u32_e32 v35, 32, v32
	v_subrev_u32_e32 v32, 28, v35
	v_lshlrev_b64 v[32:33], v32, v[6:7]
	v_lshrrev_b32_e32 v34, 3, v31
	v_sub_u32_e32 v33, 29, v35
	v_and_b32_e32 v32, 7, v32
	v_cmp_gt_u32_e32 vcc, 8, v31
	v_cndmask_b32_e32 v31, v34, v33, vcc
	v_cndmask_b32_e32 v20, v20, v32, vcc
	v_lshlrev_b32_e32 v6, 24, v6
	v_lshlrev_b32_e32 v20, 20, v20
	v_and_b32_e32 v6, 0x80000000, v6
	v_lshl_add_u32 v31, v31, 23, v26
	v_or3_b32 v20, v6, v31, v20
.LBB350_358:                            ;   in Loop: Header=BB350_291 Depth=1
	s_or_b64 exec, exec, s[16:17]
.LBB350_359:                            ;   in Loop: Header=BB350_291 Depth=1
	s_or_b64 exec, exec, s[6:7]
.LBB350_360:                            ;   in Loop: Header=BB350_291 Depth=1
	s_or_b64 exec, exec, s[0:1]
	v_mul_f32_e32 v6, s37, v20
	v_and_b32_e32 v20, 0x7f800000, v6
	v_cmp_ne_u32_e32 vcc, s25, v20
                                        ; implicit-def: $vgpr32
	s_and_saveexec_b64 s[0:1], vcc
	s_xor_b64 s[0:1], exec, s[0:1]
; %bb.361:                              ;   in Loop: Header=BB350_291 Depth=1
	v_bfe_u32 v20, v6, 16, 1
	v_add3_u32 v32, v6, v20, s26
                                        ; implicit-def: $vgpr6
; %bb.362:                              ;   in Loop: Header=BB350_291 Depth=1
	s_andn2_saveexec_b64 s[0:1], s[0:1]
; %bb.363:                              ;   in Loop: Header=BB350_291 Depth=1
	v_or_b32_e32 v20, 0x10000, v6
	v_cmp_eq_u32_sdwa vcc, v6, v21 src0_sel:WORD_0 src1_sel:DWORD
	v_cndmask_b32_e32 v32, v20, v6, vcc
; %bb.364:                              ;   in Loop: Header=BB350_291 Depth=1
	s_or_b64 exec, exec, s[0:1]
	v_mov_b32_e32 v20, v5
	v_cmp_ne_u16_sdwa s[6:7], v5, v21 src0_sel:BYTE_0 src1_sel:DWORD
	v_mov_b32_e32 v6, 0
	s_and_saveexec_b64 s[0:1], s[6:7]
	s_cbranch_execz .LBB350_370
; %bb.365:                              ;   in Loop: Header=BB350_291 Depth=1
	v_cmp_ne_u16_sdwa s[16:17], v5, s27 src0_sel:BYTE_0 src1_sel:DWORD
	v_bfrev_b32_e32 v6, 1
	s_and_saveexec_b64 s[6:7], s[16:17]
	s_cbranch_execz .LBB350_369
; %bb.366:                              ;   in Loop: Header=BB350_291 Depth=1
	v_and_b32_e32 v31, 0x7f, v5
	v_cmp_ne_u32_e32 vcc, s36, v31
	v_mov_b32_e32 v6, 0x7f800001
	s_and_saveexec_b64 s[16:17], vcc
	s_cbranch_execz .LBB350_368
; %bb.367:                              ;   in Loop: Header=BB350_291 Depth=1
	v_and_b32_e32 v6, 7, v5
	v_ffbh_u32_e32 v6, v6
	v_min_u32_e32 v6, 32, v6
	v_subrev_u32_e32 v34, 28, v6
	v_cmp_gt_u32_e32 vcc, 8, v31
	v_lshrrev_b32_e32 v33, 3, v31
	v_cndmask_b32_e32 v31, 0, v34, vcc
	v_sub_u32_e32 v6, 29, v6
	v_lshlrev_b64 v[34:35], v31, v[20:21]
	v_cndmask_b32_e32 v6, v33, v6, vcc
	v_lshlrev_b32_e32 v31, 20, v34
	v_lshlrev_b32_e32 v33, 24, v20
	v_and_b32_e32 v31, 0x700000, v31
	v_and_b32_e32 v33, 0x80000000, v33
	v_lshl_add_u32 v6, v6, 23, v26
	v_or3_b32 v6, v33, v6, v31
.LBB350_368:                            ;   in Loop: Header=BB350_291 Depth=1
	s_or_b64 exec, exec, s[16:17]
.LBB350_369:                            ;   in Loop: Header=BB350_291 Depth=1
	s_or_b64 exec, exec, s[6:7]
.LBB350_370:                            ;   in Loop: Header=BB350_291 Depth=1
	s_or_b64 exec, exec, s[0:1]
	v_mul_f32_e32 v6, s37, v6
	v_and_b32_e32 v31, 0x7f800000, v6
	v_cmp_ne_u32_e32 vcc, s25, v31
                                        ; implicit-def: $vgpr33
	s_and_saveexec_b64 s[0:1], vcc
	s_xor_b64 s[0:1], exec, s[0:1]
; %bb.371:                              ;   in Loop: Header=BB350_291 Depth=1
	v_bfe_u32 v31, v6, 16, 1
	v_add3_u32 v33, v6, v31, s26
                                        ; implicit-def: $vgpr6
; %bb.372:                              ;   in Loop: Header=BB350_291 Depth=1
	s_andn2_saveexec_b64 s[0:1], s[0:1]
; %bb.373:                              ;   in Loop: Header=BB350_291 Depth=1
	v_or_b32_e32 v31, 0x10000, v6
	v_cmp_eq_u32_sdwa vcc, v6, v21 src0_sel:WORD_0 src1_sel:DWORD
	v_cndmask_b32_e32 v33, v31, v6, vcc
; %bb.374:                              ;   in Loop: Header=BB350_291 Depth=1
	s_or_b64 exec, exec, s[0:1]
	v_lshrrev_b16_e32 v6, 8, v20
	v_cmp_ne_u16_e32 vcc, 0, v6
	v_mov_b32_e32 v31, 0
	s_and_saveexec_b64 s[0:1], vcc
	s_cbranch_execz .LBB350_380
; %bb.375:                              ;   in Loop: Header=BB350_291 Depth=1
	v_cmp_ne_u16_e32 vcc, s27, v6
	v_bfrev_b32_e32 v31, 1
	s_and_saveexec_b64 s[6:7], vcc
	s_cbranch_execz .LBB350_379
; %bb.376:                              ;   in Loop: Header=BB350_291 Depth=1
	v_and_b32_e32 v34, 0x7f, v6
	v_cmp_ne_u32_e32 vcc, s36, v34
	v_mov_b32_e32 v31, 0x7f800001
	s_and_saveexec_b64 s[16:17], vcc
	s_cbranch_execz .LBB350_378
; %bb.377:                              ;   in Loop: Header=BB350_291 Depth=1
	v_and_b32_e32 v31, 7, v6
	v_ffbh_u32_e32 v36, v31
	v_min_u32_e32 v38, 32, v36
	v_subrev_u32_e32 v36, 28, v38
	v_lshlrev_b64 v[36:37], v36, v[6:7]
	v_lshrrev_b32_e32 v35, 3, v34
	v_sub_u32_e32 v6, 29, v38
	v_and_b32_e32 v36, 7, v36
	v_cmp_gt_u32_e32 vcc, 8, v34
	v_cndmask_b32_e32 v6, v35, v6, vcc
	v_cndmask_b32_e32 v31, v31, v36, vcc
	v_lshlrev_b32_e32 v20, 16, v20
	v_lshlrev_b32_e32 v31, 20, v31
	v_and_b32_e32 v20, 0x80000000, v20
	v_lshl_add_u32 v6, v6, 23, v26
	v_or3_b32 v31, v20, v6, v31
.LBB350_378:                            ;   in Loop: Header=BB350_291 Depth=1
	s_or_b64 exec, exec, s[16:17]
.LBB350_379:                            ;   in Loop: Header=BB350_291 Depth=1
	s_or_b64 exec, exec, s[6:7]
.LBB350_380:                            ;   in Loop: Header=BB350_291 Depth=1
	s_or_b64 exec, exec, s[0:1]
	v_mul_f32_e32 v6, s37, v31
	v_and_b32_e32 v20, 0x7f800000, v6
	v_cmp_ne_u32_e32 vcc, s25, v20
                                        ; implicit-def: $vgpr20
	s_and_saveexec_b64 s[0:1], vcc
	s_xor_b64 s[0:1], exec, s[0:1]
; %bb.381:                              ;   in Loop: Header=BB350_291 Depth=1
	v_bfe_u32 v20, v6, 16, 1
	v_add3_u32 v20, v6, v20, s26
                                        ; implicit-def: $vgpr6
; %bb.382:                              ;   in Loop: Header=BB350_291 Depth=1
	s_andn2_saveexec_b64 s[0:1], s[0:1]
; %bb.383:                              ;   in Loop: Header=BB350_291 Depth=1
	v_or_b32_e32 v20, 0x10000, v6
	v_cmp_eq_u32_sdwa vcc, v6, v21 src0_sel:WORD_0 src1_sel:DWORD
	v_cndmask_b32_e32 v20, v20, v6, vcc
; %bb.384:                              ;   in Loop: Header=BB350_291 Depth=1
	s_or_b64 exec, exec, s[0:1]
	v_lshrrev_b32_e32 v6, 16, v5
	v_cmp_ne_u16_sdwa s[6:7], v6, v21 src0_sel:BYTE_0 src1_sel:DWORD
	v_mov_b32_e32 v31, 0
	s_and_saveexec_b64 s[0:1], s[6:7]
	s_cbranch_execz .LBB350_390
; %bb.385:                              ;   in Loop: Header=BB350_291 Depth=1
	v_cmp_ne_u16_sdwa s[16:17], v6, s27 src0_sel:BYTE_0 src1_sel:DWORD
	v_bfrev_b32_e32 v31, 1
	s_and_saveexec_b64 s[6:7], s[16:17]
	s_cbranch_execz .LBB350_389
; %bb.386:                              ;   in Loop: Header=BB350_291 Depth=1
	v_bfe_u32 v34, v5, 16, 7
	v_cmp_ne_u32_e32 vcc, s36, v34
	v_mov_b32_e32 v31, 0x7f800001
	s_and_saveexec_b64 s[16:17], vcc
	s_cbranch_execz .LBB350_388
; %bb.387:                              ;   in Loop: Header=BB350_291 Depth=1
	v_and_b32_e32 v31, 7, v6
	v_ffbh_u32_e32 v36, v31
	v_min_u32_e32 v38, 32, v36
	v_subrev_u32_e32 v36, 28, v38
	v_lshlrev_b64 v[36:37], v36, v[6:7]
	v_lshrrev_b32_e32 v35, 3, v34
	v_sub_u32_e32 v37, 29, v38
	v_and_b32_e32 v36, 7, v36
	v_cmp_gt_u32_e32 vcc, 8, v34
	v_cndmask_b32_e32 v34, v35, v37, vcc
	v_cndmask_b32_e32 v31, v31, v36, vcc
	v_lshlrev_b32_e32 v6, 24, v6
	v_lshlrev_b32_e32 v31, 20, v31
	v_and_b32_e32 v6, 0x80000000, v6
	v_lshl_add_u32 v34, v34, 23, v26
	v_or3_b32 v31, v6, v34, v31
.LBB350_388:                            ;   in Loop: Header=BB350_291 Depth=1
	s_or_b64 exec, exec, s[16:17]
.LBB350_389:                            ;   in Loop: Header=BB350_291 Depth=1
	s_or_b64 exec, exec, s[6:7]
.LBB350_390:                            ;   in Loop: Header=BB350_291 Depth=1
	s_or_b64 exec, exec, s[0:1]
	v_mul_f32_e32 v6, s37, v31
	v_and_b32_e32 v31, 0x7f800000, v6
	v_cmp_ne_u32_e32 vcc, s25, v31
                                        ; implicit-def: $vgpr34
	s_and_saveexec_b64 s[0:1], vcc
	s_xor_b64 s[0:1], exec, s[0:1]
; %bb.391:                              ;   in Loop: Header=BB350_291 Depth=1
	v_bfe_u32 v31, v6, 16, 1
	v_add3_u32 v34, v6, v31, s26
                                        ; implicit-def: $vgpr6
; %bb.392:                              ;   in Loop: Header=BB350_291 Depth=1
	s_andn2_saveexec_b64 s[0:1], s[0:1]
; %bb.393:                              ;   in Loop: Header=BB350_291 Depth=1
	v_or_b32_e32 v31, 0x10000, v6
	v_cmp_eq_u32_sdwa vcc, v6, v21 src0_sel:WORD_0 src1_sel:DWORD
	v_cndmask_b32_e32 v34, v31, v6, vcc
; %bb.394:                              ;   in Loop: Header=BB350_291 Depth=1
	s_or_b64 exec, exec, s[0:1]
	v_cmp_lt_u64_e32 vcc, s[10:11], v[4:5]
	v_mov_b32_e32 v6, 0
	s_and_saveexec_b64 s[0:1], vcc
	s_cbranch_execz .LBB350_400
; %bb.395:                              ;   in Loop: Header=BB350_291 Depth=1
	v_lshrrev_b32_e32 v4, 24, v5
	v_cmp_ne_u32_e32 vcc, s27, v4
	v_bfrev_b32_e32 v6, 1
	s_and_saveexec_b64 s[6:7], vcc
	s_cbranch_execz .LBB350_399
; %bb.396:                              ;   in Loop: Header=BB350_291 Depth=1
	v_bfe_u32 v5, v5, 24, 7
	v_cmp_ne_u32_e32 vcc, s36, v5
	v_mov_b32_e32 v6, 0x7f800001
	s_and_saveexec_b64 s[16:17], vcc
	s_cbranch_execz .LBB350_398
; %bb.397:                              ;   in Loop: Header=BB350_291 Depth=1
	v_and_b32_e32 v6, 7, v4
	v_ffbh_u32_e32 v35, v6
	v_min_u32_e32 v35, 32, v35
	v_subrev_u32_e32 v36, 28, v35
	v_lshlrev_b64 v[36:37], v36, v[4:5]
	v_lshrrev_b32_e32 v31, 3, v5
	v_sub_u32_e32 v35, 29, v35
	v_and_b32_e32 v36, 7, v36
	v_cmp_gt_u32_e32 vcc, 8, v5
	v_cndmask_b32_e32 v5, v31, v35, vcc
	v_cndmask_b32_e32 v6, v6, v36, vcc
	v_lshlrev_b32_e32 v4, 24, v4
	v_lshlrev_b32_e32 v6, 20, v6
	v_and_b32_e32 v4, 0x80000000, v4
	v_lshl_add_u32 v5, v5, 23, v26
	v_or3_b32 v6, v4, v5, v6
.LBB350_398:                            ;   in Loop: Header=BB350_291 Depth=1
	s_or_b64 exec, exec, s[16:17]
.LBB350_399:                            ;   in Loop: Header=BB350_291 Depth=1
	s_or_b64 exec, exec, s[6:7]
.LBB350_400:                            ;   in Loop: Header=BB350_291 Depth=1
	s_or_b64 exec, exec, s[0:1]
	v_mul_f32_e32 v5, s37, v6
	v_and_b32_e32 v4, 0x7f800000, v5
	v_cmp_ne_u32_e32 vcc, s25, v4
                                        ; implicit-def: $vgpr4
	s_and_saveexec_b64 s[0:1], vcc
	s_xor_b64 s[0:1], exec, s[0:1]
; %bb.401:                              ;   in Loop: Header=BB350_291 Depth=1
	v_bfe_u32 v4, v5, 16, 1
	v_add3_u32 v4, v5, v4, s26
                                        ; implicit-def: $vgpr5
; %bb.402:                              ;   in Loop: Header=BB350_291 Depth=1
	s_andn2_saveexec_b64 s[0:1], s[0:1]
; %bb.403:                              ;   in Loop: Header=BB350_291 Depth=1
	v_or_b32_e32 v4, 0x10000, v5
	v_cmp_eq_u32_sdwa vcc, v5, v21 src0_sel:WORD_0 src1_sel:DWORD
	v_cndmask_b32_e32 v4, v4, v5, vcc
; %bb.404:                              ;   in Loop: Header=BB350_291 Depth=1
	s_or_b64 exec, exec, s[0:1]
	v_add_u32_e32 v31, v24, v1
	v_cmp_eq_u32_e32 vcc, s24, v14
	v_lshrrev_b32_e32 v6, 16, v20
	v_lshrrev_b32_e32 v20, 16, v33
	;; [unrolled: 1-line block ×8, first 2 shown]
	v_add_u32_e32 v38, 1, v31
	v_add_u32_e32 v37, 2, v31
	;; [unrolled: 1-line block ×7, first 2 shown]
	s_and_saveexec_b64 s[6:7], vcc
	s_cbranch_execz .LBB350_406
; %bb.405:                              ;   in Loop: Header=BB350_291 Depth=1
	v_cmp_gt_i32_e64 s[0:1], s33, v31
	v_cndmask_b32_e64 v7, 0, v7, s[0:1]
	v_cmp_gt_i32_e64 s[0:1], s33, v38
	v_cndmask_b32_e64 v8, 0, v8, s[0:1]
	v_cmp_gt_i32_e64 s[0:1], s33, v37
	v_cndmask_b32_e64 v9, 0, v9, s[0:1]
	v_cmp_gt_i32_e64 s[0:1], s33, v36
	v_cndmask_b32_e64 v44, 0, v44, s[0:1]
	v_cmp_gt_i32_e64 s[0:1], s33, v35
	v_cndmask_b32_e64 v20, 0, v20, s[0:1]
	v_cmp_gt_i32_e64 s[0:1], s33, v34
	v_cndmask_b32_e64 v6, 0, v6, s[0:1]
	v_cmp_gt_i32_e64 s[0:1], s33, v33
	v_cndmask_b32_e64 v5, 0, v5, s[0:1]
	v_cmp_gt_i32_e64 s[0:1], s33, v32
	v_cndmask_b32_e64 v4, 0, v4, s[0:1]
.LBB350_406:                            ;   in Loop: Header=BB350_291 Depth=1
	s_or_b64 exec, exec, s[6:7]
	v_and_b32_e32 v40, 0xffff0000, v40
	v_lshlrev_b32_e32 v7, 16, v7
	v_mul_f32_e32 v43, v40, v7
	v_and_b32_e32 v7, 0x7f800000, v43
	v_cmp_ne_u32_e64 s[0:1], s25, v7
                                        ; implicit-def: $vgpr7
	s_and_saveexec_b64 s[6:7], s[0:1]
	s_xor_b64 s[0:1], exec, s[6:7]
; %bb.407:                              ;   in Loop: Header=BB350_291 Depth=1
	v_bfe_u32 v7, v43, 16, 1
	v_add3_u32 v7, v43, v7, s26
                                        ; implicit-def: $vgpr43
; %bb.408:                              ;   in Loop: Header=BB350_291 Depth=1
	s_andn2_saveexec_b64 s[6:7], s[0:1]
; %bb.409:                              ;   in Loop: Header=BB350_291 Depth=1
	v_or_b32_e32 v7, 0x10000, v43
	v_cmp_eq_u32_sdwa s[0:1], v43, v21 src0_sel:WORD_0 src1_sel:DWORD
	v_cndmask_b32_e64 v7, v7, v43, s[0:1]
; %bb.410:                              ;   in Loop: Header=BB350_291 Depth=1
	s_or_b64 exec, exec, s[6:7]
	v_and_b32_e32 v41, 0xffff0000, v41
	v_lshlrev_b32_e32 v8, 16, v8
	v_mul_f32_e32 v43, v41, v8
	v_and_b32_e32 v8, 0x7f800000, v43
	v_cmp_ne_u32_e64 s[0:1], s25, v8
                                        ; implicit-def: $vgpr8
	s_and_saveexec_b64 s[6:7], s[0:1]
	s_xor_b64 s[0:1], exec, s[6:7]
; %bb.411:                              ;   in Loop: Header=BB350_291 Depth=1
	v_bfe_u32 v8, v43, 16, 1
	v_add3_u32 v8, v43, v8, s26
                                        ; implicit-def: $vgpr43
; %bb.412:                              ;   in Loop: Header=BB350_291 Depth=1
	s_andn2_saveexec_b64 s[6:7], s[0:1]
; %bb.413:                              ;   in Loop: Header=BB350_291 Depth=1
	v_or_b32_e32 v8, 0x10000, v43
	v_cmp_eq_u32_sdwa s[0:1], v43, v21 src0_sel:WORD_0 src1_sel:DWORD
	v_cndmask_b32_e64 v8, v8, v43, s[0:1]
; %bb.414:                              ;   in Loop: Header=BB350_291 Depth=1
	s_or_b64 exec, exec, s[6:7]
	v_and_b32_e32 v42, 0xffff0000, v42
	v_lshlrev_b32_e32 v9, 16, v9
	v_mul_f32_e32 v43, v42, v9
	v_and_b32_e32 v9, 0x7f800000, v43
	v_cmp_ne_u32_e64 s[0:1], s25, v9
                                        ; implicit-def: $vgpr9
	s_and_saveexec_b64 s[6:7], s[0:1]
	s_xor_b64 s[0:1], exec, s[6:7]
; %bb.415:                              ;   in Loop: Header=BB350_291 Depth=1
	v_bfe_u32 v9, v43, 16, 1
	v_add3_u32 v9, v43, v9, s26
                                        ; implicit-def: $vgpr43
; %bb.416:                              ;   in Loop: Header=BB350_291 Depth=1
	s_andn2_saveexec_b64 s[6:7], s[0:1]
; %bb.417:                              ;   in Loop: Header=BB350_291 Depth=1
	v_or_b32_e32 v9, 0x10000, v43
	v_cmp_eq_u32_sdwa s[0:1], v43, v21 src0_sel:WORD_0 src1_sel:DWORD
	v_cndmask_b32_e64 v9, v9, v43, s[0:1]
; %bb.418:                              ;   in Loop: Header=BB350_291 Depth=1
	s_or_b64 exec, exec, s[6:7]
	v_and_b32_e32 v43, 0xffff0000, v27
	v_lshlrev_b32_e32 v27, 16, v44
	v_mul_f32_e32 v44, v43, v27
	v_and_b32_e32 v27, 0x7f800000, v44
	v_cmp_ne_u32_e64 s[0:1], s25, v27
                                        ; implicit-def: $vgpr27
	s_and_saveexec_b64 s[6:7], s[0:1]
	s_xor_b64 s[0:1], exec, s[6:7]
; %bb.419:                              ;   in Loop: Header=BB350_291 Depth=1
	v_bfe_u32 v27, v44, 16, 1
	v_add3_u32 v27, v44, v27, s26
                                        ; implicit-def: $vgpr44
; %bb.420:                              ;   in Loop: Header=BB350_291 Depth=1
	s_andn2_saveexec_b64 s[6:7], s[0:1]
; %bb.421:                              ;   in Loop: Header=BB350_291 Depth=1
	v_or_b32_e32 v27, 0x10000, v44
	v_cmp_eq_u32_sdwa s[0:1], v44, v21 src0_sel:WORD_0 src1_sel:DWORD
	v_cndmask_b32_e64 v27, v27, v44, s[0:1]
; %bb.422:                              ;   in Loop: Header=BB350_291 Depth=1
	s_or_b64 exec, exec, s[6:7]
	v_and_b32_e32 v44, 0xffff0000, v28
	v_lshlrev_b32_e32 v20, 16, v20
	v_mul_f32_e32 v20, v44, v20
	v_and_b32_e32 v28, 0x7f800000, v20
	v_cmp_ne_u32_e64 s[0:1], s25, v28
                                        ; implicit-def: $vgpr28
	s_and_saveexec_b64 s[6:7], s[0:1]
	s_xor_b64 s[0:1], exec, s[6:7]
; %bb.423:                              ;   in Loop: Header=BB350_291 Depth=1
	v_bfe_u32 v28, v20, 16, 1
	v_add3_u32 v28, v20, v28, s26
                                        ; implicit-def: $vgpr20
; %bb.424:                              ;   in Loop: Header=BB350_291 Depth=1
	s_andn2_saveexec_b64 s[6:7], s[0:1]
; %bb.425:                              ;   in Loop: Header=BB350_291 Depth=1
	v_or_b32_e32 v28, 0x10000, v20
	v_cmp_eq_u32_sdwa s[0:1], v20, v21 src0_sel:WORD_0 src1_sel:DWORD
	v_cndmask_b32_e64 v28, v28, v20, s[0:1]
; %bb.426:                              ;   in Loop: Header=BB350_291 Depth=1
	s_or_b64 exec, exec, s[6:7]
	v_and_b32_e32 v45, 0xffff0000, v29
	v_lshlrev_b32_e32 v6, 16, v6
	v_mul_f32_e32 v6, v45, v6
	v_and_b32_e32 v20, 0x7f800000, v6
	v_cmp_ne_u32_e64 s[0:1], s25, v20
                                        ; implicit-def: $vgpr29
	s_and_saveexec_b64 s[6:7], s[0:1]
	s_xor_b64 s[0:1], exec, s[6:7]
; %bb.427:                              ;   in Loop: Header=BB350_291 Depth=1
	v_bfe_u32 v20, v6, 16, 1
	v_add3_u32 v29, v6, v20, s26
                                        ; implicit-def: $vgpr6
; %bb.428:                              ;   in Loop: Header=BB350_291 Depth=1
	s_andn2_saveexec_b64 s[6:7], s[0:1]
; %bb.429:                              ;   in Loop: Header=BB350_291 Depth=1
	v_or_b32_e32 v20, 0x10000, v6
	v_cmp_eq_u32_sdwa s[0:1], v6, v21 src0_sel:WORD_0 src1_sel:DWORD
	v_cndmask_b32_e64 v29, v20, v6, s[0:1]
; %bb.430:                              ;   in Loop: Header=BB350_291 Depth=1
	s_or_b64 exec, exec, s[6:7]
	v_and_b32_e32 v46, 0xffff0000, v30
	v_lshlrev_b32_e32 v5, 16, v5
	v_mul_f32_e32 v5, v46, v5
	v_and_b32_e32 v6, 0x7f800000, v5
	v_cmp_ne_u32_e64 s[0:1], s25, v6
                                        ; implicit-def: $vgpr30
	s_and_saveexec_b64 s[6:7], s[0:1]
	s_xor_b64 s[0:1], exec, s[6:7]
; %bb.431:                              ;   in Loop: Header=BB350_291 Depth=1
	v_bfe_u32 v6, v5, 16, 1
	v_add3_u32 v30, v5, v6, s26
                                        ; implicit-def: $vgpr5
; %bb.432:                              ;   in Loop: Header=BB350_291 Depth=1
	s_andn2_saveexec_b64 s[6:7], s[0:1]
; %bb.433:                              ;   in Loop: Header=BB350_291 Depth=1
	v_or_b32_e32 v6, 0x10000, v5
	v_cmp_eq_u32_sdwa s[0:1], v5, v21 src0_sel:WORD_0 src1_sel:DWORD
	v_cndmask_b32_e64 v30, v6, v5, s[0:1]
; %bb.434:                              ;   in Loop: Header=BB350_291 Depth=1
	s_or_b64 exec, exec, s[6:7]
	v_and_b32_e32 v47, 0xffff0000, v39
	v_lshlrev_b32_e32 v4, 16, v4
	v_mul_f32_e32 v4, v47, v4
	v_and_b32_e32 v5, 0x7f800000, v4
	v_cmp_ne_u32_e64 s[0:1], s25, v5
                                        ; implicit-def: $vgpr39
	s_and_saveexec_b64 s[6:7], s[0:1]
	s_xor_b64 s[0:1], exec, s[6:7]
; %bb.435:                              ;   in Loop: Header=BB350_291 Depth=1
	v_bfe_u32 v5, v4, 16, 1
	v_add3_u32 v39, v4, v5, s26
                                        ; implicit-def: $vgpr4
; %bb.436:                              ;   in Loop: Header=BB350_291 Depth=1
	s_andn2_saveexec_b64 s[6:7], s[0:1]
; %bb.437:                              ;   in Loop: Header=BB350_291 Depth=1
	v_or_b32_e32 v5, 0x10000, v4
	v_cmp_eq_u32_sdwa s[0:1], v4, v21 src0_sel:WORD_0 src1_sel:DWORD
	v_cndmask_b32_e64 v39, v5, v4, s[0:1]
; %bb.438:                              ;   in Loop: Header=BB350_291 Depth=1
	s_or_b64 exec, exec, s[6:7]
	global_load_dwordx2 v[4:5], v[2:3], off offset:512
	v_mov_b32_e32 v6, 0
	s_waitcnt vmcnt(0)
	v_cmp_ne_u16_sdwa s[0:1], v4, v21 src0_sel:BYTE_0 src1_sel:DWORD
	s_and_saveexec_b64 s[6:7], s[0:1]
	s_cbranch_execz .LBB350_444
; %bb.439:                              ;   in Loop: Header=BB350_291 Depth=1
	v_cmp_ne_u16_sdwa s[0:1], v4, s27 src0_sel:BYTE_0 src1_sel:DWORD
	v_bfrev_b32_e32 v6, 1
	s_and_saveexec_b64 s[16:17], s[0:1]
	s_cbranch_execz .LBB350_443
; %bb.440:                              ;   in Loop: Header=BB350_291 Depth=1
	v_and_b32_e32 v20, 0x7f, v4
	v_cmp_ne_u32_e64 s[0:1], s36, v20
	v_mov_b32_e32 v6, 0x7f800001
	s_and_saveexec_b64 s[18:19], s[0:1]
	s_cbranch_execz .LBB350_442
; %bb.441:                              ;   in Loop: Header=BB350_291 Depth=1
	v_and_b32_e32 v6, 7, v4
	v_ffbh_u32_e32 v6, v6
	v_min_u32_e32 v6, 32, v6
	v_subrev_u32_e32 v49, 28, v6
	v_cmp_gt_u32_e64 s[0:1], 8, v20
	v_lshrrev_b32_e32 v48, 3, v20
	v_sub_u32_e32 v6, 29, v6
	v_cndmask_b32_e64 v20, 0, v49, s[0:1]
	v_cndmask_b32_e64 v6, v48, v6, s[0:1]
	v_lshlrev_b64 v[48:49], v20, v[4:5]
	v_lshlrev_b32_e32 v20, 20, v48
	v_lshlrev_b32_e32 v48, 24, v4
	v_and_b32_e32 v20, 0x700000, v20
	v_and_b32_e32 v48, 0x80000000, v48
	v_lshl_add_u32 v6, v6, 23, v26
	v_or3_b32 v6, v48, v6, v20
.LBB350_442:                            ;   in Loop: Header=BB350_291 Depth=1
	s_or_b64 exec, exec, s[18:19]
.LBB350_443:                            ;   in Loop: Header=BB350_291 Depth=1
	s_or_b64 exec, exec, s[16:17]
.LBB350_444:                            ;   in Loop: Header=BB350_291 Depth=1
	s_or_b64 exec, exec, s[6:7]
	v_mul_f32_e32 v6, s37, v6
	v_and_b32_e32 v20, 0x7f800000, v6
	v_cmp_ne_u32_e64 s[0:1], s25, v20
                                        ; implicit-def: $vgpr48
	s_and_saveexec_b64 s[6:7], s[0:1]
	s_xor_b64 s[0:1], exec, s[6:7]
; %bb.445:                              ;   in Loop: Header=BB350_291 Depth=1
	v_bfe_u32 v20, v6, 16, 1
	v_add3_u32 v48, v6, v20, s26
                                        ; implicit-def: $vgpr6
; %bb.446:                              ;   in Loop: Header=BB350_291 Depth=1
	s_andn2_saveexec_b64 s[6:7], s[0:1]
; %bb.447:                              ;   in Loop: Header=BB350_291 Depth=1
	v_or_b32_e32 v20, 0x10000, v6
	v_cmp_eq_u32_sdwa s[0:1], v6, v21 src0_sel:WORD_0 src1_sel:DWORD
	v_cndmask_b32_e64 v48, v20, v6, s[0:1]
; %bb.448:                              ;   in Loop: Header=BB350_291 Depth=1
	s_or_b64 exec, exec, s[6:7]
	v_lshrrev_b16_e32 v6, 8, v4
	v_cmp_ne_u16_e64 s[0:1], 0, v6
	v_mov_b32_e32 v20, 0
	s_and_saveexec_b64 s[6:7], s[0:1]
	s_cbranch_execz .LBB350_454
; %bb.449:                              ;   in Loop: Header=BB350_291 Depth=1
	v_cmp_ne_u16_e64 s[0:1], s27, v6
	v_bfrev_b32_e32 v20, 1
	s_and_saveexec_b64 s[16:17], s[0:1]
	s_cbranch_execz .LBB350_453
; %bb.450:                              ;   in Loop: Header=BB350_291 Depth=1
	v_and_b32_e32 v49, 0x7f, v6
	v_cmp_ne_u32_e64 s[0:1], s36, v49
	v_mov_b32_e32 v20, 0x7f800001
	s_and_saveexec_b64 s[18:19], s[0:1]
	s_cbranch_execz .LBB350_452
; %bb.451:                              ;   in Loop: Header=BB350_291 Depth=1
	v_and_b32_e32 v20, 7, v6
	v_ffbh_u32_e32 v50, v20
	v_min_u32_e32 v53, 32, v50
	v_subrev_u32_e32 v50, 28, v53
	v_lshlrev_b64 v[50:51], v50, v[6:7]
	v_lshrrev_b32_e32 v52, 3, v49
	v_sub_u32_e32 v6, 29, v53
	v_and_b32_e32 v50, 7, v50
	v_cmp_gt_u32_e64 s[0:1], 8, v49
	v_cndmask_b32_e64 v6, v52, v6, s[0:1]
	v_cndmask_b32_e64 v20, v20, v50, s[0:1]
	v_lshlrev_b32_e32 v49, 16, v4
	v_lshlrev_b32_e32 v20, 20, v20
	v_and_b32_e32 v49, 0x80000000, v49
	v_lshl_add_u32 v6, v6, 23, v26
	v_or3_b32 v20, v49, v6, v20
.LBB350_452:                            ;   in Loop: Header=BB350_291 Depth=1
	s_or_b64 exec, exec, s[18:19]
.LBB350_453:                            ;   in Loop: Header=BB350_291 Depth=1
	s_or_b64 exec, exec, s[16:17]
.LBB350_454:                            ;   in Loop: Header=BB350_291 Depth=1
	s_or_b64 exec, exec, s[6:7]
	v_mul_f32_e32 v6, s37, v20
	v_and_b32_e32 v20, 0x7f800000, v6
	v_cmp_ne_u32_e64 s[0:1], s25, v20
                                        ; implicit-def: $vgpr49
	s_and_saveexec_b64 s[6:7], s[0:1]
	s_xor_b64 s[0:1], exec, s[6:7]
; %bb.455:                              ;   in Loop: Header=BB350_291 Depth=1
	v_bfe_u32 v20, v6, 16, 1
	v_add3_u32 v49, v6, v20, s26
                                        ; implicit-def: $vgpr6
; %bb.456:                              ;   in Loop: Header=BB350_291 Depth=1
	s_andn2_saveexec_b64 s[6:7], s[0:1]
; %bb.457:                              ;   in Loop: Header=BB350_291 Depth=1
	v_or_b32_e32 v20, 0x10000, v6
	v_cmp_eq_u32_sdwa s[0:1], v6, v21 src0_sel:WORD_0 src1_sel:DWORD
	v_cndmask_b32_e64 v49, v20, v6, s[0:1]
; %bb.458:                              ;   in Loop: Header=BB350_291 Depth=1
	s_or_b64 exec, exec, s[6:7]
	v_lshrrev_b32_e32 v6, 16, v4
	v_cmp_ne_u16_sdwa s[0:1], v6, v21 src0_sel:BYTE_0 src1_sel:DWORD
	v_mov_b32_e32 v20, 0
	s_and_saveexec_b64 s[6:7], s[0:1]
	s_cbranch_execz .LBB350_464
; %bb.459:                              ;   in Loop: Header=BB350_291 Depth=1
	v_cmp_ne_u16_sdwa s[0:1], v6, s27 src0_sel:BYTE_0 src1_sel:DWORD
	v_bfrev_b32_e32 v20, 1
	s_and_saveexec_b64 s[16:17], s[0:1]
	s_cbranch_execz .LBB350_463
; %bb.460:                              ;   in Loop: Header=BB350_291 Depth=1
	v_bfe_u32 v50, v4, 16, 7
	v_cmp_ne_u32_e64 s[0:1], s36, v50
	v_mov_b32_e32 v20, 0x7f800001
	s_and_saveexec_b64 s[18:19], s[0:1]
	s_cbranch_execz .LBB350_462
; %bb.461:                              ;   in Loop: Header=BB350_291 Depth=1
	v_and_b32_e32 v20, 7, v6
	v_ffbh_u32_e32 v52, v20
	v_min_u32_e32 v54, 32, v52
	v_subrev_u32_e32 v52, 28, v54
	v_lshlrev_b64 v[52:53], v52, v[6:7]
	v_lshrrev_b32_e32 v51, 3, v50
	v_sub_u32_e32 v53, 29, v54
	v_and_b32_e32 v52, 7, v52
	v_cmp_gt_u32_e64 s[0:1], 8, v50
	v_cndmask_b32_e64 v50, v51, v53, s[0:1]
	v_cndmask_b32_e64 v20, v20, v52, s[0:1]
	v_lshlrev_b32_e32 v6, 24, v6
	v_lshlrev_b32_e32 v20, 20, v20
	v_and_b32_e32 v6, 0x80000000, v6
	v_lshl_add_u32 v50, v50, 23, v26
	v_or3_b32 v20, v6, v50, v20
.LBB350_462:                            ;   in Loop: Header=BB350_291 Depth=1
	s_or_b64 exec, exec, s[18:19]
.LBB350_463:                            ;   in Loop: Header=BB350_291 Depth=1
	s_or_b64 exec, exec, s[16:17]
.LBB350_464:                            ;   in Loop: Header=BB350_291 Depth=1
	s_or_b64 exec, exec, s[6:7]
	v_mul_f32_e32 v6, s37, v20
	v_and_b32_e32 v20, 0x7f800000, v6
	v_cmp_ne_u32_e64 s[0:1], s25, v20
                                        ; implicit-def: $vgpr50
	s_and_saveexec_b64 s[6:7], s[0:1]
	s_xor_b64 s[0:1], exec, s[6:7]
; %bb.465:                              ;   in Loop: Header=BB350_291 Depth=1
	v_bfe_u32 v20, v6, 16, 1
	v_add3_u32 v50, v6, v20, s26
                                        ; implicit-def: $vgpr6
; %bb.466:                              ;   in Loop: Header=BB350_291 Depth=1
	s_andn2_saveexec_b64 s[6:7], s[0:1]
; %bb.467:                              ;   in Loop: Header=BB350_291 Depth=1
	v_or_b32_e32 v20, 0x10000, v6
	v_cmp_eq_u32_sdwa s[0:1], v6, v21 src0_sel:WORD_0 src1_sel:DWORD
	v_cndmask_b32_e64 v50, v20, v6, s[0:1]
; %bb.468:                              ;   in Loop: Header=BB350_291 Depth=1
	s_or_b64 exec, exec, s[6:7]
	v_cmp_lt_u32_e64 s[0:1], s11, v4
	v_mov_b32_e32 v20, 0
	s_and_saveexec_b64 s[6:7], s[0:1]
	s_cbranch_execz .LBB350_474
; %bb.469:                              ;   in Loop: Header=BB350_291 Depth=1
	v_lshrrev_b32_e32 v6, 24, v4
	v_cmp_ne_u32_e64 s[0:1], s27, v6
	v_bfrev_b32_e32 v20, 1
	s_and_saveexec_b64 s[16:17], s[0:1]
	s_cbranch_execz .LBB350_473
; %bb.470:                              ;   in Loop: Header=BB350_291 Depth=1
	v_bfe_u32 v51, v4, 24, 7
	v_cmp_ne_u32_e64 s[0:1], s36, v51
	v_mov_b32_e32 v20, 0x7f800001
	s_and_saveexec_b64 s[18:19], s[0:1]
	s_cbranch_execz .LBB350_472
; %bb.471:                              ;   in Loop: Header=BB350_291 Depth=1
	v_and_b32_e32 v20, 7, v6
	v_ffbh_u32_e32 v52, v20
	v_min_u32_e32 v55, 32, v52
	v_subrev_u32_e32 v52, 28, v55
	v_lshlrev_b64 v[52:53], v52, v[6:7]
	v_lshrrev_b32_e32 v54, 3, v51
	v_sub_u32_e32 v53, 29, v55
	v_and_b32_e32 v52, 7, v52
	v_cmp_gt_u32_e64 s[0:1], 8, v51
	v_cndmask_b32_e64 v51, v54, v53, s[0:1]
	v_cndmask_b32_e64 v20, v20, v52, s[0:1]
	v_lshlrev_b32_e32 v6, 24, v6
	v_lshlrev_b32_e32 v20, 20, v20
	v_and_b32_e32 v6, 0x80000000, v6
	v_lshl_add_u32 v51, v51, 23, v26
	v_or3_b32 v20, v6, v51, v20
.LBB350_472:                            ;   in Loop: Header=BB350_291 Depth=1
	s_or_b64 exec, exec, s[18:19]
.LBB350_473:                            ;   in Loop: Header=BB350_291 Depth=1
	s_or_b64 exec, exec, s[16:17]
.LBB350_474:                            ;   in Loop: Header=BB350_291 Depth=1
	s_or_b64 exec, exec, s[6:7]
	v_mul_f32_e32 v6, s37, v20
	v_and_b32_e32 v20, 0x7f800000, v6
	v_cmp_ne_u32_e64 s[0:1], s25, v20
                                        ; implicit-def: $vgpr51
	s_and_saveexec_b64 s[6:7], s[0:1]
	s_xor_b64 s[0:1], exec, s[6:7]
; %bb.475:                              ;   in Loop: Header=BB350_291 Depth=1
	v_bfe_u32 v20, v6, 16, 1
	v_add3_u32 v51, v6, v20, s26
                                        ; implicit-def: $vgpr6
; %bb.476:                              ;   in Loop: Header=BB350_291 Depth=1
	s_andn2_saveexec_b64 s[6:7], s[0:1]
; %bb.477:                              ;   in Loop: Header=BB350_291 Depth=1
	v_or_b32_e32 v20, 0x10000, v6
	v_cmp_eq_u32_sdwa s[0:1], v6, v21 src0_sel:WORD_0 src1_sel:DWORD
	v_cndmask_b32_e64 v51, v20, v6, s[0:1]
; %bb.478:                              ;   in Loop: Header=BB350_291 Depth=1
	s_or_b64 exec, exec, s[6:7]
	v_mov_b32_e32 v20, v5
	v_cmp_ne_u16_sdwa s[0:1], v5, v21 src0_sel:BYTE_0 src1_sel:DWORD
	v_mov_b32_e32 v6, 0
	s_and_saveexec_b64 s[6:7], s[0:1]
	s_cbranch_execz .LBB350_484
; %bb.479:                              ;   in Loop: Header=BB350_291 Depth=1
	v_cmp_ne_u16_sdwa s[0:1], v5, s27 src0_sel:BYTE_0 src1_sel:DWORD
	v_bfrev_b32_e32 v6, 1
	s_and_saveexec_b64 s[16:17], s[0:1]
	s_cbranch_execz .LBB350_483
; %bb.480:                              ;   in Loop: Header=BB350_291 Depth=1
	v_and_b32_e32 v52, 0x7f, v5
	v_cmp_ne_u32_e64 s[0:1], s36, v52
	v_mov_b32_e32 v6, 0x7f800001
	s_and_saveexec_b64 s[18:19], s[0:1]
	s_cbranch_execz .LBB350_482
; %bb.481:                              ;   in Loop: Header=BB350_291 Depth=1
	v_and_b32_e32 v6, 7, v5
	v_ffbh_u32_e32 v6, v6
	v_min_u32_e32 v6, 32, v6
	v_subrev_u32_e32 v54, 28, v6
	v_cmp_gt_u32_e64 s[0:1], 8, v52
	v_lshrrev_b32_e32 v53, 3, v52
	v_sub_u32_e32 v6, 29, v6
	v_cndmask_b32_e64 v52, 0, v54, s[0:1]
	v_cndmask_b32_e64 v6, v53, v6, s[0:1]
	v_lshlrev_b64 v[52:53], v52, v[20:21]
	v_lshlrev_b32_e32 v52, 20, v52
	v_lshlrev_b32_e32 v53, 24, v20
	v_and_b32_e32 v52, 0x700000, v52
	v_and_b32_e32 v53, 0x80000000, v53
	v_lshl_add_u32 v6, v6, 23, v26
	v_or3_b32 v6, v53, v6, v52
.LBB350_482:                            ;   in Loop: Header=BB350_291 Depth=1
	s_or_b64 exec, exec, s[18:19]
.LBB350_483:                            ;   in Loop: Header=BB350_291 Depth=1
	s_or_b64 exec, exec, s[16:17]
.LBB350_484:                            ;   in Loop: Header=BB350_291 Depth=1
	s_or_b64 exec, exec, s[6:7]
	v_mul_f32_e32 v6, s37, v6
	v_and_b32_e32 v52, 0x7f800000, v6
	v_cmp_ne_u32_e64 s[0:1], s25, v52
                                        ; implicit-def: $vgpr52
	s_and_saveexec_b64 s[6:7], s[0:1]
	s_xor_b64 s[0:1], exec, s[6:7]
; %bb.485:                              ;   in Loop: Header=BB350_291 Depth=1
	v_bfe_u32 v52, v6, 16, 1
	v_add3_u32 v52, v6, v52, s26
                                        ; implicit-def: $vgpr6
; %bb.486:                              ;   in Loop: Header=BB350_291 Depth=1
	s_andn2_saveexec_b64 s[6:7], s[0:1]
; %bb.487:                              ;   in Loop: Header=BB350_291 Depth=1
	v_or_b32_e32 v52, 0x10000, v6
	v_cmp_eq_u32_sdwa s[0:1], v6, v21 src0_sel:WORD_0 src1_sel:DWORD
	v_cndmask_b32_e64 v52, v52, v6, s[0:1]
; %bb.488:                              ;   in Loop: Header=BB350_291 Depth=1
	s_or_b64 exec, exec, s[6:7]
	v_lshrrev_b16_e32 v6, 8, v20
	v_cmp_ne_u16_e64 s[0:1], 0, v6
	v_mov_b32_e32 v53, 0
	s_and_saveexec_b64 s[6:7], s[0:1]
	s_cbranch_execz .LBB350_494
; %bb.489:                              ;   in Loop: Header=BB350_291 Depth=1
	v_cmp_ne_u16_e64 s[0:1], s27, v6
	v_bfrev_b32_e32 v53, 1
	s_and_saveexec_b64 s[16:17], s[0:1]
	s_cbranch_execz .LBB350_493
; %bb.490:                              ;   in Loop: Header=BB350_291 Depth=1
	v_and_b32_e32 v54, 0x7f, v6
	v_cmp_ne_u32_e64 s[0:1], s36, v54
	v_mov_b32_e32 v53, 0x7f800001
	s_and_saveexec_b64 s[18:19], s[0:1]
	s_cbranch_execz .LBB350_492
; %bb.491:                              ;   in Loop: Header=BB350_291 Depth=1
	v_and_b32_e32 v53, 7, v6
	v_ffbh_u32_e32 v56, v53
	v_min_u32_e32 v58, 32, v56
	v_subrev_u32_e32 v56, 28, v58
	v_lshlrev_b64 v[56:57], v56, v[6:7]
	v_lshrrev_b32_e32 v55, 3, v54
	v_sub_u32_e32 v6, 29, v58
	v_and_b32_e32 v56, 7, v56
	v_cmp_gt_u32_e64 s[0:1], 8, v54
	v_cndmask_b32_e64 v6, v55, v6, s[0:1]
	v_cndmask_b32_e64 v53, v53, v56, s[0:1]
	v_lshlrev_b32_e32 v20, 16, v20
	v_lshlrev_b32_e32 v53, 20, v53
	v_and_b32_e32 v20, 0x80000000, v20
	v_lshl_add_u32 v6, v6, 23, v26
	v_or3_b32 v53, v20, v6, v53
.LBB350_492:                            ;   in Loop: Header=BB350_291 Depth=1
	s_or_b64 exec, exec, s[18:19]
.LBB350_493:                            ;   in Loop: Header=BB350_291 Depth=1
	s_or_b64 exec, exec, s[16:17]
.LBB350_494:                            ;   in Loop: Header=BB350_291 Depth=1
	s_or_b64 exec, exec, s[6:7]
	v_mul_f32_e32 v6, s37, v53
	v_and_b32_e32 v20, 0x7f800000, v6
	v_cmp_ne_u32_e64 s[0:1], s25, v20
                                        ; implicit-def: $vgpr20
	s_and_saveexec_b64 s[6:7], s[0:1]
	s_xor_b64 s[0:1], exec, s[6:7]
; %bb.495:                              ;   in Loop: Header=BB350_291 Depth=1
	v_bfe_u32 v20, v6, 16, 1
	v_add3_u32 v20, v6, v20, s26
                                        ; implicit-def: $vgpr6
; %bb.496:                              ;   in Loop: Header=BB350_291 Depth=1
	s_andn2_saveexec_b64 s[6:7], s[0:1]
; %bb.497:                              ;   in Loop: Header=BB350_291 Depth=1
	v_or_b32_e32 v20, 0x10000, v6
	v_cmp_eq_u32_sdwa s[0:1], v6, v21 src0_sel:WORD_0 src1_sel:DWORD
	v_cndmask_b32_e64 v20, v20, v6, s[0:1]
; %bb.498:                              ;   in Loop: Header=BB350_291 Depth=1
	s_or_b64 exec, exec, s[6:7]
	v_lshrrev_b32_e32 v6, 16, v5
	v_cmp_ne_u16_sdwa s[0:1], v6, v21 src0_sel:BYTE_0 src1_sel:DWORD
	v_mov_b32_e32 v53, 0
	s_and_saveexec_b64 s[6:7], s[0:1]
	s_cbranch_execz .LBB350_504
; %bb.499:                              ;   in Loop: Header=BB350_291 Depth=1
	v_cmp_ne_u16_sdwa s[0:1], v6, s27 src0_sel:BYTE_0 src1_sel:DWORD
	v_bfrev_b32_e32 v53, 1
	s_and_saveexec_b64 s[16:17], s[0:1]
	s_cbranch_execz .LBB350_503
; %bb.500:                              ;   in Loop: Header=BB350_291 Depth=1
	v_bfe_u32 v54, v5, 16, 7
	v_cmp_ne_u32_e64 s[0:1], s36, v54
	v_mov_b32_e32 v53, 0x7f800001
	s_and_saveexec_b64 s[18:19], s[0:1]
	s_cbranch_execz .LBB350_502
; %bb.501:                              ;   in Loop: Header=BB350_291 Depth=1
	v_and_b32_e32 v53, 7, v6
	v_ffbh_u32_e32 v56, v53
	v_min_u32_e32 v58, 32, v56
	v_subrev_u32_e32 v56, 28, v58
	v_lshlrev_b64 v[56:57], v56, v[6:7]
	v_lshrrev_b32_e32 v55, 3, v54
	v_sub_u32_e32 v57, 29, v58
	v_and_b32_e32 v56, 7, v56
	v_cmp_gt_u32_e64 s[0:1], 8, v54
	v_cndmask_b32_e64 v54, v55, v57, s[0:1]
	v_cndmask_b32_e64 v53, v53, v56, s[0:1]
	v_lshlrev_b32_e32 v6, 24, v6
	v_lshlrev_b32_e32 v53, 20, v53
	v_and_b32_e32 v6, 0x80000000, v6
	v_lshl_add_u32 v54, v54, 23, v26
	v_or3_b32 v53, v6, v54, v53
.LBB350_502:                            ;   in Loop: Header=BB350_291 Depth=1
	s_or_b64 exec, exec, s[18:19]
.LBB350_503:                            ;   in Loop: Header=BB350_291 Depth=1
	s_or_b64 exec, exec, s[16:17]
.LBB350_504:                            ;   in Loop: Header=BB350_291 Depth=1
	s_or_b64 exec, exec, s[6:7]
	v_mul_f32_e32 v53, s37, v53
	v_and_b32_e32 v6, 0x7f800000, v53
	v_cmp_ne_u32_e64 s[0:1], s25, v6
                                        ; implicit-def: $vgpr6
	s_and_saveexec_b64 s[6:7], s[0:1]
	s_xor_b64 s[0:1], exec, s[6:7]
; %bb.505:                              ;   in Loop: Header=BB350_291 Depth=1
	v_bfe_u32 v6, v53, 16, 1
	v_add3_u32 v6, v53, v6, s26
                                        ; implicit-def: $vgpr53
; %bb.506:                              ;   in Loop: Header=BB350_291 Depth=1
	s_andn2_saveexec_b64 s[6:7], s[0:1]
; %bb.507:                              ;   in Loop: Header=BB350_291 Depth=1
	v_or_b32_e32 v6, 0x10000, v53
	v_cmp_eq_u32_sdwa s[0:1], v53, v21 src0_sel:WORD_0 src1_sel:DWORD
	v_cndmask_b32_e64 v6, v6, v53, s[0:1]
; %bb.508:                              ;   in Loop: Header=BB350_291 Depth=1
	s_or_b64 exec, exec, s[6:7]
	v_cmp_lt_u64_e64 s[0:1], s[10:11], v[4:5]
	v_mov_b32_e32 v53, 0
	s_and_saveexec_b64 s[6:7], s[0:1]
	s_cbranch_execz .LBB350_514
; %bb.509:                              ;   in Loop: Header=BB350_291 Depth=1
	v_lshrrev_b32_e32 v4, 24, v5
	v_cmp_ne_u32_e64 s[0:1], s27, v4
	v_bfrev_b32_e32 v53, 1
	s_and_saveexec_b64 s[16:17], s[0:1]
	s_cbranch_execz .LBB350_513
; %bb.510:                              ;   in Loop: Header=BB350_291 Depth=1
	v_bfe_u32 v5, v5, 24, 7
	v_cmp_ne_u32_e64 s[0:1], s36, v5
	v_mov_b32_e32 v53, 0x7f800001
	s_and_saveexec_b64 s[18:19], s[0:1]
	s_cbranch_execz .LBB350_512
; %bb.511:                              ;   in Loop: Header=BB350_291 Depth=1
	v_and_b32_e32 v53, 7, v4
	v_ffbh_u32_e32 v54, v53
	v_min_u32_e32 v57, 32, v54
	v_subrev_u32_e32 v54, 28, v57
	v_lshlrev_b64 v[54:55], v54, v[4:5]
	v_lshrrev_b32_e32 v56, 3, v5
	v_sub_u32_e32 v55, 29, v57
	v_and_b32_e32 v54, 7, v54
	v_cmp_gt_u32_e64 s[0:1], 8, v5
	v_cndmask_b32_e64 v5, v56, v55, s[0:1]
	v_cndmask_b32_e64 v53, v53, v54, s[0:1]
	v_lshlrev_b32_e32 v4, 24, v4
	v_lshlrev_b32_e32 v53, 20, v53
	v_and_b32_e32 v4, 0x80000000, v4
	v_lshl_add_u32 v5, v5, 23, v26
	v_or3_b32 v53, v4, v5, v53
.LBB350_512:                            ;   in Loop: Header=BB350_291 Depth=1
	s_or_b64 exec, exec, s[18:19]
.LBB350_513:                            ;   in Loop: Header=BB350_291 Depth=1
	s_or_b64 exec, exec, s[16:17]
.LBB350_514:                            ;   in Loop: Header=BB350_291 Depth=1
	s_or_b64 exec, exec, s[6:7]
	v_mul_f32_e32 v5, s37, v53
	v_and_b32_e32 v4, 0x7f800000, v5
	v_cmp_ne_u32_e64 s[0:1], s25, v4
                                        ; implicit-def: $vgpr4
	s_and_saveexec_b64 s[6:7], s[0:1]
	s_xor_b64 s[0:1], exec, s[6:7]
; %bb.515:                              ;   in Loop: Header=BB350_291 Depth=1
	v_bfe_u32 v4, v5, 16, 1
	v_add3_u32 v4, v5, v4, s26
                                        ; implicit-def: $vgpr5
; %bb.516:                              ;   in Loop: Header=BB350_291 Depth=1
	s_andn2_saveexec_b64 s[6:7], s[0:1]
; %bb.517:                              ;   in Loop: Header=BB350_291 Depth=1
	v_or_b32_e32 v4, 0x10000, v5
	v_cmp_eq_u32_sdwa s[0:1], v5, v21 src0_sel:WORD_0 src1_sel:DWORD
	v_cndmask_b32_e64 v4, v4, v5, s[0:1]
; %bb.518:                              ;   in Loop: Header=BB350_291 Depth=1
	s_or_b64 exec, exec, s[6:7]
	v_lshrrev_b32_e32 v53, 16, v20
	v_lshrrev_b32_e32 v52, 16, v52
	;; [unrolled: 1-line block ×8, first 2 shown]
	s_and_saveexec_b64 s[6:7], vcc
	s_cbranch_execz .LBB350_520
; %bb.519:                              ;   in Loop: Header=BB350_291 Depth=1
	v_cmp_gt_i32_e64 s[0:1], s33, v31
	v_cndmask_b32_e64 v5, 0, v5, s[0:1]
	v_cmp_gt_i32_e64 s[0:1], s33, v38
	v_cndmask_b32_e64 v49, 0, v49, s[0:1]
	;; [unrolled: 2-line block ×8, first 2 shown]
.LBB350_520:                            ;   in Loop: Header=BB350_291 Depth=1
	s_or_b64 exec, exec, s[6:7]
	v_lshlrev_b32_e32 v5, 16, v5
	v_mul_f32_e32 v6, v40, v5
	v_and_b32_e32 v5, 0x7f800000, v6
	v_cmp_ne_u32_e64 s[0:1], s25, v5
                                        ; implicit-def: $vgpr5
	s_and_saveexec_b64 s[6:7], s[0:1]
	s_xor_b64 s[0:1], exec, s[6:7]
; %bb.521:                              ;   in Loop: Header=BB350_291 Depth=1
	v_bfe_u32 v5, v6, 16, 1
	v_add3_u32 v5, v6, v5, s26
                                        ; implicit-def: $vgpr6
; %bb.522:                              ;   in Loop: Header=BB350_291 Depth=1
	s_andn2_saveexec_b64 s[6:7], s[0:1]
; %bb.523:                              ;   in Loop: Header=BB350_291 Depth=1
	v_or_b32_e32 v5, 0x10000, v6
	v_cmp_eq_u32_sdwa s[0:1], v6, v21 src0_sel:WORD_0 src1_sel:DWORD
	v_cndmask_b32_e64 v5, v5, v6, s[0:1]
; %bb.524:                              ;   in Loop: Header=BB350_291 Depth=1
	s_or_b64 exec, exec, s[6:7]
	v_lshlrev_b32_e32 v6, 16, v49
	v_mul_f32_e32 v48, v41, v6
	v_and_b32_e32 v6, 0x7f800000, v48
	v_cmp_ne_u32_e64 s[0:1], s25, v6
                                        ; implicit-def: $vgpr6
	s_and_saveexec_b64 s[6:7], s[0:1]
	s_xor_b64 s[0:1], exec, s[6:7]
; %bb.525:                              ;   in Loop: Header=BB350_291 Depth=1
	v_bfe_u32 v6, v48, 16, 1
	v_add3_u32 v6, v48, v6, s26
                                        ; implicit-def: $vgpr48
; %bb.526:                              ;   in Loop: Header=BB350_291 Depth=1
	s_andn2_saveexec_b64 s[6:7], s[0:1]
; %bb.527:                              ;   in Loop: Header=BB350_291 Depth=1
	v_or_b32_e32 v6, 0x10000, v48
	v_cmp_eq_u32_sdwa s[0:1], v48, v21 src0_sel:WORD_0 src1_sel:DWORD
	v_cndmask_b32_e64 v6, v6, v48, s[0:1]
; %bb.528:                              ;   in Loop: Header=BB350_291 Depth=1
	s_or_b64 exec, exec, s[6:7]
	v_lshlrev_b32_e32 v48, 16, v50
	v_mul_f32_e32 v49, v42, v48
	v_and_b32_e32 v48, 0x7f800000, v49
	v_cmp_ne_u32_e64 s[0:1], s25, v48
                                        ; implicit-def: $vgpr48
	s_and_saveexec_b64 s[6:7], s[0:1]
	s_xor_b64 s[0:1], exec, s[6:7]
; %bb.529:                              ;   in Loop: Header=BB350_291 Depth=1
	v_bfe_u32 v48, v49, 16, 1
	v_add3_u32 v48, v49, v48, s26
                                        ; implicit-def: $vgpr49
; %bb.530:                              ;   in Loop: Header=BB350_291 Depth=1
	s_andn2_saveexec_b64 s[6:7], s[0:1]
; %bb.531:                              ;   in Loop: Header=BB350_291 Depth=1
	v_or_b32_e32 v48, 0x10000, v49
	v_cmp_eq_u32_sdwa s[0:1], v49, v21 src0_sel:WORD_0 src1_sel:DWORD
	v_cndmask_b32_e64 v48, v48, v49, s[0:1]
; %bb.532:                              ;   in Loop: Header=BB350_291 Depth=1
	s_or_b64 exec, exec, s[6:7]
	v_lshlrev_b32_e32 v49, 16, v51
	v_mul_f32_e32 v50, v43, v49
	v_and_b32_e32 v49, 0x7f800000, v50
	v_cmp_ne_u32_e64 s[0:1], s25, v49
                                        ; implicit-def: $vgpr49
	s_and_saveexec_b64 s[6:7], s[0:1]
	s_xor_b64 s[0:1], exec, s[6:7]
; %bb.533:                              ;   in Loop: Header=BB350_291 Depth=1
	v_bfe_u32 v49, v50, 16, 1
	v_add3_u32 v49, v50, v49, s26
                                        ; implicit-def: $vgpr50
; %bb.534:                              ;   in Loop: Header=BB350_291 Depth=1
	s_andn2_saveexec_b64 s[6:7], s[0:1]
; %bb.535:                              ;   in Loop: Header=BB350_291 Depth=1
	v_or_b32_e32 v49, 0x10000, v50
	v_cmp_eq_u32_sdwa s[0:1], v50, v21 src0_sel:WORD_0 src1_sel:DWORD
	v_cndmask_b32_e64 v49, v49, v50, s[0:1]
; %bb.536:                              ;   in Loop: Header=BB350_291 Depth=1
	s_or_b64 exec, exec, s[6:7]
	v_lshlrev_b32_e32 v50, 16, v52
	v_mul_f32_e32 v51, v44, v50
	v_and_b32_e32 v50, 0x7f800000, v51
	v_cmp_ne_u32_e64 s[0:1], s25, v50
                                        ; implicit-def: $vgpr50
	s_and_saveexec_b64 s[6:7], s[0:1]
	s_xor_b64 s[0:1], exec, s[6:7]
; %bb.537:                              ;   in Loop: Header=BB350_291 Depth=1
	v_bfe_u32 v50, v51, 16, 1
	v_add3_u32 v50, v51, v50, s26
                                        ; implicit-def: $vgpr51
; %bb.538:                              ;   in Loop: Header=BB350_291 Depth=1
	s_andn2_saveexec_b64 s[6:7], s[0:1]
; %bb.539:                              ;   in Loop: Header=BB350_291 Depth=1
	v_or_b32_e32 v50, 0x10000, v51
	v_cmp_eq_u32_sdwa s[0:1], v51, v21 src0_sel:WORD_0 src1_sel:DWORD
	v_cndmask_b32_e64 v50, v50, v51, s[0:1]
; %bb.540:                              ;   in Loop: Header=BB350_291 Depth=1
	s_or_b64 exec, exec, s[6:7]
	v_lshlrev_b32_e32 v51, 16, v53
	v_mul_f32_e32 v52, v45, v51
	v_and_b32_e32 v51, 0x7f800000, v52
	v_cmp_ne_u32_e64 s[0:1], s25, v51
                                        ; implicit-def: $vgpr51
	s_and_saveexec_b64 s[6:7], s[0:1]
	s_xor_b64 s[0:1], exec, s[6:7]
; %bb.541:                              ;   in Loop: Header=BB350_291 Depth=1
	v_bfe_u32 v51, v52, 16, 1
	v_add3_u32 v51, v52, v51, s26
                                        ; implicit-def: $vgpr52
; %bb.542:                              ;   in Loop: Header=BB350_291 Depth=1
	s_andn2_saveexec_b64 s[6:7], s[0:1]
; %bb.543:                              ;   in Loop: Header=BB350_291 Depth=1
	v_or_b32_e32 v51, 0x10000, v52
	v_cmp_eq_u32_sdwa s[0:1], v52, v21 src0_sel:WORD_0 src1_sel:DWORD
	v_cndmask_b32_e64 v51, v51, v52, s[0:1]
; %bb.544:                              ;   in Loop: Header=BB350_291 Depth=1
	s_or_b64 exec, exec, s[6:7]
	v_lshlrev_b32_e32 v20, 16, v20
	v_mul_f32_e32 v20, v46, v20
	v_and_b32_e32 v52, 0x7f800000, v20
	v_cmp_ne_u32_e64 s[0:1], s25, v52
                                        ; implicit-def: $vgpr52
	s_and_saveexec_b64 s[6:7], s[0:1]
	s_xor_b64 s[0:1], exec, s[6:7]
; %bb.545:                              ;   in Loop: Header=BB350_291 Depth=1
	v_bfe_u32 v52, v20, 16, 1
	v_add3_u32 v52, v20, v52, s26
                                        ; implicit-def: $vgpr20
; %bb.546:                              ;   in Loop: Header=BB350_291 Depth=1
	s_andn2_saveexec_b64 s[6:7], s[0:1]
; %bb.547:                              ;   in Loop: Header=BB350_291 Depth=1
	v_or_b32_e32 v52, 0x10000, v20
	v_cmp_eq_u32_sdwa s[0:1], v20, v21 src0_sel:WORD_0 src1_sel:DWORD
	v_cndmask_b32_e64 v52, v52, v20, s[0:1]
; %bb.548:                              ;   in Loop: Header=BB350_291 Depth=1
	s_or_b64 exec, exec, s[6:7]
	v_lshlrev_b32_e32 v4, 16, v4
	v_mul_f32_e32 v4, v47, v4
	v_and_b32_e32 v20, 0x7f800000, v4
	v_cmp_ne_u32_e64 s[0:1], s25, v20
                                        ; implicit-def: $vgpr53
	s_and_saveexec_b64 s[6:7], s[0:1]
	s_xor_b64 s[0:1], exec, s[6:7]
; %bb.549:                              ;   in Loop: Header=BB350_291 Depth=1
	v_bfe_u32 v20, v4, 16, 1
	v_add3_u32 v53, v4, v20, s26
                                        ; implicit-def: $vgpr4
; %bb.550:                              ;   in Loop: Header=BB350_291 Depth=1
	s_andn2_saveexec_b64 s[6:7], s[0:1]
; %bb.551:                              ;   in Loop: Header=BB350_291 Depth=1
	v_or_b32_e32 v20, 0x10000, v4
	v_cmp_eq_u32_sdwa s[0:1], v4, v21 src0_sel:WORD_0 src1_sel:DWORD
	v_cndmask_b32_e64 v53, v20, v4, s[0:1]
; %bb.552:                              ;   in Loop: Header=BB350_291 Depth=1
	s_or_b64 exec, exec, s[6:7]
	global_load_dwordx2 v[2:3], v[2:3], off offset:1024
	v_mov_b32_e32 v4, 0
	s_waitcnt vmcnt(0)
	v_cmp_ne_u16_sdwa s[0:1], v2, v21 src0_sel:BYTE_0 src1_sel:DWORD
	s_and_saveexec_b64 s[6:7], s[0:1]
	s_cbranch_execz .LBB350_558
; %bb.553:                              ;   in Loop: Header=BB350_291 Depth=1
	v_cmp_ne_u16_sdwa s[0:1], v2, s27 src0_sel:BYTE_0 src1_sel:DWORD
	v_bfrev_b32_e32 v4, 1
	s_and_saveexec_b64 s[16:17], s[0:1]
	s_cbranch_execz .LBB350_557
; %bb.554:                              ;   in Loop: Header=BB350_291 Depth=1
	v_and_b32_e32 v20, 0x7f, v2
	v_cmp_ne_u32_e64 s[0:1], s36, v20
	v_mov_b32_e32 v4, 0x7f800001
	s_and_saveexec_b64 s[18:19], s[0:1]
	s_cbranch_execz .LBB350_556
; %bb.555:                              ;   in Loop: Header=BB350_291 Depth=1
	v_and_b32_e32 v4, 7, v2
	v_ffbh_u32_e32 v4, v4
	v_min_u32_e32 v4, 32, v4
	v_subrev_u32_e32 v55, 28, v4
	v_cmp_gt_u32_e64 s[0:1], 8, v20
	v_lshrrev_b32_e32 v54, 3, v20
	v_sub_u32_e32 v4, 29, v4
	v_cndmask_b32_e64 v20, 0, v55, s[0:1]
	v_cndmask_b32_e64 v4, v54, v4, s[0:1]
	v_lshlrev_b64 v[54:55], v20, v[2:3]
	v_lshlrev_b32_e32 v20, 20, v54
	v_lshlrev_b32_e32 v54, 24, v2
	v_and_b32_e32 v20, 0x700000, v20
	v_and_b32_e32 v54, 0x80000000, v54
	v_lshl_add_u32 v4, v4, 23, v26
	v_or3_b32 v4, v54, v4, v20
.LBB350_556:                            ;   in Loop: Header=BB350_291 Depth=1
	s_or_b64 exec, exec, s[18:19]
.LBB350_557:                            ;   in Loop: Header=BB350_291 Depth=1
	s_or_b64 exec, exec, s[16:17]
.LBB350_558:                            ;   in Loop: Header=BB350_291 Depth=1
	s_or_b64 exec, exec, s[6:7]
	v_mul_f32_e32 v4, s37, v4
	v_and_b32_e32 v20, 0x7f800000, v4
	v_cmp_ne_u32_e64 s[0:1], s25, v20
                                        ; implicit-def: $vgpr54
	s_and_saveexec_b64 s[6:7], s[0:1]
	s_xor_b64 s[0:1], exec, s[6:7]
; %bb.559:                              ;   in Loop: Header=BB350_291 Depth=1
	v_bfe_u32 v20, v4, 16, 1
	v_add3_u32 v54, v4, v20, s26
                                        ; implicit-def: $vgpr4
; %bb.560:                              ;   in Loop: Header=BB350_291 Depth=1
	s_andn2_saveexec_b64 s[6:7], s[0:1]
; %bb.561:                              ;   in Loop: Header=BB350_291 Depth=1
	v_or_b32_e32 v20, 0x10000, v4
	v_cmp_eq_u32_sdwa s[0:1], v4, v21 src0_sel:WORD_0 src1_sel:DWORD
	v_cndmask_b32_e64 v54, v20, v4, s[0:1]
; %bb.562:                              ;   in Loop: Header=BB350_291 Depth=1
	s_or_b64 exec, exec, s[6:7]
	v_lshrrev_b16_e32 v4, 8, v2
	v_cmp_ne_u16_e64 s[0:1], 0, v4
	v_mov_b32_e32 v20, 0
	s_and_saveexec_b64 s[6:7], s[0:1]
	s_cbranch_execz .LBB350_568
; %bb.563:                              ;   in Loop: Header=BB350_291 Depth=1
	v_cmp_ne_u16_e64 s[0:1], s27, v4
	v_bfrev_b32_e32 v20, 1
	s_and_saveexec_b64 s[16:17], s[0:1]
	s_cbranch_execz .LBB350_567
; %bb.564:                              ;   in Loop: Header=BB350_291 Depth=1
	v_and_b32_e32 v55, 0x7f, v4
	v_cmp_ne_u32_e64 s[0:1], s36, v55
	v_mov_b32_e32 v20, 0x7f800001
	s_and_saveexec_b64 s[18:19], s[0:1]
	s_cbranch_execz .LBB350_566
; %bb.565:                              ;   in Loop: Header=BB350_291 Depth=1
	v_and_b32_e32 v20, 7, v4
	v_ffbh_u32_e32 v56, v20
	v_min_u32_e32 v59, 32, v56
	v_subrev_u32_e32 v56, 28, v59
	v_lshlrev_b64 v[56:57], v56, v[4:5]
	v_lshrrev_b32_e32 v58, 3, v55
	v_sub_u32_e32 v4, 29, v59
	v_and_b32_e32 v56, 7, v56
	v_cmp_gt_u32_e64 s[0:1], 8, v55
	v_cndmask_b32_e64 v4, v58, v4, s[0:1]
	v_cndmask_b32_e64 v20, v20, v56, s[0:1]
	v_lshlrev_b32_e32 v55, 16, v2
	v_lshlrev_b32_e32 v20, 20, v20
	v_and_b32_e32 v55, 0x80000000, v55
	v_lshl_add_u32 v4, v4, 23, v26
	v_or3_b32 v20, v55, v4, v20
.LBB350_566:                            ;   in Loop: Header=BB350_291 Depth=1
	s_or_b64 exec, exec, s[18:19]
.LBB350_567:                            ;   in Loop: Header=BB350_291 Depth=1
	s_or_b64 exec, exec, s[16:17]
.LBB350_568:                            ;   in Loop: Header=BB350_291 Depth=1
	s_or_b64 exec, exec, s[6:7]
	v_mul_f32_e32 v4, s37, v20
	v_and_b32_e32 v20, 0x7f800000, v4
	v_cmp_ne_u32_e64 s[0:1], s25, v20
                                        ; implicit-def: $vgpr55
	s_and_saveexec_b64 s[6:7], s[0:1]
	s_xor_b64 s[0:1], exec, s[6:7]
; %bb.569:                              ;   in Loop: Header=BB350_291 Depth=1
	v_bfe_u32 v20, v4, 16, 1
	v_add3_u32 v55, v4, v20, s26
                                        ; implicit-def: $vgpr4
; %bb.570:                              ;   in Loop: Header=BB350_291 Depth=1
	s_andn2_saveexec_b64 s[6:7], s[0:1]
; %bb.571:                              ;   in Loop: Header=BB350_291 Depth=1
	v_or_b32_e32 v20, 0x10000, v4
	v_cmp_eq_u32_sdwa s[0:1], v4, v21 src0_sel:WORD_0 src1_sel:DWORD
	v_cndmask_b32_e64 v55, v20, v4, s[0:1]
; %bb.572:                              ;   in Loop: Header=BB350_291 Depth=1
	s_or_b64 exec, exec, s[6:7]
	v_lshrrev_b32_e32 v4, 16, v2
	v_cmp_ne_u16_sdwa s[0:1], v4, v21 src0_sel:BYTE_0 src1_sel:DWORD
	v_mov_b32_e32 v20, 0
	s_and_saveexec_b64 s[6:7], s[0:1]
	s_cbranch_execz .LBB350_578
; %bb.573:                              ;   in Loop: Header=BB350_291 Depth=1
	v_cmp_ne_u16_sdwa s[0:1], v4, s27 src0_sel:BYTE_0 src1_sel:DWORD
	v_bfrev_b32_e32 v20, 1
	s_and_saveexec_b64 s[16:17], s[0:1]
	s_cbranch_execz .LBB350_577
; %bb.574:                              ;   in Loop: Header=BB350_291 Depth=1
	v_bfe_u32 v56, v2, 16, 7
	v_cmp_ne_u32_e64 s[0:1], s36, v56
	v_mov_b32_e32 v20, 0x7f800001
	s_and_saveexec_b64 s[18:19], s[0:1]
	s_cbranch_execz .LBB350_576
; %bb.575:                              ;   in Loop: Header=BB350_291 Depth=1
	v_and_b32_e32 v20, 7, v4
	v_ffbh_u32_e32 v58, v20
	v_min_u32_e32 v60, 32, v58
	v_subrev_u32_e32 v58, 28, v60
	v_lshlrev_b64 v[58:59], v58, v[4:5]
	v_lshrrev_b32_e32 v57, 3, v56
	v_sub_u32_e32 v59, 29, v60
	v_and_b32_e32 v58, 7, v58
	v_cmp_gt_u32_e64 s[0:1], 8, v56
	v_cndmask_b32_e64 v56, v57, v59, s[0:1]
	v_cndmask_b32_e64 v20, v20, v58, s[0:1]
	v_lshlrev_b32_e32 v4, 24, v4
	v_lshlrev_b32_e32 v20, 20, v20
	v_and_b32_e32 v4, 0x80000000, v4
	v_lshl_add_u32 v56, v56, 23, v26
	v_or3_b32 v20, v4, v56, v20
.LBB350_576:                            ;   in Loop: Header=BB350_291 Depth=1
	s_or_b64 exec, exec, s[18:19]
.LBB350_577:                            ;   in Loop: Header=BB350_291 Depth=1
	s_or_b64 exec, exec, s[16:17]
.LBB350_578:                            ;   in Loop: Header=BB350_291 Depth=1
	s_or_b64 exec, exec, s[6:7]
	v_mul_f32_e32 v4, s37, v20
	v_and_b32_e32 v20, 0x7f800000, v4
	v_cmp_ne_u32_e64 s[0:1], s25, v20
                                        ; implicit-def: $vgpr56
	s_and_saveexec_b64 s[6:7], s[0:1]
	s_xor_b64 s[0:1], exec, s[6:7]
; %bb.579:                              ;   in Loop: Header=BB350_291 Depth=1
	v_bfe_u32 v20, v4, 16, 1
	v_add3_u32 v56, v4, v20, s26
                                        ; implicit-def: $vgpr4
; %bb.580:                              ;   in Loop: Header=BB350_291 Depth=1
	s_andn2_saveexec_b64 s[6:7], s[0:1]
; %bb.581:                              ;   in Loop: Header=BB350_291 Depth=1
	v_or_b32_e32 v20, 0x10000, v4
	v_cmp_eq_u32_sdwa s[0:1], v4, v21 src0_sel:WORD_0 src1_sel:DWORD
	v_cndmask_b32_e64 v56, v20, v4, s[0:1]
; %bb.582:                              ;   in Loop: Header=BB350_291 Depth=1
	s_or_b64 exec, exec, s[6:7]
	v_cmp_lt_u32_e64 s[0:1], s11, v2
	v_mov_b32_e32 v20, 0
	s_and_saveexec_b64 s[6:7], s[0:1]
	s_cbranch_execz .LBB350_588
; %bb.583:                              ;   in Loop: Header=BB350_291 Depth=1
	v_lshrrev_b32_e32 v4, 24, v2
	v_cmp_ne_u32_e64 s[0:1], s27, v4
	v_bfrev_b32_e32 v20, 1
	s_and_saveexec_b64 s[16:17], s[0:1]
	s_cbranch_execz .LBB350_587
; %bb.584:                              ;   in Loop: Header=BB350_291 Depth=1
	v_bfe_u32 v57, v2, 24, 7
	v_cmp_ne_u32_e64 s[0:1], s36, v57
	v_mov_b32_e32 v20, 0x7f800001
	s_and_saveexec_b64 s[18:19], s[0:1]
	s_cbranch_execz .LBB350_586
; %bb.585:                              ;   in Loop: Header=BB350_291 Depth=1
	v_and_b32_e32 v20, 7, v4
	v_ffbh_u32_e32 v58, v20
	v_min_u32_e32 v61, 32, v58
	v_subrev_u32_e32 v58, 28, v61
	v_lshlrev_b64 v[58:59], v58, v[4:5]
	v_lshrrev_b32_e32 v60, 3, v57
	v_sub_u32_e32 v59, 29, v61
	v_and_b32_e32 v58, 7, v58
	v_cmp_gt_u32_e64 s[0:1], 8, v57
	v_cndmask_b32_e64 v57, v60, v59, s[0:1]
	v_cndmask_b32_e64 v20, v20, v58, s[0:1]
	v_lshlrev_b32_e32 v4, 24, v4
	v_lshlrev_b32_e32 v20, 20, v20
	v_and_b32_e32 v4, 0x80000000, v4
	v_lshl_add_u32 v57, v57, 23, v26
	v_or3_b32 v20, v4, v57, v20
.LBB350_586:                            ;   in Loop: Header=BB350_291 Depth=1
	s_or_b64 exec, exec, s[18:19]
.LBB350_587:                            ;   in Loop: Header=BB350_291 Depth=1
	s_or_b64 exec, exec, s[16:17]
.LBB350_588:                            ;   in Loop: Header=BB350_291 Depth=1
	s_or_b64 exec, exec, s[6:7]
	v_mul_f32_e32 v4, s37, v20
	v_and_b32_e32 v20, 0x7f800000, v4
	v_cmp_ne_u32_e64 s[0:1], s25, v20
                                        ; implicit-def: $vgpr57
	s_and_saveexec_b64 s[6:7], s[0:1]
	s_xor_b64 s[0:1], exec, s[6:7]
; %bb.589:                              ;   in Loop: Header=BB350_291 Depth=1
	v_bfe_u32 v20, v4, 16, 1
	v_add3_u32 v57, v4, v20, s26
                                        ; implicit-def: $vgpr4
; %bb.590:                              ;   in Loop: Header=BB350_291 Depth=1
	s_andn2_saveexec_b64 s[6:7], s[0:1]
; %bb.591:                              ;   in Loop: Header=BB350_291 Depth=1
	v_or_b32_e32 v20, 0x10000, v4
	v_cmp_eq_u32_sdwa s[0:1], v4, v21 src0_sel:WORD_0 src1_sel:DWORD
	v_cndmask_b32_e64 v57, v20, v4, s[0:1]
; %bb.592:                              ;   in Loop: Header=BB350_291 Depth=1
	s_or_b64 exec, exec, s[6:7]
	v_mov_b32_e32 v20, v3
	v_cmp_ne_u16_sdwa s[0:1], v3, v21 src0_sel:BYTE_0 src1_sel:DWORD
	v_mov_b32_e32 v4, 0
	s_and_saveexec_b64 s[6:7], s[0:1]
	s_cbranch_execz .LBB350_598
; %bb.593:                              ;   in Loop: Header=BB350_291 Depth=1
	v_cmp_ne_u16_sdwa s[0:1], v3, s27 src0_sel:BYTE_0 src1_sel:DWORD
	v_bfrev_b32_e32 v4, 1
	s_and_saveexec_b64 s[16:17], s[0:1]
	s_cbranch_execz .LBB350_597
; %bb.594:                              ;   in Loop: Header=BB350_291 Depth=1
	v_and_b32_e32 v58, 0x7f, v3
	v_cmp_ne_u32_e64 s[0:1], s36, v58
	v_mov_b32_e32 v4, 0x7f800001
	s_and_saveexec_b64 s[18:19], s[0:1]
	s_cbranch_execz .LBB350_596
; %bb.595:                              ;   in Loop: Header=BB350_291 Depth=1
	v_and_b32_e32 v4, 7, v3
	v_ffbh_u32_e32 v4, v4
	v_min_u32_e32 v4, 32, v4
	v_subrev_u32_e32 v60, 28, v4
	v_cmp_gt_u32_e64 s[0:1], 8, v58
	v_lshrrev_b32_e32 v59, 3, v58
	v_sub_u32_e32 v4, 29, v4
	v_cndmask_b32_e64 v58, 0, v60, s[0:1]
	v_cndmask_b32_e64 v4, v59, v4, s[0:1]
	v_lshlrev_b64 v[58:59], v58, v[20:21]
	v_lshlrev_b32_e32 v58, 20, v58
	v_lshlrev_b32_e32 v59, 24, v20
	v_and_b32_e32 v58, 0x700000, v58
	v_and_b32_e32 v59, 0x80000000, v59
	v_lshl_add_u32 v4, v4, 23, v26
	v_or3_b32 v4, v59, v4, v58
.LBB350_596:                            ;   in Loop: Header=BB350_291 Depth=1
	s_or_b64 exec, exec, s[18:19]
.LBB350_597:                            ;   in Loop: Header=BB350_291 Depth=1
	s_or_b64 exec, exec, s[16:17]
.LBB350_598:                            ;   in Loop: Header=BB350_291 Depth=1
	s_or_b64 exec, exec, s[6:7]
	v_mul_f32_e32 v4, s37, v4
	v_and_b32_e32 v58, 0x7f800000, v4
	v_cmp_ne_u32_e64 s[0:1], s25, v58
                                        ; implicit-def: $vgpr58
	s_and_saveexec_b64 s[6:7], s[0:1]
	s_xor_b64 s[0:1], exec, s[6:7]
; %bb.599:                              ;   in Loop: Header=BB350_291 Depth=1
	v_bfe_u32 v58, v4, 16, 1
	v_add3_u32 v58, v4, v58, s26
                                        ; implicit-def: $vgpr4
; %bb.600:                              ;   in Loop: Header=BB350_291 Depth=1
	s_andn2_saveexec_b64 s[6:7], s[0:1]
; %bb.601:                              ;   in Loop: Header=BB350_291 Depth=1
	v_or_b32_e32 v58, 0x10000, v4
	v_cmp_eq_u32_sdwa s[0:1], v4, v21 src0_sel:WORD_0 src1_sel:DWORD
	v_cndmask_b32_e64 v58, v58, v4, s[0:1]
; %bb.602:                              ;   in Loop: Header=BB350_291 Depth=1
	s_or_b64 exec, exec, s[6:7]
	v_lshrrev_b16_e32 v4, 8, v20
	v_cmp_ne_u16_e64 s[0:1], 0, v4
	v_mov_b32_e32 v59, 0
	s_and_saveexec_b64 s[6:7], s[0:1]
	s_cbranch_execz .LBB350_608
; %bb.603:                              ;   in Loop: Header=BB350_291 Depth=1
	v_cmp_ne_u16_e64 s[0:1], s27, v4
	v_bfrev_b32_e32 v59, 1
	s_and_saveexec_b64 s[16:17], s[0:1]
	s_cbranch_execz .LBB350_607
; %bb.604:                              ;   in Loop: Header=BB350_291 Depth=1
	v_and_b32_e32 v60, 0x7f, v4
	v_cmp_ne_u32_e64 s[0:1], s36, v60
	v_mov_b32_e32 v59, 0x7f800001
	s_and_saveexec_b64 s[18:19], s[0:1]
	s_cbranch_execz .LBB350_606
; %bb.605:                              ;   in Loop: Header=BB350_291 Depth=1
	v_and_b32_e32 v59, 7, v4
	v_ffbh_u32_e32 v62, v59
	v_min_u32_e32 v64, 32, v62
	v_subrev_u32_e32 v62, 28, v64
	v_lshlrev_b64 v[62:63], v62, v[4:5]
	v_lshrrev_b32_e32 v61, 3, v60
	v_sub_u32_e32 v4, 29, v64
	v_and_b32_e32 v62, 7, v62
	v_cmp_gt_u32_e64 s[0:1], 8, v60
	v_cndmask_b32_e64 v4, v61, v4, s[0:1]
	v_cndmask_b32_e64 v59, v59, v62, s[0:1]
	v_lshlrev_b32_e32 v20, 16, v20
	v_lshlrev_b32_e32 v59, 20, v59
	v_and_b32_e32 v20, 0x80000000, v20
	v_lshl_add_u32 v4, v4, 23, v26
	v_or3_b32 v59, v20, v4, v59
.LBB350_606:                            ;   in Loop: Header=BB350_291 Depth=1
	s_or_b64 exec, exec, s[18:19]
.LBB350_607:                            ;   in Loop: Header=BB350_291 Depth=1
	s_or_b64 exec, exec, s[16:17]
.LBB350_608:                            ;   in Loop: Header=BB350_291 Depth=1
	s_or_b64 exec, exec, s[6:7]
	v_mul_f32_e32 v4, s37, v59
	v_and_b32_e32 v20, 0x7f800000, v4
	v_cmp_ne_u32_e64 s[0:1], s25, v20
                                        ; implicit-def: $vgpr20
	s_and_saveexec_b64 s[6:7], s[0:1]
	s_xor_b64 s[0:1], exec, s[6:7]
; %bb.609:                              ;   in Loop: Header=BB350_291 Depth=1
	v_bfe_u32 v20, v4, 16, 1
	v_add3_u32 v20, v4, v20, s26
                                        ; implicit-def: $vgpr4
; %bb.610:                              ;   in Loop: Header=BB350_291 Depth=1
	s_andn2_saveexec_b64 s[6:7], s[0:1]
; %bb.611:                              ;   in Loop: Header=BB350_291 Depth=1
	v_or_b32_e32 v20, 0x10000, v4
	v_cmp_eq_u32_sdwa s[0:1], v4, v21 src0_sel:WORD_0 src1_sel:DWORD
	v_cndmask_b32_e64 v20, v20, v4, s[0:1]
; %bb.612:                              ;   in Loop: Header=BB350_291 Depth=1
	s_or_b64 exec, exec, s[6:7]
	v_lshrrev_b32_e32 v4, 16, v3
	v_cmp_ne_u16_sdwa s[0:1], v4, v21 src0_sel:BYTE_0 src1_sel:DWORD
	v_mov_b32_e32 v59, 0
	s_and_saveexec_b64 s[6:7], s[0:1]
	s_cbranch_execz .LBB350_618
; %bb.613:                              ;   in Loop: Header=BB350_291 Depth=1
	v_cmp_ne_u16_sdwa s[0:1], v4, s27 src0_sel:BYTE_0 src1_sel:DWORD
	v_bfrev_b32_e32 v59, 1
	s_and_saveexec_b64 s[16:17], s[0:1]
	s_cbranch_execz .LBB350_617
; %bb.614:                              ;   in Loop: Header=BB350_291 Depth=1
	v_bfe_u32 v60, v3, 16, 7
	v_cmp_ne_u32_e64 s[0:1], s36, v60
	v_mov_b32_e32 v59, 0x7f800001
	s_and_saveexec_b64 s[18:19], s[0:1]
	s_cbranch_execz .LBB350_616
; %bb.615:                              ;   in Loop: Header=BB350_291 Depth=1
	v_and_b32_e32 v59, 7, v4
	v_ffbh_u32_e32 v62, v59
	v_min_u32_e32 v64, 32, v62
	v_subrev_u32_e32 v62, 28, v64
	v_lshlrev_b64 v[62:63], v62, v[4:5]
	v_lshrrev_b32_e32 v61, 3, v60
	v_sub_u32_e32 v63, 29, v64
	v_and_b32_e32 v62, 7, v62
	v_cmp_gt_u32_e64 s[0:1], 8, v60
	v_cndmask_b32_e64 v60, v61, v63, s[0:1]
	v_cndmask_b32_e64 v59, v59, v62, s[0:1]
	v_lshlrev_b32_e32 v4, 24, v4
	v_lshlrev_b32_e32 v59, 20, v59
	v_and_b32_e32 v4, 0x80000000, v4
	v_lshl_add_u32 v60, v60, 23, v26
	v_or3_b32 v59, v4, v60, v59
.LBB350_616:                            ;   in Loop: Header=BB350_291 Depth=1
	s_or_b64 exec, exec, s[18:19]
.LBB350_617:                            ;   in Loop: Header=BB350_291 Depth=1
	s_or_b64 exec, exec, s[16:17]
.LBB350_618:                            ;   in Loop: Header=BB350_291 Depth=1
	s_or_b64 exec, exec, s[6:7]
	v_mul_f32_e32 v59, s37, v59
	v_and_b32_e32 v4, 0x7f800000, v59
	v_cmp_ne_u32_e64 s[0:1], s25, v4
                                        ; implicit-def: $vgpr4
	s_and_saveexec_b64 s[6:7], s[0:1]
	s_xor_b64 s[0:1], exec, s[6:7]
; %bb.619:                              ;   in Loop: Header=BB350_291 Depth=1
	v_bfe_u32 v4, v59, 16, 1
	v_add3_u32 v4, v59, v4, s26
                                        ; implicit-def: $vgpr59
; %bb.620:                              ;   in Loop: Header=BB350_291 Depth=1
	s_andn2_saveexec_b64 s[6:7], s[0:1]
; %bb.621:                              ;   in Loop: Header=BB350_291 Depth=1
	v_or_b32_e32 v4, 0x10000, v59
	v_cmp_eq_u32_sdwa s[0:1], v59, v21 src0_sel:WORD_0 src1_sel:DWORD
	v_cndmask_b32_e64 v4, v4, v59, s[0:1]
; %bb.622:                              ;   in Loop: Header=BB350_291 Depth=1
	s_or_b64 exec, exec, s[6:7]
	v_cmp_lt_u64_e64 s[0:1], s[10:11], v[2:3]
	v_mov_b32_e32 v59, 0
	s_and_saveexec_b64 s[6:7], s[0:1]
	s_cbranch_execz .LBB350_628
; %bb.623:                              ;   in Loop: Header=BB350_291 Depth=1
	v_lshrrev_b32_e32 v2, 24, v3
	v_cmp_ne_u32_e64 s[0:1], s27, v2
	v_bfrev_b32_e32 v59, 1
	s_and_saveexec_b64 s[16:17], s[0:1]
	s_cbranch_execz .LBB350_627
; %bb.624:                              ;   in Loop: Header=BB350_291 Depth=1
	v_bfe_u32 v3, v3, 24, 7
	v_cmp_ne_u32_e64 s[0:1], s36, v3
	v_mov_b32_e32 v59, 0x7f800001
	s_and_saveexec_b64 s[18:19], s[0:1]
	s_cbranch_execz .LBB350_626
; %bb.625:                              ;   in Loop: Header=BB350_291 Depth=1
	v_and_b32_e32 v59, 7, v2
	v_ffbh_u32_e32 v60, v59
	v_min_u32_e32 v63, 32, v60
	v_subrev_u32_e32 v60, 28, v63
	v_lshlrev_b64 v[60:61], v60, v[2:3]
	v_lshrrev_b32_e32 v62, 3, v3
	v_sub_u32_e32 v61, 29, v63
	v_and_b32_e32 v60, 7, v60
	v_cmp_gt_u32_e64 s[0:1], 8, v3
	v_cndmask_b32_e64 v3, v62, v61, s[0:1]
	v_cndmask_b32_e64 v59, v59, v60, s[0:1]
	v_lshlrev_b32_e32 v2, 24, v2
	v_lshlrev_b32_e32 v59, 20, v59
	v_and_b32_e32 v2, 0x80000000, v2
	v_lshl_add_u32 v3, v3, 23, v26
	v_or3_b32 v59, v2, v3, v59
.LBB350_626:                            ;   in Loop: Header=BB350_291 Depth=1
	s_or_b64 exec, exec, s[18:19]
.LBB350_627:                            ;   in Loop: Header=BB350_291 Depth=1
	s_or_b64 exec, exec, s[16:17]
.LBB350_628:                            ;   in Loop: Header=BB350_291 Depth=1
	s_or_b64 exec, exec, s[6:7]
	v_mul_f32_e32 v2, s37, v59
	v_and_b32_e32 v3, 0x7f800000, v2
	v_cmp_ne_u32_e64 s[0:1], s25, v3
                                        ; implicit-def: $vgpr3
	s_and_saveexec_b64 s[6:7], s[0:1]
	s_xor_b64 s[0:1], exec, s[6:7]
; %bb.629:                              ;   in Loop: Header=BB350_291 Depth=1
	v_bfe_u32 v3, v2, 16, 1
	v_add3_u32 v3, v2, v3, s26
                                        ; implicit-def: $vgpr2
; %bb.630:                              ;   in Loop: Header=BB350_291 Depth=1
	s_andn2_saveexec_b64 s[6:7], s[0:1]
; %bb.631:                              ;   in Loop: Header=BB350_291 Depth=1
	v_or_b32_e32 v3, 0x10000, v2
	v_cmp_eq_u32_sdwa s[0:1], v2, v21 src0_sel:WORD_0 src1_sel:DWORD
	v_cndmask_b32_e64 v3, v3, v2, s[0:1]
; %bb.632:                              ;   in Loop: Header=BB350_291 Depth=1
	s_or_b64 exec, exec, s[6:7]
	v_lshrrev_b32_e32 v59, 16, v20
	v_lshrrev_b32_e32 v58, 16, v58
	;; [unrolled: 1-line block ×8, first 2 shown]
	s_and_saveexec_b64 s[0:1], vcc
	s_cbranch_execz .LBB350_634
; %bb.633:                              ;   in Loop: Header=BB350_291 Depth=1
	v_cmp_gt_i32_e32 vcc, s33, v31
	v_cndmask_b32_e32 v2, 0, v2, vcc
	v_cmp_gt_i32_e32 vcc, s33, v38
	v_cndmask_b32_e32 v55, 0, v55, vcc
	;; [unrolled: 2-line block ×8, first 2 shown]
.LBB350_634:                            ;   in Loop: Header=BB350_291 Depth=1
	s_or_b64 exec, exec, s[0:1]
	v_lshlrev_b32_e32 v2, 16, v2
	v_mul_f32_e32 v4, v40, v2
	v_and_b32_e32 v2, 0x7f800000, v4
	v_cmp_ne_u32_e32 vcc, s25, v2
                                        ; implicit-def: $vgpr2
	s_and_saveexec_b64 s[0:1], vcc
	s_xor_b64 s[0:1], exec, s[0:1]
; %bb.635:                              ;   in Loop: Header=BB350_291 Depth=1
	v_bfe_u32 v2, v4, 16, 1
	v_add3_u32 v2, v4, v2, s26
                                        ; implicit-def: $vgpr4
; %bb.636:                              ;   in Loop: Header=BB350_291 Depth=1
	s_andn2_saveexec_b64 s[0:1], s[0:1]
; %bb.637:                              ;   in Loop: Header=BB350_291 Depth=1
	v_or_b32_e32 v2, 0x10000, v4
	v_cmp_eq_u32_sdwa vcc, v4, v21 src0_sel:WORD_0 src1_sel:DWORD
	v_cndmask_b32_e32 v2, v2, v4, vcc
; %bb.638:                              ;   in Loop: Header=BB350_291 Depth=1
	s_or_b64 exec, exec, s[0:1]
	v_lshlrev_b32_e32 v4, 16, v55
	v_mul_f32_e32 v31, v41, v4
	v_and_b32_e32 v4, 0x7f800000, v31
	v_cmp_ne_u32_e32 vcc, s25, v4
                                        ; implicit-def: $vgpr4
	s_and_saveexec_b64 s[0:1], vcc
	s_xor_b64 s[0:1], exec, s[0:1]
; %bb.639:                              ;   in Loop: Header=BB350_291 Depth=1
	v_bfe_u32 v4, v31, 16, 1
	v_add3_u32 v4, v31, v4, s26
                                        ; implicit-def: $vgpr31
; %bb.640:                              ;   in Loop: Header=BB350_291 Depth=1
	s_andn2_saveexec_b64 s[0:1], s[0:1]
; %bb.641:                              ;   in Loop: Header=BB350_291 Depth=1
	v_or_b32_e32 v4, 0x10000, v31
	v_cmp_eq_u32_sdwa vcc, v31, v21 src0_sel:WORD_0 src1_sel:DWORD
	v_cndmask_b32_e32 v4, v4, v31, vcc
; %bb.642:                              ;   in Loop: Header=BB350_291 Depth=1
	s_or_b64 exec, exec, s[0:1]
	v_lshlrev_b32_e32 v31, 16, v56
	v_mul_f32_e32 v32, v42, v31
	v_and_b32_e32 v31, 0x7f800000, v32
	v_cmp_ne_u32_e32 vcc, s25, v31
                                        ; implicit-def: $vgpr31
	s_and_saveexec_b64 s[0:1], vcc
	s_xor_b64 s[0:1], exec, s[0:1]
; %bb.643:                              ;   in Loop: Header=BB350_291 Depth=1
	v_bfe_u32 v31, v32, 16, 1
	v_add3_u32 v31, v32, v31, s26
                                        ; implicit-def: $vgpr32
; %bb.644:                              ;   in Loop: Header=BB350_291 Depth=1
	s_andn2_saveexec_b64 s[0:1], s[0:1]
; %bb.645:                              ;   in Loop: Header=BB350_291 Depth=1
	v_or_b32_e32 v31, 0x10000, v32
	v_cmp_eq_u32_sdwa vcc, v32, v21 src0_sel:WORD_0 src1_sel:DWORD
	v_cndmask_b32_e32 v31, v31, v32, vcc
; %bb.646:                              ;   in Loop: Header=BB350_291 Depth=1
	s_or_b64 exec, exec, s[0:1]
	v_lshlrev_b32_e32 v32, 16, v57
	v_mul_f32_e32 v33, v43, v32
	v_and_b32_e32 v32, 0x7f800000, v33
	v_cmp_ne_u32_e32 vcc, s25, v32
                                        ; implicit-def: $vgpr32
	s_and_saveexec_b64 s[0:1], vcc
	s_xor_b64 s[0:1], exec, s[0:1]
; %bb.647:                              ;   in Loop: Header=BB350_291 Depth=1
	v_bfe_u32 v32, v33, 16, 1
	v_add3_u32 v32, v33, v32, s26
                                        ; implicit-def: $vgpr33
; %bb.648:                              ;   in Loop: Header=BB350_291 Depth=1
	s_andn2_saveexec_b64 s[0:1], s[0:1]
; %bb.649:                              ;   in Loop: Header=BB350_291 Depth=1
	v_or_b32_e32 v32, 0x10000, v33
	v_cmp_eq_u32_sdwa vcc, v33, v21 src0_sel:WORD_0 src1_sel:DWORD
	v_cndmask_b32_e32 v32, v32, v33, vcc
; %bb.650:                              ;   in Loop: Header=BB350_291 Depth=1
	s_or_b64 exec, exec, s[0:1]
	v_lshlrev_b32_e32 v33, 16, v58
	v_mul_f32_e32 v34, v44, v33
	v_and_b32_e32 v33, 0x7f800000, v34
	v_cmp_ne_u32_e32 vcc, s25, v33
                                        ; implicit-def: $vgpr33
	s_and_saveexec_b64 s[0:1], vcc
	s_xor_b64 s[0:1], exec, s[0:1]
; %bb.651:                              ;   in Loop: Header=BB350_291 Depth=1
	v_bfe_u32 v33, v34, 16, 1
	v_add3_u32 v33, v34, v33, s26
                                        ; implicit-def: $vgpr34
; %bb.652:                              ;   in Loop: Header=BB350_291 Depth=1
	s_andn2_saveexec_b64 s[0:1], s[0:1]
; %bb.653:                              ;   in Loop: Header=BB350_291 Depth=1
	v_or_b32_e32 v33, 0x10000, v34
	v_cmp_eq_u32_sdwa vcc, v34, v21 src0_sel:WORD_0 src1_sel:DWORD
	v_cndmask_b32_e32 v33, v33, v34, vcc
; %bb.654:                              ;   in Loop: Header=BB350_291 Depth=1
	s_or_b64 exec, exec, s[0:1]
	v_lshlrev_b32_e32 v34, 16, v59
	v_mul_f32_e32 v35, v45, v34
	v_and_b32_e32 v34, 0x7f800000, v35
	v_cmp_ne_u32_e32 vcc, s25, v34
                                        ; implicit-def: $vgpr34
	s_and_saveexec_b64 s[0:1], vcc
	s_xor_b64 s[0:1], exec, s[0:1]
; %bb.655:                              ;   in Loop: Header=BB350_291 Depth=1
	v_bfe_u32 v34, v35, 16, 1
	v_add3_u32 v34, v35, v34, s26
                                        ; implicit-def: $vgpr35
; %bb.656:                              ;   in Loop: Header=BB350_291 Depth=1
	s_andn2_saveexec_b64 s[0:1], s[0:1]
; %bb.657:                              ;   in Loop: Header=BB350_291 Depth=1
	v_or_b32_e32 v34, 0x10000, v35
	v_cmp_eq_u32_sdwa vcc, v35, v21 src0_sel:WORD_0 src1_sel:DWORD
	v_cndmask_b32_e32 v34, v34, v35, vcc
; %bb.658:                              ;   in Loop: Header=BB350_291 Depth=1
	s_or_b64 exec, exec, s[0:1]
	v_lshlrev_b32_e32 v20, 16, v20
	v_mul_f32_e32 v35, v46, v20
	v_and_b32_e32 v20, 0x7f800000, v35
	v_cmp_ne_u32_e32 vcc, s25, v20
                                        ; implicit-def: $vgpr20
	s_and_saveexec_b64 s[0:1], vcc
	s_xor_b64 s[0:1], exec, s[0:1]
; %bb.659:                              ;   in Loop: Header=BB350_291 Depth=1
	v_bfe_u32 v20, v35, 16, 1
	v_add3_u32 v20, v35, v20, s26
                                        ; implicit-def: $vgpr35
; %bb.660:                              ;   in Loop: Header=BB350_291 Depth=1
	s_andn2_saveexec_b64 s[0:1], s[0:1]
; %bb.661:                              ;   in Loop: Header=BB350_291 Depth=1
	v_or_b32_e32 v20, 0x10000, v35
	v_cmp_eq_u32_sdwa vcc, v35, v21 src0_sel:WORD_0 src1_sel:DWORD
	v_cndmask_b32_e32 v20, v20, v35, vcc
; %bb.662:                              ;   in Loop: Header=BB350_291 Depth=1
	s_or_b64 exec, exec, s[0:1]
	v_lshlrev_b32_e32 v3, 16, v3
	v_mul_f32_e32 v35, v47, v3
	v_and_b32_e32 v3, 0x7f800000, v35
	v_cmp_ne_u32_e32 vcc, s25, v3
                                        ; implicit-def: $vgpr3
	s_and_saveexec_b64 s[0:1], vcc
	s_xor_b64 s[0:1], exec, s[0:1]
; %bb.663:                              ;   in Loop: Header=BB350_291 Depth=1
	v_bfe_u32 v3, v35, 16, 1
	v_add3_u32 v3, v35, v3, s26
                                        ; implicit-def: $vgpr35
; %bb.664:                              ;   in Loop: Header=BB350_291 Depth=1
	s_andn2_saveexec_b64 s[0:1], s[0:1]
	s_cbranch_execz .LBB350_289
; %bb.665:                              ;   in Loop: Header=BB350_291 Depth=1
	v_or_b32_e32 v3, 0x10000, v35
	v_cmp_eq_u32_sdwa vcc, v35, v21 src0_sel:WORD_0 src1_sel:DWORD
	v_cndmask_b32_e32 v3, v3, v35, vcc
	s_branch .LBB350_289
.LBB350_666:
	s_or_b64 exec, exec, s[12:13]
.LBB350_667:
	s_or_b64 exec, exec, s[2:3]
	ds_bpermute_b32 v2, v22, v10
	ds_bpermute_b32 v3, v22, v11
	;; [unrolled: 1-line block ×3, first 2 shown]
	s_waitcnt lgkmcnt(0)
	s_barrier
	v_pk_add_f32 v[4:5], v[10:11], v[2:3]
	v_add_f32_e32 v2, v12, v1
	v_and_b32_e32 v1, 0x3c1, v0
	v_cmp_eq_u32_e32 vcc, 64, v1
	s_and_saveexec_b64 s[0:1], vcc
	s_cbranch_execz .LBB350_669
; %bb.668:
	v_mov_b32_e32 v1, 0xd0
	v_lshl_add_u32 v1, v13, 1, v1
	ds_write2_b32 v1, v4, v5 offset1:32
	ds_write_b32 v1, v2 offset:256
.LBB350_669:
	s_or_b64 exec, exec, s[0:1]
	v_cmp_gt_u32_e32 vcc, 64, v0
	v_cmp_lt_u32_e64 s[0:1], 63, v0
	s_waitcnt lgkmcnt(0)
	s_barrier
	s_and_saveexec_b64 s[2:3], s[0:1]
	s_xor_b64 s[0:1], exec, s[2:3]
	s_andn2_saveexec_b64 s[2:3], s[0:1]
	s_cbranch_execz .LBB350_675
; %bb.670:
	v_cmp_eq_u32_e64 s[0:1], 0, v23
	v_lshrrev_b32_e32 v1, 1, v0
	s_and_saveexec_b64 s[4:5], s[0:1]
	s_cbranch_execnz .LBB350_691
; %bb.671:
	s_or_b64 exec, exec, s[4:5]
	s_and_saveexec_b64 s[4:5], s[0:1]
	s_cbranch_execnz .LBB350_692
.LBB350_672:
	s_or_b64 exec, exec, s[4:5]
	s_and_saveexec_b64 s[4:5], s[0:1]
	s_cbranch_execz .LBB350_674
.LBB350_673:
	v_mov_b32_e32 v3, 0xd0
	v_lshl_add_u32 v1, v1, 2, v3
	ds_read_b32 v1, v1 offset:256
	s_waitcnt lgkmcnt(0)
	v_add_f32_e32 v2, v2, v1
.LBB350_674:
	s_or_b64 exec, exec, s[4:5]
.LBB350_675:
	s_or_b64 exec, exec, s[2:3]
	s_barrier
	s_and_saveexec_b64 s[0:1], vcc
	s_cbranch_execz .LBB350_690
; %bb.676:
	v_cmp_eq_u32_e32 vcc, 0, v23
	s_and_b64 exec, exec, vcc
	s_cbranch_execz .LBB350_690
; %bb.677:
	s_mov_b32 s0, 0x7f800000
	v_and_b32_e32 v1, 0x7f800000, v4
	v_cmp_ne_u32_e32 vcc, s0, v1
                                        ; implicit-def: $vgpr3
	s_and_saveexec_b64 s[0:1], vcc
	s_xor_b64 s[0:1], exec, s[0:1]
; %bb.678:
	v_bfe_u32 v1, v4, 16, 1
	s_movk_i32 s2, 0x7fff
	v_add3_u32 v3, v4, v1, s2
; %bb.679:
	s_andn2_saveexec_b64 s[0:1], s[0:1]
; %bb.680:
	v_mov_b32_e32 v1, 0
	v_or_b32_e32 v3, 0x10000, v4
	v_cmp_eq_u32_sdwa vcc, v4, v1 src0_sel:WORD_0 src1_sel:DWORD
	v_cndmask_b32_e32 v3, v3, v4, vcc
; %bb.681:
	s_or_b64 exec, exec, s[0:1]
	s_mul_i32 s0, s20, s28
	s_mul_i32 s0, s0, s29
	s_mulk_i32 s0, 0x60
	s_ashr_i32 s1, s0, 31
	s_lshl_b64 s[0:1], s[0:1], 1
	s_add_u32 s2, s34, s0
	s_mul_i32 s0, s20, s30
	s_addc_u32 s3, s35, s1
	s_ashr_i32 s1, s0, 31
	s_lshl_b64 s[0:1], s[0:1], 1
	s_add_u32 s2, s2, s0
	s_mul_i32 s0, s8, 0x60
	s_addc_u32 s3, s3, s1
	s_ashr_i32 s1, s0, 31
	s_lshl_b64 s[0:1], s[0:1], 1
	s_add_u32 s0, s2, s0
	s_addc_u32 s1, s3, s1
	v_and_b32_e32 v4, 0x3fe, v0
	v_mov_b32_e32 v1, s1
	v_add_co_u32_e32 v0, vcc, s0, v4
	v_addc_co_u32_e32 v1, vcc, 0, v1, vcc
	global_store_short_d16_hi v4, v3, s[0:1]
	s_mov_b32 s0, 0x7f800000
	v_and_b32_e32 v3, 0x7f800000, v5
	v_cmp_ne_u32_e32 vcc, s0, v3
                                        ; implicit-def: $vgpr3
	s_and_saveexec_b64 s[0:1], vcc
	s_xor_b64 s[0:1], exec, s[0:1]
; %bb.682:
	v_bfe_u32 v3, v5, 16, 1
	s_movk_i32 s2, 0x7fff
	v_add3_u32 v3, v5, v3, s2
                                        ; implicit-def: $vgpr4_vgpr5_vgpr6
; %bb.683:
	s_andn2_saveexec_b64 s[0:1], s[0:1]
; %bb.684:
	v_mov_b32_e32 v3, 0
	v_or_b32_e32 v4, 0x10000, v5
	v_cmp_eq_u32_sdwa vcc, v5, v3 src0_sel:WORD_0 src1_sel:DWORD
	v_cndmask_b32_e32 v3, v4, v5, vcc
; %bb.685:
	s_or_b64 exec, exec, s[0:1]
	global_store_short_d16_hi v[0:1], v3, off offset:64
	s_mov_b32 s0, 0x7f800000
	v_and_b32_e32 v3, 0x7f800000, v2
	v_cmp_ne_u32_e32 vcc, s0, v3
                                        ; implicit-def: $vgpr3
	s_and_saveexec_b64 s[0:1], vcc
	s_xor_b64 s[0:1], exec, s[0:1]
; %bb.686:
	v_bfe_u32 v3, v2, 16, 1
	s_movk_i32 s2, 0x7fff
	v_add3_u32 v3, v2, v3, s2
                                        ; implicit-def: $vgpr2
; %bb.687:
	s_andn2_saveexec_b64 s[0:1], s[0:1]
; %bb.688:
	v_mov_b32_e32 v3, 0
	v_or_b32_e32 v4, 0x10000, v2
	v_cmp_eq_u32_sdwa vcc, v2, v3 src0_sel:WORD_0 src1_sel:DWORD
	v_cndmask_b32_e32 v3, v4, v2, vcc
; %bb.689:
	s_or_b64 exec, exec, s[0:1]
	global_store_short_d16_hi v[0:1], v3, off offset:128
.LBB350_690:
	s_endpgm
.LBB350_691:
	v_mov_b32_e32 v3, 0xd0
	v_lshl_add_u32 v3, v1, 2, v3
	ds_read_b32 v3, v3
	s_waitcnt lgkmcnt(0)
	v_add_f32_e32 v4, v4, v3
	s_or_b64 exec, exec, s[4:5]
	s_and_saveexec_b64 s[4:5], s[0:1]
	s_cbranch_execz .LBB350_672
.LBB350_692:
	v_mov_b32_e32 v3, 0xd0
	v_lshl_add_u32 v3, v1, 2, v3
	ds_read_b32 v3, v3 offset:128
	s_waitcnt lgkmcnt(0)
	v_add_f32_e32 v5, v5, v3
	s_or_b64 exec, exec, s[4:5]
	s_and_saveexec_b64 s[4:5], s[0:1]
	s_cbranch_execnz .LBB350_673
	s_branch .LBB350_674
	.section	.rodata,"a",@progbits
	.p2align	6, 0x0
	.amdhsa_kernel _ZN4vllm25paged_attention_v2_kernelI14__hip_bfloat16hLi96ELi16ELi128ELNS_18Fp8KVCacheDataTypeE1ELb1ELi512EEEvPfS3_PT_PKS4_PKT0_SA_ifPKiSC_iPKfiiiSE_SE_iiiii
		.amdhsa_group_segment_fixed_size 208
		.amdhsa_private_segment_fixed_size 0
		.amdhsa_kernarg_size 400
		.amdhsa_user_sgpr_count 6
		.amdhsa_user_sgpr_private_segment_buffer 1
		.amdhsa_user_sgpr_dispatch_ptr 0
		.amdhsa_user_sgpr_queue_ptr 0
		.amdhsa_user_sgpr_kernarg_segment_ptr 1
		.amdhsa_user_sgpr_dispatch_id 0
		.amdhsa_user_sgpr_flat_scratch_init 0
		.amdhsa_user_sgpr_kernarg_preload_length 0
		.amdhsa_user_sgpr_kernarg_preload_offset 0
		.amdhsa_user_sgpr_private_segment_size 0
		.amdhsa_uses_dynamic_stack 0
		.amdhsa_system_sgpr_private_segment_wavefront_offset 0
		.amdhsa_system_sgpr_workgroup_id_x 1
		.amdhsa_system_sgpr_workgroup_id_y 1
		.amdhsa_system_sgpr_workgroup_id_z 1
		.amdhsa_system_sgpr_workgroup_info 0
		.amdhsa_system_vgpr_workitem_id 0
		.amdhsa_next_free_vgpr 73
		.amdhsa_next_free_sgpr 65
		.amdhsa_accum_offset 76
		.amdhsa_reserve_vcc 1
		.amdhsa_reserve_flat_scratch 0
		.amdhsa_float_round_mode_32 0
		.amdhsa_float_round_mode_16_64 0
		.amdhsa_float_denorm_mode_32 3
		.amdhsa_float_denorm_mode_16_64 3
		.amdhsa_dx10_clamp 1
		.amdhsa_ieee_mode 1
		.amdhsa_fp16_overflow 0
		.amdhsa_tg_split 0
		.amdhsa_exception_fp_ieee_invalid_op 0
		.amdhsa_exception_fp_denorm_src 0
		.amdhsa_exception_fp_ieee_div_zero 0
		.amdhsa_exception_fp_ieee_overflow 0
		.amdhsa_exception_fp_ieee_underflow 0
		.amdhsa_exception_fp_ieee_inexact 0
		.amdhsa_exception_int_div_zero 0
	.end_amdhsa_kernel
	.section	.text._ZN4vllm25paged_attention_v2_kernelI14__hip_bfloat16hLi96ELi16ELi128ELNS_18Fp8KVCacheDataTypeE1ELb1ELi512EEEvPfS3_PT_PKS4_PKT0_SA_ifPKiSC_iPKfiiiSE_SE_iiiii,"axG",@progbits,_ZN4vllm25paged_attention_v2_kernelI14__hip_bfloat16hLi96ELi16ELi128ELNS_18Fp8KVCacheDataTypeE1ELb1ELi512EEEvPfS3_PT_PKS4_PKT0_SA_ifPKiSC_iPKfiiiSE_SE_iiiii,comdat
.Lfunc_end350:
	.size	_ZN4vllm25paged_attention_v2_kernelI14__hip_bfloat16hLi96ELi16ELi128ELNS_18Fp8KVCacheDataTypeE1ELb1ELi512EEEvPfS3_PT_PKS4_PKT0_SA_ifPKiSC_iPKfiiiSE_SE_iiiii, .Lfunc_end350-_ZN4vllm25paged_attention_v2_kernelI14__hip_bfloat16hLi96ELi16ELi128ELNS_18Fp8KVCacheDataTypeE1ELb1ELi512EEEvPfS3_PT_PKS4_PKT0_SA_ifPKiSC_iPKfiiiSE_SE_iiiii
                                        ; -- End function
	.section	.AMDGPU.csdata,"",@progbits
; Kernel info:
; codeLenInByte = 20300
; NumSgprs: 69
; NumVgprs: 73
; NumAgprs: 0
; TotalNumVgprs: 73
; ScratchSize: 0
; MemoryBound: 0
; FloatMode: 240
; IeeeMode: 1
; LDSByteSize: 208 bytes/workgroup (compile time only)
; SGPRBlocks: 8
; VGPRBlocks: 9
; NumSGPRsForWavesPerEU: 69
; NumVGPRsForWavesPerEU: 73
; AccumOffset: 76
; Occupancy: 6
; WaveLimiterHint : 1
; COMPUTE_PGM_RSRC2:SCRATCH_EN: 0
; COMPUTE_PGM_RSRC2:USER_SGPR: 6
; COMPUTE_PGM_RSRC2:TRAP_HANDLER: 0
; COMPUTE_PGM_RSRC2:TGID_X_EN: 1
; COMPUTE_PGM_RSRC2:TGID_Y_EN: 1
; COMPUTE_PGM_RSRC2:TGID_Z_EN: 1
; COMPUTE_PGM_RSRC2:TIDIG_COMP_CNT: 0
; COMPUTE_PGM_RSRC3_GFX90A:ACCUM_OFFSET: 18
; COMPUTE_PGM_RSRC3_GFX90A:TG_SPLIT: 0
	.section	.text._ZN4vllm25paged_attention_v2_kernelI14__hip_bfloat16hLi112ELi16ELi128ELNS_18Fp8KVCacheDataTypeE1ELb1ELi512EEEvPfS3_PT_PKS4_PKT0_SA_ifPKiSC_iPKfiiiSE_SE_iiiii,"axG",@progbits,_ZN4vllm25paged_attention_v2_kernelI14__hip_bfloat16hLi112ELi16ELi128ELNS_18Fp8KVCacheDataTypeE1ELb1ELi512EEEvPfS3_PT_PKS4_PKT0_SA_ifPKiSC_iPKfiiiSE_SE_iiiii,comdat
	.protected	_ZN4vllm25paged_attention_v2_kernelI14__hip_bfloat16hLi112ELi16ELi128ELNS_18Fp8KVCacheDataTypeE1ELb1ELi512EEEvPfS3_PT_PKS4_PKT0_SA_ifPKiSC_iPKfiiiSE_SE_iiiii ; -- Begin function _ZN4vllm25paged_attention_v2_kernelI14__hip_bfloat16hLi112ELi16ELi128ELNS_18Fp8KVCacheDataTypeE1ELb1ELi512EEEvPfS3_PT_PKS4_PKT0_SA_ifPKiSC_iPKfiiiSE_SE_iiiii
	.globl	_ZN4vllm25paged_attention_v2_kernelI14__hip_bfloat16hLi112ELi16ELi128ELNS_18Fp8KVCacheDataTypeE1ELb1ELi512EEEvPfS3_PT_PKS4_PKT0_SA_ifPKiSC_iPKfiiiSE_SE_iiiii
	.p2align	8
	.type	_ZN4vllm25paged_attention_v2_kernelI14__hip_bfloat16hLi112ELi16ELi128ELNS_18Fp8KVCacheDataTypeE1ELb1ELi512EEEvPfS3_PT_PKS4_PKT0_SA_ifPKiSC_iPKfiiiSE_SE_iiiii,@function
_ZN4vllm25paged_attention_v2_kernelI14__hip_bfloat16hLi112ELi16ELi128ELNS_18Fp8KVCacheDataTypeE1ELb1ELi512EEEvPfS3_PT_PKS4_PKT0_SA_ifPKiSC_iPKfiiiSE_SE_iiiii: ; @_ZN4vllm25paged_attention_v2_kernelI14__hip_bfloat16hLi112ELi16ELi128ELNS_18Fp8KVCacheDataTypeE1ELb1ELi512EEEvPfS3_PT_PKS4_PKT0_SA_ifPKiSC_iPKfiiiSE_SE_iiiii
; %bb.0:
	s_load_dwordx2 s[0:1], s[4:5], 0x40
	s_mov_b32 s34, s7
	s_ashr_i32 s35, s7, 31
	s_lshl_b64 s[2:3], s[34:35], 2
	s_waitcnt lgkmcnt(0)
	s_add_u32 s0, s0, s2
	s_addc_u32 s1, s1, s3
	s_load_dword s33, s[0:1], 0x0
	s_lshl_b32 s55, s8, 9
	s_waitcnt lgkmcnt(0)
	s_cmp_ge_i32 s55, s33
	s_cbranch_scc1 .LBB351_857
; %bb.1:
	s_load_dword s9, s[4:5], 0x90
	s_load_dwordx2 s[42:43], s[4:5], 0x30
	s_waitcnt lgkmcnt(0)
	s_abs_i32 s2, s9
	s_abs_i32 s0, s42
	v_cvt_f32_u32_e32 v1, s0
	s_sub_i32 s3, 0, s0
	s_xor_b32 s1, s9, s42
	s_ashr_i32 s1, s1, 31
	v_rcp_iflag_f32_e32 v1, v1
	v_mul_f32_e32 v1, 0x4f7ffffe, v1
	v_cvt_u32_f32_e32 v1, v1
	v_readfirstlane_b32 s7, v1
	s_mul_i32 s3, s3, s7
	s_mul_hi_u32 s3, s7, s3
	s_add_i32 s7, s7, s3
	s_mul_hi_u32 s3, s2, s7
	s_mul_i32 s7, s3, s0
	s_sub_i32 s2, s2, s7
	s_add_i32 s10, s3, 1
	s_sub_i32 s7, s2, s0
	s_cmp_ge_u32 s2, s0
	s_cselect_b32 s3, s10, s3
	s_cselect_b32 s2, s7, s2
	s_add_i32 s7, s3, 1
	s_cmp_ge_u32 s2, s0
	s_cselect_b32 s0, s7, s3
	s_xor_b32 s0, s0, s1
	s_sub_i32 s11, s0, s1
	s_abs_i32 s2, s11
	v_cvt_f32_u32_e32 v1, s2
	s_load_dwordx2 s[0:1], s[4:5], 0x50
	s_sub_i32 s10, 0, s2
	s_abs_i32 s3, s6
	v_rcp_iflag_f32_e32 v1, v1
	s_mov_b32 s7, 0
	v_mul_f32_e32 v1, 0x4f7ffffe, v1
	v_cvt_u32_f32_e32 v1, v1
	v_readfirstlane_b32 s12, v1
	s_mul_i32 s10, s10, s12
	s_mul_hi_u32 s10, s12, s10
	s_add_i32 s12, s12, s10
	s_waitcnt lgkmcnt(0)
	s_cmp_eq_u64 s[0:1], 0
	s_mul_hi_u32 s10, s3, s12
	s_cbranch_scc1 .LBB351_3
; %bb.2:
	s_ashr_i32 s7, s6, 31
	s_lshl_b64 s[12:13], s[6:7], 2
	s_add_u32 s0, s0, s12
	s_addc_u32 s1, s1, s13
	s_load_dword s7, s[0:1], 0x0
.LBB351_3:
	s_load_dwordx4 s[16:19], s[4:5], 0x58
	s_ashr_i32 s12, s6, 31
	s_ashr_i32 s11, s11, 31
	v_and_b32_e32 v2, 3, v0
	s_mul_i32 s28, s6, 0x70
	v_cmp_gt_u32_e32 vcc, 56, v0
	s_and_saveexec_b64 s[0:1], vcc
	s_cbranch_execz .LBB351_5
; %bb.4:
	s_load_dwordx2 s[14:15], s[4:5], 0x18
	s_waitcnt lgkmcnt(0)
	s_mul_i32 s20, s34, s16
	s_ashr_i32 s21, s20, 31
	s_lshl_b64 s[20:21], s[20:21], 1
	v_lshlrev_b32_e32 v1, 2, v0
	s_add_u32 s13, s14, s20
	s_addc_u32 s16, s15, s21
	s_ashr_i32 s29, s28, 31
	s_lshl_b64 s[14:15], s[28:29], 1
	s_add_u32 s14, s13, s14
	s_addc_u32 s15, s16, s15
	global_load_dword v1, v1, s[14:15]
	v_and_b32_e32 v3, 0x3fc, v0
	v_mad_u32_u24 v3, v2, 56, v3
	s_waitcnt vmcnt(0)
	ds_write_b32 v3, v1
.LBB351_5:
	s_or_b64 exec, exec, s[0:1]
	s_mul_i32 s1, s10, s2
	s_sub_i32 s1, s3, s1
	s_xor_b32 s0, s12, s11
	s_add_i32 s3, s10, 1
	s_sub_i32 s11, s1, s2
	s_load_dwordx4 s[20:23], s[4:5], 0x78
	s_cmp_ge_u32 s1, s2
	s_cselect_b32 s3, s3, s10
	s_cselect_b32 s1, s11, s1
	s_load_dword s11, s[4:5], 0x88
	s_add_i32 s10, s3, 1
	s_cmp_ge_u32 s1, s2
	s_cselect_b32 s1, s10, s3
	s_waitcnt lgkmcnt(0)
	s_abs_i32 s35, s23
	v_cvt_f32_u32_e32 v1, s35
	s_xor_b32 s1, s1, s0
	s_sub_i32 s2, s1, s0
	s_sub_i32 s0, 0, s35
	v_rcp_iflag_f32_e32 v1, v1
	s_add_i32 s12, s33, -1
	s_abs_i32 s3, s12
	v_mul_f32_e32 v1, 0x4f7ffffe, v1
	v_cvt_u32_f32_e32 v1, v1
	s_barrier
	v_readfirstlane_b32 s52, v1
	s_mul_i32 s0, s0, s52
	s_mul_hi_u32 s0, s52, s0
	s_add_i32 s52, s52, s0
	s_cmp_lt_i32 s11, 0
	s_mul_hi_u32 s10, s3, s52
	s_cbranch_scc0 .LBB351_7
; %bb.6:
	s_mul_i32 s0, s20, s42
	s_add_i32 s0, s2, s0
	s_mul_i32 s0, s0, s11
	s_sub_i32 s42, 1, s0
	s_mov_b64 s[0:1], 0
	s_branch .LBB351_8
.LBB351_7:
	s_mov_b64 s[0:1], -1
                                        ; implicit-def: $sgpr42
.LBB351_8:
	s_load_dwordx2 s[36:37], s[4:5], 0x38
	s_ashr_i32 s16, s12, 31
	s_andn2_b64 vcc, exec, s[0:1]
	s_ashr_i32 s53, s23, 31
	s_cbranch_vccnz .LBB351_10
; %bb.9:
	s_mul_i32 s0, s9, s20
	s_add_i32 s0, s0, s6
	s_mul_i32 s0, s0, s11
	s_add_i32 s42, s0, 1
.LBB351_10:
	s_load_dwordx2 s[40:41], s[4:5], 0x28
	s_load_dword s0, s[4:5], 0x48
	s_load_dwordx4 s[24:27], s[4:5], 0x0
	s_load_dwordx2 s[30:31], s[4:5], 0x10
	s_load_dword s29, s[4:5], 0x98
	s_load_dwordx4 s[12:15], s[4:5], 0x68
	s_mul_i32 s1, s10, s35
	s_waitcnt lgkmcnt(0)
	s_mul_i32 s38, s34, s0
	s_sub_i32 s1, s3, s1
	s_ashr_i32 s39, s38, 31
	s_xor_b32 s0, s16, s53
	s_add_i32 s3, s10, 1
	s_sub_i32 s11, s1, s35
	s_cmp_ge_u32 s1, s35
	s_cselect_b32 s3, s3, s10
	s_cselect_b32 s1, s11, s1
	s_add_i32 s10, s3, 1
	s_cmp_ge_u32 s1, s35
	s_cselect_b32 s1, s10, s3
	s_xor_b32 s1, s1, s0
	s_sub_i32 s20, s1, s0
	s_add_i32 s0, s33, 15
	s_ashr_i32 s1, s0, 31
	s_lshr_b32 s1, s1, 28
	s_add_i32 s0, s0, s1
	s_lshl_b32 s56, s8, 5
	s_ashr_i32 s16, s0, 4
	s_add_i32 s0, s56, 32
	v_lshrrev_b32_e32 v27, 6, v0
	s_min_i32 s54, s0, s16
	v_or_b32_e32 v14, s56, v27
	v_cmp_gt_i32_e64 s[0:1], s54, v14
	v_mov_b32_e32 v33, 0xff7fffff
	s_mul_i32 s23, s2, s18
	v_ashrrev_i32_e32 v15, 31, v14
	v_lshl_add_u32 v1, v27, 4, s55
	v_mbcnt_lo_u32_b32 v19, -1, 0
	s_and_saveexec_b64 s[18:19], s[0:1]
	s_cbranch_execz .LBB351_300
; %bb.11:
	s_load_dwordx2 s[2:3], s[4:5], 0x20
	s_sub_i32 s57, s20, s21
	s_ashr_i32 s4, s23, 31
	v_cmp_eq_u32_e32 vcc, 0, v2
	v_lshlrev_b32_e32 v18, 1, v2
	s_waitcnt lgkmcnt(0)
	s_add_u32 s2, s2, s23
	s_addc_u32 s3, s3, s4
	s_abs_i32 s59, s22
	v_cvt_f32_u32_e32 v3, s59
	s_sub_i32 s4, 0, s59
	v_mul_u32_u24_e32 v31, 56, v2
	v_bfe_u32 v29, v0, 2, 4
	v_rcp_iflag_f32_e32 v3, v3
	v_lshlrev_b32_e32 v4, 4, v29
	v_mov_b32_e32 v5, s3
	v_add_co_u32_e64 v16, s[2:3], s2, v4
	v_mul_f32_e32 v3, 0x4f7ffffe, v3
	v_cvt_u32_f32_e32 v3, v3
	v_addc_co_u32_e64 v17, s[2:3], 0, v5, s[2:3]
	s_mov_b32 s58, s17
	v_mul_lo_u32 v2, s4, v3
	s_lshl_b64 s[4:5], s[38:39], 2
	v_mul_hi_u32 v2, v3, v2
	s_add_u32 s4, s36, s4
	v_add_u32_e32 v32, v3, v2
	v_lshlrev_b64 v[2:3], 2, v[14:15]
	s_addc_u32 s5, s37, s5
	v_mov_b32_e32 v4, s5
	v_add_co_u32_e64 v20, s[4:5], s4, v2
	v_lshlrev_b32_e32 v2, 2, v29
	v_lshl_or_b32 v2, v27, 6, v2
	v_add_u32_e32 v35, 0xf0, v2
	v_subrev_u32_e32 v2, s33, v29
	v_mov_b32_e32 v30, 0
	v_cmp_neq_f32_e64 s[2:3], s7, 0
	v_addc_co_u32_e64 v21, s[4:5], v4, v3, s[4:5]
	v_lshl_add_u32 v34, v27, 4, s55
	v_add_u32_e32 v36, 1, v2
	s_mov_b64 s[44:45], 0
	v_mov_b32_e32 v37, 0xff7fffff
	s_movk_i32 s60, 0x80
	s_movk_i32 s61, 0x7f
	s_mov_b32 s62, 0x7f800000
	s_movk_i32 s63, 0x7fff
	v_bfrev_b32_e32 v38, 60
	v_mbcnt_hi_u32_b32 v39, -1, v19
	v_mov_b32_e32 v33, 0xff7fffff
	v_mov_b32_e32 v40, v14
	s_branch .LBB351_14
.LBB351_12:                             ;   in Loop: Header=BB351_14 Depth=1
	s_or_b64 exec, exec, s[46:47]
.LBB351_13:                             ;   in Loop: Header=BB351_14 Depth=1
	s_or_b64 exec, exec, s[10:11]
	v_add_co_u32_e64 v20, s[4:5], 8, v20
	v_add_u32_e32 v40, 2, v40
	v_addc_co_u32_e64 v21, s[4:5], 0, v21, s[4:5]
	v_cmp_le_i32_e64 s[4:5], s54, v40
	v_add_u32_e32 v34, 32, v34
	s_or_b64 s[44:45], s[4:5], s[44:45]
	v_add_u32_e32 v35, 0x80, v35
	s_andn2_b64 exec, exec, s[44:45]
	s_cbranch_execz .LBB351_299
.LBB351_14:                             ; =>This Inner Loop Header: Depth=1
	s_waitcnt lgkmcnt(0)
	v_sub_u32_e32 v3, 0, v34
	v_max_i32_e32 v3, v34, v3
	v_mul_hi_u32 v4, v3, s52
	v_mul_lo_u32 v5, v4, s35
	v_sub_u32_e32 v3, v3, v5
	v_add_u32_e32 v5, 1, v4
	v_cmp_le_u32_e64 s[4:5], s35, v3
	v_cndmask_b32_e64 v4, v4, v5, s[4:5]
	v_subrev_u32_e32 v5, s35, v3
	v_cndmask_b32_e64 v3, v3, v5, s[4:5]
	v_ashrrev_i32_e32 v2, 31, v34
	v_add_u32_e32 v5, 1, v4
	v_cmp_le_u32_e64 s[4:5], s35, v3
	v_xor_b32_e32 v2, s53, v2
	v_cndmask_b32_e64 v3, v4, v5, s[4:5]
	v_xor_b32_e32 v3, v3, v2
	v_sub_u32_e32 v2, v3, v2
	v_add_u32_e32 v3, s42, v2
	v_sub_u32_e32 v5, 0, v3
	v_ashrrev_i32_e32 v4, 31, v3
	v_max_i32_e32 v3, v3, v5
	v_mul_hi_u32 v5, v3, v32
	v_mul_lo_u32 v5, v5, s59
	v_sub_u32_e32 v3, v3, v5
	v_subrev_u32_e32 v5, s59, v3
	v_cmp_le_u32_e64 s[4:5], s59, v3
	v_cndmask_b32_e64 v3, v3, v5, s[4:5]
	v_subrev_u32_e32 v5, s59, v3
	v_cmp_le_u32_e64 s[4:5], s59, v3
	v_cndmask_b32_e64 v3, v3, v5, s[4:5]
	v_xor_b32_e32 v3, v3, v4
	v_sub_u32_e32 v3, v3, v4
	v_cmp_ne_u32_e64 s[4:5], 0, v3
	v_cmp_ge_i32_e64 s[10:11], s57, v2
	s_and_b64 s[4:5], s[4:5], s[10:11]
	s_and_b64 s[46:47], vcc, s[4:5]
	s_and_saveexec_b64 s[10:11], s[46:47]
	s_cbranch_execz .LBB351_16
; %bb.15:                               ;   in Loop: Header=BB351_14 Depth=1
	ds_write_b32 v35, v37
.LBB351_16:                             ;   in Loop: Header=BB351_14 Depth=1
	s_or_b64 exec, exec, s[10:11]
	s_xor_b64 s[4:5], s[4:5], -1
	s_and_saveexec_b64 s[10:11], s[4:5]
	s_cbranch_execz .LBB351_13
; %bb.17:                               ;   in Loop: Header=BB351_14 Depth=1
	global_load_dword v2, v[20:21], off
	s_waitcnt vmcnt(0)
	v_mad_i64_i32 v[2:3], s[4:5], v2, s58, v[16:17]
	v_add_co_u32_e64 v24, s[4:5], v2, v18
	v_addc_co_u32_e64 v25, s[4:5], 0, v3, s[4:5]
	global_load_ushort v28, v[24:25], off
	ds_read2_b64 v[10:13], v31 offset1:1
	ds_read2_b64 v[6:9], v31 offset0:2 offset1:3
	ds_read2_b64 v[2:5], v31 offset0:4 offset1:5
	ds_read_b64 v[22:23], v31 offset:48
	s_load_dword s64, s[12:13], 0x0
	s_waitcnt vmcnt(0)
	v_and_b32_e32 v26, 0xffff, v28
	v_cmp_ne_u16_sdwa s[4:5], v28, v30 src0_sel:BYTE_0 src1_sel:DWORD
	v_mov_b32_e32 v28, 0
	s_and_saveexec_b64 s[46:47], s[4:5]
	s_cbranch_execz .LBB351_23
; %bb.18:                               ;   in Loop: Header=BB351_14 Depth=1
	v_cmp_ne_u16_sdwa s[4:5], v26, s60 src0_sel:BYTE_0 src1_sel:DWORD
	v_bfrev_b32_e32 v28, 1
	s_and_saveexec_b64 s[48:49], s[4:5]
	s_cbranch_execz .LBB351_22
; %bb.19:                               ;   in Loop: Header=BB351_14 Depth=1
	v_and_b32_e32 v41, 0x7f, v26
	v_cmp_ne_u32_e64 s[4:5], s61, v41
	v_mov_b32_e32 v28, 0x7f800001
	s_and_saveexec_b64 s[50:51], s[4:5]
	s_cbranch_execz .LBB351_21
; %bb.20:                               ;   in Loop: Header=BB351_14 Depth=1
	v_and_b32_e32 v28, 7, v26
	v_ffbh_u32_e32 v42, v28
	v_min_u32_e32 v45, 32, v42
	v_subrev_u32_e32 v42, 28, v45
	v_lshlrev_b64 v[42:43], v42, v[26:27]
	v_lshrrev_b32_e32 v44, 3, v41
	v_sub_u32_e32 v43, 29, v45
	v_and_b32_e32 v42, 7, v42
	v_cmp_gt_u32_e64 s[4:5], 8, v41
	v_cndmask_b32_e64 v41, v44, v43, s[4:5]
	v_cndmask_b32_e64 v28, v28, v42, s[4:5]
	v_lshlrev_b32_e32 v42, 24, v26
	v_lshlrev_b32_e32 v28, 20, v28
	v_and_b32_e32 v42, 0x80000000, v42
	v_lshl_add_u32 v41, v41, 23, v38
	v_or3_b32 v28, v42, v41, v28
.LBB351_21:                             ;   in Loop: Header=BB351_14 Depth=1
	s_or_b64 exec, exec, s[50:51]
.LBB351_22:                             ;   in Loop: Header=BB351_14 Depth=1
	s_or_b64 exec, exec, s[48:49]
.LBB351_23:                             ;   in Loop: Header=BB351_14 Depth=1
	s_or_b64 exec, exec, s[46:47]
	s_waitcnt lgkmcnt(0)
	v_mul_f32_e32 v28, s64, v28
	v_and_b32_e32 v41, 0x7f800000, v28
	v_cmp_ne_u32_e64 s[4:5], s62, v41
                                        ; implicit-def: $vgpr41
	s_and_saveexec_b64 s[46:47], s[4:5]
	s_xor_b64 s[4:5], exec, s[46:47]
; %bb.24:                               ;   in Loop: Header=BB351_14 Depth=1
	v_bfe_u32 v41, v28, 16, 1
	v_add3_u32 v41, v28, v41, s63
                                        ; implicit-def: $vgpr28
; %bb.25:                               ;   in Loop: Header=BB351_14 Depth=1
	s_andn2_saveexec_b64 s[46:47], s[4:5]
; %bb.26:                               ;   in Loop: Header=BB351_14 Depth=1
	v_or_b32_e32 v41, 0x10000, v28
	v_cmp_eq_u32_sdwa s[4:5], v28, v30 src0_sel:WORD_0 src1_sel:DWORD
	v_cndmask_b32_e64 v41, v41, v28, s[4:5]
; %bb.27:                               ;   in Loop: Header=BB351_14 Depth=1
	s_or_b64 exec, exec, s[46:47]
	v_lshrrev_b16_e32 v28, 8, v26
	v_cmp_ne_u16_e64 s[4:5], 0, v28
	v_mov_b32_e32 v42, 0
	s_and_saveexec_b64 s[46:47], s[4:5]
	s_cbranch_execz .LBB351_33
; %bb.28:                               ;   in Loop: Header=BB351_14 Depth=1
	v_cmp_ne_u16_e64 s[4:5], s60, v28
	v_bfrev_b32_e32 v42, 1
	s_and_saveexec_b64 s[48:49], s[4:5]
	s_cbranch_execz .LBB351_32
; %bb.29:                               ;   in Loop: Header=BB351_14 Depth=1
	v_and_b32_e32 v43, 0x7f, v28
	v_cmp_ne_u32_e64 s[4:5], s61, v43
	v_mov_b32_e32 v42, 0x7f800001
	s_and_saveexec_b64 s[50:51], s[4:5]
	s_cbranch_execz .LBB351_31
; %bb.30:                               ;   in Loop: Header=BB351_14 Depth=1
	v_and_b32_e32 v42, 7, v28
	v_ffbh_u32_e32 v44, v42
	v_min_u32_e32 v47, 32, v44
	v_subrev_u32_e32 v44, 28, v47
	v_lshlrev_b64 v[44:45], v44, v[28:29]
	v_lshrrev_b32_e32 v46, 3, v43
	v_sub_u32_e32 v28, 29, v47
	v_and_b32_e32 v44, 7, v44
	v_cmp_gt_u32_e64 s[4:5], 8, v43
	v_cndmask_b32_e64 v28, v46, v28, s[4:5]
	v_cndmask_b32_e64 v42, v42, v44, s[4:5]
	v_lshlrev_b32_e32 v26, 16, v26
	v_lshlrev_b32_e32 v42, 20, v42
	v_and_b32_e32 v26, 0x80000000, v26
	v_lshl_add_u32 v28, v28, 23, v38
	v_or3_b32 v42, v26, v28, v42
.LBB351_31:                             ;   in Loop: Header=BB351_14 Depth=1
	s_or_b64 exec, exec, s[50:51]
.LBB351_32:                             ;   in Loop: Header=BB351_14 Depth=1
	s_or_b64 exec, exec, s[48:49]
.LBB351_33:                             ;   in Loop: Header=BB351_14 Depth=1
	s_or_b64 exec, exec, s[46:47]
	v_mul_f32_e32 v26, s64, v42
	v_and_b32_e32 v28, 0x7f800000, v26
	v_cmp_ne_u32_e64 s[4:5], s62, v28
                                        ; implicit-def: $vgpr42
	s_and_saveexec_b64 s[46:47], s[4:5]
	s_xor_b64 s[4:5], exec, s[46:47]
; %bb.34:                               ;   in Loop: Header=BB351_14 Depth=1
	v_bfe_u32 v28, v26, 16, 1
	v_add3_u32 v42, v26, v28, s63
                                        ; implicit-def: $vgpr26
; %bb.35:                               ;   in Loop: Header=BB351_14 Depth=1
	s_andn2_saveexec_b64 s[46:47], s[4:5]
; %bb.36:                               ;   in Loop: Header=BB351_14 Depth=1
	v_or_b32_e32 v28, 0x10000, v26
	v_cmp_eq_u32_sdwa s[4:5], v26, v30 src0_sel:WORD_0 src1_sel:DWORD
	v_cndmask_b32_e64 v42, v28, v26, s[4:5]
; %bb.37:                               ;   in Loop: Header=BB351_14 Depth=1
	s_or_b64 exec, exec, s[46:47]
	global_load_ushort v28, v[24:25], off offset:8
	s_waitcnt vmcnt(0)
	v_and_b32_e32 v26, 0xffff, v28
	v_cmp_ne_u16_sdwa s[4:5], v28, v30 src0_sel:BYTE_0 src1_sel:DWORD
	v_mov_b32_e32 v28, 0
	s_and_saveexec_b64 s[46:47], s[4:5]
	s_cbranch_execz .LBB351_43
; %bb.38:                               ;   in Loop: Header=BB351_14 Depth=1
	v_cmp_ne_u16_sdwa s[4:5], v26, s60 src0_sel:BYTE_0 src1_sel:DWORD
	v_bfrev_b32_e32 v28, 1
	s_and_saveexec_b64 s[48:49], s[4:5]
	s_cbranch_execz .LBB351_42
; %bb.39:                               ;   in Loop: Header=BB351_14 Depth=1
	v_and_b32_e32 v43, 0x7f, v26
	v_cmp_ne_u32_e64 s[4:5], s61, v43
	v_mov_b32_e32 v28, 0x7f800001
	s_and_saveexec_b64 s[50:51], s[4:5]
	s_cbranch_execz .LBB351_41
; %bb.40:                               ;   in Loop: Header=BB351_14 Depth=1
	v_and_b32_e32 v28, 7, v26
	v_ffbh_u32_e32 v44, v28
	v_min_u32_e32 v47, 32, v44
	v_subrev_u32_e32 v44, 28, v47
	v_lshlrev_b64 v[44:45], v44, v[26:27]
	v_lshrrev_b32_e32 v46, 3, v43
	v_sub_u32_e32 v45, 29, v47
	v_and_b32_e32 v44, 7, v44
	v_cmp_gt_u32_e64 s[4:5], 8, v43
	v_cndmask_b32_e64 v43, v46, v45, s[4:5]
	v_cndmask_b32_e64 v28, v28, v44, s[4:5]
	v_lshlrev_b32_e32 v44, 24, v26
	v_lshlrev_b32_e32 v28, 20, v28
	v_and_b32_e32 v44, 0x80000000, v44
	v_lshl_add_u32 v43, v43, 23, v38
	v_or3_b32 v28, v44, v43, v28
.LBB351_41:                             ;   in Loop: Header=BB351_14 Depth=1
	s_or_b64 exec, exec, s[50:51]
.LBB351_42:                             ;   in Loop: Header=BB351_14 Depth=1
	s_or_b64 exec, exec, s[48:49]
.LBB351_43:                             ;   in Loop: Header=BB351_14 Depth=1
	s_or_b64 exec, exec, s[46:47]
	v_mul_f32_e32 v28, s64, v28
	v_and_b32_e32 v43, 0x7f800000, v28
	v_cmp_ne_u32_e64 s[4:5], s62, v43
                                        ; implicit-def: $vgpr43
	s_and_saveexec_b64 s[46:47], s[4:5]
	s_xor_b64 s[4:5], exec, s[46:47]
; %bb.44:                               ;   in Loop: Header=BB351_14 Depth=1
	v_bfe_u32 v43, v28, 16, 1
	v_add3_u32 v43, v28, v43, s63
                                        ; implicit-def: $vgpr28
; %bb.45:                               ;   in Loop: Header=BB351_14 Depth=1
	s_andn2_saveexec_b64 s[46:47], s[4:5]
; %bb.46:                               ;   in Loop: Header=BB351_14 Depth=1
	v_or_b32_e32 v43, 0x10000, v28
	v_cmp_eq_u32_sdwa s[4:5], v28, v30 src0_sel:WORD_0 src1_sel:DWORD
	v_cndmask_b32_e64 v43, v43, v28, s[4:5]
; %bb.47:                               ;   in Loop: Header=BB351_14 Depth=1
	s_or_b64 exec, exec, s[46:47]
	v_lshrrev_b16_e32 v28, 8, v26
	v_cmp_ne_u16_e64 s[4:5], 0, v28
	v_mov_b32_e32 v44, 0
	s_and_saveexec_b64 s[46:47], s[4:5]
	s_cbranch_execz .LBB351_53
; %bb.48:                               ;   in Loop: Header=BB351_14 Depth=1
	v_cmp_ne_u16_e64 s[4:5], s60, v28
	v_bfrev_b32_e32 v44, 1
	s_and_saveexec_b64 s[48:49], s[4:5]
	s_cbranch_execz .LBB351_52
; %bb.49:                               ;   in Loop: Header=BB351_14 Depth=1
	v_and_b32_e32 v45, 0x7f, v28
	v_cmp_ne_u32_e64 s[4:5], s61, v45
	v_mov_b32_e32 v44, 0x7f800001
	s_and_saveexec_b64 s[50:51], s[4:5]
	s_cbranch_execz .LBB351_51
; %bb.50:                               ;   in Loop: Header=BB351_14 Depth=1
	v_and_b32_e32 v44, 7, v28
	v_ffbh_u32_e32 v46, v44
	v_min_u32_e32 v49, 32, v46
	v_subrev_u32_e32 v46, 28, v49
	v_lshlrev_b64 v[46:47], v46, v[28:29]
	v_lshrrev_b32_e32 v48, 3, v45
	v_sub_u32_e32 v28, 29, v49
	v_and_b32_e32 v46, 7, v46
	v_cmp_gt_u32_e64 s[4:5], 8, v45
	v_cndmask_b32_e64 v28, v48, v28, s[4:5]
	v_cndmask_b32_e64 v44, v44, v46, s[4:5]
	v_lshlrev_b32_e32 v26, 16, v26
	v_lshlrev_b32_e32 v44, 20, v44
	v_and_b32_e32 v26, 0x80000000, v26
	v_lshl_add_u32 v28, v28, 23, v38
	v_or3_b32 v44, v26, v28, v44
.LBB351_51:                             ;   in Loop: Header=BB351_14 Depth=1
	s_or_b64 exec, exec, s[50:51]
.LBB351_52:                             ;   in Loop: Header=BB351_14 Depth=1
	s_or_b64 exec, exec, s[48:49]
.LBB351_53:                             ;   in Loop: Header=BB351_14 Depth=1
	s_or_b64 exec, exec, s[46:47]
	v_mul_f32_e32 v26, s64, v44
	v_and_b32_e32 v28, 0x7f800000, v26
	v_cmp_ne_u32_e64 s[4:5], s62, v28
                                        ; implicit-def: $vgpr44
	s_and_saveexec_b64 s[46:47], s[4:5]
	s_xor_b64 s[4:5], exec, s[46:47]
; %bb.54:                               ;   in Loop: Header=BB351_14 Depth=1
	v_bfe_u32 v28, v26, 16, 1
	v_add3_u32 v44, v26, v28, s63
                                        ; implicit-def: $vgpr26
; %bb.55:                               ;   in Loop: Header=BB351_14 Depth=1
	s_andn2_saveexec_b64 s[46:47], s[4:5]
; %bb.56:                               ;   in Loop: Header=BB351_14 Depth=1
	v_or_b32_e32 v28, 0x10000, v26
	v_cmp_eq_u32_sdwa s[4:5], v26, v30 src0_sel:WORD_0 src1_sel:DWORD
	v_cndmask_b32_e64 v44, v28, v26, s[4:5]
; %bb.57:                               ;   in Loop: Header=BB351_14 Depth=1
	s_or_b64 exec, exec, s[46:47]
	global_load_ushort v28, v[24:25], off offset:256
	s_waitcnt vmcnt(0)
	v_and_b32_e32 v26, 0xffff, v28
	v_cmp_ne_u16_sdwa s[4:5], v28, v30 src0_sel:BYTE_0 src1_sel:DWORD
	v_mov_b32_e32 v28, 0
	s_and_saveexec_b64 s[46:47], s[4:5]
	s_cbranch_execz .LBB351_63
; %bb.58:                               ;   in Loop: Header=BB351_14 Depth=1
	v_cmp_ne_u16_sdwa s[4:5], v26, s60 src0_sel:BYTE_0 src1_sel:DWORD
	v_bfrev_b32_e32 v28, 1
	s_and_saveexec_b64 s[48:49], s[4:5]
	s_cbranch_execz .LBB351_62
; %bb.59:                               ;   in Loop: Header=BB351_14 Depth=1
	v_and_b32_e32 v45, 0x7f, v26
	v_cmp_ne_u32_e64 s[4:5], s61, v45
	v_mov_b32_e32 v28, 0x7f800001
	s_and_saveexec_b64 s[50:51], s[4:5]
	s_cbranch_execz .LBB351_61
; %bb.60:                               ;   in Loop: Header=BB351_14 Depth=1
	v_and_b32_e32 v28, 7, v26
	v_ffbh_u32_e32 v46, v28
	v_min_u32_e32 v49, 32, v46
	v_subrev_u32_e32 v46, 28, v49
	v_lshlrev_b64 v[46:47], v46, v[26:27]
	v_lshrrev_b32_e32 v48, 3, v45
	v_sub_u32_e32 v47, 29, v49
	v_and_b32_e32 v46, 7, v46
	v_cmp_gt_u32_e64 s[4:5], 8, v45
	v_cndmask_b32_e64 v45, v48, v47, s[4:5]
	v_cndmask_b32_e64 v28, v28, v46, s[4:5]
	v_lshlrev_b32_e32 v46, 24, v26
	v_lshlrev_b32_e32 v28, 20, v28
	v_and_b32_e32 v46, 0x80000000, v46
	v_lshl_add_u32 v45, v45, 23, v38
	v_or3_b32 v28, v46, v45, v28
.LBB351_61:                             ;   in Loop: Header=BB351_14 Depth=1
	s_or_b64 exec, exec, s[50:51]
.LBB351_62:                             ;   in Loop: Header=BB351_14 Depth=1
	s_or_b64 exec, exec, s[48:49]
.LBB351_63:                             ;   in Loop: Header=BB351_14 Depth=1
	s_or_b64 exec, exec, s[46:47]
	v_mul_f32_e32 v28, s64, v28
	v_and_b32_e32 v45, 0x7f800000, v28
	v_cmp_ne_u32_e64 s[4:5], s62, v45
                                        ; implicit-def: $vgpr45
	s_and_saveexec_b64 s[46:47], s[4:5]
	s_xor_b64 s[4:5], exec, s[46:47]
; %bb.64:                               ;   in Loop: Header=BB351_14 Depth=1
	v_bfe_u32 v45, v28, 16, 1
	v_add3_u32 v45, v28, v45, s63
                                        ; implicit-def: $vgpr28
; %bb.65:                               ;   in Loop: Header=BB351_14 Depth=1
	s_andn2_saveexec_b64 s[46:47], s[4:5]
; %bb.66:                               ;   in Loop: Header=BB351_14 Depth=1
	v_or_b32_e32 v45, 0x10000, v28
	v_cmp_eq_u32_sdwa s[4:5], v28, v30 src0_sel:WORD_0 src1_sel:DWORD
	v_cndmask_b32_e64 v45, v45, v28, s[4:5]
; %bb.67:                               ;   in Loop: Header=BB351_14 Depth=1
	s_or_b64 exec, exec, s[46:47]
	v_lshrrev_b16_e32 v28, 8, v26
	v_cmp_ne_u16_e64 s[4:5], 0, v28
	v_mov_b32_e32 v46, 0
	s_and_saveexec_b64 s[46:47], s[4:5]
	s_cbranch_execz .LBB351_73
; %bb.68:                               ;   in Loop: Header=BB351_14 Depth=1
	v_cmp_ne_u16_e64 s[4:5], s60, v28
	v_bfrev_b32_e32 v46, 1
	s_and_saveexec_b64 s[48:49], s[4:5]
	s_cbranch_execz .LBB351_72
; %bb.69:                               ;   in Loop: Header=BB351_14 Depth=1
	v_and_b32_e32 v47, 0x7f, v28
	v_cmp_ne_u32_e64 s[4:5], s61, v47
	v_mov_b32_e32 v46, 0x7f800001
	s_and_saveexec_b64 s[50:51], s[4:5]
	s_cbranch_execz .LBB351_71
; %bb.70:                               ;   in Loop: Header=BB351_14 Depth=1
	v_and_b32_e32 v46, 7, v28
	v_ffbh_u32_e32 v48, v46
	v_min_u32_e32 v51, 32, v48
	v_subrev_u32_e32 v48, 28, v51
	v_lshlrev_b64 v[48:49], v48, v[28:29]
	v_lshrrev_b32_e32 v50, 3, v47
	v_sub_u32_e32 v28, 29, v51
	v_and_b32_e32 v48, 7, v48
	v_cmp_gt_u32_e64 s[4:5], 8, v47
	v_cndmask_b32_e64 v28, v50, v28, s[4:5]
	v_cndmask_b32_e64 v46, v46, v48, s[4:5]
	v_lshlrev_b32_e32 v26, 16, v26
	v_lshlrev_b32_e32 v46, 20, v46
	v_and_b32_e32 v26, 0x80000000, v26
	v_lshl_add_u32 v28, v28, 23, v38
	v_or3_b32 v46, v26, v28, v46
.LBB351_71:                             ;   in Loop: Header=BB351_14 Depth=1
	s_or_b64 exec, exec, s[50:51]
.LBB351_72:                             ;   in Loop: Header=BB351_14 Depth=1
	s_or_b64 exec, exec, s[48:49]
.LBB351_73:                             ;   in Loop: Header=BB351_14 Depth=1
	s_or_b64 exec, exec, s[46:47]
	v_mul_f32_e32 v26, s64, v46
	v_and_b32_e32 v28, 0x7f800000, v26
	v_cmp_ne_u32_e64 s[4:5], s62, v28
                                        ; implicit-def: $vgpr46
	s_and_saveexec_b64 s[46:47], s[4:5]
	s_xor_b64 s[4:5], exec, s[46:47]
; %bb.74:                               ;   in Loop: Header=BB351_14 Depth=1
	v_bfe_u32 v28, v26, 16, 1
	v_add3_u32 v46, v26, v28, s63
                                        ; implicit-def: $vgpr26
; %bb.75:                               ;   in Loop: Header=BB351_14 Depth=1
	s_andn2_saveexec_b64 s[46:47], s[4:5]
; %bb.76:                               ;   in Loop: Header=BB351_14 Depth=1
	v_or_b32_e32 v28, 0x10000, v26
	v_cmp_eq_u32_sdwa s[4:5], v26, v30 src0_sel:WORD_0 src1_sel:DWORD
	v_cndmask_b32_e64 v46, v28, v26, s[4:5]
; %bb.77:                               ;   in Loop: Header=BB351_14 Depth=1
	s_or_b64 exec, exec, s[46:47]
	global_load_ushort v28, v[24:25], off offset:264
	s_waitcnt vmcnt(0)
	v_and_b32_e32 v26, 0xffff, v28
	v_cmp_ne_u16_sdwa s[4:5], v28, v30 src0_sel:BYTE_0 src1_sel:DWORD
	v_mov_b32_e32 v28, 0
	s_and_saveexec_b64 s[46:47], s[4:5]
	s_cbranch_execz .LBB351_83
; %bb.78:                               ;   in Loop: Header=BB351_14 Depth=1
	v_cmp_ne_u16_sdwa s[4:5], v26, s60 src0_sel:BYTE_0 src1_sel:DWORD
	v_bfrev_b32_e32 v28, 1
	s_and_saveexec_b64 s[48:49], s[4:5]
	s_cbranch_execz .LBB351_82
; %bb.79:                               ;   in Loop: Header=BB351_14 Depth=1
	v_and_b32_e32 v47, 0x7f, v26
	v_cmp_ne_u32_e64 s[4:5], s61, v47
	v_mov_b32_e32 v28, 0x7f800001
	s_and_saveexec_b64 s[50:51], s[4:5]
	s_cbranch_execz .LBB351_81
; %bb.80:                               ;   in Loop: Header=BB351_14 Depth=1
	v_and_b32_e32 v28, 7, v26
	v_ffbh_u32_e32 v48, v28
	v_min_u32_e32 v51, 32, v48
	v_subrev_u32_e32 v48, 28, v51
	v_lshlrev_b64 v[48:49], v48, v[26:27]
	v_lshrrev_b32_e32 v50, 3, v47
	v_sub_u32_e32 v49, 29, v51
	v_and_b32_e32 v48, 7, v48
	v_cmp_gt_u32_e64 s[4:5], 8, v47
	v_cndmask_b32_e64 v47, v50, v49, s[4:5]
	v_cndmask_b32_e64 v28, v28, v48, s[4:5]
	v_lshlrev_b32_e32 v48, 24, v26
	v_lshlrev_b32_e32 v28, 20, v28
	v_and_b32_e32 v48, 0x80000000, v48
	v_lshl_add_u32 v47, v47, 23, v38
	v_or3_b32 v28, v48, v47, v28
.LBB351_81:                             ;   in Loop: Header=BB351_14 Depth=1
	s_or_b64 exec, exec, s[50:51]
.LBB351_82:                             ;   in Loop: Header=BB351_14 Depth=1
	s_or_b64 exec, exec, s[48:49]
.LBB351_83:                             ;   in Loop: Header=BB351_14 Depth=1
	s_or_b64 exec, exec, s[46:47]
	v_mul_f32_e32 v28, s64, v28
	v_and_b32_e32 v47, 0x7f800000, v28
	v_cmp_ne_u32_e64 s[4:5], s62, v47
                                        ; implicit-def: $vgpr47
	s_and_saveexec_b64 s[46:47], s[4:5]
	s_xor_b64 s[4:5], exec, s[46:47]
; %bb.84:                               ;   in Loop: Header=BB351_14 Depth=1
	v_bfe_u32 v47, v28, 16, 1
	v_add3_u32 v47, v28, v47, s63
                                        ; implicit-def: $vgpr28
; %bb.85:                               ;   in Loop: Header=BB351_14 Depth=1
	s_andn2_saveexec_b64 s[46:47], s[4:5]
; %bb.86:                               ;   in Loop: Header=BB351_14 Depth=1
	v_or_b32_e32 v47, 0x10000, v28
	v_cmp_eq_u32_sdwa s[4:5], v28, v30 src0_sel:WORD_0 src1_sel:DWORD
	v_cndmask_b32_e64 v47, v47, v28, s[4:5]
; %bb.87:                               ;   in Loop: Header=BB351_14 Depth=1
	s_or_b64 exec, exec, s[46:47]
	v_lshrrev_b16_e32 v28, 8, v26
	v_cmp_ne_u16_e64 s[4:5], 0, v28
	v_mov_b32_e32 v48, 0
	s_and_saveexec_b64 s[46:47], s[4:5]
	s_cbranch_execz .LBB351_93
; %bb.88:                               ;   in Loop: Header=BB351_14 Depth=1
	v_cmp_ne_u16_e64 s[4:5], s60, v28
	v_bfrev_b32_e32 v48, 1
	s_and_saveexec_b64 s[48:49], s[4:5]
	s_cbranch_execz .LBB351_92
; %bb.89:                               ;   in Loop: Header=BB351_14 Depth=1
	v_and_b32_e32 v49, 0x7f, v28
	v_cmp_ne_u32_e64 s[4:5], s61, v49
	v_mov_b32_e32 v48, 0x7f800001
	s_and_saveexec_b64 s[50:51], s[4:5]
	s_cbranch_execz .LBB351_91
; %bb.90:                               ;   in Loop: Header=BB351_14 Depth=1
	v_and_b32_e32 v48, 7, v28
	v_ffbh_u32_e32 v50, v48
	v_min_u32_e32 v53, 32, v50
	v_subrev_u32_e32 v50, 28, v53
	v_lshlrev_b64 v[50:51], v50, v[28:29]
	v_lshrrev_b32_e32 v52, 3, v49
	v_sub_u32_e32 v28, 29, v53
	v_and_b32_e32 v50, 7, v50
	v_cmp_gt_u32_e64 s[4:5], 8, v49
	v_cndmask_b32_e64 v28, v52, v28, s[4:5]
	v_cndmask_b32_e64 v48, v48, v50, s[4:5]
	v_lshlrev_b32_e32 v26, 16, v26
	v_lshlrev_b32_e32 v48, 20, v48
	v_and_b32_e32 v26, 0x80000000, v26
	v_lshl_add_u32 v28, v28, 23, v38
	v_or3_b32 v48, v26, v28, v48
.LBB351_91:                             ;   in Loop: Header=BB351_14 Depth=1
	s_or_b64 exec, exec, s[50:51]
.LBB351_92:                             ;   in Loop: Header=BB351_14 Depth=1
	s_or_b64 exec, exec, s[48:49]
.LBB351_93:                             ;   in Loop: Header=BB351_14 Depth=1
	s_or_b64 exec, exec, s[46:47]
	v_mul_f32_e32 v26, s64, v48
	v_and_b32_e32 v28, 0x7f800000, v26
	v_cmp_ne_u32_e64 s[4:5], s62, v28
                                        ; implicit-def: $vgpr48
	s_and_saveexec_b64 s[46:47], s[4:5]
	s_xor_b64 s[4:5], exec, s[46:47]
; %bb.94:                               ;   in Loop: Header=BB351_14 Depth=1
	v_bfe_u32 v28, v26, 16, 1
	v_add3_u32 v48, v26, v28, s63
                                        ; implicit-def: $vgpr26
; %bb.95:                               ;   in Loop: Header=BB351_14 Depth=1
	s_andn2_saveexec_b64 s[46:47], s[4:5]
; %bb.96:                               ;   in Loop: Header=BB351_14 Depth=1
	v_or_b32_e32 v28, 0x10000, v26
	v_cmp_eq_u32_sdwa s[4:5], v26, v30 src0_sel:WORD_0 src1_sel:DWORD
	v_cndmask_b32_e64 v48, v28, v26, s[4:5]
; %bb.97:                               ;   in Loop: Header=BB351_14 Depth=1
	s_or_b64 exec, exec, s[46:47]
	global_load_ushort v28, v[24:25], off offset:512
	s_waitcnt vmcnt(0)
	v_and_b32_e32 v26, 0xffff, v28
	v_cmp_ne_u16_sdwa s[4:5], v28, v30 src0_sel:BYTE_0 src1_sel:DWORD
	v_mov_b32_e32 v28, 0
	s_and_saveexec_b64 s[46:47], s[4:5]
	s_cbranch_execz .LBB351_103
; %bb.98:                               ;   in Loop: Header=BB351_14 Depth=1
	v_cmp_ne_u16_sdwa s[4:5], v26, s60 src0_sel:BYTE_0 src1_sel:DWORD
	v_bfrev_b32_e32 v28, 1
	s_and_saveexec_b64 s[48:49], s[4:5]
	s_cbranch_execz .LBB351_102
; %bb.99:                               ;   in Loop: Header=BB351_14 Depth=1
	v_and_b32_e32 v49, 0x7f, v26
	v_cmp_ne_u32_e64 s[4:5], s61, v49
	v_mov_b32_e32 v28, 0x7f800001
	s_and_saveexec_b64 s[50:51], s[4:5]
	s_cbranch_execz .LBB351_101
; %bb.100:                              ;   in Loop: Header=BB351_14 Depth=1
	v_and_b32_e32 v28, 7, v26
	v_ffbh_u32_e32 v50, v28
	v_min_u32_e32 v53, 32, v50
	v_subrev_u32_e32 v50, 28, v53
	v_lshlrev_b64 v[50:51], v50, v[26:27]
	v_lshrrev_b32_e32 v52, 3, v49
	v_sub_u32_e32 v51, 29, v53
	v_and_b32_e32 v50, 7, v50
	v_cmp_gt_u32_e64 s[4:5], 8, v49
	v_cndmask_b32_e64 v49, v52, v51, s[4:5]
	v_cndmask_b32_e64 v28, v28, v50, s[4:5]
	v_lshlrev_b32_e32 v50, 24, v26
	v_lshlrev_b32_e32 v28, 20, v28
	v_and_b32_e32 v50, 0x80000000, v50
	v_lshl_add_u32 v49, v49, 23, v38
	v_or3_b32 v28, v50, v49, v28
.LBB351_101:                            ;   in Loop: Header=BB351_14 Depth=1
	s_or_b64 exec, exec, s[50:51]
.LBB351_102:                            ;   in Loop: Header=BB351_14 Depth=1
	s_or_b64 exec, exec, s[48:49]
.LBB351_103:                            ;   in Loop: Header=BB351_14 Depth=1
	s_or_b64 exec, exec, s[46:47]
	v_mul_f32_e32 v28, s64, v28
	v_and_b32_e32 v49, 0x7f800000, v28
	v_cmp_ne_u32_e64 s[4:5], s62, v49
                                        ; implicit-def: $vgpr49
	s_and_saveexec_b64 s[46:47], s[4:5]
	s_xor_b64 s[4:5], exec, s[46:47]
; %bb.104:                              ;   in Loop: Header=BB351_14 Depth=1
	v_bfe_u32 v49, v28, 16, 1
	v_add3_u32 v49, v28, v49, s63
                                        ; implicit-def: $vgpr28
; %bb.105:                              ;   in Loop: Header=BB351_14 Depth=1
	s_andn2_saveexec_b64 s[46:47], s[4:5]
; %bb.106:                              ;   in Loop: Header=BB351_14 Depth=1
	v_or_b32_e32 v49, 0x10000, v28
	v_cmp_eq_u32_sdwa s[4:5], v28, v30 src0_sel:WORD_0 src1_sel:DWORD
	v_cndmask_b32_e64 v49, v49, v28, s[4:5]
; %bb.107:                              ;   in Loop: Header=BB351_14 Depth=1
	s_or_b64 exec, exec, s[46:47]
	v_lshrrev_b16_e32 v28, 8, v26
	v_cmp_ne_u16_e64 s[4:5], 0, v28
	v_mov_b32_e32 v50, 0
	s_and_saveexec_b64 s[46:47], s[4:5]
	s_cbranch_execz .LBB351_113
; %bb.108:                              ;   in Loop: Header=BB351_14 Depth=1
	v_cmp_ne_u16_e64 s[4:5], s60, v28
	v_bfrev_b32_e32 v50, 1
	s_and_saveexec_b64 s[48:49], s[4:5]
	s_cbranch_execz .LBB351_112
; %bb.109:                              ;   in Loop: Header=BB351_14 Depth=1
	v_and_b32_e32 v51, 0x7f, v28
	v_cmp_ne_u32_e64 s[4:5], s61, v51
	v_mov_b32_e32 v50, 0x7f800001
	s_and_saveexec_b64 s[50:51], s[4:5]
	s_cbranch_execz .LBB351_111
; %bb.110:                              ;   in Loop: Header=BB351_14 Depth=1
	v_and_b32_e32 v50, 7, v28
	v_ffbh_u32_e32 v52, v50
	v_min_u32_e32 v55, 32, v52
	v_subrev_u32_e32 v52, 28, v55
	v_lshlrev_b64 v[52:53], v52, v[28:29]
	v_lshrrev_b32_e32 v54, 3, v51
	v_sub_u32_e32 v28, 29, v55
	v_and_b32_e32 v52, 7, v52
	v_cmp_gt_u32_e64 s[4:5], 8, v51
	v_cndmask_b32_e64 v28, v54, v28, s[4:5]
	v_cndmask_b32_e64 v50, v50, v52, s[4:5]
	v_lshlrev_b32_e32 v26, 16, v26
	v_lshlrev_b32_e32 v50, 20, v50
	v_and_b32_e32 v26, 0x80000000, v26
	v_lshl_add_u32 v28, v28, 23, v38
	v_or3_b32 v50, v26, v28, v50
.LBB351_111:                            ;   in Loop: Header=BB351_14 Depth=1
	s_or_b64 exec, exec, s[50:51]
.LBB351_112:                            ;   in Loop: Header=BB351_14 Depth=1
	s_or_b64 exec, exec, s[48:49]
.LBB351_113:                            ;   in Loop: Header=BB351_14 Depth=1
	s_or_b64 exec, exec, s[46:47]
	v_mul_f32_e32 v26, s64, v50
	v_and_b32_e32 v28, 0x7f800000, v26
	v_cmp_ne_u32_e64 s[4:5], s62, v28
                                        ; implicit-def: $vgpr50
	s_and_saveexec_b64 s[46:47], s[4:5]
	s_xor_b64 s[4:5], exec, s[46:47]
; %bb.114:                              ;   in Loop: Header=BB351_14 Depth=1
	v_bfe_u32 v28, v26, 16, 1
	v_add3_u32 v50, v26, v28, s63
                                        ; implicit-def: $vgpr26
; %bb.115:                              ;   in Loop: Header=BB351_14 Depth=1
	s_andn2_saveexec_b64 s[46:47], s[4:5]
; %bb.116:                              ;   in Loop: Header=BB351_14 Depth=1
	v_or_b32_e32 v28, 0x10000, v26
	v_cmp_eq_u32_sdwa s[4:5], v26, v30 src0_sel:WORD_0 src1_sel:DWORD
	v_cndmask_b32_e64 v50, v28, v26, s[4:5]
; %bb.117:                              ;   in Loop: Header=BB351_14 Depth=1
	s_or_b64 exec, exec, s[46:47]
	global_load_ushort v28, v[24:25], off offset:520
	s_waitcnt vmcnt(0)
	v_and_b32_e32 v26, 0xffff, v28
	v_cmp_ne_u16_sdwa s[4:5], v28, v30 src0_sel:BYTE_0 src1_sel:DWORD
	v_mov_b32_e32 v28, 0
	s_and_saveexec_b64 s[46:47], s[4:5]
	s_cbranch_execz .LBB351_123
; %bb.118:                              ;   in Loop: Header=BB351_14 Depth=1
	v_cmp_ne_u16_sdwa s[4:5], v26, s60 src0_sel:BYTE_0 src1_sel:DWORD
	v_bfrev_b32_e32 v28, 1
	s_and_saveexec_b64 s[48:49], s[4:5]
	s_cbranch_execz .LBB351_122
; %bb.119:                              ;   in Loop: Header=BB351_14 Depth=1
	v_and_b32_e32 v51, 0x7f, v26
	v_cmp_ne_u32_e64 s[4:5], s61, v51
	v_mov_b32_e32 v28, 0x7f800001
	s_and_saveexec_b64 s[50:51], s[4:5]
	s_cbranch_execz .LBB351_121
; %bb.120:                              ;   in Loop: Header=BB351_14 Depth=1
	v_and_b32_e32 v28, 7, v26
	v_ffbh_u32_e32 v52, v28
	v_min_u32_e32 v55, 32, v52
	v_subrev_u32_e32 v52, 28, v55
	v_lshlrev_b64 v[52:53], v52, v[26:27]
	v_lshrrev_b32_e32 v54, 3, v51
	v_sub_u32_e32 v53, 29, v55
	v_and_b32_e32 v52, 7, v52
	v_cmp_gt_u32_e64 s[4:5], 8, v51
	v_cndmask_b32_e64 v51, v54, v53, s[4:5]
	v_cndmask_b32_e64 v28, v28, v52, s[4:5]
	v_lshlrev_b32_e32 v52, 24, v26
	v_lshlrev_b32_e32 v28, 20, v28
	v_and_b32_e32 v52, 0x80000000, v52
	v_lshl_add_u32 v51, v51, 23, v38
	v_or3_b32 v28, v52, v51, v28
.LBB351_121:                            ;   in Loop: Header=BB351_14 Depth=1
	s_or_b64 exec, exec, s[50:51]
.LBB351_122:                            ;   in Loop: Header=BB351_14 Depth=1
	s_or_b64 exec, exec, s[48:49]
.LBB351_123:                            ;   in Loop: Header=BB351_14 Depth=1
	s_or_b64 exec, exec, s[46:47]
	v_mul_f32_e32 v28, s64, v28
	v_and_b32_e32 v51, 0x7f800000, v28
	v_cmp_ne_u32_e64 s[4:5], s62, v51
                                        ; implicit-def: $vgpr51
	s_and_saveexec_b64 s[46:47], s[4:5]
	s_xor_b64 s[4:5], exec, s[46:47]
; %bb.124:                              ;   in Loop: Header=BB351_14 Depth=1
	v_bfe_u32 v51, v28, 16, 1
	v_add3_u32 v51, v28, v51, s63
                                        ; implicit-def: $vgpr28
; %bb.125:                              ;   in Loop: Header=BB351_14 Depth=1
	s_andn2_saveexec_b64 s[46:47], s[4:5]
; %bb.126:                              ;   in Loop: Header=BB351_14 Depth=1
	v_or_b32_e32 v51, 0x10000, v28
	v_cmp_eq_u32_sdwa s[4:5], v28, v30 src0_sel:WORD_0 src1_sel:DWORD
	v_cndmask_b32_e64 v51, v51, v28, s[4:5]
; %bb.127:                              ;   in Loop: Header=BB351_14 Depth=1
	s_or_b64 exec, exec, s[46:47]
	v_lshrrev_b16_e32 v28, 8, v26
	v_cmp_ne_u16_e64 s[4:5], 0, v28
	v_mov_b32_e32 v52, 0
	s_and_saveexec_b64 s[46:47], s[4:5]
	s_cbranch_execz .LBB351_133
; %bb.128:                              ;   in Loop: Header=BB351_14 Depth=1
	v_cmp_ne_u16_e64 s[4:5], s60, v28
	v_bfrev_b32_e32 v52, 1
	s_and_saveexec_b64 s[48:49], s[4:5]
	s_cbranch_execz .LBB351_132
; %bb.129:                              ;   in Loop: Header=BB351_14 Depth=1
	v_and_b32_e32 v53, 0x7f, v28
	v_cmp_ne_u32_e64 s[4:5], s61, v53
	v_mov_b32_e32 v52, 0x7f800001
	s_and_saveexec_b64 s[50:51], s[4:5]
	s_cbranch_execz .LBB351_131
; %bb.130:                              ;   in Loop: Header=BB351_14 Depth=1
	v_and_b32_e32 v52, 7, v28
	v_ffbh_u32_e32 v54, v52
	v_min_u32_e32 v57, 32, v54
	v_subrev_u32_e32 v54, 28, v57
	v_lshlrev_b64 v[54:55], v54, v[28:29]
	v_lshrrev_b32_e32 v56, 3, v53
	v_sub_u32_e32 v28, 29, v57
	v_and_b32_e32 v54, 7, v54
	v_cmp_gt_u32_e64 s[4:5], 8, v53
	v_cndmask_b32_e64 v28, v56, v28, s[4:5]
	v_cndmask_b32_e64 v52, v52, v54, s[4:5]
	v_lshlrev_b32_e32 v26, 16, v26
	v_lshlrev_b32_e32 v52, 20, v52
	v_and_b32_e32 v26, 0x80000000, v26
	v_lshl_add_u32 v28, v28, 23, v38
	v_or3_b32 v52, v26, v28, v52
.LBB351_131:                            ;   in Loop: Header=BB351_14 Depth=1
	s_or_b64 exec, exec, s[50:51]
.LBB351_132:                            ;   in Loop: Header=BB351_14 Depth=1
	s_or_b64 exec, exec, s[48:49]
.LBB351_133:                            ;   in Loop: Header=BB351_14 Depth=1
	s_or_b64 exec, exec, s[46:47]
	v_mul_f32_e32 v26, s64, v52
	v_and_b32_e32 v28, 0x7f800000, v26
	v_cmp_ne_u32_e64 s[4:5], s62, v28
                                        ; implicit-def: $vgpr52
	s_and_saveexec_b64 s[46:47], s[4:5]
	s_xor_b64 s[4:5], exec, s[46:47]
; %bb.134:                              ;   in Loop: Header=BB351_14 Depth=1
	v_bfe_u32 v28, v26, 16, 1
	v_add3_u32 v52, v26, v28, s63
                                        ; implicit-def: $vgpr26
; %bb.135:                              ;   in Loop: Header=BB351_14 Depth=1
	s_andn2_saveexec_b64 s[46:47], s[4:5]
; %bb.136:                              ;   in Loop: Header=BB351_14 Depth=1
	v_or_b32_e32 v28, 0x10000, v26
	v_cmp_eq_u32_sdwa s[4:5], v26, v30 src0_sel:WORD_0 src1_sel:DWORD
	v_cndmask_b32_e64 v52, v28, v26, s[4:5]
; %bb.137:                              ;   in Loop: Header=BB351_14 Depth=1
	s_or_b64 exec, exec, s[46:47]
	global_load_ushort v28, v[24:25], off offset:768
	s_waitcnt vmcnt(0)
	v_and_b32_e32 v26, 0xffff, v28
	v_cmp_ne_u16_sdwa s[4:5], v28, v30 src0_sel:BYTE_0 src1_sel:DWORD
	v_mov_b32_e32 v28, 0
	s_and_saveexec_b64 s[46:47], s[4:5]
	s_cbranch_execz .LBB351_143
; %bb.138:                              ;   in Loop: Header=BB351_14 Depth=1
	v_cmp_ne_u16_sdwa s[4:5], v26, s60 src0_sel:BYTE_0 src1_sel:DWORD
	v_bfrev_b32_e32 v28, 1
	s_and_saveexec_b64 s[48:49], s[4:5]
	s_cbranch_execz .LBB351_142
; %bb.139:                              ;   in Loop: Header=BB351_14 Depth=1
	v_and_b32_e32 v53, 0x7f, v26
	v_cmp_ne_u32_e64 s[4:5], s61, v53
	v_mov_b32_e32 v28, 0x7f800001
	s_and_saveexec_b64 s[50:51], s[4:5]
	s_cbranch_execz .LBB351_141
; %bb.140:                              ;   in Loop: Header=BB351_14 Depth=1
	v_and_b32_e32 v28, 7, v26
	v_ffbh_u32_e32 v54, v28
	v_min_u32_e32 v57, 32, v54
	v_subrev_u32_e32 v54, 28, v57
	v_lshlrev_b64 v[54:55], v54, v[26:27]
	v_lshrrev_b32_e32 v56, 3, v53
	v_sub_u32_e32 v55, 29, v57
	v_and_b32_e32 v54, 7, v54
	v_cmp_gt_u32_e64 s[4:5], 8, v53
	v_cndmask_b32_e64 v53, v56, v55, s[4:5]
	v_cndmask_b32_e64 v28, v28, v54, s[4:5]
	v_lshlrev_b32_e32 v54, 24, v26
	v_lshlrev_b32_e32 v28, 20, v28
	v_and_b32_e32 v54, 0x80000000, v54
	v_lshl_add_u32 v53, v53, 23, v38
	v_or3_b32 v28, v54, v53, v28
.LBB351_141:                            ;   in Loop: Header=BB351_14 Depth=1
	s_or_b64 exec, exec, s[50:51]
.LBB351_142:                            ;   in Loop: Header=BB351_14 Depth=1
	s_or_b64 exec, exec, s[48:49]
.LBB351_143:                            ;   in Loop: Header=BB351_14 Depth=1
	s_or_b64 exec, exec, s[46:47]
	v_mul_f32_e32 v28, s64, v28
	v_and_b32_e32 v53, 0x7f800000, v28
	v_cmp_ne_u32_e64 s[4:5], s62, v53
                                        ; implicit-def: $vgpr53
	s_and_saveexec_b64 s[46:47], s[4:5]
	s_xor_b64 s[4:5], exec, s[46:47]
; %bb.144:                              ;   in Loop: Header=BB351_14 Depth=1
	v_bfe_u32 v53, v28, 16, 1
	v_add3_u32 v53, v28, v53, s63
                                        ; implicit-def: $vgpr28
; %bb.145:                              ;   in Loop: Header=BB351_14 Depth=1
	s_andn2_saveexec_b64 s[46:47], s[4:5]
; %bb.146:                              ;   in Loop: Header=BB351_14 Depth=1
	v_or_b32_e32 v53, 0x10000, v28
	v_cmp_eq_u32_sdwa s[4:5], v28, v30 src0_sel:WORD_0 src1_sel:DWORD
	v_cndmask_b32_e64 v53, v53, v28, s[4:5]
; %bb.147:                              ;   in Loop: Header=BB351_14 Depth=1
	s_or_b64 exec, exec, s[46:47]
	v_lshrrev_b16_e32 v28, 8, v26
	v_cmp_ne_u16_e64 s[4:5], 0, v28
	v_mov_b32_e32 v54, 0
	s_and_saveexec_b64 s[46:47], s[4:5]
	s_cbranch_execz .LBB351_153
; %bb.148:                              ;   in Loop: Header=BB351_14 Depth=1
	v_cmp_ne_u16_e64 s[4:5], s60, v28
	v_bfrev_b32_e32 v54, 1
	s_and_saveexec_b64 s[48:49], s[4:5]
	s_cbranch_execz .LBB351_152
; %bb.149:                              ;   in Loop: Header=BB351_14 Depth=1
	v_and_b32_e32 v55, 0x7f, v28
	v_cmp_ne_u32_e64 s[4:5], s61, v55
	v_mov_b32_e32 v54, 0x7f800001
	s_and_saveexec_b64 s[50:51], s[4:5]
	s_cbranch_execz .LBB351_151
; %bb.150:                              ;   in Loop: Header=BB351_14 Depth=1
	v_and_b32_e32 v54, 7, v28
	v_ffbh_u32_e32 v56, v54
	v_min_u32_e32 v59, 32, v56
	v_subrev_u32_e32 v56, 28, v59
	v_lshlrev_b64 v[56:57], v56, v[28:29]
	v_lshrrev_b32_e32 v58, 3, v55
	v_sub_u32_e32 v28, 29, v59
	v_and_b32_e32 v56, 7, v56
	v_cmp_gt_u32_e64 s[4:5], 8, v55
	v_cndmask_b32_e64 v28, v58, v28, s[4:5]
	v_cndmask_b32_e64 v54, v54, v56, s[4:5]
	v_lshlrev_b32_e32 v26, 16, v26
	v_lshlrev_b32_e32 v54, 20, v54
	v_and_b32_e32 v26, 0x80000000, v26
	v_lshl_add_u32 v28, v28, 23, v38
	v_or3_b32 v54, v26, v28, v54
.LBB351_151:                            ;   in Loop: Header=BB351_14 Depth=1
	s_or_b64 exec, exec, s[50:51]
.LBB351_152:                            ;   in Loop: Header=BB351_14 Depth=1
	s_or_b64 exec, exec, s[48:49]
.LBB351_153:                            ;   in Loop: Header=BB351_14 Depth=1
	s_or_b64 exec, exec, s[46:47]
	v_mul_f32_e32 v26, s64, v54
	v_and_b32_e32 v28, 0x7f800000, v26
	v_cmp_ne_u32_e64 s[4:5], s62, v28
                                        ; implicit-def: $vgpr54
	s_and_saveexec_b64 s[46:47], s[4:5]
	s_xor_b64 s[4:5], exec, s[46:47]
; %bb.154:                              ;   in Loop: Header=BB351_14 Depth=1
	v_bfe_u32 v28, v26, 16, 1
	v_add3_u32 v54, v26, v28, s63
                                        ; implicit-def: $vgpr26
; %bb.155:                              ;   in Loop: Header=BB351_14 Depth=1
	s_andn2_saveexec_b64 s[46:47], s[4:5]
; %bb.156:                              ;   in Loop: Header=BB351_14 Depth=1
	v_or_b32_e32 v28, 0x10000, v26
	v_cmp_eq_u32_sdwa s[4:5], v26, v30 src0_sel:WORD_0 src1_sel:DWORD
	v_cndmask_b32_e64 v54, v28, v26, s[4:5]
; %bb.157:                              ;   in Loop: Header=BB351_14 Depth=1
	s_or_b64 exec, exec, s[46:47]
	global_load_ushort v28, v[24:25], off offset:776
	s_waitcnt vmcnt(0)
	v_and_b32_e32 v26, 0xffff, v28
	v_cmp_ne_u16_sdwa s[4:5], v28, v30 src0_sel:BYTE_0 src1_sel:DWORD
	v_mov_b32_e32 v28, 0
	s_and_saveexec_b64 s[46:47], s[4:5]
	s_cbranch_execz .LBB351_163
; %bb.158:                              ;   in Loop: Header=BB351_14 Depth=1
	v_cmp_ne_u16_sdwa s[4:5], v26, s60 src0_sel:BYTE_0 src1_sel:DWORD
	v_bfrev_b32_e32 v28, 1
	s_and_saveexec_b64 s[48:49], s[4:5]
	s_cbranch_execz .LBB351_162
; %bb.159:                              ;   in Loop: Header=BB351_14 Depth=1
	v_and_b32_e32 v55, 0x7f, v26
	v_cmp_ne_u32_e64 s[4:5], s61, v55
	v_mov_b32_e32 v28, 0x7f800001
	s_and_saveexec_b64 s[50:51], s[4:5]
	s_cbranch_execz .LBB351_161
; %bb.160:                              ;   in Loop: Header=BB351_14 Depth=1
	v_and_b32_e32 v28, 7, v26
	v_ffbh_u32_e32 v56, v28
	v_min_u32_e32 v59, 32, v56
	v_subrev_u32_e32 v56, 28, v59
	v_lshlrev_b64 v[56:57], v56, v[26:27]
	v_lshrrev_b32_e32 v58, 3, v55
	v_sub_u32_e32 v57, 29, v59
	v_and_b32_e32 v56, 7, v56
	v_cmp_gt_u32_e64 s[4:5], 8, v55
	v_cndmask_b32_e64 v55, v58, v57, s[4:5]
	v_cndmask_b32_e64 v28, v28, v56, s[4:5]
	v_lshlrev_b32_e32 v56, 24, v26
	v_lshlrev_b32_e32 v28, 20, v28
	v_and_b32_e32 v56, 0x80000000, v56
	v_lshl_add_u32 v55, v55, 23, v38
	v_or3_b32 v28, v56, v55, v28
.LBB351_161:                            ;   in Loop: Header=BB351_14 Depth=1
	s_or_b64 exec, exec, s[50:51]
.LBB351_162:                            ;   in Loop: Header=BB351_14 Depth=1
	s_or_b64 exec, exec, s[48:49]
.LBB351_163:                            ;   in Loop: Header=BB351_14 Depth=1
	s_or_b64 exec, exec, s[46:47]
	v_mul_f32_e32 v28, s64, v28
	v_and_b32_e32 v55, 0x7f800000, v28
	v_cmp_ne_u32_e64 s[4:5], s62, v55
                                        ; implicit-def: $vgpr55
	s_and_saveexec_b64 s[46:47], s[4:5]
	s_xor_b64 s[4:5], exec, s[46:47]
; %bb.164:                              ;   in Loop: Header=BB351_14 Depth=1
	v_bfe_u32 v55, v28, 16, 1
	v_add3_u32 v55, v28, v55, s63
                                        ; implicit-def: $vgpr28
; %bb.165:                              ;   in Loop: Header=BB351_14 Depth=1
	s_andn2_saveexec_b64 s[46:47], s[4:5]
; %bb.166:                              ;   in Loop: Header=BB351_14 Depth=1
	v_or_b32_e32 v55, 0x10000, v28
	v_cmp_eq_u32_sdwa s[4:5], v28, v30 src0_sel:WORD_0 src1_sel:DWORD
	v_cndmask_b32_e64 v55, v55, v28, s[4:5]
; %bb.167:                              ;   in Loop: Header=BB351_14 Depth=1
	s_or_b64 exec, exec, s[46:47]
	v_lshrrev_b16_e32 v28, 8, v26
	v_cmp_ne_u16_e64 s[4:5], 0, v28
	v_mov_b32_e32 v56, 0
	s_and_saveexec_b64 s[46:47], s[4:5]
	s_cbranch_execz .LBB351_173
; %bb.168:                              ;   in Loop: Header=BB351_14 Depth=1
	v_cmp_ne_u16_e64 s[4:5], s60, v28
	v_bfrev_b32_e32 v56, 1
	s_and_saveexec_b64 s[48:49], s[4:5]
	s_cbranch_execz .LBB351_172
; %bb.169:                              ;   in Loop: Header=BB351_14 Depth=1
	v_and_b32_e32 v57, 0x7f, v28
	v_cmp_ne_u32_e64 s[4:5], s61, v57
	v_mov_b32_e32 v56, 0x7f800001
	s_and_saveexec_b64 s[50:51], s[4:5]
	s_cbranch_execz .LBB351_171
; %bb.170:                              ;   in Loop: Header=BB351_14 Depth=1
	v_and_b32_e32 v56, 7, v28
	v_ffbh_u32_e32 v58, v56
	v_min_u32_e32 v61, 32, v58
	v_subrev_u32_e32 v58, 28, v61
	v_lshlrev_b64 v[58:59], v58, v[28:29]
	v_lshrrev_b32_e32 v60, 3, v57
	v_sub_u32_e32 v28, 29, v61
	v_and_b32_e32 v58, 7, v58
	v_cmp_gt_u32_e64 s[4:5], 8, v57
	v_cndmask_b32_e64 v28, v60, v28, s[4:5]
	v_cndmask_b32_e64 v56, v56, v58, s[4:5]
	v_lshlrev_b32_e32 v26, 16, v26
	v_lshlrev_b32_e32 v56, 20, v56
	v_and_b32_e32 v26, 0x80000000, v26
	v_lshl_add_u32 v28, v28, 23, v38
	v_or3_b32 v56, v26, v28, v56
.LBB351_171:                            ;   in Loop: Header=BB351_14 Depth=1
	s_or_b64 exec, exec, s[50:51]
.LBB351_172:                            ;   in Loop: Header=BB351_14 Depth=1
	s_or_b64 exec, exec, s[48:49]
.LBB351_173:                            ;   in Loop: Header=BB351_14 Depth=1
	s_or_b64 exec, exec, s[46:47]
	v_mul_f32_e32 v26, s64, v56
	v_and_b32_e32 v28, 0x7f800000, v26
	v_cmp_ne_u32_e64 s[4:5], s62, v28
                                        ; implicit-def: $vgpr56
	s_and_saveexec_b64 s[46:47], s[4:5]
	s_xor_b64 s[4:5], exec, s[46:47]
; %bb.174:                              ;   in Loop: Header=BB351_14 Depth=1
	v_bfe_u32 v28, v26, 16, 1
	v_add3_u32 v56, v26, v28, s63
                                        ; implicit-def: $vgpr26
; %bb.175:                              ;   in Loop: Header=BB351_14 Depth=1
	s_andn2_saveexec_b64 s[46:47], s[4:5]
; %bb.176:                              ;   in Loop: Header=BB351_14 Depth=1
	v_or_b32_e32 v28, 0x10000, v26
	v_cmp_eq_u32_sdwa s[4:5], v26, v30 src0_sel:WORD_0 src1_sel:DWORD
	v_cndmask_b32_e64 v56, v28, v26, s[4:5]
; %bb.177:                              ;   in Loop: Header=BB351_14 Depth=1
	s_or_b64 exec, exec, s[46:47]
	global_load_ushort v28, v[24:25], off offset:1024
	s_waitcnt vmcnt(0)
	v_and_b32_e32 v26, 0xffff, v28
	v_cmp_ne_u16_sdwa s[4:5], v28, v30 src0_sel:BYTE_0 src1_sel:DWORD
	v_mov_b32_e32 v28, 0
	s_and_saveexec_b64 s[46:47], s[4:5]
	s_cbranch_execz .LBB351_183
; %bb.178:                              ;   in Loop: Header=BB351_14 Depth=1
	v_cmp_ne_u16_sdwa s[4:5], v26, s60 src0_sel:BYTE_0 src1_sel:DWORD
	v_bfrev_b32_e32 v28, 1
	s_and_saveexec_b64 s[48:49], s[4:5]
	s_cbranch_execz .LBB351_182
; %bb.179:                              ;   in Loop: Header=BB351_14 Depth=1
	v_and_b32_e32 v57, 0x7f, v26
	v_cmp_ne_u32_e64 s[4:5], s61, v57
	v_mov_b32_e32 v28, 0x7f800001
	s_and_saveexec_b64 s[50:51], s[4:5]
	s_cbranch_execz .LBB351_181
; %bb.180:                              ;   in Loop: Header=BB351_14 Depth=1
	v_and_b32_e32 v28, 7, v26
	v_ffbh_u32_e32 v58, v28
	v_min_u32_e32 v61, 32, v58
	v_subrev_u32_e32 v58, 28, v61
	v_lshlrev_b64 v[58:59], v58, v[26:27]
	v_lshrrev_b32_e32 v60, 3, v57
	v_sub_u32_e32 v59, 29, v61
	v_and_b32_e32 v58, 7, v58
	v_cmp_gt_u32_e64 s[4:5], 8, v57
	v_cndmask_b32_e64 v57, v60, v59, s[4:5]
	v_cndmask_b32_e64 v28, v28, v58, s[4:5]
	v_lshlrev_b32_e32 v58, 24, v26
	v_lshlrev_b32_e32 v28, 20, v28
	v_and_b32_e32 v58, 0x80000000, v58
	v_lshl_add_u32 v57, v57, 23, v38
	v_or3_b32 v28, v58, v57, v28
.LBB351_181:                            ;   in Loop: Header=BB351_14 Depth=1
	s_or_b64 exec, exec, s[50:51]
.LBB351_182:                            ;   in Loop: Header=BB351_14 Depth=1
	s_or_b64 exec, exec, s[48:49]
.LBB351_183:                            ;   in Loop: Header=BB351_14 Depth=1
	s_or_b64 exec, exec, s[46:47]
	v_mul_f32_e32 v28, s64, v28
	v_and_b32_e32 v57, 0x7f800000, v28
	v_cmp_ne_u32_e64 s[4:5], s62, v57
                                        ; implicit-def: $vgpr57
	s_and_saveexec_b64 s[46:47], s[4:5]
	s_xor_b64 s[4:5], exec, s[46:47]
; %bb.184:                              ;   in Loop: Header=BB351_14 Depth=1
	v_bfe_u32 v57, v28, 16, 1
	v_add3_u32 v57, v28, v57, s63
                                        ; implicit-def: $vgpr28
; %bb.185:                              ;   in Loop: Header=BB351_14 Depth=1
	s_andn2_saveexec_b64 s[46:47], s[4:5]
; %bb.186:                              ;   in Loop: Header=BB351_14 Depth=1
	v_or_b32_e32 v57, 0x10000, v28
	v_cmp_eq_u32_sdwa s[4:5], v28, v30 src0_sel:WORD_0 src1_sel:DWORD
	v_cndmask_b32_e64 v57, v57, v28, s[4:5]
; %bb.187:                              ;   in Loop: Header=BB351_14 Depth=1
	s_or_b64 exec, exec, s[46:47]
	v_lshrrev_b16_e32 v28, 8, v26
	v_cmp_ne_u16_e64 s[4:5], 0, v28
	v_mov_b32_e32 v58, 0
	s_and_saveexec_b64 s[46:47], s[4:5]
	s_cbranch_execz .LBB351_193
; %bb.188:                              ;   in Loop: Header=BB351_14 Depth=1
	v_cmp_ne_u16_e64 s[4:5], s60, v28
	v_bfrev_b32_e32 v58, 1
	s_and_saveexec_b64 s[48:49], s[4:5]
	s_cbranch_execz .LBB351_192
; %bb.189:                              ;   in Loop: Header=BB351_14 Depth=1
	v_and_b32_e32 v59, 0x7f, v28
	v_cmp_ne_u32_e64 s[4:5], s61, v59
	v_mov_b32_e32 v58, 0x7f800001
	s_and_saveexec_b64 s[50:51], s[4:5]
	s_cbranch_execz .LBB351_191
; %bb.190:                              ;   in Loop: Header=BB351_14 Depth=1
	v_and_b32_e32 v58, 7, v28
	v_ffbh_u32_e32 v60, v58
	v_min_u32_e32 v63, 32, v60
	v_subrev_u32_e32 v60, 28, v63
	v_lshlrev_b64 v[60:61], v60, v[28:29]
	v_lshrrev_b32_e32 v62, 3, v59
	v_sub_u32_e32 v28, 29, v63
	v_and_b32_e32 v60, 7, v60
	v_cmp_gt_u32_e64 s[4:5], 8, v59
	v_cndmask_b32_e64 v28, v62, v28, s[4:5]
	v_cndmask_b32_e64 v58, v58, v60, s[4:5]
	v_lshlrev_b32_e32 v26, 16, v26
	v_lshlrev_b32_e32 v58, 20, v58
	v_and_b32_e32 v26, 0x80000000, v26
	v_lshl_add_u32 v28, v28, 23, v38
	v_or3_b32 v58, v26, v28, v58
.LBB351_191:                            ;   in Loop: Header=BB351_14 Depth=1
	s_or_b64 exec, exec, s[50:51]
.LBB351_192:                            ;   in Loop: Header=BB351_14 Depth=1
	s_or_b64 exec, exec, s[48:49]
.LBB351_193:                            ;   in Loop: Header=BB351_14 Depth=1
	s_or_b64 exec, exec, s[46:47]
	v_mul_f32_e32 v26, s64, v58
	v_and_b32_e32 v28, 0x7f800000, v26
	v_cmp_ne_u32_e64 s[4:5], s62, v28
                                        ; implicit-def: $vgpr58
	s_and_saveexec_b64 s[46:47], s[4:5]
	s_xor_b64 s[4:5], exec, s[46:47]
; %bb.194:                              ;   in Loop: Header=BB351_14 Depth=1
	v_bfe_u32 v28, v26, 16, 1
	v_add3_u32 v58, v26, v28, s63
                                        ; implicit-def: $vgpr26
; %bb.195:                              ;   in Loop: Header=BB351_14 Depth=1
	s_andn2_saveexec_b64 s[46:47], s[4:5]
; %bb.196:                              ;   in Loop: Header=BB351_14 Depth=1
	v_or_b32_e32 v28, 0x10000, v26
	v_cmp_eq_u32_sdwa s[4:5], v26, v30 src0_sel:WORD_0 src1_sel:DWORD
	v_cndmask_b32_e64 v58, v28, v26, s[4:5]
; %bb.197:                              ;   in Loop: Header=BB351_14 Depth=1
	s_or_b64 exec, exec, s[46:47]
	global_load_ushort v28, v[24:25], off offset:1032
	s_waitcnt vmcnt(0)
	v_and_b32_e32 v26, 0xffff, v28
	v_cmp_ne_u16_sdwa s[4:5], v28, v30 src0_sel:BYTE_0 src1_sel:DWORD
	v_mov_b32_e32 v28, 0
	s_and_saveexec_b64 s[46:47], s[4:5]
	s_cbranch_execz .LBB351_203
; %bb.198:                              ;   in Loop: Header=BB351_14 Depth=1
	v_cmp_ne_u16_sdwa s[4:5], v26, s60 src0_sel:BYTE_0 src1_sel:DWORD
	v_bfrev_b32_e32 v28, 1
	s_and_saveexec_b64 s[48:49], s[4:5]
	s_cbranch_execz .LBB351_202
; %bb.199:                              ;   in Loop: Header=BB351_14 Depth=1
	v_and_b32_e32 v59, 0x7f, v26
	v_cmp_ne_u32_e64 s[4:5], s61, v59
	v_mov_b32_e32 v28, 0x7f800001
	s_and_saveexec_b64 s[50:51], s[4:5]
	s_cbranch_execz .LBB351_201
; %bb.200:                              ;   in Loop: Header=BB351_14 Depth=1
	v_and_b32_e32 v28, 7, v26
	v_ffbh_u32_e32 v60, v28
	v_min_u32_e32 v63, 32, v60
	v_subrev_u32_e32 v60, 28, v63
	v_lshlrev_b64 v[60:61], v60, v[26:27]
	v_lshrrev_b32_e32 v62, 3, v59
	v_sub_u32_e32 v61, 29, v63
	v_and_b32_e32 v60, 7, v60
	v_cmp_gt_u32_e64 s[4:5], 8, v59
	v_cndmask_b32_e64 v59, v62, v61, s[4:5]
	v_cndmask_b32_e64 v28, v28, v60, s[4:5]
	v_lshlrev_b32_e32 v60, 24, v26
	v_lshlrev_b32_e32 v28, 20, v28
	v_and_b32_e32 v60, 0x80000000, v60
	v_lshl_add_u32 v59, v59, 23, v38
	v_or3_b32 v28, v60, v59, v28
.LBB351_201:                            ;   in Loop: Header=BB351_14 Depth=1
	s_or_b64 exec, exec, s[50:51]
.LBB351_202:                            ;   in Loop: Header=BB351_14 Depth=1
	s_or_b64 exec, exec, s[48:49]
.LBB351_203:                            ;   in Loop: Header=BB351_14 Depth=1
	s_or_b64 exec, exec, s[46:47]
	v_mul_f32_e32 v28, s64, v28
	v_and_b32_e32 v59, 0x7f800000, v28
	v_cmp_ne_u32_e64 s[4:5], s62, v59
                                        ; implicit-def: $vgpr59
	s_and_saveexec_b64 s[46:47], s[4:5]
	s_xor_b64 s[4:5], exec, s[46:47]
; %bb.204:                              ;   in Loop: Header=BB351_14 Depth=1
	v_bfe_u32 v59, v28, 16, 1
	v_add3_u32 v59, v28, v59, s63
                                        ; implicit-def: $vgpr28
; %bb.205:                              ;   in Loop: Header=BB351_14 Depth=1
	s_andn2_saveexec_b64 s[46:47], s[4:5]
; %bb.206:                              ;   in Loop: Header=BB351_14 Depth=1
	v_or_b32_e32 v59, 0x10000, v28
	v_cmp_eq_u32_sdwa s[4:5], v28, v30 src0_sel:WORD_0 src1_sel:DWORD
	v_cndmask_b32_e64 v59, v59, v28, s[4:5]
; %bb.207:                              ;   in Loop: Header=BB351_14 Depth=1
	s_or_b64 exec, exec, s[46:47]
	v_lshrrev_b16_e32 v28, 8, v26
	v_cmp_ne_u16_e64 s[4:5], 0, v28
	v_mov_b32_e32 v60, 0
	s_and_saveexec_b64 s[46:47], s[4:5]
	s_cbranch_execz .LBB351_213
; %bb.208:                              ;   in Loop: Header=BB351_14 Depth=1
	v_cmp_ne_u16_e64 s[4:5], s60, v28
	v_bfrev_b32_e32 v60, 1
	s_and_saveexec_b64 s[48:49], s[4:5]
	s_cbranch_execz .LBB351_212
; %bb.209:                              ;   in Loop: Header=BB351_14 Depth=1
	v_and_b32_e32 v61, 0x7f, v28
	v_cmp_ne_u32_e64 s[4:5], s61, v61
	v_mov_b32_e32 v60, 0x7f800001
	s_and_saveexec_b64 s[50:51], s[4:5]
	s_cbranch_execz .LBB351_211
; %bb.210:                              ;   in Loop: Header=BB351_14 Depth=1
	v_and_b32_e32 v60, 7, v28
	v_ffbh_u32_e32 v62, v60
	v_min_u32_e32 v65, 32, v62
	v_subrev_u32_e32 v62, 28, v65
	v_lshlrev_b64 v[62:63], v62, v[28:29]
	v_lshrrev_b32_e32 v64, 3, v61
	v_sub_u32_e32 v28, 29, v65
	v_and_b32_e32 v62, 7, v62
	v_cmp_gt_u32_e64 s[4:5], 8, v61
	v_cndmask_b32_e64 v28, v64, v28, s[4:5]
	v_cndmask_b32_e64 v60, v60, v62, s[4:5]
	v_lshlrev_b32_e32 v26, 16, v26
	v_lshlrev_b32_e32 v60, 20, v60
	v_and_b32_e32 v26, 0x80000000, v26
	v_lshl_add_u32 v28, v28, 23, v38
	v_or3_b32 v60, v26, v28, v60
.LBB351_211:                            ;   in Loop: Header=BB351_14 Depth=1
	s_or_b64 exec, exec, s[50:51]
.LBB351_212:                            ;   in Loop: Header=BB351_14 Depth=1
	s_or_b64 exec, exec, s[48:49]
.LBB351_213:                            ;   in Loop: Header=BB351_14 Depth=1
	s_or_b64 exec, exec, s[46:47]
	v_mul_f32_e32 v26, s64, v60
	v_and_b32_e32 v28, 0x7f800000, v26
	v_cmp_ne_u32_e64 s[4:5], s62, v28
                                        ; implicit-def: $vgpr60
	s_and_saveexec_b64 s[46:47], s[4:5]
	s_xor_b64 s[4:5], exec, s[46:47]
; %bb.214:                              ;   in Loop: Header=BB351_14 Depth=1
	v_bfe_u32 v28, v26, 16, 1
	v_add3_u32 v60, v26, v28, s63
                                        ; implicit-def: $vgpr26
; %bb.215:                              ;   in Loop: Header=BB351_14 Depth=1
	s_andn2_saveexec_b64 s[46:47], s[4:5]
; %bb.216:                              ;   in Loop: Header=BB351_14 Depth=1
	v_or_b32_e32 v28, 0x10000, v26
	v_cmp_eq_u32_sdwa s[4:5], v26, v30 src0_sel:WORD_0 src1_sel:DWORD
	v_cndmask_b32_e64 v60, v28, v26, s[4:5]
; %bb.217:                              ;   in Loop: Header=BB351_14 Depth=1
	s_or_b64 exec, exec, s[46:47]
	global_load_ushort v28, v[24:25], off offset:1280
	s_waitcnt vmcnt(0)
	v_and_b32_e32 v26, 0xffff, v28
	v_cmp_ne_u16_sdwa s[4:5], v28, v30 src0_sel:BYTE_0 src1_sel:DWORD
	v_mov_b32_e32 v28, 0
	s_and_saveexec_b64 s[46:47], s[4:5]
	s_cbranch_execz .LBB351_223
; %bb.218:                              ;   in Loop: Header=BB351_14 Depth=1
	v_cmp_ne_u16_sdwa s[4:5], v26, s60 src0_sel:BYTE_0 src1_sel:DWORD
	v_bfrev_b32_e32 v28, 1
	s_and_saveexec_b64 s[48:49], s[4:5]
	s_cbranch_execz .LBB351_222
; %bb.219:                              ;   in Loop: Header=BB351_14 Depth=1
	v_and_b32_e32 v61, 0x7f, v26
	v_cmp_ne_u32_e64 s[4:5], s61, v61
	v_mov_b32_e32 v28, 0x7f800001
	s_and_saveexec_b64 s[50:51], s[4:5]
	s_cbranch_execz .LBB351_221
; %bb.220:                              ;   in Loop: Header=BB351_14 Depth=1
	v_and_b32_e32 v28, 7, v26
	v_ffbh_u32_e32 v62, v28
	v_min_u32_e32 v65, 32, v62
	v_subrev_u32_e32 v62, 28, v65
	v_lshlrev_b64 v[62:63], v62, v[26:27]
	v_lshrrev_b32_e32 v64, 3, v61
	v_sub_u32_e32 v63, 29, v65
	v_and_b32_e32 v62, 7, v62
	v_cmp_gt_u32_e64 s[4:5], 8, v61
	v_cndmask_b32_e64 v61, v64, v63, s[4:5]
	v_cndmask_b32_e64 v28, v28, v62, s[4:5]
	v_lshlrev_b32_e32 v62, 24, v26
	v_lshlrev_b32_e32 v28, 20, v28
	v_and_b32_e32 v62, 0x80000000, v62
	v_lshl_add_u32 v61, v61, 23, v38
	v_or3_b32 v28, v62, v61, v28
.LBB351_221:                            ;   in Loop: Header=BB351_14 Depth=1
	s_or_b64 exec, exec, s[50:51]
.LBB351_222:                            ;   in Loop: Header=BB351_14 Depth=1
	s_or_b64 exec, exec, s[48:49]
.LBB351_223:                            ;   in Loop: Header=BB351_14 Depth=1
	s_or_b64 exec, exec, s[46:47]
	v_mul_f32_e32 v28, s64, v28
	v_and_b32_e32 v61, 0x7f800000, v28
	v_cmp_ne_u32_e64 s[4:5], s62, v61
                                        ; implicit-def: $vgpr61
	s_and_saveexec_b64 s[46:47], s[4:5]
	s_xor_b64 s[4:5], exec, s[46:47]
; %bb.224:                              ;   in Loop: Header=BB351_14 Depth=1
	v_bfe_u32 v61, v28, 16, 1
	v_add3_u32 v61, v28, v61, s63
                                        ; implicit-def: $vgpr28
; %bb.225:                              ;   in Loop: Header=BB351_14 Depth=1
	s_andn2_saveexec_b64 s[46:47], s[4:5]
; %bb.226:                              ;   in Loop: Header=BB351_14 Depth=1
	v_or_b32_e32 v61, 0x10000, v28
	v_cmp_eq_u32_sdwa s[4:5], v28, v30 src0_sel:WORD_0 src1_sel:DWORD
	v_cndmask_b32_e64 v61, v61, v28, s[4:5]
; %bb.227:                              ;   in Loop: Header=BB351_14 Depth=1
	s_or_b64 exec, exec, s[46:47]
	v_lshrrev_b16_e32 v28, 8, v26
	v_cmp_ne_u16_e64 s[4:5], 0, v28
	v_mov_b32_e32 v62, 0
	s_and_saveexec_b64 s[46:47], s[4:5]
	s_cbranch_execz .LBB351_233
; %bb.228:                              ;   in Loop: Header=BB351_14 Depth=1
	v_cmp_ne_u16_e64 s[4:5], s60, v28
	v_bfrev_b32_e32 v62, 1
	s_and_saveexec_b64 s[48:49], s[4:5]
	s_cbranch_execz .LBB351_232
; %bb.229:                              ;   in Loop: Header=BB351_14 Depth=1
	v_and_b32_e32 v63, 0x7f, v28
	v_cmp_ne_u32_e64 s[4:5], s61, v63
	v_mov_b32_e32 v62, 0x7f800001
	s_and_saveexec_b64 s[50:51], s[4:5]
	s_cbranch_execz .LBB351_231
; %bb.230:                              ;   in Loop: Header=BB351_14 Depth=1
	v_and_b32_e32 v62, 7, v28
	v_ffbh_u32_e32 v64, v62
	v_min_u32_e32 v67, 32, v64
	v_subrev_u32_e32 v64, 28, v67
	v_lshlrev_b64 v[64:65], v64, v[28:29]
	v_lshrrev_b32_e32 v66, 3, v63
	v_sub_u32_e32 v28, 29, v67
	v_and_b32_e32 v64, 7, v64
	v_cmp_gt_u32_e64 s[4:5], 8, v63
	v_cndmask_b32_e64 v28, v66, v28, s[4:5]
	v_cndmask_b32_e64 v62, v62, v64, s[4:5]
	v_lshlrev_b32_e32 v26, 16, v26
	v_lshlrev_b32_e32 v62, 20, v62
	v_and_b32_e32 v26, 0x80000000, v26
	v_lshl_add_u32 v28, v28, 23, v38
	v_or3_b32 v62, v26, v28, v62
.LBB351_231:                            ;   in Loop: Header=BB351_14 Depth=1
	s_or_b64 exec, exec, s[50:51]
.LBB351_232:                            ;   in Loop: Header=BB351_14 Depth=1
	s_or_b64 exec, exec, s[48:49]
.LBB351_233:                            ;   in Loop: Header=BB351_14 Depth=1
	s_or_b64 exec, exec, s[46:47]
	v_mul_f32_e32 v26, s64, v62
	v_and_b32_e32 v28, 0x7f800000, v26
	v_cmp_ne_u32_e64 s[4:5], s62, v28
                                        ; implicit-def: $vgpr62
	s_and_saveexec_b64 s[46:47], s[4:5]
	s_xor_b64 s[4:5], exec, s[46:47]
; %bb.234:                              ;   in Loop: Header=BB351_14 Depth=1
	v_bfe_u32 v28, v26, 16, 1
	v_add3_u32 v62, v26, v28, s63
                                        ; implicit-def: $vgpr26
; %bb.235:                              ;   in Loop: Header=BB351_14 Depth=1
	s_andn2_saveexec_b64 s[46:47], s[4:5]
; %bb.236:                              ;   in Loop: Header=BB351_14 Depth=1
	v_or_b32_e32 v28, 0x10000, v26
	v_cmp_eq_u32_sdwa s[4:5], v26, v30 src0_sel:WORD_0 src1_sel:DWORD
	v_cndmask_b32_e64 v62, v28, v26, s[4:5]
; %bb.237:                              ;   in Loop: Header=BB351_14 Depth=1
	s_or_b64 exec, exec, s[46:47]
	global_load_ushort v28, v[24:25], off offset:1288
	s_waitcnt vmcnt(0)
	v_and_b32_e32 v26, 0xffff, v28
	v_cmp_ne_u16_sdwa s[4:5], v28, v30 src0_sel:BYTE_0 src1_sel:DWORD
	v_mov_b32_e32 v28, 0
	s_and_saveexec_b64 s[46:47], s[4:5]
	s_cbranch_execz .LBB351_243
; %bb.238:                              ;   in Loop: Header=BB351_14 Depth=1
	v_cmp_ne_u16_sdwa s[4:5], v26, s60 src0_sel:BYTE_0 src1_sel:DWORD
	v_bfrev_b32_e32 v28, 1
	s_and_saveexec_b64 s[48:49], s[4:5]
	s_cbranch_execz .LBB351_242
; %bb.239:                              ;   in Loop: Header=BB351_14 Depth=1
	v_and_b32_e32 v63, 0x7f, v26
	v_cmp_ne_u32_e64 s[4:5], s61, v63
	v_mov_b32_e32 v28, 0x7f800001
	s_and_saveexec_b64 s[50:51], s[4:5]
	s_cbranch_execz .LBB351_241
; %bb.240:                              ;   in Loop: Header=BB351_14 Depth=1
	v_and_b32_e32 v28, 7, v26
	v_ffbh_u32_e32 v64, v28
	v_min_u32_e32 v67, 32, v64
	v_subrev_u32_e32 v64, 28, v67
	v_lshlrev_b64 v[64:65], v64, v[26:27]
	v_lshrrev_b32_e32 v66, 3, v63
	v_sub_u32_e32 v65, 29, v67
	v_and_b32_e32 v64, 7, v64
	v_cmp_gt_u32_e64 s[4:5], 8, v63
	v_cndmask_b32_e64 v63, v66, v65, s[4:5]
	v_cndmask_b32_e64 v28, v28, v64, s[4:5]
	v_lshlrev_b32_e32 v64, 24, v26
	v_lshlrev_b32_e32 v28, 20, v28
	v_and_b32_e32 v64, 0x80000000, v64
	v_lshl_add_u32 v63, v63, 23, v38
	v_or3_b32 v28, v64, v63, v28
.LBB351_241:                            ;   in Loop: Header=BB351_14 Depth=1
	s_or_b64 exec, exec, s[50:51]
.LBB351_242:                            ;   in Loop: Header=BB351_14 Depth=1
	s_or_b64 exec, exec, s[48:49]
.LBB351_243:                            ;   in Loop: Header=BB351_14 Depth=1
	s_or_b64 exec, exec, s[46:47]
	v_mul_f32_e32 v28, s64, v28
	v_and_b32_e32 v63, 0x7f800000, v28
	v_cmp_ne_u32_e64 s[4:5], s62, v63
                                        ; implicit-def: $vgpr63
	s_and_saveexec_b64 s[46:47], s[4:5]
	s_xor_b64 s[4:5], exec, s[46:47]
; %bb.244:                              ;   in Loop: Header=BB351_14 Depth=1
	v_bfe_u32 v63, v28, 16, 1
	v_add3_u32 v63, v28, v63, s63
                                        ; implicit-def: $vgpr28
; %bb.245:                              ;   in Loop: Header=BB351_14 Depth=1
	s_andn2_saveexec_b64 s[46:47], s[4:5]
; %bb.246:                              ;   in Loop: Header=BB351_14 Depth=1
	v_or_b32_e32 v63, 0x10000, v28
	v_cmp_eq_u32_sdwa s[4:5], v28, v30 src0_sel:WORD_0 src1_sel:DWORD
	v_cndmask_b32_e64 v63, v63, v28, s[4:5]
; %bb.247:                              ;   in Loop: Header=BB351_14 Depth=1
	s_or_b64 exec, exec, s[46:47]
	v_lshrrev_b16_e32 v28, 8, v26
	v_cmp_ne_u16_e64 s[4:5], 0, v28
	v_mov_b32_e32 v64, 0
	s_and_saveexec_b64 s[46:47], s[4:5]
	s_cbranch_execz .LBB351_253
; %bb.248:                              ;   in Loop: Header=BB351_14 Depth=1
	v_cmp_ne_u16_e64 s[4:5], s60, v28
	v_bfrev_b32_e32 v64, 1
	s_and_saveexec_b64 s[48:49], s[4:5]
	s_cbranch_execz .LBB351_252
; %bb.249:                              ;   in Loop: Header=BB351_14 Depth=1
	v_and_b32_e32 v65, 0x7f, v28
	v_cmp_ne_u32_e64 s[4:5], s61, v65
	v_mov_b32_e32 v64, 0x7f800001
	s_and_saveexec_b64 s[50:51], s[4:5]
	s_cbranch_execz .LBB351_251
; %bb.250:                              ;   in Loop: Header=BB351_14 Depth=1
	v_and_b32_e32 v64, 7, v28
	v_ffbh_u32_e32 v66, v64
	v_min_u32_e32 v69, 32, v66
	v_subrev_u32_e32 v66, 28, v69
	v_lshlrev_b64 v[66:67], v66, v[28:29]
	v_lshrrev_b32_e32 v68, 3, v65
	v_sub_u32_e32 v28, 29, v69
	v_and_b32_e32 v66, 7, v66
	v_cmp_gt_u32_e64 s[4:5], 8, v65
	v_cndmask_b32_e64 v28, v68, v28, s[4:5]
	v_cndmask_b32_e64 v64, v64, v66, s[4:5]
	v_lshlrev_b32_e32 v26, 16, v26
	v_lshlrev_b32_e32 v64, 20, v64
	v_and_b32_e32 v26, 0x80000000, v26
	v_lshl_add_u32 v28, v28, 23, v38
	v_or3_b32 v64, v26, v28, v64
.LBB351_251:                            ;   in Loop: Header=BB351_14 Depth=1
	s_or_b64 exec, exec, s[50:51]
.LBB351_252:                            ;   in Loop: Header=BB351_14 Depth=1
	s_or_b64 exec, exec, s[48:49]
.LBB351_253:                            ;   in Loop: Header=BB351_14 Depth=1
	s_or_b64 exec, exec, s[46:47]
	v_mul_f32_e32 v26, s64, v64
	v_and_b32_e32 v28, 0x7f800000, v26
	v_cmp_ne_u32_e64 s[4:5], s62, v28
                                        ; implicit-def: $vgpr64
	s_and_saveexec_b64 s[46:47], s[4:5]
	s_xor_b64 s[4:5], exec, s[46:47]
; %bb.254:                              ;   in Loop: Header=BB351_14 Depth=1
	v_bfe_u32 v28, v26, 16, 1
	v_add3_u32 v64, v26, v28, s63
                                        ; implicit-def: $vgpr26
; %bb.255:                              ;   in Loop: Header=BB351_14 Depth=1
	s_andn2_saveexec_b64 s[46:47], s[4:5]
; %bb.256:                              ;   in Loop: Header=BB351_14 Depth=1
	v_or_b32_e32 v28, 0x10000, v26
	v_cmp_eq_u32_sdwa s[4:5], v26, v30 src0_sel:WORD_0 src1_sel:DWORD
	v_cndmask_b32_e64 v64, v28, v26, s[4:5]
; %bb.257:                              ;   in Loop: Header=BB351_14 Depth=1
	s_or_b64 exec, exec, s[46:47]
	global_load_ushort v28, v[24:25], off offset:1536
	s_waitcnt vmcnt(0)
	v_and_b32_e32 v26, 0xffff, v28
	v_cmp_ne_u16_sdwa s[4:5], v28, v30 src0_sel:BYTE_0 src1_sel:DWORD
	v_mov_b32_e32 v28, 0
	s_and_saveexec_b64 s[46:47], s[4:5]
	s_cbranch_execz .LBB351_263
; %bb.258:                              ;   in Loop: Header=BB351_14 Depth=1
	v_cmp_ne_u16_sdwa s[4:5], v26, s60 src0_sel:BYTE_0 src1_sel:DWORD
	v_bfrev_b32_e32 v28, 1
	s_and_saveexec_b64 s[48:49], s[4:5]
	s_cbranch_execz .LBB351_262
; %bb.259:                              ;   in Loop: Header=BB351_14 Depth=1
	v_and_b32_e32 v65, 0x7f, v26
	v_cmp_ne_u32_e64 s[4:5], s61, v65
	v_mov_b32_e32 v28, 0x7f800001
	s_and_saveexec_b64 s[50:51], s[4:5]
	s_cbranch_execz .LBB351_261
; %bb.260:                              ;   in Loop: Header=BB351_14 Depth=1
	v_and_b32_e32 v28, 7, v26
	v_ffbh_u32_e32 v66, v28
	v_min_u32_e32 v69, 32, v66
	v_subrev_u32_e32 v66, 28, v69
	v_lshlrev_b64 v[66:67], v66, v[26:27]
	v_lshrrev_b32_e32 v68, 3, v65
	v_sub_u32_e32 v67, 29, v69
	v_and_b32_e32 v66, 7, v66
	v_cmp_gt_u32_e64 s[4:5], 8, v65
	v_cndmask_b32_e64 v65, v68, v67, s[4:5]
	v_cndmask_b32_e64 v28, v28, v66, s[4:5]
	v_lshlrev_b32_e32 v66, 24, v26
	v_lshlrev_b32_e32 v28, 20, v28
	v_and_b32_e32 v66, 0x80000000, v66
	v_lshl_add_u32 v65, v65, 23, v38
	v_or3_b32 v28, v66, v65, v28
.LBB351_261:                            ;   in Loop: Header=BB351_14 Depth=1
	s_or_b64 exec, exec, s[50:51]
.LBB351_262:                            ;   in Loop: Header=BB351_14 Depth=1
	s_or_b64 exec, exec, s[48:49]
.LBB351_263:                            ;   in Loop: Header=BB351_14 Depth=1
	s_or_b64 exec, exec, s[46:47]
	v_mul_f32_e32 v28, s64, v28
	v_and_b32_e32 v65, 0x7f800000, v28
	v_cmp_ne_u32_e64 s[4:5], s62, v65
                                        ; implicit-def: $vgpr65
	s_and_saveexec_b64 s[46:47], s[4:5]
	s_xor_b64 s[4:5], exec, s[46:47]
; %bb.264:                              ;   in Loop: Header=BB351_14 Depth=1
	v_bfe_u32 v65, v28, 16, 1
	v_add3_u32 v65, v28, v65, s63
                                        ; implicit-def: $vgpr28
; %bb.265:                              ;   in Loop: Header=BB351_14 Depth=1
	s_andn2_saveexec_b64 s[46:47], s[4:5]
; %bb.266:                              ;   in Loop: Header=BB351_14 Depth=1
	v_or_b32_e32 v65, 0x10000, v28
	v_cmp_eq_u32_sdwa s[4:5], v28, v30 src0_sel:WORD_0 src1_sel:DWORD
	v_cndmask_b32_e64 v65, v65, v28, s[4:5]
; %bb.267:                              ;   in Loop: Header=BB351_14 Depth=1
	s_or_b64 exec, exec, s[46:47]
	v_lshrrev_b16_e32 v28, 8, v26
	v_cmp_ne_u16_e64 s[4:5], 0, v28
	v_mov_b32_e32 v66, 0
	s_and_saveexec_b64 s[46:47], s[4:5]
	s_cbranch_execz .LBB351_273
; %bb.268:                              ;   in Loop: Header=BB351_14 Depth=1
	v_cmp_ne_u16_e64 s[4:5], s60, v28
	v_bfrev_b32_e32 v66, 1
	s_and_saveexec_b64 s[48:49], s[4:5]
	s_cbranch_execz .LBB351_272
; %bb.269:                              ;   in Loop: Header=BB351_14 Depth=1
	v_and_b32_e32 v67, 0x7f, v28
	v_cmp_ne_u32_e64 s[4:5], s61, v67
	v_mov_b32_e32 v66, 0x7f800001
	s_and_saveexec_b64 s[50:51], s[4:5]
	s_cbranch_execz .LBB351_271
; %bb.270:                              ;   in Loop: Header=BB351_14 Depth=1
	v_and_b32_e32 v66, 7, v28
	v_ffbh_u32_e32 v68, v66
	v_min_u32_e32 v71, 32, v68
	v_subrev_u32_e32 v68, 28, v71
	v_lshlrev_b64 v[68:69], v68, v[28:29]
	v_lshrrev_b32_e32 v70, 3, v67
	v_sub_u32_e32 v28, 29, v71
	v_and_b32_e32 v68, 7, v68
	v_cmp_gt_u32_e64 s[4:5], 8, v67
	v_cndmask_b32_e64 v28, v70, v28, s[4:5]
	v_cndmask_b32_e64 v66, v66, v68, s[4:5]
	v_lshlrev_b32_e32 v26, 16, v26
	v_lshlrev_b32_e32 v66, 20, v66
	v_and_b32_e32 v26, 0x80000000, v26
	v_lshl_add_u32 v28, v28, 23, v38
	v_or3_b32 v66, v26, v28, v66
.LBB351_271:                            ;   in Loop: Header=BB351_14 Depth=1
	s_or_b64 exec, exec, s[50:51]
.LBB351_272:                            ;   in Loop: Header=BB351_14 Depth=1
	s_or_b64 exec, exec, s[48:49]
.LBB351_273:                            ;   in Loop: Header=BB351_14 Depth=1
	s_or_b64 exec, exec, s[46:47]
	v_mul_f32_e32 v26, s64, v66
	v_and_b32_e32 v28, 0x7f800000, v26
	v_cmp_ne_u32_e64 s[4:5], s62, v28
                                        ; implicit-def: $vgpr28
	s_and_saveexec_b64 s[46:47], s[4:5]
	s_xor_b64 s[4:5], exec, s[46:47]
; %bb.274:                              ;   in Loop: Header=BB351_14 Depth=1
	v_bfe_u32 v28, v26, 16, 1
	v_add3_u32 v28, v26, v28, s63
                                        ; implicit-def: $vgpr26
; %bb.275:                              ;   in Loop: Header=BB351_14 Depth=1
	s_andn2_saveexec_b64 s[46:47], s[4:5]
; %bb.276:                              ;   in Loop: Header=BB351_14 Depth=1
	v_or_b32_e32 v28, 0x10000, v26
	v_cmp_eq_u32_sdwa s[4:5], v26, v30 src0_sel:WORD_0 src1_sel:DWORD
	v_cndmask_b32_e64 v28, v28, v26, s[4:5]
; %bb.277:                              ;   in Loop: Header=BB351_14 Depth=1
	s_or_b64 exec, exec, s[46:47]
	global_load_ushort v25, v[24:25], off offset:1544
	s_waitcnt vmcnt(0)
	v_and_b32_e32 v24, 0xffff, v25
	v_cmp_ne_u16_sdwa s[4:5], v25, v30 src0_sel:BYTE_0 src1_sel:DWORD
	v_mov_b32_e32 v25, 0
	s_and_saveexec_b64 s[46:47], s[4:5]
	s_cbranch_execz .LBB351_283
; %bb.278:                              ;   in Loop: Header=BB351_14 Depth=1
	v_cmp_ne_u16_sdwa s[4:5], v24, s60 src0_sel:BYTE_0 src1_sel:DWORD
	v_bfrev_b32_e32 v25, 1
	s_and_saveexec_b64 s[48:49], s[4:5]
	s_cbranch_execz .LBB351_282
; %bb.279:                              ;   in Loop: Header=BB351_14 Depth=1
	v_and_b32_e32 v26, 0x7f, v24
	v_cmp_ne_u32_e64 s[4:5], s61, v26
	v_mov_b32_e32 v25, 0x7f800001
	s_and_saveexec_b64 s[50:51], s[4:5]
	s_cbranch_execz .LBB351_281
; %bb.280:                              ;   in Loop: Header=BB351_14 Depth=1
	v_and_b32_e32 v25, 7, v24
	v_ffbh_u32_e32 v66, v25
	v_min_u32_e32 v69, 32, v66
	v_subrev_u32_e32 v66, 28, v69
	v_lshlrev_b64 v[66:67], v66, v[24:25]
	v_lshrrev_b32_e32 v68, 3, v26
	v_sub_u32_e32 v67, 29, v69
	v_and_b32_e32 v66, 7, v66
	v_cmp_gt_u32_e64 s[4:5], 8, v26
	v_cndmask_b32_e64 v26, v68, v67, s[4:5]
	v_cndmask_b32_e64 v25, v25, v66, s[4:5]
	v_lshlrev_b32_e32 v66, 24, v24
	v_lshlrev_b32_e32 v25, 20, v25
	v_and_b32_e32 v66, 0x80000000, v66
	v_lshl_add_u32 v26, v26, 23, v38
	v_or3_b32 v25, v66, v26, v25
.LBB351_281:                            ;   in Loop: Header=BB351_14 Depth=1
	s_or_b64 exec, exec, s[50:51]
.LBB351_282:                            ;   in Loop: Header=BB351_14 Depth=1
	s_or_b64 exec, exec, s[48:49]
.LBB351_283:                            ;   in Loop: Header=BB351_14 Depth=1
	s_or_b64 exec, exec, s[46:47]
	v_mul_f32_e32 v26, s64, v25
	v_and_b32_e32 v25, 0x7f800000, v26
	v_cmp_ne_u32_e64 s[4:5], s62, v25
                                        ; implicit-def: $vgpr25
	s_and_saveexec_b64 s[46:47], s[4:5]
	s_xor_b64 s[4:5], exec, s[46:47]
; %bb.284:                              ;   in Loop: Header=BB351_14 Depth=1
	v_bfe_u32 v25, v26, 16, 1
	v_add3_u32 v25, v26, v25, s63
                                        ; implicit-def: $vgpr26
; %bb.285:                              ;   in Loop: Header=BB351_14 Depth=1
	s_andn2_saveexec_b64 s[46:47], s[4:5]
; %bb.286:                              ;   in Loop: Header=BB351_14 Depth=1
	v_or_b32_e32 v25, 0x10000, v26
	v_cmp_eq_u32_sdwa s[4:5], v26, v30 src0_sel:WORD_0 src1_sel:DWORD
	v_cndmask_b32_e64 v25, v25, v26, s[4:5]
; %bb.287:                              ;   in Loop: Header=BB351_14 Depth=1
	s_or_b64 exec, exec, s[46:47]
	v_lshrrev_b16_e32 v26, 8, v24
	v_cmp_ne_u16_e64 s[4:5], 0, v26
	v_mov_b32_e32 v66, 0
	s_and_saveexec_b64 s[46:47], s[4:5]
	s_cbranch_execz .LBB351_293
; %bb.288:                              ;   in Loop: Header=BB351_14 Depth=1
	v_cmp_ne_u16_e64 s[4:5], s60, v26
	v_bfrev_b32_e32 v66, 1
	s_and_saveexec_b64 s[48:49], s[4:5]
	s_cbranch_execz .LBB351_292
; %bb.289:                              ;   in Loop: Header=BB351_14 Depth=1
	v_and_b32_e32 v67, 0x7f, v26
	v_cmp_ne_u32_e64 s[4:5], s61, v67
	v_mov_b32_e32 v66, 0x7f800001
	s_and_saveexec_b64 s[50:51], s[4:5]
	s_cbranch_execz .LBB351_291
; %bb.290:                              ;   in Loop: Header=BB351_14 Depth=1
	v_and_b32_e32 v66, 7, v26
	v_ffbh_u32_e32 v68, v66
	v_min_u32_e32 v71, 32, v68
	v_subrev_u32_e32 v68, 28, v71
	v_lshlrev_b64 v[68:69], v68, v[26:27]
	v_lshrrev_b32_e32 v70, 3, v67
	v_sub_u32_e32 v26, 29, v71
	v_and_b32_e32 v68, 7, v68
	v_cmp_gt_u32_e64 s[4:5], 8, v67
	v_cndmask_b32_e64 v26, v70, v26, s[4:5]
	v_cndmask_b32_e64 v66, v66, v68, s[4:5]
	v_lshlrev_b32_e32 v24, 16, v24
	v_lshlrev_b32_e32 v66, 20, v66
	v_and_b32_e32 v24, 0x80000000, v24
	v_lshl_add_u32 v26, v26, 23, v38
	v_or3_b32 v66, v24, v26, v66
.LBB351_291:                            ;   in Loop: Header=BB351_14 Depth=1
	s_or_b64 exec, exec, s[50:51]
.LBB351_292:                            ;   in Loop: Header=BB351_14 Depth=1
	s_or_b64 exec, exec, s[48:49]
.LBB351_293:                            ;   in Loop: Header=BB351_14 Depth=1
	s_or_b64 exec, exec, s[46:47]
	v_mul_f32_e32 v26, s64, v66
	v_and_b32_e32 v24, 0x7f800000, v26
	v_cmp_ne_u32_e64 s[4:5], s62, v24
                                        ; implicit-def: $vgpr24
	s_and_saveexec_b64 s[46:47], s[4:5]
	s_xor_b64 s[4:5], exec, s[46:47]
; %bb.294:                              ;   in Loop: Header=BB351_14 Depth=1
	v_bfe_u32 v24, v26, 16, 1
	v_add3_u32 v24, v26, v24, s63
                                        ; implicit-def: $vgpr26
; %bb.295:                              ;   in Loop: Header=BB351_14 Depth=1
	s_andn2_saveexec_b64 s[46:47], s[4:5]
; %bb.296:                              ;   in Loop: Header=BB351_14 Depth=1
	v_or_b32_e32 v24, 0x10000, v26
	v_cmp_eq_u32_sdwa s[4:5], v26, v30 src0_sel:WORD_0 src1_sel:DWORD
	v_cndmask_b32_e64 v24, v24, v26, s[4:5]
; %bb.297:                              ;   in Loop: Header=BB351_14 Depth=1
	s_or_b64 exec, exec, s[46:47]
	v_and_b32_e32 v44, 0xffff0000, v44
	v_and_b32_e32 v43, 0xffff0000, v43
	v_lshlrev_b32_e32 v66, 16, v11
	v_and_b32_e32 v11, 0xffff0000, v11
	v_and_b32_e32 v26, 0xffff0000, v28
	;; [unrolled: 1-line block ×5, first 2 shown]
	v_lshlrev_b32_e32 v65, 16, v10
	v_and_b32_e32 v10, 0xffff0000, v10
	v_mul_f32_e32 v43, v66, v43
	v_mul_f32_e32 v11, v11, v44
	v_and_b32_e32 v46, 0xffff0000, v46
	v_and_b32_e32 v45, 0xffff0000, v45
	v_lshlrev_b32_e32 v67, 16, v12
	v_and_b32_e32 v12, 0xffff0000, v12
	v_fmac_f32_e32 v43, v65, v41
	v_fmac_f32_e32 v11, v10, v42
	v_and_b32_e32 v48, 0xffff0000, v48
	v_and_b32_e32 v47, 0xffff0000, v47
	v_lshlrev_b32_e32 v68, 16, v13
	v_and_b32_e32 v13, 0xffff0000, v13
	v_fmac_f32_e32 v43, v67, v45
	v_fmac_f32_e32 v11, v12, v46
	;; [unrolled: 6-line block ×9, first 2 shown]
	v_and_b32_e32 v64, 0xffff0000, v64
	v_and_b32_e32 v63, 0xffff0000, v63
	v_lshlrev_b32_e32 v76, 16, v5
	v_and_b32_e32 v79, 64, v39
	v_and_b32_e32 v5, 0xffff0000, v5
	v_fmac_f32_e32 v43, v75, v61
	v_fmac_f32_e32 v11, v4, v62
	v_lshlrev_b32_e32 v77, 16, v22
	v_add_u32_e32 v79, 64, v79
	v_xor_b32_e32 v80, 2, v39
	v_and_b32_e32 v22, 0xffff0000, v22
	v_fmac_f32_e32 v43, v76, v63
	v_fmac_f32_e32 v11, v5, v64
	v_and_b32_e32 v25, 0xffff0000, v25
	v_lshlrev_b32_e32 v78, 16, v23
	v_cmp_lt_i32_e64 s[4:5], v80, v79
	v_and_b32_e32 v24, 0xffff0000, v24
	v_and_b32_e32 v23, 0xffff0000, v23
	v_fmac_f32_e32 v43, v77, v28
	v_fmac_f32_e32 v11, v22, v26
	v_cndmask_b32_e64 v80, v39, v80, s[4:5]
	v_fmac_f32_e32 v43, v78, v25
	v_fmac_f32_e32 v11, v23, v24
	v_lshlrev_b32_e32 v80, 2, v80
	v_add_f32_e32 v2, v43, v11
	ds_bpermute_b32 v3, v80, v2
	v_xor_b32_e32 v4, 1, v39
	v_cmp_lt_i32_e64 s[4:5], v4, v79
	v_cndmask_b32_e64 v4, v39, v4, s[4:5]
	v_lshlrev_b32_e32 v4, 2, v4
	s_waitcnt lgkmcnt(0)
	v_add_f32_e32 v2, v2, v3
	ds_bpermute_b32 v3, v4, v2
	s_and_saveexec_b64 s[46:47], vcc
	s_cbranch_execz .LBB351_12
; %bb.298:                              ;   in Loop: Header=BB351_14 Depth=1
	v_add_u32_e32 v4, v36, v34
	v_cvt_f32_i32_e32 v4, v4
	s_waitcnt lgkmcnt(0)
	v_add_f32_e32 v2, v2, v3
	v_add_u32_e32 v5, v29, v34
	v_cmp_gt_i32_e64 s[4:5], s33, v5
	v_mul_f32_e32 v3, s7, v4
	v_cndmask_b32_e64 v3, 0, v3, s[2:3]
	v_fmac_f32_e32 v3, s43, v2
	v_cndmask_b32_e64 v2, 0, v3, s[4:5]
	ds_write_b32 v35, v2
	v_max_f32_e32 v2, v33, v33
	v_max_f32_e32 v2, v2, v3
	v_cndmask_b32_e64 v33, v33, v2, s[4:5]
	s_branch .LBB351_12
.LBB351_299:
	s_or_b64 exec, exec, s[44:45]
.LBB351_300:
	s_or_b64 exec, exec, s[18:19]
	v_mbcnt_hi_u32_b32 v2, -1, v19
	s_waitcnt lgkmcnt(0)
	v_and_b32_e32 v3, 64, v2
	v_add_u32_e32 v3, 64, v3
	v_xor_b32_e32 v4, 32, v2
	v_cmp_lt_i32_e32 vcc, v4, v3
	v_cndmask_b32_e32 v4, v2, v4, vcc
	v_lshlrev_b32_e32 v6, 2, v4
	ds_bpermute_b32 v4, v6, v33
	v_xor_b32_e32 v7, 16, v2
	v_max_f32_e32 v5, v33, v33
	v_cmp_lt_i32_e32 vcc, v7, v3
	v_xor_b32_e32 v8, 8, v2
	s_waitcnt lgkmcnt(0)
	v_max_f32_e32 v4, v4, v4
	v_max_f32_e32 v4, v5, v4
	v_cndmask_b32_e32 v5, v2, v7, vcc
	v_lshlrev_b32_e32 v7, 2, v5
	ds_bpermute_b32 v5, v7, v4
	v_cmp_lt_i32_e32 vcc, v8, v3
	s_waitcnt lgkmcnt(0)
	v_max_f32_e32 v5, v5, v5
	v_max_f32_e32 v4, v4, v5
	v_cndmask_b32_e32 v5, v2, v8, vcc
	v_lshlrev_b32_e32 v10, 2, v5
	ds_bpermute_b32 v5, v10, v4
	v_xor_b32_e32 v8, 4, v2
	v_cmp_lt_i32_e32 vcc, v8, v3
	s_waitcnt lgkmcnt(0)
	v_max_f32_e32 v5, v5, v5
	v_max_f32_e32 v5, v4, v5
	v_cndmask_b32_e32 v4, v2, v8, vcc
	v_lshlrev_b32_e32 v12, 2, v4
	ds_bpermute_b32 v9, v12, v5
	v_and_b32_e32 v4, 63, v0
	v_cmp_eq_u32_e32 vcc, 0, v4
	v_lshlrev_b32_e32 v8, 2, v27
	s_and_saveexec_b64 s[2:3], vcc
	s_cbranch_execz .LBB351_302
; %bb.301:
	s_waitcnt lgkmcnt(0)
	v_max_f32_e32 v9, v9, v9
	v_max_f32_e32 v5, v5, v5
	;; [unrolled: 1-line block ×3, first 2 shown]
	ds_write_b32 v8, v5 offset:224
.LBB351_302:
	s_or_b64 exec, exec, s[2:3]
	v_cmp_gt_u32_e64 s[2:3], 2, v4
	v_mov_b32_e32 v5, 0xff7fffff
	s_waitcnt lgkmcnt(0)
	v_lshlrev_b32_e32 v9, 2, v4
	s_barrier
	s_and_saveexec_b64 s[4:5], s[2:3]
	s_cbranch_execz .LBB351_304
; %bb.303:
	ds_read_b32 v5, v9 offset:224
.LBB351_304:
	s_or_b64 exec, exec, s[4:5]
	v_xor_b32_e32 v11, 1, v2
	v_cmp_lt_i32_e64 s[4:5], v11, v3
	v_cndmask_b32_e64 v11, v2, v11, s[4:5]
	v_lshlrev_b32_e32 v11, 2, v11
	s_waitcnt lgkmcnt(0)
	ds_bpermute_b32 v13, v11, v5
	v_max_f32_e32 v5, v5, v5
	s_sub_i32 s4, s54, s56
	s_lshl_b32 s4, s4, 4
	s_add_i32 s4, s4, s55
	s_waitcnt lgkmcnt(0)
	v_max_f32_e32 v13, v13, v13
	v_max_f32_e32 v5, v5, v13
	v_lshlrev_b32_e32 v13, 2, v2
	v_and_b32_e32 v13, 0x100, v13
	ds_bpermute_b32 v5, v13, v5
	s_min_i32 s43, s4, s33
	s_sub_i32 s7, s43, s55
	v_cmp_gt_i32_e64 s[4:5], s7, v0
	v_mov_b32_e32 v16, 0
	s_and_saveexec_b64 s[12:13], s[4:5]
	s_cbranch_execz .LBB351_308
; %bb.305:
	v_mov_b32_e32 v16, 0xf0
	v_lshl_add_u32 v17, v0, 2, v16
	s_mov_b64 s[18:19], 0
	v_mov_b32_e32 v16, 0
	v_mov_b32_e32 v18, v0
.LBB351_306:                            ; =>This Inner Loop Header: Depth=1
	ds_read_b32 v19, v17
	v_add_u32_e32 v18, 0x80, v18
	v_cmp_le_i32_e64 s[10:11], s7, v18
	s_or_b64 s[18:19], s[10:11], s[18:19]
	s_waitcnt lgkmcnt(0)
	v_sub_f32_e32 v19, v19, v5
	v_mul_f32_e32 v19, 0x3fb8aa3b, v19
	v_exp_f32_e32 v19, v19
	ds_write_b32 v17, v19
	v_add_f32_e32 v16, v16, v19
	v_add_u32_e32 v17, 0x200, v17
	s_andn2_b64 exec, exec, s[18:19]
	s_cbranch_execnz .LBB351_306
; %bb.307:
	s_or_b64 exec, exec, s[18:19]
.LBB351_308:
	s_or_b64 exec, exec, s[12:13]
	ds_bpermute_b32 v6, v6, v16
	s_waitcnt lgkmcnt(0)
	v_add_f32_e32 v6, v16, v6
	ds_bpermute_b32 v7, v7, v6
	s_waitcnt lgkmcnt(0)
	v_add_f32_e32 v6, v6, v7
	ds_bpermute_b32 v7, v10, v6
	v_xor_b32_e32 v10, 2, v2
	v_cmp_lt_i32_e64 s[10:11], v10, v3
	v_cndmask_b32_e64 v2, v2, v10, s[10:11]
	v_lshlrev_b32_e32 v2, 2, v2
	s_waitcnt lgkmcnt(0)
	v_add_f32_e32 v6, v6, v7
	ds_bpermute_b32 v7, v12, v6
	s_waitcnt lgkmcnt(0)
	v_add_f32_e32 v3, v6, v7
	ds_bpermute_b32 v2, v2, v3
	;; [unrolled: 3-line block ×3, first 2 shown]
	s_waitcnt lgkmcnt(0)
	v_add_f32_e32 v2, v2, v3
	s_and_saveexec_b64 s[10:11], vcc
	s_cbranch_execz .LBB351_310
; %bb.309:
	ds_write_b32 v8, v2 offset:232
.LBB351_310:
	s_or_b64 exec, exec, s[10:11]
	s_waitcnt lgkmcnt(0)
	s_barrier
	s_and_saveexec_b64 s[10:11], s[2:3]
	s_cbranch_execz .LBB351_312
; %bb.311:
	ds_read_b32 v2, v9 offset:232
.LBB351_312:
	s_or_b64 exec, exec, s[10:11]
	s_waitcnt lgkmcnt(0)
	ds_bpermute_b32 v3, v11, v2
	s_waitcnt lgkmcnt(0)
	v_add_f32_e32 v2, v2, v3
	ds_bpermute_b32 v6, v13, v2
	s_and_saveexec_b64 s[2:3], s[4:5]
	s_cbranch_execz .LBB351_325
; %bb.313:
	s_waitcnt lgkmcnt(0)
	v_add_f32_e32 v2, 0x358637bd, v6
	v_div_scale_f32 v3, s[4:5], v2, v2, 1.0
	v_rcp_f32_e32 v7, v3
	v_div_scale_f32 v8, vcc, 1.0, v2, 1.0
	s_movk_i32 s4, 0x7f
	v_fma_f32 v9, -v3, v7, 1.0
	v_fmac_f32_e32 v7, v9, v7
	v_mul_f32_e32 v9, v8, v7
	v_fma_f32 v10, -v3, v9, v8
	v_fmac_f32_e32 v9, v10, v7
	v_fma_f32 v3, -v3, v9, v8
	v_div_fmas_f32 v3, v3, v7, v9
	v_div_fixup_f32 v2, v3, v2, 1.0
	v_xad_u32 v3, v0, -1, s43
	v_subrev_u32_e32 v7, s55, v3
	v_cmp_lt_u32_e32 vcc, s4, v7
	s_mov_b64 s[10:11], -1
	v_mov_b32_e32 v3, v0
	s_and_saveexec_b64 s[4:5], vcc
	s_cbranch_execz .LBB351_322
; %bb.314:
	v_lshrrev_b32_e32 v7, 7, v7
	v_add_u32_e32 v9, -1, v7
	v_lshrrev_b32_e32 v8, 1, v9
	v_mov_b32_e32 v3, v2
	v_add_u32_e32 v8, 1, v8
	v_cmp_lt_u32_e32 vcc, 13, v9
	v_mov_b32_e32 v12, 0
	s_and_saveexec_b64 s[10:11], vcc
	s_cbranch_execz .LBB351_318
; %bb.315:
	v_mov_b32_e32 v10, 0xf0
	v_and_b32_e32 v9, -8, v8
	v_lshl_add_u32 v10, v0, 2, v10
	s_mov_b32 s18, 0
	s_mov_b64 s[12:13], 0
.LBB351_316:                            ; =>This Inner Loop Header: Depth=1
	ds_read2st64_b32 v[12:13], v10 offset1:2
	ds_read2st64_b32 v[16:17], v10 offset0:4 offset1:6
	ds_read2st64_b32 v[18:19], v10 offset0:8 offset1:10
	;; [unrolled: 1-line block ×3, first 2 shown]
	v_add_u32_e32 v9, -8, v9
	s_waitcnt lgkmcnt(3)
	v_pk_mul_f32 v[12:13], v[2:3], v[12:13]
	s_waitcnt lgkmcnt(2)
	v_pk_mul_f32 v[16:17], v[2:3], v[16:17]
	ds_write2st64_b32 v10, v12, v13 offset1:2
	ds_write2st64_b32 v10, v16, v17 offset0:4 offset1:6
	ds_read2st64_b32 v[16:17], v10 offset0:16 offset1:18
	s_waitcnt lgkmcnt(4)
	v_pk_mul_f32 v[12:13], v[2:3], v[18:19]
	ds_write2st64_b32 v10, v12, v13 offset0:8 offset1:10
	s_waitcnt lgkmcnt(4)
	v_pk_mul_f32 v[12:13], v[2:3], v[20:21]
	ds_write2st64_b32 v10, v12, v13 offset0:12 offset1:14
	ds_read2st64_b32 v[12:13], v10 offset0:20 offset1:22
	s_waitcnt lgkmcnt(3)
	v_pk_mul_f32 v[16:17], v[2:3], v[16:17]
	ds_read2st64_b32 v[18:19], v10 offset0:24 offset1:26
	ds_write2st64_b32 v10, v16, v17 offset0:16 offset1:18
	ds_read2st64_b32 v[16:17], v10 offset0:28 offset1:30
	s_waitcnt lgkmcnt(3)
	v_pk_mul_f32 v[12:13], v[2:3], v[12:13]
	ds_write2st64_b32 v10, v12, v13 offset0:20 offset1:22
	s_waitcnt lgkmcnt(3)
	v_pk_mul_f32 v[12:13], v[2:3], v[18:19]
	ds_write2st64_b32 v10, v12, v13 offset0:24 offset1:26
	s_waitcnt lgkmcnt(2)
	v_pk_mul_f32 v[12:13], v[2:3], v[16:17]
	s_add_i32 s18, s18, 16
	v_cmp_eq_u32_e32 vcc, 0, v9
	ds_write2st64_b32 v10, v12, v13 offset0:28 offset1:30
	v_add_u32_e32 v10, 0x2000, v10
	s_or_b64 s[12:13], vcc, s[12:13]
	v_mov_b32_e32 v12, s18
	s_andn2_b64 exec, exec, s[12:13]
	s_cbranch_execnz .LBB351_316
; %bb.317:
	s_or_b64 exec, exec, s[12:13]
.LBB351_318:
	s_or_b64 exec, exec, s[10:11]
	v_and_b32_e32 v8, 7, v8
	v_cmp_ne_u32_e32 vcc, 0, v8
	s_and_saveexec_b64 s[10:11], vcc
	s_cbranch_execz .LBB351_321
; %bb.319:
	v_lshlrev_b32_e32 v9, 9, v12
	v_lshlrev_b32_e32 v10, 2, v0
	s_movk_i32 s12, 0xf0
	v_add3_u32 v9, v9, v10, s12
	s_mov_b64 s[12:13], 0
.LBB351_320:                            ; =>This Inner Loop Header: Depth=1
	ds_read2st64_b32 v[12:13], v9 offset1:2
	v_add_u32_e32 v8, -1, v8
	v_cmp_eq_u32_e32 vcc, 0, v8
	s_or_b64 s[12:13], vcc, s[12:13]
	s_waitcnt lgkmcnt(0)
	v_pk_mul_f32 v[12:13], v[2:3], v[12:13]
	ds_write2st64_b32 v9, v12, v13 offset1:2
	v_add_u32_e32 v9, 0x400, v9
	s_andn2_b64 exec, exec, s[12:13]
	s_cbranch_execnz .LBB351_320
.LBB351_321:
	s_or_b64 exec, exec, s[10:11]
	v_add_u32_e32 v7, 1, v7
	v_and_b32_e32 v8, 0x3fffffe, v7
	v_cmp_ne_u32_e32 vcc, v7, v8
	v_lshl_add_u32 v3, v8, 7, v0
	s_orn2_b64 s[10:11], vcc, exec
.LBB351_322:
	s_or_b64 exec, exec, s[4:5]
	s_and_b64 exec, exec, s[10:11]
	s_cbranch_execz .LBB351_325
; %bb.323:
	v_mov_b32_e32 v7, 0xf0
	v_lshl_add_u32 v7, v3, 2, v7
	s_mov_b64 s[4:5], 0
.LBB351_324:                            ; =>This Inner Loop Header: Depth=1
	ds_read_b32 v8, v7
	v_add_u32_e32 v3, 0x80, v3
	v_cmp_le_i32_e32 vcc, s7, v3
	s_or_b64 s[4:5], vcc, s[4:5]
	s_waitcnt lgkmcnt(0)
	v_mul_f32_e32 v8, v2, v8
	ds_write_b32 v7, v8
	v_add_u32_e32 v7, 0x200, v7
	s_andn2_b64 exec, exec, s[4:5]
	s_cbranch_execnz .LBB351_324
.LBB351_325:
	s_or_b64 exec, exec, s[2:3]
	s_mul_i32 s2, s29, s34
	v_cmp_eq_u32_e32 vcc, 0, v0
	s_mul_i32 s4, s2, s9
	s_waitcnt lgkmcnt(0)
	s_barrier
	s_and_saveexec_b64 s[2:3], vcc
	s_cbranch_execz .LBB351_327
; %bb.326:
	s_ashr_i32 s5, s4, 31
	s_lshl_b64 s[10:11], s[4:5], 2
	s_add_u32 s5, s26, s10
	s_mul_i32 s6, s29, s6
	s_addc_u32 s9, s27, s11
	s_ashr_i32 s7, s6, 31
	s_lshl_b64 s[6:7], s[6:7], 2
	s_add_u32 s5, s5, s6
	s_addc_u32 s19, s9, s7
	s_ashr_i32 s9, s8, 31
	s_lshl_b64 s[12:13], s[8:9], 2
	s_add_u32 s18, s5, s12
	s_addc_u32 s19, s19, s13
	s_add_u32 s5, s24, s10
	s_addc_u32 s9, s25, s11
	s_add_u32 s5, s5, s6
	s_addc_u32 s7, s9, s7
	s_add_u32 s6, s5, s12
	v_mov_b32_e32 v2, 0
	s_addc_u32 s7, s7, s13
	global_store_dword v2, v5, s[18:19]
	global_store_dword v2, v6, s[6:7]
.LBB351_327:
	s_or_b64 exec, exec, s[2:3]
	v_mov_b32_e32 v13, 0
	v_lshrrev_b32_e32 v24, 1, v4
	v_and_b32_e32 v19, 1, v0
	v_mov_b32_e32 v12, 0
	v_mov_b32_e32 v21, 0
	;; [unrolled: 1-line block ×3, first 2 shown]
	s_and_saveexec_b64 s[6:7], s[0:1]
	s_cbranch_execz .LBB351_823
; %bb.328:
	s_sub_i32 s5, s20, s21
	s_ashr_i32 s0, s23, 31
	s_add_u32 s10, s40, s23
	v_lshlrev_b32_e32 v2, 3, v0
	s_addc_u32 s11, s41, s0
	s_abs_i32 s34, s22
	v_and_b32_e32 v25, 8, v2
	v_cvt_f32_u32_e32 v2, s34
	v_or_b32_e32 v3, 0x60, v24
	s_movk_i32 s0, 0x70
	v_cmp_gt_u32_e32 vcc, s0, v3
	v_rcp_iflag_f32_e32 v2, v2
	s_sub_i32 s0, 0, s34
	s_add_i32 s40, s16, -1
	v_lshl_or_b32 v18, v3, 4, v25
	v_mul_f32_e32 v2, 0x4f7ffffe, v2
	v_cvt_u32_f32_e32 v2, v2
	s_mov_b32 s12, -1
	s_mov_b32 s9, s17
	s_mov_b32 s13, 0xffffff
	v_mul_lo_u32 v3, s0, v2
	s_lshl_b64 s[0:1], s[38:39], 2
	v_mul_hi_u32 v3, v2, v3
	s_add_u32 s0, s36, s0
	v_add_u32_e32 v26, v2, v3
	v_lshlrev_b64 v[2:3], 2, v[14:15]
	s_addc_u32 s1, s37, s1
	v_mov_b32_e32 v4, s1
	v_add_co_u32_e64 v22, s[0:1], s0, v2
	v_lshlrev_b32_e32 v2, 5, v19
	v_lshl_or_b32 v2, v27, 6, v2
	v_lshl_or_b32 v10, v24, 4, v25
	v_mov_b32_e32 v17, 0
	v_addc_co_u32_e64 v23, s[0:1], v4, v3, s[0:1]
	v_add_u32_e32 v15, 0xf0, v2
	s_mov_b64 s[16:17], 0
	s_mov_b32 s36, 0x7f800000
	s_movk_i32 s37, 0x7fff
	s_movk_i32 s38, 0x80
	;; [unrolled: 1-line block ×3, first 2 shown]
	v_bfrev_b32_e32 v27, 60
	v_mov_b32_e32 v20, 0
	v_mov_b32_e32 v21, 0
	;; [unrolled: 1-line block ×4, first 2 shown]
	s_branch .LBB351_332
.LBB351_329:                            ;   in Loop: Header=BB351_332 Depth=1
	s_or_b64 exec, exec, s[2:3]
	v_and_b32_e32 v40, 0xffff0000, v37
	v_and_b32_e32 v37, 0xffff0000, v36
	;; [unrolled: 1-line block ×8, first 2 shown]
	v_pk_add_f32 v[2:3], v[42:43], v[36:37]
	v_pk_add_f32 v[36:37], v[40:41], v[38:39]
	v_add_f32_e32 v2, v2, v3
	v_add_f32_e32 v2, v2, v36
	;; [unrolled: 1-line block ×4, first 2 shown]
.LBB351_330:                            ;   in Loop: Header=BB351_332 Depth=1
	s_or_b64 exec, exec, s[20:21]
	v_and_b32_e32 v2, 0xffff0000, v32
	v_and_b32_e32 v32, 0xffff0000, v31
	;; [unrolled: 1-line block ×8, first 2 shown]
	v_pk_add_f32 v[28:29], v[28:29], v[30:31]
	v_pk_add_f32 v[2:3], v[32:33], v[2:3]
	v_add_f32_e32 v4, v28, v29
	v_add_f32_e32 v2, v4, v2
	;; [unrolled: 1-line block ×3, first 2 shown]
	v_and_b32_e32 v9, 0xffff0000, v45
	v_and_b32_e32 v8, 0xffff0000, v8
	;; [unrolled: 1-line block ×4, first 2 shown]
	v_add_f32_e32 v20, v20, v2
	v_and_b32_e32 v3, 0xffff0000, v49
	v_and_b32_e32 v2, 0xffff0000, v47
	;; [unrolled: 1-line block ×4, first 2 shown]
	v_pk_add_f32 v[8:9], v[30:31], v[8:9]
	v_pk_add_f32 v[2:3], v[28:29], v[2:3]
	v_add_f32_e32 v4, v8, v9
	v_add_f32_e32 v2, v4, v2
	;; [unrolled: 1-line block ×3, first 2 shown]
	v_and_b32_e32 v7, 0xffff0000, v51
	v_and_b32_e32 v6, 0xffff0000, v6
	;; [unrolled: 1-line block ×4, first 2 shown]
	v_add_f32_e32 v21, v21, v2
	v_and_b32_e32 v3, 0xffff0000, v55
	v_and_b32_e32 v2, 0xffff0000, v53
	;; [unrolled: 1-line block ×4, first 2 shown]
	v_pk_add_f32 v[4:5], v[28:29], v[6:7]
	v_pk_add_f32 v[2:3], v[8:9], v[2:3]
	v_add_f32_e32 v4, v4, v5
	v_add_f32_e32 v2, v4, v2
	;; [unrolled: 1-line block ×4, first 2 shown]
.LBB351_331:                            ;   in Loop: Header=BB351_332 Depth=1
	s_or_b64 exec, exec, s[18:19]
	v_add_co_u32_e64 v22, s[0:1], 8, v22
	v_add_u32_e32 v14, 2, v14
	v_addc_co_u32_e64 v23, s[0:1], 0, v23, s[0:1]
	v_cmp_le_i32_e64 s[0:1], s54, v14
	v_add_u32_e32 v1, 32, v1
	s_or_b64 s[16:17], s[0:1], s[16:17]
	v_add_u32_e32 v15, 0x80, v15
	s_andn2_b64 exec, exec, s[16:17]
	s_cbranch_execz .LBB351_822
.LBB351_332:                            ; =>This Inner Loop Header: Depth=1
	v_sub_u32_e32 v3, 0, v1
	v_max_i32_e32 v3, v1, v3
	v_mul_hi_u32 v4, v3, s52
	v_mul_lo_u32 v5, v4, s35
	v_sub_u32_e32 v3, v3, v5
	v_add_u32_e32 v5, 1, v4
	v_cmp_le_u32_e64 s[0:1], s35, v3
	v_cndmask_b32_e64 v4, v4, v5, s[0:1]
	v_subrev_u32_e32 v5, s35, v3
	v_cndmask_b32_e64 v3, v3, v5, s[0:1]
	v_ashrrev_i32_e32 v2, 31, v1
	v_add_u32_e32 v5, 1, v4
	v_cmp_le_u32_e64 s[0:1], s35, v3
	v_xor_b32_e32 v2, s53, v2
	v_cndmask_b32_e64 v3, v4, v5, s[0:1]
	v_xor_b32_e32 v3, v3, v2
	v_sub_u32_e32 v2, v3, v2
	v_add_u32_e32 v3, s42, v2
	v_sub_u32_e32 v5, 0, v3
	v_ashrrev_i32_e32 v4, 31, v3
	v_max_i32_e32 v3, v3, v5
	v_mul_hi_u32 v5, v3, v26
	v_mul_lo_u32 v5, v5, s34
	v_sub_u32_e32 v3, v3, v5
	v_subrev_u32_e32 v5, s34, v3
	v_cmp_le_u32_e64 s[0:1], s34, v3
	v_cndmask_b32_e64 v3, v3, v5, s[0:1]
	v_subrev_u32_e32 v5, s34, v3
	v_cmp_le_u32_e64 s[0:1], s34, v3
	v_cndmask_b32_e64 v3, v3, v5, s[0:1]
	v_xor_b32_e32 v3, v3, v4
	v_sub_u32_e32 v3, v3, v4
	v_cmp_eq_u32_e64 s[0:1], 0, v3
	v_cmp_lt_i32_e64 s[2:3], s5, v2
	s_or_b64 s[0:1], s[0:1], s[2:3]
	s_and_saveexec_b64 s[18:19], s[0:1]
	s_cbranch_execz .LBB351_331
; %bb.333:                              ;   in Loop: Header=BB351_332 Depth=1
	global_load_dword v16, v[22:23], off
	ds_read2_b64 v[6:9], v15 offset1:1
	ds_read2_b64 v[2:5], v15 offset0:2 offset1:3
                                        ; implicit-def: $vgpr36
	s_waitcnt lgkmcnt(1)
	v_and_b32_e32 v28, 0x7f800000, v6
	v_cmp_ne_u32_e64 s[0:1], s36, v28
	s_and_saveexec_b64 s[2:3], s[0:1]
	s_xor_b64 s[0:1], exec, s[2:3]
; %bb.334:                              ;   in Loop: Header=BB351_332 Depth=1
	v_bfe_u32 v28, v6, 16, 1
	v_add3_u32 v36, v6, v28, s37
; %bb.335:                              ;   in Loop: Header=BB351_332 Depth=1
	s_andn2_saveexec_b64 s[2:3], s[0:1]
; %bb.336:                              ;   in Loop: Header=BB351_332 Depth=1
	v_or_b32_e32 v28, 0x10000, v6
	v_cmp_eq_u32_sdwa s[0:1], v6, v17 src0_sel:WORD_0 src1_sel:DWORD
	v_cndmask_b32_e64 v36, v28, v6, s[0:1]
; %bb.337:                              ;   in Loop: Header=BB351_332 Depth=1
	s_or_b64 exec, exec, s[2:3]
	v_and_b32_e32 v6, 0x7f800000, v7
	v_cmp_ne_u32_e64 s[0:1], s36, v6
                                        ; implicit-def: $vgpr28
	s_and_saveexec_b64 s[2:3], s[0:1]
	s_xor_b64 s[0:1], exec, s[2:3]
; %bb.338:                              ;   in Loop: Header=BB351_332 Depth=1
	v_bfe_u32 v6, v7, 16, 1
	v_add3_u32 v28, v7, v6, s37
; %bb.339:                              ;   in Loop: Header=BB351_332 Depth=1
	s_andn2_saveexec_b64 s[2:3], s[0:1]
; %bb.340:                              ;   in Loop: Header=BB351_332 Depth=1
	v_or_b32_e32 v6, 0x10000, v7
	v_cmp_eq_u32_sdwa s[0:1], v7, v17 src0_sel:WORD_0 src1_sel:DWORD
	v_cndmask_b32_e64 v28, v6, v7, s[0:1]
; %bb.341:                              ;   in Loop: Header=BB351_332 Depth=1
	s_or_b64 exec, exec, s[2:3]
	v_and_b32_e32 v6, 0x7f800000, v8
	v_cmp_ne_u32_e64 s[0:1], s36, v6
                                        ; implicit-def: $vgpr29
	s_and_saveexec_b64 s[2:3], s[0:1]
	s_xor_b64 s[0:1], exec, s[2:3]
; %bb.342:                              ;   in Loop: Header=BB351_332 Depth=1
	v_bfe_u32 v6, v8, 16, 1
	v_add3_u32 v29, v8, v6, s37
; %bb.343:                              ;   in Loop: Header=BB351_332 Depth=1
	s_andn2_saveexec_b64 s[2:3], s[0:1]
; %bb.344:                              ;   in Loop: Header=BB351_332 Depth=1
	v_or_b32_e32 v6, 0x10000, v8
	v_cmp_eq_u32_sdwa s[0:1], v8, v17 src0_sel:WORD_0 src1_sel:DWORD
	v_cndmask_b32_e64 v29, v6, v8, s[0:1]
; %bb.345:                              ;   in Loop: Header=BB351_332 Depth=1
	s_or_b64 exec, exec, s[2:3]
	v_and_b32_e32 v6, 0x7f800000, v9
	v_cmp_ne_u32_e64 s[0:1], s36, v6
                                        ; implicit-def: $vgpr30
	s_and_saveexec_b64 s[2:3], s[0:1]
	s_xor_b64 s[0:1], exec, s[2:3]
; %bb.346:                              ;   in Loop: Header=BB351_332 Depth=1
	v_bfe_u32 v6, v9, 16, 1
	v_add3_u32 v30, v9, v6, s37
                                        ; implicit-def: $vgpr6_vgpr7_vgpr8_vgpr9
; %bb.347:                              ;   in Loop: Header=BB351_332 Depth=1
	s_andn2_saveexec_b64 s[2:3], s[0:1]
; %bb.348:                              ;   in Loop: Header=BB351_332 Depth=1
	v_or_b32_e32 v6, 0x10000, v9
	v_cmp_eq_u32_sdwa s[0:1], v9, v17 src0_sel:WORD_0 src1_sel:DWORD
	v_cndmask_b32_e64 v30, v6, v9, s[0:1]
; %bb.349:                              ;   in Loop: Header=BB351_332 Depth=1
	s_or_b64 exec, exec, s[2:3]
	s_waitcnt lgkmcnt(0)
	v_and_b32_e32 v6, 0x7f800000, v2
	v_cmp_ne_u32_e64 s[0:1], s36, v6
                                        ; implicit-def: $vgpr31
	s_and_saveexec_b64 s[2:3], s[0:1]
	s_xor_b64 s[0:1], exec, s[2:3]
; %bb.350:                              ;   in Loop: Header=BB351_332 Depth=1
	v_bfe_u32 v6, v2, 16, 1
	v_add3_u32 v31, v2, v6, s37
; %bb.351:                              ;   in Loop: Header=BB351_332 Depth=1
	s_andn2_saveexec_b64 s[2:3], s[0:1]
; %bb.352:                              ;   in Loop: Header=BB351_332 Depth=1
	v_or_b32_e32 v6, 0x10000, v2
	v_cmp_eq_u32_sdwa s[0:1], v2, v17 src0_sel:WORD_0 src1_sel:DWORD
	v_cndmask_b32_e64 v31, v6, v2, s[0:1]
; %bb.353:                              ;   in Loop: Header=BB351_332 Depth=1
	s_or_b64 exec, exec, s[2:3]
	v_and_b32_e32 v2, 0x7f800000, v3
	v_cmp_ne_u32_e64 s[0:1], s36, v2
                                        ; implicit-def: $vgpr32
	s_and_saveexec_b64 s[2:3], s[0:1]
	s_xor_b64 s[0:1], exec, s[2:3]
; %bb.354:                              ;   in Loop: Header=BB351_332 Depth=1
	v_bfe_u32 v2, v3, 16, 1
	v_add3_u32 v32, v3, v2, s37
; %bb.355:                              ;   in Loop: Header=BB351_332 Depth=1
	s_andn2_saveexec_b64 s[2:3], s[0:1]
; %bb.356:                              ;   in Loop: Header=BB351_332 Depth=1
	v_or_b32_e32 v2, 0x10000, v3
	v_cmp_eq_u32_sdwa s[0:1], v3, v17 src0_sel:WORD_0 src1_sel:DWORD
	v_cndmask_b32_e64 v32, v2, v3, s[0:1]
; %bb.357:                              ;   in Loop: Header=BB351_332 Depth=1
	s_or_b64 exec, exec, s[2:3]
	v_and_b32_e32 v2, 0x7f800000, v4
	v_cmp_ne_u32_e64 s[0:1], s36, v2
                                        ; implicit-def: $vgpr33
	s_and_saveexec_b64 s[2:3], s[0:1]
	s_xor_b64 s[0:1], exec, s[2:3]
; %bb.358:                              ;   in Loop: Header=BB351_332 Depth=1
	v_bfe_u32 v2, v4, 16, 1
	v_add3_u32 v33, v4, v2, s37
; %bb.359:                              ;   in Loop: Header=BB351_332 Depth=1
	s_andn2_saveexec_b64 s[2:3], s[0:1]
; %bb.360:                              ;   in Loop: Header=BB351_332 Depth=1
	v_or_b32_e32 v2, 0x10000, v4
	v_cmp_eq_u32_sdwa s[0:1], v4, v17 src0_sel:WORD_0 src1_sel:DWORD
	v_cndmask_b32_e64 v33, v2, v4, s[0:1]
; %bb.361:                              ;   in Loop: Header=BB351_332 Depth=1
	s_or_b64 exec, exec, s[2:3]
	v_and_b32_e32 v2, 0x7f800000, v5
	v_cmp_ne_u32_e64 s[0:1], s36, v2
                                        ; implicit-def: $vgpr34
	s_and_saveexec_b64 s[2:3], s[0:1]
	s_xor_b64 s[0:1], exec, s[2:3]
; %bb.362:                              ;   in Loop: Header=BB351_332 Depth=1
	v_bfe_u32 v2, v5, 16, 1
	v_add3_u32 v34, v5, v2, s37
                                        ; implicit-def: $vgpr2_vgpr3_vgpr4_vgpr5
; %bb.363:                              ;   in Loop: Header=BB351_332 Depth=1
	s_andn2_saveexec_b64 s[2:3], s[0:1]
; %bb.364:                              ;   in Loop: Header=BB351_332 Depth=1
	v_or_b32_e32 v2, 0x10000, v5
	v_cmp_eq_u32_sdwa s[0:1], v5, v17 src0_sel:WORD_0 src1_sel:DWORD
	v_cndmask_b32_e64 v34, v2, v5, s[0:1]
; %bb.365:                              ;   in Loop: Header=BB351_332 Depth=1
	s_or_b64 exec, exec, s[2:3]
	v_pk_mov_b32 v[2:3], s[10:11], s[10:11] op_sel:[0,1]
	s_waitcnt vmcnt(0)
	v_mad_i64_i32 v[2:3], s[0:1], v16, s9, v[2:3]
	v_add_co_u32_e64 v4, s[0:1], v2, v10
	v_addc_co_u32_e64 v5, s[0:1], 0, v3, s[0:1]
	global_load_dwordx2 v[6:7], v[4:5], off
	s_load_dword s41, s[14:15], 0x0
	v_mov_b32_e32 v8, 0
	s_waitcnt vmcnt(0)
	v_cmp_ne_u16_sdwa s[0:1], v6, v17 src0_sel:BYTE_0 src1_sel:DWORD
	s_and_saveexec_b64 s[2:3], s[0:1]
	s_cbranch_execz .LBB351_371
; %bb.366:                              ;   in Loop: Header=BB351_332 Depth=1
	v_cmp_ne_u16_sdwa s[0:1], v6, s38 src0_sel:BYTE_0 src1_sel:DWORD
	v_bfrev_b32_e32 v8, 1
	s_and_saveexec_b64 s[20:21], s[0:1]
	s_cbranch_execz .LBB351_370
; %bb.367:                              ;   in Loop: Header=BB351_332 Depth=1
	v_and_b32_e32 v9, 0x7f, v6
	v_cmp_ne_u32_e64 s[0:1], s39, v9
	v_mov_b32_e32 v8, 0x7f800001
	s_and_saveexec_b64 s[22:23], s[0:1]
	s_cbranch_execz .LBB351_369
; %bb.368:                              ;   in Loop: Header=BB351_332 Depth=1
	v_and_b32_e32 v8, 7, v6
	v_ffbh_u32_e32 v8, v8
	v_min_u32_e32 v8, 32, v8
	v_lshrrev_b32_e32 v16, 3, v9
	v_subrev_u32_e32 v35, 28, v8
	v_sub_u32_e32 v8, 29, v8
	v_cmp_gt_u32_e64 s[0:1], 8, v9
	v_cndmask_b32_e64 v16, v16, v8, s[0:1]
	v_cndmask_b32_e64 v8, 0, v35, s[0:1]
	v_lshlrev_b64 v[8:9], v8, v[6:7]
	v_lshlrev_b32_e32 v8, 20, v8
	v_lshlrev_b32_e32 v9, 24, v6
	v_and_b32_e32 v8, 0x700000, v8
	v_and_b32_e32 v9, 0x80000000, v9
	v_lshl_add_u32 v16, v16, 23, v27
	v_or3_b32 v8, v9, v16, v8
.LBB351_369:                            ;   in Loop: Header=BB351_332 Depth=1
	s_or_b64 exec, exec, s[22:23]
.LBB351_370:                            ;   in Loop: Header=BB351_332 Depth=1
	s_or_b64 exec, exec, s[20:21]
.LBB351_371:                            ;   in Loop: Header=BB351_332 Depth=1
	s_or_b64 exec, exec, s[2:3]
	s_waitcnt lgkmcnt(0)
	v_mul_f32_e32 v8, s41, v8
	v_and_b32_e32 v9, 0x7f800000, v8
	v_cmp_ne_u32_e64 s[0:1], s36, v9
                                        ; implicit-def: $vgpr9
	s_and_saveexec_b64 s[2:3], s[0:1]
	s_xor_b64 s[0:1], exec, s[2:3]
; %bb.372:                              ;   in Loop: Header=BB351_332 Depth=1
	v_bfe_u32 v9, v8, 16, 1
	v_add3_u32 v9, v8, v9, s37
                                        ; implicit-def: $vgpr8
; %bb.373:                              ;   in Loop: Header=BB351_332 Depth=1
	s_andn2_saveexec_b64 s[2:3], s[0:1]
; %bb.374:                              ;   in Loop: Header=BB351_332 Depth=1
	v_or_b32_e32 v9, 0x10000, v8
	v_cmp_eq_u32_sdwa s[0:1], v8, v17 src0_sel:WORD_0 src1_sel:DWORD
	v_cndmask_b32_e64 v9, v9, v8, s[0:1]
; %bb.375:                              ;   in Loop: Header=BB351_332 Depth=1
	s_or_b64 exec, exec, s[2:3]
	v_lshrrev_b16_e32 v8, 8, v6
	v_cmp_ne_u16_e64 s[0:1], 0, v8
	v_mov_b32_e32 v16, 0
	s_and_saveexec_b64 s[2:3], s[0:1]
	s_cbranch_execz .LBB351_381
; %bb.376:                              ;   in Loop: Header=BB351_332 Depth=1
	v_cmp_ne_u16_e64 s[0:1], s38, v8
	v_bfrev_b32_e32 v16, 1
	s_and_saveexec_b64 s[20:21], s[0:1]
	s_cbranch_execz .LBB351_380
; %bb.377:                              ;   in Loop: Header=BB351_332 Depth=1
	v_and_b32_e32 v35, 0x7f, v8
	v_cmp_ne_u32_e64 s[0:1], s39, v35
	v_mov_b32_e32 v16, 0x7f800001
	s_and_saveexec_b64 s[22:23], s[0:1]
	s_cbranch_execz .LBB351_379
; %bb.378:                              ;   in Loop: Header=BB351_332 Depth=1
	v_and_b32_e32 v16, 7, v8
	v_ffbh_u32_e32 v38, v16
	v_min_u32_e32 v40, 32, v38
	v_subrev_u32_e32 v38, 28, v40
	v_lshlrev_b64 v[38:39], v38, v[8:9]
	v_lshrrev_b32_e32 v37, 3, v35
	v_sub_u32_e32 v8, 29, v40
	v_and_b32_e32 v38, 7, v38
	v_cmp_gt_u32_e64 s[0:1], 8, v35
	v_cndmask_b32_e64 v8, v37, v8, s[0:1]
	v_cndmask_b32_e64 v16, v16, v38, s[0:1]
	v_lshlrev_b32_e32 v35, 16, v6
	v_lshlrev_b32_e32 v16, 20, v16
	v_and_b32_e32 v35, 0x80000000, v35
	v_lshl_add_u32 v8, v8, 23, v27
	v_or3_b32 v16, v35, v8, v16
.LBB351_379:                            ;   in Loop: Header=BB351_332 Depth=1
	s_or_b64 exec, exec, s[22:23]
.LBB351_380:                            ;   in Loop: Header=BB351_332 Depth=1
	s_or_b64 exec, exec, s[20:21]
.LBB351_381:                            ;   in Loop: Header=BB351_332 Depth=1
	s_or_b64 exec, exec, s[2:3]
	v_mul_f32_e32 v8, s41, v16
	v_and_b32_e32 v16, 0x7f800000, v8
	v_cmp_ne_u32_e64 s[0:1], s36, v16
                                        ; implicit-def: $vgpr37
	s_and_saveexec_b64 s[2:3], s[0:1]
	s_xor_b64 s[0:1], exec, s[2:3]
; %bb.382:                              ;   in Loop: Header=BB351_332 Depth=1
	v_bfe_u32 v16, v8, 16, 1
	v_add3_u32 v37, v8, v16, s37
                                        ; implicit-def: $vgpr8
; %bb.383:                              ;   in Loop: Header=BB351_332 Depth=1
	s_andn2_saveexec_b64 s[2:3], s[0:1]
; %bb.384:                              ;   in Loop: Header=BB351_332 Depth=1
	v_or_b32_e32 v16, 0x10000, v8
	v_cmp_eq_u32_sdwa s[0:1], v8, v17 src0_sel:WORD_0 src1_sel:DWORD
	v_cndmask_b32_e64 v37, v16, v8, s[0:1]
; %bb.385:                              ;   in Loop: Header=BB351_332 Depth=1
	s_or_b64 exec, exec, s[2:3]
	v_lshrrev_b32_e32 v8, 16, v6
	v_cmp_ne_u16_sdwa s[0:1], v8, v17 src0_sel:BYTE_0 src1_sel:DWORD
	v_mov_b32_e32 v16, 0
	s_and_saveexec_b64 s[2:3], s[0:1]
	s_cbranch_execz .LBB351_391
; %bb.386:                              ;   in Loop: Header=BB351_332 Depth=1
	v_cmp_ne_u16_sdwa s[0:1], v8, s38 src0_sel:BYTE_0 src1_sel:DWORD
	v_bfrev_b32_e32 v16, 1
	s_and_saveexec_b64 s[20:21], s[0:1]
	s_cbranch_execz .LBB351_390
; %bb.387:                              ;   in Loop: Header=BB351_332 Depth=1
	v_bfe_u32 v35, v6, 16, 7
	v_cmp_ne_u32_e64 s[0:1], s39, v35
	v_mov_b32_e32 v16, 0x7f800001
	s_and_saveexec_b64 s[22:23], s[0:1]
	s_cbranch_execz .LBB351_389
; %bb.388:                              ;   in Loop: Header=BB351_332 Depth=1
	v_and_b32_e32 v16, 7, v8
	v_ffbh_u32_e32 v38, v16
	v_min_u32_e32 v41, 32, v38
	v_subrev_u32_e32 v38, 28, v41
	v_lshlrev_b64 v[38:39], v38, v[8:9]
	v_lshrrev_b32_e32 v40, 3, v35
	v_sub_u32_e32 v39, 29, v41
	v_and_b32_e32 v38, 7, v38
	v_cmp_gt_u32_e64 s[0:1], 8, v35
	v_cndmask_b32_e64 v35, v40, v39, s[0:1]
	v_cndmask_b32_e64 v16, v16, v38, s[0:1]
	v_lshlrev_b32_e32 v8, 24, v8
	v_lshlrev_b32_e32 v16, 20, v16
	v_and_b32_e32 v8, 0x80000000, v8
	v_lshl_add_u32 v35, v35, 23, v27
	v_or3_b32 v16, v8, v35, v16
.LBB351_389:                            ;   in Loop: Header=BB351_332 Depth=1
	s_or_b64 exec, exec, s[22:23]
.LBB351_390:                            ;   in Loop: Header=BB351_332 Depth=1
	s_or_b64 exec, exec, s[20:21]
.LBB351_391:                            ;   in Loop: Header=BB351_332 Depth=1
	s_or_b64 exec, exec, s[2:3]
	v_mul_f32_e32 v8, s41, v16
	v_and_b32_e32 v16, 0x7f800000, v8
	v_cmp_ne_u32_e64 s[0:1], s36, v16
                                        ; implicit-def: $vgpr38
	s_and_saveexec_b64 s[2:3], s[0:1]
	s_xor_b64 s[0:1], exec, s[2:3]
; %bb.392:                              ;   in Loop: Header=BB351_332 Depth=1
	v_bfe_u32 v16, v8, 16, 1
	v_add3_u32 v38, v8, v16, s37
                                        ; implicit-def: $vgpr8
; %bb.393:                              ;   in Loop: Header=BB351_332 Depth=1
	s_andn2_saveexec_b64 s[2:3], s[0:1]
; %bb.394:                              ;   in Loop: Header=BB351_332 Depth=1
	v_or_b32_e32 v16, 0x10000, v8
	v_cmp_eq_u32_sdwa s[0:1], v8, v17 src0_sel:WORD_0 src1_sel:DWORD
	v_cndmask_b32_e64 v38, v16, v8, s[0:1]
; %bb.395:                              ;   in Loop: Header=BB351_332 Depth=1
	s_or_b64 exec, exec, s[2:3]
	v_cmp_lt_u32_e64 s[0:1], s13, v6
	v_mov_b32_e32 v16, 0
	s_and_saveexec_b64 s[2:3], s[0:1]
	s_cbranch_execz .LBB351_401
; %bb.396:                              ;   in Loop: Header=BB351_332 Depth=1
	v_lshrrev_b32_e32 v8, 24, v6
	v_cmp_ne_u32_e64 s[0:1], s38, v8
	v_bfrev_b32_e32 v16, 1
	s_and_saveexec_b64 s[20:21], s[0:1]
	s_cbranch_execz .LBB351_400
; %bb.397:                              ;   in Loop: Header=BB351_332 Depth=1
	v_bfe_u32 v35, v6, 24, 7
	v_cmp_ne_u32_e64 s[0:1], s39, v35
	v_mov_b32_e32 v16, 0x7f800001
	s_and_saveexec_b64 s[22:23], s[0:1]
	s_cbranch_execz .LBB351_399
; %bb.398:                              ;   in Loop: Header=BB351_332 Depth=1
	v_and_b32_e32 v16, 7, v8
	v_ffbh_u32_e32 v40, v16
	v_min_u32_e32 v42, 32, v40
	v_subrev_u32_e32 v40, 28, v42
	v_lshlrev_b64 v[40:41], v40, v[8:9]
	v_lshrrev_b32_e32 v39, 3, v35
	v_sub_u32_e32 v41, 29, v42
	v_and_b32_e32 v40, 7, v40
	v_cmp_gt_u32_e64 s[0:1], 8, v35
	v_cndmask_b32_e64 v35, v39, v41, s[0:1]
	v_cndmask_b32_e64 v16, v16, v40, s[0:1]
	v_lshlrev_b32_e32 v8, 24, v8
	v_lshlrev_b32_e32 v16, 20, v16
	v_and_b32_e32 v8, 0x80000000, v8
	v_lshl_add_u32 v35, v35, 23, v27
	v_or3_b32 v16, v8, v35, v16
.LBB351_399:                            ;   in Loop: Header=BB351_332 Depth=1
	s_or_b64 exec, exec, s[22:23]
.LBB351_400:                            ;   in Loop: Header=BB351_332 Depth=1
	s_or_b64 exec, exec, s[20:21]
.LBB351_401:                            ;   in Loop: Header=BB351_332 Depth=1
	s_or_b64 exec, exec, s[2:3]
	v_mul_f32_e32 v8, s41, v16
	v_and_b32_e32 v16, 0x7f800000, v8
	v_cmp_ne_u32_e64 s[0:1], s36, v16
                                        ; implicit-def: $vgpr39
	s_and_saveexec_b64 s[2:3], s[0:1]
	s_xor_b64 s[0:1], exec, s[2:3]
; %bb.402:                              ;   in Loop: Header=BB351_332 Depth=1
	v_bfe_u32 v16, v8, 16, 1
	v_add3_u32 v39, v8, v16, s37
                                        ; implicit-def: $vgpr8
; %bb.403:                              ;   in Loop: Header=BB351_332 Depth=1
	s_andn2_saveexec_b64 s[2:3], s[0:1]
; %bb.404:                              ;   in Loop: Header=BB351_332 Depth=1
	v_or_b32_e32 v16, 0x10000, v8
	v_cmp_eq_u32_sdwa s[0:1], v8, v17 src0_sel:WORD_0 src1_sel:DWORD
	v_cndmask_b32_e64 v39, v16, v8, s[0:1]
; %bb.405:                              ;   in Loop: Header=BB351_332 Depth=1
	s_or_b64 exec, exec, s[2:3]
	v_mov_b32_e32 v16, v7
	v_cmp_ne_u16_sdwa s[0:1], v7, v17 src0_sel:BYTE_0 src1_sel:DWORD
	v_mov_b32_e32 v8, 0
	s_and_saveexec_b64 s[2:3], s[0:1]
	s_cbranch_execz .LBB351_411
; %bb.406:                              ;   in Loop: Header=BB351_332 Depth=1
	v_cmp_ne_u16_sdwa s[0:1], v7, s38 src0_sel:BYTE_0 src1_sel:DWORD
	v_bfrev_b32_e32 v8, 1
	s_and_saveexec_b64 s[20:21], s[0:1]
	s_cbranch_execz .LBB351_410
; %bb.407:                              ;   in Loop: Header=BB351_332 Depth=1
	v_and_b32_e32 v35, 0x7f, v7
	v_cmp_ne_u32_e64 s[0:1], s39, v35
	v_mov_b32_e32 v8, 0x7f800001
	s_and_saveexec_b64 s[22:23], s[0:1]
	s_cbranch_execz .LBB351_409
; %bb.408:                              ;   in Loop: Header=BB351_332 Depth=1
	v_and_b32_e32 v8, 7, v7
	v_ffbh_u32_e32 v8, v8
	v_min_u32_e32 v8, 32, v8
	v_subrev_u32_e32 v41, 28, v8
	v_cmp_gt_u32_e64 s[0:1], 8, v35
	v_lshrrev_b32_e32 v40, 3, v35
	v_sub_u32_e32 v8, 29, v8
	v_cndmask_b32_e64 v35, 0, v41, s[0:1]
	v_cndmask_b32_e64 v8, v40, v8, s[0:1]
	v_lshlrev_b64 v[40:41], v35, v[16:17]
	v_lshlrev_b32_e32 v35, 20, v40
	v_lshlrev_b32_e32 v40, 24, v16
	v_and_b32_e32 v35, 0x700000, v35
	v_and_b32_e32 v40, 0x80000000, v40
	v_lshl_add_u32 v8, v8, 23, v27
	v_or3_b32 v8, v40, v8, v35
.LBB351_409:                            ;   in Loop: Header=BB351_332 Depth=1
	s_or_b64 exec, exec, s[22:23]
.LBB351_410:                            ;   in Loop: Header=BB351_332 Depth=1
	s_or_b64 exec, exec, s[20:21]
.LBB351_411:                            ;   in Loop: Header=BB351_332 Depth=1
	s_or_b64 exec, exec, s[2:3]
	v_mul_f32_e32 v8, s41, v8
	v_and_b32_e32 v35, 0x7f800000, v8
	v_cmp_ne_u32_e64 s[0:1], s36, v35
                                        ; implicit-def: $vgpr40
	s_and_saveexec_b64 s[2:3], s[0:1]
	s_xor_b64 s[0:1], exec, s[2:3]
; %bb.412:                              ;   in Loop: Header=BB351_332 Depth=1
	v_bfe_u32 v35, v8, 16, 1
	v_add3_u32 v40, v8, v35, s37
                                        ; implicit-def: $vgpr8
; %bb.413:                              ;   in Loop: Header=BB351_332 Depth=1
	s_andn2_saveexec_b64 s[2:3], s[0:1]
; %bb.414:                              ;   in Loop: Header=BB351_332 Depth=1
	v_or_b32_e32 v35, 0x10000, v8
	v_cmp_eq_u32_sdwa s[0:1], v8, v17 src0_sel:WORD_0 src1_sel:DWORD
	v_cndmask_b32_e64 v40, v35, v8, s[0:1]
; %bb.415:                              ;   in Loop: Header=BB351_332 Depth=1
	s_or_b64 exec, exec, s[2:3]
	v_lshrrev_b16_e32 v8, 8, v16
	v_cmp_ne_u16_e64 s[0:1], 0, v8
	v_mov_b32_e32 v35, 0
	s_and_saveexec_b64 s[2:3], s[0:1]
	s_cbranch_execz .LBB351_421
; %bb.416:                              ;   in Loop: Header=BB351_332 Depth=1
	v_cmp_ne_u16_e64 s[0:1], s38, v8
	v_bfrev_b32_e32 v35, 1
	s_and_saveexec_b64 s[20:21], s[0:1]
	s_cbranch_execz .LBB351_420
; %bb.417:                              ;   in Loop: Header=BB351_332 Depth=1
	v_and_b32_e32 v41, 0x7f, v8
	v_cmp_ne_u32_e64 s[0:1], s39, v41
	v_mov_b32_e32 v35, 0x7f800001
	s_and_saveexec_b64 s[22:23], s[0:1]
	s_cbranch_execz .LBB351_419
; %bb.418:                              ;   in Loop: Header=BB351_332 Depth=1
	v_and_b32_e32 v35, 7, v8
	v_ffbh_u32_e32 v42, v35
	v_min_u32_e32 v45, 32, v42
	v_subrev_u32_e32 v42, 28, v45
	v_lshlrev_b64 v[42:43], v42, v[8:9]
	v_lshrrev_b32_e32 v44, 3, v41
	v_sub_u32_e32 v8, 29, v45
	v_and_b32_e32 v42, 7, v42
	v_cmp_gt_u32_e64 s[0:1], 8, v41
	v_cndmask_b32_e64 v8, v44, v8, s[0:1]
	v_cndmask_b32_e64 v35, v35, v42, s[0:1]
	v_lshlrev_b32_e32 v16, 16, v16
	v_lshlrev_b32_e32 v35, 20, v35
	v_and_b32_e32 v16, 0x80000000, v16
	v_lshl_add_u32 v8, v8, 23, v27
	v_or3_b32 v35, v16, v8, v35
.LBB351_419:                            ;   in Loop: Header=BB351_332 Depth=1
	s_or_b64 exec, exec, s[22:23]
.LBB351_420:                            ;   in Loop: Header=BB351_332 Depth=1
	s_or_b64 exec, exec, s[20:21]
.LBB351_421:                            ;   in Loop: Header=BB351_332 Depth=1
	s_or_b64 exec, exec, s[2:3]
	v_mul_f32_e32 v8, s41, v35
	v_and_b32_e32 v16, 0x7f800000, v8
	v_cmp_ne_u32_e64 s[0:1], s36, v16
                                        ; implicit-def: $vgpr16
	s_and_saveexec_b64 s[2:3], s[0:1]
	s_xor_b64 s[0:1], exec, s[2:3]
; %bb.422:                              ;   in Loop: Header=BB351_332 Depth=1
	v_bfe_u32 v16, v8, 16, 1
	v_add3_u32 v16, v8, v16, s37
                                        ; implicit-def: $vgpr8
; %bb.423:                              ;   in Loop: Header=BB351_332 Depth=1
	s_andn2_saveexec_b64 s[2:3], s[0:1]
; %bb.424:                              ;   in Loop: Header=BB351_332 Depth=1
	v_or_b32_e32 v16, 0x10000, v8
	v_cmp_eq_u32_sdwa s[0:1], v8, v17 src0_sel:WORD_0 src1_sel:DWORD
	v_cndmask_b32_e64 v16, v16, v8, s[0:1]
; %bb.425:                              ;   in Loop: Header=BB351_332 Depth=1
	s_or_b64 exec, exec, s[2:3]
	v_lshrrev_b32_e32 v8, 16, v7
	v_cmp_ne_u16_sdwa s[0:1], v8, v17 src0_sel:BYTE_0 src1_sel:DWORD
	v_mov_b32_e32 v35, 0
	s_and_saveexec_b64 s[2:3], s[0:1]
	s_cbranch_execz .LBB351_431
; %bb.426:                              ;   in Loop: Header=BB351_332 Depth=1
	v_cmp_ne_u16_sdwa s[0:1], v8, s38 src0_sel:BYTE_0 src1_sel:DWORD
	v_bfrev_b32_e32 v35, 1
	s_and_saveexec_b64 s[20:21], s[0:1]
	s_cbranch_execz .LBB351_430
; %bb.427:                              ;   in Loop: Header=BB351_332 Depth=1
	v_bfe_u32 v41, v7, 16, 7
	v_cmp_ne_u32_e64 s[0:1], s39, v41
	v_mov_b32_e32 v35, 0x7f800001
	s_and_saveexec_b64 s[22:23], s[0:1]
	s_cbranch_execz .LBB351_429
; %bb.428:                              ;   in Loop: Header=BB351_332 Depth=1
	v_and_b32_e32 v35, 7, v8
	v_ffbh_u32_e32 v42, v35
	v_min_u32_e32 v45, 32, v42
	v_subrev_u32_e32 v42, 28, v45
	v_lshlrev_b64 v[42:43], v42, v[8:9]
	v_lshrrev_b32_e32 v44, 3, v41
	v_sub_u32_e32 v43, 29, v45
	v_and_b32_e32 v42, 7, v42
	v_cmp_gt_u32_e64 s[0:1], 8, v41
	v_cndmask_b32_e64 v41, v44, v43, s[0:1]
	v_cndmask_b32_e64 v35, v35, v42, s[0:1]
	v_lshlrev_b32_e32 v8, 24, v8
	v_lshlrev_b32_e32 v35, 20, v35
	v_and_b32_e32 v8, 0x80000000, v8
	v_lshl_add_u32 v41, v41, 23, v27
	v_or3_b32 v35, v8, v41, v35
.LBB351_429:                            ;   in Loop: Header=BB351_332 Depth=1
	s_or_b64 exec, exec, s[22:23]
.LBB351_430:                            ;   in Loop: Header=BB351_332 Depth=1
	s_or_b64 exec, exec, s[20:21]
.LBB351_431:                            ;   in Loop: Header=BB351_332 Depth=1
	s_or_b64 exec, exec, s[2:3]
	v_mul_f32_e32 v8, s41, v35
	v_and_b32_e32 v35, 0x7f800000, v8
	v_cmp_ne_u32_e64 s[0:1], s36, v35
                                        ; implicit-def: $vgpr41
	s_and_saveexec_b64 s[2:3], s[0:1]
	s_xor_b64 s[0:1], exec, s[2:3]
; %bb.432:                              ;   in Loop: Header=BB351_332 Depth=1
	v_bfe_u32 v35, v8, 16, 1
	v_add3_u32 v41, v8, v35, s37
                                        ; implicit-def: $vgpr8
; %bb.433:                              ;   in Loop: Header=BB351_332 Depth=1
	s_andn2_saveexec_b64 s[2:3], s[0:1]
; %bb.434:                              ;   in Loop: Header=BB351_332 Depth=1
	v_or_b32_e32 v35, 0x10000, v8
	v_cmp_eq_u32_sdwa s[0:1], v8, v17 src0_sel:WORD_0 src1_sel:DWORD
	v_cndmask_b32_e64 v41, v35, v8, s[0:1]
; %bb.435:                              ;   in Loop: Header=BB351_332 Depth=1
	s_or_b64 exec, exec, s[2:3]
	v_cmp_lt_u64_e64 s[0:1], s[12:13], v[6:7]
	v_mov_b32_e32 v8, 0
	s_and_saveexec_b64 s[2:3], s[0:1]
	s_cbranch_execz .LBB351_441
; %bb.436:                              ;   in Loop: Header=BB351_332 Depth=1
	v_lshrrev_b32_e32 v6, 24, v7
	v_cmp_ne_u32_e64 s[0:1], s38, v6
	v_bfrev_b32_e32 v8, 1
	s_and_saveexec_b64 s[20:21], s[0:1]
	s_cbranch_execz .LBB351_440
; %bb.437:                              ;   in Loop: Header=BB351_332 Depth=1
	v_bfe_u32 v7, v7, 24, 7
	v_cmp_ne_u32_e64 s[0:1], s39, v7
	v_mov_b32_e32 v8, 0x7f800001
	s_and_saveexec_b64 s[22:23], s[0:1]
	s_cbranch_execz .LBB351_439
; %bb.438:                              ;   in Loop: Header=BB351_332 Depth=1
	v_and_b32_e32 v8, 7, v6
	v_ffbh_u32_e32 v42, v8
	v_min_u32_e32 v44, 32, v42
	v_subrev_u32_e32 v42, 28, v44
	v_lshlrev_b64 v[42:43], v42, v[6:7]
	v_lshrrev_b32_e32 v35, 3, v7
	v_sub_u32_e32 v43, 29, v44
	v_and_b32_e32 v42, 7, v42
	v_cmp_gt_u32_e64 s[0:1], 8, v7
	v_cndmask_b32_e64 v7, v35, v43, s[0:1]
	v_cndmask_b32_e64 v8, v8, v42, s[0:1]
	v_lshlrev_b32_e32 v6, 24, v6
	v_lshlrev_b32_e32 v8, 20, v8
	v_and_b32_e32 v6, 0x80000000, v6
	v_lshl_add_u32 v7, v7, 23, v27
	v_or3_b32 v8, v6, v7, v8
.LBB351_439:                            ;   in Loop: Header=BB351_332 Depth=1
	s_or_b64 exec, exec, s[22:23]
.LBB351_440:                            ;   in Loop: Header=BB351_332 Depth=1
	s_or_b64 exec, exec, s[20:21]
.LBB351_441:                            ;   in Loop: Header=BB351_332 Depth=1
	s_or_b64 exec, exec, s[2:3]
	v_mul_f32_e32 v7, s41, v8
	v_and_b32_e32 v6, 0x7f800000, v7
	v_cmp_ne_u32_e64 s[0:1], s36, v6
                                        ; implicit-def: $vgpr6
	s_and_saveexec_b64 s[2:3], s[0:1]
	s_xor_b64 s[0:1], exec, s[2:3]
; %bb.442:                              ;   in Loop: Header=BB351_332 Depth=1
	v_bfe_u32 v6, v7, 16, 1
	v_add3_u32 v6, v7, v6, s37
                                        ; implicit-def: $vgpr7
; %bb.443:                              ;   in Loop: Header=BB351_332 Depth=1
	s_andn2_saveexec_b64 s[2:3], s[0:1]
; %bb.444:                              ;   in Loop: Header=BB351_332 Depth=1
	v_or_b32_e32 v6, 0x10000, v7
	v_cmp_eq_u32_sdwa s[0:1], v7, v17 src0_sel:WORD_0 src1_sel:DWORD
	v_cndmask_b32_e64 v6, v6, v7, s[0:1]
; %bb.445:                              ;   in Loop: Header=BB351_332 Depth=1
	s_or_b64 exec, exec, s[2:3]
	v_cmp_eq_u32_e64 s[0:1], s40, v14
	v_add_u32_e32 v35, v25, v1
	v_lshrrev_b32_e32 v8, 16, v16
	v_lshrrev_b32_e32 v16, 16, v40
	v_lshrrev_b32_e32 v40, 16, v39
	v_lshrrev_b32_e32 v39, 16, v38
	v_lshrrev_b32_e32 v38, 16, v37
	v_lshrrev_b32_e32 v9, 16, v9
	v_lshrrev_b32_e32 v7, 16, v41
	v_lshrrev_b32_e32 v6, 16, v6
	s_and_saveexec_b64 s[20:21], s[0:1]
	s_cbranch_execz .LBB351_447
; %bb.446:                              ;   in Loop: Header=BB351_332 Depth=1
	v_cmp_gt_i32_e64 s[2:3], s33, v35
	v_add_u32_e32 v37, 1, v35
	v_cndmask_b32_e64 v9, 0, v9, s[2:3]
	v_cmp_gt_i32_e64 s[2:3], s33, v37
	v_add_u32_e32 v37, 2, v35
	v_cndmask_b32_e64 v38, 0, v38, s[2:3]
	;; [unrolled: 3-line block ×7, first 2 shown]
	v_cmp_gt_i32_e64 s[2:3], s33, v37
	v_cndmask_b32_e64 v6, 0, v6, s[2:3]
.LBB351_447:                            ;   in Loop: Header=BB351_332 Depth=1
	s_or_b64 exec, exec, s[20:21]
	v_and_b32_e32 v36, 0xffff0000, v36
	v_lshlrev_b32_e32 v9, 16, v9
	v_mul_f32_e32 v37, v36, v9
	v_and_b32_e32 v9, 0x7f800000, v37
	v_cmp_ne_u32_e64 s[2:3], s36, v9
                                        ; implicit-def: $vgpr9
	s_and_saveexec_b64 s[20:21], s[2:3]
	s_xor_b64 s[2:3], exec, s[20:21]
; %bb.448:                              ;   in Loop: Header=BB351_332 Depth=1
	v_bfe_u32 v9, v37, 16, 1
	v_add3_u32 v9, v37, v9, s37
                                        ; implicit-def: $vgpr37
; %bb.449:                              ;   in Loop: Header=BB351_332 Depth=1
	s_andn2_saveexec_b64 s[20:21], s[2:3]
; %bb.450:                              ;   in Loop: Header=BB351_332 Depth=1
	v_or_b32_e32 v9, 0x10000, v37
	v_cmp_eq_u32_sdwa s[2:3], v37, v17 src0_sel:WORD_0 src1_sel:DWORD
	v_cndmask_b32_e64 v9, v9, v37, s[2:3]
; %bb.451:                              ;   in Loop: Header=BB351_332 Depth=1
	s_or_b64 exec, exec, s[20:21]
	v_and_b32_e32 v37, 0xffff0000, v28
	v_lshlrev_b32_e32 v28, 16, v38
	v_mul_f32_e32 v38, v37, v28
	v_and_b32_e32 v28, 0x7f800000, v38
	v_cmp_ne_u32_e64 s[2:3], s36, v28
                                        ; implicit-def: $vgpr28
	s_and_saveexec_b64 s[20:21], s[2:3]
	s_xor_b64 s[2:3], exec, s[20:21]
; %bb.452:                              ;   in Loop: Header=BB351_332 Depth=1
	v_bfe_u32 v28, v38, 16, 1
	v_add3_u32 v28, v38, v28, s37
                                        ; implicit-def: $vgpr38
; %bb.453:                              ;   in Loop: Header=BB351_332 Depth=1
	s_andn2_saveexec_b64 s[20:21], s[2:3]
; %bb.454:                              ;   in Loop: Header=BB351_332 Depth=1
	v_or_b32_e32 v28, 0x10000, v38
	v_cmp_eq_u32_sdwa s[2:3], v38, v17 src0_sel:WORD_0 src1_sel:DWORD
	v_cndmask_b32_e64 v28, v28, v38, s[2:3]
; %bb.455:                              ;   in Loop: Header=BB351_332 Depth=1
	s_or_b64 exec, exec, s[20:21]
	v_and_b32_e32 v38, 0xffff0000, v29
	v_lshlrev_b32_e32 v29, 16, v39
	v_mul_f32_e32 v39, v38, v29
	v_and_b32_e32 v29, 0x7f800000, v39
	v_cmp_ne_u32_e64 s[2:3], s36, v29
                                        ; implicit-def: $vgpr29
	s_and_saveexec_b64 s[20:21], s[2:3]
	s_xor_b64 s[2:3], exec, s[20:21]
; %bb.456:                              ;   in Loop: Header=BB351_332 Depth=1
	v_bfe_u32 v29, v39, 16, 1
	v_add3_u32 v29, v39, v29, s37
                                        ; implicit-def: $vgpr39
; %bb.457:                              ;   in Loop: Header=BB351_332 Depth=1
	s_andn2_saveexec_b64 s[20:21], s[2:3]
; %bb.458:                              ;   in Loop: Header=BB351_332 Depth=1
	v_or_b32_e32 v29, 0x10000, v39
	v_cmp_eq_u32_sdwa s[2:3], v39, v17 src0_sel:WORD_0 src1_sel:DWORD
	v_cndmask_b32_e64 v29, v29, v39, s[2:3]
; %bb.459:                              ;   in Loop: Header=BB351_332 Depth=1
	s_or_b64 exec, exec, s[20:21]
	v_and_b32_e32 v39, 0xffff0000, v30
	v_lshlrev_b32_e32 v30, 16, v40
	v_mul_f32_e32 v40, v39, v30
	v_and_b32_e32 v30, 0x7f800000, v40
	v_cmp_ne_u32_e64 s[2:3], s36, v30
                                        ; implicit-def: $vgpr30
	s_and_saveexec_b64 s[20:21], s[2:3]
	s_xor_b64 s[2:3], exec, s[20:21]
; %bb.460:                              ;   in Loop: Header=BB351_332 Depth=1
	v_bfe_u32 v30, v40, 16, 1
	v_add3_u32 v30, v40, v30, s37
                                        ; implicit-def: $vgpr40
; %bb.461:                              ;   in Loop: Header=BB351_332 Depth=1
	s_andn2_saveexec_b64 s[20:21], s[2:3]
; %bb.462:                              ;   in Loop: Header=BB351_332 Depth=1
	v_or_b32_e32 v30, 0x10000, v40
	v_cmp_eq_u32_sdwa s[2:3], v40, v17 src0_sel:WORD_0 src1_sel:DWORD
	v_cndmask_b32_e64 v30, v30, v40, s[2:3]
; %bb.463:                              ;   in Loop: Header=BB351_332 Depth=1
	s_or_b64 exec, exec, s[20:21]
	v_and_b32_e32 v40, 0xffff0000, v31
	v_lshlrev_b32_e32 v16, 16, v16
	v_mul_f32_e32 v16, v40, v16
	v_and_b32_e32 v31, 0x7f800000, v16
	v_cmp_ne_u32_e64 s[2:3], s36, v31
                                        ; implicit-def: $vgpr31
	s_and_saveexec_b64 s[20:21], s[2:3]
	s_xor_b64 s[2:3], exec, s[20:21]
; %bb.464:                              ;   in Loop: Header=BB351_332 Depth=1
	v_bfe_u32 v31, v16, 16, 1
	v_add3_u32 v31, v16, v31, s37
                                        ; implicit-def: $vgpr16
; %bb.465:                              ;   in Loop: Header=BB351_332 Depth=1
	s_andn2_saveexec_b64 s[20:21], s[2:3]
; %bb.466:                              ;   in Loop: Header=BB351_332 Depth=1
	v_or_b32_e32 v31, 0x10000, v16
	v_cmp_eq_u32_sdwa s[2:3], v16, v17 src0_sel:WORD_0 src1_sel:DWORD
	v_cndmask_b32_e64 v31, v31, v16, s[2:3]
; %bb.467:                              ;   in Loop: Header=BB351_332 Depth=1
	s_or_b64 exec, exec, s[20:21]
	v_and_b32_e32 v41, 0xffff0000, v32
	v_lshlrev_b32_e32 v8, 16, v8
	v_mul_f32_e32 v8, v41, v8
	v_and_b32_e32 v16, 0x7f800000, v8
	v_cmp_ne_u32_e64 s[2:3], s36, v16
                                        ; implicit-def: $vgpr32
	s_and_saveexec_b64 s[20:21], s[2:3]
	s_xor_b64 s[2:3], exec, s[20:21]
; %bb.468:                              ;   in Loop: Header=BB351_332 Depth=1
	v_bfe_u32 v16, v8, 16, 1
	v_add3_u32 v32, v8, v16, s37
                                        ; implicit-def: $vgpr8
; %bb.469:                              ;   in Loop: Header=BB351_332 Depth=1
	s_andn2_saveexec_b64 s[20:21], s[2:3]
; %bb.470:                              ;   in Loop: Header=BB351_332 Depth=1
	v_or_b32_e32 v16, 0x10000, v8
	v_cmp_eq_u32_sdwa s[2:3], v8, v17 src0_sel:WORD_0 src1_sel:DWORD
	v_cndmask_b32_e64 v32, v16, v8, s[2:3]
; %bb.471:                              ;   in Loop: Header=BB351_332 Depth=1
	s_or_b64 exec, exec, s[20:21]
	v_and_b32_e32 v42, 0xffff0000, v33
	v_lshlrev_b32_e32 v7, 16, v7
	v_mul_f32_e32 v7, v42, v7
	v_and_b32_e32 v8, 0x7f800000, v7
	v_cmp_ne_u32_e64 s[2:3], s36, v8
                                        ; implicit-def: $vgpr33
	s_and_saveexec_b64 s[20:21], s[2:3]
	s_xor_b64 s[2:3], exec, s[20:21]
; %bb.472:                              ;   in Loop: Header=BB351_332 Depth=1
	v_bfe_u32 v8, v7, 16, 1
	v_add3_u32 v33, v7, v8, s37
                                        ; implicit-def: $vgpr7
; %bb.473:                              ;   in Loop: Header=BB351_332 Depth=1
	s_andn2_saveexec_b64 s[20:21], s[2:3]
; %bb.474:                              ;   in Loop: Header=BB351_332 Depth=1
	v_or_b32_e32 v8, 0x10000, v7
	v_cmp_eq_u32_sdwa s[2:3], v7, v17 src0_sel:WORD_0 src1_sel:DWORD
	v_cndmask_b32_e64 v33, v8, v7, s[2:3]
; %bb.475:                              ;   in Loop: Header=BB351_332 Depth=1
	s_or_b64 exec, exec, s[20:21]
	v_and_b32_e32 v43, 0xffff0000, v34
	v_lshlrev_b32_e32 v6, 16, v6
	v_mul_f32_e32 v6, v43, v6
	v_and_b32_e32 v7, 0x7f800000, v6
	v_cmp_ne_u32_e64 s[2:3], s36, v7
                                        ; implicit-def: $vgpr34
	s_and_saveexec_b64 s[20:21], s[2:3]
	s_xor_b64 s[2:3], exec, s[20:21]
; %bb.476:                              ;   in Loop: Header=BB351_332 Depth=1
	v_bfe_u32 v7, v6, 16, 1
	v_add3_u32 v34, v6, v7, s37
                                        ; implicit-def: $vgpr6
; %bb.477:                              ;   in Loop: Header=BB351_332 Depth=1
	s_andn2_saveexec_b64 s[20:21], s[2:3]
; %bb.478:                              ;   in Loop: Header=BB351_332 Depth=1
	v_or_b32_e32 v7, 0x10000, v6
	v_cmp_eq_u32_sdwa s[2:3], v6, v17 src0_sel:WORD_0 src1_sel:DWORD
	v_cndmask_b32_e64 v34, v7, v6, s[2:3]
; %bb.479:                              ;   in Loop: Header=BB351_332 Depth=1
	s_or_b64 exec, exec, s[20:21]
	global_load_dwordx2 v[6:7], v[4:5], off offset:512
	v_mov_b32_e32 v8, 0
	s_waitcnt vmcnt(0)
	v_cmp_ne_u16_sdwa s[2:3], v6, v17 src0_sel:BYTE_0 src1_sel:DWORD
	s_and_saveexec_b64 s[20:21], s[2:3]
	s_cbranch_execz .LBB351_485
; %bb.480:                              ;   in Loop: Header=BB351_332 Depth=1
	v_cmp_ne_u16_sdwa s[2:3], v6, s38 src0_sel:BYTE_0 src1_sel:DWORD
	v_bfrev_b32_e32 v8, 1
	s_and_saveexec_b64 s[22:23], s[2:3]
	s_cbranch_execz .LBB351_484
; %bb.481:                              ;   in Loop: Header=BB351_332 Depth=1
	v_and_b32_e32 v16, 0x7f, v6
	v_cmp_ne_u32_e64 s[2:3], s39, v16
	v_mov_b32_e32 v8, 0x7f800001
	s_and_saveexec_b64 s[24:25], s[2:3]
	s_cbranch_execz .LBB351_483
; %bb.482:                              ;   in Loop: Header=BB351_332 Depth=1
	v_and_b32_e32 v8, 7, v6
	v_ffbh_u32_e32 v8, v8
	v_min_u32_e32 v8, 32, v8
	v_subrev_u32_e32 v45, 28, v8
	v_cmp_gt_u32_e64 s[2:3], 8, v16
	v_lshrrev_b32_e32 v44, 3, v16
	v_sub_u32_e32 v8, 29, v8
	v_cndmask_b32_e64 v16, 0, v45, s[2:3]
	v_cndmask_b32_e64 v8, v44, v8, s[2:3]
	v_lshlrev_b64 v[44:45], v16, v[6:7]
	v_lshlrev_b32_e32 v16, 20, v44
	v_lshlrev_b32_e32 v44, 24, v6
	v_and_b32_e32 v16, 0x700000, v16
	v_and_b32_e32 v44, 0x80000000, v44
	v_lshl_add_u32 v8, v8, 23, v27
	v_or3_b32 v8, v44, v8, v16
.LBB351_483:                            ;   in Loop: Header=BB351_332 Depth=1
	s_or_b64 exec, exec, s[24:25]
.LBB351_484:                            ;   in Loop: Header=BB351_332 Depth=1
	s_or_b64 exec, exec, s[22:23]
.LBB351_485:                            ;   in Loop: Header=BB351_332 Depth=1
	s_or_b64 exec, exec, s[20:21]
	v_mul_f32_e32 v8, s41, v8
	v_and_b32_e32 v16, 0x7f800000, v8
	v_cmp_ne_u32_e64 s[2:3], s36, v16
                                        ; implicit-def: $vgpr44
	s_and_saveexec_b64 s[20:21], s[2:3]
	s_xor_b64 s[2:3], exec, s[20:21]
; %bb.486:                              ;   in Loop: Header=BB351_332 Depth=1
	v_bfe_u32 v16, v8, 16, 1
	v_add3_u32 v44, v8, v16, s37
                                        ; implicit-def: $vgpr8
; %bb.487:                              ;   in Loop: Header=BB351_332 Depth=1
	s_andn2_saveexec_b64 s[20:21], s[2:3]
; %bb.488:                              ;   in Loop: Header=BB351_332 Depth=1
	v_or_b32_e32 v16, 0x10000, v8
	v_cmp_eq_u32_sdwa s[2:3], v8, v17 src0_sel:WORD_0 src1_sel:DWORD
	v_cndmask_b32_e64 v44, v16, v8, s[2:3]
; %bb.489:                              ;   in Loop: Header=BB351_332 Depth=1
	s_or_b64 exec, exec, s[20:21]
	v_lshrrev_b16_e32 v8, 8, v6
	v_cmp_ne_u16_e64 s[2:3], 0, v8
	v_mov_b32_e32 v16, 0
	s_and_saveexec_b64 s[20:21], s[2:3]
	s_cbranch_execz .LBB351_495
; %bb.490:                              ;   in Loop: Header=BB351_332 Depth=1
	v_cmp_ne_u16_e64 s[2:3], s38, v8
	v_bfrev_b32_e32 v16, 1
	s_and_saveexec_b64 s[22:23], s[2:3]
	s_cbranch_execz .LBB351_494
; %bb.491:                              ;   in Loop: Header=BB351_332 Depth=1
	v_and_b32_e32 v45, 0x7f, v8
	v_cmp_ne_u32_e64 s[2:3], s39, v45
	v_mov_b32_e32 v16, 0x7f800001
	s_and_saveexec_b64 s[24:25], s[2:3]
	s_cbranch_execz .LBB351_493
; %bb.492:                              ;   in Loop: Header=BB351_332 Depth=1
	v_and_b32_e32 v16, 7, v8
	v_ffbh_u32_e32 v46, v16
	v_min_u32_e32 v49, 32, v46
	v_subrev_u32_e32 v46, 28, v49
	v_lshlrev_b64 v[46:47], v46, v[8:9]
	v_lshrrev_b32_e32 v48, 3, v45
	v_sub_u32_e32 v8, 29, v49
	v_and_b32_e32 v46, 7, v46
	v_cmp_gt_u32_e64 s[2:3], 8, v45
	v_cndmask_b32_e64 v8, v48, v8, s[2:3]
	v_cndmask_b32_e64 v16, v16, v46, s[2:3]
	v_lshlrev_b32_e32 v45, 16, v6
	v_lshlrev_b32_e32 v16, 20, v16
	v_and_b32_e32 v45, 0x80000000, v45
	v_lshl_add_u32 v8, v8, 23, v27
	v_or3_b32 v16, v45, v8, v16
.LBB351_493:                            ;   in Loop: Header=BB351_332 Depth=1
	s_or_b64 exec, exec, s[24:25]
.LBB351_494:                            ;   in Loop: Header=BB351_332 Depth=1
	s_or_b64 exec, exec, s[22:23]
.LBB351_495:                            ;   in Loop: Header=BB351_332 Depth=1
	s_or_b64 exec, exec, s[20:21]
	v_mul_f32_e32 v8, s41, v16
	v_and_b32_e32 v16, 0x7f800000, v8
	v_cmp_ne_u32_e64 s[2:3], s36, v16
                                        ; implicit-def: $vgpr45
	s_and_saveexec_b64 s[20:21], s[2:3]
	s_xor_b64 s[2:3], exec, s[20:21]
; %bb.496:                              ;   in Loop: Header=BB351_332 Depth=1
	v_bfe_u32 v16, v8, 16, 1
	v_add3_u32 v45, v8, v16, s37
                                        ; implicit-def: $vgpr8
; %bb.497:                              ;   in Loop: Header=BB351_332 Depth=1
	s_andn2_saveexec_b64 s[20:21], s[2:3]
; %bb.498:                              ;   in Loop: Header=BB351_332 Depth=1
	v_or_b32_e32 v16, 0x10000, v8
	v_cmp_eq_u32_sdwa s[2:3], v8, v17 src0_sel:WORD_0 src1_sel:DWORD
	v_cndmask_b32_e64 v45, v16, v8, s[2:3]
; %bb.499:                              ;   in Loop: Header=BB351_332 Depth=1
	s_or_b64 exec, exec, s[20:21]
	v_lshrrev_b32_e32 v8, 16, v6
	v_cmp_ne_u16_sdwa s[2:3], v8, v17 src0_sel:BYTE_0 src1_sel:DWORD
	v_mov_b32_e32 v16, 0
	s_and_saveexec_b64 s[20:21], s[2:3]
	s_cbranch_execz .LBB351_505
; %bb.500:                              ;   in Loop: Header=BB351_332 Depth=1
	v_cmp_ne_u16_sdwa s[2:3], v8, s38 src0_sel:BYTE_0 src1_sel:DWORD
	v_bfrev_b32_e32 v16, 1
	s_and_saveexec_b64 s[22:23], s[2:3]
	s_cbranch_execz .LBB351_504
; %bb.501:                              ;   in Loop: Header=BB351_332 Depth=1
	v_bfe_u32 v46, v6, 16, 7
	v_cmp_ne_u32_e64 s[2:3], s39, v46
	v_mov_b32_e32 v16, 0x7f800001
	s_and_saveexec_b64 s[24:25], s[2:3]
	s_cbranch_execz .LBB351_503
; %bb.502:                              ;   in Loop: Header=BB351_332 Depth=1
	v_and_b32_e32 v16, 7, v8
	v_ffbh_u32_e32 v48, v16
	v_min_u32_e32 v50, 32, v48
	v_subrev_u32_e32 v48, 28, v50
	v_lshlrev_b64 v[48:49], v48, v[8:9]
	v_lshrrev_b32_e32 v47, 3, v46
	v_sub_u32_e32 v49, 29, v50
	v_and_b32_e32 v48, 7, v48
	v_cmp_gt_u32_e64 s[2:3], 8, v46
	v_cndmask_b32_e64 v46, v47, v49, s[2:3]
	v_cndmask_b32_e64 v16, v16, v48, s[2:3]
	v_lshlrev_b32_e32 v8, 24, v8
	v_lshlrev_b32_e32 v16, 20, v16
	v_and_b32_e32 v8, 0x80000000, v8
	v_lshl_add_u32 v46, v46, 23, v27
	v_or3_b32 v16, v8, v46, v16
.LBB351_503:                            ;   in Loop: Header=BB351_332 Depth=1
	s_or_b64 exec, exec, s[24:25]
.LBB351_504:                            ;   in Loop: Header=BB351_332 Depth=1
	s_or_b64 exec, exec, s[22:23]
.LBB351_505:                            ;   in Loop: Header=BB351_332 Depth=1
	s_or_b64 exec, exec, s[20:21]
	v_mul_f32_e32 v8, s41, v16
	v_and_b32_e32 v16, 0x7f800000, v8
	v_cmp_ne_u32_e64 s[2:3], s36, v16
                                        ; implicit-def: $vgpr46
	s_and_saveexec_b64 s[20:21], s[2:3]
	s_xor_b64 s[2:3], exec, s[20:21]
; %bb.506:                              ;   in Loop: Header=BB351_332 Depth=1
	v_bfe_u32 v16, v8, 16, 1
	v_add3_u32 v46, v8, v16, s37
                                        ; implicit-def: $vgpr8
; %bb.507:                              ;   in Loop: Header=BB351_332 Depth=1
	s_andn2_saveexec_b64 s[20:21], s[2:3]
; %bb.508:                              ;   in Loop: Header=BB351_332 Depth=1
	v_or_b32_e32 v16, 0x10000, v8
	v_cmp_eq_u32_sdwa s[2:3], v8, v17 src0_sel:WORD_0 src1_sel:DWORD
	v_cndmask_b32_e64 v46, v16, v8, s[2:3]
; %bb.509:                              ;   in Loop: Header=BB351_332 Depth=1
	s_or_b64 exec, exec, s[20:21]
	v_cmp_lt_u32_e64 s[2:3], s13, v6
	v_mov_b32_e32 v16, 0
	s_and_saveexec_b64 s[20:21], s[2:3]
	s_cbranch_execz .LBB351_515
; %bb.510:                              ;   in Loop: Header=BB351_332 Depth=1
	v_lshrrev_b32_e32 v8, 24, v6
	v_cmp_ne_u32_e64 s[2:3], s38, v8
	v_bfrev_b32_e32 v16, 1
	s_and_saveexec_b64 s[22:23], s[2:3]
	s_cbranch_execz .LBB351_514
; %bb.511:                              ;   in Loop: Header=BB351_332 Depth=1
	v_bfe_u32 v47, v6, 24, 7
	v_cmp_ne_u32_e64 s[2:3], s39, v47
	v_mov_b32_e32 v16, 0x7f800001
	s_and_saveexec_b64 s[24:25], s[2:3]
	s_cbranch_execz .LBB351_513
; %bb.512:                              ;   in Loop: Header=BB351_332 Depth=1
	v_and_b32_e32 v16, 7, v8
	v_ffbh_u32_e32 v48, v16
	v_min_u32_e32 v51, 32, v48
	v_subrev_u32_e32 v48, 28, v51
	v_lshlrev_b64 v[48:49], v48, v[8:9]
	v_lshrrev_b32_e32 v50, 3, v47
	v_sub_u32_e32 v49, 29, v51
	v_and_b32_e32 v48, 7, v48
	v_cmp_gt_u32_e64 s[2:3], 8, v47
	v_cndmask_b32_e64 v47, v50, v49, s[2:3]
	v_cndmask_b32_e64 v16, v16, v48, s[2:3]
	v_lshlrev_b32_e32 v8, 24, v8
	v_lshlrev_b32_e32 v16, 20, v16
	v_and_b32_e32 v8, 0x80000000, v8
	v_lshl_add_u32 v47, v47, 23, v27
	v_or3_b32 v16, v8, v47, v16
.LBB351_513:                            ;   in Loop: Header=BB351_332 Depth=1
	s_or_b64 exec, exec, s[24:25]
.LBB351_514:                            ;   in Loop: Header=BB351_332 Depth=1
	s_or_b64 exec, exec, s[22:23]
.LBB351_515:                            ;   in Loop: Header=BB351_332 Depth=1
	s_or_b64 exec, exec, s[20:21]
	v_mul_f32_e32 v8, s41, v16
	v_and_b32_e32 v16, 0x7f800000, v8
	v_cmp_ne_u32_e64 s[2:3], s36, v16
                                        ; implicit-def: $vgpr47
	s_and_saveexec_b64 s[20:21], s[2:3]
	s_xor_b64 s[2:3], exec, s[20:21]
; %bb.516:                              ;   in Loop: Header=BB351_332 Depth=1
	v_bfe_u32 v16, v8, 16, 1
	v_add3_u32 v47, v8, v16, s37
                                        ; implicit-def: $vgpr8
; %bb.517:                              ;   in Loop: Header=BB351_332 Depth=1
	s_andn2_saveexec_b64 s[20:21], s[2:3]
; %bb.518:                              ;   in Loop: Header=BB351_332 Depth=1
	v_or_b32_e32 v16, 0x10000, v8
	v_cmp_eq_u32_sdwa s[2:3], v8, v17 src0_sel:WORD_0 src1_sel:DWORD
	v_cndmask_b32_e64 v47, v16, v8, s[2:3]
; %bb.519:                              ;   in Loop: Header=BB351_332 Depth=1
	s_or_b64 exec, exec, s[20:21]
	v_mov_b32_e32 v16, v7
	v_cmp_ne_u16_sdwa s[2:3], v7, v17 src0_sel:BYTE_0 src1_sel:DWORD
	v_mov_b32_e32 v8, 0
	s_and_saveexec_b64 s[20:21], s[2:3]
	s_cbranch_execz .LBB351_525
; %bb.520:                              ;   in Loop: Header=BB351_332 Depth=1
	v_cmp_ne_u16_sdwa s[2:3], v7, s38 src0_sel:BYTE_0 src1_sel:DWORD
	v_bfrev_b32_e32 v8, 1
	s_and_saveexec_b64 s[22:23], s[2:3]
	s_cbranch_execz .LBB351_524
; %bb.521:                              ;   in Loop: Header=BB351_332 Depth=1
	v_and_b32_e32 v48, 0x7f, v7
	v_cmp_ne_u32_e64 s[2:3], s39, v48
	v_mov_b32_e32 v8, 0x7f800001
	s_and_saveexec_b64 s[24:25], s[2:3]
	s_cbranch_execz .LBB351_523
; %bb.522:                              ;   in Loop: Header=BB351_332 Depth=1
	v_and_b32_e32 v8, 7, v7
	v_ffbh_u32_e32 v8, v8
	v_min_u32_e32 v8, 32, v8
	v_subrev_u32_e32 v50, 28, v8
	v_cmp_gt_u32_e64 s[2:3], 8, v48
	v_lshrrev_b32_e32 v49, 3, v48
	v_sub_u32_e32 v8, 29, v8
	v_cndmask_b32_e64 v48, 0, v50, s[2:3]
	v_cndmask_b32_e64 v8, v49, v8, s[2:3]
	v_lshlrev_b64 v[48:49], v48, v[16:17]
	v_lshlrev_b32_e32 v48, 20, v48
	v_lshlrev_b32_e32 v49, 24, v16
	v_and_b32_e32 v48, 0x700000, v48
	v_and_b32_e32 v49, 0x80000000, v49
	v_lshl_add_u32 v8, v8, 23, v27
	v_or3_b32 v8, v49, v8, v48
.LBB351_523:                            ;   in Loop: Header=BB351_332 Depth=1
	s_or_b64 exec, exec, s[24:25]
.LBB351_524:                            ;   in Loop: Header=BB351_332 Depth=1
	s_or_b64 exec, exec, s[22:23]
.LBB351_525:                            ;   in Loop: Header=BB351_332 Depth=1
	s_or_b64 exec, exec, s[20:21]
	v_mul_f32_e32 v8, s41, v8
	v_and_b32_e32 v48, 0x7f800000, v8
	v_cmp_ne_u32_e64 s[2:3], s36, v48
                                        ; implicit-def: $vgpr48
	s_and_saveexec_b64 s[20:21], s[2:3]
	s_xor_b64 s[2:3], exec, s[20:21]
; %bb.526:                              ;   in Loop: Header=BB351_332 Depth=1
	v_bfe_u32 v48, v8, 16, 1
	v_add3_u32 v48, v8, v48, s37
                                        ; implicit-def: $vgpr8
; %bb.527:                              ;   in Loop: Header=BB351_332 Depth=1
	s_andn2_saveexec_b64 s[20:21], s[2:3]
; %bb.528:                              ;   in Loop: Header=BB351_332 Depth=1
	v_or_b32_e32 v48, 0x10000, v8
	v_cmp_eq_u32_sdwa s[2:3], v8, v17 src0_sel:WORD_0 src1_sel:DWORD
	v_cndmask_b32_e64 v48, v48, v8, s[2:3]
; %bb.529:                              ;   in Loop: Header=BB351_332 Depth=1
	s_or_b64 exec, exec, s[20:21]
	v_lshrrev_b16_e32 v8, 8, v16
	v_cmp_ne_u16_e64 s[2:3], 0, v8
	v_mov_b32_e32 v49, 0
	s_and_saveexec_b64 s[20:21], s[2:3]
	s_cbranch_execz .LBB351_535
; %bb.530:                              ;   in Loop: Header=BB351_332 Depth=1
	v_cmp_ne_u16_e64 s[2:3], s38, v8
	v_bfrev_b32_e32 v49, 1
	s_and_saveexec_b64 s[22:23], s[2:3]
	s_cbranch_execz .LBB351_534
; %bb.531:                              ;   in Loop: Header=BB351_332 Depth=1
	v_and_b32_e32 v50, 0x7f, v8
	v_cmp_ne_u32_e64 s[2:3], s39, v50
	v_mov_b32_e32 v49, 0x7f800001
	s_and_saveexec_b64 s[24:25], s[2:3]
	s_cbranch_execz .LBB351_533
; %bb.532:                              ;   in Loop: Header=BB351_332 Depth=1
	v_and_b32_e32 v49, 7, v8
	v_ffbh_u32_e32 v52, v49
	v_min_u32_e32 v54, 32, v52
	v_subrev_u32_e32 v52, 28, v54
	v_lshlrev_b64 v[52:53], v52, v[8:9]
	v_lshrrev_b32_e32 v51, 3, v50
	v_sub_u32_e32 v8, 29, v54
	v_and_b32_e32 v52, 7, v52
	v_cmp_gt_u32_e64 s[2:3], 8, v50
	v_cndmask_b32_e64 v8, v51, v8, s[2:3]
	v_cndmask_b32_e64 v49, v49, v52, s[2:3]
	v_lshlrev_b32_e32 v16, 16, v16
	v_lshlrev_b32_e32 v49, 20, v49
	v_and_b32_e32 v16, 0x80000000, v16
	v_lshl_add_u32 v8, v8, 23, v27
	v_or3_b32 v49, v16, v8, v49
.LBB351_533:                            ;   in Loop: Header=BB351_332 Depth=1
	s_or_b64 exec, exec, s[24:25]
.LBB351_534:                            ;   in Loop: Header=BB351_332 Depth=1
	s_or_b64 exec, exec, s[22:23]
.LBB351_535:                            ;   in Loop: Header=BB351_332 Depth=1
	s_or_b64 exec, exec, s[20:21]
	v_mul_f32_e32 v8, s41, v49
	v_and_b32_e32 v16, 0x7f800000, v8
	v_cmp_ne_u32_e64 s[2:3], s36, v16
                                        ; implicit-def: $vgpr16
	s_and_saveexec_b64 s[20:21], s[2:3]
	s_xor_b64 s[2:3], exec, s[20:21]
; %bb.536:                              ;   in Loop: Header=BB351_332 Depth=1
	v_bfe_u32 v16, v8, 16, 1
	v_add3_u32 v16, v8, v16, s37
                                        ; implicit-def: $vgpr8
; %bb.537:                              ;   in Loop: Header=BB351_332 Depth=1
	s_andn2_saveexec_b64 s[20:21], s[2:3]
; %bb.538:                              ;   in Loop: Header=BB351_332 Depth=1
	v_or_b32_e32 v16, 0x10000, v8
	v_cmp_eq_u32_sdwa s[2:3], v8, v17 src0_sel:WORD_0 src1_sel:DWORD
	v_cndmask_b32_e64 v16, v16, v8, s[2:3]
; %bb.539:                              ;   in Loop: Header=BB351_332 Depth=1
	s_or_b64 exec, exec, s[20:21]
	v_lshrrev_b32_e32 v8, 16, v7
	v_cmp_ne_u16_sdwa s[2:3], v8, v17 src0_sel:BYTE_0 src1_sel:DWORD
	v_mov_b32_e32 v49, 0
	s_and_saveexec_b64 s[20:21], s[2:3]
	s_cbranch_execz .LBB351_545
; %bb.540:                              ;   in Loop: Header=BB351_332 Depth=1
	v_cmp_ne_u16_sdwa s[2:3], v8, s38 src0_sel:BYTE_0 src1_sel:DWORD
	v_bfrev_b32_e32 v49, 1
	s_and_saveexec_b64 s[22:23], s[2:3]
	s_cbranch_execz .LBB351_544
; %bb.541:                              ;   in Loop: Header=BB351_332 Depth=1
	v_bfe_u32 v50, v7, 16, 7
	v_cmp_ne_u32_e64 s[2:3], s39, v50
	v_mov_b32_e32 v49, 0x7f800001
	s_and_saveexec_b64 s[24:25], s[2:3]
	s_cbranch_execz .LBB351_543
; %bb.542:                              ;   in Loop: Header=BB351_332 Depth=1
	v_and_b32_e32 v49, 7, v8
	v_ffbh_u32_e32 v52, v49
	v_min_u32_e32 v54, 32, v52
	v_subrev_u32_e32 v52, 28, v54
	v_lshlrev_b64 v[52:53], v52, v[8:9]
	v_lshrrev_b32_e32 v51, 3, v50
	v_sub_u32_e32 v53, 29, v54
	v_and_b32_e32 v52, 7, v52
	v_cmp_gt_u32_e64 s[2:3], 8, v50
	v_cndmask_b32_e64 v50, v51, v53, s[2:3]
	v_cndmask_b32_e64 v49, v49, v52, s[2:3]
	v_lshlrev_b32_e32 v8, 24, v8
	v_lshlrev_b32_e32 v49, 20, v49
	v_and_b32_e32 v8, 0x80000000, v8
	v_lshl_add_u32 v50, v50, 23, v27
	v_or3_b32 v49, v8, v50, v49
.LBB351_543:                            ;   in Loop: Header=BB351_332 Depth=1
	s_or_b64 exec, exec, s[24:25]
.LBB351_544:                            ;   in Loop: Header=BB351_332 Depth=1
	s_or_b64 exec, exec, s[22:23]
.LBB351_545:                            ;   in Loop: Header=BB351_332 Depth=1
	s_or_b64 exec, exec, s[20:21]
	v_mul_f32_e32 v49, s41, v49
	v_and_b32_e32 v8, 0x7f800000, v49
	v_cmp_ne_u32_e64 s[2:3], s36, v8
                                        ; implicit-def: $vgpr8
	s_and_saveexec_b64 s[20:21], s[2:3]
	s_xor_b64 s[2:3], exec, s[20:21]
; %bb.546:                              ;   in Loop: Header=BB351_332 Depth=1
	v_bfe_u32 v8, v49, 16, 1
	v_add3_u32 v8, v49, v8, s37
                                        ; implicit-def: $vgpr49
; %bb.547:                              ;   in Loop: Header=BB351_332 Depth=1
	s_andn2_saveexec_b64 s[20:21], s[2:3]
; %bb.548:                              ;   in Loop: Header=BB351_332 Depth=1
	v_or_b32_e32 v8, 0x10000, v49
	v_cmp_eq_u32_sdwa s[2:3], v49, v17 src0_sel:WORD_0 src1_sel:DWORD
	v_cndmask_b32_e64 v8, v8, v49, s[2:3]
; %bb.549:                              ;   in Loop: Header=BB351_332 Depth=1
	s_or_b64 exec, exec, s[20:21]
	v_cmp_lt_u64_e64 s[2:3], s[12:13], v[6:7]
	v_mov_b32_e32 v49, 0
	s_and_saveexec_b64 s[20:21], s[2:3]
	s_cbranch_execz .LBB351_555
; %bb.550:                              ;   in Loop: Header=BB351_332 Depth=1
	v_lshrrev_b32_e32 v6, 24, v7
	v_cmp_ne_u32_e64 s[2:3], s38, v6
	v_bfrev_b32_e32 v49, 1
	s_and_saveexec_b64 s[22:23], s[2:3]
	s_cbranch_execz .LBB351_554
; %bb.551:                              ;   in Loop: Header=BB351_332 Depth=1
	v_bfe_u32 v7, v7, 24, 7
	v_cmp_ne_u32_e64 s[2:3], s39, v7
	v_mov_b32_e32 v49, 0x7f800001
	s_and_saveexec_b64 s[24:25], s[2:3]
	s_cbranch_execz .LBB351_553
; %bb.552:                              ;   in Loop: Header=BB351_332 Depth=1
	v_and_b32_e32 v49, 7, v6
	v_ffbh_u32_e32 v50, v49
	v_min_u32_e32 v53, 32, v50
	v_subrev_u32_e32 v50, 28, v53
	v_lshlrev_b64 v[50:51], v50, v[6:7]
	v_lshrrev_b32_e32 v52, 3, v7
	v_sub_u32_e32 v51, 29, v53
	v_and_b32_e32 v50, 7, v50
	v_cmp_gt_u32_e64 s[2:3], 8, v7
	v_cndmask_b32_e64 v7, v52, v51, s[2:3]
	v_cndmask_b32_e64 v49, v49, v50, s[2:3]
	v_lshlrev_b32_e32 v6, 24, v6
	v_lshlrev_b32_e32 v49, 20, v49
	v_and_b32_e32 v6, 0x80000000, v6
	v_lshl_add_u32 v7, v7, 23, v27
	v_or3_b32 v49, v6, v7, v49
.LBB351_553:                            ;   in Loop: Header=BB351_332 Depth=1
	s_or_b64 exec, exec, s[24:25]
.LBB351_554:                            ;   in Loop: Header=BB351_332 Depth=1
	s_or_b64 exec, exec, s[22:23]
.LBB351_555:                            ;   in Loop: Header=BB351_332 Depth=1
	s_or_b64 exec, exec, s[20:21]
	v_mul_f32_e32 v7, s41, v49
	v_and_b32_e32 v6, 0x7f800000, v7
	v_cmp_ne_u32_e64 s[2:3], s36, v6
                                        ; implicit-def: $vgpr6
	s_and_saveexec_b64 s[20:21], s[2:3]
	s_xor_b64 s[2:3], exec, s[20:21]
; %bb.556:                              ;   in Loop: Header=BB351_332 Depth=1
	v_bfe_u32 v6, v7, 16, 1
	v_add3_u32 v6, v7, v6, s37
                                        ; implicit-def: $vgpr7
; %bb.557:                              ;   in Loop: Header=BB351_332 Depth=1
	s_andn2_saveexec_b64 s[20:21], s[2:3]
; %bb.558:                              ;   in Loop: Header=BB351_332 Depth=1
	v_or_b32_e32 v6, 0x10000, v7
	v_cmp_eq_u32_sdwa s[2:3], v7, v17 src0_sel:WORD_0 src1_sel:DWORD
	v_cndmask_b32_e64 v6, v6, v7, s[2:3]
; %bb.559:                              ;   in Loop: Header=BB351_332 Depth=1
	s_or_b64 exec, exec, s[20:21]
	v_lshrrev_b32_e32 v49, 16, v16
	v_lshrrev_b32_e32 v48, 16, v48
	;; [unrolled: 1-line block ×8, first 2 shown]
	s_and_saveexec_b64 s[20:21], s[0:1]
	s_cbranch_execz .LBB351_561
; %bb.560:                              ;   in Loop: Header=BB351_332 Depth=1
	v_cmp_gt_i32_e64 s[2:3], s33, v35
	v_add_u32_e32 v8, 1, v35
	v_cndmask_b32_e64 v7, 0, v7, s[2:3]
	v_cmp_gt_i32_e64 s[2:3], s33, v8
	v_add_u32_e32 v8, 2, v35
	v_cndmask_b32_e64 v45, 0, v45, s[2:3]
	;; [unrolled: 3-line block ×7, first 2 shown]
	v_cmp_gt_i32_e64 s[2:3], s33, v8
	v_cndmask_b32_e64 v6, 0, v6, s[2:3]
.LBB351_561:                            ;   in Loop: Header=BB351_332 Depth=1
	s_or_b64 exec, exec, s[20:21]
	v_lshlrev_b32_e32 v7, 16, v7
	v_mul_f32_e32 v8, v36, v7
	v_and_b32_e32 v7, 0x7f800000, v8
	v_cmp_ne_u32_e64 s[2:3], s36, v7
                                        ; implicit-def: $vgpr7
	s_and_saveexec_b64 s[20:21], s[2:3]
	s_xor_b64 s[2:3], exec, s[20:21]
; %bb.562:                              ;   in Loop: Header=BB351_332 Depth=1
	v_bfe_u32 v7, v8, 16, 1
	v_add3_u32 v7, v8, v7, s37
                                        ; implicit-def: $vgpr8
; %bb.563:                              ;   in Loop: Header=BB351_332 Depth=1
	s_andn2_saveexec_b64 s[20:21], s[2:3]
; %bb.564:                              ;   in Loop: Header=BB351_332 Depth=1
	v_or_b32_e32 v7, 0x10000, v8
	v_cmp_eq_u32_sdwa s[2:3], v8, v17 src0_sel:WORD_0 src1_sel:DWORD
	v_cndmask_b32_e64 v7, v7, v8, s[2:3]
; %bb.565:                              ;   in Loop: Header=BB351_332 Depth=1
	s_or_b64 exec, exec, s[20:21]
	v_lshlrev_b32_e32 v8, 16, v45
	v_mul_f32_e32 v44, v37, v8
	v_and_b32_e32 v8, 0x7f800000, v44
	v_cmp_ne_u32_e64 s[2:3], s36, v8
                                        ; implicit-def: $vgpr8
	s_and_saveexec_b64 s[20:21], s[2:3]
	s_xor_b64 s[2:3], exec, s[20:21]
; %bb.566:                              ;   in Loop: Header=BB351_332 Depth=1
	v_bfe_u32 v8, v44, 16, 1
	v_add3_u32 v8, v44, v8, s37
                                        ; implicit-def: $vgpr44
; %bb.567:                              ;   in Loop: Header=BB351_332 Depth=1
	s_andn2_saveexec_b64 s[20:21], s[2:3]
; %bb.568:                              ;   in Loop: Header=BB351_332 Depth=1
	v_or_b32_e32 v8, 0x10000, v44
	v_cmp_eq_u32_sdwa s[2:3], v44, v17 src0_sel:WORD_0 src1_sel:DWORD
	v_cndmask_b32_e64 v8, v8, v44, s[2:3]
; %bb.569:                              ;   in Loop: Header=BB351_332 Depth=1
	s_or_b64 exec, exec, s[20:21]
	v_lshlrev_b32_e32 v44, 16, v46
	v_mul_f32_e32 v45, v38, v44
	v_and_b32_e32 v44, 0x7f800000, v45
	v_cmp_ne_u32_e64 s[2:3], s36, v44
                                        ; implicit-def: $vgpr44
	s_and_saveexec_b64 s[20:21], s[2:3]
	s_xor_b64 s[2:3], exec, s[20:21]
; %bb.570:                              ;   in Loop: Header=BB351_332 Depth=1
	v_bfe_u32 v44, v45, 16, 1
	v_add3_u32 v44, v45, v44, s37
                                        ; implicit-def: $vgpr45
; %bb.571:                              ;   in Loop: Header=BB351_332 Depth=1
	s_andn2_saveexec_b64 s[20:21], s[2:3]
; %bb.572:                              ;   in Loop: Header=BB351_332 Depth=1
	v_or_b32_e32 v44, 0x10000, v45
	v_cmp_eq_u32_sdwa s[2:3], v45, v17 src0_sel:WORD_0 src1_sel:DWORD
	v_cndmask_b32_e64 v44, v44, v45, s[2:3]
; %bb.573:                              ;   in Loop: Header=BB351_332 Depth=1
	s_or_b64 exec, exec, s[20:21]
	v_lshlrev_b32_e32 v45, 16, v47
	v_mul_f32_e32 v46, v39, v45
	v_and_b32_e32 v45, 0x7f800000, v46
	v_cmp_ne_u32_e64 s[2:3], s36, v45
                                        ; implicit-def: $vgpr45
	s_and_saveexec_b64 s[20:21], s[2:3]
	s_xor_b64 s[2:3], exec, s[20:21]
; %bb.574:                              ;   in Loop: Header=BB351_332 Depth=1
	v_bfe_u32 v45, v46, 16, 1
	v_add3_u32 v45, v46, v45, s37
                                        ; implicit-def: $vgpr46
; %bb.575:                              ;   in Loop: Header=BB351_332 Depth=1
	s_andn2_saveexec_b64 s[20:21], s[2:3]
; %bb.576:                              ;   in Loop: Header=BB351_332 Depth=1
	v_or_b32_e32 v45, 0x10000, v46
	v_cmp_eq_u32_sdwa s[2:3], v46, v17 src0_sel:WORD_0 src1_sel:DWORD
	v_cndmask_b32_e64 v45, v45, v46, s[2:3]
; %bb.577:                              ;   in Loop: Header=BB351_332 Depth=1
	s_or_b64 exec, exec, s[20:21]
	v_lshlrev_b32_e32 v46, 16, v48
	v_mul_f32_e32 v47, v40, v46
	v_and_b32_e32 v46, 0x7f800000, v47
	v_cmp_ne_u32_e64 s[2:3], s36, v46
                                        ; implicit-def: $vgpr46
	s_and_saveexec_b64 s[20:21], s[2:3]
	s_xor_b64 s[2:3], exec, s[20:21]
; %bb.578:                              ;   in Loop: Header=BB351_332 Depth=1
	v_bfe_u32 v46, v47, 16, 1
	v_add3_u32 v46, v47, v46, s37
                                        ; implicit-def: $vgpr47
; %bb.579:                              ;   in Loop: Header=BB351_332 Depth=1
	s_andn2_saveexec_b64 s[20:21], s[2:3]
; %bb.580:                              ;   in Loop: Header=BB351_332 Depth=1
	v_or_b32_e32 v46, 0x10000, v47
	v_cmp_eq_u32_sdwa s[2:3], v47, v17 src0_sel:WORD_0 src1_sel:DWORD
	v_cndmask_b32_e64 v46, v46, v47, s[2:3]
; %bb.581:                              ;   in Loop: Header=BB351_332 Depth=1
	s_or_b64 exec, exec, s[20:21]
	v_lshlrev_b32_e32 v47, 16, v49
	v_mul_f32_e32 v48, v41, v47
	v_and_b32_e32 v47, 0x7f800000, v48
	v_cmp_ne_u32_e64 s[2:3], s36, v47
                                        ; implicit-def: $vgpr47
	s_and_saveexec_b64 s[20:21], s[2:3]
	s_xor_b64 s[2:3], exec, s[20:21]
; %bb.582:                              ;   in Loop: Header=BB351_332 Depth=1
	v_bfe_u32 v47, v48, 16, 1
	v_add3_u32 v47, v48, v47, s37
                                        ; implicit-def: $vgpr48
; %bb.583:                              ;   in Loop: Header=BB351_332 Depth=1
	s_andn2_saveexec_b64 s[20:21], s[2:3]
; %bb.584:                              ;   in Loop: Header=BB351_332 Depth=1
	v_or_b32_e32 v47, 0x10000, v48
	v_cmp_eq_u32_sdwa s[2:3], v48, v17 src0_sel:WORD_0 src1_sel:DWORD
	v_cndmask_b32_e64 v47, v47, v48, s[2:3]
; %bb.585:                              ;   in Loop: Header=BB351_332 Depth=1
	s_or_b64 exec, exec, s[20:21]
	v_lshlrev_b32_e32 v16, 16, v16
	v_mul_f32_e32 v16, v42, v16
	v_and_b32_e32 v48, 0x7f800000, v16
	v_cmp_ne_u32_e64 s[2:3], s36, v48
                                        ; implicit-def: $vgpr48
	s_and_saveexec_b64 s[20:21], s[2:3]
	s_xor_b64 s[2:3], exec, s[20:21]
; %bb.586:                              ;   in Loop: Header=BB351_332 Depth=1
	v_bfe_u32 v48, v16, 16, 1
	v_add3_u32 v48, v16, v48, s37
                                        ; implicit-def: $vgpr16
; %bb.587:                              ;   in Loop: Header=BB351_332 Depth=1
	s_andn2_saveexec_b64 s[20:21], s[2:3]
; %bb.588:                              ;   in Loop: Header=BB351_332 Depth=1
	v_or_b32_e32 v48, 0x10000, v16
	v_cmp_eq_u32_sdwa s[2:3], v16, v17 src0_sel:WORD_0 src1_sel:DWORD
	v_cndmask_b32_e64 v48, v48, v16, s[2:3]
; %bb.589:                              ;   in Loop: Header=BB351_332 Depth=1
	s_or_b64 exec, exec, s[20:21]
	v_lshlrev_b32_e32 v6, 16, v6
	v_mul_f32_e32 v6, v43, v6
	v_and_b32_e32 v16, 0x7f800000, v6
	v_cmp_ne_u32_e64 s[2:3], s36, v16
                                        ; implicit-def: $vgpr49
	s_and_saveexec_b64 s[20:21], s[2:3]
	s_xor_b64 s[2:3], exec, s[20:21]
; %bb.590:                              ;   in Loop: Header=BB351_332 Depth=1
	v_bfe_u32 v16, v6, 16, 1
	v_add3_u32 v49, v6, v16, s37
                                        ; implicit-def: $vgpr6
; %bb.591:                              ;   in Loop: Header=BB351_332 Depth=1
	s_andn2_saveexec_b64 s[20:21], s[2:3]
; %bb.592:                              ;   in Loop: Header=BB351_332 Depth=1
	v_or_b32_e32 v16, 0x10000, v6
	v_cmp_eq_u32_sdwa s[2:3], v6, v17 src0_sel:WORD_0 src1_sel:DWORD
	v_cndmask_b32_e64 v49, v16, v6, s[2:3]
; %bb.593:                              ;   in Loop: Header=BB351_332 Depth=1
	s_or_b64 exec, exec, s[20:21]
	global_load_dwordx2 v[4:5], v[4:5], off offset:1024
	v_mov_b32_e32 v6, 0
	s_waitcnt vmcnt(0)
	v_cmp_ne_u16_sdwa s[2:3], v4, v17 src0_sel:BYTE_0 src1_sel:DWORD
	s_and_saveexec_b64 s[20:21], s[2:3]
	s_cbranch_execz .LBB351_599
; %bb.594:                              ;   in Loop: Header=BB351_332 Depth=1
	v_cmp_ne_u16_sdwa s[2:3], v4, s38 src0_sel:BYTE_0 src1_sel:DWORD
	v_bfrev_b32_e32 v6, 1
	s_and_saveexec_b64 s[22:23], s[2:3]
	s_cbranch_execz .LBB351_598
; %bb.595:                              ;   in Loop: Header=BB351_332 Depth=1
	v_and_b32_e32 v16, 0x7f, v4
	v_cmp_ne_u32_e64 s[2:3], s39, v16
	v_mov_b32_e32 v6, 0x7f800001
	s_and_saveexec_b64 s[24:25], s[2:3]
	s_cbranch_execz .LBB351_597
; %bb.596:                              ;   in Loop: Header=BB351_332 Depth=1
	v_and_b32_e32 v6, 7, v4
	v_ffbh_u32_e32 v6, v6
	v_min_u32_e32 v6, 32, v6
	v_subrev_u32_e32 v51, 28, v6
	v_cmp_gt_u32_e64 s[2:3], 8, v16
	v_lshrrev_b32_e32 v50, 3, v16
	v_sub_u32_e32 v6, 29, v6
	v_cndmask_b32_e64 v16, 0, v51, s[2:3]
	v_cndmask_b32_e64 v6, v50, v6, s[2:3]
	v_lshlrev_b64 v[50:51], v16, v[4:5]
	v_lshlrev_b32_e32 v16, 20, v50
	v_lshlrev_b32_e32 v50, 24, v4
	v_and_b32_e32 v16, 0x700000, v16
	v_and_b32_e32 v50, 0x80000000, v50
	v_lshl_add_u32 v6, v6, 23, v27
	v_or3_b32 v6, v50, v6, v16
.LBB351_597:                            ;   in Loop: Header=BB351_332 Depth=1
	s_or_b64 exec, exec, s[24:25]
.LBB351_598:                            ;   in Loop: Header=BB351_332 Depth=1
	s_or_b64 exec, exec, s[22:23]
.LBB351_599:                            ;   in Loop: Header=BB351_332 Depth=1
	s_or_b64 exec, exec, s[20:21]
	v_mul_f32_e32 v6, s41, v6
	v_and_b32_e32 v16, 0x7f800000, v6
	v_cmp_ne_u32_e64 s[2:3], s36, v16
                                        ; implicit-def: $vgpr50
	s_and_saveexec_b64 s[20:21], s[2:3]
	s_xor_b64 s[2:3], exec, s[20:21]
; %bb.600:                              ;   in Loop: Header=BB351_332 Depth=1
	v_bfe_u32 v16, v6, 16, 1
	v_add3_u32 v50, v6, v16, s37
                                        ; implicit-def: $vgpr6
; %bb.601:                              ;   in Loop: Header=BB351_332 Depth=1
	s_andn2_saveexec_b64 s[20:21], s[2:3]
; %bb.602:                              ;   in Loop: Header=BB351_332 Depth=1
	v_or_b32_e32 v16, 0x10000, v6
	v_cmp_eq_u32_sdwa s[2:3], v6, v17 src0_sel:WORD_0 src1_sel:DWORD
	v_cndmask_b32_e64 v50, v16, v6, s[2:3]
; %bb.603:                              ;   in Loop: Header=BB351_332 Depth=1
	s_or_b64 exec, exec, s[20:21]
	v_lshrrev_b16_e32 v6, 8, v4
	v_cmp_ne_u16_e64 s[2:3], 0, v6
	v_mov_b32_e32 v16, 0
	s_and_saveexec_b64 s[20:21], s[2:3]
	s_cbranch_execz .LBB351_609
; %bb.604:                              ;   in Loop: Header=BB351_332 Depth=1
	v_cmp_ne_u16_e64 s[2:3], s38, v6
	v_bfrev_b32_e32 v16, 1
	s_and_saveexec_b64 s[22:23], s[2:3]
	s_cbranch_execz .LBB351_608
; %bb.605:                              ;   in Loop: Header=BB351_332 Depth=1
	v_and_b32_e32 v51, 0x7f, v6
	v_cmp_ne_u32_e64 s[2:3], s39, v51
	v_mov_b32_e32 v16, 0x7f800001
	s_and_saveexec_b64 s[24:25], s[2:3]
	s_cbranch_execz .LBB351_607
; %bb.606:                              ;   in Loop: Header=BB351_332 Depth=1
	v_and_b32_e32 v16, 7, v6
	v_ffbh_u32_e32 v52, v16
	v_min_u32_e32 v55, 32, v52
	v_subrev_u32_e32 v52, 28, v55
	v_lshlrev_b64 v[52:53], v52, v[6:7]
	v_lshrrev_b32_e32 v54, 3, v51
	v_sub_u32_e32 v6, 29, v55
	v_and_b32_e32 v52, 7, v52
	v_cmp_gt_u32_e64 s[2:3], 8, v51
	v_cndmask_b32_e64 v6, v54, v6, s[2:3]
	v_cndmask_b32_e64 v16, v16, v52, s[2:3]
	v_lshlrev_b32_e32 v51, 16, v4
	v_lshlrev_b32_e32 v16, 20, v16
	v_and_b32_e32 v51, 0x80000000, v51
	v_lshl_add_u32 v6, v6, 23, v27
	v_or3_b32 v16, v51, v6, v16
.LBB351_607:                            ;   in Loop: Header=BB351_332 Depth=1
	s_or_b64 exec, exec, s[24:25]
.LBB351_608:                            ;   in Loop: Header=BB351_332 Depth=1
	s_or_b64 exec, exec, s[22:23]
.LBB351_609:                            ;   in Loop: Header=BB351_332 Depth=1
	s_or_b64 exec, exec, s[20:21]
	v_mul_f32_e32 v6, s41, v16
	v_and_b32_e32 v16, 0x7f800000, v6
	v_cmp_ne_u32_e64 s[2:3], s36, v16
                                        ; implicit-def: $vgpr51
	s_and_saveexec_b64 s[20:21], s[2:3]
	s_xor_b64 s[2:3], exec, s[20:21]
; %bb.610:                              ;   in Loop: Header=BB351_332 Depth=1
	v_bfe_u32 v16, v6, 16, 1
	v_add3_u32 v51, v6, v16, s37
                                        ; implicit-def: $vgpr6
; %bb.611:                              ;   in Loop: Header=BB351_332 Depth=1
	s_andn2_saveexec_b64 s[20:21], s[2:3]
; %bb.612:                              ;   in Loop: Header=BB351_332 Depth=1
	v_or_b32_e32 v16, 0x10000, v6
	v_cmp_eq_u32_sdwa s[2:3], v6, v17 src0_sel:WORD_0 src1_sel:DWORD
	v_cndmask_b32_e64 v51, v16, v6, s[2:3]
; %bb.613:                              ;   in Loop: Header=BB351_332 Depth=1
	s_or_b64 exec, exec, s[20:21]
	v_lshrrev_b32_e32 v6, 16, v4
	v_cmp_ne_u16_sdwa s[2:3], v6, v17 src0_sel:BYTE_0 src1_sel:DWORD
	v_mov_b32_e32 v16, 0
	s_and_saveexec_b64 s[20:21], s[2:3]
	s_cbranch_execz .LBB351_619
; %bb.614:                              ;   in Loop: Header=BB351_332 Depth=1
	v_cmp_ne_u16_sdwa s[2:3], v6, s38 src0_sel:BYTE_0 src1_sel:DWORD
	v_bfrev_b32_e32 v16, 1
	s_and_saveexec_b64 s[22:23], s[2:3]
	s_cbranch_execz .LBB351_618
; %bb.615:                              ;   in Loop: Header=BB351_332 Depth=1
	v_bfe_u32 v52, v4, 16, 7
	v_cmp_ne_u32_e64 s[2:3], s39, v52
	v_mov_b32_e32 v16, 0x7f800001
	s_and_saveexec_b64 s[24:25], s[2:3]
	s_cbranch_execz .LBB351_617
; %bb.616:                              ;   in Loop: Header=BB351_332 Depth=1
	v_and_b32_e32 v16, 7, v6
	v_ffbh_u32_e32 v54, v16
	v_min_u32_e32 v56, 32, v54
	v_subrev_u32_e32 v54, 28, v56
	v_lshlrev_b64 v[54:55], v54, v[6:7]
	v_lshrrev_b32_e32 v53, 3, v52
	v_sub_u32_e32 v55, 29, v56
	v_and_b32_e32 v54, 7, v54
	v_cmp_gt_u32_e64 s[2:3], 8, v52
	v_cndmask_b32_e64 v52, v53, v55, s[2:3]
	v_cndmask_b32_e64 v16, v16, v54, s[2:3]
	v_lshlrev_b32_e32 v6, 24, v6
	v_lshlrev_b32_e32 v16, 20, v16
	v_and_b32_e32 v6, 0x80000000, v6
	v_lshl_add_u32 v52, v52, 23, v27
	v_or3_b32 v16, v6, v52, v16
.LBB351_617:                            ;   in Loop: Header=BB351_332 Depth=1
	s_or_b64 exec, exec, s[24:25]
.LBB351_618:                            ;   in Loop: Header=BB351_332 Depth=1
	s_or_b64 exec, exec, s[22:23]
.LBB351_619:                            ;   in Loop: Header=BB351_332 Depth=1
	s_or_b64 exec, exec, s[20:21]
	v_mul_f32_e32 v6, s41, v16
	v_and_b32_e32 v16, 0x7f800000, v6
	v_cmp_ne_u32_e64 s[2:3], s36, v16
                                        ; implicit-def: $vgpr52
	s_and_saveexec_b64 s[20:21], s[2:3]
	s_xor_b64 s[2:3], exec, s[20:21]
; %bb.620:                              ;   in Loop: Header=BB351_332 Depth=1
	v_bfe_u32 v16, v6, 16, 1
	v_add3_u32 v52, v6, v16, s37
                                        ; implicit-def: $vgpr6
; %bb.621:                              ;   in Loop: Header=BB351_332 Depth=1
	s_andn2_saveexec_b64 s[20:21], s[2:3]
; %bb.622:                              ;   in Loop: Header=BB351_332 Depth=1
	v_or_b32_e32 v16, 0x10000, v6
	v_cmp_eq_u32_sdwa s[2:3], v6, v17 src0_sel:WORD_0 src1_sel:DWORD
	v_cndmask_b32_e64 v52, v16, v6, s[2:3]
; %bb.623:                              ;   in Loop: Header=BB351_332 Depth=1
	s_or_b64 exec, exec, s[20:21]
	v_cmp_lt_u32_e64 s[2:3], s13, v4
	v_mov_b32_e32 v16, 0
	s_and_saveexec_b64 s[20:21], s[2:3]
	s_cbranch_execz .LBB351_629
; %bb.624:                              ;   in Loop: Header=BB351_332 Depth=1
	v_lshrrev_b32_e32 v6, 24, v4
	v_cmp_ne_u32_e64 s[2:3], s38, v6
	v_bfrev_b32_e32 v16, 1
	s_and_saveexec_b64 s[22:23], s[2:3]
	s_cbranch_execz .LBB351_628
; %bb.625:                              ;   in Loop: Header=BB351_332 Depth=1
	v_bfe_u32 v53, v4, 24, 7
	v_cmp_ne_u32_e64 s[2:3], s39, v53
	v_mov_b32_e32 v16, 0x7f800001
	s_and_saveexec_b64 s[24:25], s[2:3]
	s_cbranch_execz .LBB351_627
; %bb.626:                              ;   in Loop: Header=BB351_332 Depth=1
	v_and_b32_e32 v16, 7, v6
	v_ffbh_u32_e32 v54, v16
	v_min_u32_e32 v57, 32, v54
	v_subrev_u32_e32 v54, 28, v57
	v_lshlrev_b64 v[54:55], v54, v[6:7]
	v_lshrrev_b32_e32 v56, 3, v53
	v_sub_u32_e32 v55, 29, v57
	v_and_b32_e32 v54, 7, v54
	v_cmp_gt_u32_e64 s[2:3], 8, v53
	v_cndmask_b32_e64 v53, v56, v55, s[2:3]
	v_cndmask_b32_e64 v16, v16, v54, s[2:3]
	v_lshlrev_b32_e32 v6, 24, v6
	v_lshlrev_b32_e32 v16, 20, v16
	v_and_b32_e32 v6, 0x80000000, v6
	v_lshl_add_u32 v53, v53, 23, v27
	v_or3_b32 v16, v6, v53, v16
.LBB351_627:                            ;   in Loop: Header=BB351_332 Depth=1
	s_or_b64 exec, exec, s[24:25]
.LBB351_628:                            ;   in Loop: Header=BB351_332 Depth=1
	s_or_b64 exec, exec, s[22:23]
.LBB351_629:                            ;   in Loop: Header=BB351_332 Depth=1
	s_or_b64 exec, exec, s[20:21]
	v_mul_f32_e32 v6, s41, v16
	v_and_b32_e32 v16, 0x7f800000, v6
	v_cmp_ne_u32_e64 s[2:3], s36, v16
                                        ; implicit-def: $vgpr53
	s_and_saveexec_b64 s[20:21], s[2:3]
	s_xor_b64 s[2:3], exec, s[20:21]
; %bb.630:                              ;   in Loop: Header=BB351_332 Depth=1
	v_bfe_u32 v16, v6, 16, 1
	v_add3_u32 v53, v6, v16, s37
                                        ; implicit-def: $vgpr6
; %bb.631:                              ;   in Loop: Header=BB351_332 Depth=1
	s_andn2_saveexec_b64 s[20:21], s[2:3]
; %bb.632:                              ;   in Loop: Header=BB351_332 Depth=1
	v_or_b32_e32 v16, 0x10000, v6
	v_cmp_eq_u32_sdwa s[2:3], v6, v17 src0_sel:WORD_0 src1_sel:DWORD
	v_cndmask_b32_e64 v53, v16, v6, s[2:3]
; %bb.633:                              ;   in Loop: Header=BB351_332 Depth=1
	s_or_b64 exec, exec, s[20:21]
	v_mov_b32_e32 v16, v5
	v_cmp_ne_u16_sdwa s[2:3], v5, v17 src0_sel:BYTE_0 src1_sel:DWORD
	v_mov_b32_e32 v6, 0
	s_and_saveexec_b64 s[20:21], s[2:3]
	s_cbranch_execz .LBB351_639
; %bb.634:                              ;   in Loop: Header=BB351_332 Depth=1
	v_cmp_ne_u16_sdwa s[2:3], v5, s38 src0_sel:BYTE_0 src1_sel:DWORD
	v_bfrev_b32_e32 v6, 1
	s_and_saveexec_b64 s[22:23], s[2:3]
	s_cbranch_execz .LBB351_638
; %bb.635:                              ;   in Loop: Header=BB351_332 Depth=1
	v_and_b32_e32 v54, 0x7f, v5
	v_cmp_ne_u32_e64 s[2:3], s39, v54
	v_mov_b32_e32 v6, 0x7f800001
	s_and_saveexec_b64 s[24:25], s[2:3]
	s_cbranch_execz .LBB351_637
; %bb.636:                              ;   in Loop: Header=BB351_332 Depth=1
	v_and_b32_e32 v6, 7, v5
	v_ffbh_u32_e32 v6, v6
	v_min_u32_e32 v6, 32, v6
	v_subrev_u32_e32 v56, 28, v6
	v_cmp_gt_u32_e64 s[2:3], 8, v54
	v_lshrrev_b32_e32 v55, 3, v54
	v_sub_u32_e32 v6, 29, v6
	v_cndmask_b32_e64 v54, 0, v56, s[2:3]
	v_cndmask_b32_e64 v6, v55, v6, s[2:3]
	v_lshlrev_b64 v[54:55], v54, v[16:17]
	v_lshlrev_b32_e32 v54, 20, v54
	v_lshlrev_b32_e32 v55, 24, v16
	v_and_b32_e32 v54, 0x700000, v54
	v_and_b32_e32 v55, 0x80000000, v55
	v_lshl_add_u32 v6, v6, 23, v27
	v_or3_b32 v6, v55, v6, v54
.LBB351_637:                            ;   in Loop: Header=BB351_332 Depth=1
	s_or_b64 exec, exec, s[24:25]
.LBB351_638:                            ;   in Loop: Header=BB351_332 Depth=1
	s_or_b64 exec, exec, s[22:23]
.LBB351_639:                            ;   in Loop: Header=BB351_332 Depth=1
	s_or_b64 exec, exec, s[20:21]
	v_mul_f32_e32 v6, s41, v6
	v_and_b32_e32 v54, 0x7f800000, v6
	v_cmp_ne_u32_e64 s[2:3], s36, v54
                                        ; implicit-def: $vgpr54
	s_and_saveexec_b64 s[20:21], s[2:3]
	s_xor_b64 s[2:3], exec, s[20:21]
; %bb.640:                              ;   in Loop: Header=BB351_332 Depth=1
	v_bfe_u32 v54, v6, 16, 1
	v_add3_u32 v54, v6, v54, s37
                                        ; implicit-def: $vgpr6
; %bb.641:                              ;   in Loop: Header=BB351_332 Depth=1
	s_andn2_saveexec_b64 s[20:21], s[2:3]
; %bb.642:                              ;   in Loop: Header=BB351_332 Depth=1
	v_or_b32_e32 v54, 0x10000, v6
	v_cmp_eq_u32_sdwa s[2:3], v6, v17 src0_sel:WORD_0 src1_sel:DWORD
	v_cndmask_b32_e64 v54, v54, v6, s[2:3]
; %bb.643:                              ;   in Loop: Header=BB351_332 Depth=1
	s_or_b64 exec, exec, s[20:21]
	v_lshrrev_b16_e32 v6, 8, v16
	v_cmp_ne_u16_e64 s[2:3], 0, v6
	v_mov_b32_e32 v55, 0
	s_and_saveexec_b64 s[20:21], s[2:3]
	s_cbranch_execz .LBB351_649
; %bb.644:                              ;   in Loop: Header=BB351_332 Depth=1
	v_cmp_ne_u16_e64 s[2:3], s38, v6
	v_bfrev_b32_e32 v55, 1
	s_and_saveexec_b64 s[22:23], s[2:3]
	s_cbranch_execz .LBB351_648
; %bb.645:                              ;   in Loop: Header=BB351_332 Depth=1
	v_and_b32_e32 v56, 0x7f, v6
	v_cmp_ne_u32_e64 s[2:3], s39, v56
	v_mov_b32_e32 v55, 0x7f800001
	s_and_saveexec_b64 s[24:25], s[2:3]
	s_cbranch_execz .LBB351_647
; %bb.646:                              ;   in Loop: Header=BB351_332 Depth=1
	v_and_b32_e32 v55, 7, v6
	v_ffbh_u32_e32 v58, v55
	v_min_u32_e32 v60, 32, v58
	v_subrev_u32_e32 v58, 28, v60
	v_lshlrev_b64 v[58:59], v58, v[6:7]
	v_lshrrev_b32_e32 v57, 3, v56
	v_sub_u32_e32 v6, 29, v60
	v_and_b32_e32 v58, 7, v58
	v_cmp_gt_u32_e64 s[2:3], 8, v56
	v_cndmask_b32_e64 v6, v57, v6, s[2:3]
	v_cndmask_b32_e64 v55, v55, v58, s[2:3]
	v_lshlrev_b32_e32 v16, 16, v16
	v_lshlrev_b32_e32 v55, 20, v55
	v_and_b32_e32 v16, 0x80000000, v16
	v_lshl_add_u32 v6, v6, 23, v27
	v_or3_b32 v55, v16, v6, v55
.LBB351_647:                            ;   in Loop: Header=BB351_332 Depth=1
	s_or_b64 exec, exec, s[24:25]
.LBB351_648:                            ;   in Loop: Header=BB351_332 Depth=1
	s_or_b64 exec, exec, s[22:23]
.LBB351_649:                            ;   in Loop: Header=BB351_332 Depth=1
	s_or_b64 exec, exec, s[20:21]
	v_mul_f32_e32 v6, s41, v55
	v_and_b32_e32 v16, 0x7f800000, v6
	v_cmp_ne_u32_e64 s[2:3], s36, v16
                                        ; implicit-def: $vgpr16
	s_and_saveexec_b64 s[20:21], s[2:3]
	s_xor_b64 s[2:3], exec, s[20:21]
; %bb.650:                              ;   in Loop: Header=BB351_332 Depth=1
	v_bfe_u32 v16, v6, 16, 1
	v_add3_u32 v16, v6, v16, s37
                                        ; implicit-def: $vgpr6
; %bb.651:                              ;   in Loop: Header=BB351_332 Depth=1
	s_andn2_saveexec_b64 s[20:21], s[2:3]
; %bb.652:                              ;   in Loop: Header=BB351_332 Depth=1
	v_or_b32_e32 v16, 0x10000, v6
	v_cmp_eq_u32_sdwa s[2:3], v6, v17 src0_sel:WORD_0 src1_sel:DWORD
	v_cndmask_b32_e64 v16, v16, v6, s[2:3]
; %bb.653:                              ;   in Loop: Header=BB351_332 Depth=1
	s_or_b64 exec, exec, s[20:21]
	v_lshrrev_b32_e32 v6, 16, v5
	v_cmp_ne_u16_sdwa s[2:3], v6, v17 src0_sel:BYTE_0 src1_sel:DWORD
	v_mov_b32_e32 v55, 0
	s_and_saveexec_b64 s[20:21], s[2:3]
	s_cbranch_execz .LBB351_659
; %bb.654:                              ;   in Loop: Header=BB351_332 Depth=1
	v_cmp_ne_u16_sdwa s[2:3], v6, s38 src0_sel:BYTE_0 src1_sel:DWORD
	v_bfrev_b32_e32 v55, 1
	s_and_saveexec_b64 s[22:23], s[2:3]
	s_cbranch_execz .LBB351_658
; %bb.655:                              ;   in Loop: Header=BB351_332 Depth=1
	v_bfe_u32 v56, v5, 16, 7
	v_cmp_ne_u32_e64 s[2:3], s39, v56
	v_mov_b32_e32 v55, 0x7f800001
	s_and_saveexec_b64 s[24:25], s[2:3]
	s_cbranch_execz .LBB351_657
; %bb.656:                              ;   in Loop: Header=BB351_332 Depth=1
	v_and_b32_e32 v55, 7, v6
	v_ffbh_u32_e32 v58, v55
	v_min_u32_e32 v60, 32, v58
	v_subrev_u32_e32 v58, 28, v60
	v_lshlrev_b64 v[58:59], v58, v[6:7]
	v_lshrrev_b32_e32 v57, 3, v56
	v_sub_u32_e32 v59, 29, v60
	v_and_b32_e32 v58, 7, v58
	v_cmp_gt_u32_e64 s[2:3], 8, v56
	v_cndmask_b32_e64 v56, v57, v59, s[2:3]
	v_cndmask_b32_e64 v55, v55, v58, s[2:3]
	v_lshlrev_b32_e32 v6, 24, v6
	v_lshlrev_b32_e32 v55, 20, v55
	v_and_b32_e32 v6, 0x80000000, v6
	v_lshl_add_u32 v56, v56, 23, v27
	v_or3_b32 v55, v6, v56, v55
.LBB351_657:                            ;   in Loop: Header=BB351_332 Depth=1
	s_or_b64 exec, exec, s[24:25]
.LBB351_658:                            ;   in Loop: Header=BB351_332 Depth=1
	s_or_b64 exec, exec, s[22:23]
.LBB351_659:                            ;   in Loop: Header=BB351_332 Depth=1
	s_or_b64 exec, exec, s[20:21]
	v_mul_f32_e32 v55, s41, v55
	v_and_b32_e32 v6, 0x7f800000, v55
	v_cmp_ne_u32_e64 s[2:3], s36, v6
                                        ; implicit-def: $vgpr6
	s_and_saveexec_b64 s[20:21], s[2:3]
	s_xor_b64 s[2:3], exec, s[20:21]
; %bb.660:                              ;   in Loop: Header=BB351_332 Depth=1
	v_bfe_u32 v6, v55, 16, 1
	v_add3_u32 v6, v55, v6, s37
                                        ; implicit-def: $vgpr55
; %bb.661:                              ;   in Loop: Header=BB351_332 Depth=1
	s_andn2_saveexec_b64 s[20:21], s[2:3]
; %bb.662:                              ;   in Loop: Header=BB351_332 Depth=1
	v_or_b32_e32 v6, 0x10000, v55
	v_cmp_eq_u32_sdwa s[2:3], v55, v17 src0_sel:WORD_0 src1_sel:DWORD
	v_cndmask_b32_e64 v6, v6, v55, s[2:3]
; %bb.663:                              ;   in Loop: Header=BB351_332 Depth=1
	s_or_b64 exec, exec, s[20:21]
	v_cmp_lt_u64_e64 s[2:3], s[12:13], v[4:5]
	v_mov_b32_e32 v55, 0
	s_and_saveexec_b64 s[20:21], s[2:3]
	s_cbranch_execz .LBB351_669
; %bb.664:                              ;   in Loop: Header=BB351_332 Depth=1
	v_lshrrev_b32_e32 v4, 24, v5
	v_cmp_ne_u32_e64 s[2:3], s38, v4
	v_bfrev_b32_e32 v55, 1
	s_and_saveexec_b64 s[22:23], s[2:3]
	s_cbranch_execz .LBB351_668
; %bb.665:                              ;   in Loop: Header=BB351_332 Depth=1
	v_bfe_u32 v5, v5, 24, 7
	v_cmp_ne_u32_e64 s[2:3], s39, v5
	v_mov_b32_e32 v55, 0x7f800001
	s_and_saveexec_b64 s[24:25], s[2:3]
	s_cbranch_execz .LBB351_667
; %bb.666:                              ;   in Loop: Header=BB351_332 Depth=1
	v_and_b32_e32 v55, 7, v4
	v_ffbh_u32_e32 v56, v55
	v_min_u32_e32 v59, 32, v56
	v_subrev_u32_e32 v56, 28, v59
	v_lshlrev_b64 v[56:57], v56, v[4:5]
	v_lshrrev_b32_e32 v58, 3, v5
	v_sub_u32_e32 v57, 29, v59
	v_and_b32_e32 v56, 7, v56
	v_cmp_gt_u32_e64 s[2:3], 8, v5
	v_cndmask_b32_e64 v5, v58, v57, s[2:3]
	v_cndmask_b32_e64 v55, v55, v56, s[2:3]
	v_lshlrev_b32_e32 v4, 24, v4
	v_lshlrev_b32_e32 v55, 20, v55
	v_and_b32_e32 v4, 0x80000000, v4
	v_lshl_add_u32 v5, v5, 23, v27
	v_or3_b32 v55, v4, v5, v55
.LBB351_667:                            ;   in Loop: Header=BB351_332 Depth=1
	s_or_b64 exec, exec, s[24:25]
.LBB351_668:                            ;   in Loop: Header=BB351_332 Depth=1
	s_or_b64 exec, exec, s[22:23]
.LBB351_669:                            ;   in Loop: Header=BB351_332 Depth=1
	s_or_b64 exec, exec, s[20:21]
	v_mul_f32_e32 v5, s41, v55
	v_and_b32_e32 v4, 0x7f800000, v5
	v_cmp_ne_u32_e64 s[2:3], s36, v4
                                        ; implicit-def: $vgpr4
	s_and_saveexec_b64 s[20:21], s[2:3]
	s_xor_b64 s[2:3], exec, s[20:21]
; %bb.670:                              ;   in Loop: Header=BB351_332 Depth=1
	v_bfe_u32 v4, v5, 16, 1
	v_add3_u32 v4, v5, v4, s37
                                        ; implicit-def: $vgpr5
; %bb.671:                              ;   in Loop: Header=BB351_332 Depth=1
	s_andn2_saveexec_b64 s[20:21], s[2:3]
; %bb.672:                              ;   in Loop: Header=BB351_332 Depth=1
	v_or_b32_e32 v4, 0x10000, v5
	v_cmp_eq_u32_sdwa s[2:3], v5, v17 src0_sel:WORD_0 src1_sel:DWORD
	v_cndmask_b32_e64 v4, v4, v5, s[2:3]
; %bb.673:                              ;   in Loop: Header=BB351_332 Depth=1
	s_or_b64 exec, exec, s[20:21]
	v_lshrrev_b32_e32 v55, 16, v16
	v_lshrrev_b32_e32 v54, 16, v54
	;; [unrolled: 1-line block ×8, first 2 shown]
	s_and_saveexec_b64 s[20:21], s[0:1]
	s_cbranch_execz .LBB351_675
; %bb.674:                              ;   in Loop: Header=BB351_332 Depth=1
	v_cmp_gt_i32_e64 s[2:3], s33, v35
	v_add_u32_e32 v6, 1, v35
	v_cndmask_b32_e64 v5, 0, v5, s[2:3]
	v_cmp_gt_i32_e64 s[2:3], s33, v6
	v_add_u32_e32 v6, 2, v35
	v_cndmask_b32_e64 v51, 0, v51, s[2:3]
	;; [unrolled: 3-line block ×7, first 2 shown]
	v_cmp_gt_i32_e64 s[2:3], s33, v6
	v_cndmask_b32_e64 v4, 0, v4, s[2:3]
.LBB351_675:                            ;   in Loop: Header=BB351_332 Depth=1
	s_or_b64 exec, exec, s[20:21]
	v_lshlrev_b32_e32 v5, 16, v5
	v_mul_f32_e32 v6, v36, v5
	v_and_b32_e32 v5, 0x7f800000, v6
	v_cmp_ne_u32_e64 s[2:3], s36, v5
                                        ; implicit-def: $vgpr5
	s_and_saveexec_b64 s[20:21], s[2:3]
	s_xor_b64 s[2:3], exec, s[20:21]
; %bb.676:                              ;   in Loop: Header=BB351_332 Depth=1
	v_bfe_u32 v5, v6, 16, 1
	v_add3_u32 v5, v6, v5, s37
                                        ; implicit-def: $vgpr6
; %bb.677:                              ;   in Loop: Header=BB351_332 Depth=1
	s_andn2_saveexec_b64 s[20:21], s[2:3]
; %bb.678:                              ;   in Loop: Header=BB351_332 Depth=1
	v_or_b32_e32 v5, 0x10000, v6
	v_cmp_eq_u32_sdwa s[2:3], v6, v17 src0_sel:WORD_0 src1_sel:DWORD
	v_cndmask_b32_e64 v5, v5, v6, s[2:3]
; %bb.679:                              ;   in Loop: Header=BB351_332 Depth=1
	s_or_b64 exec, exec, s[20:21]
	v_lshlrev_b32_e32 v6, 16, v51
	v_mul_f32_e32 v50, v37, v6
	v_and_b32_e32 v6, 0x7f800000, v50
	v_cmp_ne_u32_e64 s[2:3], s36, v6
                                        ; implicit-def: $vgpr6
	s_and_saveexec_b64 s[20:21], s[2:3]
	s_xor_b64 s[2:3], exec, s[20:21]
; %bb.680:                              ;   in Loop: Header=BB351_332 Depth=1
	v_bfe_u32 v6, v50, 16, 1
	v_add3_u32 v6, v50, v6, s37
                                        ; implicit-def: $vgpr50
; %bb.681:                              ;   in Loop: Header=BB351_332 Depth=1
	s_andn2_saveexec_b64 s[20:21], s[2:3]
; %bb.682:                              ;   in Loop: Header=BB351_332 Depth=1
	v_or_b32_e32 v6, 0x10000, v50
	v_cmp_eq_u32_sdwa s[2:3], v50, v17 src0_sel:WORD_0 src1_sel:DWORD
	v_cndmask_b32_e64 v6, v6, v50, s[2:3]
; %bb.683:                              ;   in Loop: Header=BB351_332 Depth=1
	s_or_b64 exec, exec, s[20:21]
	v_lshlrev_b32_e32 v50, 16, v52
	v_mul_f32_e32 v51, v38, v50
	v_and_b32_e32 v50, 0x7f800000, v51
	v_cmp_ne_u32_e64 s[2:3], s36, v50
                                        ; implicit-def: $vgpr50
	s_and_saveexec_b64 s[20:21], s[2:3]
	s_xor_b64 s[2:3], exec, s[20:21]
; %bb.684:                              ;   in Loop: Header=BB351_332 Depth=1
	v_bfe_u32 v50, v51, 16, 1
	v_add3_u32 v50, v51, v50, s37
                                        ; implicit-def: $vgpr51
; %bb.685:                              ;   in Loop: Header=BB351_332 Depth=1
	s_andn2_saveexec_b64 s[20:21], s[2:3]
; %bb.686:                              ;   in Loop: Header=BB351_332 Depth=1
	v_or_b32_e32 v50, 0x10000, v51
	v_cmp_eq_u32_sdwa s[2:3], v51, v17 src0_sel:WORD_0 src1_sel:DWORD
	v_cndmask_b32_e64 v50, v50, v51, s[2:3]
; %bb.687:                              ;   in Loop: Header=BB351_332 Depth=1
	s_or_b64 exec, exec, s[20:21]
	v_lshlrev_b32_e32 v51, 16, v53
	v_mul_f32_e32 v52, v39, v51
	v_and_b32_e32 v51, 0x7f800000, v52
	v_cmp_ne_u32_e64 s[2:3], s36, v51
                                        ; implicit-def: $vgpr51
	s_and_saveexec_b64 s[20:21], s[2:3]
	s_xor_b64 s[2:3], exec, s[20:21]
; %bb.688:                              ;   in Loop: Header=BB351_332 Depth=1
	v_bfe_u32 v51, v52, 16, 1
	v_add3_u32 v51, v52, v51, s37
                                        ; implicit-def: $vgpr52
; %bb.689:                              ;   in Loop: Header=BB351_332 Depth=1
	s_andn2_saveexec_b64 s[20:21], s[2:3]
; %bb.690:                              ;   in Loop: Header=BB351_332 Depth=1
	v_or_b32_e32 v51, 0x10000, v52
	v_cmp_eq_u32_sdwa s[2:3], v52, v17 src0_sel:WORD_0 src1_sel:DWORD
	v_cndmask_b32_e64 v51, v51, v52, s[2:3]
; %bb.691:                              ;   in Loop: Header=BB351_332 Depth=1
	s_or_b64 exec, exec, s[20:21]
	v_lshlrev_b32_e32 v52, 16, v54
	v_mul_f32_e32 v53, v40, v52
	v_and_b32_e32 v52, 0x7f800000, v53
	v_cmp_ne_u32_e64 s[2:3], s36, v52
                                        ; implicit-def: $vgpr52
	s_and_saveexec_b64 s[20:21], s[2:3]
	s_xor_b64 s[2:3], exec, s[20:21]
; %bb.692:                              ;   in Loop: Header=BB351_332 Depth=1
	v_bfe_u32 v52, v53, 16, 1
	v_add3_u32 v52, v53, v52, s37
                                        ; implicit-def: $vgpr53
; %bb.693:                              ;   in Loop: Header=BB351_332 Depth=1
	s_andn2_saveexec_b64 s[20:21], s[2:3]
; %bb.694:                              ;   in Loop: Header=BB351_332 Depth=1
	v_or_b32_e32 v52, 0x10000, v53
	v_cmp_eq_u32_sdwa s[2:3], v53, v17 src0_sel:WORD_0 src1_sel:DWORD
	v_cndmask_b32_e64 v52, v52, v53, s[2:3]
; %bb.695:                              ;   in Loop: Header=BB351_332 Depth=1
	s_or_b64 exec, exec, s[20:21]
	v_lshlrev_b32_e32 v53, 16, v55
	v_mul_f32_e32 v54, v41, v53
	v_and_b32_e32 v53, 0x7f800000, v54
	v_cmp_ne_u32_e64 s[2:3], s36, v53
                                        ; implicit-def: $vgpr53
	s_and_saveexec_b64 s[20:21], s[2:3]
	s_xor_b64 s[2:3], exec, s[20:21]
; %bb.696:                              ;   in Loop: Header=BB351_332 Depth=1
	v_bfe_u32 v53, v54, 16, 1
	v_add3_u32 v53, v54, v53, s37
                                        ; implicit-def: $vgpr54
; %bb.697:                              ;   in Loop: Header=BB351_332 Depth=1
	s_andn2_saveexec_b64 s[20:21], s[2:3]
; %bb.698:                              ;   in Loop: Header=BB351_332 Depth=1
	v_or_b32_e32 v53, 0x10000, v54
	v_cmp_eq_u32_sdwa s[2:3], v54, v17 src0_sel:WORD_0 src1_sel:DWORD
	v_cndmask_b32_e64 v53, v53, v54, s[2:3]
; %bb.699:                              ;   in Loop: Header=BB351_332 Depth=1
	s_or_b64 exec, exec, s[20:21]
	v_lshlrev_b32_e32 v16, 16, v16
	v_mul_f32_e32 v16, v42, v16
	v_and_b32_e32 v54, 0x7f800000, v16
	v_cmp_ne_u32_e64 s[2:3], s36, v54
                                        ; implicit-def: $vgpr54
	s_and_saveexec_b64 s[20:21], s[2:3]
	s_xor_b64 s[2:3], exec, s[20:21]
; %bb.700:                              ;   in Loop: Header=BB351_332 Depth=1
	v_bfe_u32 v54, v16, 16, 1
	v_add3_u32 v54, v16, v54, s37
                                        ; implicit-def: $vgpr16
; %bb.701:                              ;   in Loop: Header=BB351_332 Depth=1
	s_andn2_saveexec_b64 s[20:21], s[2:3]
; %bb.702:                              ;   in Loop: Header=BB351_332 Depth=1
	v_or_b32_e32 v54, 0x10000, v16
	v_cmp_eq_u32_sdwa s[2:3], v16, v17 src0_sel:WORD_0 src1_sel:DWORD
	v_cndmask_b32_e64 v54, v54, v16, s[2:3]
; %bb.703:                              ;   in Loop: Header=BB351_332 Depth=1
	s_or_b64 exec, exec, s[20:21]
	v_lshlrev_b32_e32 v4, 16, v4
	v_mul_f32_e32 v4, v43, v4
	v_and_b32_e32 v16, 0x7f800000, v4
	v_cmp_ne_u32_e64 s[2:3], s36, v16
                                        ; implicit-def: $vgpr55
	s_and_saveexec_b64 s[20:21], s[2:3]
	s_xor_b64 s[2:3], exec, s[20:21]
	s_cbranch_execnz .LBB351_706
; %bb.704:                              ;   in Loop: Header=BB351_332 Depth=1
	s_andn2_saveexec_b64 s[20:21], s[2:3]
	s_cbranch_execnz .LBB351_707
.LBB351_705:                            ;   in Loop: Header=BB351_332 Depth=1
	s_or_b64 exec, exec, s[20:21]
	s_and_saveexec_b64 s[20:21], vcc
	s_cbranch_execz .LBB351_330
	s_branch .LBB351_708
.LBB351_706:                            ;   in Loop: Header=BB351_332 Depth=1
	v_bfe_u32 v16, v4, 16, 1
	v_add3_u32 v55, v4, v16, s37
                                        ; implicit-def: $vgpr4
	s_andn2_saveexec_b64 s[20:21], s[2:3]
	s_cbranch_execz .LBB351_705
.LBB351_707:                            ;   in Loop: Header=BB351_332 Depth=1
	v_or_b32_e32 v16, 0x10000, v4
	v_cmp_eq_u32_sdwa s[2:3], v4, v17 src0_sel:WORD_0 src1_sel:DWORD
	v_cndmask_b32_e64 v55, v16, v4, s[2:3]
	s_or_b64 exec, exec, s[20:21]
	s_and_saveexec_b64 s[20:21], vcc
	s_cbranch_execz .LBB351_330
.LBB351_708:                            ;   in Loop: Header=BB351_332 Depth=1
	v_add_co_u32_e64 v2, s[2:3], v2, v18
	v_addc_co_u32_e64 v3, s[2:3], 0, v3, s[2:3]
	global_load_dwordx2 v[2:3], v[2:3], off
	v_mov_b32_e32 v4, 0
	s_waitcnt vmcnt(0)
	v_cmp_ne_u16_sdwa s[2:3], v2, v17 src0_sel:BYTE_0 src1_sel:DWORD
	s_and_saveexec_b64 s[22:23], s[2:3]
	s_cbranch_execz .LBB351_714
; %bb.709:                              ;   in Loop: Header=BB351_332 Depth=1
	v_cmp_ne_u16_sdwa s[2:3], v2, s38 src0_sel:BYTE_0 src1_sel:DWORD
	v_bfrev_b32_e32 v4, 1
	s_and_saveexec_b64 s[24:25], s[2:3]
	s_cbranch_execz .LBB351_713
; %bb.710:                              ;   in Loop: Header=BB351_332 Depth=1
	v_and_b32_e32 v16, 0x7f, v2
	v_cmp_ne_u32_e64 s[2:3], s39, v16
	v_mov_b32_e32 v4, 0x7f800001
	s_and_saveexec_b64 s[26:27], s[2:3]
	s_cbranch_execz .LBB351_712
; %bb.711:                              ;   in Loop: Header=BB351_332 Depth=1
	v_and_b32_e32 v4, 7, v2
	v_ffbh_u32_e32 v4, v4
	v_min_u32_e32 v4, 32, v4
	v_subrev_u32_e32 v57, 28, v4
	v_cmp_gt_u32_e64 s[2:3], 8, v16
	v_lshrrev_b32_e32 v56, 3, v16
	v_sub_u32_e32 v4, 29, v4
	v_cndmask_b32_e64 v16, 0, v57, s[2:3]
	v_cndmask_b32_e64 v4, v56, v4, s[2:3]
	v_lshlrev_b64 v[56:57], v16, v[2:3]
	v_lshlrev_b32_e32 v16, 20, v56
	v_lshlrev_b32_e32 v56, 24, v2
	v_and_b32_e32 v16, 0x700000, v16
	v_and_b32_e32 v56, 0x80000000, v56
	v_lshl_add_u32 v4, v4, 23, v27
	v_or3_b32 v4, v56, v4, v16
.LBB351_712:                            ;   in Loop: Header=BB351_332 Depth=1
	s_or_b64 exec, exec, s[26:27]
.LBB351_713:                            ;   in Loop: Header=BB351_332 Depth=1
	s_or_b64 exec, exec, s[24:25]
.LBB351_714:                            ;   in Loop: Header=BB351_332 Depth=1
	s_or_b64 exec, exec, s[22:23]
	v_mul_f32_e32 v4, s41, v4
	v_and_b32_e32 v16, 0x7f800000, v4
	v_cmp_ne_u32_e64 s[2:3], s36, v16
                                        ; implicit-def: $vgpr56
	s_and_saveexec_b64 s[22:23], s[2:3]
	s_xor_b64 s[2:3], exec, s[22:23]
; %bb.715:                              ;   in Loop: Header=BB351_332 Depth=1
	v_bfe_u32 v16, v4, 16, 1
	v_add3_u32 v56, v4, v16, s37
                                        ; implicit-def: $vgpr4
; %bb.716:                              ;   in Loop: Header=BB351_332 Depth=1
	s_andn2_saveexec_b64 s[22:23], s[2:3]
; %bb.717:                              ;   in Loop: Header=BB351_332 Depth=1
	v_or_b32_e32 v16, 0x10000, v4
	v_cmp_eq_u32_sdwa s[2:3], v4, v17 src0_sel:WORD_0 src1_sel:DWORD
	v_cndmask_b32_e64 v56, v16, v4, s[2:3]
; %bb.718:                              ;   in Loop: Header=BB351_332 Depth=1
	s_or_b64 exec, exec, s[22:23]
	v_lshrrev_b16_e32 v4, 8, v2
	v_cmp_ne_u16_e64 s[2:3], 0, v4
	v_mov_b32_e32 v16, 0
	s_and_saveexec_b64 s[22:23], s[2:3]
	s_cbranch_execz .LBB351_724
; %bb.719:                              ;   in Loop: Header=BB351_332 Depth=1
	v_cmp_ne_u16_e64 s[2:3], s38, v4
	v_bfrev_b32_e32 v16, 1
	s_and_saveexec_b64 s[24:25], s[2:3]
	s_cbranch_execz .LBB351_723
; %bb.720:                              ;   in Loop: Header=BB351_332 Depth=1
	v_and_b32_e32 v57, 0x7f, v4
	v_cmp_ne_u32_e64 s[2:3], s39, v57
	v_mov_b32_e32 v16, 0x7f800001
	s_and_saveexec_b64 s[26:27], s[2:3]
	s_cbranch_execz .LBB351_722
; %bb.721:                              ;   in Loop: Header=BB351_332 Depth=1
	v_and_b32_e32 v16, 7, v4
	v_ffbh_u32_e32 v58, v16
	v_min_u32_e32 v61, 32, v58
	v_subrev_u32_e32 v58, 28, v61
	v_lshlrev_b64 v[58:59], v58, v[4:5]
	v_lshrrev_b32_e32 v60, 3, v57
	v_sub_u32_e32 v4, 29, v61
	v_and_b32_e32 v58, 7, v58
	v_cmp_gt_u32_e64 s[2:3], 8, v57
	v_cndmask_b32_e64 v4, v60, v4, s[2:3]
	v_cndmask_b32_e64 v16, v16, v58, s[2:3]
	v_lshlrev_b32_e32 v57, 16, v2
	v_lshlrev_b32_e32 v16, 20, v16
	v_and_b32_e32 v57, 0x80000000, v57
	v_lshl_add_u32 v4, v4, 23, v27
	v_or3_b32 v16, v57, v4, v16
.LBB351_722:                            ;   in Loop: Header=BB351_332 Depth=1
	s_or_b64 exec, exec, s[26:27]
.LBB351_723:                            ;   in Loop: Header=BB351_332 Depth=1
	s_or_b64 exec, exec, s[24:25]
.LBB351_724:                            ;   in Loop: Header=BB351_332 Depth=1
	s_or_b64 exec, exec, s[22:23]
	v_mul_f32_e32 v4, s41, v16
	v_and_b32_e32 v16, 0x7f800000, v4
	v_cmp_ne_u32_e64 s[2:3], s36, v16
                                        ; implicit-def: $vgpr57
	s_and_saveexec_b64 s[22:23], s[2:3]
	s_xor_b64 s[2:3], exec, s[22:23]
; %bb.725:                              ;   in Loop: Header=BB351_332 Depth=1
	v_bfe_u32 v16, v4, 16, 1
	v_add3_u32 v57, v4, v16, s37
                                        ; implicit-def: $vgpr4
; %bb.726:                              ;   in Loop: Header=BB351_332 Depth=1
	s_andn2_saveexec_b64 s[22:23], s[2:3]
; %bb.727:                              ;   in Loop: Header=BB351_332 Depth=1
	v_or_b32_e32 v16, 0x10000, v4
	v_cmp_eq_u32_sdwa s[2:3], v4, v17 src0_sel:WORD_0 src1_sel:DWORD
	v_cndmask_b32_e64 v57, v16, v4, s[2:3]
; %bb.728:                              ;   in Loop: Header=BB351_332 Depth=1
	s_or_b64 exec, exec, s[22:23]
	v_lshrrev_b32_e32 v4, 16, v2
	v_cmp_ne_u16_sdwa s[2:3], v4, v17 src0_sel:BYTE_0 src1_sel:DWORD
	v_mov_b32_e32 v16, 0
	s_and_saveexec_b64 s[22:23], s[2:3]
	s_cbranch_execz .LBB351_734
; %bb.729:                              ;   in Loop: Header=BB351_332 Depth=1
	v_cmp_ne_u16_sdwa s[2:3], v4, s38 src0_sel:BYTE_0 src1_sel:DWORD
	v_bfrev_b32_e32 v16, 1
	s_and_saveexec_b64 s[24:25], s[2:3]
	s_cbranch_execz .LBB351_733
; %bb.730:                              ;   in Loop: Header=BB351_332 Depth=1
	v_bfe_u32 v58, v2, 16, 7
	v_cmp_ne_u32_e64 s[2:3], s39, v58
	v_mov_b32_e32 v16, 0x7f800001
	s_and_saveexec_b64 s[26:27], s[2:3]
	s_cbranch_execz .LBB351_732
; %bb.731:                              ;   in Loop: Header=BB351_332 Depth=1
	v_and_b32_e32 v16, 7, v4
	v_ffbh_u32_e32 v60, v16
	v_min_u32_e32 v62, 32, v60
	v_subrev_u32_e32 v60, 28, v62
	v_lshlrev_b64 v[60:61], v60, v[4:5]
	v_lshrrev_b32_e32 v59, 3, v58
	v_sub_u32_e32 v61, 29, v62
	v_and_b32_e32 v60, 7, v60
	v_cmp_gt_u32_e64 s[2:3], 8, v58
	v_cndmask_b32_e64 v58, v59, v61, s[2:3]
	v_cndmask_b32_e64 v16, v16, v60, s[2:3]
	v_lshlrev_b32_e32 v4, 24, v4
	v_lshlrev_b32_e32 v16, 20, v16
	v_and_b32_e32 v4, 0x80000000, v4
	v_lshl_add_u32 v58, v58, 23, v27
	v_or3_b32 v16, v4, v58, v16
.LBB351_732:                            ;   in Loop: Header=BB351_332 Depth=1
	s_or_b64 exec, exec, s[26:27]
.LBB351_733:                            ;   in Loop: Header=BB351_332 Depth=1
	s_or_b64 exec, exec, s[24:25]
.LBB351_734:                            ;   in Loop: Header=BB351_332 Depth=1
	s_or_b64 exec, exec, s[22:23]
	v_mul_f32_e32 v4, s41, v16
	v_and_b32_e32 v16, 0x7f800000, v4
	v_cmp_ne_u32_e64 s[2:3], s36, v16
                                        ; implicit-def: $vgpr58
	s_and_saveexec_b64 s[22:23], s[2:3]
	s_xor_b64 s[2:3], exec, s[22:23]
; %bb.735:                              ;   in Loop: Header=BB351_332 Depth=1
	v_bfe_u32 v16, v4, 16, 1
	v_add3_u32 v58, v4, v16, s37
                                        ; implicit-def: $vgpr4
; %bb.736:                              ;   in Loop: Header=BB351_332 Depth=1
	s_andn2_saveexec_b64 s[22:23], s[2:3]
; %bb.737:                              ;   in Loop: Header=BB351_332 Depth=1
	v_or_b32_e32 v16, 0x10000, v4
	v_cmp_eq_u32_sdwa s[2:3], v4, v17 src0_sel:WORD_0 src1_sel:DWORD
	v_cndmask_b32_e64 v58, v16, v4, s[2:3]
; %bb.738:                              ;   in Loop: Header=BB351_332 Depth=1
	s_or_b64 exec, exec, s[22:23]
	v_cmp_lt_u32_e64 s[2:3], s13, v2
	v_mov_b32_e32 v16, 0
	s_and_saveexec_b64 s[22:23], s[2:3]
	s_cbranch_execz .LBB351_744
; %bb.739:                              ;   in Loop: Header=BB351_332 Depth=1
	v_lshrrev_b32_e32 v4, 24, v2
	v_cmp_ne_u32_e64 s[2:3], s38, v4
	v_bfrev_b32_e32 v16, 1
	s_and_saveexec_b64 s[24:25], s[2:3]
	s_cbranch_execz .LBB351_743
; %bb.740:                              ;   in Loop: Header=BB351_332 Depth=1
	v_bfe_u32 v59, v2, 24, 7
	v_cmp_ne_u32_e64 s[2:3], s39, v59
	v_mov_b32_e32 v16, 0x7f800001
	s_and_saveexec_b64 s[26:27], s[2:3]
	s_cbranch_execz .LBB351_742
; %bb.741:                              ;   in Loop: Header=BB351_332 Depth=1
	v_and_b32_e32 v16, 7, v4
	v_ffbh_u32_e32 v60, v16
	v_min_u32_e32 v63, 32, v60
	v_subrev_u32_e32 v60, 28, v63
	v_lshlrev_b64 v[60:61], v60, v[4:5]
	v_lshrrev_b32_e32 v62, 3, v59
	v_sub_u32_e32 v61, 29, v63
	v_and_b32_e32 v60, 7, v60
	v_cmp_gt_u32_e64 s[2:3], 8, v59
	v_cndmask_b32_e64 v59, v62, v61, s[2:3]
	v_cndmask_b32_e64 v16, v16, v60, s[2:3]
	v_lshlrev_b32_e32 v4, 24, v4
	v_lshlrev_b32_e32 v16, 20, v16
	v_and_b32_e32 v4, 0x80000000, v4
	v_lshl_add_u32 v59, v59, 23, v27
	v_or3_b32 v16, v4, v59, v16
.LBB351_742:                            ;   in Loop: Header=BB351_332 Depth=1
	s_or_b64 exec, exec, s[26:27]
.LBB351_743:                            ;   in Loop: Header=BB351_332 Depth=1
	s_or_b64 exec, exec, s[24:25]
.LBB351_744:                            ;   in Loop: Header=BB351_332 Depth=1
	s_or_b64 exec, exec, s[22:23]
	v_mul_f32_e32 v4, s41, v16
	v_and_b32_e32 v16, 0x7f800000, v4
	v_cmp_ne_u32_e64 s[2:3], s36, v16
                                        ; implicit-def: $vgpr59
	s_and_saveexec_b64 s[22:23], s[2:3]
	s_xor_b64 s[2:3], exec, s[22:23]
; %bb.745:                              ;   in Loop: Header=BB351_332 Depth=1
	v_bfe_u32 v16, v4, 16, 1
	v_add3_u32 v59, v4, v16, s37
                                        ; implicit-def: $vgpr4
; %bb.746:                              ;   in Loop: Header=BB351_332 Depth=1
	s_andn2_saveexec_b64 s[22:23], s[2:3]
; %bb.747:                              ;   in Loop: Header=BB351_332 Depth=1
	v_or_b32_e32 v16, 0x10000, v4
	v_cmp_eq_u32_sdwa s[2:3], v4, v17 src0_sel:WORD_0 src1_sel:DWORD
	v_cndmask_b32_e64 v59, v16, v4, s[2:3]
; %bb.748:                              ;   in Loop: Header=BB351_332 Depth=1
	s_or_b64 exec, exec, s[22:23]
	v_mov_b32_e32 v16, v3
	v_cmp_ne_u16_sdwa s[2:3], v3, v17 src0_sel:BYTE_0 src1_sel:DWORD
	v_mov_b32_e32 v4, 0
	s_and_saveexec_b64 s[22:23], s[2:3]
	s_cbranch_execz .LBB351_754
; %bb.749:                              ;   in Loop: Header=BB351_332 Depth=1
	v_cmp_ne_u16_sdwa s[2:3], v3, s38 src0_sel:BYTE_0 src1_sel:DWORD
	v_bfrev_b32_e32 v4, 1
	s_and_saveexec_b64 s[24:25], s[2:3]
	s_cbranch_execz .LBB351_753
; %bb.750:                              ;   in Loop: Header=BB351_332 Depth=1
	v_and_b32_e32 v60, 0x7f, v3
	v_cmp_ne_u32_e64 s[2:3], s39, v60
	v_mov_b32_e32 v4, 0x7f800001
	s_and_saveexec_b64 s[26:27], s[2:3]
	s_cbranch_execz .LBB351_752
; %bb.751:                              ;   in Loop: Header=BB351_332 Depth=1
	v_and_b32_e32 v4, 7, v3
	v_ffbh_u32_e32 v4, v4
	v_min_u32_e32 v4, 32, v4
	v_subrev_u32_e32 v62, 28, v4
	v_cmp_gt_u32_e64 s[2:3], 8, v60
	v_lshrrev_b32_e32 v61, 3, v60
	v_sub_u32_e32 v4, 29, v4
	v_cndmask_b32_e64 v60, 0, v62, s[2:3]
	v_cndmask_b32_e64 v4, v61, v4, s[2:3]
	v_lshlrev_b64 v[60:61], v60, v[16:17]
	v_lshlrev_b32_e32 v60, 20, v60
	v_lshlrev_b32_e32 v61, 24, v16
	v_and_b32_e32 v60, 0x700000, v60
	v_and_b32_e32 v61, 0x80000000, v61
	v_lshl_add_u32 v4, v4, 23, v27
	v_or3_b32 v4, v61, v4, v60
.LBB351_752:                            ;   in Loop: Header=BB351_332 Depth=1
	s_or_b64 exec, exec, s[26:27]
.LBB351_753:                            ;   in Loop: Header=BB351_332 Depth=1
	s_or_b64 exec, exec, s[24:25]
.LBB351_754:                            ;   in Loop: Header=BB351_332 Depth=1
	s_or_b64 exec, exec, s[22:23]
	v_mul_f32_e32 v4, s41, v4
	v_and_b32_e32 v60, 0x7f800000, v4
	v_cmp_ne_u32_e64 s[2:3], s36, v60
                                        ; implicit-def: $vgpr60
	s_and_saveexec_b64 s[22:23], s[2:3]
	s_xor_b64 s[2:3], exec, s[22:23]
; %bb.755:                              ;   in Loop: Header=BB351_332 Depth=1
	v_bfe_u32 v60, v4, 16, 1
	v_add3_u32 v60, v4, v60, s37
                                        ; implicit-def: $vgpr4
; %bb.756:                              ;   in Loop: Header=BB351_332 Depth=1
	s_andn2_saveexec_b64 s[22:23], s[2:3]
; %bb.757:                              ;   in Loop: Header=BB351_332 Depth=1
	v_or_b32_e32 v60, 0x10000, v4
	v_cmp_eq_u32_sdwa s[2:3], v4, v17 src0_sel:WORD_0 src1_sel:DWORD
	v_cndmask_b32_e64 v60, v60, v4, s[2:3]
; %bb.758:                              ;   in Loop: Header=BB351_332 Depth=1
	s_or_b64 exec, exec, s[22:23]
	v_lshrrev_b16_e32 v4, 8, v16
	v_cmp_ne_u16_e64 s[2:3], 0, v4
	v_mov_b32_e32 v61, 0
	s_and_saveexec_b64 s[22:23], s[2:3]
	s_cbranch_execz .LBB351_764
; %bb.759:                              ;   in Loop: Header=BB351_332 Depth=1
	v_cmp_ne_u16_e64 s[2:3], s38, v4
	v_bfrev_b32_e32 v61, 1
	s_and_saveexec_b64 s[24:25], s[2:3]
	s_cbranch_execz .LBB351_763
; %bb.760:                              ;   in Loop: Header=BB351_332 Depth=1
	v_and_b32_e32 v62, 0x7f, v4
	v_cmp_ne_u32_e64 s[2:3], s39, v62
	v_mov_b32_e32 v61, 0x7f800001
	s_and_saveexec_b64 s[26:27], s[2:3]
	s_cbranch_execz .LBB351_762
; %bb.761:                              ;   in Loop: Header=BB351_332 Depth=1
	v_and_b32_e32 v61, 7, v4
	v_ffbh_u32_e32 v64, v61
	v_min_u32_e32 v66, 32, v64
	v_subrev_u32_e32 v64, 28, v66
	v_lshlrev_b64 v[64:65], v64, v[4:5]
	v_lshrrev_b32_e32 v63, 3, v62
	v_sub_u32_e32 v4, 29, v66
	v_and_b32_e32 v64, 7, v64
	v_cmp_gt_u32_e64 s[2:3], 8, v62
	v_cndmask_b32_e64 v4, v63, v4, s[2:3]
	v_cndmask_b32_e64 v61, v61, v64, s[2:3]
	v_lshlrev_b32_e32 v16, 16, v16
	v_lshlrev_b32_e32 v61, 20, v61
	v_and_b32_e32 v16, 0x80000000, v16
	v_lshl_add_u32 v4, v4, 23, v27
	v_or3_b32 v61, v16, v4, v61
.LBB351_762:                            ;   in Loop: Header=BB351_332 Depth=1
	s_or_b64 exec, exec, s[26:27]
.LBB351_763:                            ;   in Loop: Header=BB351_332 Depth=1
	s_or_b64 exec, exec, s[24:25]
.LBB351_764:                            ;   in Loop: Header=BB351_332 Depth=1
	s_or_b64 exec, exec, s[22:23]
	v_mul_f32_e32 v4, s41, v61
	v_and_b32_e32 v16, 0x7f800000, v4
	v_cmp_ne_u32_e64 s[2:3], s36, v16
                                        ; implicit-def: $vgpr16
	s_and_saveexec_b64 s[22:23], s[2:3]
	s_xor_b64 s[2:3], exec, s[22:23]
; %bb.765:                              ;   in Loop: Header=BB351_332 Depth=1
	v_bfe_u32 v16, v4, 16, 1
	v_add3_u32 v16, v4, v16, s37
                                        ; implicit-def: $vgpr4
; %bb.766:                              ;   in Loop: Header=BB351_332 Depth=1
	s_andn2_saveexec_b64 s[22:23], s[2:3]
; %bb.767:                              ;   in Loop: Header=BB351_332 Depth=1
	v_or_b32_e32 v16, 0x10000, v4
	v_cmp_eq_u32_sdwa s[2:3], v4, v17 src0_sel:WORD_0 src1_sel:DWORD
	v_cndmask_b32_e64 v16, v16, v4, s[2:3]
; %bb.768:                              ;   in Loop: Header=BB351_332 Depth=1
	s_or_b64 exec, exec, s[22:23]
	v_lshrrev_b32_e32 v4, 16, v3
	v_cmp_ne_u16_sdwa s[2:3], v4, v17 src0_sel:BYTE_0 src1_sel:DWORD
	v_mov_b32_e32 v61, 0
	s_and_saveexec_b64 s[22:23], s[2:3]
	s_cbranch_execz .LBB351_774
; %bb.769:                              ;   in Loop: Header=BB351_332 Depth=1
	v_cmp_ne_u16_sdwa s[2:3], v4, s38 src0_sel:BYTE_0 src1_sel:DWORD
	v_bfrev_b32_e32 v61, 1
	s_and_saveexec_b64 s[24:25], s[2:3]
	s_cbranch_execz .LBB351_773
; %bb.770:                              ;   in Loop: Header=BB351_332 Depth=1
	v_bfe_u32 v62, v3, 16, 7
	v_cmp_ne_u32_e64 s[2:3], s39, v62
	v_mov_b32_e32 v61, 0x7f800001
	s_and_saveexec_b64 s[26:27], s[2:3]
	s_cbranch_execz .LBB351_772
; %bb.771:                              ;   in Loop: Header=BB351_332 Depth=1
	v_and_b32_e32 v61, 7, v4
	v_ffbh_u32_e32 v64, v61
	v_min_u32_e32 v66, 32, v64
	v_subrev_u32_e32 v64, 28, v66
	v_lshlrev_b64 v[64:65], v64, v[4:5]
	v_lshrrev_b32_e32 v63, 3, v62
	v_sub_u32_e32 v65, 29, v66
	v_and_b32_e32 v64, 7, v64
	v_cmp_gt_u32_e64 s[2:3], 8, v62
	v_cndmask_b32_e64 v62, v63, v65, s[2:3]
	v_cndmask_b32_e64 v61, v61, v64, s[2:3]
	v_lshlrev_b32_e32 v4, 24, v4
	v_lshlrev_b32_e32 v61, 20, v61
	v_and_b32_e32 v4, 0x80000000, v4
	v_lshl_add_u32 v62, v62, 23, v27
	v_or3_b32 v61, v4, v62, v61
.LBB351_772:                            ;   in Loop: Header=BB351_332 Depth=1
	s_or_b64 exec, exec, s[26:27]
.LBB351_773:                            ;   in Loop: Header=BB351_332 Depth=1
	s_or_b64 exec, exec, s[24:25]
.LBB351_774:                            ;   in Loop: Header=BB351_332 Depth=1
	s_or_b64 exec, exec, s[22:23]
	v_mul_f32_e32 v61, s41, v61
	v_and_b32_e32 v4, 0x7f800000, v61
	v_cmp_ne_u32_e64 s[2:3], s36, v4
                                        ; implicit-def: $vgpr4
	s_and_saveexec_b64 s[22:23], s[2:3]
	s_xor_b64 s[2:3], exec, s[22:23]
; %bb.775:                              ;   in Loop: Header=BB351_332 Depth=1
	v_bfe_u32 v4, v61, 16, 1
	v_add3_u32 v4, v61, v4, s37
                                        ; implicit-def: $vgpr61
; %bb.776:                              ;   in Loop: Header=BB351_332 Depth=1
	s_andn2_saveexec_b64 s[22:23], s[2:3]
; %bb.777:                              ;   in Loop: Header=BB351_332 Depth=1
	v_or_b32_e32 v4, 0x10000, v61
	v_cmp_eq_u32_sdwa s[2:3], v61, v17 src0_sel:WORD_0 src1_sel:DWORD
	v_cndmask_b32_e64 v4, v4, v61, s[2:3]
; %bb.778:                              ;   in Loop: Header=BB351_332 Depth=1
	s_or_b64 exec, exec, s[22:23]
	v_cmp_lt_u64_e64 s[2:3], s[12:13], v[2:3]
	v_mov_b32_e32 v61, 0
	s_and_saveexec_b64 s[22:23], s[2:3]
	s_cbranch_execz .LBB351_784
; %bb.779:                              ;   in Loop: Header=BB351_332 Depth=1
	v_lshrrev_b32_e32 v2, 24, v3
	v_cmp_ne_u32_e64 s[2:3], s38, v2
	v_bfrev_b32_e32 v61, 1
	s_and_saveexec_b64 s[24:25], s[2:3]
	s_cbranch_execz .LBB351_783
; %bb.780:                              ;   in Loop: Header=BB351_332 Depth=1
	v_bfe_u32 v3, v3, 24, 7
	v_cmp_ne_u32_e64 s[2:3], s39, v3
	v_mov_b32_e32 v61, 0x7f800001
	s_and_saveexec_b64 s[26:27], s[2:3]
	s_cbranch_execz .LBB351_782
; %bb.781:                              ;   in Loop: Header=BB351_332 Depth=1
	v_and_b32_e32 v61, 7, v2
	v_ffbh_u32_e32 v62, v61
	v_min_u32_e32 v65, 32, v62
	v_subrev_u32_e32 v62, 28, v65
	v_lshlrev_b64 v[62:63], v62, v[2:3]
	v_lshrrev_b32_e32 v64, 3, v3
	v_sub_u32_e32 v63, 29, v65
	v_and_b32_e32 v62, 7, v62
	v_cmp_gt_u32_e64 s[2:3], 8, v3
	v_cndmask_b32_e64 v3, v64, v63, s[2:3]
	v_cndmask_b32_e64 v61, v61, v62, s[2:3]
	v_lshlrev_b32_e32 v2, 24, v2
	v_lshlrev_b32_e32 v61, 20, v61
	v_and_b32_e32 v2, 0x80000000, v2
	v_lshl_add_u32 v3, v3, 23, v27
	v_or3_b32 v61, v2, v3, v61
.LBB351_782:                            ;   in Loop: Header=BB351_332 Depth=1
	s_or_b64 exec, exec, s[26:27]
.LBB351_783:                            ;   in Loop: Header=BB351_332 Depth=1
	s_or_b64 exec, exec, s[24:25]
.LBB351_784:                            ;   in Loop: Header=BB351_332 Depth=1
	s_or_b64 exec, exec, s[22:23]
	v_mul_f32_e32 v3, s41, v61
	v_and_b32_e32 v2, 0x7f800000, v3
	v_cmp_ne_u32_e64 s[2:3], s36, v2
                                        ; implicit-def: $vgpr2
	s_and_saveexec_b64 s[22:23], s[2:3]
	s_xor_b64 s[2:3], exec, s[22:23]
; %bb.785:                              ;   in Loop: Header=BB351_332 Depth=1
	v_bfe_u32 v2, v3, 16, 1
	v_add3_u32 v2, v3, v2, s37
                                        ; implicit-def: $vgpr3
; %bb.786:                              ;   in Loop: Header=BB351_332 Depth=1
	s_andn2_saveexec_b64 s[22:23], s[2:3]
; %bb.787:                              ;   in Loop: Header=BB351_332 Depth=1
	v_or_b32_e32 v2, 0x10000, v3
	v_cmp_eq_u32_sdwa s[2:3], v3, v17 src0_sel:WORD_0 src1_sel:DWORD
	v_cndmask_b32_e64 v2, v2, v3, s[2:3]
; %bb.788:                              ;   in Loop: Header=BB351_332 Depth=1
	s_or_b64 exec, exec, s[22:23]
	v_lshrrev_b32_e32 v61, 16, v16
	v_lshrrev_b32_e32 v60, 16, v60
	;; [unrolled: 1-line block ×8, first 2 shown]
	s_and_saveexec_b64 s[2:3], s[0:1]
	s_cbranch_execz .LBB351_790
; %bb.789:                              ;   in Loop: Header=BB351_332 Depth=1
	v_cmp_gt_i32_e64 s[0:1], s33, v35
	v_add_u32_e32 v56, 1, v35
	v_cndmask_b32_e64 v3, 0, v3, s[0:1]
	v_cmp_gt_i32_e64 s[0:1], s33, v56
	v_add_u32_e32 v56, 2, v35
	v_cndmask_b32_e64 v16, 0, v16, s[0:1]
	;; [unrolled: 3-line block ×7, first 2 shown]
	v_cmp_gt_i32_e64 s[0:1], s33, v35
	v_cndmask_b32_e64 v2, 0, v2, s[0:1]
.LBB351_790:                            ;   in Loop: Header=BB351_332 Depth=1
	s_or_b64 exec, exec, s[2:3]
	v_lshlrev_b32_e32 v3, 16, v3
	v_mul_f32_e32 v35, v36, v3
	v_and_b32_e32 v3, 0x7f800000, v35
	v_cmp_ne_u32_e64 s[0:1], s36, v3
                                        ; implicit-def: $vgpr3
	s_and_saveexec_b64 s[2:3], s[0:1]
	s_xor_b64 s[0:1], exec, s[2:3]
; %bb.791:                              ;   in Loop: Header=BB351_332 Depth=1
	v_bfe_u32 v3, v35, 16, 1
	v_add3_u32 v3, v35, v3, s37
                                        ; implicit-def: $vgpr35
; %bb.792:                              ;   in Loop: Header=BB351_332 Depth=1
	s_andn2_saveexec_b64 s[2:3], s[0:1]
; %bb.793:                              ;   in Loop: Header=BB351_332 Depth=1
	v_or_b32_e32 v3, 0x10000, v35
	v_cmp_eq_u32_sdwa s[0:1], v35, v17 src0_sel:WORD_0 src1_sel:DWORD
	v_cndmask_b32_e64 v3, v3, v35, s[0:1]
; %bb.794:                              ;   in Loop: Header=BB351_332 Depth=1
	s_or_b64 exec, exec, s[2:3]
	v_lshlrev_b32_e32 v16, 16, v16
	v_mul_f32_e32 v35, v37, v16
	v_and_b32_e32 v16, 0x7f800000, v35
	v_cmp_ne_u32_e64 s[0:1], s36, v16
                                        ; implicit-def: $vgpr16
	s_and_saveexec_b64 s[2:3], s[0:1]
	s_xor_b64 s[0:1], exec, s[2:3]
; %bb.795:                              ;   in Loop: Header=BB351_332 Depth=1
	v_bfe_u32 v16, v35, 16, 1
	v_add3_u32 v16, v35, v16, s37
                                        ; implicit-def: $vgpr35
; %bb.796:                              ;   in Loop: Header=BB351_332 Depth=1
	s_andn2_saveexec_b64 s[2:3], s[0:1]
; %bb.797:                              ;   in Loop: Header=BB351_332 Depth=1
	v_or_b32_e32 v16, 0x10000, v35
	v_cmp_eq_u32_sdwa s[0:1], v35, v17 src0_sel:WORD_0 src1_sel:DWORD
	v_cndmask_b32_e64 v16, v16, v35, s[0:1]
; %bb.798:                              ;   in Loop: Header=BB351_332 Depth=1
	s_or_b64 exec, exec, s[2:3]
	v_lshlrev_b32_e32 v35, 16, v58
	v_mul_f32_e32 v36, v38, v35
	v_and_b32_e32 v35, 0x7f800000, v36
	v_cmp_ne_u32_e64 s[0:1], s36, v35
                                        ; implicit-def: $vgpr35
	s_and_saveexec_b64 s[2:3], s[0:1]
	s_xor_b64 s[0:1], exec, s[2:3]
; %bb.799:                              ;   in Loop: Header=BB351_332 Depth=1
	v_bfe_u32 v35, v36, 16, 1
	v_add3_u32 v35, v36, v35, s37
                                        ; implicit-def: $vgpr36
; %bb.800:                              ;   in Loop: Header=BB351_332 Depth=1
	s_andn2_saveexec_b64 s[2:3], s[0:1]
; %bb.801:                              ;   in Loop: Header=BB351_332 Depth=1
	v_or_b32_e32 v35, 0x10000, v36
	v_cmp_eq_u32_sdwa s[0:1], v36, v17 src0_sel:WORD_0 src1_sel:DWORD
	v_cndmask_b32_e64 v35, v35, v36, s[0:1]
; %bb.802:                              ;   in Loop: Header=BB351_332 Depth=1
	s_or_b64 exec, exec, s[2:3]
	v_lshlrev_b32_e32 v36, 16, v59
	v_mul_f32_e32 v37, v39, v36
	v_and_b32_e32 v36, 0x7f800000, v37
	v_cmp_ne_u32_e64 s[0:1], s36, v36
                                        ; implicit-def: $vgpr36
	s_and_saveexec_b64 s[2:3], s[0:1]
	s_xor_b64 s[0:1], exec, s[2:3]
; %bb.803:                              ;   in Loop: Header=BB351_332 Depth=1
	v_bfe_u32 v36, v37, 16, 1
	v_add3_u32 v36, v37, v36, s37
                                        ; implicit-def: $vgpr37
; %bb.804:                              ;   in Loop: Header=BB351_332 Depth=1
	s_andn2_saveexec_b64 s[2:3], s[0:1]
; %bb.805:                              ;   in Loop: Header=BB351_332 Depth=1
	v_or_b32_e32 v36, 0x10000, v37
	v_cmp_eq_u32_sdwa s[0:1], v37, v17 src0_sel:WORD_0 src1_sel:DWORD
	v_cndmask_b32_e64 v36, v36, v37, s[0:1]
; %bb.806:                              ;   in Loop: Header=BB351_332 Depth=1
	s_or_b64 exec, exec, s[2:3]
	v_lshlrev_b32_e32 v37, 16, v60
	v_mul_f32_e32 v38, v40, v37
	v_and_b32_e32 v37, 0x7f800000, v38
	v_cmp_ne_u32_e64 s[0:1], s36, v37
                                        ; implicit-def: $vgpr37
	s_and_saveexec_b64 s[2:3], s[0:1]
	s_xor_b64 s[0:1], exec, s[2:3]
; %bb.807:                              ;   in Loop: Header=BB351_332 Depth=1
	v_bfe_u32 v37, v38, 16, 1
	v_add3_u32 v37, v38, v37, s37
                                        ; implicit-def: $vgpr38
; %bb.808:                              ;   in Loop: Header=BB351_332 Depth=1
	s_andn2_saveexec_b64 s[2:3], s[0:1]
; %bb.809:                              ;   in Loop: Header=BB351_332 Depth=1
	v_or_b32_e32 v37, 0x10000, v38
	v_cmp_eq_u32_sdwa s[0:1], v38, v17 src0_sel:WORD_0 src1_sel:DWORD
	v_cndmask_b32_e64 v37, v37, v38, s[0:1]
; %bb.810:                              ;   in Loop: Header=BB351_332 Depth=1
	s_or_b64 exec, exec, s[2:3]
	v_lshlrev_b32_e32 v38, 16, v61
	v_mul_f32_e32 v39, v41, v38
	v_and_b32_e32 v38, 0x7f800000, v39
	v_cmp_ne_u32_e64 s[0:1], s36, v38
                                        ; implicit-def: $vgpr38
	s_and_saveexec_b64 s[2:3], s[0:1]
	s_xor_b64 s[0:1], exec, s[2:3]
; %bb.811:                              ;   in Loop: Header=BB351_332 Depth=1
	v_bfe_u32 v38, v39, 16, 1
	v_add3_u32 v38, v39, v38, s37
                                        ; implicit-def: $vgpr39
; %bb.812:                              ;   in Loop: Header=BB351_332 Depth=1
	s_andn2_saveexec_b64 s[2:3], s[0:1]
; %bb.813:                              ;   in Loop: Header=BB351_332 Depth=1
	v_or_b32_e32 v38, 0x10000, v39
	v_cmp_eq_u32_sdwa s[0:1], v39, v17 src0_sel:WORD_0 src1_sel:DWORD
	v_cndmask_b32_e64 v38, v38, v39, s[0:1]
; %bb.814:                              ;   in Loop: Header=BB351_332 Depth=1
	s_or_b64 exec, exec, s[2:3]
	v_lshlrev_b32_e32 v4, 16, v4
	v_mul_f32_e32 v39, v42, v4
	v_and_b32_e32 v4, 0x7f800000, v39
	v_cmp_ne_u32_e64 s[0:1], s36, v4
                                        ; implicit-def: $vgpr4
	s_and_saveexec_b64 s[2:3], s[0:1]
	s_xor_b64 s[0:1], exec, s[2:3]
; %bb.815:                              ;   in Loop: Header=BB351_332 Depth=1
	v_bfe_u32 v4, v39, 16, 1
	v_add3_u32 v4, v39, v4, s37
                                        ; implicit-def: $vgpr39
; %bb.816:                              ;   in Loop: Header=BB351_332 Depth=1
	s_andn2_saveexec_b64 s[2:3], s[0:1]
; %bb.817:                              ;   in Loop: Header=BB351_332 Depth=1
	v_or_b32_e32 v4, 0x10000, v39
	v_cmp_eq_u32_sdwa s[0:1], v39, v17 src0_sel:WORD_0 src1_sel:DWORD
	v_cndmask_b32_e64 v4, v4, v39, s[0:1]
; %bb.818:                              ;   in Loop: Header=BB351_332 Depth=1
	s_or_b64 exec, exec, s[2:3]
	v_lshlrev_b32_e32 v2, 16, v2
	v_mul_f32_e32 v2, v43, v2
	v_and_b32_e32 v39, 0x7f800000, v2
	v_cmp_ne_u32_e64 s[0:1], s36, v39
                                        ; implicit-def: $vgpr39
	s_and_saveexec_b64 s[2:3], s[0:1]
	s_xor_b64 s[0:1], exec, s[2:3]
; %bb.819:                              ;   in Loop: Header=BB351_332 Depth=1
	v_bfe_u32 v39, v2, 16, 1
	v_add3_u32 v39, v2, v39, s37
                                        ; implicit-def: $vgpr2
; %bb.820:                              ;   in Loop: Header=BB351_332 Depth=1
	s_andn2_saveexec_b64 s[2:3], s[0:1]
	s_cbranch_execz .LBB351_329
; %bb.821:                              ;   in Loop: Header=BB351_332 Depth=1
	v_or_b32_e32 v39, 0x10000, v2
	v_cmp_eq_u32_sdwa s[0:1], v2, v17 src0_sel:WORD_0 src1_sel:DWORD
	v_cndmask_b32_e64 v39, v39, v2, s[0:1]
	s_branch .LBB351_329
.LBB351_822:
	s_or_b64 exec, exec, s[16:17]
.LBB351_823:
	s_or_b64 exec, exec, s[6:7]
	ds_bpermute_b32 v2, v11, v20
	ds_bpermute_b32 v3, v11, v21
	;; [unrolled: 1-line block ×4, first 2 shown]
	v_and_b32_e32 v1, 0x3c0, v0
	v_cmp_eq_u32_e32 vcc, 64, v1
	s_waitcnt lgkmcnt(2)
	v_pk_add_f32 v[4:5], v[20:21], v[2:3]
	s_waitcnt lgkmcnt(0)
	v_pk_add_f32 v[2:3], v[12:13], v[6:7]
	s_barrier
	s_and_saveexec_b64 s[2:3], vcc
	s_cbranch_execz .LBB351_828
; %bb.824:
	v_cmp_eq_u32_e32 vcc, 0, v19
	s_and_saveexec_b64 s[0:1], vcc
	s_cbranch_execz .LBB351_826
; %bb.825:
	v_mov_b32_e32 v1, 0xf0
	v_lshl_add_u32 v1, v24, 2, v1
	ds_write2_b32 v1, v4, v5 offset1:32
	ds_write_b32 v1, v2 offset:256
.LBB351_826:
	s_or_b64 exec, exec, s[0:1]
	v_or_b32_e32 v1, 0x60, v24
	s_movk_i32 s0, 0x70
	v_cmp_gt_u32_e64 s[0:1], s0, v1
	s_and_b64 s[0:1], vcc, s[0:1]
	s_and_b64 exec, exec, s[0:1]
	s_cbranch_execz .LBB351_828
; %bb.827:
	v_mov_b32_e32 v1, 0xf0
	v_lshl_add_u32 v1, v24, 2, v1
	ds_write_b32 v1, v3 offset:384
.LBB351_828:
	s_or_b64 exec, exec, s[2:3]
	v_cmp_gt_u32_e32 vcc, 64, v0
	v_lshrrev_b32_e32 v6, 1, v0
	s_waitcnt lgkmcnt(0)
	s_barrier
	s_and_saveexec_b64 s[6:7], vcc
	s_cbranch_execz .LBB351_836
; %bb.829:
	v_cmp_eq_u32_e64 s[0:1], 0, v19
	s_and_saveexec_b64 s[2:3], s[0:1]
	s_cbranch_execnz .LBB351_858
; %bb.830:
	s_or_b64 exec, exec, s[2:3]
	s_and_saveexec_b64 s[2:3], s[0:1]
	s_cbranch_execnz .LBB351_859
.LBB351_831:
	s_or_b64 exec, exec, s[2:3]
	s_and_saveexec_b64 s[2:3], s[0:1]
	s_cbranch_execz .LBB351_833
.LBB351_832:
	v_mov_b32_e32 v0, 0xf0
	v_lshl_add_u32 v0, v6, 2, v0
	ds_read_b32 v0, v0 offset:256
	s_waitcnt lgkmcnt(0)
	v_add_f32_e32 v2, v2, v0
.LBB351_833:
	s_or_b64 exec, exec, s[2:3]
	v_or_b32_e32 v0, 0x60, v6
	s_movk_i32 s2, 0x70
	v_cmp_gt_u32_e64 s[2:3], s2, v0
	s_and_b64 s[2:3], s[0:1], s[2:3]
	s_and_saveexec_b64 s[0:1], s[2:3]
	s_cbranch_execz .LBB351_835
; %bb.834:
	v_mov_b32_e32 v0, 0xf0
	v_lshl_add_u32 v0, v6, 2, v0
	ds_read_b32 v0, v0 offset:384
	s_waitcnt lgkmcnt(0)
	v_add_f32_e32 v3, v3, v0
.LBB351_835:
	s_or_b64 exec, exec, s[0:1]
.LBB351_836:
	s_or_b64 exec, exec, s[6:7]
	s_barrier
	s_and_saveexec_b64 s[0:1], vcc
	s_cbranch_execz .LBB351_857
; %bb.837:
	s_mul_i32 s0, s4, 0x70
	s_ashr_i32 s1, s0, 31
	s_lshl_b64 s[0:1], s[0:1], 1
	s_add_u32 s2, s30, s0
	s_mul_i32 s0, s29, s28
	s_addc_u32 s3, s31, s1
	s_ashr_i32 s1, s0, 31
	s_lshl_b64 s[0:1], s[0:1], 1
	s_add_u32 s2, s2, s0
	s_mul_i32 s0, s8, 0x70
	s_addc_u32 s3, s3, s1
	s_ashr_i32 s1, s0, 31
	s_lshl_b64 s[0:1], s[0:1], 1
	s_add_u32 s2, s2, s0
	s_addc_u32 s3, s3, s1
	v_cmp_eq_u32_e32 vcc, 0, v19
	s_and_saveexec_b64 s[4:5], vcc
	s_cbranch_execz .LBB351_851
; %bb.838:
	s_mov_b32 s0, 0x7f800000
	v_and_b32_e32 v0, 0x7f800000, v4
	v_cmp_ne_u32_e64 s[0:1], s0, v0
                                        ; implicit-def: $vgpr7
	s_and_saveexec_b64 s[6:7], s[0:1]
	s_xor_b64 s[0:1], exec, s[6:7]
; %bb.839:
	v_bfe_u32 v0, v4, 16, 1
	s_movk_i32 s6, 0x7fff
	v_add3_u32 v7, v4, v0, s6
; %bb.840:
	s_andn2_saveexec_b64 s[6:7], s[0:1]
; %bb.841:
	v_mov_b32_e32 v0, 0
	v_or_b32_e32 v1, 0x10000, v4
	v_cmp_eq_u32_sdwa s[0:1], v4, v0 src0_sel:WORD_0 src1_sel:DWORD
	v_cndmask_b32_e64 v7, v1, v4, s[0:1]
; %bb.842:
	s_or_b64 exec, exec, s[6:7]
	v_lshlrev_b32_e32 v4, 1, v6
	v_mov_b32_e32 v1, s3
	v_add_co_u32_e64 v0, s[0:1], s2, v4
	v_addc_co_u32_e64 v1, s[0:1], 0, v1, s[0:1]
	global_store_short_d16_hi v4, v7, s[2:3]
	s_mov_b32 s0, 0x7f800000
	v_and_b32_e32 v4, 0x7f800000, v5
	v_cmp_ne_u32_e64 s[0:1], s0, v4
                                        ; implicit-def: $vgpr4
	s_and_saveexec_b64 s[6:7], s[0:1]
	s_xor_b64 s[0:1], exec, s[6:7]
; %bb.843:
	v_bfe_u32 v4, v5, 16, 1
	s_movk_i32 s6, 0x7fff
	v_add3_u32 v4, v5, v4, s6
; %bb.844:
	s_andn2_saveexec_b64 s[6:7], s[0:1]
; %bb.845:
	v_mov_b32_e32 v4, 0
	v_or_b32_e32 v7, 0x10000, v5
	v_cmp_eq_u32_sdwa s[0:1], v5, v4 src0_sel:WORD_0 src1_sel:DWORD
	v_cndmask_b32_e64 v4, v7, v5, s[0:1]
; %bb.846:
	s_or_b64 exec, exec, s[6:7]
	global_store_short_d16_hi v[0:1], v4, off offset:64
	s_mov_b32 s0, 0x7f800000
	v_and_b32_e32 v4, 0x7f800000, v2
	v_cmp_ne_u32_e64 s[0:1], s0, v4
                                        ; implicit-def: $vgpr4
	s_and_saveexec_b64 s[6:7], s[0:1]
	s_xor_b64 s[0:1], exec, s[6:7]
; %bb.847:
	v_bfe_u32 v4, v2, 16, 1
	s_movk_i32 s6, 0x7fff
	v_add3_u32 v4, v2, v4, s6
; %bb.848:
	s_andn2_saveexec_b64 s[6:7], s[0:1]
; %bb.849:
	v_mov_b32_e32 v4, 0
	v_or_b32_e32 v5, 0x10000, v2
	v_cmp_eq_u32_sdwa s[0:1], v2, v4 src0_sel:WORD_0 src1_sel:DWORD
	v_cndmask_b32_e64 v4, v5, v2, s[0:1]
; %bb.850:
	s_or_b64 exec, exec, s[6:7]
	global_store_short_d16_hi v[0:1], v4, off offset:128
.LBB351_851:
	s_or_b64 exec, exec, s[4:5]
	v_or_b32_e32 v0, 0x60, v6
	s_movk_i32 s0, 0x70
	v_cmp_gt_u32_e64 s[0:1], s0, v0
	s_and_b64 s[0:1], vcc, s[0:1]
	s_and_b64 exec, exec, s[0:1]
	s_cbranch_execz .LBB351_857
; %bb.852:
	s_mov_b32 s0, 0x7f800000
	v_and_b32_e32 v0, 0x7f800000, v3
	v_cmp_ne_u32_e32 vcc, s0, v0
                                        ; implicit-def: $vgpr4
	s_and_saveexec_b64 s[0:1], vcc
	s_xor_b64 s[0:1], exec, s[0:1]
; %bb.853:
	v_bfe_u32 v0, v3, 16, 1
	s_movk_i32 s4, 0x7fff
	v_add3_u32 v4, v3, v0, s4
                                        ; implicit-def: $vgpr0_vgpr1_vgpr2_vgpr3
; %bb.854:
	s_andn2_saveexec_b64 s[0:1], s[0:1]
; %bb.855:
	v_mov_b32_e32 v0, 0
	v_or_b32_e32 v1, 0x10000, v3
	v_cmp_eq_u32_sdwa vcc, v3, v0 src0_sel:WORD_0 src1_sel:DWORD
	v_cndmask_b32_e32 v4, v1, v3, vcc
; %bb.856:
	s_or_b64 exec, exec, s[0:1]
	v_lshlrev_b32_e32 v0, 1, v6
	global_store_short_d16_hi v0, v4, s[2:3] offset:192
.LBB351_857:
	s_endpgm
.LBB351_858:
	v_mov_b32_e32 v0, 0xf0
	v_lshl_add_u32 v0, v6, 2, v0
	ds_read_b32 v0, v0
	s_waitcnt lgkmcnt(0)
	v_add_f32_e32 v4, v4, v0
	s_or_b64 exec, exec, s[2:3]
	s_and_saveexec_b64 s[2:3], s[0:1]
	s_cbranch_execz .LBB351_831
.LBB351_859:
	v_mov_b32_e32 v0, 0xf0
	v_lshl_add_u32 v0, v6, 2, v0
	ds_read_b32 v0, v0 offset:128
	s_waitcnt lgkmcnt(0)
	v_add_f32_e32 v5, v5, v0
	s_or_b64 exec, exec, s[2:3]
	s_and_saveexec_b64 s[2:3], s[0:1]
	s_cbranch_execnz .LBB351_832
	s_branch .LBB351_833
	.section	.rodata,"a",@progbits
	.p2align	6, 0x0
	.amdhsa_kernel _ZN4vllm25paged_attention_v2_kernelI14__hip_bfloat16hLi112ELi16ELi128ELNS_18Fp8KVCacheDataTypeE1ELb1ELi512EEEvPfS3_PT_PKS4_PKT0_SA_ifPKiSC_iPKfiiiSE_SE_iiiii
		.amdhsa_group_segment_fixed_size 240
		.amdhsa_private_segment_fixed_size 0
		.amdhsa_kernarg_size 400
		.amdhsa_user_sgpr_count 6
		.amdhsa_user_sgpr_private_segment_buffer 1
		.amdhsa_user_sgpr_dispatch_ptr 0
		.amdhsa_user_sgpr_queue_ptr 0
		.amdhsa_user_sgpr_kernarg_segment_ptr 1
		.amdhsa_user_sgpr_dispatch_id 0
		.amdhsa_user_sgpr_flat_scratch_init 0
		.amdhsa_user_sgpr_kernarg_preload_length 0
		.amdhsa_user_sgpr_kernarg_preload_offset 0
		.amdhsa_user_sgpr_private_segment_size 0
		.amdhsa_uses_dynamic_stack 0
		.amdhsa_system_sgpr_private_segment_wavefront_offset 0
		.amdhsa_system_sgpr_workgroup_id_x 1
		.amdhsa_system_sgpr_workgroup_id_y 1
		.amdhsa_system_sgpr_workgroup_id_z 1
		.amdhsa_system_sgpr_workgroup_info 0
		.amdhsa_system_vgpr_workitem_id 0
		.amdhsa_next_free_vgpr 81
		.amdhsa_next_free_sgpr 65
		.amdhsa_accum_offset 84
		.amdhsa_reserve_vcc 1
		.amdhsa_reserve_flat_scratch 0
		.amdhsa_float_round_mode_32 0
		.amdhsa_float_round_mode_16_64 0
		.amdhsa_float_denorm_mode_32 3
		.amdhsa_float_denorm_mode_16_64 3
		.amdhsa_dx10_clamp 1
		.amdhsa_ieee_mode 1
		.amdhsa_fp16_overflow 0
		.amdhsa_tg_split 0
		.amdhsa_exception_fp_ieee_invalid_op 0
		.amdhsa_exception_fp_denorm_src 0
		.amdhsa_exception_fp_ieee_div_zero 0
		.amdhsa_exception_fp_ieee_overflow 0
		.amdhsa_exception_fp_ieee_underflow 0
		.amdhsa_exception_fp_ieee_inexact 0
		.amdhsa_exception_int_div_zero 0
	.end_amdhsa_kernel
	.section	.text._ZN4vllm25paged_attention_v2_kernelI14__hip_bfloat16hLi112ELi16ELi128ELNS_18Fp8KVCacheDataTypeE1ELb1ELi512EEEvPfS3_PT_PKS4_PKT0_SA_ifPKiSC_iPKfiiiSE_SE_iiiii,"axG",@progbits,_ZN4vllm25paged_attention_v2_kernelI14__hip_bfloat16hLi112ELi16ELi128ELNS_18Fp8KVCacheDataTypeE1ELb1ELi512EEEvPfS3_PT_PKS4_PKT0_SA_ifPKiSC_iPKfiiiSE_SE_iiiii,comdat
.Lfunc_end351:
	.size	_ZN4vllm25paged_attention_v2_kernelI14__hip_bfloat16hLi112ELi16ELi128ELNS_18Fp8KVCacheDataTypeE1ELb1ELi512EEEvPfS3_PT_PKS4_PKT0_SA_ifPKiSC_iPKfiiiSE_SE_iiiii, .Lfunc_end351-_ZN4vllm25paged_attention_v2_kernelI14__hip_bfloat16hLi112ELi16ELi128ELNS_18Fp8KVCacheDataTypeE1ELb1ELi512EEEvPfS3_PT_PKS4_PKT0_SA_ifPKiSC_iPKfiiiSE_SE_iiiii
                                        ; -- End function
	.section	.AMDGPU.csdata,"",@progbits
; Kernel info:
; codeLenInByte = 25360
; NumSgprs: 69
; NumVgprs: 81
; NumAgprs: 0
; TotalNumVgprs: 81
; ScratchSize: 0
; MemoryBound: 0
; FloatMode: 240
; IeeeMode: 1
; LDSByteSize: 240 bytes/workgroup (compile time only)
; SGPRBlocks: 8
; VGPRBlocks: 10
; NumSGPRsForWavesPerEU: 69
; NumVGPRsForWavesPerEU: 81
; AccumOffset: 84
; Occupancy: 5
; WaveLimiterHint : 1
; COMPUTE_PGM_RSRC2:SCRATCH_EN: 0
; COMPUTE_PGM_RSRC2:USER_SGPR: 6
; COMPUTE_PGM_RSRC2:TRAP_HANDLER: 0
; COMPUTE_PGM_RSRC2:TGID_X_EN: 1
; COMPUTE_PGM_RSRC2:TGID_Y_EN: 1
; COMPUTE_PGM_RSRC2:TGID_Z_EN: 1
; COMPUTE_PGM_RSRC2:TIDIG_COMP_CNT: 0
; COMPUTE_PGM_RSRC3_GFX90A:ACCUM_OFFSET: 20
; COMPUTE_PGM_RSRC3_GFX90A:TG_SPLIT: 0
	.text
	.p2align	2                               ; -- Begin function _ZN4vllm22paged_attention_kernelI14__hip_bfloat16hLi120ELi16ELi128ELNS_18Fp8KVCacheDataTypeE1ELb1ELi512EEEvPfS3_PT_PKS4_PKT0_SA_ifPKiSC_iPKfiiiSE_SE_iiiii
	.type	_ZN4vllm22paged_attention_kernelI14__hip_bfloat16hLi120ELi16ELi128ELNS_18Fp8KVCacheDataTypeE1ELb1ELi512EEEvPfS3_PT_PKS4_PKT0_SA_ifPKiSC_iPKfiiiSE_SE_iiiii,@function
_ZN4vllm22paged_attention_kernelI14__hip_bfloat16hLi120ELi16ELi128ELNS_18Fp8KVCacheDataTypeE1ELb1ELi512EEEvPfS3_PT_PKS4_PKT0_SA_ifPKiSC_iPKfiiiSE_SE_iiiii: ; @_ZN4vllm22paged_attention_kernelI14__hip_bfloat16hLi120ELi16ELi128ELNS_18Fp8KVCacheDataTypeE1ELb1ELi512EEEvPfS3_PT_PKS4_PKT0_SA_ifPKiSC_iPKfiiiSE_SE_iiiii
; %bb.0:
	s_waitcnt vmcnt(0) expcnt(0) lgkmcnt(0)
	s_or_saveexec_b64 s[4:5], -1
	buffer_store_dword v63, off, s[0:3], s32 offset:156 ; 4-byte Folded Spill
	s_mov_b64 exec, s[4:5]
	buffer_store_dword v40, off, s[0:3], s32 offset:144 ; 4-byte Folded Spill
	buffer_store_dword v41, off, s[0:3], s32 offset:140 ; 4-byte Folded Spill
	;; [unrolled: 1-line block ×35, first 2 shown]
	v_writelane_b32 v63, s34, 0
	v_writelane_b32 v63, s35, 1
	;; [unrolled: 1-line block ×11, first 2 shown]
	s_mov_b32 s22, s13
	s_ashr_i32 s23, s13, 31
	v_accvgpr_write_b32 a2, v26
	v_accvgpr_write_b32 a33, v25
	s_lshl_b64 s[4:5], s[22:23], 2
	v_accvgpr_write_b32 a3, v27
	v_accvgpr_write_b32 a32, v24
	v_mov_b32_e32 v25, v1
	v_mov_b32_e32 v26, v0
	;; [unrolled: 1-line block ×3, first 2 shown]
	v_add_co_u32_e32 v0, vcc, s4, v16
	v_addc_co_u32_e32 v1, vcc, v17, v1, vcc
	v_mov_b32_e32 v34, v2
	flat_load_dword v2, v[0:1]
	s_nop 0
	buffer_load_dword v0, off, s[0:3], s32 offset:4
	buffer_load_dword v1, off, s[0:3], s32
	s_lshl_b32 s23, s14, 9
	v_accvgpr_write_b32 a4, v22
	v_mov_b32_e32 v33, v20
	v_mov_b32_e32 v32, v19
	v_accvgpr_write_b32 a34, v13
	v_mov_b32_e32 v22, v11
	v_mov_b32_e32 v24, v10
	v_accvgpr_write_b32 a0, v5
	v_accvgpr_write_b32 a1, v4
	v_mov_b32_e32 v27, v3
	s_waitcnt vmcnt(0) lgkmcnt(0)
	v_accvgpr_write_b32 a5, v2
	v_cmp_lt_i32_e32 vcc, s23, v2
	s_and_saveexec_b64 s[16:17], vcc
	s_cbranch_execz .LBB352_876
; %bb.1:
	v_sub_u32_e32 v2, 0, v12
	v_max_i32_e32 v2, v12, v2
	v_cvt_f32_u32_e32 v3, v2
	s_load_dword s4, s[8:9], 0x10
	s_load_dword s6, s[8:9], 0x0
	v_sub_u32_e32 v5, 0, v2
	s_mov_b32 s20, s15
	v_rcp_iflag_f32_e32 v3, v3
	s_waitcnt lgkmcnt(0)
	s_lshr_b32 s4, s4, 16
	s_cmp_lg_u32 s4, 0
	s_cselect_b64 s[4:5], -1, 0
	v_mul_f32_e32 v3, 0x4f7ffffe, v3
	v_cvt_u32_f32_e32 v3, v3
	s_cmp_lg_u64 s[4:5], 0
	s_addc_u32 s15, s6, 0
	s_abs_i32 s4, s15
	v_mul_lo_u32 v5, v5, v3
	v_mul_hi_u32 v5, v3, v5
	v_add_u32_e32 v3, v3, v5
	v_mul_hi_u32 v3, s4, v3
	v_mul_lo_u32 v5, v3, v2
	v_sub_u32_e32 v5, s4, v5
	v_add_u32_e32 v10, 1, v3
	v_cmp_ge_u32_e32 vcc, v5, v2
	v_cndmask_b32_e32 v3, v3, v10, vcc
	v_sub_u32_e32 v10, v5, v2
	v_cndmask_b32_e32 v5, v5, v10, vcc
	v_xor_b32_e32 v4, s15, v12
	v_add_u32_e32 v10, 1, v3
	v_cmp_ge_u32_e32 vcc, v5, v2
	v_ashrrev_i32_e32 v4, 31, v4
	v_cndmask_b32_e32 v2, v3, v10, vcc
	v_xor_b32_e32 v2, v2, v4
	v_sub_u32_e32 v2, v2, v4
	v_sub_u32_e32 v3, 0, v2
	v_max_i32_e32 v3, v2, v3
	v_cvt_f32_u32_e32 v4, v3
	v_sub_u32_e32 v5, 0, v3
	s_abs_i32 s6, s12
	v_cmp_ne_u64_e32 vcc, 0, v[32:33]
	v_rcp_iflag_f32_e32 v4, v4
	v_mul_f32_e32 v4, 0x4f7ffffe, v4
	v_cvt_u32_f32_e32 v4, v4
	v_mul_lo_u32 v5, v5, v4
	v_mul_hi_u32 v5, v4, v5
	v_add_u32_e32 v4, v4, v5
	v_mad_u64_u32 v[16:17], s[4:5], s6, v4, 0
	v_mov_b32_e32 v4, 0
	buffer_store_dword v4, off, s[0:3], s32 offset:152 ; 4-byte Folded Spill
	s_and_saveexec_b64 s[4:5], vcc
	s_cbranch_execz .LBB352_3
; %bb.2:
	s_ashr_i32 s13, s12, 31
	s_lshl_b64 s[10:11], s[12:13], 2
	v_mov_b32_e32 v5, s11
	v_add_co_u32_e32 v4, vcc, s10, v32
	v_addc_co_u32_e32 v5, vcc, v33, v5, vcc
	flat_load_dword v4, v[4:5]
	s_waitcnt vmcnt(0) lgkmcnt(0)
	buffer_store_dword v4, off, s[0:3], s32 offset:152 ; 4-byte Folded Spill
.LBB352_3:
	s_or_b64 exec, exec, s[4:5]
	v_and_b32_e32 v5, 0x3ff, v31
	s_ashr_i32 s7, s12, 31
	v_ashrrev_i32_e32 v4, 31, v2
	v_and_b32_e32 v2, 3, v5
	s_mul_i32 s18, s12, 0x78
	v_accvgpr_write_b32 a6, v5
	v_cmp_gt_u32_e32 vcc, 60, v5
	s_and_saveexec_b64 s[4:5], vcc
	s_cbranch_execz .LBB352_5
; %bb.4:
	v_mul_lo_u32 v10, s22, v21
	v_ashrrev_i32_e32 v11, 31, v10
	v_lshlrev_b64 v[10:11], 1, v[10:11]
	v_add_co_u32_e32 v5, vcc, v6, v10
	s_ashr_i32 s19, s18, 31
	v_addc_co_u32_e32 v6, vcc, v7, v11, vcc
	s_lshl_b64 s[10:11], s[18:19], 1
	v_mov_b32_e32 v7, s11
	v_add_co_u32_e32 v5, vcc, s10, v5
	v_accvgpr_read_b32 v10, a6
	v_addc_co_u32_e32 v7, vcc, v6, v7, vcc
	v_lshlrev_b32_e32 v6, 2, v10
	v_add_co_u32_e32 v6, vcc, v5, v6
	v_addc_co_u32_e32 v7, vcc, 0, v7, vcc
	flat_load_dword v5, v[6:7]
	v_and_b32_e32 v6, 0x3fc, v10
	v_mad_u32_u24 v6, v2, 60, v6
	s_waitcnt vmcnt(0) lgkmcnt(0)
	ds_write_b32 v6, v5
.LBB352_5:
	s_or_b64 exec, exec, s[4:5]
	v_mul_lo_u32 v5, v17, v3
	v_sub_u32_e32 v5, s6, v5
	v_add_u32_e32 v6, 1, v17
	v_cmp_ge_u32_e32 vcc, v5, v3
	v_sub_u32_e32 v7, v5, v3
	v_cndmask_b32_e32 v6, v17, v6, vcc
	v_cndmask_b32_e32 v5, v5, v7, vcc
	v_add_u32_e32 v7, 1, v6
	v_cmp_ge_u32_e32 vcc, v5, v3
	v_sub_u32_e32 v5, 0, v1
	v_cndmask_b32_e32 v3, v6, v7, vcc
	v_max_i32_e32 v7, v1, v5
	v_cvt_f32_u32_e32 v5, v7
	v_xor_b32_e32 v4, s7, v4
	v_xor_b32_e32 v3, v3, v4
	v_sub_u32_e32 v6, v3, v4
	v_rcp_iflag_f32_e32 v3, v5
	v_accvgpr_read_b32 v4, a5
	v_accvgpr_write_b32 a7, v7
	v_sub_u32_e32 v7, 0, v7
	v_mul_f32_e32 v3, 0x4f7ffffe, v3
	v_cvt_u32_f32_e32 v5, v3
	v_add_u32_e32 v4, -1, v4
	v_sub_u32_e32 v3, 0, v4
	v_max_i32_e32 v3, v4, v3
	v_mul_lo_u32 v7, v7, v5
	v_mul_hi_u32 v7, v5, v7
	v_add_u32_e32 v5, v5, v7
	v_accvgpr_write_b32 a8, v5
	v_mad_u64_u32 v[20:21], s[4:5], v3, v5, 0
	v_cmp_gt_i32_e32 vcc, 0, v0
	s_waitcnt lgkmcnt(0)
	s_barrier
	s_waitcnt lgkmcnt(0)
                                        ; implicit-def: $agpr10
	s_and_saveexec_b64 s[4:5], vcc
	s_xor_b64 s[4:5], exec, s[4:5]
; %bb.6:
	v_mad_u64_u32 v[10:11], s[6:7], v28, v12, v[6:7]
	v_mul_lo_u32 v0, v10, v0
	v_sub_u32_e32 v0, 1, v0
	v_accvgpr_write_b32 a10, v0
                                        ; implicit-def: $vgpr28
                                        ; implicit-def: $vgpr0
; %bb.7:
	s_or_saveexec_b64 s[4:5], s[4:5]
	v_ashrrev_i32_e32 v1, 31, v1
	v_ashrrev_i32_e32 v4, 31, v4
	v_accvgpr_write_b32 a9, v1
	s_xor_b64 exec, exec, s[4:5]
; %bb.8:
	v_mul_lo_u32 v1, s15, v28
	v_add_u32_e32 v1, s12, v1
	v_mad_u64_u32 v[0:1], s[6:7], v1, v0, 1
	v_accvgpr_write_b32 a10, v0
; %bb.9:
	s_or_b64 exec, exec, s[4:5]
	v_accvgpr_read_b32 v5, a9
	v_accvgpr_read_b32 v10, a7
	v_xor_b32_e32 v4, v4, v5
	v_mul_lo_u32 v5, v21, v10
	v_sub_u32_e32 v3, v3, v5
	v_add_u32_e32 v5, 1, v21
	v_cmp_ge_u32_e32 vcc, v3, v10
	v_sub_u32_e32 v7, v3, v10
	v_cndmask_b32_e32 v5, v21, v5, vcc
	v_cndmask_b32_e32 v3, v3, v7, vcc
	v_add_u32_e32 v7, 1, v5
	v_cmp_ge_u32_e32 vcc, v3, v10
	v_cndmask_b32_e32 v3, v5, v7, vcc
	v_xor_b32_e32 v3, v3, v4
	v_sub_u32_e32 v3, v3, v4
	v_accvgpr_read_b32 v4, a5
	v_add_u32_e32 v4, 15, v4
	v_ashrrev_i32_e32 v5, 31, v4
	v_lshrrev_b32_e32 v5, 28, v5
	v_add_u32_e32 v4, v4, v5
	v_ashrrev_i32_e32 v32, 4, v4
	s_lshl_b32 s19, s14, 5
	v_accvgpr_read_b32 v4, a6
	s_load_dword s38, s[8:9], 0x14
	s_load_dword s13, s[8:9], 0x8
	v_mul_lo_u32 v0, s22, v18
	s_add_i32 s4, s19, 32
	v_lshrrev_b32_e32 v31, 6, v4
	v_ashrrev_i32_e32 v1, 31, v0
	v_min_i32_e32 v5, s4, v32
	v_or_b32_e32 v4, s19, v31
	v_accvgpr_write_b32 a11, v5
	v_cmp_lt_i32_e64 s[4:5], v4, v5
	v_sub_u32_e32 v3, v3, v29
	v_ashrrev_i32_e32 v5, 31, v4
	v_lshlrev_b64 v[0:1], 2, v[0:1]
	v_accvgpr_write_b32 a14, v3
	v_mul_lo_u32 v23, v6, v23
	v_accvgpr_write_b32 a13, v5
	v_sub_u32_e32 v3, 0, v30
	v_accvgpr_write_b32 a27, v1
	v_mov_b32_e32 v13, 0xff7fffff
	v_accvgpr_write_b32 a12, v4
	v_ashrrev_i32_e32 v33, 31, v23
	v_accvgpr_write_b32 a29, v3
	v_accvgpr_write_b32 a26, v0
	v_mbcnt_lo_u32_b32 v4, -1, 0
	v_lshl_add_u32 v0, v31, 4, s23
	s_mov_b64 s[24:25], exec
	s_and_b64 s[6:7], s[24:25], s[4:5]
	v_accvgpr_write_b32 a15, v0
	s_mov_b64 exec, s[6:7]
	s_cbranch_execz .LBB352_319
; %bb.10:
	v_accvgpr_read_b32 v0, a6
	v_bfe_u32 v6, v0, 2, 4
	v_add_co_u32_e64 v0, s[6:7], v8, v23
	v_addc_co_u32_e64 v1, s[6:7], v9, v33, s[6:7]
	v_lshlrev_b32_e32 v3, 4, v6
	v_add_co_u32_e64 v0, s[6:7], v0, v3
	v_addc_co_u32_e64 v1, s[6:7], 0, v1, s[6:7]
	v_accvgpr_write_b32 a39, v1
	v_accvgpr_write_b32 a38, v0
	v_mul_u32_u24_e32 v1, 60, v2
	v_accvgpr_write_b32 a41, v1
	buffer_load_dword v1, off, s[0:3], s32 offset:152 ; 4-byte Folded Reload
	v_lshlrev_b32_e32 v0, 1, v2
	v_accvgpr_write_b32 a40, v0
	v_accvgpr_read_b32 v0, a29
	v_max_i32_e32 v3, v30, v0
	v_cvt_f32_u32_e32 v0, v3
	s_ashr_i32 s21, s20, 31
	v_cmp_eq_u32_e32 vcc, 0, v2
	s_lshl_b64 s[8:9], s[20:21], 2
	v_rcp_iflag_f32_e32 v0, v0
	v_accvgpr_write_b32 a37, v3
	s_getpc_b64 s[10:11]
	s_add_u32 s10, s10, llvm.amdgcn.dynlds.offset.table@rel32@lo+4
	s_addc_u32 s11, s11, llvm.amdgcn.dynlds.offset.table@rel32@hi+12
	s_add_u32 s26, s8, s10
	v_mul_f32_e32 v0, 0x4f7ffffe, v0
	v_cvt_u32_f32_e32 v0, v0
	s_addc_u32 s27, s9, s11
	s_load_dword s21, s[26:27], 0x0
	v_accvgpr_write_b32 a28, v32
	v_accvgpr_write_b32 a24, v34
	;; [unrolled: 1-line block ×14, first 2 shown]
	s_mov_b64 s[28:29], 0
	s_movk_i32 s39, 0x80
	s_movk_i32 s40, 0x7f
	s_mov_b32 s41, 0x7f800000
	s_movk_i32 s42, 0x7fff
	s_waitcnt vmcnt(0)
	v_cmp_neq_f32_e64 s[6:7], 0, v1
	v_sub_u32_e32 v1, 0, v3
	v_mul_lo_u32 v1, v1, v0
	v_mul_hi_u32 v1, v0, v1
	v_accvgpr_read_b32 v2, a12
	v_add_u32_e32 v0, v0, v1
	v_accvgpr_read_b32 v3, a13
	v_accvgpr_write_b32 a42, v0
	v_lshlrev_b64 v[0:1], 2, v[2:3]
	v_mov_b32_e32 v3, v4
	v_accvgpr_read_b32 v4, a26
	v_accvgpr_read_b32 v5, a27
	v_add_co_u32_e64 v0, s[8:9], v4, v0
	v_addc_co_u32_e64 v1, s[8:9], v5, v1, s[8:9]
	v_add_co_u32_e64 v20, s[8:9], v14, v0
	v_lshlrev_b32_e32 v0, 2, v6
	v_lshl_or_b32 v0, v31, 6, v0
	v_accvgpr_write_b32 a43, v0
	v_accvgpr_read_b32 v0, a5
	v_sub_u32_e32 v0, v6, v0
	v_add_u32_e32 v0, 1, v0
	v_accvgpr_write_b32 a44, v0
	v_mbcnt_hi_u32_b32 v0, -1, v3
	v_addc_co_u32_e64 v21, s[8:9], v15, v1, s[8:9]
	v_lshl_add_u32 v1, v31, 4, s23
	v_accvgpr_write_b32 a35, v3
	v_accvgpr_write_b32 a45, v0
	v_mov_b32_e32 v0, 0xff7fffff
	buffer_store_dword v0, off, s[0:3], s32 offset:148 ; 4-byte Folded Spill
	s_branch .LBB352_13
.LBB352_11:                             ;   in Loop: Header=BB352_13 Depth=1
	s_or_b64 exec, exec, s[30:31]
.LBB352_12:                             ;   in Loop: Header=BB352_13 Depth=1
	s_or_b64 exec, exec, s[10:11]
	v_accvgpr_read_b32 v2, a47
	v_add_co_u32_e64 v20, s[8:9], 8, v20
	v_add_u32_e32 v2, 2, v2
	v_addc_co_u32_e64 v21, s[8:9], 0, v21, s[8:9]
	v_accvgpr_read_b32 v0, a11
	v_cmp_ge_i32_e64 s[8:9], v2, v0
	v_accvgpr_read_b32 v0, a43
	s_waitcnt lgkmcnt(0)
	v_accvgpr_read_b32 v1, a46
	v_add_u32_e32 v0, 0x80, v0
	v_add_u32_e32 v1, 32, v1
	s_or_b64 s[28:29], s[8:9], s[28:29]
	v_accvgpr_write_b32 a43, v0
	s_andn2_b64 exec, exec, s[28:29]
	s_cbranch_execz .LBB352_318
.LBB352_13:                             ; =>This Inner Loop Header: Depth=1
	v_accvgpr_write_b32 a47, v2
	v_ashrrev_i32_e32 v0, 31, v1
	v_mov_b32_e32 v2, v1
	v_accvgpr_read_b32 v1, a9
	v_xor_b32_e32 v0, v0, v1
	v_sub_u32_e32 v1, 0, v2
	v_accvgpr_write_b32 a46, v2
	v_max_i32_e32 v1, v2, v1
	v_accvgpr_read_b32 v2, a8
	v_mul_hi_u32 v2, v1, v2
	v_accvgpr_read_b32 v4, a7
	v_mul_lo_u32 v3, v2, v4
	v_sub_u32_e32 v1, v1, v3
	v_add_u32_e32 v3, 1, v2
	v_cmp_ge_u32_e64 s[8:9], v1, v4
	v_cndmask_b32_e64 v2, v2, v3, s[8:9]
	v_sub_u32_e32 v3, v1, v4
	v_cndmask_b32_e64 v1, v1, v3, s[8:9]
	v_add_u32_e32 v3, 1, v2
	v_cmp_ge_u32_e64 s[8:9], v1, v4
	v_cndmask_b32_e64 v1, v2, v3, s[8:9]
	v_xor_b32_e32 v1, v1, v0
	v_sub_u32_e32 v0, v1, v0
	v_accvgpr_read_b32 v2, a10
	v_add_u32_e32 v1, v0, v2
	v_sub_u32_e32 v3, 0, v1
	v_ashrrev_i32_e32 v2, 31, v1
	v_max_i32_e32 v1, v1, v3
	v_accvgpr_read_b32 v4, a42
	v_mul_hi_u32 v3, v1, v4
	v_accvgpr_read_b32 v4, a37
	v_mul_lo_u32 v3, v3, v4
	v_sub_u32_e32 v1, v1, v3
	v_sub_u32_e32 v3, v1, v4
	v_cmp_ge_u32_e64 s[8:9], v1, v4
	v_cndmask_b32_e64 v1, v1, v3, s[8:9]
	v_sub_u32_e32 v3, v1, v4
	v_cmp_ge_u32_e64 s[8:9], v1, v4
	v_cndmask_b32_e64 v1, v1, v3, s[8:9]
	v_xor_b32_e32 v1, v1, v2
	v_sub_u32_e32 v1, v1, v2
	v_cmp_ne_u32_e64 s[8:9], 0, v1
	v_accvgpr_read_b32 v1, a14
	v_cmp_le_i32_e64 s[10:11], v0, v1
	s_and_b64 s[8:9], s[8:9], s[10:11]
	s_and_b64 s[30:31], vcc, s[8:9]
	s_and_saveexec_b64 s[10:11], s[30:31]
	s_cbranch_execz .LBB352_15
; %bb.14:                               ;   in Loop: Header=BB352_13 Depth=1
	v_accvgpr_read_b32 v0, a43
	s_waitcnt lgkmcnt(0)
	v_add_u32_e32 v0, s21, v0
	v_mov_b32_e32 v1, 0xff7fffff
	ds_write_b32 v0, v1
.LBB352_15:                             ;   in Loop: Header=BB352_13 Depth=1
	s_or_b64 exec, exec, s[10:11]
	s_xor_b64 s[8:9], s[8:9], -1
	s_and_saveexec_b64 s[10:11], s[8:9]
	s_cbranch_execz .LBB352_12
; %bb.16:                               ;   in Loop: Header=BB352_13 Depth=1
	flat_load_dword v0, v[20:21]
	v_accvgpr_read_b32 v6, a38
	v_accvgpr_read_b32 v2, a4
	;; [unrolled: 1-line block ×3, first 2 shown]
	s_waitcnt vmcnt(0) lgkmcnt(0)
	v_mad_i64_i32 v[0:1], s[8:9], v0, v2, v[6:7]
	v_accvgpr_read_b32 v2, a40
	v_add_co_u32_e64 v54, s[8:9], v0, v2
	v_addc_co_u32_e64 v55, s[8:9], 0, v1, s[8:9]
	v_accvgpr_read_b32 v2, a32
	flat_load_ushort v0, v[54:55]
	v_accvgpr_read_b32 v3, a33
	flat_load_dword v10, v[2:3]
	v_accvgpr_read_b32 v1, a41
	ds_read2_b32 v[52:53], v1 offset1:1
	ds_read2_b32 v[50:51], v1 offset0:2 offset1:3
	ds_read2_b32 v[48:49], v1 offset0:4 offset1:5
	;; [unrolled: 1-line block ×6, first 2 shown]
	ds_read_b32 v60, v1 offset:56
	v_mov_b32_e32 v1, 0
	s_waitcnt vmcnt(0) lgkmcnt(0)
	v_and_b32_e32 v40, 0xffff, v0
	v_cmp_ne_u16_sdwa s[8:9], v0, v1 src0_sel:BYTE_0 src1_sel:DWORD
	v_mov_b32_e32 v0, 0
	s_and_saveexec_b64 s[30:31], s[8:9]
	s_cbranch_execz .LBB352_22
; %bb.17:                               ;   in Loop: Header=BB352_13 Depth=1
	v_cmp_ne_u16_sdwa s[8:9], v40, s39 src0_sel:BYTE_0 src1_sel:DWORD
	v_bfrev_b32_e32 v0, 1
	s_and_saveexec_b64 s[34:35], s[8:9]
	s_cbranch_execz .LBB352_21
; %bb.18:                               ;   in Loop: Header=BB352_13 Depth=1
	v_and_b32_e32 v1, 0x7f, v40
	v_cmp_ne_u32_e64 s[8:9], s40, v1
	v_mov_b32_e32 v0, 0x7f800001
	s_and_saveexec_b64 s[36:37], s[8:9]
	s_cbranch_execz .LBB352_20
; %bb.19:                               ;   in Loop: Header=BB352_13 Depth=1
	v_and_b32_e32 v2, 7, v40
	v_ffbh_u32_e32 v0, v2
	v_min_u32_e32 v6, 32, v0
	v_subrev_u32_e32 v0, 28, v6
	v_lshrrev_b32_e32 v3, 3, v1
	v_cmp_gt_u32_e64 s[8:9], 8, v1
	v_lshlrev_b64 v[0:1], v0, v[40:41]
	v_sub_u32_e32 v1, 29, v6
	v_and_b32_e32 v0, 7, v0
	v_cndmask_b32_e64 v1, v3, v1, s[8:9]
	v_cndmask_b32_e64 v0, v2, v0, s[8:9]
	v_lshlrev_b32_e32 v2, 24, v40
	v_bfrev_b32_e32 v3, 60
	v_lshlrev_b32_e32 v0, 20, v0
	v_and_b32_e32 v2, 0x80000000, v2
	v_lshl_add_u32 v1, v1, 23, v3
	v_or3_b32 v0, v2, v1, v0
.LBB352_20:                             ;   in Loop: Header=BB352_13 Depth=1
	s_or_b64 exec, exec, s[36:37]
.LBB352_21:                             ;   in Loop: Header=BB352_13 Depth=1
	s_or_b64 exec, exec, s[34:35]
.LBB352_22:                             ;   in Loop: Header=BB352_13 Depth=1
	s_or_b64 exec, exec, s[30:31]
	v_mul_f32_e32 v0, v10, v0
	v_and_b32_e32 v1, 0x7f800000, v0
	v_cmp_ne_u32_e64 s[8:9], s41, v1
                                        ; implicit-def: $vgpr23
	s_and_saveexec_b64 s[30:31], s[8:9]
	s_xor_b64 s[8:9], exec, s[30:31]
; %bb.23:                               ;   in Loop: Header=BB352_13 Depth=1
	v_bfe_u32 v1, v0, 16, 1
	v_add3_u32 v23, v0, v1, s42
                                        ; implicit-def: $vgpr0
; %bb.24:                               ;   in Loop: Header=BB352_13 Depth=1
	s_andn2_saveexec_b64 s[30:31], s[8:9]
; %bb.25:                               ;   in Loop: Header=BB352_13 Depth=1
	v_mov_b32_e32 v2, 0
	v_or_b32_e32 v1, 0x10000, v0
	v_cmp_eq_u32_sdwa s[8:9], v0, v2 src0_sel:WORD_0 src1_sel:DWORD
	v_cndmask_b32_e64 v23, v1, v0, s[8:9]
; %bb.26:                               ;   in Loop: Header=BB352_13 Depth=1
	s_or_b64 exec, exec, s[30:31]
	v_lshrrev_b16_e32 v42, 8, v40
	v_cmp_ne_u16_e64 s[8:9], 0, v42
	v_mov_b32_e32 v0, 0
	s_and_saveexec_b64 s[30:31], s[8:9]
	s_cbranch_execz .LBB352_32
; %bb.27:                               ;   in Loop: Header=BB352_13 Depth=1
	v_cmp_ne_u16_e64 s[8:9], s39, v42
	v_bfrev_b32_e32 v0, 1
	s_and_saveexec_b64 s[34:35], s[8:9]
	s_cbranch_execz .LBB352_31
; %bb.28:                               ;   in Loop: Header=BB352_13 Depth=1
	v_and_b32_e32 v2, 0x7f, v42
	v_cmp_ne_u32_e64 s[8:9], s40, v2
	v_mov_b32_e32 v0, 0x7f800001
	s_and_saveexec_b64 s[36:37], s[8:9]
	s_cbranch_execz .LBB352_30
; %bb.29:                               ;   in Loop: Header=BB352_13 Depth=1
	v_and_b32_e32 v0, 7, v42
	v_ffbh_u32_e32 v3, v0
	v_min_u32_e32 v3, 32, v3
	v_subrev_u32_e32 v6, 28, v3
	v_lshlrev_b64 v[6:7], v6, v[42:43]
	v_lshrrev_b32_e32 v1, 3, v2
	v_sub_u32_e32 v3, 29, v3
	v_and_b32_e32 v6, 7, v6
	v_cmp_gt_u32_e64 s[8:9], 8, v2
	v_cndmask_b32_e64 v1, v1, v3, s[8:9]
	v_cndmask_b32_e64 v0, v0, v6, s[8:9]
	v_lshlrev_b32_e32 v2, 16, v40
	v_bfrev_b32_e32 v3, 60
	v_lshlrev_b32_e32 v0, 20, v0
	v_and_b32_e32 v2, 0x80000000, v2
	v_lshl_add_u32 v1, v1, 23, v3
	v_or3_b32 v0, v2, v1, v0
.LBB352_30:                             ;   in Loop: Header=BB352_13 Depth=1
	s_or_b64 exec, exec, s[36:37]
.LBB352_31:                             ;   in Loop: Header=BB352_13 Depth=1
	s_or_b64 exec, exec, s[34:35]
.LBB352_32:                             ;   in Loop: Header=BB352_13 Depth=1
	s_or_b64 exec, exec, s[30:31]
	v_mul_f32_e32 v2, v10, v0
	v_and_b32_e32 v0, 0x7f800000, v2
	v_cmp_ne_u32_e64 s[8:9], s41, v0
                                        ; implicit-def: $vgpr28
	s_and_saveexec_b64 s[30:31], s[8:9]
	s_xor_b64 s[8:9], exec, s[30:31]
; %bb.33:                               ;   in Loop: Header=BB352_13 Depth=1
	v_bfe_u32 v0, v2, 16, 1
	v_add3_u32 v28, v2, v0, s42
                                        ; implicit-def: $vgpr2
; %bb.34:                               ;   in Loop: Header=BB352_13 Depth=1
	s_andn2_saveexec_b64 s[30:31], s[8:9]
; %bb.35:                               ;   in Loop: Header=BB352_13 Depth=1
	v_mov_b32_e32 v1, 0
	v_or_b32_e32 v0, 0x10000, v2
	v_cmp_eq_u32_sdwa s[8:9], v2, v1 src0_sel:WORD_0 src1_sel:DWORD
	v_cndmask_b32_e64 v28, v0, v2, s[8:9]
; %bb.36:                               ;   in Loop: Header=BB352_13 Depth=1
	s_or_b64 exec, exec, s[30:31]
	flat_load_ushort v0, v[54:55] offset:8
	v_mov_b32_e32 v1, 0
	v_mov_b32_e32 v2, 0
	s_waitcnt vmcnt(0) lgkmcnt(0)
	v_and_b32_e32 v40, 0xffff, v0
	v_cmp_ne_u16_sdwa s[8:9], v0, v1 src0_sel:BYTE_0 src1_sel:DWORD
	s_and_saveexec_b64 s[30:31], s[8:9]
	s_cbranch_execz .LBB352_42
; %bb.37:                               ;   in Loop: Header=BB352_13 Depth=1
	v_cmp_ne_u16_sdwa s[8:9], v40, s39 src0_sel:BYTE_0 src1_sel:DWORD
	v_bfrev_b32_e32 v2, 1
	s_and_saveexec_b64 s[34:35], s[8:9]
	s_cbranch_execz .LBB352_41
; %bb.38:                               ;   in Loop: Header=BB352_13 Depth=1
	v_and_b32_e32 v3, 0x7f, v40
	v_cmp_ne_u32_e64 s[8:9], s40, v3
	v_mov_b32_e32 v2, 0x7f800001
	s_and_saveexec_b64 s[36:37], s[8:9]
	s_cbranch_execz .LBB352_40
; %bb.39:                               ;   in Loop: Header=BB352_13 Depth=1
	v_and_b32_e32 v0, 7, v40
	v_ffbh_u32_e32 v2, v0
	v_min_u32_e32 v2, 32, v2
	v_subrev_u32_e32 v6, 28, v2
	v_lshlrev_b64 v[6:7], v6, v[40:41]
	v_lshrrev_b32_e32 v1, 3, v3
	v_sub_u32_e32 v2, 29, v2
	v_and_b32_e32 v6, 7, v6
	v_cmp_gt_u32_e64 s[8:9], 8, v3
	v_cndmask_b32_e64 v1, v1, v2, s[8:9]
	v_cndmask_b32_e64 v0, v0, v6, s[8:9]
	v_lshlrev_b32_e32 v2, 24, v40
	v_bfrev_b32_e32 v3, 60
	v_lshlrev_b32_e32 v0, 20, v0
	v_and_b32_e32 v2, 0x80000000, v2
	v_lshl_add_u32 v1, v1, 23, v3
	v_or3_b32 v2, v2, v1, v0
.LBB352_40:                             ;   in Loop: Header=BB352_13 Depth=1
	s_or_b64 exec, exec, s[36:37]
.LBB352_41:                             ;   in Loop: Header=BB352_13 Depth=1
	s_or_b64 exec, exec, s[34:35]
.LBB352_42:                             ;   in Loop: Header=BB352_13 Depth=1
	s_or_b64 exec, exec, s[30:31]
	v_mul_f32_e32 v2, v10, v2
	v_and_b32_e32 v0, 0x7f800000, v2
	v_cmp_ne_u32_e64 s[8:9], s41, v0
                                        ; implicit-def: $vgpr36
	s_and_saveexec_b64 s[30:31], s[8:9]
	s_xor_b64 s[8:9], exec, s[30:31]
; %bb.43:                               ;   in Loop: Header=BB352_13 Depth=1
	v_bfe_u32 v0, v2, 16, 1
	v_add3_u32 v36, v2, v0, s42
                                        ; implicit-def: $vgpr2
; %bb.44:                               ;   in Loop: Header=BB352_13 Depth=1
	s_andn2_saveexec_b64 s[30:31], s[8:9]
; %bb.45:                               ;   in Loop: Header=BB352_13 Depth=1
	v_mov_b32_e32 v1, 0
	v_or_b32_e32 v0, 0x10000, v2
	v_cmp_eq_u32_sdwa s[8:9], v2, v1 src0_sel:WORD_0 src1_sel:DWORD
	v_cndmask_b32_e64 v36, v0, v2, s[8:9]
; %bb.46:                               ;   in Loop: Header=BB352_13 Depth=1
	s_or_b64 exec, exec, s[30:31]
	v_lshrrev_b16_e32 v42, 8, v40
	v_cmp_ne_u16_e64 s[8:9], 0, v42
	v_mov_b32_e32 v2, 0
	s_and_saveexec_b64 s[30:31], s[8:9]
	s_cbranch_execz .LBB352_52
; %bb.47:                               ;   in Loop: Header=BB352_13 Depth=1
	v_cmp_ne_u16_e64 s[8:9], s39, v42
	v_bfrev_b32_e32 v2, 1
	s_and_saveexec_b64 s[34:35], s[8:9]
	s_cbranch_execz .LBB352_51
; %bb.48:                               ;   in Loop: Header=BB352_13 Depth=1
	v_and_b32_e32 v6, 0x7f, v42
	v_cmp_ne_u32_e64 s[8:9], s40, v6
	v_mov_b32_e32 v2, 0x7f800001
	s_and_saveexec_b64 s[36:37], s[8:9]
	s_cbranch_execz .LBB352_50
; %bb.49:                               ;   in Loop: Header=BB352_13 Depth=1
	v_and_b32_e32 v0, 7, v42
	v_ffbh_u32_e32 v2, v0
	v_min_u32_e32 v2, 32, v2
	v_subrev_u32_e32 v7, 28, v2
	v_lshlrev_b64 v[8:9], v7, v[42:43]
	v_lshrrev_b32_e32 v1, 3, v6
	v_sub_u32_e32 v2, 29, v2
	v_and_b32_e32 v7, 7, v8
	v_cmp_gt_u32_e64 s[8:9], 8, v6
	v_cndmask_b32_e64 v1, v1, v2, s[8:9]
	v_cndmask_b32_e64 v0, v0, v7, s[8:9]
	v_lshlrev_b32_e32 v2, 16, v40
	v_bfrev_b32_e32 v3, 60
	v_lshlrev_b32_e32 v0, 20, v0
	v_and_b32_e32 v2, 0x80000000, v2
	v_lshl_add_u32 v1, v1, 23, v3
	v_or3_b32 v2, v2, v1, v0
.LBB352_50:                             ;   in Loop: Header=BB352_13 Depth=1
	s_or_b64 exec, exec, s[36:37]
.LBB352_51:                             ;   in Loop: Header=BB352_13 Depth=1
	s_or_b64 exec, exec, s[34:35]
.LBB352_52:                             ;   in Loop: Header=BB352_13 Depth=1
	s_or_b64 exec, exec, s[30:31]
	v_mul_f32_e32 v6, v10, v2
	v_and_b32_e32 v0, 0x7f800000, v6
	v_cmp_ne_u32_e64 s[8:9], s41, v0
                                        ; implicit-def: $vgpr37
	s_and_saveexec_b64 s[30:31], s[8:9]
	s_xor_b64 s[8:9], exec, s[30:31]
; %bb.53:                               ;   in Loop: Header=BB352_13 Depth=1
	v_bfe_u32 v0, v6, 16, 1
	v_add3_u32 v37, v6, v0, s42
                                        ; implicit-def: $vgpr6
; %bb.54:                               ;   in Loop: Header=BB352_13 Depth=1
	s_andn2_saveexec_b64 s[30:31], s[8:9]
; %bb.55:                               ;   in Loop: Header=BB352_13 Depth=1
	v_mov_b32_e32 v1, 0
	v_or_b32_e32 v0, 0x10000, v6
	v_cmp_eq_u32_sdwa s[8:9], v6, v1 src0_sel:WORD_0 src1_sel:DWORD
	v_cndmask_b32_e64 v37, v0, v6, s[8:9]
; %bb.56:                               ;   in Loop: Header=BB352_13 Depth=1
	s_or_b64 exec, exec, s[30:31]
	flat_load_ushort v0, v[54:55] offset:256
	v_mov_b32_e32 v1, 0
	v_mov_b32_e32 v6, 0
	s_waitcnt vmcnt(0) lgkmcnt(0)
	v_and_b32_e32 v40, 0xffff, v0
	v_cmp_ne_u16_sdwa s[8:9], v0, v1 src0_sel:BYTE_0 src1_sel:DWORD
	s_and_saveexec_b64 s[30:31], s[8:9]
	s_cbranch_execz .LBB352_62
; %bb.57:                               ;   in Loop: Header=BB352_13 Depth=1
	v_cmp_ne_u16_sdwa s[8:9], v40, s39 src0_sel:BYTE_0 src1_sel:DWORD
	v_bfrev_b32_e32 v6, 1
	s_and_saveexec_b64 s[34:35], s[8:9]
	s_cbranch_execz .LBB352_61
; %bb.58:                               ;   in Loop: Header=BB352_13 Depth=1
	v_and_b32_e32 v7, 0x7f, v40
	v_cmp_ne_u32_e64 s[8:9], s40, v7
	v_mov_b32_e32 v6, 0x7f800001
	s_and_saveexec_b64 s[36:37], s[8:9]
	s_cbranch_execz .LBB352_60
; %bb.59:                               ;   in Loop: Header=BB352_13 Depth=1
	v_and_b32_e32 v0, 7, v40
	v_ffbh_u32_e32 v6, v0
	v_min_u32_e32 v6, 32, v6
	v_subrev_u32_e32 v8, 28, v6
	v_lshlrev_b64 v[8:9], v8, v[40:41]
	v_lshrrev_b32_e32 v1, 3, v7
	v_sub_u32_e32 v6, 29, v6
	v_and_b32_e32 v8, 7, v8
	v_cmp_gt_u32_e64 s[8:9], 8, v7
	v_cndmask_b32_e64 v1, v1, v6, s[8:9]
	v_cndmask_b32_e64 v0, v0, v8, s[8:9]
	v_lshlrev_b32_e32 v6, 24, v40
	v_bfrev_b32_e32 v2, 60
	v_lshlrev_b32_e32 v0, 20, v0
	v_and_b32_e32 v6, 0x80000000, v6
	v_lshl_add_u32 v1, v1, 23, v2
	v_or3_b32 v6, v6, v1, v0
.LBB352_60:                             ;   in Loop: Header=BB352_13 Depth=1
	s_or_b64 exec, exec, s[36:37]
.LBB352_61:                             ;   in Loop: Header=BB352_13 Depth=1
	s_or_b64 exec, exec, s[34:35]
.LBB352_62:                             ;   in Loop: Header=BB352_13 Depth=1
	s_or_b64 exec, exec, s[30:31]
	v_mul_f32_e32 v6, v10, v6
	v_and_b32_e32 v0, 0x7f800000, v6
	v_cmp_ne_u32_e64 s[8:9], s41, v0
                                        ; implicit-def: $vgpr46
	s_and_saveexec_b64 s[30:31], s[8:9]
	s_xor_b64 s[8:9], exec, s[30:31]
; %bb.63:                               ;   in Loop: Header=BB352_13 Depth=1
	v_bfe_u32 v0, v6, 16, 1
	v_add3_u32 v46, v6, v0, s42
                                        ; implicit-def: $vgpr6
; %bb.64:                               ;   in Loop: Header=BB352_13 Depth=1
	s_andn2_saveexec_b64 s[30:31], s[8:9]
; %bb.65:                               ;   in Loop: Header=BB352_13 Depth=1
	v_mov_b32_e32 v1, 0
	v_or_b32_e32 v0, 0x10000, v6
	v_cmp_eq_u32_sdwa s[8:9], v6, v1 src0_sel:WORD_0 src1_sel:DWORD
	v_cndmask_b32_e64 v46, v0, v6, s[8:9]
; %bb.66:                               ;   in Loop: Header=BB352_13 Depth=1
	s_or_b64 exec, exec, s[30:31]
	v_lshrrev_b16_e32 v42, 8, v40
	v_cmp_ne_u16_e64 s[8:9], 0, v42
	v_mov_b32_e32 v6, 0
	s_and_saveexec_b64 s[30:31], s[8:9]
	s_cbranch_execz .LBB352_72
; %bb.67:                               ;   in Loop: Header=BB352_13 Depth=1
	v_cmp_ne_u16_e64 s[8:9], s39, v42
	v_bfrev_b32_e32 v6, 1
	s_and_saveexec_b64 s[34:35], s[8:9]
	s_cbranch_execz .LBB352_71
; %bb.68:                               ;   in Loop: Header=BB352_13 Depth=1
	v_and_b32_e32 v7, 0x7f, v42
	v_cmp_ne_u32_e64 s[8:9], s40, v7
	v_mov_b32_e32 v6, 0x7f800001
	s_and_saveexec_b64 s[36:37], s[8:9]
	s_cbranch_execz .LBB352_70
; %bb.69:                               ;   in Loop: Header=BB352_13 Depth=1
	v_and_b32_e32 v0, 7, v42
	v_ffbh_u32_e32 v6, v0
	v_min_u32_e32 v6, 32, v6
	v_subrev_u32_e32 v8, 28, v6
	v_lshlrev_b64 v[8:9], v8, v[42:43]
	v_lshrrev_b32_e32 v1, 3, v7
	v_sub_u32_e32 v6, 29, v6
	v_and_b32_e32 v8, 7, v8
	v_cmp_gt_u32_e64 s[8:9], 8, v7
	v_cndmask_b32_e64 v1, v1, v6, s[8:9]
	v_cndmask_b32_e64 v0, v0, v8, s[8:9]
	v_lshlrev_b32_e32 v6, 16, v40
	v_bfrev_b32_e32 v2, 60
	v_lshlrev_b32_e32 v0, 20, v0
	v_and_b32_e32 v6, 0x80000000, v6
	v_lshl_add_u32 v1, v1, 23, v2
	v_or3_b32 v6, v6, v1, v0
.LBB352_70:                             ;   in Loop: Header=BB352_13 Depth=1
	s_or_b64 exec, exec, s[36:37]
.LBB352_71:                             ;   in Loop: Header=BB352_13 Depth=1
	s_or_b64 exec, exec, s[34:35]
.LBB352_72:                             ;   in Loop: Header=BB352_13 Depth=1
	s_or_b64 exec, exec, s[30:31]
	v_mul_f32_e32 v6, v10, v6
	v_and_b32_e32 v0, 0x7f800000, v6
	v_cmp_ne_u32_e64 s[8:9], s41, v0
                                        ; implicit-def: $vgpr31
	s_and_saveexec_b64 s[30:31], s[8:9]
	s_xor_b64 s[8:9], exec, s[30:31]
; %bb.73:                               ;   in Loop: Header=BB352_13 Depth=1
	v_bfe_u32 v0, v6, 16, 1
	v_add3_u32 v31, v6, v0, s42
                                        ; implicit-def: $vgpr6
; %bb.74:                               ;   in Loop: Header=BB352_13 Depth=1
	s_andn2_saveexec_b64 s[30:31], s[8:9]
; %bb.75:                               ;   in Loop: Header=BB352_13 Depth=1
	v_mov_b32_e32 v1, 0
	v_or_b32_e32 v0, 0x10000, v6
	v_cmp_eq_u32_sdwa s[8:9], v6, v1 src0_sel:WORD_0 src1_sel:DWORD
	v_cndmask_b32_e64 v31, v0, v6, s[8:9]
; %bb.76:                               ;   in Loop: Header=BB352_13 Depth=1
	s_or_b64 exec, exec, s[30:31]
	flat_load_ushort v0, v[54:55] offset:264
	v_mov_b32_e32 v1, 0
	v_mov_b32_e32 v6, 0
	s_waitcnt vmcnt(0) lgkmcnt(0)
	v_and_b32_e32 v40, 0xffff, v0
	v_cmp_ne_u16_sdwa s[8:9], v0, v1 src0_sel:BYTE_0 src1_sel:DWORD
	s_and_saveexec_b64 s[30:31], s[8:9]
	s_cbranch_execz .LBB352_82
; %bb.77:                               ;   in Loop: Header=BB352_13 Depth=1
	v_cmp_ne_u16_sdwa s[8:9], v40, s39 src0_sel:BYTE_0 src1_sel:DWORD
	v_bfrev_b32_e32 v6, 1
	s_and_saveexec_b64 s[34:35], s[8:9]
	s_cbranch_execz .LBB352_81
; %bb.78:                               ;   in Loop: Header=BB352_13 Depth=1
	v_and_b32_e32 v7, 0x7f, v40
	v_cmp_ne_u32_e64 s[8:9], s40, v7
	v_mov_b32_e32 v6, 0x7f800001
	s_and_saveexec_b64 s[36:37], s[8:9]
	s_cbranch_execz .LBB352_80
; %bb.79:                               ;   in Loop: Header=BB352_13 Depth=1
	v_and_b32_e32 v0, 7, v40
	v_ffbh_u32_e32 v6, v0
	v_min_u32_e32 v6, 32, v6
	v_subrev_u32_e32 v8, 28, v6
	v_lshlrev_b64 v[8:9], v8, v[40:41]
	v_lshrrev_b32_e32 v1, 3, v7
	v_sub_u32_e32 v6, 29, v6
	v_and_b32_e32 v8, 7, v8
	v_cmp_gt_u32_e64 s[8:9], 8, v7
	v_cndmask_b32_e64 v1, v1, v6, s[8:9]
	v_cndmask_b32_e64 v0, v0, v8, s[8:9]
	v_lshlrev_b32_e32 v6, 24, v40
	v_bfrev_b32_e32 v2, 60
	v_lshlrev_b32_e32 v0, 20, v0
	v_and_b32_e32 v6, 0x80000000, v6
	v_lshl_add_u32 v1, v1, 23, v2
	v_or3_b32 v6, v6, v1, v0
.LBB352_80:                             ;   in Loop: Header=BB352_13 Depth=1
	s_or_b64 exec, exec, s[36:37]
.LBB352_81:                             ;   in Loop: Header=BB352_13 Depth=1
	s_or_b64 exec, exec, s[34:35]
.LBB352_82:                             ;   in Loop: Header=BB352_13 Depth=1
	s_or_b64 exec, exec, s[30:31]
	v_mul_f32_e32 v6, v10, v6
	v_and_b32_e32 v0, 0x7f800000, v6
	v_cmp_ne_u32_e64 s[8:9], s41, v0
                                        ; implicit-def: $vgpr61
	s_and_saveexec_b64 s[30:31], s[8:9]
	s_xor_b64 s[8:9], exec, s[30:31]
; %bb.83:                               ;   in Loop: Header=BB352_13 Depth=1
	v_bfe_u32 v0, v6, 16, 1
	v_add3_u32 v61, v6, v0, s42
                                        ; implicit-def: $vgpr6
; %bb.84:                               ;   in Loop: Header=BB352_13 Depth=1
	s_andn2_saveexec_b64 s[30:31], s[8:9]
; %bb.85:                               ;   in Loop: Header=BB352_13 Depth=1
	v_mov_b32_e32 v1, 0
	v_or_b32_e32 v0, 0x10000, v6
	v_cmp_eq_u32_sdwa s[8:9], v6, v1 src0_sel:WORD_0 src1_sel:DWORD
	v_cndmask_b32_e64 v61, v0, v6, s[8:9]
; %bb.86:                               ;   in Loop: Header=BB352_13 Depth=1
	s_or_b64 exec, exec, s[30:31]
	v_lshrrev_b16_e32 v42, 8, v40
	v_cmp_ne_u16_e64 s[8:9], 0, v42
	v_mov_b32_e32 v6, 0
	s_and_saveexec_b64 s[30:31], s[8:9]
	s_cbranch_execz .LBB352_92
; %bb.87:                               ;   in Loop: Header=BB352_13 Depth=1
	v_cmp_ne_u16_e64 s[8:9], s39, v42
	v_bfrev_b32_e32 v6, 1
	s_and_saveexec_b64 s[34:35], s[8:9]
	s_cbranch_execz .LBB352_91
; %bb.88:                               ;   in Loop: Header=BB352_13 Depth=1
	v_and_b32_e32 v7, 0x7f, v42
	v_cmp_ne_u32_e64 s[8:9], s40, v7
	v_mov_b32_e32 v6, 0x7f800001
	s_and_saveexec_b64 s[36:37], s[8:9]
	s_cbranch_execz .LBB352_90
; %bb.89:                               ;   in Loop: Header=BB352_13 Depth=1
	v_and_b32_e32 v0, 7, v42
	v_ffbh_u32_e32 v6, v0
	v_min_u32_e32 v6, 32, v6
	v_subrev_u32_e32 v8, 28, v6
	v_lshlrev_b64 v[8:9], v8, v[42:43]
	v_lshrrev_b32_e32 v1, 3, v7
	v_sub_u32_e32 v6, 29, v6
	v_and_b32_e32 v8, 7, v8
	v_cmp_gt_u32_e64 s[8:9], 8, v7
	v_cndmask_b32_e64 v1, v1, v6, s[8:9]
	v_cndmask_b32_e64 v0, v0, v8, s[8:9]
	v_lshlrev_b32_e32 v6, 16, v40
	v_bfrev_b32_e32 v2, 60
	v_lshlrev_b32_e32 v0, 20, v0
	v_and_b32_e32 v6, 0x80000000, v6
	v_lshl_add_u32 v1, v1, 23, v2
	v_or3_b32 v6, v6, v1, v0
.LBB352_90:                             ;   in Loop: Header=BB352_13 Depth=1
	s_or_b64 exec, exec, s[36:37]
.LBB352_91:                             ;   in Loop: Header=BB352_13 Depth=1
	s_or_b64 exec, exec, s[34:35]
.LBB352_92:                             ;   in Loop: Header=BB352_13 Depth=1
	s_or_b64 exec, exec, s[30:31]
	v_mul_f32_e32 v6, v10, v6
	v_and_b32_e32 v0, 0x7f800000, v6
	v_cmp_ne_u32_e64 s[8:9], s41, v0
                                        ; implicit-def: $vgpr15
	s_and_saveexec_b64 s[30:31], s[8:9]
	s_xor_b64 s[8:9], exec, s[30:31]
; %bb.93:                               ;   in Loop: Header=BB352_13 Depth=1
	v_bfe_u32 v0, v6, 16, 1
	v_add3_u32 v15, v6, v0, s42
                                        ; implicit-def: $vgpr6
; %bb.94:                               ;   in Loop: Header=BB352_13 Depth=1
	s_andn2_saveexec_b64 s[30:31], s[8:9]
; %bb.95:                               ;   in Loop: Header=BB352_13 Depth=1
	v_mov_b32_e32 v1, 0
	v_or_b32_e32 v0, 0x10000, v6
	v_cmp_eq_u32_sdwa s[8:9], v6, v1 src0_sel:WORD_0 src1_sel:DWORD
	v_cndmask_b32_e64 v15, v0, v6, s[8:9]
; %bb.96:                               ;   in Loop: Header=BB352_13 Depth=1
	s_or_b64 exec, exec, s[30:31]
	flat_load_ushort v0, v[54:55] offset:512
	v_mov_b32_e32 v1, 0
	v_mov_b32_e32 v6, 0
	s_waitcnt vmcnt(0) lgkmcnt(0)
	v_and_b32_e32 v40, 0xffff, v0
	v_cmp_ne_u16_sdwa s[8:9], v0, v1 src0_sel:BYTE_0 src1_sel:DWORD
	s_and_saveexec_b64 s[30:31], s[8:9]
	s_cbranch_execz .LBB352_102
; %bb.97:                               ;   in Loop: Header=BB352_13 Depth=1
	v_cmp_ne_u16_sdwa s[8:9], v40, s39 src0_sel:BYTE_0 src1_sel:DWORD
	v_bfrev_b32_e32 v6, 1
	s_and_saveexec_b64 s[34:35], s[8:9]
	s_cbranch_execz .LBB352_101
; %bb.98:                               ;   in Loop: Header=BB352_13 Depth=1
	v_and_b32_e32 v7, 0x7f, v40
	v_cmp_ne_u32_e64 s[8:9], s40, v7
	v_mov_b32_e32 v6, 0x7f800001
	s_and_saveexec_b64 s[36:37], s[8:9]
	s_cbranch_execz .LBB352_100
; %bb.99:                               ;   in Loop: Header=BB352_13 Depth=1
	v_and_b32_e32 v0, 7, v40
	v_ffbh_u32_e32 v6, v0
	v_min_u32_e32 v6, 32, v6
	v_subrev_u32_e32 v8, 28, v6
	v_lshlrev_b64 v[8:9], v8, v[40:41]
	v_lshrrev_b32_e32 v1, 3, v7
	v_sub_u32_e32 v6, 29, v6
	v_and_b32_e32 v8, 7, v8
	v_cmp_gt_u32_e64 s[8:9], 8, v7
	v_cndmask_b32_e64 v1, v1, v6, s[8:9]
	v_cndmask_b32_e64 v0, v0, v8, s[8:9]
	v_lshlrev_b32_e32 v6, 24, v40
	v_bfrev_b32_e32 v2, 60
	v_lshlrev_b32_e32 v0, 20, v0
	v_and_b32_e32 v6, 0x80000000, v6
	v_lshl_add_u32 v1, v1, 23, v2
	v_or3_b32 v6, v6, v1, v0
.LBB352_100:                            ;   in Loop: Header=BB352_13 Depth=1
	s_or_b64 exec, exec, s[36:37]
.LBB352_101:                            ;   in Loop: Header=BB352_13 Depth=1
	s_or_b64 exec, exec, s[34:35]
.LBB352_102:                            ;   in Loop: Header=BB352_13 Depth=1
	s_or_b64 exec, exec, s[30:31]
	v_mul_f32_e32 v6, v10, v6
	v_and_b32_e32 v0, 0x7f800000, v6
	v_cmp_ne_u32_e64 s[8:9], s41, v0
                                        ; implicit-def: $vgpr14
	s_and_saveexec_b64 s[30:31], s[8:9]
	s_xor_b64 s[8:9], exec, s[30:31]
; %bb.103:                              ;   in Loop: Header=BB352_13 Depth=1
	v_bfe_u32 v0, v6, 16, 1
	v_add3_u32 v14, v6, v0, s42
                                        ; implicit-def: $vgpr6
; %bb.104:                              ;   in Loop: Header=BB352_13 Depth=1
	s_andn2_saveexec_b64 s[30:31], s[8:9]
; %bb.105:                              ;   in Loop: Header=BB352_13 Depth=1
	v_mov_b32_e32 v1, 0
	v_or_b32_e32 v0, 0x10000, v6
	v_cmp_eq_u32_sdwa s[8:9], v6, v1 src0_sel:WORD_0 src1_sel:DWORD
	v_cndmask_b32_e64 v14, v0, v6, s[8:9]
; %bb.106:                              ;   in Loop: Header=BB352_13 Depth=1
	s_or_b64 exec, exec, s[30:31]
	v_lshrrev_b16_e32 v42, 8, v40
	v_cmp_ne_u16_e64 s[8:9], 0, v42
	v_mov_b32_e32 v6, 0
	s_and_saveexec_b64 s[30:31], s[8:9]
	s_cbranch_execz .LBB352_112
; %bb.107:                              ;   in Loop: Header=BB352_13 Depth=1
	v_cmp_ne_u16_e64 s[8:9], s39, v42
	v_bfrev_b32_e32 v6, 1
	s_and_saveexec_b64 s[34:35], s[8:9]
	s_cbranch_execz .LBB352_111
; %bb.108:                              ;   in Loop: Header=BB352_13 Depth=1
	v_and_b32_e32 v7, 0x7f, v42
	v_cmp_ne_u32_e64 s[8:9], s40, v7
	v_mov_b32_e32 v6, 0x7f800001
	s_and_saveexec_b64 s[36:37], s[8:9]
	s_cbranch_execz .LBB352_110
; %bb.109:                              ;   in Loop: Header=BB352_13 Depth=1
	v_and_b32_e32 v0, 7, v42
	v_ffbh_u32_e32 v6, v0
	v_min_u32_e32 v6, 32, v6
	v_subrev_u32_e32 v8, 28, v6
	v_lshlrev_b64 v[8:9], v8, v[42:43]
	v_lshrrev_b32_e32 v1, 3, v7
	v_sub_u32_e32 v6, 29, v6
	v_and_b32_e32 v8, 7, v8
	v_cmp_gt_u32_e64 s[8:9], 8, v7
	v_cndmask_b32_e64 v1, v1, v6, s[8:9]
	v_cndmask_b32_e64 v0, v0, v8, s[8:9]
	v_lshlrev_b32_e32 v6, 16, v40
	v_bfrev_b32_e32 v2, 60
	v_lshlrev_b32_e32 v0, 20, v0
	v_and_b32_e32 v6, 0x80000000, v6
	v_lshl_add_u32 v1, v1, 23, v2
	v_or3_b32 v6, v6, v1, v0
.LBB352_110:                            ;   in Loop: Header=BB352_13 Depth=1
	s_or_b64 exec, exec, s[36:37]
.LBB352_111:                            ;   in Loop: Header=BB352_13 Depth=1
	s_or_b64 exec, exec, s[34:35]
.LBB352_112:                            ;   in Loop: Header=BB352_13 Depth=1
	s_or_b64 exec, exec, s[30:31]
	v_mul_f32_e32 v6, v10, v6
	v_and_b32_e32 v0, 0x7f800000, v6
	v_cmp_ne_u32_e64 s[8:9], s41, v0
                                        ; implicit-def: $vgpr12
	s_and_saveexec_b64 s[30:31], s[8:9]
	s_xor_b64 s[8:9], exec, s[30:31]
; %bb.113:                              ;   in Loop: Header=BB352_13 Depth=1
	v_bfe_u32 v0, v6, 16, 1
	v_add3_u32 v12, v6, v0, s42
                                        ; implicit-def: $vgpr6
; %bb.114:                              ;   in Loop: Header=BB352_13 Depth=1
	s_andn2_saveexec_b64 s[30:31], s[8:9]
; %bb.115:                              ;   in Loop: Header=BB352_13 Depth=1
	v_mov_b32_e32 v1, 0
	v_or_b32_e32 v0, 0x10000, v6
	v_cmp_eq_u32_sdwa s[8:9], v6, v1 src0_sel:WORD_0 src1_sel:DWORD
	v_cndmask_b32_e64 v12, v0, v6, s[8:9]
; %bb.116:                              ;   in Loop: Header=BB352_13 Depth=1
	s_or_b64 exec, exec, s[30:31]
	flat_load_ushort v0, v[54:55] offset:520
	v_mov_b32_e32 v1, 0
	v_mov_b32_e32 v6, 0
	s_waitcnt vmcnt(0) lgkmcnt(0)
	v_and_b32_e32 v40, 0xffff, v0
	v_cmp_ne_u16_sdwa s[8:9], v0, v1 src0_sel:BYTE_0 src1_sel:DWORD
	s_and_saveexec_b64 s[30:31], s[8:9]
	s_cbranch_execz .LBB352_122
; %bb.117:                              ;   in Loop: Header=BB352_13 Depth=1
	v_cmp_ne_u16_sdwa s[8:9], v40, s39 src0_sel:BYTE_0 src1_sel:DWORD
	v_bfrev_b32_e32 v6, 1
	s_and_saveexec_b64 s[34:35], s[8:9]
	s_cbranch_execz .LBB352_121
; %bb.118:                              ;   in Loop: Header=BB352_13 Depth=1
	v_and_b32_e32 v7, 0x7f, v40
	v_cmp_ne_u32_e64 s[8:9], s40, v7
	v_mov_b32_e32 v6, 0x7f800001
	s_and_saveexec_b64 s[36:37], s[8:9]
	s_cbranch_execz .LBB352_120
; %bb.119:                              ;   in Loop: Header=BB352_13 Depth=1
	v_and_b32_e32 v0, 7, v40
	v_ffbh_u32_e32 v6, v0
	v_min_u32_e32 v6, 32, v6
	v_subrev_u32_e32 v8, 28, v6
	v_lshlrev_b64 v[8:9], v8, v[40:41]
	v_lshrrev_b32_e32 v1, 3, v7
	v_sub_u32_e32 v6, 29, v6
	v_and_b32_e32 v8, 7, v8
	v_cmp_gt_u32_e64 s[8:9], 8, v7
	v_cndmask_b32_e64 v1, v1, v6, s[8:9]
	v_cndmask_b32_e64 v0, v0, v8, s[8:9]
	v_lshlrev_b32_e32 v6, 24, v40
	v_bfrev_b32_e32 v2, 60
	v_lshlrev_b32_e32 v0, 20, v0
	v_and_b32_e32 v6, 0x80000000, v6
	v_lshl_add_u32 v1, v1, 23, v2
	v_or3_b32 v6, v6, v1, v0
.LBB352_120:                            ;   in Loop: Header=BB352_13 Depth=1
	s_or_b64 exec, exec, s[36:37]
.LBB352_121:                            ;   in Loop: Header=BB352_13 Depth=1
	s_or_b64 exec, exec, s[34:35]
.LBB352_122:                            ;   in Loop: Header=BB352_13 Depth=1
	s_or_b64 exec, exec, s[30:31]
	v_mul_f32_e32 v7, v10, v6
	v_and_b32_e32 v0, 0x7f800000, v7
	v_cmp_ne_u32_e64 s[8:9], s41, v0
                                        ; implicit-def: $vgpr6
	s_and_saveexec_b64 s[30:31], s[8:9]
	s_xor_b64 s[8:9], exec, s[30:31]
; %bb.123:                              ;   in Loop: Header=BB352_13 Depth=1
	v_bfe_u32 v0, v7, 16, 1
	v_add3_u32 v6, v7, v0, s42
                                        ; implicit-def: $vgpr7
; %bb.124:                              ;   in Loop: Header=BB352_13 Depth=1
	s_andn2_saveexec_b64 s[30:31], s[8:9]
; %bb.125:                              ;   in Loop: Header=BB352_13 Depth=1
	v_mov_b32_e32 v1, 0
	v_or_b32_e32 v0, 0x10000, v7
	v_cmp_eq_u32_sdwa s[8:9], v7, v1 src0_sel:WORD_0 src1_sel:DWORD
	v_cndmask_b32_e64 v6, v0, v7, s[8:9]
; %bb.126:                              ;   in Loop: Header=BB352_13 Depth=1
	s_or_b64 exec, exec, s[30:31]
	v_lshrrev_b16_e32 v42, 8, v40
	v_cmp_ne_u16_e64 s[8:9], 0, v42
	v_mov_b32_e32 v7, 0
	s_and_saveexec_b64 s[30:31], s[8:9]
	s_cbranch_execz .LBB352_132
; %bb.127:                              ;   in Loop: Header=BB352_13 Depth=1
	v_cmp_ne_u16_e64 s[8:9], s39, v42
	v_bfrev_b32_e32 v7, 1
	s_and_saveexec_b64 s[34:35], s[8:9]
	s_cbranch_execz .LBB352_131
; %bb.128:                              ;   in Loop: Header=BB352_13 Depth=1
	v_and_b32_e32 v8, 0x7f, v42
	v_cmp_ne_u32_e64 s[8:9], s40, v8
	v_mov_b32_e32 v7, 0x7f800001
	s_and_saveexec_b64 s[36:37], s[8:9]
	s_cbranch_execz .LBB352_130
; %bb.129:                              ;   in Loop: Header=BB352_13 Depth=1
	v_and_b32_e32 v0, 7, v42
	v_ffbh_u32_e32 v7, v0
	v_min_u32_e32 v7, 32, v7
	v_subrev_u32_e32 v9, 28, v7
	v_lshlrev_b64 v[16:17], v9, v[42:43]
	v_lshrrev_b32_e32 v1, 3, v8
	v_sub_u32_e32 v7, 29, v7
	v_and_b32_e32 v9, 7, v16
	v_cmp_gt_u32_e64 s[8:9], 8, v8
	v_cndmask_b32_e64 v1, v1, v7, s[8:9]
	v_cndmask_b32_e64 v0, v0, v9, s[8:9]
	v_lshlrev_b32_e32 v7, 16, v40
	v_bfrev_b32_e32 v2, 60
	v_lshlrev_b32_e32 v0, 20, v0
	v_and_b32_e32 v7, 0x80000000, v7
	v_lshl_add_u32 v1, v1, 23, v2
	v_or3_b32 v7, v7, v1, v0
.LBB352_130:                            ;   in Loop: Header=BB352_13 Depth=1
	s_or_b64 exec, exec, s[36:37]
.LBB352_131:                            ;   in Loop: Header=BB352_13 Depth=1
	s_or_b64 exec, exec, s[34:35]
.LBB352_132:                            ;   in Loop: Header=BB352_13 Depth=1
	s_or_b64 exec, exec, s[30:31]
	v_mul_f32_e32 v7, v10, v7
	v_and_b32_e32 v0, 0x7f800000, v7
	v_cmp_ne_u32_e64 s[8:9], s41, v0
                                        ; implicit-def: $vgpr30
	s_and_saveexec_b64 s[30:31], s[8:9]
	s_xor_b64 s[8:9], exec, s[30:31]
; %bb.133:                              ;   in Loop: Header=BB352_13 Depth=1
	v_bfe_u32 v0, v7, 16, 1
	v_add3_u32 v30, v7, v0, s42
                                        ; implicit-def: $vgpr7
; %bb.134:                              ;   in Loop: Header=BB352_13 Depth=1
	s_andn2_saveexec_b64 s[30:31], s[8:9]
; %bb.135:                              ;   in Loop: Header=BB352_13 Depth=1
	v_mov_b32_e32 v1, 0
	v_or_b32_e32 v0, 0x10000, v7
	v_cmp_eq_u32_sdwa s[8:9], v7, v1 src0_sel:WORD_0 src1_sel:DWORD
	v_cndmask_b32_e64 v30, v0, v7, s[8:9]
; %bb.136:                              ;   in Loop: Header=BB352_13 Depth=1
	s_or_b64 exec, exec, s[30:31]
	flat_load_ushort v0, v[54:55] offset:768
	v_mov_b32_e32 v1, 0
	v_mov_b32_e32 v7, 0
	s_waitcnt vmcnt(0) lgkmcnt(0)
	v_and_b32_e32 v40, 0xffff, v0
	v_cmp_ne_u16_sdwa s[8:9], v0, v1 src0_sel:BYTE_0 src1_sel:DWORD
	s_and_saveexec_b64 s[30:31], s[8:9]
	s_cbranch_execz .LBB352_142
; %bb.137:                              ;   in Loop: Header=BB352_13 Depth=1
	v_cmp_ne_u16_sdwa s[8:9], v40, s39 src0_sel:BYTE_0 src1_sel:DWORD
	v_bfrev_b32_e32 v7, 1
	s_and_saveexec_b64 s[34:35], s[8:9]
	s_cbranch_execz .LBB352_141
; %bb.138:                              ;   in Loop: Header=BB352_13 Depth=1
	v_and_b32_e32 v8, 0x7f, v40
	v_cmp_ne_u32_e64 s[8:9], s40, v8
	v_mov_b32_e32 v7, 0x7f800001
	s_and_saveexec_b64 s[36:37], s[8:9]
	s_cbranch_execz .LBB352_140
; %bb.139:                              ;   in Loop: Header=BB352_13 Depth=1
	v_and_b32_e32 v0, 7, v40
	v_ffbh_u32_e32 v7, v0
	v_min_u32_e32 v7, 32, v7
	v_subrev_u32_e32 v9, 28, v7
	v_lshlrev_b64 v[16:17], v9, v[40:41]
	v_lshrrev_b32_e32 v1, 3, v8
	v_sub_u32_e32 v7, 29, v7
	v_and_b32_e32 v9, 7, v16
	v_cmp_gt_u32_e64 s[8:9], 8, v8
	v_cndmask_b32_e64 v1, v1, v7, s[8:9]
	v_cndmask_b32_e64 v0, v0, v9, s[8:9]
	v_lshlrev_b32_e32 v7, 24, v40
	v_bfrev_b32_e32 v2, 60
	v_lshlrev_b32_e32 v0, 20, v0
	v_and_b32_e32 v7, 0x80000000, v7
	v_lshl_add_u32 v1, v1, 23, v2
	v_or3_b32 v7, v7, v1, v0
.LBB352_140:                            ;   in Loop: Header=BB352_13 Depth=1
	s_or_b64 exec, exec, s[36:37]
.LBB352_141:                            ;   in Loop: Header=BB352_13 Depth=1
	s_or_b64 exec, exec, s[34:35]
.LBB352_142:                            ;   in Loop: Header=BB352_13 Depth=1
	s_or_b64 exec, exec, s[30:31]
	v_mul_f32_e32 v7, v10, v7
	v_and_b32_e32 v0, 0x7f800000, v7
	v_cmp_ne_u32_e64 s[8:9], s41, v0
                                        ; implicit-def: $vgpr59
	s_and_saveexec_b64 s[30:31], s[8:9]
	s_xor_b64 s[8:9], exec, s[30:31]
; %bb.143:                              ;   in Loop: Header=BB352_13 Depth=1
	v_bfe_u32 v0, v7, 16, 1
	v_add3_u32 v59, v7, v0, s42
                                        ; implicit-def: $vgpr7
; %bb.144:                              ;   in Loop: Header=BB352_13 Depth=1
	s_andn2_saveexec_b64 s[30:31], s[8:9]
; %bb.145:                              ;   in Loop: Header=BB352_13 Depth=1
	v_mov_b32_e32 v1, 0
	v_or_b32_e32 v0, 0x10000, v7
	v_cmp_eq_u32_sdwa s[8:9], v7, v1 src0_sel:WORD_0 src1_sel:DWORD
	v_cndmask_b32_e64 v59, v0, v7, s[8:9]
; %bb.146:                              ;   in Loop: Header=BB352_13 Depth=1
	s_or_b64 exec, exec, s[30:31]
	v_lshrrev_b16_e32 v42, 8, v40
	v_cmp_ne_u16_e64 s[8:9], 0, v42
	v_mov_b32_e32 v7, 0
	s_and_saveexec_b64 s[30:31], s[8:9]
	s_cbranch_execz .LBB352_152
; %bb.147:                              ;   in Loop: Header=BB352_13 Depth=1
	v_cmp_ne_u16_e64 s[8:9], s39, v42
	v_bfrev_b32_e32 v7, 1
	s_and_saveexec_b64 s[34:35], s[8:9]
	s_cbranch_execz .LBB352_151
; %bb.148:                              ;   in Loop: Header=BB352_13 Depth=1
	v_and_b32_e32 v8, 0x7f, v42
	v_cmp_ne_u32_e64 s[8:9], s40, v8
	v_mov_b32_e32 v7, 0x7f800001
	s_and_saveexec_b64 s[36:37], s[8:9]
	s_cbranch_execz .LBB352_150
; %bb.149:                              ;   in Loop: Header=BB352_13 Depth=1
	v_and_b32_e32 v0, 7, v42
	v_ffbh_u32_e32 v7, v0
	v_min_u32_e32 v7, 32, v7
	v_subrev_u32_e32 v9, 28, v7
	v_lshlrev_b64 v[16:17], v9, v[42:43]
	v_lshrrev_b32_e32 v1, 3, v8
	v_sub_u32_e32 v7, 29, v7
	v_and_b32_e32 v9, 7, v16
	v_cmp_gt_u32_e64 s[8:9], 8, v8
	v_cndmask_b32_e64 v1, v1, v7, s[8:9]
	v_cndmask_b32_e64 v0, v0, v9, s[8:9]
	v_lshlrev_b32_e32 v7, 16, v40
	v_bfrev_b32_e32 v2, 60
	v_lshlrev_b32_e32 v0, 20, v0
	v_and_b32_e32 v7, 0x80000000, v7
	v_lshl_add_u32 v1, v1, 23, v2
	v_or3_b32 v7, v7, v1, v0
.LBB352_150:                            ;   in Loop: Header=BB352_13 Depth=1
	s_or_b64 exec, exec, s[36:37]
.LBB352_151:                            ;   in Loop: Header=BB352_13 Depth=1
	s_or_b64 exec, exec, s[34:35]
.LBB352_152:                            ;   in Loop: Header=BB352_13 Depth=1
	s_or_b64 exec, exec, s[30:31]
	v_mul_f32_e32 v7, v10, v7
	v_and_b32_e32 v0, 0x7f800000, v7
	v_cmp_ne_u32_e64 s[8:9], s41, v0
                                        ; implicit-def: $vgpr4
	s_and_saveexec_b64 s[30:31], s[8:9]
	s_xor_b64 s[8:9], exec, s[30:31]
; %bb.153:                              ;   in Loop: Header=BB352_13 Depth=1
	v_bfe_u32 v0, v7, 16, 1
	v_add3_u32 v4, v7, v0, s42
                                        ; implicit-def: $vgpr7
; %bb.154:                              ;   in Loop: Header=BB352_13 Depth=1
	s_andn2_saveexec_b64 s[30:31], s[8:9]
; %bb.155:                              ;   in Loop: Header=BB352_13 Depth=1
	v_mov_b32_e32 v1, 0
	v_or_b32_e32 v0, 0x10000, v7
	v_cmp_eq_u32_sdwa s[8:9], v7, v1 src0_sel:WORD_0 src1_sel:DWORD
	v_cndmask_b32_e64 v4, v0, v7, s[8:9]
; %bb.156:                              ;   in Loop: Header=BB352_13 Depth=1
	s_or_b64 exec, exec, s[30:31]
	flat_load_ushort v0, v[54:55] offset:776
	v_mov_b32_e32 v1, 0
	v_mov_b32_e32 v7, 0
	s_waitcnt vmcnt(0) lgkmcnt(0)
	v_and_b32_e32 v40, 0xffff, v0
	v_cmp_ne_u16_sdwa s[8:9], v0, v1 src0_sel:BYTE_0 src1_sel:DWORD
	s_and_saveexec_b64 s[30:31], s[8:9]
	s_cbranch_execz .LBB352_162
; %bb.157:                              ;   in Loop: Header=BB352_13 Depth=1
	v_cmp_ne_u16_sdwa s[8:9], v40, s39 src0_sel:BYTE_0 src1_sel:DWORD
	v_bfrev_b32_e32 v7, 1
	s_and_saveexec_b64 s[34:35], s[8:9]
	s_cbranch_execz .LBB352_161
; %bb.158:                              ;   in Loop: Header=BB352_13 Depth=1
	v_and_b32_e32 v8, 0x7f, v40
	v_cmp_ne_u32_e64 s[8:9], s40, v8
	v_mov_b32_e32 v7, 0x7f800001
	s_and_saveexec_b64 s[36:37], s[8:9]
	s_cbranch_execz .LBB352_160
; %bb.159:                              ;   in Loop: Header=BB352_13 Depth=1
	v_and_b32_e32 v0, 7, v40
	v_ffbh_u32_e32 v7, v0
	v_min_u32_e32 v7, 32, v7
	v_subrev_u32_e32 v9, 28, v7
	v_lshlrev_b64 v[16:17], v9, v[40:41]
	v_lshrrev_b32_e32 v1, 3, v8
	v_sub_u32_e32 v7, 29, v7
	v_and_b32_e32 v9, 7, v16
	v_cmp_gt_u32_e64 s[8:9], 8, v8
	v_cndmask_b32_e64 v1, v1, v7, s[8:9]
	v_cndmask_b32_e64 v0, v0, v9, s[8:9]
	v_lshlrev_b32_e32 v7, 24, v40
	v_bfrev_b32_e32 v2, 60
	v_lshlrev_b32_e32 v0, 20, v0
	v_and_b32_e32 v7, 0x80000000, v7
	v_lshl_add_u32 v1, v1, 23, v2
	v_or3_b32 v7, v7, v1, v0
.LBB352_160:                            ;   in Loop: Header=BB352_13 Depth=1
	s_or_b64 exec, exec, s[36:37]
.LBB352_161:                            ;   in Loop: Header=BB352_13 Depth=1
	s_or_b64 exec, exec, s[34:35]
.LBB352_162:                            ;   in Loop: Header=BB352_13 Depth=1
	s_or_b64 exec, exec, s[30:31]
	v_mul_f32_e32 v7, v10, v7
	v_and_b32_e32 v0, 0x7f800000, v7
	v_cmp_ne_u32_e64 s[8:9], s41, v0
                                        ; implicit-def: $vgpr5
	s_and_saveexec_b64 s[30:31], s[8:9]
	s_xor_b64 s[8:9], exec, s[30:31]
; %bb.163:                              ;   in Loop: Header=BB352_13 Depth=1
	v_bfe_u32 v0, v7, 16, 1
	v_add3_u32 v5, v7, v0, s42
                                        ; implicit-def: $vgpr7
; %bb.164:                              ;   in Loop: Header=BB352_13 Depth=1
	s_andn2_saveexec_b64 s[30:31], s[8:9]
; %bb.165:                              ;   in Loop: Header=BB352_13 Depth=1
	v_mov_b32_e32 v1, 0
	v_or_b32_e32 v0, 0x10000, v7
	v_cmp_eq_u32_sdwa s[8:9], v7, v1 src0_sel:WORD_0 src1_sel:DWORD
	v_cndmask_b32_e64 v5, v0, v7, s[8:9]
; %bb.166:                              ;   in Loop: Header=BB352_13 Depth=1
	s_or_b64 exec, exec, s[30:31]
	v_lshrrev_b16_e32 v42, 8, v40
	v_cmp_ne_u16_e64 s[8:9], 0, v42
	v_mov_b32_e32 v7, 0
	s_and_saveexec_b64 s[30:31], s[8:9]
	s_cbranch_execz .LBB352_172
; %bb.167:                              ;   in Loop: Header=BB352_13 Depth=1
	v_cmp_ne_u16_e64 s[8:9], s39, v42
	v_bfrev_b32_e32 v7, 1
	s_and_saveexec_b64 s[34:35], s[8:9]
	s_cbranch_execz .LBB352_171
; %bb.168:                              ;   in Loop: Header=BB352_13 Depth=1
	v_and_b32_e32 v8, 0x7f, v42
	v_cmp_ne_u32_e64 s[8:9], s40, v8
	v_mov_b32_e32 v7, 0x7f800001
	s_and_saveexec_b64 s[36:37], s[8:9]
	s_cbranch_execz .LBB352_170
; %bb.169:                              ;   in Loop: Header=BB352_13 Depth=1
	v_and_b32_e32 v0, 7, v42
	v_ffbh_u32_e32 v7, v0
	v_min_u32_e32 v7, 32, v7
	v_lshrrev_b32_e32 v1, 3, v8
	v_cmp_gt_u32_e64 s[8:9], 8, v8
	v_subrev_u32_e32 v8, 28, v7
	v_lshlrev_b64 v[8:9], v8, v[42:43]
	v_sub_u32_e32 v7, 29, v7
	v_and_b32_e32 v8, 7, v8
	v_cndmask_b32_e64 v1, v1, v7, s[8:9]
	v_cndmask_b32_e64 v0, v0, v8, s[8:9]
	v_lshlrev_b32_e32 v7, 16, v40
	v_bfrev_b32_e32 v2, 60
	v_lshlrev_b32_e32 v0, 20, v0
	v_and_b32_e32 v7, 0x80000000, v7
	v_lshl_add_u32 v1, v1, 23, v2
	v_or3_b32 v7, v7, v1, v0
.LBB352_170:                            ;   in Loop: Header=BB352_13 Depth=1
	s_or_b64 exec, exec, s[36:37]
.LBB352_171:                            ;   in Loop: Header=BB352_13 Depth=1
	s_or_b64 exec, exec, s[34:35]
.LBB352_172:                            ;   in Loop: Header=BB352_13 Depth=1
	s_or_b64 exec, exec, s[30:31]
	v_mul_f32_e32 v7, v10, v7
	v_and_b32_e32 v0, 0x7f800000, v7
	v_cmp_ne_u32_e64 s[8:9], s41, v0
                                        ; implicit-def: $vgpr44
	s_and_saveexec_b64 s[30:31], s[8:9]
	s_xor_b64 s[8:9], exec, s[30:31]
; %bb.173:                              ;   in Loop: Header=BB352_13 Depth=1
	v_bfe_u32 v0, v7, 16, 1
	v_add3_u32 v44, v7, v0, s42
                                        ; implicit-def: $vgpr7
; %bb.174:                              ;   in Loop: Header=BB352_13 Depth=1
	s_andn2_saveexec_b64 s[30:31], s[8:9]
; %bb.175:                              ;   in Loop: Header=BB352_13 Depth=1
	v_mov_b32_e32 v1, 0
	v_or_b32_e32 v0, 0x10000, v7
	v_cmp_eq_u32_sdwa s[8:9], v7, v1 src0_sel:WORD_0 src1_sel:DWORD
	v_cndmask_b32_e64 v44, v0, v7, s[8:9]
; %bb.176:                              ;   in Loop: Header=BB352_13 Depth=1
	s_or_b64 exec, exec, s[30:31]
	flat_load_ushort v0, v[54:55] offset:1024
	v_mov_b32_e32 v1, 0
	v_mov_b32_e32 v7, 0
	s_waitcnt vmcnt(0) lgkmcnt(0)
	v_and_b32_e32 v40, 0xffff, v0
	v_cmp_ne_u16_sdwa s[8:9], v0, v1 src0_sel:BYTE_0 src1_sel:DWORD
	s_and_saveexec_b64 s[30:31], s[8:9]
	s_cbranch_execz .LBB352_182
; %bb.177:                              ;   in Loop: Header=BB352_13 Depth=1
	v_cmp_ne_u16_sdwa s[8:9], v40, s39 src0_sel:BYTE_0 src1_sel:DWORD
	v_bfrev_b32_e32 v7, 1
	s_and_saveexec_b64 s[34:35], s[8:9]
	s_cbranch_execz .LBB352_181
; %bb.178:                              ;   in Loop: Header=BB352_13 Depth=1
	v_and_b32_e32 v8, 0x7f, v40
	v_cmp_ne_u32_e64 s[8:9], s40, v8
	v_mov_b32_e32 v7, 0x7f800001
	s_and_saveexec_b64 s[36:37], s[8:9]
	s_cbranch_execz .LBB352_180
; %bb.179:                              ;   in Loop: Header=BB352_13 Depth=1
	v_and_b32_e32 v0, 7, v40
	v_ffbh_u32_e32 v7, v0
	v_min_u32_e32 v7, 32, v7
	v_lshrrev_b32_e32 v1, 3, v8
	v_cmp_gt_u32_e64 s[8:9], 8, v8
	v_subrev_u32_e32 v8, 28, v7
	v_lshlrev_b64 v[8:9], v8, v[40:41]
	v_sub_u32_e32 v7, 29, v7
	v_and_b32_e32 v8, 7, v8
	v_cndmask_b32_e64 v1, v1, v7, s[8:9]
	v_cndmask_b32_e64 v0, v0, v8, s[8:9]
	v_lshlrev_b32_e32 v7, 24, v40
	v_bfrev_b32_e32 v2, 60
	v_lshlrev_b32_e32 v0, 20, v0
	v_and_b32_e32 v7, 0x80000000, v7
	v_lshl_add_u32 v1, v1, 23, v2
	v_or3_b32 v7, v7, v1, v0
.LBB352_180:                            ;   in Loop: Header=BB352_13 Depth=1
	s_or_b64 exec, exec, s[36:37]
.LBB352_181:                            ;   in Loop: Header=BB352_13 Depth=1
	s_or_b64 exec, exec, s[34:35]
.LBB352_182:                            ;   in Loop: Header=BB352_13 Depth=1
	s_or_b64 exec, exec, s[30:31]
	v_mul_f32_e32 v7, v10, v7
	v_and_b32_e32 v0, 0x7f800000, v7
	v_cmp_ne_u32_e64 s[8:9], s41, v0
                                        ; implicit-def: $vgpr45
	s_and_saveexec_b64 s[30:31], s[8:9]
	s_xor_b64 s[8:9], exec, s[30:31]
; %bb.183:                              ;   in Loop: Header=BB352_13 Depth=1
	v_bfe_u32 v0, v7, 16, 1
	v_add3_u32 v45, v7, v0, s42
                                        ; implicit-def: $vgpr7
; %bb.184:                              ;   in Loop: Header=BB352_13 Depth=1
	s_andn2_saveexec_b64 s[30:31], s[8:9]
; %bb.185:                              ;   in Loop: Header=BB352_13 Depth=1
	v_mov_b32_e32 v1, 0
	v_or_b32_e32 v0, 0x10000, v7
	v_cmp_eq_u32_sdwa s[8:9], v7, v1 src0_sel:WORD_0 src1_sel:DWORD
	v_cndmask_b32_e64 v45, v0, v7, s[8:9]
; %bb.186:                              ;   in Loop: Header=BB352_13 Depth=1
	s_or_b64 exec, exec, s[30:31]
	v_lshrrev_b16_e32 v42, 8, v40
	v_cmp_ne_u16_e64 s[8:9], 0, v42
	v_mov_b32_e32 v7, 0
	s_and_saveexec_b64 s[30:31], s[8:9]
	s_cbranch_execz .LBB352_192
; %bb.187:                              ;   in Loop: Header=BB352_13 Depth=1
	v_cmp_ne_u16_e64 s[8:9], s39, v42
	v_bfrev_b32_e32 v7, 1
	s_and_saveexec_b64 s[34:35], s[8:9]
	s_cbranch_execz .LBB352_191
; %bb.188:                              ;   in Loop: Header=BB352_13 Depth=1
	v_and_b32_e32 v8, 0x7f, v42
	v_cmp_ne_u32_e64 s[8:9], s40, v8
	v_mov_b32_e32 v7, 0x7f800001
	s_and_saveexec_b64 s[36:37], s[8:9]
	s_cbranch_execz .LBB352_190
; %bb.189:                              ;   in Loop: Header=BB352_13 Depth=1
	v_and_b32_e32 v0, 7, v42
	v_ffbh_u32_e32 v7, v0
	v_min_u32_e32 v7, 32, v7
	v_subrev_u32_e32 v9, 28, v7
	v_lshlrev_b64 v[16:17], v9, v[42:43]
	v_lshrrev_b32_e32 v1, 3, v8
	v_sub_u32_e32 v7, 29, v7
	v_and_b32_e32 v9, 7, v16
	v_cmp_gt_u32_e64 s[8:9], 8, v8
	v_cndmask_b32_e64 v1, v1, v7, s[8:9]
	v_cndmask_b32_e64 v0, v0, v9, s[8:9]
	v_lshlrev_b32_e32 v7, 16, v40
	v_bfrev_b32_e32 v2, 60
	v_lshlrev_b32_e32 v0, 20, v0
	v_and_b32_e32 v7, 0x80000000, v7
	v_lshl_add_u32 v1, v1, 23, v2
	v_or3_b32 v7, v7, v1, v0
.LBB352_190:                            ;   in Loop: Header=BB352_13 Depth=1
	s_or_b64 exec, exec, s[36:37]
.LBB352_191:                            ;   in Loop: Header=BB352_13 Depth=1
	s_or_b64 exec, exec, s[34:35]
.LBB352_192:                            ;   in Loop: Header=BB352_13 Depth=1
	s_or_b64 exec, exec, s[30:31]
	v_mul_f32_e32 v7, v10, v7
	v_and_b32_e32 v0, 0x7f800000, v7
	v_cmp_ne_u32_e64 s[8:9], s41, v0
                                        ; implicit-def: $vgpr17
	s_and_saveexec_b64 s[30:31], s[8:9]
	s_xor_b64 s[8:9], exec, s[30:31]
; %bb.193:                              ;   in Loop: Header=BB352_13 Depth=1
	v_bfe_u32 v0, v7, 16, 1
	v_add3_u32 v17, v7, v0, s42
                                        ; implicit-def: $vgpr7
; %bb.194:                              ;   in Loop: Header=BB352_13 Depth=1
	s_andn2_saveexec_b64 s[30:31], s[8:9]
; %bb.195:                              ;   in Loop: Header=BB352_13 Depth=1
	v_mov_b32_e32 v1, 0
	v_or_b32_e32 v0, 0x10000, v7
	v_cmp_eq_u32_sdwa s[8:9], v7, v1 src0_sel:WORD_0 src1_sel:DWORD
	v_cndmask_b32_e64 v17, v0, v7, s[8:9]
; %bb.196:                              ;   in Loop: Header=BB352_13 Depth=1
	s_or_b64 exec, exec, s[30:31]
	flat_load_ushort v0, v[54:55] offset:1032
	v_mov_b32_e32 v1, 0
	v_mov_b32_e32 v7, 0
	s_waitcnt vmcnt(0) lgkmcnt(0)
	v_and_b32_e32 v40, 0xffff, v0
	v_cmp_ne_u16_sdwa s[8:9], v0, v1 src0_sel:BYTE_0 src1_sel:DWORD
	s_and_saveexec_b64 s[30:31], s[8:9]
	s_cbranch_execz .LBB352_202
; %bb.197:                              ;   in Loop: Header=BB352_13 Depth=1
	v_cmp_ne_u16_sdwa s[8:9], v40, s39 src0_sel:BYTE_0 src1_sel:DWORD
	v_bfrev_b32_e32 v7, 1
	s_and_saveexec_b64 s[34:35], s[8:9]
	s_cbranch_execz .LBB352_201
; %bb.198:                              ;   in Loop: Header=BB352_13 Depth=1
	v_and_b32_e32 v8, 0x7f, v40
	v_cmp_ne_u32_e64 s[8:9], s40, v8
	v_mov_b32_e32 v7, 0x7f800001
	s_and_saveexec_b64 s[36:37], s[8:9]
	s_cbranch_execz .LBB352_200
; %bb.199:                              ;   in Loop: Header=BB352_13 Depth=1
	v_and_b32_e32 v0, 7, v40
	v_ffbh_u32_e32 v7, v0
	v_min_u32_e32 v7, 32, v7
	v_subrev_u32_e32 v9, 28, v7
	v_lshlrev_b64 v[24:25], v9, v[40:41]
	v_lshrrev_b32_e32 v1, 3, v8
	v_sub_u32_e32 v7, 29, v7
	v_and_b32_e32 v9, 7, v24
	v_cmp_gt_u32_e64 s[8:9], 8, v8
	v_cndmask_b32_e64 v1, v1, v7, s[8:9]
	v_cndmask_b32_e64 v0, v0, v9, s[8:9]
	v_lshlrev_b32_e32 v7, 24, v40
	v_bfrev_b32_e32 v2, 60
	v_lshlrev_b32_e32 v0, 20, v0
	v_and_b32_e32 v7, 0x80000000, v7
	v_lshl_add_u32 v1, v1, 23, v2
	v_or3_b32 v7, v7, v1, v0
.LBB352_200:                            ;   in Loop: Header=BB352_13 Depth=1
	s_or_b64 exec, exec, s[36:37]
.LBB352_201:                            ;   in Loop: Header=BB352_13 Depth=1
	s_or_b64 exec, exec, s[34:35]
.LBB352_202:                            ;   in Loop: Header=BB352_13 Depth=1
	s_or_b64 exec, exec, s[30:31]
	v_mul_f32_e32 v7, v10, v7
	v_and_b32_e32 v0, 0x7f800000, v7
	v_cmp_ne_u32_e64 s[8:9], s41, v0
                                        ; implicit-def: $vgpr11
	s_and_saveexec_b64 s[30:31], s[8:9]
	s_xor_b64 s[8:9], exec, s[30:31]
; %bb.203:                              ;   in Loop: Header=BB352_13 Depth=1
	v_bfe_u32 v0, v7, 16, 1
	v_add3_u32 v11, v7, v0, s42
                                        ; implicit-def: $vgpr7
; %bb.204:                              ;   in Loop: Header=BB352_13 Depth=1
	s_andn2_saveexec_b64 s[30:31], s[8:9]
; %bb.205:                              ;   in Loop: Header=BB352_13 Depth=1
	v_mov_b32_e32 v1, 0
	v_or_b32_e32 v0, 0x10000, v7
	v_cmp_eq_u32_sdwa s[8:9], v7, v1 src0_sel:WORD_0 src1_sel:DWORD
	v_cndmask_b32_e64 v11, v0, v7, s[8:9]
; %bb.206:                              ;   in Loop: Header=BB352_13 Depth=1
	s_or_b64 exec, exec, s[30:31]
	v_lshrrev_b16_e32 v42, 8, v40
	v_cmp_ne_u16_e64 s[8:9], 0, v42
	v_mov_b32_e32 v7, 0
	s_and_saveexec_b64 s[30:31], s[8:9]
	s_cbranch_execz .LBB352_212
; %bb.207:                              ;   in Loop: Header=BB352_13 Depth=1
	v_cmp_ne_u16_e64 s[8:9], s39, v42
	v_bfrev_b32_e32 v7, 1
	s_and_saveexec_b64 s[34:35], s[8:9]
	s_cbranch_execz .LBB352_211
; %bb.208:                              ;   in Loop: Header=BB352_13 Depth=1
	v_and_b32_e32 v8, 0x7f, v42
	v_cmp_ne_u32_e64 s[8:9], s40, v8
	v_mov_b32_e32 v7, 0x7f800001
	s_and_saveexec_b64 s[36:37], s[8:9]
	s_cbranch_execz .LBB352_210
; %bb.209:                              ;   in Loop: Header=BB352_13 Depth=1
	v_and_b32_e32 v0, 7, v42
	v_ffbh_u32_e32 v7, v0
	v_min_u32_e32 v7, 32, v7
	v_subrev_u32_e32 v9, 28, v7
	v_lshlrev_b64 v[24:25], v9, v[42:43]
	v_lshrrev_b32_e32 v1, 3, v8
	v_sub_u32_e32 v7, 29, v7
	v_and_b32_e32 v9, 7, v24
	v_cmp_gt_u32_e64 s[8:9], 8, v8
	v_cndmask_b32_e64 v1, v1, v7, s[8:9]
	v_cndmask_b32_e64 v0, v0, v9, s[8:9]
	v_lshlrev_b32_e32 v7, 16, v40
	v_bfrev_b32_e32 v2, 60
	v_lshlrev_b32_e32 v0, 20, v0
	v_and_b32_e32 v7, 0x80000000, v7
	v_lshl_add_u32 v1, v1, 23, v2
	v_or3_b32 v7, v7, v1, v0
.LBB352_210:                            ;   in Loop: Header=BB352_13 Depth=1
	s_or_b64 exec, exec, s[36:37]
.LBB352_211:                            ;   in Loop: Header=BB352_13 Depth=1
	s_or_b64 exec, exec, s[34:35]
.LBB352_212:                            ;   in Loop: Header=BB352_13 Depth=1
	s_or_b64 exec, exec, s[30:31]
	v_mul_f32_e32 v7, v10, v7
	v_and_b32_e32 v0, 0x7f800000, v7
	v_cmp_ne_u32_e64 s[8:9], s41, v0
                                        ; implicit-def: $vgpr27
	s_and_saveexec_b64 s[30:31], s[8:9]
	s_xor_b64 s[8:9], exec, s[30:31]
; %bb.213:                              ;   in Loop: Header=BB352_13 Depth=1
	v_bfe_u32 v0, v7, 16, 1
	v_add3_u32 v27, v7, v0, s42
                                        ; implicit-def: $vgpr7
; %bb.214:                              ;   in Loop: Header=BB352_13 Depth=1
	s_andn2_saveexec_b64 s[30:31], s[8:9]
; %bb.215:                              ;   in Loop: Header=BB352_13 Depth=1
	v_mov_b32_e32 v1, 0
	v_or_b32_e32 v0, 0x10000, v7
	v_cmp_eq_u32_sdwa s[8:9], v7, v1 src0_sel:WORD_0 src1_sel:DWORD
	v_cndmask_b32_e64 v27, v0, v7, s[8:9]
; %bb.216:                              ;   in Loop: Header=BB352_13 Depth=1
	s_or_b64 exec, exec, s[30:31]
	flat_load_ushort v0, v[54:55] offset:1280
	v_mov_b32_e32 v1, 0
	v_mov_b32_e32 v7, 0
	s_waitcnt vmcnt(0) lgkmcnt(0)
	v_and_b32_e32 v40, 0xffff, v0
	v_cmp_ne_u16_sdwa s[8:9], v0, v1 src0_sel:BYTE_0 src1_sel:DWORD
	s_and_saveexec_b64 s[30:31], s[8:9]
	s_cbranch_execz .LBB352_222
; %bb.217:                              ;   in Loop: Header=BB352_13 Depth=1
	v_cmp_ne_u16_sdwa s[8:9], v40, s39 src0_sel:BYTE_0 src1_sel:DWORD
	v_bfrev_b32_e32 v7, 1
	s_and_saveexec_b64 s[34:35], s[8:9]
	s_cbranch_execz .LBB352_221
; %bb.218:                              ;   in Loop: Header=BB352_13 Depth=1
	v_and_b32_e32 v8, 0x7f, v40
	v_cmp_ne_u32_e64 s[8:9], s40, v8
	v_mov_b32_e32 v7, 0x7f800001
	s_and_saveexec_b64 s[36:37], s[8:9]
	s_cbranch_execz .LBB352_220
; %bb.219:                              ;   in Loop: Header=BB352_13 Depth=1
	v_and_b32_e32 v0, 7, v40
	v_ffbh_u32_e32 v7, v0
	v_min_u32_e32 v7, 32, v7
	v_subrev_u32_e32 v9, 28, v7
	v_lshlrev_b64 v[24:25], v9, v[40:41]
	v_lshrrev_b32_e32 v1, 3, v8
	v_sub_u32_e32 v7, 29, v7
	v_and_b32_e32 v9, 7, v24
	v_cmp_gt_u32_e64 s[8:9], 8, v8
	v_cndmask_b32_e64 v1, v1, v7, s[8:9]
	v_cndmask_b32_e64 v0, v0, v9, s[8:9]
	v_lshlrev_b32_e32 v7, 24, v40
	v_bfrev_b32_e32 v2, 60
	v_lshlrev_b32_e32 v0, 20, v0
	v_and_b32_e32 v7, 0x80000000, v7
	v_lshl_add_u32 v1, v1, 23, v2
	v_or3_b32 v7, v7, v1, v0
.LBB352_220:                            ;   in Loop: Header=BB352_13 Depth=1
	s_or_b64 exec, exec, s[36:37]
.LBB352_221:                            ;   in Loop: Header=BB352_13 Depth=1
	s_or_b64 exec, exec, s[34:35]
.LBB352_222:                            ;   in Loop: Header=BB352_13 Depth=1
	s_or_b64 exec, exec, s[30:31]
	v_mul_f32_e32 v7, v10, v7
	v_and_b32_e32 v0, 0x7f800000, v7
	v_cmp_ne_u32_e64 s[8:9], s41, v0
                                        ; implicit-def: $vgpr26
	s_and_saveexec_b64 s[30:31], s[8:9]
	s_xor_b64 s[8:9], exec, s[30:31]
; %bb.223:                              ;   in Loop: Header=BB352_13 Depth=1
	v_bfe_u32 v0, v7, 16, 1
	v_add3_u32 v26, v7, v0, s42
                                        ; implicit-def: $vgpr7
; %bb.224:                              ;   in Loop: Header=BB352_13 Depth=1
	s_andn2_saveexec_b64 s[30:31], s[8:9]
; %bb.225:                              ;   in Loop: Header=BB352_13 Depth=1
	v_mov_b32_e32 v1, 0
	v_or_b32_e32 v0, 0x10000, v7
	v_cmp_eq_u32_sdwa s[8:9], v7, v1 src0_sel:WORD_0 src1_sel:DWORD
	v_cndmask_b32_e64 v26, v0, v7, s[8:9]
; %bb.226:                              ;   in Loop: Header=BB352_13 Depth=1
	s_or_b64 exec, exec, s[30:31]
	v_lshrrev_b16_e32 v42, 8, v40
	v_cmp_ne_u16_e64 s[8:9], 0, v42
	v_mov_b32_e32 v7, 0
	s_and_saveexec_b64 s[30:31], s[8:9]
	s_cbranch_execz .LBB352_232
; %bb.227:                              ;   in Loop: Header=BB352_13 Depth=1
	v_cmp_ne_u16_e64 s[8:9], s39, v42
	v_bfrev_b32_e32 v7, 1
	s_and_saveexec_b64 s[34:35], s[8:9]
	s_cbranch_execz .LBB352_231
; %bb.228:                              ;   in Loop: Header=BB352_13 Depth=1
	v_and_b32_e32 v8, 0x7f, v42
	v_cmp_ne_u32_e64 s[8:9], s40, v8
	v_mov_b32_e32 v7, 0x7f800001
	s_and_saveexec_b64 s[36:37], s[8:9]
	s_cbranch_execz .LBB352_230
; %bb.229:                              ;   in Loop: Header=BB352_13 Depth=1
	v_and_b32_e32 v0, 7, v42
	v_ffbh_u32_e32 v7, v0
	v_min_u32_e32 v7, 32, v7
	v_subrev_u32_e32 v9, 28, v7
	v_lshlrev_b64 v[24:25], v9, v[42:43]
	v_lshrrev_b32_e32 v1, 3, v8
	v_sub_u32_e32 v7, 29, v7
	v_and_b32_e32 v9, 7, v24
	v_cmp_gt_u32_e64 s[8:9], 8, v8
	v_cndmask_b32_e64 v1, v1, v7, s[8:9]
	v_cndmask_b32_e64 v0, v0, v9, s[8:9]
	v_lshlrev_b32_e32 v7, 16, v40
	v_bfrev_b32_e32 v2, 60
	v_lshlrev_b32_e32 v0, 20, v0
	v_and_b32_e32 v7, 0x80000000, v7
	v_lshl_add_u32 v1, v1, 23, v2
	v_or3_b32 v7, v7, v1, v0
.LBB352_230:                            ;   in Loop: Header=BB352_13 Depth=1
	s_or_b64 exec, exec, s[36:37]
.LBB352_231:                            ;   in Loop: Header=BB352_13 Depth=1
	s_or_b64 exec, exec, s[34:35]
.LBB352_232:                            ;   in Loop: Header=BB352_13 Depth=1
	s_or_b64 exec, exec, s[30:31]
	v_mul_f32_e32 v7, v10, v7
	v_and_b32_e32 v0, 0x7f800000, v7
	v_cmp_ne_u32_e64 s[8:9], s41, v0
                                        ; implicit-def: $vgpr8
	s_and_saveexec_b64 s[30:31], s[8:9]
	s_xor_b64 s[8:9], exec, s[30:31]
; %bb.233:                              ;   in Loop: Header=BB352_13 Depth=1
	v_bfe_u32 v0, v7, 16, 1
	v_add3_u32 v8, v7, v0, s42
                                        ; implicit-def: $vgpr7
; %bb.234:                              ;   in Loop: Header=BB352_13 Depth=1
	s_andn2_saveexec_b64 s[30:31], s[8:9]
; %bb.235:                              ;   in Loop: Header=BB352_13 Depth=1
	v_mov_b32_e32 v1, 0
	v_or_b32_e32 v0, 0x10000, v7
	v_cmp_eq_u32_sdwa s[8:9], v7, v1 src0_sel:WORD_0 src1_sel:DWORD
	v_cndmask_b32_e64 v8, v0, v7, s[8:9]
; %bb.236:                              ;   in Loop: Header=BB352_13 Depth=1
	s_or_b64 exec, exec, s[30:31]
	flat_load_ushort v0, v[54:55] offset:1288
	v_mov_b32_e32 v1, 0
	v_mov_b32_e32 v7, 0
	s_waitcnt vmcnt(0) lgkmcnt(0)
	v_and_b32_e32 v40, 0xffff, v0
	v_cmp_ne_u16_sdwa s[8:9], v0, v1 src0_sel:BYTE_0 src1_sel:DWORD
	s_and_saveexec_b64 s[30:31], s[8:9]
	s_cbranch_execz .LBB352_242
; %bb.237:                              ;   in Loop: Header=BB352_13 Depth=1
	v_cmp_ne_u16_sdwa s[8:9], v40, s39 src0_sel:BYTE_0 src1_sel:DWORD
	v_bfrev_b32_e32 v7, 1
	s_and_saveexec_b64 s[34:35], s[8:9]
	s_cbranch_execz .LBB352_241
; %bb.238:                              ;   in Loop: Header=BB352_13 Depth=1
	v_and_b32_e32 v9, 0x7f, v40
	v_cmp_ne_u32_e64 s[8:9], s40, v9
	v_mov_b32_e32 v7, 0x7f800001
	s_and_saveexec_b64 s[36:37], s[8:9]
	s_cbranch_execz .LBB352_240
; %bb.239:                              ;   in Loop: Header=BB352_13 Depth=1
	v_and_b32_e32 v0, 7, v40
	v_ffbh_u32_e32 v7, v0
	v_min_u32_e32 v7, 32, v7
	v_subrev_u32_e32 v16, 28, v7
	v_lshlrev_b64 v[24:25], v16, v[40:41]
	v_lshrrev_b32_e32 v1, 3, v9
	v_sub_u32_e32 v7, 29, v7
	v_and_b32_e32 v16, 7, v24
	v_cmp_gt_u32_e64 s[8:9], 8, v9
	v_cndmask_b32_e64 v1, v1, v7, s[8:9]
	v_cndmask_b32_e64 v0, v0, v16, s[8:9]
	v_lshlrev_b32_e32 v7, 24, v40
	v_bfrev_b32_e32 v2, 60
	v_lshlrev_b32_e32 v0, 20, v0
	v_and_b32_e32 v7, 0x80000000, v7
	v_lshl_add_u32 v1, v1, 23, v2
	v_or3_b32 v7, v7, v1, v0
.LBB352_240:                            ;   in Loop: Header=BB352_13 Depth=1
	s_or_b64 exec, exec, s[36:37]
.LBB352_241:                            ;   in Loop: Header=BB352_13 Depth=1
	s_or_b64 exec, exec, s[34:35]
.LBB352_242:                            ;   in Loop: Header=BB352_13 Depth=1
	s_or_b64 exec, exec, s[30:31]
	v_mul_f32_e32 v7, v10, v7
	v_and_b32_e32 v0, 0x7f800000, v7
	v_cmp_ne_u32_e64 s[8:9], s41, v0
                                        ; implicit-def: $vgpr9
	s_and_saveexec_b64 s[30:31], s[8:9]
	s_xor_b64 s[8:9], exec, s[30:31]
; %bb.243:                              ;   in Loop: Header=BB352_13 Depth=1
	v_bfe_u32 v0, v7, 16, 1
	v_add3_u32 v9, v7, v0, s42
                                        ; implicit-def: $vgpr7
; %bb.244:                              ;   in Loop: Header=BB352_13 Depth=1
	s_andn2_saveexec_b64 s[30:31], s[8:9]
; %bb.245:                              ;   in Loop: Header=BB352_13 Depth=1
	v_mov_b32_e32 v1, 0
	v_or_b32_e32 v0, 0x10000, v7
	v_cmp_eq_u32_sdwa s[8:9], v7, v1 src0_sel:WORD_0 src1_sel:DWORD
	v_cndmask_b32_e64 v9, v0, v7, s[8:9]
; %bb.246:                              ;   in Loop: Header=BB352_13 Depth=1
	s_or_b64 exec, exec, s[30:31]
	v_lshrrev_b16_e32 v42, 8, v40
	v_cmp_ne_u16_e64 s[8:9], 0, v42
	v_mov_b32_e32 v7, 0
	s_and_saveexec_b64 s[30:31], s[8:9]
	s_cbranch_execz .LBB352_252
; %bb.247:                              ;   in Loop: Header=BB352_13 Depth=1
	v_cmp_ne_u16_e64 s[8:9], s39, v42
	v_bfrev_b32_e32 v7, 1
	s_and_saveexec_b64 s[34:35], s[8:9]
	s_cbranch_execz .LBB352_251
; %bb.248:                              ;   in Loop: Header=BB352_13 Depth=1
	v_and_b32_e32 v16, 0x7f, v42
	v_cmp_ne_u32_e64 s[8:9], s40, v16
	v_mov_b32_e32 v7, 0x7f800001
	s_and_saveexec_b64 s[36:37], s[8:9]
	s_cbranch_execz .LBB352_250
; %bb.249:                              ;   in Loop: Header=BB352_13 Depth=1
	v_and_b32_e32 v0, 7, v42
	v_ffbh_u32_e32 v7, v0
	v_min_u32_e32 v7, 32, v7
	v_subrev_u32_e32 v22, 28, v7
	v_lshlrev_b64 v[24:25], v22, v[42:43]
	v_lshrrev_b32_e32 v1, 3, v16
	v_sub_u32_e32 v7, 29, v7
	v_and_b32_e32 v22, 7, v24
	v_cmp_gt_u32_e64 s[8:9], 8, v16
	v_cndmask_b32_e64 v1, v1, v7, s[8:9]
	v_cndmask_b32_e64 v0, v0, v22, s[8:9]
	v_lshlrev_b32_e32 v7, 16, v40
	v_bfrev_b32_e32 v2, 60
	v_lshlrev_b32_e32 v0, 20, v0
	v_and_b32_e32 v7, 0x80000000, v7
	v_lshl_add_u32 v1, v1, 23, v2
	v_or3_b32 v7, v7, v1, v0
.LBB352_250:                            ;   in Loop: Header=BB352_13 Depth=1
	s_or_b64 exec, exec, s[36:37]
.LBB352_251:                            ;   in Loop: Header=BB352_13 Depth=1
	s_or_b64 exec, exec, s[34:35]
.LBB352_252:                            ;   in Loop: Header=BB352_13 Depth=1
	s_or_b64 exec, exec, s[30:31]
	v_mul_f32_e32 v7, v10, v7
	v_and_b32_e32 v0, 0x7f800000, v7
	v_cmp_ne_u32_e64 s[8:9], s41, v0
                                        ; implicit-def: $vgpr16
	s_and_saveexec_b64 s[30:31], s[8:9]
	s_xor_b64 s[8:9], exec, s[30:31]
; %bb.253:                              ;   in Loop: Header=BB352_13 Depth=1
	v_bfe_u32 v0, v7, 16, 1
	v_add3_u32 v16, v7, v0, s42
                                        ; implicit-def: $vgpr7
; %bb.254:                              ;   in Loop: Header=BB352_13 Depth=1
	s_andn2_saveexec_b64 s[30:31], s[8:9]
; %bb.255:                              ;   in Loop: Header=BB352_13 Depth=1
	v_mov_b32_e32 v1, 0
	v_or_b32_e32 v0, 0x10000, v7
	v_cmp_eq_u32_sdwa s[8:9], v7, v1 src0_sel:WORD_0 src1_sel:DWORD
	v_cndmask_b32_e64 v16, v0, v7, s[8:9]
; %bb.256:                              ;   in Loop: Header=BB352_13 Depth=1
	s_or_b64 exec, exec, s[30:31]
	flat_load_ushort v0, v[54:55] offset:1536
	v_mov_b32_e32 v1, 0
	v_mov_b32_e32 v7, 0
	s_waitcnt vmcnt(0) lgkmcnt(0)
	v_and_b32_e32 v40, 0xffff, v0
	v_cmp_ne_u16_sdwa s[8:9], v0, v1 src0_sel:BYTE_0 src1_sel:DWORD
	s_and_saveexec_b64 s[30:31], s[8:9]
	s_cbranch_execz .LBB352_262
; %bb.257:                              ;   in Loop: Header=BB352_13 Depth=1
	v_cmp_ne_u16_sdwa s[8:9], v40, s39 src0_sel:BYTE_0 src1_sel:DWORD
	v_bfrev_b32_e32 v7, 1
	s_and_saveexec_b64 s[34:35], s[8:9]
	s_cbranch_execz .LBB352_261
; %bb.258:                              ;   in Loop: Header=BB352_13 Depth=1
	v_and_b32_e32 v22, 0x7f, v40
	v_cmp_ne_u32_e64 s[8:9], s40, v22
	v_mov_b32_e32 v7, 0x7f800001
	s_and_saveexec_b64 s[36:37], s[8:9]
	s_cbranch_execz .LBB352_260
; %bb.259:                              ;   in Loop: Header=BB352_13 Depth=1
	v_and_b32_e32 v0, 7, v40
	v_ffbh_u32_e32 v7, v0
	v_min_u32_e32 v7, 32, v7
	v_subrev_u32_e32 v24, 28, v7
	v_lshlrev_b64 v[24:25], v24, v[40:41]
	v_lshrrev_b32_e32 v1, 3, v22
	v_sub_u32_e32 v7, 29, v7
	v_and_b32_e32 v24, 7, v24
	v_cmp_gt_u32_e64 s[8:9], 8, v22
	v_cndmask_b32_e64 v1, v1, v7, s[8:9]
	v_cndmask_b32_e64 v0, v0, v24, s[8:9]
	v_lshlrev_b32_e32 v7, 24, v40
	v_bfrev_b32_e32 v2, 60
	v_lshlrev_b32_e32 v0, 20, v0
	v_and_b32_e32 v7, 0x80000000, v7
	v_lshl_add_u32 v1, v1, 23, v2
	v_or3_b32 v7, v7, v1, v0
.LBB352_260:                            ;   in Loop: Header=BB352_13 Depth=1
	s_or_b64 exec, exec, s[36:37]
.LBB352_261:                            ;   in Loop: Header=BB352_13 Depth=1
	s_or_b64 exec, exec, s[34:35]
.LBB352_262:                            ;   in Loop: Header=BB352_13 Depth=1
	s_or_b64 exec, exec, s[30:31]
	v_mul_f32_e32 v22, v10, v7
	v_and_b32_e32 v0, 0x7f800000, v22
	v_cmp_ne_u32_e64 s[8:9], s41, v0
                                        ; implicit-def: $vgpr7
	s_and_saveexec_b64 s[30:31], s[8:9]
	s_xor_b64 s[8:9], exec, s[30:31]
; %bb.263:                              ;   in Loop: Header=BB352_13 Depth=1
	v_bfe_u32 v0, v22, 16, 1
	v_add3_u32 v7, v22, v0, s42
                                        ; implicit-def: $vgpr22
; %bb.264:                              ;   in Loop: Header=BB352_13 Depth=1
	s_andn2_saveexec_b64 s[30:31], s[8:9]
; %bb.265:                              ;   in Loop: Header=BB352_13 Depth=1
	v_mov_b32_e32 v1, 0
	v_or_b32_e32 v0, 0x10000, v22
	v_cmp_eq_u32_sdwa s[8:9], v22, v1 src0_sel:WORD_0 src1_sel:DWORD
	v_cndmask_b32_e64 v7, v0, v22, s[8:9]
; %bb.266:                              ;   in Loop: Header=BB352_13 Depth=1
	s_or_b64 exec, exec, s[30:31]
	v_lshrrev_b16_e32 v42, 8, v40
	v_cmp_ne_u16_e64 s[8:9], 0, v42
	v_mov_b32_e32 v22, 0
	s_and_saveexec_b64 s[30:31], s[8:9]
	s_cbranch_execz .LBB352_272
; %bb.267:                              ;   in Loop: Header=BB352_13 Depth=1
	v_cmp_ne_u16_e64 s[8:9], s39, v42
	v_bfrev_b32_e32 v22, 1
	s_and_saveexec_b64 s[34:35], s[8:9]
	s_cbranch_execz .LBB352_271
; %bb.268:                              ;   in Loop: Header=BB352_13 Depth=1
	v_and_b32_e32 v24, 0x7f, v42
	v_cmp_ne_u32_e64 s[8:9], s40, v24
	v_mov_b32_e32 v22, 0x7f800001
	s_and_saveexec_b64 s[36:37], s[8:9]
	s_cbranch_execz .LBB352_270
; %bb.269:                              ;   in Loop: Header=BB352_13 Depth=1
	v_and_b32_e32 v22, 7, v42
	v_ffbh_u32_e32 v0, v22
	v_min_u32_e32 v47, 32, v0
	v_subrev_u32_e32 v0, 28, v47
	v_lshlrev_b64 v[0:1], v0, v[42:43]
	v_lshrrev_b32_e32 v25, 3, v24
	v_sub_u32_e32 v1, 29, v47
	v_and_b32_e32 v0, 7, v0
	v_cmp_gt_u32_e64 s[8:9], 8, v24
	v_cndmask_b32_e64 v1, v25, v1, s[8:9]
	v_cndmask_b32_e64 v0, v22, v0, s[8:9]
	v_lshlrev_b32_e32 v22, 16, v40
	v_bfrev_b32_e32 v2, 60
	v_lshlrev_b32_e32 v0, 20, v0
	v_and_b32_e32 v22, 0x80000000, v22
	v_lshl_add_u32 v1, v1, 23, v2
	v_or3_b32 v22, v22, v1, v0
.LBB352_270:                            ;   in Loop: Header=BB352_13 Depth=1
	s_or_b64 exec, exec, s[36:37]
.LBB352_271:                            ;   in Loop: Header=BB352_13 Depth=1
	s_or_b64 exec, exec, s[34:35]
.LBB352_272:                            ;   in Loop: Header=BB352_13 Depth=1
	s_or_b64 exec, exec, s[30:31]
	v_mul_f32_e32 v24, v10, v22
	v_and_b32_e32 v0, 0x7f800000, v24
	v_cmp_ne_u32_e64 s[8:9], s41, v0
                                        ; implicit-def: $vgpr22
	s_and_saveexec_b64 s[30:31], s[8:9]
	s_xor_b64 s[8:9], exec, s[30:31]
; %bb.273:                              ;   in Loop: Header=BB352_13 Depth=1
	v_bfe_u32 v0, v24, 16, 1
	v_add3_u32 v22, v24, v0, s42
                                        ; implicit-def: $vgpr24
; %bb.274:                              ;   in Loop: Header=BB352_13 Depth=1
	s_andn2_saveexec_b64 s[30:31], s[8:9]
; %bb.275:                              ;   in Loop: Header=BB352_13 Depth=1
	v_mov_b32_e32 v1, 0
	v_or_b32_e32 v0, 0x10000, v24
	v_cmp_eq_u32_sdwa s[8:9], v24, v1 src0_sel:WORD_0 src1_sel:DWORD
	v_cndmask_b32_e64 v22, v0, v24, s[8:9]
; %bb.276:                              ;   in Loop: Header=BB352_13 Depth=1
	s_or_b64 exec, exec, s[30:31]
	flat_load_ushort v0, v[54:55] offset:1544
	v_mov_b32_e32 v1, 0
	v_mov_b32_e32 v25, 0
	s_waitcnt vmcnt(0) lgkmcnt(0)
	v_and_b32_e32 v40, 0xffff, v0
	v_cmp_ne_u16_sdwa s[8:9], v0, v1 src0_sel:BYTE_0 src1_sel:DWORD
	s_and_saveexec_b64 s[30:31], s[8:9]
	s_cbranch_execz .LBB352_282
; %bb.277:                              ;   in Loop: Header=BB352_13 Depth=1
	v_cmp_ne_u16_sdwa s[8:9], v40, s39 src0_sel:BYTE_0 src1_sel:DWORD
	v_bfrev_b32_e32 v25, 1
	s_and_saveexec_b64 s[34:35], s[8:9]
	s_cbranch_execz .LBB352_281
; %bb.278:                              ;   in Loop: Header=BB352_13 Depth=1
	v_and_b32_e32 v24, 0x7f, v40
	v_cmp_ne_u32_e64 s[8:9], s40, v24
	v_mov_b32_e32 v25, 0x7f800001
	s_and_saveexec_b64 s[36:37], s[8:9]
	s_cbranch_execz .LBB352_280
; %bb.279:                              ;   in Loop: Header=BB352_13 Depth=1
	v_and_b32_e32 v25, 7, v40
	v_ffbh_u32_e32 v0, v25
	v_min_u32_e32 v47, 32, v0
	v_subrev_u32_e32 v0, 28, v47
	v_lshlrev_b64 v[0:1], v0, v[40:41]
	v_lshrrev_b32_e32 v42, 3, v24
	v_sub_u32_e32 v1, 29, v47
	v_and_b32_e32 v0, 7, v0
	v_cmp_gt_u32_e64 s[8:9], 8, v24
	v_cndmask_b32_e64 v1, v42, v1, s[8:9]
	v_cndmask_b32_e64 v0, v25, v0, s[8:9]
	v_lshlrev_b32_e32 v24, 24, v40
	v_bfrev_b32_e32 v2, 60
	v_lshlrev_b32_e32 v0, 20, v0
	v_and_b32_e32 v24, 0x80000000, v24
	v_lshl_add_u32 v1, v1, 23, v2
	v_or3_b32 v25, v24, v1, v0
.LBB352_280:                            ;   in Loop: Header=BB352_13 Depth=1
	s_or_b64 exec, exec, s[36:37]
.LBB352_281:                            ;   in Loop: Header=BB352_13 Depth=1
	s_or_b64 exec, exec, s[34:35]
.LBB352_282:                            ;   in Loop: Header=BB352_13 Depth=1
	s_or_b64 exec, exec, s[30:31]
	v_mul_f32_e32 v24, v10, v25
	v_and_b32_e32 v0, 0x7f800000, v24
	v_cmp_ne_u32_e64 s[8:9], s41, v0
                                        ; implicit-def: $vgpr25
	s_and_saveexec_b64 s[30:31], s[8:9]
	s_xor_b64 s[8:9], exec, s[30:31]
; %bb.283:                              ;   in Loop: Header=BB352_13 Depth=1
	v_bfe_u32 v0, v24, 16, 1
	v_add3_u32 v25, v24, v0, s42
                                        ; implicit-def: $vgpr24
; %bb.284:                              ;   in Loop: Header=BB352_13 Depth=1
	s_andn2_saveexec_b64 s[30:31], s[8:9]
; %bb.285:                              ;   in Loop: Header=BB352_13 Depth=1
	v_mov_b32_e32 v1, 0
	v_or_b32_e32 v0, 0x10000, v24
	v_cmp_eq_u32_sdwa s[8:9], v24, v1 src0_sel:WORD_0 src1_sel:DWORD
	v_cndmask_b32_e64 v25, v0, v24, s[8:9]
; %bb.286:                              ;   in Loop: Header=BB352_13 Depth=1
	s_or_b64 exec, exec, s[30:31]
	v_lshrrev_b16_e32 v42, 8, v40
	v_cmp_ne_u16_e64 s[8:9], 0, v42
	v_mov_b32_e32 v24, 0
	s_and_saveexec_b64 s[30:31], s[8:9]
	s_cbranch_execz .LBB352_292
; %bb.287:                              ;   in Loop: Header=BB352_13 Depth=1
	v_cmp_ne_u16_e64 s[8:9], s39, v42
	v_bfrev_b32_e32 v24, 1
	s_and_saveexec_b64 s[34:35], s[8:9]
	s_cbranch_execz .LBB352_291
; %bb.288:                              ;   in Loop: Header=BB352_13 Depth=1
	v_and_b32_e32 v47, 0x7f, v42
	v_cmp_ne_u32_e64 s[8:9], s40, v47
	v_mov_b32_e32 v24, 0x7f800001
	s_and_saveexec_b64 s[36:37], s[8:9]
	s_cbranch_execz .LBB352_290
; %bb.289:                              ;   in Loop: Header=BB352_13 Depth=1
	v_and_b32_e32 v24, 7, v42
	v_ffbh_u32_e32 v0, v24
	v_min_u32_e32 v2, 32, v0
	v_subrev_u32_e32 v0, 28, v2
	v_lshlrev_b64 v[0:1], v0, v[42:43]
	v_lshrrev_b32_e32 v3, 3, v47
	v_sub_u32_e32 v1, 29, v2
	v_and_b32_e32 v0, 7, v0
	v_cmp_gt_u32_e64 s[8:9], 8, v47
	v_cndmask_b32_e64 v1, v3, v1, s[8:9]
	v_cndmask_b32_e64 v0, v24, v0, s[8:9]
	v_lshlrev_b32_e32 v2, 16, v40
	v_bfrev_b32_e32 v3, 60
	v_lshlrev_b32_e32 v0, 20, v0
	v_and_b32_e32 v2, 0x80000000, v2
	v_lshl_add_u32 v1, v1, 23, v3
	v_or3_b32 v24, v2, v1, v0
.LBB352_290:                            ;   in Loop: Header=BB352_13 Depth=1
	s_or_b64 exec, exec, s[36:37]
.LBB352_291:                            ;   in Loop: Header=BB352_13 Depth=1
	s_or_b64 exec, exec, s[34:35]
.LBB352_292:                            ;   in Loop: Header=BB352_13 Depth=1
	s_or_b64 exec, exec, s[30:31]
	v_mul_f32_e32 v24, v10, v24
	v_and_b32_e32 v0, 0x7f800000, v24
	v_cmp_ne_u32_e64 s[8:9], s41, v0
                                        ; implicit-def: $vgpr42
	s_and_saveexec_b64 s[30:31], s[8:9]
	s_xor_b64 s[8:9], exec, s[30:31]
; %bb.293:                              ;   in Loop: Header=BB352_13 Depth=1
	v_bfe_u32 v0, v24, 16, 1
	v_add3_u32 v42, v24, v0, s42
                                        ; implicit-def: $vgpr24
; %bb.294:                              ;   in Loop: Header=BB352_13 Depth=1
	s_andn2_saveexec_b64 s[30:31], s[8:9]
; %bb.295:                              ;   in Loop: Header=BB352_13 Depth=1
	v_mov_b32_e32 v1, 0
	v_or_b32_e32 v0, 0x10000, v24
	v_cmp_eq_u32_sdwa s[8:9], v24, v1 src0_sel:WORD_0 src1_sel:DWORD
	v_cndmask_b32_e64 v42, v0, v24, s[8:9]
; %bb.296:                              ;   in Loop: Header=BB352_13 Depth=1
	s_or_b64 exec, exec, s[30:31]
	flat_load_ushort v0, v[54:55] offset:1792
	v_mov_b32_e32 v1, 0
	v_mov_b32_e32 v24, 0
	s_waitcnt vmcnt(0) lgkmcnt(0)
	v_and_b32_e32 v54, 0xffff, v0
	v_cmp_ne_u16_sdwa s[8:9], v0, v1 src0_sel:BYTE_0 src1_sel:DWORD
	s_and_saveexec_b64 s[30:31], s[8:9]
	s_cbranch_execz .LBB352_302
; %bb.297:                              ;   in Loop: Header=BB352_13 Depth=1
	v_cmp_ne_u16_sdwa s[8:9], v54, s39 src0_sel:BYTE_0 src1_sel:DWORD
	v_bfrev_b32_e32 v24, 1
	s_and_saveexec_b64 s[34:35], s[8:9]
	s_cbranch_execz .LBB352_301
; %bb.298:                              ;   in Loop: Header=BB352_13 Depth=1
	v_and_b32_e32 v55, 0x7f, v54
	v_cmp_ne_u32_e64 s[8:9], s40, v55
	v_mov_b32_e32 v24, 0x7f800001
	s_and_saveexec_b64 s[36:37], s[8:9]
	s_cbranch_execz .LBB352_300
; %bb.299:                              ;   in Loop: Header=BB352_13 Depth=1
	v_and_b32_e32 v2, 7, v54
	v_ffbh_u32_e32 v0, v2
	v_min_u32_e32 v24, 32, v0
	v_subrev_u32_e32 v0, 28, v24
	v_lshlrev_b64 v[0:1], v0, v[54:55]
	v_lshrrev_b32_e32 v3, 3, v55
	v_sub_u32_e32 v1, 29, v24
	v_and_b32_e32 v0, 7, v0
	v_cmp_gt_u32_e64 s[8:9], 8, v55
	v_cndmask_b32_e64 v1, v3, v1, s[8:9]
	v_cndmask_b32_e64 v0, v2, v0, s[8:9]
	v_lshlrev_b32_e32 v2, 24, v54
	v_bfrev_b32_e32 v3, 60
	v_lshlrev_b32_e32 v0, 20, v0
	v_and_b32_e32 v2, 0x80000000, v2
	v_lshl_add_u32 v1, v1, 23, v3
	v_or3_b32 v24, v2, v1, v0
.LBB352_300:                            ;   in Loop: Header=BB352_13 Depth=1
	s_or_b64 exec, exec, s[36:37]
.LBB352_301:                            ;   in Loop: Header=BB352_13 Depth=1
	s_or_b64 exec, exec, s[34:35]
.LBB352_302:                            ;   in Loop: Header=BB352_13 Depth=1
	s_or_b64 exec, exec, s[30:31]
	v_mul_f32_e32 v24, v10, v24
	v_and_b32_e32 v0, 0x7f800000, v24
	v_cmp_ne_u32_e64 s[8:9], s41, v0
                                        ; implicit-def: $vgpr55
	s_and_saveexec_b64 s[30:31], s[8:9]
	s_xor_b64 s[8:9], exec, s[30:31]
; %bb.303:                              ;   in Loop: Header=BB352_13 Depth=1
	v_bfe_u32 v0, v24, 16, 1
	v_add3_u32 v55, v24, v0, s42
                                        ; implicit-def: $vgpr24
; %bb.304:                              ;   in Loop: Header=BB352_13 Depth=1
	s_andn2_saveexec_b64 s[30:31], s[8:9]
; %bb.305:                              ;   in Loop: Header=BB352_13 Depth=1
	v_mov_b32_e32 v1, 0
	v_or_b32_e32 v0, 0x10000, v24
	v_cmp_eq_u32_sdwa s[8:9], v24, v1 src0_sel:WORD_0 src1_sel:DWORD
	v_cndmask_b32_e64 v55, v0, v24, s[8:9]
; %bb.306:                              ;   in Loop: Header=BB352_13 Depth=1
	s_or_b64 exec, exec, s[30:31]
	v_lshrrev_b16_e32 v40, 8, v54
	v_cmp_ne_u16_e64 s[8:9], 0, v40
	v_mov_b32_e32 v24, 0
	s_and_saveexec_b64 s[30:31], s[8:9]
	s_cbranch_execz .LBB352_312
; %bb.307:                              ;   in Loop: Header=BB352_13 Depth=1
	v_cmp_ne_u16_e64 s[8:9], s39, v40
	v_bfrev_b32_e32 v24, 1
	s_and_saveexec_b64 s[34:35], s[8:9]
	s_cbranch_execz .LBB352_311
; %bb.308:                              ;   in Loop: Header=BB352_13 Depth=1
	v_and_b32_e32 v47, 0x7f, v40
	v_cmp_ne_u32_e64 s[8:9], s40, v47
	v_mov_b32_e32 v24, 0x7f800001
	s_and_saveexec_b64 s[36:37], s[8:9]
	s_cbranch_execz .LBB352_310
; %bb.309:                              ;   in Loop: Header=BB352_13 Depth=1
	v_and_b32_e32 v2, 7, v40
	v_ffbh_u32_e32 v0, v2
	v_min_u32_e32 v24, 32, v0
	v_subrev_u32_e32 v0, 28, v24
	v_lshlrev_b64 v[0:1], v0, v[40:41]
	v_lshrrev_b32_e32 v3, 3, v47
	v_sub_u32_e32 v1, 29, v24
	v_and_b32_e32 v0, 7, v0
	v_cmp_gt_u32_e64 s[8:9], 8, v47
	v_cndmask_b32_e64 v1, v3, v1, s[8:9]
	v_cndmask_b32_e64 v0, v2, v0, s[8:9]
	v_lshlrev_b32_e32 v2, 16, v54
	v_bfrev_b32_e32 v3, 60
	v_lshlrev_b32_e32 v0, 20, v0
	v_and_b32_e32 v2, 0x80000000, v2
	v_lshl_add_u32 v1, v1, 23, v3
	v_or3_b32 v24, v2, v1, v0
.LBB352_310:                            ;   in Loop: Header=BB352_13 Depth=1
	s_or_b64 exec, exec, s[36:37]
.LBB352_311:                            ;   in Loop: Header=BB352_13 Depth=1
	s_or_b64 exec, exec, s[34:35]
.LBB352_312:                            ;   in Loop: Header=BB352_13 Depth=1
	s_or_b64 exec, exec, s[30:31]
	v_mul_f32_e32 v10, v10, v24
	v_and_b32_e32 v0, 0x7f800000, v10
	v_cmp_ne_u32_e64 s[8:9], s41, v0
                                        ; implicit-def: $vgpr40
	s_and_saveexec_b64 s[30:31], s[8:9]
	s_xor_b64 s[8:9], exec, s[30:31]
; %bb.313:                              ;   in Loop: Header=BB352_13 Depth=1
	v_bfe_u32 v0, v10, 16, 1
	v_add3_u32 v40, v10, v0, s42
                                        ; implicit-def: $vgpr10
; %bb.314:                              ;   in Loop: Header=BB352_13 Depth=1
	s_andn2_saveexec_b64 s[30:31], s[8:9]
; %bb.315:                              ;   in Loop: Header=BB352_13 Depth=1
	v_mov_b32_e32 v1, 0
	v_or_b32_e32 v0, 0x10000, v10
	v_cmp_eq_u32_sdwa s[8:9], v10, v1 src0_sel:WORD_0 src1_sel:DWORD
	v_cndmask_b32_e64 v40, v0, v10, s[8:9]
; %bb.316:                              ;   in Loop: Header=BB352_13 Depth=1
	s_or_b64 exec, exec, s[30:31]
	v_and_b32_e32 v0, 0xffff0000, v55
	v_accvgpr_write_b32 a48, v0
	v_and_b32_e32 v0, 0xffff0000, v42
	v_and_b32_e32 v42, 0xffff0000, v36
	v_lshlrev_b32_e32 v47, 16, v53
	v_accvgpr_write_b32 a49, v0
	v_and_b32_e32 v0, 0xffff0000, v25
	v_and_b32_e32 v25, 0xffff0000, v7
	;; [unrolled: 1-line block ×11, first 2 shown]
	v_lshlrev_b32_e32 v46, 16, v52
	v_mul_f32_e32 v37, v47, v42
	v_and_b32_e32 v53, 0xffff0000, v53
	v_and_b32_e32 v29, 0xffff0000, v44
	;; [unrolled: 1-line block ×4, first 2 shown]
	v_lshlrev_b32_e32 v59, 16, v50
	v_fmac_f32_e32 v37, v46, v45
	v_and_b32_e32 v52, 0xffff0000, v52
	v_mul_f32_e32 v53, v53, v55
	v_and_b32_e32 v10, 0xffff0000, v8
	v_and_b32_e32 v8, 0xffff0000, v27
	v_and_b32_e32 v27, 0xffff0000, v61
	v_lshlrev_b32_e32 v61, 16, v51
	v_and_b32_e32 v50, 0xffff0000, v50
	v_fmac_f32_e32 v53, v52, v44
	v_fmac_f32_e32 v37, v59, v31
	v_and_b32_e32 v14, 0xffff0000, v14
	v_and_b32_e32 v15, 0xffff0000, v15
	v_lshlrev_b32_e32 v57, 16, v48
	v_and_b32_e32 v51, 0xffff0000, v51
	v_fmac_f32_e32 v53, v50, v30
	v_fmac_f32_e32 v37, v61, v27
	v_and_b32_e32 v6, 0xffff0000, v6
	v_and_b32_e32 v12, 0xffff0000, v12
	;; [unrolled: 6-line block ×4, first 2 shown]
	v_lshlrev_b32_e32 v58, 16, v39
	v_and_b32_e32 v38, 0xffff0000, v38
	v_fmac_f32_e32 v53, v49, v26
	v_fmac_f32_e32 v37, v11, v24
	v_lshlrev_b32_e32 v56, 16, v32
	v_and_b32_e32 v39, 0xffff0000, v39
	v_fmac_f32_e32 v53, v38, v62
	v_fmac_f32_e32 v37, v58, v3
	;; [unrolled: 4-line block ×3, first 2 shown]
	v_accvgpr_write_b32 a50, v0
	v_and_b32_e32 v0, 0xffff0000, v16
	v_lshlrev_b32_e32 v1, 16, v34
	v_and_b32_e32 v47, 0xffff0000, v33
	v_fmac_f32_e32 v53, v46, v7
	v_fmac_f32_e32 v37, v28, v22
	v_accvgpr_write_b32 a51, v0
	v_lshlrev_b32_e32 v2, 16, v35
	v_and_b32_e32 v41, 0xffff0000, v34
	v_fmac_f32_e32 v53, v47, v8
	v_fmac_f32_e32 v37, v1, v9
	v_lshlrev_b32_e32 v16, 16, v18
	v_accvgpr_read_b32 v5, a45
	v_and_b32_e32 v0, 0xffff0000, v35
	v_fmac_f32_e32 v53, v41, v10
	v_fmac_f32_e32 v37, v2, v13
	v_accvgpr_read_b32 v1, a51
	v_lshlrev_b32_e32 v36, 16, v19
	v_and_b32_e32 v45, 64, v5
	v_and_b32_e32 v18, 0xffff0000, v18
	v_fmac_f32_e32 v53, v0, v1
	v_fmac_f32_e32 v37, v16, v25
	v_accvgpr_read_b32 v0, a50
	v_add_u32_e32 v45, 64, v45
	v_and_b32_e32 v23, 0xffff0000, v19
	v_xor_b32_e32 v4, 2, v5
	v_fmac_f32_e32 v53, v18, v54
	v_fmac_f32_e32 v37, v36, v0
	v_accvgpr_read_b32 v0, a49
	v_lshlrev_b32_e32 v42, 16, v60
	v_cmp_lt_i32_e64 s[8:9], v4, v45
	v_and_b32_e32 v40, 0xffff0000, v40
	v_and_b32_e32 v60, 0xffff0000, v60
	v_fmac_f32_e32 v53, v23, v0
	v_accvgpr_read_b32 v0, a48
	v_cndmask_b32_e64 v4, v5, v4, s[8:9]
	v_fmac_f32_e32 v37, v42, v0
	v_fmac_f32_e32 v53, v60, v40
	v_lshlrev_b32_e32 v4, 2, v4
	v_add_f32_e32 v0, v37, v53
	ds_bpermute_b32 v1, v4, v0
	v_xor_b32_e32 v2, 1, v5
	v_cmp_lt_i32_e64 s[8:9], v2, v45
	v_cndmask_b32_e64 v2, v5, v2, s[8:9]
	v_lshlrev_b32_e32 v2, 2, v2
	s_waitcnt lgkmcnt(0)
	v_add_f32_e32 v0, v0, v1
	ds_bpermute_b32 v1, v2, v0
	s_and_saveexec_b64 s[30:31], vcc
	s_cbranch_execz .LBB352_11
; %bb.317:                              ;   in Loop: Header=BB352_13 Depth=1
	v_accvgpr_read_b32 v2, a44
	v_accvgpr_read_b32 v4, a46
	;; [unrolled: 1-line block ×3, first 2 shown]
	v_add_u32_e32 v2, v2, v4
	v_add_u32_e32 v3, v3, v4
	buffer_load_dword v4, off, s[0:3], s32 offset:152 ; 4-byte Folded Reload
	v_cvt_f32_i32_e32 v2, v2
	s_waitcnt lgkmcnt(0)
	v_add_f32_e32 v0, v0, v1
	v_accvgpr_read_b32 v1, a34
	s_load_dword s8, s[26:27], 0x0
	s_waitcnt vmcnt(0)
	v_mul_f32_e32 v2, v4, v2
	v_cndmask_b32_e64 v2, 0, v2, s[6:7]
	v_fmac_f32_e32 v2, v0, v1
	buffer_load_dword v1, off, s[0:3], s32 offset:148 ; 4-byte Folded Reload
	v_accvgpr_read_b32 v4, a43
	v_accvgpr_read_b32 v0, a5
	s_waitcnt lgkmcnt(0)
	v_add_u32_e32 v4, s8, v4
	v_cmp_lt_i32_e64 s[8:9], v3, v0
	v_cndmask_b32_e64 v0, 0, v2, s[8:9]
	ds_write_b32 v4, v0
	s_waitcnt vmcnt(0)
	v_max_f32_e32 v0, v1, v1
	v_max_f32_e32 v0, v0, v2
	v_cndmask_b32_e64 v1, v1, v0, s[8:9]
	buffer_store_dword v1, off, s[0:3], s32 offset:148 ; 4-byte Folded Spill
	s_branch .LBB352_11
.LBB352_318:
	s_or_b64 exec, exec, s[28:29]
	buffer_load_dword v13, off, s[0:3], s32 offset:148 ; 4-byte Folded Reload
	v_accvgpr_read_b32 v15, a16
	v_accvgpr_read_b32 v14, a17
	;; [unrolled: 1-line block ×14, first 2 shown]
.LBB352_319:
	s_or_b64 exec, exec, s[24:25]
	v_mbcnt_hi_u32_b32 v3, -1, v4
	v_and_b32_e32 v0, 64, v3
	v_add_u32_e32 v4, 64, v0
	v_xor_b32_e32 v0, 32, v3
	v_cmp_lt_i32_e32 vcc, v0, v4
	v_cndmask_b32_e32 v0, v3, v0, vcc
	v_lshlrev_b32_e32 v5, 2, v0
	s_waitcnt vmcnt(0)
	ds_bpermute_b32 v0, v5, v13
	v_xor_b32_e32 v2, 16, v3
	v_max_f32_e32 v1, v13, v13
	v_cmp_lt_i32_e32 vcc, v2, v4
	v_accvgpr_read_b32 v18, a6
	s_waitcnt lgkmcnt(0)
	v_max_f32_e32 v0, v0, v0
	v_max_f32_e32 v0, v1, v0
	v_cndmask_b32_e32 v1, v3, v2, vcc
	v_lshlrev_b32_e32 v6, 2, v1
	ds_bpermute_b32 v1, v6, v0
	v_xor_b32_e32 v2, 8, v3
	v_cmp_lt_i32_e32 vcc, v2, v4
	s_lshr_b32 s28, s38, 16
	v_lshlrev_b32_e32 v7, 2, v31
	s_waitcnt lgkmcnt(0)
	v_max_f32_e32 v1, v1, v1
	v_max_f32_e32 v0, v0, v1
	v_cndmask_b32_e32 v1, v3, v2, vcc
	v_lshlrev_b32_e32 v9, 2, v1
	ds_bpermute_b32 v1, v9, v0
	v_xor_b32_e32 v2, 4, v3
	v_cmp_lt_i32_e32 vcc, v2, v4
	s_waitcnt lgkmcnt(0)
	v_max_f32_e32 v1, v1, v1
	v_max_f32_e32 v1, v0, v1
	v_cndmask_b32_e32 v0, v3, v2, vcc
	v_lshlrev_b32_e32 v11, 2, v0
	ds_bpermute_b32 v2, v11, v1
	v_and_b32_e32 v0, 63, v18
	v_cmp_eq_u32_e32 vcc, 0, v0
	s_and_saveexec_b64 s[6:7], vcc
	s_cbranch_execz .LBB352_321
; %bb.320:
	s_waitcnt lgkmcnt(0)
	v_max_f32_e32 v2, v2, v2
	v_max_f32_e32 v1, v1, v1
	;; [unrolled: 1-line block ×3, first 2 shown]
	ds_write_b32 v7, v1 offset:240
.LBB352_321:
	s_or_b64 exec, exec, s[6:7]
	v_cmp_gt_u32_e64 s[6:7], 2, v0
	v_mov_b32_e32 v1, 0xff7fffff
	v_lshlrev_b32_e32 v8, 2, v0
	s_waitcnt lgkmcnt(0)
	s_barrier
	s_and_saveexec_b64 s[8:9], s[6:7]
	s_cbranch_execz .LBB352_323
; %bb.322:
	ds_read_b32 v1, v8 offset:240
.LBB352_323:
	s_or_b64 exec, exec, s[8:9]
	v_xor_b32_e32 v2, 1, v3
	v_cmp_lt_i32_e64 s[8:9], v2, v4
	v_cndmask_b32_e64 v2, v3, v2, s[8:9]
	v_lshlrev_b32_e32 v41, 2, v2
	s_waitcnt lgkmcnt(0)
	ds_bpermute_b32 v2, v41, v1
	v_max_f32_e32 v1, v1, v1
	v_accvgpr_read_b32 v10, a11
	v_subrev_u32_e32 v10, s19, v10
	v_lshl_add_u32 v10, v10, 4, s23
	s_waitcnt lgkmcnt(0)
	v_max_f32_e32 v2, v2, v2
	v_max_f32_e32 v1, v1, v2
	v_lshlrev_b32_e32 v2, 2, v3
	v_and_b32_e32 v12, 0x100, v2
	ds_bpermute_b32 v1, v12, v1
	v_accvgpr_read_b32 v2, a5
	v_min_i32_e32 v10, v10, v2
	v_subrev_u32_e32 v2, s23, v10
	v_cmp_lt_i32_e64 s[8:9], v18, v2
	v_mov_b32_e32 v13, 0
	s_and_saveexec_b64 s[24:25], s[8:9]
	s_cbranch_execz .LBB352_327
; %bb.324:
	s_ashr_i32 s21, s20, 31
	s_lshl_b64 s[10:11], s[20:21], 2
	s_getpc_b64 s[26:27]
	s_add_u32 s26, s26, llvm.amdgcn.dynlds.offset.table@rel32@lo+4
	s_addc_u32 s27, s27, llvm.amdgcn.dynlds.offset.table@rel32@hi+12
	s_add_u32 s10, s10, s26
	s_addc_u32 s11, s11, s27
	s_load_dword s10, s[10:11], 0x0
	s_mov_b64 s[26:27], 0
	v_mov_b32_e32 v13, 0
	v_mov_b32_e32 v17, v18
	s_waitcnt lgkmcnt(0)
	v_lshl_add_u32 v19, v18, 2, s10
.LBB352_325:                            ; =>This Inner Loop Header: Depth=1
	ds_read_b32 v16, v19
	v_add_u32_e32 v17, 0x80, v17
	v_cmp_ge_i32_e64 s[10:11], v17, v2
	s_or_b64 s[26:27], s[10:11], s[26:27]
	s_waitcnt lgkmcnt(0)
	v_sub_f32_e32 v16, v16, v1
	v_mul_f32_e32 v16, 0x3fb8aa3b, v16
	v_exp_f32_e32 v16, v16
	ds_write_b32 v19, v16
	v_add_f32_e32 v13, v13, v16
	v_add_u32_e32 v19, 0x200, v19
	s_andn2_b64 exec, exec, s[26:27]
	s_cbranch_execnz .LBB352_325
; %bb.326:
	s_or_b64 exec, exec, s[26:27]
.LBB352_327:
	s_or_b64 exec, exec, s[24:25]
	ds_bpermute_b32 v5, v5, v13
	s_waitcnt lgkmcnt(0)
	v_add_f32_e32 v5, v13, v5
	ds_bpermute_b32 v6, v6, v5
	s_waitcnt lgkmcnt(0)
	v_add_f32_e32 v5, v5, v6
	ds_bpermute_b32 v6, v9, v5
	v_xor_b32_e32 v9, 2, v3
	v_cmp_lt_i32_e64 s[10:11], v9, v4
	v_cndmask_b32_e64 v3, v3, v9, s[10:11]
	v_lshlrev_b32_e32 v3, 2, v3
	s_waitcnt lgkmcnt(0)
	v_add_f32_e32 v5, v5, v6
	ds_bpermute_b32 v6, v11, v5
	s_waitcnt lgkmcnt(0)
	v_add_f32_e32 v4, v5, v6
	ds_bpermute_b32 v3, v3, v4
	;; [unrolled: 3-line block ×3, first 2 shown]
	s_waitcnt lgkmcnt(0)
	v_add_f32_e32 v3, v3, v4
	s_and_saveexec_b64 s[10:11], vcc
	s_cbranch_execz .LBB352_329
; %bb.328:
	ds_write_b32 v7, v3 offset:248
.LBB352_329:
	s_or_b64 exec, exec, s[10:11]
	s_waitcnt lgkmcnt(0)
	s_barrier
	s_and_saveexec_b64 s[10:11], s[6:7]
	s_cbranch_execz .LBB352_331
; %bb.330:
	ds_read_b32 v3, v8 offset:248
.LBB352_331:
	s_or_b64 exec, exec, s[10:11]
	s_waitcnt lgkmcnt(0)
	ds_bpermute_b32 v4, v41, v3
	s_waitcnt lgkmcnt(0)
	v_add_f32_e32 v3, v3, v4
	ds_bpermute_b32 v3, v12, v3
	s_and_saveexec_b64 s[6:7], s[8:9]
	s_cbranch_execz .LBB352_344
; %bb.332:
	s_waitcnt lgkmcnt(0)
	v_add_f32_e32 v4, 0x358637bd, v3
	v_div_scale_f32 v5, s[8:9], v4, v4, 1.0
	v_rcp_f32_e32 v6, v5
	v_div_scale_f32 v7, vcc, 1.0, v4, 1.0
	s_movk_i32 s8, 0x7f
	v_fma_f32 v8, -v5, v6, 1.0
	v_fmac_f32_e32 v6, v8, v6
	v_mul_f32_e32 v8, v7, v6
	v_fma_f32 v9, -v5, v8, v7
	v_fmac_f32_e32 v8, v9, v6
	v_fma_f32 v5, -v5, v8, v7
	v_div_fmas_f32 v5, v5, v6, v8
	v_div_fixup_f32 v8, v5, v4, 1.0
	v_xad_u32 v4, v18, -1, v10
	v_subrev_u32_e32 v5, s23, v4
	v_cmp_lt_u32_e32 vcc, s8, v5
	s_mov_b64 s[10:11], -1
	v_mov_b32_e32 v4, v18
	s_and_saveexec_b64 s[8:9], vcc
	s_cbranch_execz .LBB352_341
; %bb.333:
	v_lshrrev_b32_e32 v4, 7, v5
	v_add_u32_e32 v6, -1, v4
	v_lshrrev_b32_e32 v5, 1, v6
	v_mov_b32_e32 v9, v8
	v_add_u32_e32 v5, 1, v5
	v_cmp_lt_u32_e32 vcc, 13, v6
	v_mov_b32_e32 v10, 0
	s_and_saveexec_b64 s[10:11], vcc
	s_cbranch_execz .LBB352_337
; %bb.334:
	s_ashr_i32 s21, s20, 31
	s_lshl_b64 s[24:25], s[20:21], 2
	s_getpc_b64 s[26:27]
	s_add_u32 s26, s26, llvm.amdgcn.dynlds.offset.table@rel32@lo+4
	s_addc_u32 s27, s27, llvm.amdgcn.dynlds.offset.table@rel32@hi+12
	s_add_u32 s24, s24, s26
	s_addc_u32 s25, s25, s27
	s_load_dword s21, s[24:25], 0x0
	v_and_b32_e32 v6, -8, v5
	s_mov_b32 s19, 0
	s_mov_b64 s[24:25], 0
	s_waitcnt lgkmcnt(0)
	v_lshl_add_u32 v7, v18, 2, s21
.LBB352_335:                            ; =>This Inner Loop Header: Depth=1
	ds_read2st64_b32 v[10:11], v7 offset1:2
	ds_read2st64_b32 v[12:13], v7 offset0:4 offset1:6
	ds_read2st64_b32 v[20:21], v7 offset0:8 offset1:10
	;; [unrolled: 1-line block ×3, first 2 shown]
	v_add_u32_e32 v6, -8, v6
	s_waitcnt lgkmcnt(3)
	v_pk_mul_f32 v[10:11], v[8:9], v[10:11]
	s_waitcnt lgkmcnt(2)
	v_pk_mul_f32 v[12:13], v[8:9], v[12:13]
	ds_write2st64_b32 v7, v10, v11 offset1:2
	ds_write2st64_b32 v7, v12, v13 offset0:4 offset1:6
	ds_read2st64_b32 v[12:13], v7 offset0:16 offset1:18
	s_waitcnt lgkmcnt(4)
	v_pk_mul_f32 v[10:11], v[8:9], v[20:21]
	ds_write2st64_b32 v7, v10, v11 offset0:8 offset1:10
	s_waitcnt lgkmcnt(4)
	v_pk_mul_f32 v[10:11], v[8:9], v[16:17]
	ds_write2st64_b32 v7, v10, v11 offset0:12 offset1:14
	ds_read2st64_b32 v[10:11], v7 offset0:20 offset1:22
	s_waitcnt lgkmcnt(3)
	v_pk_mul_f32 v[12:13], v[8:9], v[12:13]
	ds_read2st64_b32 v[16:17], v7 offset0:24 offset1:26
	ds_write2st64_b32 v7, v12, v13 offset0:16 offset1:18
	ds_read2st64_b32 v[12:13], v7 offset0:28 offset1:30
	s_waitcnt lgkmcnt(3)
	v_pk_mul_f32 v[10:11], v[8:9], v[10:11]
	ds_write2st64_b32 v7, v10, v11 offset0:20 offset1:22
	s_waitcnt lgkmcnt(3)
	v_pk_mul_f32 v[10:11], v[8:9], v[16:17]
	ds_write2st64_b32 v7, v10, v11 offset0:24 offset1:26
	s_waitcnt lgkmcnt(2)
	v_pk_mul_f32 v[10:11], v[8:9], v[12:13]
	s_add_i32 s19, s19, 16
	v_cmp_eq_u32_e32 vcc, 0, v6
	ds_write2st64_b32 v7, v10, v11 offset0:28 offset1:30
	v_add_u32_e32 v7, 0x2000, v7
	s_or_b64 s[24:25], vcc, s[24:25]
	v_mov_b32_e32 v10, s19
	s_andn2_b64 exec, exec, s[24:25]
	s_cbranch_execnz .LBB352_335
; %bb.336:
	s_or_b64 exec, exec, s[24:25]
.LBB352_337:
	s_or_b64 exec, exec, s[10:11]
	v_and_b32_e32 v5, 7, v5
	v_cmp_ne_u32_e32 vcc, 0, v5
	s_and_saveexec_b64 s[10:11], vcc
	s_cbranch_execz .LBB352_340
; %bb.338:
	s_ashr_i32 s21, s20, 31
	s_lshl_b64 s[24:25], s[20:21], 2
	s_getpc_b64 s[26:27]
	s_add_u32 s26, s26, llvm.amdgcn.dynlds.offset.table@rel32@lo+4
	s_addc_u32 s27, s27, llvm.amdgcn.dynlds.offset.table@rel32@hi+12
	s_add_u32 s24, s24, s26
	s_addc_u32 s25, s25, s27
	s_load_dword s19, s[24:25], 0x0
	v_lshlrev_b32_e32 v6, 9, v10
	v_lshlrev_b32_e32 v7, 2, v18
	s_mov_b64 s[24:25], 0
	s_waitcnt lgkmcnt(0)
	v_add3_u32 v6, v6, v7, s19
.LBB352_339:                            ; =>This Inner Loop Header: Depth=1
	ds_read2st64_b32 v[10:11], v6 offset1:2
	v_add_u32_e32 v5, -1, v5
	v_cmp_eq_u32_e32 vcc, 0, v5
	s_or_b64 s[24:25], vcc, s[24:25]
	s_waitcnt lgkmcnt(0)
	v_pk_mul_f32 v[10:11], v[8:9], v[10:11]
	ds_write2st64_b32 v6, v10, v11 offset1:2
	v_add_u32_e32 v6, 0x400, v6
	s_andn2_b64 exec, exec, s[24:25]
	s_cbranch_execnz .LBB352_339
.LBB352_340:
	s_or_b64 exec, exec, s[10:11]
	v_add_u32_e32 v5, 1, v4
	v_and_b32_e32 v6, 0x3fffffe, v5
	v_cmp_ne_u32_e32 vcc, v5, v6
	v_lshl_add_u32 v4, v6, 7, v18
	s_orn2_b64 s[10:11], vcc, exec
.LBB352_341:
	s_or_b64 exec, exec, s[8:9]
	s_and_b64 exec, exec, s[10:11]
	s_cbranch_execz .LBB352_344
; %bb.342:
	s_ashr_i32 s21, s20, 31
	s_lshl_b64 s[8:9], s[20:21], 2
	s_getpc_b64 s[10:11]
	s_add_u32 s10, s10, llvm.amdgcn.dynlds.offset.table@rel32@lo+4
	s_addc_u32 s11, s11, llvm.amdgcn.dynlds.offset.table@rel32@hi+12
	s_add_u32 s8, s8, s10
	s_addc_u32 s9, s9, s11
	s_load_dword s8, s[8:9], 0x0
	s_waitcnt lgkmcnt(0)
	v_lshl_add_u32 v5, v4, 2, s8
	s_mov_b64 s[8:9], 0
.LBB352_343:                            ; =>This Inner Loop Header: Depth=1
	ds_read_b32 v6, v5
	v_add_u32_e32 v4, 0x80, v4
	v_cmp_ge_i32_e32 vcc, v4, v2
	s_or_b64 s[8:9], vcc, s[8:9]
	s_waitcnt lgkmcnt(0)
	v_mul_f32_e32 v6, v8, v6
	ds_write_b32 v5, v6
	v_add_u32_e32 v5, 0x200, v5
	s_andn2_b64 exec, exec, s[8:9]
	s_cbranch_execnz .LBB352_343
.LBB352_344:
	s_or_b64 exec, exec, s[6:7]
	v_cmp_ne_u16_e64 s[6:7], s28, 0
	s_cmp_lg_u64 s[6:7], 0
	s_addc_u32 s19, s13, 0
	s_mul_i32 s6, s19, s22
	v_cmp_eq_u32_e32 vcc, 0, v18
	s_mul_i32 s8, s6, s15
	s_waitcnt lgkmcnt(0)
	s_barrier
	s_and_saveexec_b64 s[6:7], vcc
	s_cbranch_execz .LBB352_346
; %bb.345:
	s_mul_i32 s12, s19, s12
	s_ashr_i32 s9, s8, 31
	s_ashr_i32 s13, s12, 31
	;; [unrolled: 1-line block ×3, first 2 shown]
	s_lshl_b64 s[10:11], s[8:9], 2
	s_lshl_b64 s[12:13], s[12:13], 2
	;; [unrolled: 1-line block ×3, first 2 shown]
	s_add_u32 s9, s22, s12
	s_addc_u32 s12, s23, s13
	s_add_u32 s9, s9, s10
	s_addc_u32 s10, s12, s11
	v_mov_b32_e32 v2, s10
	v_add_co_u32_e32 v4, vcc, s9, v34
	v_addc_co_u32_e32 v5, vcc, v2, v27, vcc
	flat_store_dword v[4:5], v1
	v_mov_b32_e32 v1, s10
	v_add_co_u32_e32 v4, vcc, s9, v26
	v_addc_co_u32_e32 v5, vcc, v1, v25, vcc
	flat_store_dword v[4:5], v3
.LBB352_346:
	s_or_b64 exec, exec, s[6:7]
	s_ashr_i32 s21, s20, 31
	s_lshl_b64 s[6:7], s[20:21], 2
	s_getpc_b64 s[10:11]
	s_add_u32 s10, s10, llvm.amdgcn.dynlds.offset.table@rel32@lo+4
	s_addc_u32 s11, s11, llvm.amdgcn.dynlds.offset.table@rel32@hi+12
	s_add_u32 s10, s6, s10
	s_addc_u32 s11, s7, s11
	v_mov_b32_e32 v13, 0
	v_lshrrev_b32_e32 v6, 1, v0
	v_and_b32_e32 v43, 1, v18
	v_mov_b32_e32 v12, 0
	v_mov_b32_e32 v29, 0
	;; [unrolled: 1-line block ×3, first 2 shown]
	s_and_saveexec_b64 s[12:13], s[4:5]
	s_cbranch_execz .LBB352_842
; %bb.347:
	v_accvgpr_read_b32 v0, a6
	v_lshlrev_b32_e32 v0, 3, v0
	v_and_b32_e32 v36, 8, v0
	v_add_co_u32_e32 v0, vcc, v24, v23
	v_addc_co_u32_e32 v1, vcc, v22, v33, vcc
	v_accvgpr_write_b32 a19, v1
	v_accvgpr_write_b32 a18, v0
	v_accvgpr_read_b32 v0, a29
	v_max_i32_e32 v37, v30, v0
	v_cvt_f32_u32_e32 v0, v37
	v_lshl_or_b32 v2, v6, 4, v36
	v_or_b32_e32 v1, 0x60, v6
	s_movk_i32 s4, 0x78
	v_rcp_iflag_f32_e32 v0, v0
	v_accvgpr_write_b32 a20, v2
	v_cmp_gt_u32_e32 vcc, s4, v1
	v_lshl_or_b32 v2, v1, 4, v36
	v_mul_f32_e32 v0, 0x4f7ffffe, v0
	v_cvt_u32_f32_e32 v0, v0
	v_sub_u32_e32 v1, 0, v37
	s_load_dword s6, s[10:11], 0x0
	v_accvgpr_write_b32 a22, v2
	v_mul_lo_u32 v1, v1, v0
	v_mul_hi_u32 v1, v0, v1
	v_add_u32_e32 v0, v0, v1
	v_accvgpr_write_b32 a24, v0
	v_accvgpr_read_b32 v0, a12
	v_accvgpr_read_b32 v1, a13
	v_lshlrev_b64 v[0:1], 2, v[0:1]
	v_accvgpr_read_b32 v2, a26
	v_accvgpr_read_b32 v3, a27
	v_add_co_u32_e64 v0, s[4:5], v2, v0
	v_addc_co_u32_e64 v1, s[4:5], v3, v1, s[4:5]
	v_add_co_u32_e64 v14, s[4:5], v14, v0
	v_lshlrev_b32_e32 v0, 5, v43
	s_mov_b32 s20, -1
	v_add_u32_e32 v23, -1, v32
	v_lshl_or_b32 v0, v31, 6, v0
	s_mov_b32 s21, 0xffffff
	v_mov_b32_e32 v25, 0
	v_accvgpr_write_b32 a16, v6
	v_addc_co_u32_e64 v15, s[4:5], v15, v1, s[4:5]
	s_waitcnt lgkmcnt(0)
	v_add_u32_e32 v19, s6, v0
	s_mov_b64 s[22:23], 0
	s_mov_b32 s9, 0x7f800000
	s_movk_i32 s15, 0x7fff
	s_movk_i32 s36, 0x80
	;; [unrolled: 1-line block ×3, first 2 shown]
	v_bfrev_b32_e32 v39, 60
	v_mov_b32_e32 v28, 0
	v_mov_b32_e32 v29, 0
	;; [unrolled: 1-line block ×4, first 2 shown]
	v_accvgpr_read_b32 v1, a15
	v_accvgpr_write_b32 a15, v23
	s_branch .LBB352_351
.LBB352_348:                            ;   in Loop: Header=BB352_351 Depth=1
	s_or_b64 exec, exec, s[6:7]
	v_and_b32_e32 v11, 0xffff0000, v27
	v_and_b32_e32 v10, 0xffff0000, v17
	;; [unrolled: 1-line block ×8, first 2 shown]
	v_pk_add_f32 v[0:1], v[26:27], v[16:17]
	v_pk_add_f32 v[10:11], v[32:33], v[10:11]
	v_add_f32_e32 v0, v0, v1
	v_add_f32_e32 v0, v0, v10
	;; [unrolled: 1-line block ×4, first 2 shown]
.LBB352_349:                            ;   in Loop: Header=BB352_351 Depth=1
	s_or_b64 exec, exec, s[26:27]
	v_and_b32_e32 v27, 0xffff0000, v50
	v_and_b32_e32 v26, 0xffff0000, v48
	;; [unrolled: 1-line block ×8, first 2 shown]
	v_pk_add_f32 v[26:27], v[48:49], v[26:27]
	v_pk_add_f32 v[0:1], v[16:17], v[0:1]
	v_add_f32_e32 v2, v26, v27
	v_add_f32_e32 v0, v2, v0
	;; [unrolled: 1-line block ×3, first 2 shown]
	v_and_b32_e32 v27, 0xffff0000, v60
	v_and_b32_e32 v26, 0xffff0000, v7
	;; [unrolled: 1-line block ×4, first 2 shown]
	v_add_f32_e32 v28, v28, v0
	v_and_b32_e32 v1, 0xffff0000, v34
	v_and_b32_e32 v0, 0xffff0000, v62
	;; [unrolled: 1-line block ×4, first 2 shown]
	v_pk_add_f32 v[8:9], v[8:9], v[26:27]
	v_pk_add_f32 v[0:1], v[16:17], v[0:1]
	v_add_f32_e32 v2, v8, v9
	v_add_f32_e32 v0, v2, v0
	;; [unrolled: 1-line block ×3, first 2 shown]
	v_and_b32_e32 v5, 0xffff0000, v21
	v_and_b32_e32 v4, 0xffff0000, v4
	;; [unrolled: 1-line block ×4, first 2 shown]
	v_add_f32_e32 v29, v29, v0
	v_and_b32_e32 v1, 0xffff0000, v30
	v_and_b32_e32 v0, 0xffff0000, v35
	;; [unrolled: 1-line block ×4, first 2 shown]
	v_pk_add_f32 v[2:3], v[6:7], v[4:5]
	v_pk_add_f32 v[0:1], v[8:9], v[0:1]
	v_add_f32_e32 v2, v2, v3
	v_add_f32_e32 v0, v2, v0
	;; [unrolled: 1-line block ×4, first 2 shown]
.LBB352_350:                            ;   in Loop: Header=BB352_351 Depth=1
	s_or_b64 exec, exec, s[24:25]
	v_accvgpr_read_b32 v2, a12
	v_add_co_u32_e64 v14, s[4:5], 8, v14
	v_add_u32_e32 v2, 2, v2
	v_addc_co_u32_e64 v15, s[4:5], 0, v15, s[4:5]
	v_accvgpr_read_b32 v0, a11
	v_accvgpr_read_b32 v1, a13
	v_cmp_ge_i32_e64 s[4:5], v2, v0
	v_add_u32_e32 v1, 32, v1
	v_accvgpr_write_b32 a12, v2
	s_or_b64 s[22:23], s[4:5], s[22:23]
	v_add_u32_e32 v19, 0x80, v19
	s_andn2_b64 exec, exec, s[22:23]
	s_cbranch_execz .LBB352_841
.LBB352_351:                            ; =>This Inner Loop Header: Depth=1
	v_ashrrev_i32_e32 v0, 31, v1
	v_mov_b32_e32 v2, v1
	v_accvgpr_read_b32 v1, a9
	v_xor_b32_e32 v0, v0, v1
	v_sub_u32_e32 v1, 0, v2
	v_accvgpr_write_b32 a13, v2
	v_max_i32_e32 v1, v2, v1
	v_accvgpr_read_b32 v2, a8
	v_mul_hi_u32 v2, v1, v2
	v_accvgpr_read_b32 v4, a7
	v_mul_lo_u32 v3, v2, v4
	v_sub_u32_e32 v1, v1, v3
	v_add_u32_e32 v3, 1, v2
	v_cmp_ge_u32_e64 s[4:5], v1, v4
	v_cndmask_b32_e64 v2, v2, v3, s[4:5]
	v_sub_u32_e32 v3, v1, v4
	v_cndmask_b32_e64 v1, v1, v3, s[4:5]
	v_add_u32_e32 v3, 1, v2
	v_cmp_ge_u32_e64 s[4:5], v1, v4
	v_cndmask_b32_e64 v1, v2, v3, s[4:5]
	v_xor_b32_e32 v1, v1, v0
	v_sub_u32_e32 v0, v1, v0
	v_accvgpr_read_b32 v2, a10
	v_add_u32_e32 v1, v0, v2
	v_sub_u32_e32 v3, 0, v1
	v_ashrrev_i32_e32 v2, 31, v1
	v_max_i32_e32 v1, v1, v3
	v_accvgpr_read_b32 v4, a24
	v_mul_hi_u32 v3, v1, v4
	v_mul_lo_u32 v3, v3, v37
	v_sub_u32_e32 v1, v1, v3
	v_sub_u32_e32 v3, v1, v37
	v_cmp_ge_u32_e64 s[4:5], v1, v37
	v_cndmask_b32_e64 v1, v1, v3, s[4:5]
	v_sub_u32_e32 v3, v1, v37
	v_cmp_ge_u32_e64 s[4:5], v1, v37
	v_cndmask_b32_e64 v1, v1, v3, s[4:5]
	v_xor_b32_e32 v1, v1, v2
	v_sub_u32_e32 v1, v1, v2
	v_cmp_eq_u32_e64 s[4:5], 0, v1
	v_accvgpr_read_b32 v1, a14
	v_cmp_gt_i32_e64 s[6:7], v0, v1
	s_or_b64 s[4:5], s[4:5], s[6:7]
	s_and_saveexec_b64 s[24:25], s[4:5]
	s_cbranch_execz .LBB352_350
; %bb.352:                              ;   in Loop: Header=BB352_351 Depth=1
	flat_load_dword v4, v[14:15]
	ds_read2_b64 v[6:9], v19 offset1:1
	ds_read2_b64 v[0:3], v19 offset0:2 offset1:3
                                        ; implicit-def: $vgpr34
	s_waitcnt lgkmcnt(0)
	v_and_b32_e32 v5, 0x7f800000, v6
	v_cmp_ne_u32_e64 s[4:5], s9, v5
	s_and_saveexec_b64 s[6:7], s[4:5]
	s_xor_b64 s[4:5], exec, s[6:7]
; %bb.353:                              ;   in Loop: Header=BB352_351 Depth=1
	v_bfe_u32 v5, v6, 16, 1
	v_add3_u32 v34, v6, v5, s15
; %bb.354:                              ;   in Loop: Header=BB352_351 Depth=1
	s_andn2_saveexec_b64 s[6:7], s[4:5]
; %bb.355:                              ;   in Loop: Header=BB352_351 Depth=1
	v_or_b32_e32 v5, 0x10000, v6
	v_cmp_eq_u32_sdwa s[4:5], v6, v25 src0_sel:WORD_0 src1_sel:DWORD
	v_cndmask_b32_e64 v34, v5, v6, s[4:5]
; %bb.356:                              ;   in Loop: Header=BB352_351 Depth=1
	s_or_b64 exec, exec, s[6:7]
	v_and_b32_e32 v5, 0x7f800000, v7
	v_cmp_ne_u32_e64 s[4:5], s9, v5
                                        ; implicit-def: $vgpr27
	s_and_saveexec_b64 s[6:7], s[4:5]
	s_xor_b64 s[4:5], exec, s[6:7]
; %bb.357:                              ;   in Loop: Header=BB352_351 Depth=1
	v_bfe_u32 v5, v7, 16, 1
	v_add3_u32 v27, v7, v5, s15
; %bb.358:                              ;   in Loop: Header=BB352_351 Depth=1
	s_andn2_saveexec_b64 s[6:7], s[4:5]
; %bb.359:                              ;   in Loop: Header=BB352_351 Depth=1
	v_or_b32_e32 v5, 0x10000, v7
	v_cmp_eq_u32_sdwa s[4:5], v7, v25 src0_sel:WORD_0 src1_sel:DWORD
	v_cndmask_b32_e64 v27, v5, v7, s[4:5]
; %bb.360:                              ;   in Loop: Header=BB352_351 Depth=1
	s_or_b64 exec, exec, s[6:7]
	v_and_b32_e32 v5, 0x7f800000, v8
	v_cmp_ne_u32_e64 s[4:5], s9, v5
                                        ; implicit-def: $vgpr26
	s_and_saveexec_b64 s[6:7], s[4:5]
	s_xor_b64 s[4:5], exec, s[6:7]
; %bb.361:                              ;   in Loop: Header=BB352_351 Depth=1
	v_bfe_u32 v5, v8, 16, 1
	v_add3_u32 v26, v8, v5, s15
; %bb.362:                              ;   in Loop: Header=BB352_351 Depth=1
	s_andn2_saveexec_b64 s[6:7], s[4:5]
; %bb.363:                              ;   in Loop: Header=BB352_351 Depth=1
	v_or_b32_e32 v5, 0x10000, v8
	v_cmp_eq_u32_sdwa s[4:5], v8, v25 src0_sel:WORD_0 src1_sel:DWORD
	v_cndmask_b32_e64 v26, v5, v8, s[4:5]
; %bb.364:                              ;   in Loop: Header=BB352_351 Depth=1
	s_or_b64 exec, exec, s[6:7]
	v_and_b32_e32 v5, 0x7f800000, v9
	v_cmp_ne_u32_e64 s[4:5], s9, v5
                                        ; implicit-def: $vgpr31
	s_and_saveexec_b64 s[6:7], s[4:5]
	s_xor_b64 s[4:5], exec, s[6:7]
; %bb.365:                              ;   in Loop: Header=BB352_351 Depth=1
	v_bfe_u32 v5, v9, 16, 1
	v_add3_u32 v31, v9, v5, s15
                                        ; implicit-def: $vgpr6_vgpr7_vgpr8_vgpr9
; %bb.366:                              ;   in Loop: Header=BB352_351 Depth=1
	s_andn2_saveexec_b64 s[6:7], s[4:5]
; %bb.367:                              ;   in Loop: Header=BB352_351 Depth=1
	v_or_b32_e32 v5, 0x10000, v9
	v_cmp_eq_u32_sdwa s[4:5], v9, v25 src0_sel:WORD_0 src1_sel:DWORD
	v_cndmask_b32_e64 v31, v5, v9, s[4:5]
; %bb.368:                              ;   in Loop: Header=BB352_351 Depth=1
	s_or_b64 exec, exec, s[6:7]
	v_and_b32_e32 v5, 0x7f800000, v0
	v_cmp_ne_u32_e64 s[4:5], s9, v5
                                        ; implicit-def: $vgpr30
	s_and_saveexec_b64 s[6:7], s[4:5]
	s_xor_b64 s[4:5], exec, s[6:7]
; %bb.369:                              ;   in Loop: Header=BB352_351 Depth=1
	v_bfe_u32 v5, v0, 16, 1
	v_add3_u32 v30, v0, v5, s15
; %bb.370:                              ;   in Loop: Header=BB352_351 Depth=1
	s_andn2_saveexec_b64 s[6:7], s[4:5]
; %bb.371:                              ;   in Loop: Header=BB352_351 Depth=1
	v_or_b32_e32 v5, 0x10000, v0
	v_cmp_eq_u32_sdwa s[4:5], v0, v25 src0_sel:WORD_0 src1_sel:DWORD
	v_cndmask_b32_e64 v30, v5, v0, s[4:5]
; %bb.372:                              ;   in Loop: Header=BB352_351 Depth=1
	s_or_b64 exec, exec, s[6:7]
	v_and_b32_e32 v0, 0x7f800000, v1
	v_cmp_ne_u32_e64 s[4:5], s9, v0
                                        ; implicit-def: $vgpr21
	s_and_saveexec_b64 s[6:7], s[4:5]
	s_xor_b64 s[4:5], exec, s[6:7]
; %bb.373:                              ;   in Loop: Header=BB352_351 Depth=1
	v_bfe_u32 v0, v1, 16, 1
	v_add3_u32 v21, v1, v0, s15
; %bb.374:                              ;   in Loop: Header=BB352_351 Depth=1
	s_andn2_saveexec_b64 s[6:7], s[4:5]
; %bb.375:                              ;   in Loop: Header=BB352_351 Depth=1
	v_or_b32_e32 v0, 0x10000, v1
	v_cmp_eq_u32_sdwa s[4:5], v1, v25 src0_sel:WORD_0 src1_sel:DWORD
	v_cndmask_b32_e64 v21, v0, v1, s[4:5]
; %bb.376:                              ;   in Loop: Header=BB352_351 Depth=1
	s_or_b64 exec, exec, s[6:7]
	v_and_b32_e32 v0, 0x7f800000, v2
	v_cmp_ne_u32_e64 s[4:5], s9, v0
                                        ; implicit-def: $vgpr17
	s_and_saveexec_b64 s[6:7], s[4:5]
	s_xor_b64 s[4:5], exec, s[6:7]
; %bb.377:                              ;   in Loop: Header=BB352_351 Depth=1
	v_bfe_u32 v0, v2, 16, 1
	v_add3_u32 v17, v2, v0, s15
; %bb.378:                              ;   in Loop: Header=BB352_351 Depth=1
	s_andn2_saveexec_b64 s[6:7], s[4:5]
; %bb.379:                              ;   in Loop: Header=BB352_351 Depth=1
	v_or_b32_e32 v0, 0x10000, v2
	v_cmp_eq_u32_sdwa s[4:5], v2, v25 src0_sel:WORD_0 src1_sel:DWORD
	v_cndmask_b32_e64 v17, v0, v2, s[4:5]
; %bb.380:                              ;   in Loop: Header=BB352_351 Depth=1
	s_or_b64 exec, exec, s[6:7]
	v_and_b32_e32 v0, 0x7f800000, v3
	v_cmp_ne_u32_e64 s[4:5], s9, v0
                                        ; implicit-def: $vgpr5
	s_and_saveexec_b64 s[6:7], s[4:5]
	s_xor_b64 s[4:5], exec, s[6:7]
; %bb.381:                              ;   in Loop: Header=BB352_351 Depth=1
	v_bfe_u32 v0, v3, 16, 1
	v_add3_u32 v5, v3, v0, s15
                                        ; implicit-def: $vgpr0_vgpr1_vgpr2_vgpr3
; %bb.382:                              ;   in Loop: Header=BB352_351 Depth=1
	s_andn2_saveexec_b64 s[6:7], s[4:5]
; %bb.383:                              ;   in Loop: Header=BB352_351 Depth=1
	v_or_b32_e32 v0, 0x10000, v3
	v_cmp_eq_u32_sdwa s[4:5], v3, v25 src0_sel:WORD_0 src1_sel:DWORD
	v_cndmask_b32_e64 v5, v0, v3, s[4:5]
; %bb.384:                              ;   in Loop: Header=BB352_351 Depth=1
	s_or_b64 exec, exec, s[6:7]
	v_accvgpr_read_b32 v2, a18
	v_accvgpr_read_b32 v0, a4
	;; [unrolled: 1-line block ×3, first 2 shown]
	s_waitcnt vmcnt(0)
	v_mad_i64_i32 v[0:1], s[4:5], v4, v0, v[2:3]
	v_accvgpr_read_b32 v2, a20
	v_add_co_u32_e64 v2, s[4:5], v0, v2
	v_addc_co_u32_e64 v3, s[4:5], 0, v1, s[4:5]
	v_accvgpr_read_b32 v9, a3
	flat_load_dwordx2 v[6:7], v[2:3]
	v_accvgpr_read_b32 v8, a2
	flat_load_dword v4, v[8:9]
	v_mov_b32_e32 v8, 0
	s_waitcnt vmcnt(0) lgkmcnt(0)
	v_cmp_ne_u16_sdwa s[4:5], v6, v25 src0_sel:BYTE_0 src1_sel:DWORD
	s_and_saveexec_b64 s[6:7], s[4:5]
	s_cbranch_execz .LBB352_390
; %bb.385:                              ;   in Loop: Header=BB352_351 Depth=1
	v_cmp_ne_u16_sdwa s[4:5], v6, s36 src0_sel:BYTE_0 src1_sel:DWORD
	v_bfrev_b32_e32 v8, 1
	s_and_saveexec_b64 s[26:27], s[4:5]
	s_cbranch_execz .LBB352_389
; %bb.386:                              ;   in Loop: Header=BB352_351 Depth=1
	v_and_b32_e32 v9, 0x7f, v6
	v_cmp_ne_u32_e64 s[4:5], s37, v9
	v_mov_b32_e32 v8, 0x7f800001
	s_and_saveexec_b64 s[28:29], s[4:5]
	s_cbranch_execz .LBB352_388
; %bb.387:                              ;   in Loop: Header=BB352_351 Depth=1
	v_and_b32_e32 v8, 7, v6
	v_ffbh_u32_e32 v8, v8
	v_min_u32_e32 v8, 32, v8
	v_lshrrev_b32_e32 v10, 3, v9
	v_subrev_u32_e32 v11, 28, v8
	v_sub_u32_e32 v8, 29, v8
	v_cmp_gt_u32_e64 s[4:5], 8, v9
	v_cndmask_b32_e64 v10, v10, v8, s[4:5]
	v_cndmask_b32_e64 v8, 0, v11, s[4:5]
	v_lshlrev_b64 v[8:9], v8, v[6:7]
	v_lshlrev_b32_e32 v8, 20, v8
	v_lshlrev_b32_e32 v9, 24, v6
	v_and_b32_e32 v8, 0x700000, v8
	v_and_b32_e32 v9, 0x80000000, v9
	v_lshl_add_u32 v10, v10, 23, v39
	v_or3_b32 v8, v9, v10, v8
.LBB352_388:                            ;   in Loop: Header=BB352_351 Depth=1
	s_or_b64 exec, exec, s[28:29]
.LBB352_389:                            ;   in Loop: Header=BB352_351 Depth=1
	s_or_b64 exec, exec, s[26:27]
.LBB352_390:                            ;   in Loop: Header=BB352_351 Depth=1
	s_or_b64 exec, exec, s[6:7]
	v_mul_f32_e32 v8, v4, v8
	v_and_b32_e32 v9, 0x7f800000, v8
	v_cmp_ne_u32_e64 s[4:5], s9, v9
                                        ; implicit-def: $vgpr9
	s_and_saveexec_b64 s[6:7], s[4:5]
	s_xor_b64 s[4:5], exec, s[6:7]
; %bb.391:                              ;   in Loop: Header=BB352_351 Depth=1
	v_bfe_u32 v9, v8, 16, 1
	v_add3_u32 v9, v8, v9, s15
                                        ; implicit-def: $vgpr8
; %bb.392:                              ;   in Loop: Header=BB352_351 Depth=1
	s_andn2_saveexec_b64 s[6:7], s[4:5]
; %bb.393:                              ;   in Loop: Header=BB352_351 Depth=1
	v_or_b32_e32 v9, 0x10000, v8
	v_cmp_eq_u32_sdwa s[4:5], v8, v25 src0_sel:WORD_0 src1_sel:DWORD
	v_cndmask_b32_e64 v9, v9, v8, s[4:5]
; %bb.394:                              ;   in Loop: Header=BB352_351 Depth=1
	s_or_b64 exec, exec, s[6:7]
	v_lshrrev_b16_e32 v8, 8, v6
	v_cmp_ne_u16_e64 s[4:5], 0, v8
	v_mov_b32_e32 v16, 0
	s_and_saveexec_b64 s[6:7], s[4:5]
	s_cbranch_execz .LBB352_400
; %bb.395:                              ;   in Loop: Header=BB352_351 Depth=1
	v_cmp_ne_u16_e64 s[4:5], s36, v8
	v_bfrev_b32_e32 v16, 1
	s_and_saveexec_b64 s[26:27], s[4:5]
	s_cbranch_execz .LBB352_399
; %bb.396:                              ;   in Loop: Header=BB352_351 Depth=1
	v_and_b32_e32 v22, 0x7f, v8
	v_cmp_ne_u32_e64 s[4:5], s37, v22
	v_mov_b32_e32 v16, 0x7f800001
	s_and_saveexec_b64 s[28:29], s[4:5]
	s_cbranch_execz .LBB352_398
; %bb.397:                              ;   in Loop: Header=BB352_351 Depth=1
	v_and_b32_e32 v10, 7, v8
	v_ffbh_u32_e32 v16, v10
	v_min_u32_e32 v16, 32, v16
	v_subrev_u32_e32 v18, 28, v16
	v_lshlrev_b64 v[48:49], v18, v[8:9]
	v_lshrrev_b32_e32 v11, 3, v22
	v_sub_u32_e32 v8, 29, v16
	v_and_b32_e32 v16, 7, v48
	v_cmp_gt_u32_e64 s[4:5], 8, v22
	v_cndmask_b32_e64 v8, v11, v8, s[4:5]
	v_cndmask_b32_e64 v10, v10, v16, s[4:5]
	v_lshlrev_b32_e32 v11, 16, v6
	v_lshlrev_b32_e32 v10, 20, v10
	v_and_b32_e32 v11, 0x80000000, v11
	v_lshl_add_u32 v8, v8, 23, v39
	v_or3_b32 v16, v11, v8, v10
.LBB352_398:                            ;   in Loop: Header=BB352_351 Depth=1
	s_or_b64 exec, exec, s[28:29]
.LBB352_399:                            ;   in Loop: Header=BB352_351 Depth=1
	s_or_b64 exec, exec, s[26:27]
.LBB352_400:                            ;   in Loop: Header=BB352_351 Depth=1
	s_or_b64 exec, exec, s[6:7]
	v_mul_f32_e32 v8, v4, v16
	v_and_b32_e32 v10, 0x7f800000, v8
	v_cmp_ne_u32_e64 s[4:5], s9, v10
                                        ; implicit-def: $vgpr16
	s_and_saveexec_b64 s[6:7], s[4:5]
	s_xor_b64 s[4:5], exec, s[6:7]
; %bb.401:                              ;   in Loop: Header=BB352_351 Depth=1
	v_bfe_u32 v10, v8, 16, 1
	v_add3_u32 v16, v8, v10, s15
                                        ; implicit-def: $vgpr8
; %bb.402:                              ;   in Loop: Header=BB352_351 Depth=1
	s_andn2_saveexec_b64 s[6:7], s[4:5]
; %bb.403:                              ;   in Loop: Header=BB352_351 Depth=1
	v_or_b32_e32 v10, 0x10000, v8
	v_cmp_eq_u32_sdwa s[4:5], v8, v25 src0_sel:WORD_0 src1_sel:DWORD
	v_cndmask_b32_e64 v16, v10, v8, s[4:5]
; %bb.404:                              ;   in Loop: Header=BB352_351 Depth=1
	s_or_b64 exec, exec, s[6:7]
	v_lshrrev_b32_e32 v8, 16, v6
	v_cmp_ne_u16_sdwa s[4:5], v8, v25 src0_sel:BYTE_0 src1_sel:DWORD
	v_mov_b32_e32 v22, 0
	s_and_saveexec_b64 s[6:7], s[4:5]
	s_cbranch_execz .LBB352_410
; %bb.405:                              ;   in Loop: Header=BB352_351 Depth=1
	v_cmp_ne_u16_sdwa s[4:5], v8, s36 src0_sel:BYTE_0 src1_sel:DWORD
	v_bfrev_b32_e32 v22, 1
	s_and_saveexec_b64 s[26:27], s[4:5]
	s_cbranch_execz .LBB352_409
; %bb.406:                              ;   in Loop: Header=BB352_351 Depth=1
	v_bfe_u32 v24, v6, 16, 7
	v_cmp_ne_u32_e64 s[4:5], s37, v24
	v_mov_b32_e32 v22, 0x7f800001
	s_and_saveexec_b64 s[28:29], s[4:5]
	s_cbranch_execz .LBB352_408
; %bb.407:                              ;   in Loop: Header=BB352_351 Depth=1
	v_and_b32_e32 v10, 7, v8
	v_ffbh_u32_e32 v18, v10
	v_min_u32_e32 v18, 32, v18
	v_subrev_u32_e32 v20, 28, v18
	v_lshlrev_b64 v[48:49], v20, v[8:9]
	v_lshrrev_b32_e32 v11, 3, v24
	v_sub_u32_e32 v18, 29, v18
	v_and_b32_e32 v20, 7, v48
	v_cmp_gt_u32_e64 s[4:5], 8, v24
	v_cndmask_b32_e64 v11, v11, v18, s[4:5]
	v_cndmask_b32_e64 v10, v10, v20, s[4:5]
	v_lshlrev_b32_e32 v8, 24, v8
	v_lshlrev_b32_e32 v10, 20, v10
	v_and_b32_e32 v8, 0x80000000, v8
	v_lshl_add_u32 v11, v11, 23, v39
	v_or3_b32 v22, v8, v11, v10
.LBB352_408:                            ;   in Loop: Header=BB352_351 Depth=1
	s_or_b64 exec, exec, s[28:29]
.LBB352_409:                            ;   in Loop: Header=BB352_351 Depth=1
	s_or_b64 exec, exec, s[26:27]
.LBB352_410:                            ;   in Loop: Header=BB352_351 Depth=1
	s_or_b64 exec, exec, s[6:7]
	v_mul_f32_e32 v8, v4, v22
	v_and_b32_e32 v10, 0x7f800000, v8
	v_cmp_ne_u32_e64 s[4:5], s9, v10
                                        ; implicit-def: $vgpr22
	s_and_saveexec_b64 s[6:7], s[4:5]
	s_xor_b64 s[4:5], exec, s[6:7]
; %bb.411:                              ;   in Loop: Header=BB352_351 Depth=1
	v_bfe_u32 v10, v8, 16, 1
	v_add3_u32 v22, v8, v10, s15
                                        ; implicit-def: $vgpr8
; %bb.412:                              ;   in Loop: Header=BB352_351 Depth=1
	s_andn2_saveexec_b64 s[6:7], s[4:5]
; %bb.413:                              ;   in Loop: Header=BB352_351 Depth=1
	v_or_b32_e32 v10, 0x10000, v8
	v_cmp_eq_u32_sdwa s[4:5], v8, v25 src0_sel:WORD_0 src1_sel:DWORD
	v_cndmask_b32_e64 v22, v10, v8, s[4:5]
; %bb.414:                              ;   in Loop: Header=BB352_351 Depth=1
	s_or_b64 exec, exec, s[6:7]
	v_cmp_lt_u32_e64 s[4:5], s21, v6
	v_mov_b32_e32 v24, 0
	s_and_saveexec_b64 s[6:7], s[4:5]
	s_cbranch_execz .LBB352_420
; %bb.415:                              ;   in Loop: Header=BB352_351 Depth=1
	v_lshrrev_b32_e32 v8, 24, v6
	v_cmp_ne_u32_e64 s[4:5], s36, v8
	v_bfrev_b32_e32 v24, 1
	s_and_saveexec_b64 s[26:27], s[4:5]
	s_cbranch_execz .LBB352_419
; %bb.416:                              ;   in Loop: Header=BB352_351 Depth=1
	v_bfe_u32 v33, v6, 24, 7
	v_cmp_ne_u32_e64 s[4:5], s37, v33
	v_mov_b32_e32 v24, 0x7f800001
	s_and_saveexec_b64 s[28:29], s[4:5]
	s_cbranch_execz .LBB352_418
; %bb.417:                              ;   in Loop: Header=BB352_351 Depth=1
	v_and_b32_e32 v10, 7, v8
	v_ffbh_u32_e32 v18, v10
	v_min_u32_e32 v18, 32, v18
	v_subrev_u32_e32 v20, 28, v18
	v_lshlrev_b64 v[48:49], v20, v[8:9]
	v_lshrrev_b32_e32 v11, 3, v33
	v_sub_u32_e32 v18, 29, v18
	v_and_b32_e32 v20, 7, v48
	v_cmp_gt_u32_e64 s[4:5], 8, v33
	v_cndmask_b32_e64 v11, v11, v18, s[4:5]
	v_cndmask_b32_e64 v10, v10, v20, s[4:5]
	v_lshlrev_b32_e32 v8, 24, v8
	v_lshlrev_b32_e32 v10, 20, v10
	v_and_b32_e32 v8, 0x80000000, v8
	v_lshl_add_u32 v11, v11, 23, v39
	v_or3_b32 v24, v8, v11, v10
.LBB352_418:                            ;   in Loop: Header=BB352_351 Depth=1
	s_or_b64 exec, exec, s[28:29]
.LBB352_419:                            ;   in Loop: Header=BB352_351 Depth=1
	s_or_b64 exec, exec, s[26:27]
.LBB352_420:                            ;   in Loop: Header=BB352_351 Depth=1
	s_or_b64 exec, exec, s[6:7]
	v_mul_f32_e32 v8, v4, v24
	v_and_b32_e32 v10, 0x7f800000, v8
	v_cmp_ne_u32_e64 s[4:5], s9, v10
                                        ; implicit-def: $vgpr35
	s_and_saveexec_b64 s[6:7], s[4:5]
	s_xor_b64 s[4:5], exec, s[6:7]
; %bb.421:                              ;   in Loop: Header=BB352_351 Depth=1
	v_bfe_u32 v10, v8, 16, 1
	v_add3_u32 v35, v8, v10, s15
                                        ; implicit-def: $vgpr8
; %bb.422:                              ;   in Loop: Header=BB352_351 Depth=1
	s_andn2_saveexec_b64 s[6:7], s[4:5]
; %bb.423:                              ;   in Loop: Header=BB352_351 Depth=1
	v_or_b32_e32 v10, 0x10000, v8
	v_cmp_eq_u32_sdwa s[4:5], v8, v25 src0_sel:WORD_0 src1_sel:DWORD
	v_cndmask_b32_e64 v35, v10, v8, s[4:5]
; %bb.424:                              ;   in Loop: Header=BB352_351 Depth=1
	s_or_b64 exec, exec, s[6:7]
	v_mov_b32_e32 v24, v7
	v_cmp_ne_u16_sdwa s[4:5], v7, v25 src0_sel:BYTE_0 src1_sel:DWORD
	v_mov_b32_e32 v8, 0
	s_and_saveexec_b64 s[6:7], s[4:5]
	s_cbranch_execz .LBB352_430
; %bb.425:                              ;   in Loop: Header=BB352_351 Depth=1
	v_cmp_ne_u16_sdwa s[4:5], v7, s36 src0_sel:BYTE_0 src1_sel:DWORD
	v_bfrev_b32_e32 v8, 1
	s_and_saveexec_b64 s[26:27], s[4:5]
	s_cbranch_execz .LBB352_429
; %bb.426:                              ;   in Loop: Header=BB352_351 Depth=1
	v_and_b32_e32 v20, 0x7f, v7
	v_cmp_ne_u32_e64 s[4:5], s37, v20
	v_mov_b32_e32 v8, 0x7f800001
	s_and_saveexec_b64 s[28:29], s[4:5]
	s_cbranch_execz .LBB352_428
; %bb.427:                              ;   in Loop: Header=BB352_351 Depth=1
	v_and_b32_e32 v8, 7, v7
	v_ffbh_u32_e32 v8, v8
	v_min_u32_e32 v8, 32, v8
	v_lshrrev_b32_e32 v10, 3, v20
	v_subrev_u32_e32 v11, 28, v8
	v_sub_u32_e32 v8, 29, v8
	v_cmp_gt_u32_e64 s[4:5], 8, v20
	v_cndmask_b32_e64 v8, v10, v8, s[4:5]
	v_cndmask_b32_e64 v10, 0, v11, s[4:5]
	v_lshlrev_b64 v[48:49], v10, v[24:25]
	v_lshlrev_b32_e32 v10, 20, v48
	v_lshlrev_b32_e32 v11, 24, v24
	v_and_b32_e32 v10, 0x700000, v10
	v_and_b32_e32 v11, 0x80000000, v11
	v_lshl_add_u32 v8, v8, 23, v39
	v_or3_b32 v8, v11, v8, v10
.LBB352_428:                            ;   in Loop: Header=BB352_351 Depth=1
	s_or_b64 exec, exec, s[28:29]
.LBB352_429:                            ;   in Loop: Header=BB352_351 Depth=1
	s_or_b64 exec, exec, s[26:27]
.LBB352_430:                            ;   in Loop: Header=BB352_351 Depth=1
	s_or_b64 exec, exec, s[6:7]
	v_mul_f32_e32 v8, v4, v8
	v_and_b32_e32 v10, 0x7f800000, v8
	v_cmp_ne_u32_e64 s[4:5], s9, v10
                                        ; implicit-def: $vgpr48
	s_and_saveexec_b64 s[6:7], s[4:5]
	s_xor_b64 s[4:5], exec, s[6:7]
; %bb.431:                              ;   in Loop: Header=BB352_351 Depth=1
	v_bfe_u32 v10, v8, 16, 1
	v_add3_u32 v48, v8, v10, s15
                                        ; implicit-def: $vgpr8
; %bb.432:                              ;   in Loop: Header=BB352_351 Depth=1
	s_andn2_saveexec_b64 s[6:7], s[4:5]
; %bb.433:                              ;   in Loop: Header=BB352_351 Depth=1
	v_or_b32_e32 v10, 0x10000, v8
	v_cmp_eq_u32_sdwa s[4:5], v8, v25 src0_sel:WORD_0 src1_sel:DWORD
	v_cndmask_b32_e64 v48, v10, v8, s[4:5]
; %bb.434:                              ;   in Loop: Header=BB352_351 Depth=1
	s_or_b64 exec, exec, s[6:7]
	v_lshrrev_b16_e32 v8, 8, v24
	v_cmp_ne_u16_e64 s[4:5], 0, v8
	v_mov_b32_e32 v33, 0
	s_and_saveexec_b64 s[6:7], s[4:5]
	s_cbranch_execz .LBB352_440
; %bb.435:                              ;   in Loop: Header=BB352_351 Depth=1
	v_cmp_ne_u16_e64 s[4:5], s36, v8
	v_bfrev_b32_e32 v33, 1
	s_and_saveexec_b64 s[26:27], s[4:5]
	s_cbranch_execz .LBB352_439
; %bb.436:                              ;   in Loop: Header=BB352_351 Depth=1
	v_and_b32_e32 v38, 0x7f, v8
	v_cmp_ne_u32_e64 s[4:5], s37, v38
	v_mov_b32_e32 v33, 0x7f800001
	s_and_saveexec_b64 s[28:29], s[4:5]
	s_cbranch_execz .LBB352_438
; %bb.437:                              ;   in Loop: Header=BB352_351 Depth=1
	v_and_b32_e32 v10, 7, v8
	v_ffbh_u32_e32 v18, v10
	v_min_u32_e32 v18, 32, v18
	v_subrev_u32_e32 v20, 28, v18
	v_lshlrev_b64 v[50:51], v20, v[8:9]
	v_lshrrev_b32_e32 v11, 3, v38
	v_sub_u32_e32 v8, 29, v18
	v_and_b32_e32 v18, 7, v50
	v_cmp_gt_u32_e64 s[4:5], 8, v38
	v_cndmask_b32_e64 v8, v11, v8, s[4:5]
	v_cndmask_b32_e64 v10, v10, v18, s[4:5]
	v_lshlrev_b32_e32 v11, 16, v24
	v_lshlrev_b32_e32 v10, 20, v10
	v_and_b32_e32 v11, 0x80000000, v11
	v_lshl_add_u32 v8, v8, 23, v39
	v_or3_b32 v33, v11, v8, v10
.LBB352_438:                            ;   in Loop: Header=BB352_351 Depth=1
	s_or_b64 exec, exec, s[28:29]
.LBB352_439:                            ;   in Loop: Header=BB352_351 Depth=1
	s_or_b64 exec, exec, s[26:27]
.LBB352_440:                            ;   in Loop: Header=BB352_351 Depth=1
	s_or_b64 exec, exec, s[6:7]
	v_mul_f32_e32 v8, v4, v33
	v_and_b32_e32 v10, 0x7f800000, v8
	v_cmp_ne_u32_e64 s[4:5], s9, v10
                                        ; implicit-def: $vgpr24
	s_and_saveexec_b64 s[6:7], s[4:5]
	s_xor_b64 s[4:5], exec, s[6:7]
; %bb.441:                              ;   in Loop: Header=BB352_351 Depth=1
	v_bfe_u32 v10, v8, 16, 1
	v_add3_u32 v24, v8, v10, s15
                                        ; implicit-def: $vgpr8
; %bb.442:                              ;   in Loop: Header=BB352_351 Depth=1
	s_andn2_saveexec_b64 s[6:7], s[4:5]
; %bb.443:                              ;   in Loop: Header=BB352_351 Depth=1
	v_or_b32_e32 v10, 0x10000, v8
	v_cmp_eq_u32_sdwa s[4:5], v8, v25 src0_sel:WORD_0 src1_sel:DWORD
	v_cndmask_b32_e64 v24, v10, v8, s[4:5]
; %bb.444:                              ;   in Loop: Header=BB352_351 Depth=1
	s_or_b64 exec, exec, s[6:7]
	v_lshrrev_b32_e32 v8, 16, v7
	v_cmp_ne_u16_sdwa s[4:5], v8, v25 src0_sel:BYTE_0 src1_sel:DWORD
	v_mov_b32_e32 v33, 0
	s_and_saveexec_b64 s[6:7], s[4:5]
	s_cbranch_execz .LBB352_450
; %bb.445:                              ;   in Loop: Header=BB352_351 Depth=1
	v_cmp_ne_u16_sdwa s[4:5], v8, s36 src0_sel:BYTE_0 src1_sel:DWORD
	v_bfrev_b32_e32 v33, 1
	s_and_saveexec_b64 s[26:27], s[4:5]
	s_cbranch_execz .LBB352_449
; %bb.446:                              ;   in Loop: Header=BB352_351 Depth=1
	v_bfe_u32 v38, v7, 16, 7
	v_cmp_ne_u32_e64 s[4:5], s37, v38
	v_mov_b32_e32 v33, 0x7f800001
	s_and_saveexec_b64 s[28:29], s[4:5]
	s_cbranch_execz .LBB352_448
; %bb.447:                              ;   in Loop: Header=BB352_351 Depth=1
	v_and_b32_e32 v10, 7, v8
	v_ffbh_u32_e32 v18, v10
	v_min_u32_e32 v18, 32, v18
	v_subrev_u32_e32 v20, 28, v18
	v_lshlrev_b64 v[50:51], v20, v[8:9]
	v_lshrrev_b32_e32 v11, 3, v38
	v_sub_u32_e32 v18, 29, v18
	v_and_b32_e32 v20, 7, v50
	v_cmp_gt_u32_e64 s[4:5], 8, v38
	v_cndmask_b32_e64 v11, v11, v18, s[4:5]
	v_cndmask_b32_e64 v10, v10, v20, s[4:5]
	v_lshlrev_b32_e32 v8, 24, v8
	v_lshlrev_b32_e32 v10, 20, v10
	v_and_b32_e32 v8, 0x80000000, v8
	v_lshl_add_u32 v11, v11, 23, v39
	v_or3_b32 v33, v8, v11, v10
.LBB352_448:                            ;   in Loop: Header=BB352_351 Depth=1
	s_or_b64 exec, exec, s[28:29]
.LBB352_449:                            ;   in Loop: Header=BB352_351 Depth=1
	s_or_b64 exec, exec, s[26:27]
.LBB352_450:                            ;   in Loop: Header=BB352_351 Depth=1
	s_or_b64 exec, exec, s[6:7]
	v_mul_f32_e32 v8, v4, v33
	v_and_b32_e32 v10, 0x7f800000, v8
	v_cmp_ne_u32_e64 s[4:5], s9, v10
                                        ; implicit-def: $vgpr49
	s_and_saveexec_b64 s[6:7], s[4:5]
	s_xor_b64 s[4:5], exec, s[6:7]
; %bb.451:                              ;   in Loop: Header=BB352_351 Depth=1
	v_bfe_u32 v10, v8, 16, 1
	v_add3_u32 v49, v8, v10, s15
                                        ; implicit-def: $vgpr8
; %bb.452:                              ;   in Loop: Header=BB352_351 Depth=1
	s_andn2_saveexec_b64 s[6:7], s[4:5]
; %bb.453:                              ;   in Loop: Header=BB352_351 Depth=1
	v_or_b32_e32 v10, 0x10000, v8
	v_cmp_eq_u32_sdwa s[4:5], v8, v25 src0_sel:WORD_0 src1_sel:DWORD
	v_cndmask_b32_e64 v49, v10, v8, s[4:5]
; %bb.454:                              ;   in Loop: Header=BB352_351 Depth=1
	s_or_b64 exec, exec, s[6:7]
	v_cmp_lt_u64_e64 s[4:5], s[20:21], v[6:7]
	v_mov_b32_e32 v8, 0
	s_and_saveexec_b64 s[6:7], s[4:5]
	s_cbranch_execz .LBB352_460
; %bb.455:                              ;   in Loop: Header=BB352_351 Depth=1
	v_lshrrev_b32_e32 v6, 24, v7
	v_cmp_ne_u32_e64 s[4:5], s36, v6
	v_bfrev_b32_e32 v8, 1
	s_and_saveexec_b64 s[26:27], s[4:5]
	s_cbranch_execz .LBB352_459
; %bb.456:                              ;   in Loop: Header=BB352_351 Depth=1
	v_bfe_u32 v7, v7, 24, 7
	v_cmp_ne_u32_e64 s[4:5], s37, v7
	v_mov_b32_e32 v8, 0x7f800001
	s_and_saveexec_b64 s[28:29], s[4:5]
	s_cbranch_execz .LBB352_458
; %bb.457:                              ;   in Loop: Header=BB352_351 Depth=1
	v_and_b32_e32 v8, 7, v6
	v_ffbh_u32_e32 v11, v8
	v_min_u32_e32 v11, 32, v11
	v_subrev_u32_e32 v18, 28, v11
	v_lshlrev_b64 v[50:51], v18, v[6:7]
	v_lshrrev_b32_e32 v10, 3, v7
	v_sub_u32_e32 v11, 29, v11
	v_and_b32_e32 v18, 7, v50
	v_cmp_gt_u32_e64 s[4:5], 8, v7
	v_cndmask_b32_e64 v7, v10, v11, s[4:5]
	v_cndmask_b32_e64 v8, v8, v18, s[4:5]
	v_lshlrev_b32_e32 v6, 24, v6
	v_lshlrev_b32_e32 v8, 20, v8
	v_and_b32_e32 v6, 0x80000000, v6
	v_lshl_add_u32 v7, v7, 23, v39
	v_or3_b32 v8, v6, v7, v8
.LBB352_458:                            ;   in Loop: Header=BB352_351 Depth=1
	s_or_b64 exec, exec, s[28:29]
.LBB352_459:                            ;   in Loop: Header=BB352_351 Depth=1
	s_or_b64 exec, exec, s[26:27]
.LBB352_460:                            ;   in Loop: Header=BB352_351 Depth=1
	s_or_b64 exec, exec, s[6:7]
	v_mul_f32_e32 v7, v4, v8
	v_and_b32_e32 v6, 0x7f800000, v7
	v_cmp_ne_u32_e64 s[4:5], s9, v6
                                        ; implicit-def: $vgpr6
	s_and_saveexec_b64 s[6:7], s[4:5]
	s_xor_b64 s[4:5], exec, s[6:7]
; %bb.461:                              ;   in Loop: Header=BB352_351 Depth=1
	v_bfe_u32 v6, v7, 16, 1
	v_add3_u32 v6, v7, v6, s15
                                        ; implicit-def: $vgpr7
; %bb.462:                              ;   in Loop: Header=BB352_351 Depth=1
	s_andn2_saveexec_b64 s[6:7], s[4:5]
; %bb.463:                              ;   in Loop: Header=BB352_351 Depth=1
	v_or_b32_e32 v6, 0x10000, v7
	v_cmp_eq_u32_sdwa s[4:5], v7, v25 src0_sel:WORD_0 src1_sel:DWORD
	v_cndmask_b32_e64 v6, v6, v7, s[4:5]
; %bb.464:                              ;   in Loop: Header=BB352_351 Depth=1
	s_or_b64 exec, exec, s[6:7]
	v_accvgpr_read_b32 v8, a12
	v_accvgpr_read_b32 v7, a13
	v_cmp_eq_u32_e64 s[4:5], v23, v8
	v_add_u32_e32 v55, v36, v7
	v_lshrrev_b32_e32 v8, 16, v24
	v_lshrrev_b32_e32 v24, 16, v48
	;; [unrolled: 1-line block ×8, first 2 shown]
	s_and_saveexec_b64 s[26:27], s[4:5]
	s_cbranch_execz .LBB352_466
; %bb.465:                              ;   in Loop: Header=BB352_351 Depth=1
	v_accvgpr_read_b32 v11, a5
	v_cmp_lt_i32_e64 s[6:7], v55, v11
	v_add_u32_e32 v10, 1, v55
	v_cndmask_b32_e64 v9, 0, v9, s[6:7]
	v_cmp_lt_i32_e64 s[6:7], v10, v11
	v_add_u32_e32 v10, 2, v55
	v_cndmask_b32_e64 v16, 0, v16, s[6:7]
	;; [unrolled: 3-line block ×7, first 2 shown]
	v_cmp_lt_i32_e64 s[6:7], v10, v11
	v_cndmask_b32_e64 v6, 0, v6, s[6:7]
.LBB352_466:                            ;   in Loop: Header=BB352_351 Depth=1
	s_or_b64 exec, exec, s[26:27]
	v_and_b32_e32 v40, 0xffff0000, v34
	v_lshlrev_b32_e32 v9, 16, v9
	v_mul_f32_e32 v34, v40, v9
	v_and_b32_e32 v9, 0x7f800000, v34
	v_cmp_ne_u32_e64 s[6:7], s9, v9
                                        ; implicit-def: $vgpr9
	s_and_saveexec_b64 s[26:27], s[6:7]
	s_xor_b64 s[6:7], exec, s[26:27]
; %bb.467:                              ;   in Loop: Header=BB352_351 Depth=1
	v_bfe_u32 v9, v34, 16, 1
	v_add3_u32 v9, v34, v9, s15
                                        ; implicit-def: $vgpr34
; %bb.468:                              ;   in Loop: Header=BB352_351 Depth=1
	s_andn2_saveexec_b64 s[26:27], s[6:7]
; %bb.469:                              ;   in Loop: Header=BB352_351 Depth=1
	v_or_b32_e32 v9, 0x10000, v34
	v_cmp_eq_u32_sdwa s[6:7], v34, v25 src0_sel:WORD_0 src1_sel:DWORD
	v_cndmask_b32_e64 v9, v9, v34, s[6:7]
; %bb.470:                              ;   in Loop: Header=BB352_351 Depth=1
	s_or_b64 exec, exec, s[26:27]
	v_and_b32_e32 v42, 0xffff0000, v27
	v_lshlrev_b32_e32 v10, 16, v16
	v_mul_f32_e32 v16, v42, v10
	v_and_b32_e32 v10, 0x7f800000, v16
	v_cmp_ne_u32_e64 s[6:7], s9, v10
                                        ; implicit-def: $vgpr48
	s_and_saveexec_b64 s[26:27], s[6:7]
	s_xor_b64 s[6:7], exec, s[26:27]
; %bb.471:                              ;   in Loop: Header=BB352_351 Depth=1
	v_bfe_u32 v10, v16, 16, 1
	v_add3_u32 v48, v16, v10, s15
                                        ; implicit-def: $vgpr16
; %bb.472:                              ;   in Loop: Header=BB352_351 Depth=1
	s_andn2_saveexec_b64 s[26:27], s[6:7]
; %bb.473:                              ;   in Loop: Header=BB352_351 Depth=1
	v_or_b32_e32 v10, 0x10000, v16
	v_cmp_eq_u32_sdwa s[6:7], v16, v25 src0_sel:WORD_0 src1_sel:DWORD
	v_cndmask_b32_e64 v48, v10, v16, s[6:7]
; %bb.474:                              ;   in Loop: Header=BB352_351 Depth=1
	s_or_b64 exec, exec, s[26:27]
	v_and_b32_e32 v46, 0xffff0000, v26
	v_lshlrev_b32_e32 v10, 16, v22
	v_mul_f32_e32 v16, v46, v10
	v_and_b32_e32 v10, 0x7f800000, v16
	v_cmp_ne_u32_e64 s[6:7], s9, v10
                                        ; implicit-def: $vgpr49
	s_and_saveexec_b64 s[26:27], s[6:7]
	s_xor_b64 s[6:7], exec, s[26:27]
; %bb.475:                              ;   in Loop: Header=BB352_351 Depth=1
	v_bfe_u32 v10, v16, 16, 1
	v_add3_u32 v49, v16, v10, s15
                                        ; implicit-def: $vgpr16
; %bb.476:                              ;   in Loop: Header=BB352_351 Depth=1
	s_andn2_saveexec_b64 s[26:27], s[6:7]
; %bb.477:                              ;   in Loop: Header=BB352_351 Depth=1
	v_or_b32_e32 v10, 0x10000, v16
	v_cmp_eq_u32_sdwa s[6:7], v16, v25 src0_sel:WORD_0 src1_sel:DWORD
	v_cndmask_b32_e64 v49, v10, v16, s[6:7]
; %bb.478:                              ;   in Loop: Header=BB352_351 Depth=1
	s_or_b64 exec, exec, s[26:27]
	v_and_b32_e32 v47, 0xffff0000, v31
	v_lshlrev_b32_e32 v10, 16, v33
	v_mul_f32_e32 v16, v47, v10
	v_and_b32_e32 v10, 0x7f800000, v16
	v_cmp_ne_u32_e64 s[6:7], s9, v10
                                        ; implicit-def: $vgpr50
	s_and_saveexec_b64 s[26:27], s[6:7]
	s_xor_b64 s[6:7], exec, s[26:27]
; %bb.479:                              ;   in Loop: Header=BB352_351 Depth=1
	v_bfe_u32 v10, v16, 16, 1
	v_add3_u32 v50, v16, v10, s15
                                        ; implicit-def: $vgpr16
; %bb.480:                              ;   in Loop: Header=BB352_351 Depth=1
	s_andn2_saveexec_b64 s[26:27], s[6:7]
; %bb.481:                              ;   in Loop: Header=BB352_351 Depth=1
	v_or_b32_e32 v10, 0x10000, v16
	v_cmp_eq_u32_sdwa s[6:7], v16, v25 src0_sel:WORD_0 src1_sel:DWORD
	v_cndmask_b32_e64 v50, v10, v16, s[6:7]
; %bb.482:                              ;   in Loop: Header=BB352_351 Depth=1
	s_or_b64 exec, exec, s[26:27]
	v_and_b32_e32 v56, 0xffff0000, v30
	v_lshlrev_b32_e32 v10, 16, v24
	v_mul_f32_e32 v16, v56, v10
	v_and_b32_e32 v10, 0x7f800000, v16
	v_cmp_ne_u32_e64 s[6:7], s9, v10
                                        ; implicit-def: $vgpr51
	s_and_saveexec_b64 s[26:27], s[6:7]
	s_xor_b64 s[6:7], exec, s[26:27]
; %bb.483:                              ;   in Loop: Header=BB352_351 Depth=1
	v_bfe_u32 v10, v16, 16, 1
	v_add3_u32 v51, v16, v10, s15
                                        ; implicit-def: $vgpr16
; %bb.484:                              ;   in Loop: Header=BB352_351 Depth=1
	s_andn2_saveexec_b64 s[26:27], s[6:7]
; %bb.485:                              ;   in Loop: Header=BB352_351 Depth=1
	v_or_b32_e32 v10, 0x10000, v16
	v_cmp_eq_u32_sdwa s[6:7], v16, v25 src0_sel:WORD_0 src1_sel:DWORD
	v_cndmask_b32_e64 v51, v10, v16, s[6:7]
; %bb.486:                              ;   in Loop: Header=BB352_351 Depth=1
	s_or_b64 exec, exec, s[26:27]
	v_and_b32_e32 v57, 0xffff0000, v21
	v_lshlrev_b32_e32 v8, 16, v8
	v_mul_f32_e32 v8, v57, v8
	v_and_b32_e32 v10, 0x7f800000, v8
	v_cmp_ne_u32_e64 s[6:7], s9, v10
                                        ; implicit-def: $vgpr52
	s_and_saveexec_b64 s[26:27], s[6:7]
	s_xor_b64 s[6:7], exec, s[26:27]
; %bb.487:                              ;   in Loop: Header=BB352_351 Depth=1
	v_bfe_u32 v10, v8, 16, 1
	v_add3_u32 v52, v8, v10, s15
                                        ; implicit-def: $vgpr8
; %bb.488:                              ;   in Loop: Header=BB352_351 Depth=1
	s_andn2_saveexec_b64 s[26:27], s[6:7]
; %bb.489:                              ;   in Loop: Header=BB352_351 Depth=1
	v_or_b32_e32 v10, 0x10000, v8
	v_cmp_eq_u32_sdwa s[6:7], v8, v25 src0_sel:WORD_0 src1_sel:DWORD
	v_cndmask_b32_e64 v52, v10, v8, s[6:7]
; %bb.490:                              ;   in Loop: Header=BB352_351 Depth=1
	s_or_b64 exec, exec, s[26:27]
	v_and_b32_e32 v58, 0xffff0000, v17
	v_lshlrev_b32_e32 v7, 16, v7
	v_mul_f32_e32 v7, v58, v7
	v_and_b32_e32 v8, 0x7f800000, v7
	v_cmp_ne_u32_e64 s[6:7], s9, v8
                                        ; implicit-def: $vgpr53
	s_and_saveexec_b64 s[26:27], s[6:7]
	s_xor_b64 s[6:7], exec, s[26:27]
; %bb.491:                              ;   in Loop: Header=BB352_351 Depth=1
	v_bfe_u32 v8, v7, 16, 1
	v_add3_u32 v53, v7, v8, s15
                                        ; implicit-def: $vgpr7
; %bb.492:                              ;   in Loop: Header=BB352_351 Depth=1
	s_andn2_saveexec_b64 s[26:27], s[6:7]
; %bb.493:                              ;   in Loop: Header=BB352_351 Depth=1
	v_or_b32_e32 v8, 0x10000, v7
	v_cmp_eq_u32_sdwa s[6:7], v7, v25 src0_sel:WORD_0 src1_sel:DWORD
	v_cndmask_b32_e64 v53, v8, v7, s[6:7]
; %bb.494:                              ;   in Loop: Header=BB352_351 Depth=1
	s_or_b64 exec, exec, s[26:27]
	v_and_b32_e32 v59, 0xffff0000, v5
	v_lshlrev_b32_e32 v5, 16, v6
	v_mul_f32_e32 v5, v59, v5
	v_and_b32_e32 v6, 0x7f800000, v5
	v_cmp_ne_u32_e64 s[6:7], s9, v6
                                        ; implicit-def: $vgpr54
	s_and_saveexec_b64 s[26:27], s[6:7]
	s_xor_b64 s[6:7], exec, s[26:27]
; %bb.495:                              ;   in Loop: Header=BB352_351 Depth=1
	v_bfe_u32 v6, v5, 16, 1
	v_add3_u32 v54, v5, v6, s15
                                        ; implicit-def: $vgpr5
; %bb.496:                              ;   in Loop: Header=BB352_351 Depth=1
	s_andn2_saveexec_b64 s[26:27], s[6:7]
; %bb.497:                              ;   in Loop: Header=BB352_351 Depth=1
	v_or_b32_e32 v6, 0x10000, v5
	v_cmp_eq_u32_sdwa s[6:7], v5, v25 src0_sel:WORD_0 src1_sel:DWORD
	v_cndmask_b32_e64 v54, v6, v5, s[6:7]
; %bb.498:                              ;   in Loop: Header=BB352_351 Depth=1
	s_or_b64 exec, exec, s[26:27]
	flat_load_dwordx2 v[6:7], v[2:3] offset:512
	v_mov_b32_e32 v5, 0
	s_waitcnt vmcnt(0) lgkmcnt(0)
	v_cmp_ne_u16_sdwa s[6:7], v6, v25 src0_sel:BYTE_0 src1_sel:DWORD
	s_and_saveexec_b64 s[26:27], s[6:7]
	s_cbranch_execz .LBB352_504
; %bb.499:                              ;   in Loop: Header=BB352_351 Depth=1
	v_cmp_ne_u16_sdwa s[6:7], v6, s36 src0_sel:BYTE_0 src1_sel:DWORD
	v_bfrev_b32_e32 v5, 1
	s_and_saveexec_b64 s[28:29], s[6:7]
	s_cbranch_execz .LBB352_503
; %bb.500:                              ;   in Loop: Header=BB352_351 Depth=1
	v_and_b32_e32 v8, 0x7f, v6
	v_cmp_ne_u32_e64 s[6:7], s37, v8
	v_mov_b32_e32 v5, 0x7f800001
	s_and_saveexec_b64 s[30:31], s[6:7]
	s_cbranch_execz .LBB352_502
; %bb.501:                              ;   in Loop: Header=BB352_351 Depth=1
	v_and_b32_e32 v5, 7, v6
	v_ffbh_u32_e32 v5, v5
	v_min_u32_e32 v5, 32, v5
	v_subrev_u32_e32 v11, 28, v5
	v_cmp_gt_u32_e64 s[6:7], 8, v8
	v_lshrrev_b32_e32 v10, 3, v8
	v_cndmask_b32_e64 v8, 0, v11, s[6:7]
	v_sub_u32_e32 v5, 29, v5
	v_lshlrev_b64 v[16:17], v8, v[6:7]
	v_cndmask_b32_e64 v5, v10, v5, s[6:7]
	v_lshlrev_b32_e32 v8, 20, v16
	v_lshlrev_b32_e32 v10, 24, v6
	v_and_b32_e32 v8, 0x700000, v8
	v_and_b32_e32 v10, 0x80000000, v10
	v_lshl_add_u32 v5, v5, 23, v39
	v_or3_b32 v5, v10, v5, v8
.LBB352_502:                            ;   in Loop: Header=BB352_351 Depth=1
	s_or_b64 exec, exec, s[30:31]
.LBB352_503:                            ;   in Loop: Header=BB352_351 Depth=1
	s_or_b64 exec, exec, s[28:29]
.LBB352_504:                            ;   in Loop: Header=BB352_351 Depth=1
	s_or_b64 exec, exec, s[26:27]
	v_mul_f32_e32 v8, v4, v5
	v_and_b32_e32 v5, 0x7f800000, v8
	v_cmp_ne_u32_e64 s[6:7], s9, v5
                                        ; implicit-def: $vgpr5
	s_and_saveexec_b64 s[26:27], s[6:7]
	s_xor_b64 s[6:7], exec, s[26:27]
; %bb.505:                              ;   in Loop: Header=BB352_351 Depth=1
	v_bfe_u32 v5, v8, 16, 1
	v_add3_u32 v5, v8, v5, s15
                                        ; implicit-def: $vgpr8
; %bb.506:                              ;   in Loop: Header=BB352_351 Depth=1
	s_andn2_saveexec_b64 s[26:27], s[6:7]
; %bb.507:                              ;   in Loop: Header=BB352_351 Depth=1
	v_or_b32_e32 v5, 0x10000, v8
	v_cmp_eq_u32_sdwa s[6:7], v8, v25 src0_sel:WORD_0 src1_sel:DWORD
	v_cndmask_b32_e64 v5, v5, v8, s[6:7]
; %bb.508:                              ;   in Loop: Header=BB352_351 Depth=1
	s_or_b64 exec, exec, s[26:27]
	v_lshrrev_b16_e32 v8, 8, v6
	v_cmp_ne_u16_e64 s[6:7], 0, v8
	v_mov_b32_e32 v16, 0
	s_and_saveexec_b64 s[26:27], s[6:7]
	s_cbranch_execz .LBB352_514
; %bb.509:                              ;   in Loop: Header=BB352_351 Depth=1
	v_cmp_ne_u16_e64 s[6:7], s36, v8
	v_bfrev_b32_e32 v16, 1
	s_and_saveexec_b64 s[28:29], s[6:7]
	s_cbranch_execz .LBB352_513
; %bb.510:                              ;   in Loop: Header=BB352_351 Depth=1
	v_and_b32_e32 v17, 0x7f, v8
	v_cmp_ne_u32_e64 s[6:7], s37, v17
	v_mov_b32_e32 v16, 0x7f800001
	s_and_saveexec_b64 s[30:31], s[6:7]
	s_cbranch_execz .LBB352_512
; %bb.511:                              ;   in Loop: Header=BB352_351 Depth=1
	v_and_b32_e32 v10, 7, v8
	v_ffbh_u32_e32 v16, v10
	v_min_u32_e32 v16, 32, v16
	v_subrev_u32_e32 v18, 28, v16
	v_lshlrev_b64 v[20:21], v18, v[8:9]
	v_lshrrev_b32_e32 v11, 3, v17
	v_sub_u32_e32 v8, 29, v16
	v_and_b32_e32 v16, 7, v20
	v_cmp_gt_u32_e64 s[6:7], 8, v17
	v_cndmask_b32_e64 v8, v11, v8, s[6:7]
	v_cndmask_b32_e64 v10, v10, v16, s[6:7]
	v_lshlrev_b32_e32 v11, 16, v6
	v_lshlrev_b32_e32 v10, 20, v10
	v_and_b32_e32 v11, 0x80000000, v11
	v_lshl_add_u32 v8, v8, 23, v39
	v_or3_b32 v16, v11, v8, v10
.LBB352_512:                            ;   in Loop: Header=BB352_351 Depth=1
	s_or_b64 exec, exec, s[30:31]
.LBB352_513:                            ;   in Loop: Header=BB352_351 Depth=1
	s_or_b64 exec, exec, s[28:29]
.LBB352_514:                            ;   in Loop: Header=BB352_351 Depth=1
	s_or_b64 exec, exec, s[26:27]
	v_mul_f32_e32 v8, v4, v16
	v_and_b32_e32 v10, 0x7f800000, v8
	v_cmp_ne_u32_e64 s[6:7], s9, v10
                                        ; implicit-def: $vgpr16
	s_and_saveexec_b64 s[26:27], s[6:7]
	s_xor_b64 s[6:7], exec, s[26:27]
; %bb.515:                              ;   in Loop: Header=BB352_351 Depth=1
	v_bfe_u32 v10, v8, 16, 1
	v_add3_u32 v16, v8, v10, s15
                                        ; implicit-def: $vgpr8
; %bb.516:                              ;   in Loop: Header=BB352_351 Depth=1
	s_andn2_saveexec_b64 s[26:27], s[6:7]
; %bb.517:                              ;   in Loop: Header=BB352_351 Depth=1
	v_or_b32_e32 v10, 0x10000, v8
	v_cmp_eq_u32_sdwa s[6:7], v8, v25 src0_sel:WORD_0 src1_sel:DWORD
	v_cndmask_b32_e64 v16, v10, v8, s[6:7]
; %bb.518:                              ;   in Loop: Header=BB352_351 Depth=1
	s_or_b64 exec, exec, s[26:27]
	v_lshrrev_b32_e32 v8, 16, v6
	v_cmp_ne_u16_sdwa s[6:7], v8, v25 src0_sel:BYTE_0 src1_sel:DWORD
	v_mov_b32_e32 v17, 0
	s_and_saveexec_b64 s[26:27], s[6:7]
	s_cbranch_execz .LBB352_524
; %bb.519:                              ;   in Loop: Header=BB352_351 Depth=1
	v_cmp_ne_u16_sdwa s[6:7], v8, s36 src0_sel:BYTE_0 src1_sel:DWORD
	v_bfrev_b32_e32 v17, 1
	s_and_saveexec_b64 s[28:29], s[6:7]
	s_cbranch_execz .LBB352_523
; %bb.520:                              ;   in Loop: Header=BB352_351 Depth=1
	v_bfe_u32 v21, v6, 16, 7
	v_cmp_ne_u32_e64 s[6:7], s37, v21
	v_mov_b32_e32 v17, 0x7f800001
	s_and_saveexec_b64 s[30:31], s[6:7]
	s_cbranch_execz .LBB352_522
; %bb.521:                              ;   in Loop: Header=BB352_351 Depth=1
	v_and_b32_e32 v10, 7, v8
	v_ffbh_u32_e32 v17, v10
	v_min_u32_e32 v17, 32, v17
	v_subrev_u32_e32 v18, 28, v17
	v_lshlrev_b64 v[26:27], v18, v[8:9]
	v_lshrrev_b32_e32 v11, 3, v21
	v_sub_u32_e32 v17, 29, v17
	v_and_b32_e32 v18, 7, v26
	v_cmp_gt_u32_e64 s[6:7], 8, v21
	v_cndmask_b32_e64 v11, v11, v17, s[6:7]
	v_cndmask_b32_e64 v10, v10, v18, s[6:7]
	v_lshlrev_b32_e32 v8, 24, v8
	v_lshlrev_b32_e32 v10, 20, v10
	v_and_b32_e32 v8, 0x80000000, v8
	v_lshl_add_u32 v11, v11, 23, v39
	v_or3_b32 v17, v8, v11, v10
.LBB352_522:                            ;   in Loop: Header=BB352_351 Depth=1
	s_or_b64 exec, exec, s[30:31]
.LBB352_523:                            ;   in Loop: Header=BB352_351 Depth=1
	s_or_b64 exec, exec, s[28:29]
.LBB352_524:                            ;   in Loop: Header=BB352_351 Depth=1
	s_or_b64 exec, exec, s[26:27]
	v_mul_f32_e32 v8, v4, v17
	v_and_b32_e32 v10, 0x7f800000, v8
	v_cmp_ne_u32_e64 s[6:7], s9, v10
                                        ; implicit-def: $vgpr17
	s_and_saveexec_b64 s[26:27], s[6:7]
	s_xor_b64 s[6:7], exec, s[26:27]
; %bb.525:                              ;   in Loop: Header=BB352_351 Depth=1
	v_bfe_u32 v10, v8, 16, 1
	v_add3_u32 v17, v8, v10, s15
                                        ; implicit-def: $vgpr8
; %bb.526:                              ;   in Loop: Header=BB352_351 Depth=1
	s_andn2_saveexec_b64 s[26:27], s[6:7]
; %bb.527:                              ;   in Loop: Header=BB352_351 Depth=1
	v_or_b32_e32 v10, 0x10000, v8
	v_cmp_eq_u32_sdwa s[6:7], v8, v25 src0_sel:WORD_0 src1_sel:DWORD
	v_cndmask_b32_e64 v17, v10, v8, s[6:7]
; %bb.528:                              ;   in Loop: Header=BB352_351 Depth=1
	s_or_b64 exec, exec, s[26:27]
	v_cmp_lt_u32_e64 s[6:7], s21, v6
	v_mov_b32_e32 v21, 0
	s_and_saveexec_b64 s[26:27], s[6:7]
	s_cbranch_execz .LBB352_534
; %bb.529:                              ;   in Loop: Header=BB352_351 Depth=1
	v_lshrrev_b32_e32 v8, 24, v6
	v_cmp_ne_u32_e64 s[6:7], s36, v8
	v_bfrev_b32_e32 v21, 1
	s_and_saveexec_b64 s[28:29], s[6:7]
	s_cbranch_execz .LBB352_533
; %bb.530:                              ;   in Loop: Header=BB352_351 Depth=1
	v_bfe_u32 v22, v6, 24, 7
	v_cmp_ne_u32_e64 s[6:7], s37, v22
	v_mov_b32_e32 v21, 0x7f800001
	s_and_saveexec_b64 s[30:31], s[6:7]
	s_cbranch_execz .LBB352_532
; %bb.531:                              ;   in Loop: Header=BB352_351 Depth=1
	v_and_b32_e32 v10, 7, v8
	v_ffbh_u32_e32 v18, v10
	v_min_u32_e32 v18, 32, v18
	v_subrev_u32_e32 v20, 28, v18
	v_lshlrev_b64 v[20:21], v20, v[8:9]
	v_lshrrev_b32_e32 v11, 3, v22
	v_sub_u32_e32 v18, 29, v18
	v_and_b32_e32 v20, 7, v20
	v_cmp_gt_u32_e64 s[6:7], 8, v22
	v_cndmask_b32_e64 v11, v11, v18, s[6:7]
	v_cndmask_b32_e64 v10, v10, v20, s[6:7]
	v_lshlrev_b32_e32 v8, 24, v8
	v_lshlrev_b32_e32 v10, 20, v10
	v_and_b32_e32 v8, 0x80000000, v8
	v_lshl_add_u32 v11, v11, 23, v39
	v_or3_b32 v21, v8, v11, v10
.LBB352_532:                            ;   in Loop: Header=BB352_351 Depth=1
	s_or_b64 exec, exec, s[30:31]
.LBB352_533:                            ;   in Loop: Header=BB352_351 Depth=1
	s_or_b64 exec, exec, s[28:29]
.LBB352_534:                            ;   in Loop: Header=BB352_351 Depth=1
	s_or_b64 exec, exec, s[26:27]
	v_mul_f32_e32 v8, v4, v21
	v_and_b32_e32 v10, 0x7f800000, v8
	v_cmp_ne_u32_e64 s[6:7], s9, v10
                                        ; implicit-def: $vgpr21
	s_and_saveexec_b64 s[26:27], s[6:7]
	s_xor_b64 s[6:7], exec, s[26:27]
; %bb.535:                              ;   in Loop: Header=BB352_351 Depth=1
	v_bfe_u32 v10, v8, 16, 1
	v_add3_u32 v21, v8, v10, s15
                                        ; implicit-def: $vgpr8
; %bb.536:                              ;   in Loop: Header=BB352_351 Depth=1
	s_andn2_saveexec_b64 s[26:27], s[6:7]
; %bb.537:                              ;   in Loop: Header=BB352_351 Depth=1
	v_or_b32_e32 v10, 0x10000, v8
	v_cmp_eq_u32_sdwa s[6:7], v8, v25 src0_sel:WORD_0 src1_sel:DWORD
	v_cndmask_b32_e64 v21, v10, v8, s[6:7]
; %bb.538:                              ;   in Loop: Header=BB352_351 Depth=1
	s_or_b64 exec, exec, s[26:27]
	v_mov_b32_e32 v24, v7
	v_cmp_ne_u16_sdwa s[6:7], v7, v25 src0_sel:BYTE_0 src1_sel:DWORD
	v_mov_b32_e32 v8, 0
	s_and_saveexec_b64 s[26:27], s[6:7]
	s_cbranch_execz .LBB352_544
; %bb.539:                              ;   in Loop: Header=BB352_351 Depth=1
	v_cmp_ne_u16_sdwa s[6:7], v7, s36 src0_sel:BYTE_0 src1_sel:DWORD
	v_bfrev_b32_e32 v8, 1
	s_and_saveexec_b64 s[28:29], s[6:7]
	s_cbranch_execz .LBB352_543
; %bb.540:                              ;   in Loop: Header=BB352_351 Depth=1
	v_and_b32_e32 v20, 0x7f, v7
	v_cmp_ne_u32_e64 s[6:7], s37, v20
	v_mov_b32_e32 v8, 0x7f800001
	s_and_saveexec_b64 s[30:31], s[6:7]
	s_cbranch_execz .LBB352_542
; %bb.541:                              ;   in Loop: Header=BB352_351 Depth=1
	v_and_b32_e32 v8, 7, v7
	v_ffbh_u32_e32 v8, v8
	v_min_u32_e32 v8, 32, v8
	v_lshrrev_b32_e32 v10, 3, v20
	v_subrev_u32_e32 v11, 28, v8
	v_sub_u32_e32 v8, 29, v8
	v_cmp_gt_u32_e64 s[6:7], 8, v20
	v_cndmask_b32_e64 v8, v10, v8, s[6:7]
	v_cndmask_b32_e64 v10, 0, v11, s[6:7]
	v_lshlrev_b64 v[26:27], v10, v[24:25]
	v_lshlrev_b32_e32 v10, 20, v26
	v_lshlrev_b32_e32 v11, 24, v24
	v_and_b32_e32 v10, 0x700000, v10
	v_and_b32_e32 v11, 0x80000000, v11
	v_lshl_add_u32 v8, v8, 23, v39
	v_or3_b32 v8, v11, v8, v10
.LBB352_542:                            ;   in Loop: Header=BB352_351 Depth=1
	s_or_b64 exec, exec, s[30:31]
.LBB352_543:                            ;   in Loop: Header=BB352_351 Depth=1
	s_or_b64 exec, exec, s[28:29]
.LBB352_544:                            ;   in Loop: Header=BB352_351 Depth=1
	s_or_b64 exec, exec, s[26:27]
	v_mul_f32_e32 v8, v4, v8
	v_and_b32_e32 v10, 0x7f800000, v8
	v_cmp_ne_u32_e64 s[6:7], s9, v10
                                        ; implicit-def: $vgpr22
	s_and_saveexec_b64 s[26:27], s[6:7]
	s_xor_b64 s[6:7], exec, s[26:27]
; %bb.545:                              ;   in Loop: Header=BB352_351 Depth=1
	v_bfe_u32 v10, v8, 16, 1
	v_add3_u32 v22, v8, v10, s15
                                        ; implicit-def: $vgpr8
; %bb.546:                              ;   in Loop: Header=BB352_351 Depth=1
	s_andn2_saveexec_b64 s[26:27], s[6:7]
; %bb.547:                              ;   in Loop: Header=BB352_351 Depth=1
	v_or_b32_e32 v10, 0x10000, v8
	v_cmp_eq_u32_sdwa s[6:7], v8, v25 src0_sel:WORD_0 src1_sel:DWORD
	v_cndmask_b32_e64 v22, v10, v8, s[6:7]
; %bb.548:                              ;   in Loop: Header=BB352_351 Depth=1
	s_or_b64 exec, exec, s[26:27]
	v_lshrrev_b16_e32 v8, 8, v24
	v_cmp_ne_u16_e64 s[6:7], 0, v8
	v_mov_b32_e32 v26, 0
	s_and_saveexec_b64 s[26:27], s[6:7]
	s_cbranch_execz .LBB352_554
; %bb.549:                              ;   in Loop: Header=BB352_351 Depth=1
	v_cmp_ne_u16_e64 s[6:7], s36, v8
	v_bfrev_b32_e32 v26, 1
	s_and_saveexec_b64 s[28:29], s[6:7]
	s_cbranch_execz .LBB352_553
; %bb.550:                              ;   in Loop: Header=BB352_351 Depth=1
	v_and_b32_e32 v27, 0x7f, v8
	v_cmp_ne_u32_e64 s[6:7], s37, v27
	v_mov_b32_e32 v26, 0x7f800001
	s_and_saveexec_b64 s[30:31], s[6:7]
	s_cbranch_execz .LBB352_552
; %bb.551:                              ;   in Loop: Header=BB352_351 Depth=1
	v_and_b32_e32 v10, 7, v8
	v_ffbh_u32_e32 v18, v10
	v_min_u32_e32 v18, 32, v18
	v_subrev_u32_e32 v20, 28, v18
	v_lshlrev_b64 v[30:31], v20, v[8:9]
	v_lshrrev_b32_e32 v11, 3, v27
	v_sub_u32_e32 v8, 29, v18
	v_and_b32_e32 v18, 7, v30
	v_cmp_gt_u32_e64 s[6:7], 8, v27
	v_cndmask_b32_e64 v8, v11, v8, s[6:7]
	v_cndmask_b32_e64 v10, v10, v18, s[6:7]
	v_lshlrev_b32_e32 v11, 16, v24
	v_lshlrev_b32_e32 v10, 20, v10
	v_and_b32_e32 v11, 0x80000000, v11
	v_lshl_add_u32 v8, v8, 23, v39
	v_or3_b32 v26, v11, v8, v10
.LBB352_552:                            ;   in Loop: Header=BB352_351 Depth=1
	s_or_b64 exec, exec, s[30:31]
.LBB352_553:                            ;   in Loop: Header=BB352_351 Depth=1
	s_or_b64 exec, exec, s[28:29]
.LBB352_554:                            ;   in Loop: Header=BB352_351 Depth=1
	s_or_b64 exec, exec, s[26:27]
	v_mul_f32_e32 v8, v4, v26
	v_and_b32_e32 v10, 0x7f800000, v8
	v_cmp_ne_u32_e64 s[6:7], s9, v10
                                        ; implicit-def: $vgpr24
	s_and_saveexec_b64 s[26:27], s[6:7]
	s_xor_b64 s[6:7], exec, s[26:27]
; %bb.555:                              ;   in Loop: Header=BB352_351 Depth=1
	v_bfe_u32 v10, v8, 16, 1
	v_add3_u32 v24, v8, v10, s15
                                        ; implicit-def: $vgpr8
; %bb.556:                              ;   in Loop: Header=BB352_351 Depth=1
	s_andn2_saveexec_b64 s[26:27], s[6:7]
; %bb.557:                              ;   in Loop: Header=BB352_351 Depth=1
	v_or_b32_e32 v10, 0x10000, v8
	v_cmp_eq_u32_sdwa s[6:7], v8, v25 src0_sel:WORD_0 src1_sel:DWORD
	v_cndmask_b32_e64 v24, v10, v8, s[6:7]
; %bb.558:                              ;   in Loop: Header=BB352_351 Depth=1
	s_or_b64 exec, exec, s[26:27]
	v_lshrrev_b32_e32 v8, 16, v7
	v_cmp_ne_u16_sdwa s[6:7], v8, v25 src0_sel:BYTE_0 src1_sel:DWORD
	v_mov_b32_e32 v26, 0
	s_and_saveexec_b64 s[26:27], s[6:7]
	s_cbranch_execz .LBB352_564
; %bb.559:                              ;   in Loop: Header=BB352_351 Depth=1
	v_cmp_ne_u16_sdwa s[6:7], v8, s36 src0_sel:BYTE_0 src1_sel:DWORD
	v_bfrev_b32_e32 v26, 1
	s_and_saveexec_b64 s[28:29], s[6:7]
	s_cbranch_execz .LBB352_563
; %bb.560:                              ;   in Loop: Header=BB352_351 Depth=1
	v_bfe_u32 v27, v7, 16, 7
	v_cmp_ne_u32_e64 s[6:7], s37, v27
	v_mov_b32_e32 v26, 0x7f800001
	s_and_saveexec_b64 s[30:31], s[6:7]
	s_cbranch_execz .LBB352_562
; %bb.561:                              ;   in Loop: Header=BB352_351 Depth=1
	v_and_b32_e32 v10, 7, v8
	v_ffbh_u32_e32 v18, v10
	v_min_u32_e32 v18, 32, v18
	v_subrev_u32_e32 v20, 28, v18
	v_lshlrev_b64 v[30:31], v20, v[8:9]
	v_lshrrev_b32_e32 v11, 3, v27
	v_sub_u32_e32 v18, 29, v18
	v_and_b32_e32 v20, 7, v30
	v_cmp_gt_u32_e64 s[6:7], 8, v27
	v_cndmask_b32_e64 v11, v11, v18, s[6:7]
	v_cndmask_b32_e64 v10, v10, v20, s[6:7]
	v_lshlrev_b32_e32 v8, 24, v8
	v_lshlrev_b32_e32 v10, 20, v10
	v_and_b32_e32 v8, 0x80000000, v8
	v_lshl_add_u32 v11, v11, 23, v39
	v_or3_b32 v26, v8, v11, v10
.LBB352_562:                            ;   in Loop: Header=BB352_351 Depth=1
	s_or_b64 exec, exec, s[30:31]
.LBB352_563:                            ;   in Loop: Header=BB352_351 Depth=1
	s_or_b64 exec, exec, s[28:29]
.LBB352_564:                            ;   in Loop: Header=BB352_351 Depth=1
	s_or_b64 exec, exec, s[26:27]
	v_mul_f32_e32 v8, v4, v26
	v_and_b32_e32 v10, 0x7f800000, v8
	v_cmp_ne_u32_e64 s[6:7], s9, v10
                                        ; implicit-def: $vgpr26
	s_and_saveexec_b64 s[26:27], s[6:7]
	s_xor_b64 s[6:7], exec, s[26:27]
; %bb.565:                              ;   in Loop: Header=BB352_351 Depth=1
	v_bfe_u32 v10, v8, 16, 1
	v_add3_u32 v26, v8, v10, s15
                                        ; implicit-def: $vgpr8
; %bb.566:                              ;   in Loop: Header=BB352_351 Depth=1
	s_andn2_saveexec_b64 s[26:27], s[6:7]
; %bb.567:                              ;   in Loop: Header=BB352_351 Depth=1
	v_or_b32_e32 v10, 0x10000, v8
	v_cmp_eq_u32_sdwa s[6:7], v8, v25 src0_sel:WORD_0 src1_sel:DWORD
	v_cndmask_b32_e64 v26, v10, v8, s[6:7]
; %bb.568:                              ;   in Loop: Header=BB352_351 Depth=1
	s_or_b64 exec, exec, s[26:27]
	v_cmp_lt_u64_e64 s[6:7], s[20:21], v[6:7]
	v_mov_b32_e32 v8, 0
	s_and_saveexec_b64 s[26:27], s[6:7]
	s_cbranch_execz .LBB352_574
; %bb.569:                              ;   in Loop: Header=BB352_351 Depth=1
	v_lshrrev_b32_e32 v6, 24, v7
	v_cmp_ne_u32_e64 s[6:7], s36, v6
	v_bfrev_b32_e32 v8, 1
	s_and_saveexec_b64 s[28:29], s[6:7]
	s_cbranch_execz .LBB352_573
; %bb.570:                              ;   in Loop: Header=BB352_351 Depth=1
	v_bfe_u32 v7, v7, 24, 7
	v_cmp_ne_u32_e64 s[6:7], s37, v7
	v_mov_b32_e32 v8, 0x7f800001
	s_and_saveexec_b64 s[30:31], s[6:7]
	s_cbranch_execz .LBB352_572
; %bb.571:                              ;   in Loop: Header=BB352_351 Depth=1
	v_and_b32_e32 v8, 7, v6
	v_ffbh_u32_e32 v11, v8
	v_min_u32_e32 v11, 32, v11
	v_subrev_u32_e32 v18, 28, v11
	v_lshlrev_b64 v[30:31], v18, v[6:7]
	v_lshrrev_b32_e32 v10, 3, v7
	v_sub_u32_e32 v11, 29, v11
	v_and_b32_e32 v18, 7, v30
	v_cmp_gt_u32_e64 s[6:7], 8, v7
	v_cndmask_b32_e64 v7, v10, v11, s[6:7]
	v_cndmask_b32_e64 v8, v8, v18, s[6:7]
	v_lshlrev_b32_e32 v6, 24, v6
	v_lshlrev_b32_e32 v8, 20, v8
	v_and_b32_e32 v6, 0x80000000, v6
	v_lshl_add_u32 v7, v7, 23, v39
	v_or3_b32 v8, v6, v7, v8
.LBB352_572:                            ;   in Loop: Header=BB352_351 Depth=1
	s_or_b64 exec, exec, s[30:31]
.LBB352_573:                            ;   in Loop: Header=BB352_351 Depth=1
	s_or_b64 exec, exec, s[28:29]
.LBB352_574:                            ;   in Loop: Header=BB352_351 Depth=1
	s_or_b64 exec, exec, s[26:27]
	v_mul_f32_e32 v7, v4, v8
	v_and_b32_e32 v6, 0x7f800000, v7
	v_cmp_ne_u32_e64 s[6:7], s9, v6
                                        ; implicit-def: $vgpr6
	s_and_saveexec_b64 s[26:27], s[6:7]
	s_xor_b64 s[6:7], exec, s[26:27]
; %bb.575:                              ;   in Loop: Header=BB352_351 Depth=1
	v_bfe_u32 v6, v7, 16, 1
	v_add3_u32 v6, v7, v6, s15
                                        ; implicit-def: $vgpr7
; %bb.576:                              ;   in Loop: Header=BB352_351 Depth=1
	s_andn2_saveexec_b64 s[26:27], s[6:7]
; %bb.577:                              ;   in Loop: Header=BB352_351 Depth=1
	v_or_b32_e32 v6, 0x10000, v7
	v_cmp_eq_u32_sdwa s[6:7], v7, v25 src0_sel:WORD_0 src1_sel:DWORD
	v_cndmask_b32_e64 v6, v6, v7, s[6:7]
; %bb.578:                              ;   in Loop: Header=BB352_351 Depth=1
	s_or_b64 exec, exec, s[26:27]
	v_lshrrev_b32_e32 v24, 16, v24
	v_lshrrev_b32_e32 v22, 16, v22
	;; [unrolled: 1-line block ×8, first 2 shown]
	s_and_saveexec_b64 s[26:27], s[4:5]
	s_cbranch_execz .LBB352_580
; %bb.579:                              ;   in Loop: Header=BB352_351 Depth=1
	v_accvgpr_read_b32 v11, a5
	v_cmp_lt_i32_e64 s[6:7], v55, v11
	v_add_u32_e32 v10, 1, v55
	v_cndmask_b32_e64 v5, 0, v5, s[6:7]
	v_cmp_lt_i32_e64 s[6:7], v10, v11
	v_add_u32_e32 v10, 2, v55
	v_cndmask_b32_e64 v7, 0, v7, s[6:7]
	;; [unrolled: 3-line block ×7, first 2 shown]
	v_cmp_lt_i32_e64 s[6:7], v10, v11
	v_cndmask_b32_e64 v6, 0, v6, s[6:7]
.LBB352_580:                            ;   in Loop: Header=BB352_351 Depth=1
	s_or_b64 exec, exec, s[26:27]
	v_lshlrev_b32_e32 v5, 16, v5
	v_mul_f32_e32 v17, v40, v5
	v_and_b32_e32 v5, 0x7f800000, v17
	v_cmp_ne_u32_e64 s[6:7], s9, v5
                                        ; implicit-def: $vgpr5
	s_and_saveexec_b64 s[26:27], s[6:7]
	s_xor_b64 s[6:7], exec, s[26:27]
; %bb.581:                              ;   in Loop: Header=BB352_351 Depth=1
	v_bfe_u32 v5, v17, 16, 1
	v_add3_u32 v5, v17, v5, s15
                                        ; implicit-def: $vgpr17
; %bb.582:                              ;   in Loop: Header=BB352_351 Depth=1
	s_andn2_saveexec_b64 s[26:27], s[6:7]
; %bb.583:                              ;   in Loop: Header=BB352_351 Depth=1
	v_or_b32_e32 v5, 0x10000, v17
	v_cmp_eq_u32_sdwa s[6:7], v17, v25 src0_sel:WORD_0 src1_sel:DWORD
	v_cndmask_b32_e64 v5, v5, v17, s[6:7]
; %bb.584:                              ;   in Loop: Header=BB352_351 Depth=1
	s_or_b64 exec, exec, s[26:27]
	v_lshlrev_b32_e32 v7, 16, v7
	v_mul_f32_e32 v17, v42, v7
	v_and_b32_e32 v7, 0x7f800000, v17
	v_cmp_ne_u32_e64 s[6:7], s9, v7
                                        ; implicit-def: $vgpr7
	s_and_saveexec_b64 s[26:27], s[6:7]
	s_xor_b64 s[6:7], exec, s[26:27]
; %bb.585:                              ;   in Loop: Header=BB352_351 Depth=1
	v_bfe_u32 v7, v17, 16, 1
	v_add3_u32 v7, v17, v7, s15
                                        ; implicit-def: $vgpr17
; %bb.586:                              ;   in Loop: Header=BB352_351 Depth=1
	s_andn2_saveexec_b64 s[26:27], s[6:7]
; %bb.587:                              ;   in Loop: Header=BB352_351 Depth=1
	v_or_b32_e32 v7, 0x10000, v17
	v_cmp_eq_u32_sdwa s[6:7], v17, v25 src0_sel:WORD_0 src1_sel:DWORD
	v_cndmask_b32_e64 v7, v7, v17, s[6:7]
; %bb.588:                              ;   in Loop: Header=BB352_351 Depth=1
	s_or_b64 exec, exec, s[26:27]
	v_lshlrev_b32_e32 v8, 16, v8
	v_mul_f32_e32 v17, v46, v8
	v_and_b32_e32 v8, 0x7f800000, v17
	v_cmp_ne_u32_e64 s[6:7], s9, v8
                                        ; implicit-def: $vgpr8
	s_and_saveexec_b64 s[26:27], s[6:7]
	s_xor_b64 s[6:7], exec, s[26:27]
; %bb.589:                              ;   in Loop: Header=BB352_351 Depth=1
	v_bfe_u32 v8, v17, 16, 1
	v_add3_u32 v8, v17, v8, s15
                                        ; implicit-def: $vgpr17
; %bb.590:                              ;   in Loop: Header=BB352_351 Depth=1
	s_andn2_saveexec_b64 s[26:27], s[6:7]
; %bb.591:                              ;   in Loop: Header=BB352_351 Depth=1
	v_or_b32_e32 v8, 0x10000, v17
	v_cmp_eq_u32_sdwa s[6:7], v17, v25 src0_sel:WORD_0 src1_sel:DWORD
	v_cndmask_b32_e64 v8, v8, v17, s[6:7]
; %bb.592:                              ;   in Loop: Header=BB352_351 Depth=1
	s_or_b64 exec, exec, s[26:27]
	v_lshlrev_b32_e32 v10, 16, v21
	v_mul_f32_e32 v17, v47, v10
	v_and_b32_e32 v10, 0x7f800000, v17
	v_cmp_ne_u32_e64 s[6:7], s9, v10
                                        ; implicit-def: $vgpr60
	s_and_saveexec_b64 s[26:27], s[6:7]
	s_xor_b64 s[6:7], exec, s[26:27]
; %bb.593:                              ;   in Loop: Header=BB352_351 Depth=1
	v_bfe_u32 v10, v17, 16, 1
	v_add3_u32 v60, v17, v10, s15
                                        ; implicit-def: $vgpr17
; %bb.594:                              ;   in Loop: Header=BB352_351 Depth=1
	s_andn2_saveexec_b64 s[26:27], s[6:7]
; %bb.595:                              ;   in Loop: Header=BB352_351 Depth=1
	v_or_b32_e32 v10, 0x10000, v17
	v_cmp_eq_u32_sdwa s[6:7], v17, v25 src0_sel:WORD_0 src1_sel:DWORD
	v_cndmask_b32_e64 v60, v10, v17, s[6:7]
; %bb.596:                              ;   in Loop: Header=BB352_351 Depth=1
	s_or_b64 exec, exec, s[26:27]
	v_lshlrev_b32_e32 v10, 16, v22
	v_mul_f32_e32 v17, v56, v10
	v_and_b32_e32 v10, 0x7f800000, v17
	v_cmp_ne_u32_e64 s[6:7], s9, v10
                                        ; implicit-def: $vgpr61
	s_and_saveexec_b64 s[26:27], s[6:7]
	s_xor_b64 s[6:7], exec, s[26:27]
; %bb.597:                              ;   in Loop: Header=BB352_351 Depth=1
	v_bfe_u32 v10, v17, 16, 1
	v_add3_u32 v61, v17, v10, s15
                                        ; implicit-def: $vgpr17
; %bb.598:                              ;   in Loop: Header=BB352_351 Depth=1
	s_andn2_saveexec_b64 s[26:27], s[6:7]
; %bb.599:                              ;   in Loop: Header=BB352_351 Depth=1
	v_or_b32_e32 v10, 0x10000, v17
	v_cmp_eq_u32_sdwa s[6:7], v17, v25 src0_sel:WORD_0 src1_sel:DWORD
	v_cndmask_b32_e64 v61, v10, v17, s[6:7]
; %bb.600:                              ;   in Loop: Header=BB352_351 Depth=1
	s_or_b64 exec, exec, s[26:27]
	v_lshlrev_b32_e32 v10, 16, v24
	v_mul_f32_e32 v17, v57, v10
	v_and_b32_e32 v10, 0x7f800000, v17
	v_cmp_ne_u32_e64 s[6:7], s9, v10
                                        ; implicit-def: $vgpr62
	s_and_saveexec_b64 s[26:27], s[6:7]
	s_xor_b64 s[6:7], exec, s[26:27]
; %bb.601:                              ;   in Loop: Header=BB352_351 Depth=1
	v_bfe_u32 v10, v17, 16, 1
	v_add3_u32 v62, v17, v10, s15
                                        ; implicit-def: $vgpr17
; %bb.602:                              ;   in Loop: Header=BB352_351 Depth=1
	s_andn2_saveexec_b64 s[26:27], s[6:7]
; %bb.603:                              ;   in Loop: Header=BB352_351 Depth=1
	v_or_b32_e32 v10, 0x10000, v17
	v_cmp_eq_u32_sdwa s[6:7], v17, v25 src0_sel:WORD_0 src1_sel:DWORD
	v_cndmask_b32_e64 v62, v10, v17, s[6:7]
; %bb.604:                              ;   in Loop: Header=BB352_351 Depth=1
	s_or_b64 exec, exec, s[26:27]
	v_lshlrev_b32_e32 v10, 16, v16
	v_mul_f32_e32 v16, v58, v10
	v_and_b32_e32 v10, 0x7f800000, v16
	v_cmp_ne_u32_e64 s[6:7], s9, v10
                                        ; implicit-def: $vgpr31
	s_and_saveexec_b64 s[26:27], s[6:7]
	s_xor_b64 s[6:7], exec, s[26:27]
; %bb.605:                              ;   in Loop: Header=BB352_351 Depth=1
	v_bfe_u32 v10, v16, 16, 1
	v_add3_u32 v31, v16, v10, s15
                                        ; implicit-def: $vgpr16
; %bb.606:                              ;   in Loop: Header=BB352_351 Depth=1
	s_andn2_saveexec_b64 s[26:27], s[6:7]
; %bb.607:                              ;   in Loop: Header=BB352_351 Depth=1
	v_or_b32_e32 v10, 0x10000, v16
	v_cmp_eq_u32_sdwa s[6:7], v16, v25 src0_sel:WORD_0 src1_sel:DWORD
	v_cndmask_b32_e64 v31, v10, v16, s[6:7]
; %bb.608:                              ;   in Loop: Header=BB352_351 Depth=1
	s_or_b64 exec, exec, s[26:27]
	v_lshlrev_b32_e32 v6, 16, v6
	v_mul_f32_e32 v6, v59, v6
	v_and_b32_e32 v10, 0x7f800000, v6
	v_cmp_ne_u32_e64 s[6:7], s9, v10
                                        ; implicit-def: $vgpr34
	s_and_saveexec_b64 s[26:27], s[6:7]
	s_xor_b64 s[6:7], exec, s[26:27]
; %bb.609:                              ;   in Loop: Header=BB352_351 Depth=1
	v_bfe_u32 v10, v6, 16, 1
	v_add3_u32 v34, v6, v10, s15
                                        ; implicit-def: $vgpr6
; %bb.610:                              ;   in Loop: Header=BB352_351 Depth=1
	s_andn2_saveexec_b64 s[26:27], s[6:7]
; %bb.611:                              ;   in Loop: Header=BB352_351 Depth=1
	v_or_b32_e32 v10, 0x10000, v6
	v_cmp_eq_u32_sdwa s[6:7], v6, v25 src0_sel:WORD_0 src1_sel:DWORD
	v_cndmask_b32_e64 v34, v10, v6, s[6:7]
; %bb.612:                              ;   in Loop: Header=BB352_351 Depth=1
	s_or_b64 exec, exec, s[26:27]
	flat_load_dwordx2 v[2:3], v[2:3] offset:1024
	v_mov_b32_e32 v6, 0
	s_waitcnt vmcnt(0) lgkmcnt(0)
	v_cmp_ne_u16_sdwa s[6:7], v2, v25 src0_sel:BYTE_0 src1_sel:DWORD
	s_and_saveexec_b64 s[26:27], s[6:7]
	s_cbranch_execz .LBB352_618
; %bb.613:                              ;   in Loop: Header=BB352_351 Depth=1
	v_cmp_ne_u16_sdwa s[6:7], v2, s36 src0_sel:BYTE_0 src1_sel:DWORD
	v_bfrev_b32_e32 v6, 1
	s_and_saveexec_b64 s[28:29], s[6:7]
	s_cbranch_execz .LBB352_617
; %bb.614:                              ;   in Loop: Header=BB352_351 Depth=1
	v_and_b32_e32 v16, 0x7f, v2
	v_cmp_ne_u32_e64 s[6:7], s37, v16
	v_mov_b32_e32 v6, 0x7f800001
	s_and_saveexec_b64 s[30:31], s[6:7]
	s_cbranch_execz .LBB352_616
; %bb.615:                              ;   in Loop: Header=BB352_351 Depth=1
	v_and_b32_e32 v6, 7, v2
	v_ffbh_u32_e32 v6, v6
	v_min_u32_e32 v6, 32, v6
	v_lshrrev_b32_e32 v10, 3, v16
	v_subrev_u32_e32 v11, 28, v6
	v_sub_u32_e32 v6, 29, v6
	v_cmp_gt_u32_e64 s[6:7], 8, v16
	v_cndmask_b32_e64 v6, v10, v6, s[6:7]
	v_cndmask_b32_e64 v10, 0, v11, s[6:7]
	v_lshlrev_b64 v[16:17], v10, v[2:3]
	v_lshlrev_b32_e32 v10, 20, v16
	v_lshlrev_b32_e32 v11, 24, v2
	v_and_b32_e32 v10, 0x700000, v10
	v_and_b32_e32 v11, 0x80000000, v11
	v_lshl_add_u32 v6, v6, 23, v39
	v_or3_b32 v6, v11, v6, v10
.LBB352_616:                            ;   in Loop: Header=BB352_351 Depth=1
	s_or_b64 exec, exec, s[30:31]
.LBB352_617:                            ;   in Loop: Header=BB352_351 Depth=1
	s_or_b64 exec, exec, s[28:29]
.LBB352_618:                            ;   in Loop: Header=BB352_351 Depth=1
	s_or_b64 exec, exec, s[26:27]
	v_mul_f32_e32 v6, v4, v6
	v_and_b32_e32 v10, 0x7f800000, v6
	v_cmp_ne_u32_e64 s[6:7], s9, v10
                                        ; implicit-def: $vgpr17
	s_and_saveexec_b64 s[26:27], s[6:7]
	s_xor_b64 s[6:7], exec, s[26:27]
; %bb.619:                              ;   in Loop: Header=BB352_351 Depth=1
	v_bfe_u32 v10, v6, 16, 1
	v_add3_u32 v17, v6, v10, s15
                                        ; implicit-def: $vgpr6
; %bb.620:                              ;   in Loop: Header=BB352_351 Depth=1
	s_andn2_saveexec_b64 s[26:27], s[6:7]
; %bb.621:                              ;   in Loop: Header=BB352_351 Depth=1
	v_or_b32_e32 v10, 0x10000, v6
	v_cmp_eq_u32_sdwa s[6:7], v6, v25 src0_sel:WORD_0 src1_sel:DWORD
	v_cndmask_b32_e64 v17, v10, v6, s[6:7]
; %bb.622:                              ;   in Loop: Header=BB352_351 Depth=1
	s_or_b64 exec, exec, s[26:27]
	v_lshrrev_b16_e32 v6, 8, v2
	v_cmp_ne_u16_e64 s[6:7], 0, v6
	v_mov_b32_e32 v16, 0
	s_and_saveexec_b64 s[26:27], s[6:7]
	s_cbranch_execz .LBB352_628
; %bb.623:                              ;   in Loop: Header=BB352_351 Depth=1
	v_cmp_ne_u16_e64 s[6:7], s36, v6
	v_bfrev_b32_e32 v16, 1
	s_and_saveexec_b64 s[28:29], s[6:7]
	s_cbranch_execz .LBB352_627
; %bb.624:                              ;   in Loop: Header=BB352_351 Depth=1
	v_and_b32_e32 v21, 0x7f, v6
	v_cmp_ne_u32_e64 s[6:7], s37, v21
	v_mov_b32_e32 v16, 0x7f800001
	s_and_saveexec_b64 s[30:31], s[6:7]
	s_cbranch_execz .LBB352_626
; %bb.625:                              ;   in Loop: Header=BB352_351 Depth=1
	v_and_b32_e32 v10, 7, v6
	v_ffbh_u32_e32 v16, v10
	v_min_u32_e32 v16, 32, v16
	v_subrev_u32_e32 v18, 28, v16
	v_lshlrev_b64 v[26:27], v18, v[6:7]
	v_lshrrev_b32_e32 v11, 3, v21
	v_sub_u32_e32 v6, 29, v16
	v_and_b32_e32 v16, 7, v26
	v_cmp_gt_u32_e64 s[6:7], 8, v21
	v_cndmask_b32_e64 v6, v11, v6, s[6:7]
	v_cndmask_b32_e64 v10, v10, v16, s[6:7]
	v_lshlrev_b32_e32 v11, 16, v2
	v_lshlrev_b32_e32 v10, 20, v10
	v_and_b32_e32 v11, 0x80000000, v11
	v_lshl_add_u32 v6, v6, 23, v39
	v_or3_b32 v16, v11, v6, v10
.LBB352_626:                            ;   in Loop: Header=BB352_351 Depth=1
	s_or_b64 exec, exec, s[30:31]
.LBB352_627:                            ;   in Loop: Header=BB352_351 Depth=1
	s_or_b64 exec, exec, s[28:29]
.LBB352_628:                            ;   in Loop: Header=BB352_351 Depth=1
	s_or_b64 exec, exec, s[26:27]
	v_mul_f32_e32 v6, v4, v16
	v_and_b32_e32 v10, 0x7f800000, v6
	v_cmp_ne_u32_e64 s[6:7], s9, v10
                                        ; implicit-def: $vgpr16
	s_and_saveexec_b64 s[26:27], s[6:7]
	s_xor_b64 s[6:7], exec, s[26:27]
; %bb.629:                              ;   in Loop: Header=BB352_351 Depth=1
	v_bfe_u32 v10, v6, 16, 1
	v_add3_u32 v16, v6, v10, s15
                                        ; implicit-def: $vgpr6
; %bb.630:                              ;   in Loop: Header=BB352_351 Depth=1
	s_andn2_saveexec_b64 s[26:27], s[6:7]
; %bb.631:                              ;   in Loop: Header=BB352_351 Depth=1
	v_or_b32_e32 v10, 0x10000, v6
	v_cmp_eq_u32_sdwa s[6:7], v6, v25 src0_sel:WORD_0 src1_sel:DWORD
	v_cndmask_b32_e64 v16, v10, v6, s[6:7]
; %bb.632:                              ;   in Loop: Header=BB352_351 Depth=1
	s_or_b64 exec, exec, s[26:27]
	v_lshrrev_b32_e32 v6, 16, v2
	v_cmp_ne_u16_sdwa s[6:7], v6, v25 src0_sel:BYTE_0 src1_sel:DWORD
	v_mov_b32_e32 v21, 0
	s_and_saveexec_b64 s[26:27], s[6:7]
	s_cbranch_execz .LBB352_638
; %bb.633:                              ;   in Loop: Header=BB352_351 Depth=1
	v_cmp_ne_u16_sdwa s[6:7], v6, s36 src0_sel:BYTE_0 src1_sel:DWORD
	v_bfrev_b32_e32 v21, 1
	s_and_saveexec_b64 s[28:29], s[6:7]
	s_cbranch_execz .LBB352_637
; %bb.634:                              ;   in Loop: Header=BB352_351 Depth=1
	v_bfe_u32 v22, v2, 16, 7
	v_cmp_ne_u32_e64 s[6:7], s37, v22
	v_mov_b32_e32 v21, 0x7f800001
	s_and_saveexec_b64 s[30:31], s[6:7]
	s_cbranch_execz .LBB352_636
; %bb.635:                              ;   in Loop: Header=BB352_351 Depth=1
	v_and_b32_e32 v10, 7, v6
	v_ffbh_u32_e32 v18, v10
	v_min_u32_e32 v18, 32, v18
	v_subrev_u32_e32 v20, 28, v18
	v_lshlrev_b64 v[20:21], v20, v[6:7]
	v_lshrrev_b32_e32 v11, 3, v22
	v_sub_u32_e32 v18, 29, v18
	v_and_b32_e32 v20, 7, v20
	v_cmp_gt_u32_e64 s[6:7], 8, v22
	v_cndmask_b32_e64 v11, v11, v18, s[6:7]
	v_cndmask_b32_e64 v10, v10, v20, s[6:7]
	v_lshlrev_b32_e32 v6, 24, v6
	v_lshlrev_b32_e32 v10, 20, v10
	v_and_b32_e32 v6, 0x80000000, v6
	v_lshl_add_u32 v11, v11, 23, v39
	v_or3_b32 v21, v6, v11, v10
.LBB352_636:                            ;   in Loop: Header=BB352_351 Depth=1
	s_or_b64 exec, exec, s[30:31]
.LBB352_637:                            ;   in Loop: Header=BB352_351 Depth=1
	s_or_b64 exec, exec, s[28:29]
.LBB352_638:                            ;   in Loop: Header=BB352_351 Depth=1
	s_or_b64 exec, exec, s[26:27]
	v_mul_f32_e32 v6, v4, v21
	v_and_b32_e32 v10, 0x7f800000, v6
	v_cmp_ne_u32_e64 s[6:7], s9, v10
                                        ; implicit-def: $vgpr21
	s_and_saveexec_b64 s[26:27], s[6:7]
	s_xor_b64 s[6:7], exec, s[26:27]
; %bb.639:                              ;   in Loop: Header=BB352_351 Depth=1
	v_bfe_u32 v10, v6, 16, 1
	v_add3_u32 v21, v6, v10, s15
                                        ; implicit-def: $vgpr6
; %bb.640:                              ;   in Loop: Header=BB352_351 Depth=1
	s_andn2_saveexec_b64 s[26:27], s[6:7]
; %bb.641:                              ;   in Loop: Header=BB352_351 Depth=1
	v_or_b32_e32 v10, 0x10000, v6
	v_cmp_eq_u32_sdwa s[6:7], v6, v25 src0_sel:WORD_0 src1_sel:DWORD
	v_cndmask_b32_e64 v21, v10, v6, s[6:7]
; %bb.642:                              ;   in Loop: Header=BB352_351 Depth=1
	s_or_b64 exec, exec, s[26:27]
	v_cmp_lt_u32_e64 s[6:7], s21, v2
	v_mov_b32_e32 v22, 0
	s_and_saveexec_b64 s[26:27], s[6:7]
	s_cbranch_execz .LBB352_648
; %bb.643:                              ;   in Loop: Header=BB352_351 Depth=1
	v_lshrrev_b32_e32 v6, 24, v2
	v_cmp_ne_u32_e64 s[6:7], s36, v6
	v_bfrev_b32_e32 v22, 1
	s_and_saveexec_b64 s[28:29], s[6:7]
	s_cbranch_execz .LBB352_647
; %bb.644:                              ;   in Loop: Header=BB352_351 Depth=1
	v_bfe_u32 v24, v2, 24, 7
	v_cmp_ne_u32_e64 s[6:7], s37, v24
	v_mov_b32_e32 v22, 0x7f800001
	s_and_saveexec_b64 s[30:31], s[6:7]
	s_cbranch_execz .LBB352_646
; %bb.645:                              ;   in Loop: Header=BB352_351 Depth=1
	v_and_b32_e32 v10, 7, v6
	v_ffbh_u32_e32 v18, v10
	v_min_u32_e32 v18, 32, v18
	v_subrev_u32_e32 v20, 28, v18
	v_lshlrev_b64 v[26:27], v20, v[6:7]
	v_lshrrev_b32_e32 v11, 3, v24
	v_sub_u32_e32 v18, 29, v18
	v_and_b32_e32 v20, 7, v26
	v_cmp_gt_u32_e64 s[6:7], 8, v24
	v_cndmask_b32_e64 v11, v11, v18, s[6:7]
	v_cndmask_b32_e64 v10, v10, v20, s[6:7]
	v_lshlrev_b32_e32 v6, 24, v6
	v_lshlrev_b32_e32 v10, 20, v10
	v_and_b32_e32 v6, 0x80000000, v6
	v_lshl_add_u32 v11, v11, 23, v39
	v_or3_b32 v22, v6, v11, v10
.LBB352_646:                            ;   in Loop: Header=BB352_351 Depth=1
	s_or_b64 exec, exec, s[30:31]
.LBB352_647:                            ;   in Loop: Header=BB352_351 Depth=1
	s_or_b64 exec, exec, s[28:29]
.LBB352_648:                            ;   in Loop: Header=BB352_351 Depth=1
	s_or_b64 exec, exec, s[26:27]
	v_mul_f32_e32 v6, v4, v22
	v_and_b32_e32 v10, 0x7f800000, v6
	v_cmp_ne_u32_e64 s[6:7], s9, v10
                                        ; implicit-def: $vgpr22
	s_and_saveexec_b64 s[26:27], s[6:7]
	s_xor_b64 s[6:7], exec, s[26:27]
; %bb.649:                              ;   in Loop: Header=BB352_351 Depth=1
	v_bfe_u32 v10, v6, 16, 1
	v_add3_u32 v22, v6, v10, s15
                                        ; implicit-def: $vgpr6
; %bb.650:                              ;   in Loop: Header=BB352_351 Depth=1
	s_andn2_saveexec_b64 s[26:27], s[6:7]
; %bb.651:                              ;   in Loop: Header=BB352_351 Depth=1
	v_or_b32_e32 v10, 0x10000, v6
	v_cmp_eq_u32_sdwa s[6:7], v6, v25 src0_sel:WORD_0 src1_sel:DWORD
	v_cndmask_b32_e64 v22, v10, v6, s[6:7]
; %bb.652:                              ;   in Loop: Header=BB352_351 Depth=1
	s_or_b64 exec, exec, s[26:27]
	v_mov_b32_e32 v24, v3
	v_cmp_ne_u16_sdwa s[6:7], v3, v25 src0_sel:BYTE_0 src1_sel:DWORD
	v_mov_b32_e32 v6, 0
	s_and_saveexec_b64 s[26:27], s[6:7]
	s_cbranch_execz .LBB352_658
; %bb.653:                              ;   in Loop: Header=BB352_351 Depth=1
	v_cmp_ne_u16_sdwa s[6:7], v3, s36 src0_sel:BYTE_0 src1_sel:DWORD
	v_bfrev_b32_e32 v6, 1
	s_and_saveexec_b64 s[28:29], s[6:7]
	s_cbranch_execz .LBB352_657
; %bb.654:                              ;   in Loop: Header=BB352_351 Depth=1
	v_and_b32_e32 v20, 0x7f, v3
	v_cmp_ne_u32_e64 s[6:7], s37, v20
	v_mov_b32_e32 v6, 0x7f800001
	s_and_saveexec_b64 s[30:31], s[6:7]
	s_cbranch_execz .LBB352_656
; %bb.655:                              ;   in Loop: Header=BB352_351 Depth=1
	v_and_b32_e32 v6, 7, v3
	v_ffbh_u32_e32 v6, v6
	v_min_u32_e32 v6, 32, v6
	v_lshrrev_b32_e32 v10, 3, v20
	v_subrev_u32_e32 v11, 28, v6
	v_sub_u32_e32 v6, 29, v6
	v_cmp_gt_u32_e64 s[6:7], 8, v20
	v_cndmask_b32_e64 v6, v10, v6, s[6:7]
	v_cndmask_b32_e64 v10, 0, v11, s[6:7]
	v_lshlrev_b64 v[26:27], v10, v[24:25]
	v_lshlrev_b32_e32 v10, 20, v26
	v_lshlrev_b32_e32 v11, 24, v24
	v_and_b32_e32 v10, 0x700000, v10
	v_and_b32_e32 v11, 0x80000000, v11
	v_lshl_add_u32 v6, v6, 23, v39
	v_or3_b32 v6, v11, v6, v10
.LBB352_656:                            ;   in Loop: Header=BB352_351 Depth=1
	s_or_b64 exec, exec, s[30:31]
.LBB352_657:                            ;   in Loop: Header=BB352_351 Depth=1
	s_or_b64 exec, exec, s[28:29]
.LBB352_658:                            ;   in Loop: Header=BB352_351 Depth=1
	s_or_b64 exec, exec, s[26:27]
	v_mul_f32_e32 v6, v4, v6
	v_and_b32_e32 v10, 0x7f800000, v6
	v_cmp_ne_u32_e64 s[6:7], s9, v10
                                        ; implicit-def: $vgpr26
	s_and_saveexec_b64 s[26:27], s[6:7]
	s_xor_b64 s[6:7], exec, s[26:27]
; %bb.659:                              ;   in Loop: Header=BB352_351 Depth=1
	v_bfe_u32 v10, v6, 16, 1
	v_add3_u32 v26, v6, v10, s15
                                        ; implicit-def: $vgpr6
; %bb.660:                              ;   in Loop: Header=BB352_351 Depth=1
	s_andn2_saveexec_b64 s[26:27], s[6:7]
; %bb.661:                              ;   in Loop: Header=BB352_351 Depth=1
	v_or_b32_e32 v10, 0x10000, v6
	v_cmp_eq_u32_sdwa s[6:7], v6, v25 src0_sel:WORD_0 src1_sel:DWORD
	v_cndmask_b32_e64 v26, v10, v6, s[6:7]
; %bb.662:                              ;   in Loop: Header=BB352_351 Depth=1
	s_or_b64 exec, exec, s[26:27]
	v_lshrrev_b16_e32 v6, 8, v24
	v_cmp_ne_u16_e64 s[6:7], 0, v6
	v_mov_b32_e32 v27, 0
	s_and_saveexec_b64 s[26:27], s[6:7]
	s_cbranch_execz .LBB352_668
; %bb.663:                              ;   in Loop: Header=BB352_351 Depth=1
	v_cmp_ne_u16_e64 s[6:7], s36, v6
	v_bfrev_b32_e32 v27, 1
	s_and_saveexec_b64 s[28:29], s[6:7]
	s_cbranch_execz .LBB352_667
; %bb.664:                              ;   in Loop: Header=BB352_351 Depth=1
	v_and_b32_e32 v30, 0x7f, v6
	v_cmp_ne_u32_e64 s[6:7], s37, v30
	v_mov_b32_e32 v27, 0x7f800001
	s_and_saveexec_b64 s[30:31], s[6:7]
	s_cbranch_execz .LBB352_666
; %bb.665:                              ;   in Loop: Header=BB352_351 Depth=1
	v_and_b32_e32 v10, 7, v6
	v_ffbh_u32_e32 v18, v10
	v_min_u32_e32 v18, 32, v18
	v_subrev_u32_e32 v20, 28, v18
	v_lshlrev_b64 v[44:45], v20, v[6:7]
	v_lshrrev_b32_e32 v11, 3, v30
	v_sub_u32_e32 v6, 29, v18
	v_and_b32_e32 v18, 7, v44
	v_cmp_gt_u32_e64 s[6:7], 8, v30
	v_cndmask_b32_e64 v6, v11, v6, s[6:7]
	v_cndmask_b32_e64 v10, v10, v18, s[6:7]
	v_lshlrev_b32_e32 v11, 16, v24
	v_lshlrev_b32_e32 v10, 20, v10
	v_and_b32_e32 v11, 0x80000000, v11
	v_lshl_add_u32 v6, v6, 23, v39
	v_or3_b32 v27, v11, v6, v10
.LBB352_666:                            ;   in Loop: Header=BB352_351 Depth=1
	s_or_b64 exec, exec, s[30:31]
.LBB352_667:                            ;   in Loop: Header=BB352_351 Depth=1
	s_or_b64 exec, exec, s[28:29]
.LBB352_668:                            ;   in Loop: Header=BB352_351 Depth=1
	s_or_b64 exec, exec, s[26:27]
	v_mul_f32_e32 v6, v4, v27
	v_and_b32_e32 v10, 0x7f800000, v6
	v_cmp_ne_u32_e64 s[6:7], s9, v10
                                        ; implicit-def: $vgpr24
	s_and_saveexec_b64 s[26:27], s[6:7]
	s_xor_b64 s[6:7], exec, s[26:27]
; %bb.669:                              ;   in Loop: Header=BB352_351 Depth=1
	v_bfe_u32 v10, v6, 16, 1
	v_add3_u32 v24, v6, v10, s15
                                        ; implicit-def: $vgpr6
; %bb.670:                              ;   in Loop: Header=BB352_351 Depth=1
	s_andn2_saveexec_b64 s[26:27], s[6:7]
; %bb.671:                              ;   in Loop: Header=BB352_351 Depth=1
	v_or_b32_e32 v10, 0x10000, v6
	v_cmp_eq_u32_sdwa s[6:7], v6, v25 src0_sel:WORD_0 src1_sel:DWORD
	v_cndmask_b32_e64 v24, v10, v6, s[6:7]
; %bb.672:                              ;   in Loop: Header=BB352_351 Depth=1
	s_or_b64 exec, exec, s[26:27]
	v_lshrrev_b32_e32 v6, 16, v3
	v_cmp_ne_u16_sdwa s[6:7], v6, v25 src0_sel:BYTE_0 src1_sel:DWORD
	v_mov_b32_e32 v27, 0
	s_and_saveexec_b64 s[26:27], s[6:7]
	s_cbranch_execz .LBB352_678
; %bb.673:                              ;   in Loop: Header=BB352_351 Depth=1
	v_cmp_ne_u16_sdwa s[6:7], v6, s36 src0_sel:BYTE_0 src1_sel:DWORD
	v_bfrev_b32_e32 v27, 1
	s_and_saveexec_b64 s[28:29], s[6:7]
	s_cbranch_execz .LBB352_677
; %bb.674:                              ;   in Loop: Header=BB352_351 Depth=1
	v_bfe_u32 v30, v3, 16, 7
	v_cmp_ne_u32_e64 s[6:7], s37, v30
	v_mov_b32_e32 v27, 0x7f800001
	s_and_saveexec_b64 s[30:31], s[6:7]
	s_cbranch_execz .LBB352_676
; %bb.675:                              ;   in Loop: Header=BB352_351 Depth=1
	v_and_b32_e32 v10, 7, v6
	v_ffbh_u32_e32 v18, v10
	v_min_u32_e32 v18, 32, v18
	v_subrev_u32_e32 v20, 28, v18
	v_lshlrev_b64 v[44:45], v20, v[6:7]
	v_lshrrev_b32_e32 v11, 3, v30
	v_sub_u32_e32 v18, 29, v18
	v_and_b32_e32 v20, 7, v44
	v_cmp_gt_u32_e64 s[6:7], 8, v30
	v_cndmask_b32_e64 v11, v11, v18, s[6:7]
	v_cndmask_b32_e64 v10, v10, v20, s[6:7]
	v_lshlrev_b32_e32 v6, 24, v6
	v_lshlrev_b32_e32 v10, 20, v10
	v_and_b32_e32 v6, 0x80000000, v6
	v_lshl_add_u32 v11, v11, 23, v39
	v_or3_b32 v27, v6, v11, v10
.LBB352_676:                            ;   in Loop: Header=BB352_351 Depth=1
	s_or_b64 exec, exec, s[30:31]
.LBB352_677:                            ;   in Loop: Header=BB352_351 Depth=1
	s_or_b64 exec, exec, s[28:29]
.LBB352_678:                            ;   in Loop: Header=BB352_351 Depth=1
	s_or_b64 exec, exec, s[26:27]
	v_mul_f32_e32 v6, v4, v27
	v_and_b32_e32 v10, 0x7f800000, v6
	v_cmp_ne_u32_e64 s[6:7], s9, v10
                                        ; implicit-def: $vgpr27
	s_and_saveexec_b64 s[26:27], s[6:7]
	s_xor_b64 s[6:7], exec, s[26:27]
; %bb.679:                              ;   in Loop: Header=BB352_351 Depth=1
	v_bfe_u32 v10, v6, 16, 1
	v_add3_u32 v27, v6, v10, s15
                                        ; implicit-def: $vgpr6
; %bb.680:                              ;   in Loop: Header=BB352_351 Depth=1
	s_andn2_saveexec_b64 s[26:27], s[6:7]
; %bb.681:                              ;   in Loop: Header=BB352_351 Depth=1
	v_or_b32_e32 v10, 0x10000, v6
	v_cmp_eq_u32_sdwa s[6:7], v6, v25 src0_sel:WORD_0 src1_sel:DWORD
	v_cndmask_b32_e64 v27, v10, v6, s[6:7]
; %bb.682:                              ;   in Loop: Header=BB352_351 Depth=1
	s_or_b64 exec, exec, s[26:27]
	v_cmp_lt_u64_e64 s[6:7], s[20:21], v[2:3]
	v_mov_b32_e32 v6, 0
	s_and_saveexec_b64 s[26:27], s[6:7]
	s_cbranch_execz .LBB352_688
; %bb.683:                              ;   in Loop: Header=BB352_351 Depth=1
	v_lshrrev_b32_e32 v2, 24, v3
	v_cmp_ne_u32_e64 s[6:7], s36, v2
	v_bfrev_b32_e32 v6, 1
	s_and_saveexec_b64 s[28:29], s[6:7]
	s_cbranch_execz .LBB352_687
; %bb.684:                              ;   in Loop: Header=BB352_351 Depth=1
	v_bfe_u32 v3, v3, 24, 7
	v_cmp_ne_u32_e64 s[6:7], s37, v3
	v_mov_b32_e32 v6, 0x7f800001
	s_and_saveexec_b64 s[30:31], s[6:7]
	s_cbranch_execz .LBB352_686
; %bb.685:                              ;   in Loop: Header=BB352_351 Depth=1
	v_and_b32_e32 v6, 7, v2
	v_ffbh_u32_e32 v11, v6
	v_min_u32_e32 v11, 32, v11
	v_subrev_u32_e32 v18, 28, v11
	v_lshlrev_b64 v[44:45], v18, v[2:3]
	v_lshrrev_b32_e32 v10, 3, v3
	v_sub_u32_e32 v11, 29, v11
	v_and_b32_e32 v18, 7, v44
	v_cmp_gt_u32_e64 s[6:7], 8, v3
	v_cndmask_b32_e64 v3, v10, v11, s[6:7]
	v_cndmask_b32_e64 v6, v6, v18, s[6:7]
	v_lshlrev_b32_e32 v2, 24, v2
	v_lshlrev_b32_e32 v6, 20, v6
	v_and_b32_e32 v2, 0x80000000, v2
	v_lshl_add_u32 v3, v3, 23, v39
	v_or3_b32 v6, v2, v3, v6
.LBB352_686:                            ;   in Loop: Header=BB352_351 Depth=1
	s_or_b64 exec, exec, s[30:31]
.LBB352_687:                            ;   in Loop: Header=BB352_351 Depth=1
	s_or_b64 exec, exec, s[28:29]
.LBB352_688:                            ;   in Loop: Header=BB352_351 Depth=1
	s_or_b64 exec, exec, s[26:27]
	v_mul_f32_e32 v3, v4, v6
	v_and_b32_e32 v2, 0x7f800000, v3
	v_cmp_ne_u32_e64 s[6:7], s9, v2
                                        ; implicit-def: $vgpr2
	s_and_saveexec_b64 s[26:27], s[6:7]
	s_xor_b64 s[6:7], exec, s[26:27]
; %bb.689:                              ;   in Loop: Header=BB352_351 Depth=1
	v_bfe_u32 v2, v3, 16, 1
	v_add3_u32 v2, v3, v2, s15
                                        ; implicit-def: $vgpr3
; %bb.690:                              ;   in Loop: Header=BB352_351 Depth=1
	s_andn2_saveexec_b64 s[26:27], s[6:7]
; %bb.691:                              ;   in Loop: Header=BB352_351 Depth=1
	v_or_b32_e32 v2, 0x10000, v3
	v_cmp_eq_u32_sdwa s[6:7], v3, v25 src0_sel:WORD_0 src1_sel:DWORD
	v_cndmask_b32_e64 v2, v2, v3, s[6:7]
; %bb.692:                              ;   in Loop: Header=BB352_351 Depth=1
	s_or_b64 exec, exec, s[26:27]
	v_lshrrev_b32_e32 v24, 16, v24
	v_lshrrev_b32_e32 v26, 16, v26
	;; [unrolled: 1-line block ×8, first 2 shown]
	s_and_saveexec_b64 s[26:27], s[4:5]
	s_cbranch_execz .LBB352_694
; %bb.693:                              ;   in Loop: Header=BB352_351 Depth=1
	v_accvgpr_read_b32 v11, a5
	v_cmp_lt_i32_e64 s[6:7], v55, v11
	v_add_u32_e32 v10, 1, v55
	v_cndmask_b32_e64 v3, 0, v3, s[6:7]
	v_cmp_lt_i32_e64 s[6:7], v10, v11
	v_add_u32_e32 v10, 2, v55
	v_cndmask_b32_e64 v4, 0, v4, s[6:7]
	;; [unrolled: 3-line block ×7, first 2 shown]
	v_cmp_lt_i32_e64 s[6:7], v10, v11
	v_cndmask_b32_e64 v2, 0, v2, s[6:7]
.LBB352_694:                            ;   in Loop: Header=BB352_351 Depth=1
	s_or_b64 exec, exec, s[26:27]
	v_lshlrev_b32_e32 v3, 16, v3
	v_mul_f32_e32 v17, v40, v3
	v_and_b32_e32 v3, 0x7f800000, v17
	v_cmp_ne_u32_e64 s[6:7], s9, v3
                                        ; implicit-def: $vgpr3
	s_and_saveexec_b64 s[26:27], s[6:7]
	s_xor_b64 s[6:7], exec, s[26:27]
; %bb.695:                              ;   in Loop: Header=BB352_351 Depth=1
	v_bfe_u32 v3, v17, 16, 1
	v_add3_u32 v3, v17, v3, s15
                                        ; implicit-def: $vgpr17
; %bb.696:                              ;   in Loop: Header=BB352_351 Depth=1
	s_andn2_saveexec_b64 s[26:27], s[6:7]
; %bb.697:                              ;   in Loop: Header=BB352_351 Depth=1
	v_or_b32_e32 v3, 0x10000, v17
	v_cmp_eq_u32_sdwa s[6:7], v17, v25 src0_sel:WORD_0 src1_sel:DWORD
	v_cndmask_b32_e64 v3, v3, v17, s[6:7]
; %bb.698:                              ;   in Loop: Header=BB352_351 Depth=1
	s_or_b64 exec, exec, s[26:27]
	v_lshlrev_b32_e32 v4, 16, v4
	v_mul_f32_e32 v17, v42, v4
	v_and_b32_e32 v4, 0x7f800000, v17
	v_cmp_ne_u32_e64 s[6:7], s9, v4
                                        ; implicit-def: $vgpr4
	s_and_saveexec_b64 s[26:27], s[6:7]
	s_xor_b64 s[6:7], exec, s[26:27]
; %bb.699:                              ;   in Loop: Header=BB352_351 Depth=1
	v_bfe_u32 v4, v17, 16, 1
	v_add3_u32 v4, v17, v4, s15
                                        ; implicit-def: $vgpr17
; %bb.700:                              ;   in Loop: Header=BB352_351 Depth=1
	s_andn2_saveexec_b64 s[26:27], s[6:7]
; %bb.701:                              ;   in Loop: Header=BB352_351 Depth=1
	v_or_b32_e32 v4, 0x10000, v17
	v_cmp_eq_u32_sdwa s[6:7], v17, v25 src0_sel:WORD_0 src1_sel:DWORD
	v_cndmask_b32_e64 v4, v4, v17, s[6:7]
; %bb.702:                              ;   in Loop: Header=BB352_351 Depth=1
	s_or_b64 exec, exec, s[26:27]
	v_lshlrev_b32_e32 v6, 16, v6
	v_mul_f32_e32 v17, v46, v6
	v_and_b32_e32 v6, 0x7f800000, v17
	v_cmp_ne_u32_e64 s[6:7], s9, v6
                                        ; implicit-def: $vgpr6
	s_and_saveexec_b64 s[26:27], s[6:7]
	s_xor_b64 s[6:7], exec, s[26:27]
; %bb.703:                              ;   in Loop: Header=BB352_351 Depth=1
	v_bfe_u32 v6, v17, 16, 1
	v_add3_u32 v6, v17, v6, s15
                                        ; implicit-def: $vgpr17
; %bb.704:                              ;   in Loop: Header=BB352_351 Depth=1
	s_andn2_saveexec_b64 s[26:27], s[6:7]
; %bb.705:                              ;   in Loop: Header=BB352_351 Depth=1
	v_or_b32_e32 v6, 0x10000, v17
	v_cmp_eq_u32_sdwa s[6:7], v17, v25 src0_sel:WORD_0 src1_sel:DWORD
	v_cndmask_b32_e64 v6, v6, v17, s[6:7]
; %bb.706:                              ;   in Loop: Header=BB352_351 Depth=1
	s_or_b64 exec, exec, s[26:27]
	v_lshlrev_b32_e32 v10, 16, v22
	v_mul_f32_e32 v17, v47, v10
	v_and_b32_e32 v10, 0x7f800000, v17
	v_cmp_ne_u32_e64 s[6:7], s9, v10
                                        ; implicit-def: $vgpr21
	s_and_saveexec_b64 s[26:27], s[6:7]
	s_xor_b64 s[6:7], exec, s[26:27]
; %bb.707:                              ;   in Loop: Header=BB352_351 Depth=1
	v_bfe_u32 v10, v17, 16, 1
	v_add3_u32 v21, v17, v10, s15
                                        ; implicit-def: $vgpr17
; %bb.708:                              ;   in Loop: Header=BB352_351 Depth=1
	s_andn2_saveexec_b64 s[26:27], s[6:7]
; %bb.709:                              ;   in Loop: Header=BB352_351 Depth=1
	v_or_b32_e32 v10, 0x10000, v17
	v_cmp_eq_u32_sdwa s[6:7], v17, v25 src0_sel:WORD_0 src1_sel:DWORD
	v_cndmask_b32_e64 v21, v10, v17, s[6:7]
; %bb.710:                              ;   in Loop: Header=BB352_351 Depth=1
	s_or_b64 exec, exec, s[26:27]
	v_lshlrev_b32_e32 v10, 16, v26
	v_mul_f32_e32 v17, v56, v10
	v_and_b32_e32 v10, 0x7f800000, v17
	v_cmp_ne_u32_e64 s[6:7], s9, v10
                                        ; implicit-def: $vgpr44
	s_and_saveexec_b64 s[26:27], s[6:7]
	s_xor_b64 s[6:7], exec, s[26:27]
; %bb.711:                              ;   in Loop: Header=BB352_351 Depth=1
	v_bfe_u32 v10, v17, 16, 1
	v_add3_u32 v44, v17, v10, s15
                                        ; implicit-def: $vgpr17
; %bb.712:                              ;   in Loop: Header=BB352_351 Depth=1
	s_andn2_saveexec_b64 s[26:27], s[6:7]
; %bb.713:                              ;   in Loop: Header=BB352_351 Depth=1
	v_or_b32_e32 v10, 0x10000, v17
	v_cmp_eq_u32_sdwa s[6:7], v17, v25 src0_sel:WORD_0 src1_sel:DWORD
	v_cndmask_b32_e64 v44, v10, v17, s[6:7]
; %bb.714:                              ;   in Loop: Header=BB352_351 Depth=1
	s_or_b64 exec, exec, s[26:27]
	v_lshlrev_b32_e32 v10, 16, v24
	v_mul_f32_e32 v17, v57, v10
	v_and_b32_e32 v10, 0x7f800000, v17
	v_cmp_ne_u32_e64 s[6:7], s9, v10
                                        ; implicit-def: $vgpr35
	s_and_saveexec_b64 s[26:27], s[6:7]
	s_xor_b64 s[6:7], exec, s[26:27]
; %bb.715:                              ;   in Loop: Header=BB352_351 Depth=1
	v_bfe_u32 v10, v17, 16, 1
	v_add3_u32 v35, v17, v10, s15
                                        ; implicit-def: $vgpr17
; %bb.716:                              ;   in Loop: Header=BB352_351 Depth=1
	s_andn2_saveexec_b64 s[26:27], s[6:7]
; %bb.717:                              ;   in Loop: Header=BB352_351 Depth=1
	v_or_b32_e32 v10, 0x10000, v17
	v_cmp_eq_u32_sdwa s[6:7], v17, v25 src0_sel:WORD_0 src1_sel:DWORD
	v_cndmask_b32_e64 v35, v10, v17, s[6:7]
; %bb.718:                              ;   in Loop: Header=BB352_351 Depth=1
	s_or_b64 exec, exec, s[26:27]
	v_lshlrev_b32_e32 v10, 16, v16
	v_mul_f32_e32 v16, v58, v10
	v_and_b32_e32 v10, 0x7f800000, v16
	v_cmp_ne_u32_e64 s[6:7], s9, v10
                                        ; implicit-def: $vgpr45
	s_and_saveexec_b64 s[26:27], s[6:7]
	s_xor_b64 s[6:7], exec, s[26:27]
; %bb.719:                              ;   in Loop: Header=BB352_351 Depth=1
	v_bfe_u32 v10, v16, 16, 1
	v_add3_u32 v45, v16, v10, s15
                                        ; implicit-def: $vgpr16
; %bb.720:                              ;   in Loop: Header=BB352_351 Depth=1
	s_andn2_saveexec_b64 s[26:27], s[6:7]
; %bb.721:                              ;   in Loop: Header=BB352_351 Depth=1
	v_or_b32_e32 v10, 0x10000, v16
	v_cmp_eq_u32_sdwa s[6:7], v16, v25 src0_sel:WORD_0 src1_sel:DWORD
	v_cndmask_b32_e64 v45, v10, v16, s[6:7]
; %bb.722:                              ;   in Loop: Header=BB352_351 Depth=1
	s_or_b64 exec, exec, s[26:27]
	v_lshlrev_b32_e32 v2, 16, v2
	v_mul_f32_e32 v2, v59, v2
	v_and_b32_e32 v10, 0x7f800000, v2
	v_cmp_ne_u32_e64 s[6:7], s9, v10
                                        ; implicit-def: $vgpr30
	s_and_saveexec_b64 s[26:27], s[6:7]
	s_xor_b64 s[6:7], exec, s[26:27]
	s_cbranch_execnz .LBB352_725
; %bb.723:                              ;   in Loop: Header=BB352_351 Depth=1
	s_andn2_saveexec_b64 s[26:27], s[6:7]
	s_cbranch_execnz .LBB352_726
.LBB352_724:                            ;   in Loop: Header=BB352_351 Depth=1
	s_or_b64 exec, exec, s[26:27]
	s_and_saveexec_b64 s[26:27], vcc
	s_cbranch_execz .LBB352_349
	s_branch .LBB352_727
.LBB352_725:                            ;   in Loop: Header=BB352_351 Depth=1
	v_bfe_u32 v10, v2, 16, 1
	v_add3_u32 v30, v2, v10, s15
                                        ; implicit-def: $vgpr2
	s_andn2_saveexec_b64 s[26:27], s[6:7]
	s_cbranch_execz .LBB352_724
.LBB352_726:                            ;   in Loop: Header=BB352_351 Depth=1
	v_or_b32_e32 v10, 0x10000, v2
	v_cmp_eq_u32_sdwa s[6:7], v2, v25 src0_sel:WORD_0 src1_sel:DWORD
	v_cndmask_b32_e64 v30, v10, v2, s[6:7]
	s_or_b64 exec, exec, s[26:27]
	s_and_saveexec_b64 s[26:27], vcc
	s_cbranch_execz .LBB352_349
.LBB352_727:                            ;   in Loop: Header=BB352_351 Depth=1
	v_accvgpr_read_b32 v2, a22
	v_add_co_u32_e64 v0, s[6:7], v0, v2
	v_addc_co_u32_e64 v1, s[6:7], 0, v1, s[6:7]
	v_accvgpr_read_b32 v11, a3
	flat_load_dwordx2 v[0:1], v[0:1]
	v_accvgpr_read_b32 v10, a2
	flat_load_dword v17, v[10:11]
	v_mov_b32_e32 v2, 0
	s_waitcnt vmcnt(0) lgkmcnt(0)
	v_cmp_ne_u16_sdwa s[6:7], v0, v25 src0_sel:BYTE_0 src1_sel:DWORD
	s_and_saveexec_b64 s[28:29], s[6:7]
	s_cbranch_execz .LBB352_733
; %bb.728:                              ;   in Loop: Header=BB352_351 Depth=1
	v_cmp_ne_u16_sdwa s[6:7], v0, s36 src0_sel:BYTE_0 src1_sel:DWORD
	v_bfrev_b32_e32 v2, 1
	s_and_saveexec_b64 s[30:31], s[6:7]
	s_cbranch_execz .LBB352_732
; %bb.729:                              ;   in Loop: Header=BB352_351 Depth=1
	v_and_b32_e32 v16, 0x7f, v0
	v_cmp_ne_u32_e64 s[6:7], s37, v16
	v_mov_b32_e32 v2, 0x7f800001
	s_and_saveexec_b64 s[34:35], s[6:7]
	s_cbranch_execz .LBB352_731
; %bb.730:                              ;   in Loop: Header=BB352_351 Depth=1
	v_and_b32_e32 v2, 7, v0
	v_ffbh_u32_e32 v2, v2
	v_min_u32_e32 v2, 32, v2
	v_lshrrev_b32_e32 v10, 3, v16
	v_subrev_u32_e32 v11, 28, v2
	v_sub_u32_e32 v2, 29, v2
	v_cmp_gt_u32_e64 s[6:7], 8, v16
	v_cndmask_b32_e64 v2, v10, v2, s[6:7]
	v_cndmask_b32_e64 v10, 0, v11, s[6:7]
	v_lshlrev_b64 v[26:27], v10, v[0:1]
	v_lshlrev_b32_e32 v10, 20, v26
	v_lshlrev_b32_e32 v11, 24, v0
	v_and_b32_e32 v10, 0x700000, v10
	v_and_b32_e32 v11, 0x80000000, v11
	v_lshl_add_u32 v2, v2, 23, v39
	v_or3_b32 v2, v11, v2, v10
.LBB352_731:                            ;   in Loop: Header=BB352_351 Depth=1
	s_or_b64 exec, exec, s[34:35]
.LBB352_732:                            ;   in Loop: Header=BB352_351 Depth=1
	s_or_b64 exec, exec, s[30:31]
.LBB352_733:                            ;   in Loop: Header=BB352_351 Depth=1
	s_or_b64 exec, exec, s[28:29]
	v_mul_f32_e32 v2, v17, v2
	v_and_b32_e32 v10, 0x7f800000, v2
	v_cmp_ne_u32_e64 s[6:7], s9, v10
                                        ; implicit-def: $vgpr26
	s_and_saveexec_b64 s[28:29], s[6:7]
	s_xor_b64 s[6:7], exec, s[28:29]
; %bb.734:                              ;   in Loop: Header=BB352_351 Depth=1
	v_bfe_u32 v10, v2, 16, 1
	v_add3_u32 v26, v2, v10, s15
                                        ; implicit-def: $vgpr2
; %bb.735:                              ;   in Loop: Header=BB352_351 Depth=1
	s_andn2_saveexec_b64 s[28:29], s[6:7]
; %bb.736:                              ;   in Loop: Header=BB352_351 Depth=1
	v_or_b32_e32 v10, 0x10000, v2
	v_cmp_eq_u32_sdwa s[6:7], v2, v25 src0_sel:WORD_0 src1_sel:DWORD
	v_cndmask_b32_e64 v26, v10, v2, s[6:7]
; %bb.737:                              ;   in Loop: Header=BB352_351 Depth=1
	s_or_b64 exec, exec, s[28:29]
	v_lshrrev_b16_e32 v2, 8, v0
	v_cmp_ne_u16_e64 s[6:7], 0, v2
	v_mov_b32_e32 v16, 0
	s_and_saveexec_b64 s[28:29], s[6:7]
	s_cbranch_execz .LBB352_743
; %bb.738:                              ;   in Loop: Header=BB352_351 Depth=1
	v_cmp_ne_u16_e64 s[6:7], s36, v2
	v_bfrev_b32_e32 v16, 1
	s_and_saveexec_b64 s[30:31], s[6:7]
	s_cbranch_execz .LBB352_742
; %bb.739:                              ;   in Loop: Header=BB352_351 Depth=1
	v_and_b32_e32 v22, 0x7f, v2
	v_cmp_ne_u32_e64 s[6:7], s37, v22
	v_mov_b32_e32 v16, 0x7f800001
	s_and_saveexec_b64 s[34:35], s[6:7]
	s_cbranch_execz .LBB352_741
; %bb.740:                              ;   in Loop: Header=BB352_351 Depth=1
	v_and_b32_e32 v10, 7, v2
	v_ffbh_u32_e32 v16, v10
	v_min_u32_e32 v16, 32, v16
	v_subrev_u32_e32 v18, 28, v16
	v_lshlrev_b64 v[32:33], v18, v[2:3]
	v_lshrrev_b32_e32 v11, 3, v22
	v_sub_u32_e32 v2, 29, v16
	v_and_b32_e32 v16, 7, v32
	v_cmp_gt_u32_e64 s[6:7], 8, v22
	v_cndmask_b32_e64 v2, v11, v2, s[6:7]
	v_cndmask_b32_e64 v10, v10, v16, s[6:7]
	v_lshlrev_b32_e32 v11, 16, v0
	v_lshlrev_b32_e32 v10, 20, v10
	v_and_b32_e32 v11, 0x80000000, v11
	v_lshl_add_u32 v2, v2, 23, v39
	v_or3_b32 v16, v11, v2, v10
.LBB352_741:                            ;   in Loop: Header=BB352_351 Depth=1
	s_or_b64 exec, exec, s[34:35]
.LBB352_742:                            ;   in Loop: Header=BB352_351 Depth=1
	s_or_b64 exec, exec, s[30:31]
.LBB352_743:                            ;   in Loop: Header=BB352_351 Depth=1
	s_or_b64 exec, exec, s[28:29]
	v_mul_f32_e32 v2, v17, v16
	v_and_b32_e32 v10, 0x7f800000, v2
	v_cmp_ne_u32_e64 s[6:7], s9, v10
                                        ; implicit-def: $vgpr16
	s_and_saveexec_b64 s[28:29], s[6:7]
	s_xor_b64 s[6:7], exec, s[28:29]
; %bb.744:                              ;   in Loop: Header=BB352_351 Depth=1
	v_bfe_u32 v10, v2, 16, 1
	v_add3_u32 v16, v2, v10, s15
                                        ; implicit-def: $vgpr2
; %bb.745:                              ;   in Loop: Header=BB352_351 Depth=1
	s_andn2_saveexec_b64 s[28:29], s[6:7]
; %bb.746:                              ;   in Loop: Header=BB352_351 Depth=1
	v_or_b32_e32 v10, 0x10000, v2
	v_cmp_eq_u32_sdwa s[6:7], v2, v25 src0_sel:WORD_0 src1_sel:DWORD
	v_cndmask_b32_e64 v16, v10, v2, s[6:7]
; %bb.747:                              ;   in Loop: Header=BB352_351 Depth=1
	s_or_b64 exec, exec, s[28:29]
	v_lshrrev_b32_e32 v2, 16, v0
	v_cmp_ne_u16_sdwa s[6:7], v2, v25 src0_sel:BYTE_0 src1_sel:DWORD
	v_mov_b32_e32 v22, 0
	s_and_saveexec_b64 s[28:29], s[6:7]
	s_cbranch_execz .LBB352_753
; %bb.748:                              ;   in Loop: Header=BB352_351 Depth=1
	v_cmp_ne_u16_sdwa s[6:7], v2, s36 src0_sel:BYTE_0 src1_sel:DWORD
	v_bfrev_b32_e32 v22, 1
	s_and_saveexec_b64 s[30:31], s[6:7]
	s_cbranch_execz .LBB352_752
; %bb.749:                              ;   in Loop: Header=BB352_351 Depth=1
	v_bfe_u32 v24, v0, 16, 7
	v_cmp_ne_u32_e64 s[6:7], s37, v24
	v_mov_b32_e32 v22, 0x7f800001
	s_and_saveexec_b64 s[34:35], s[6:7]
	s_cbranch_execz .LBB352_751
; %bb.750:                              ;   in Loop: Header=BB352_351 Depth=1
	v_and_b32_e32 v10, 7, v2
	v_ffbh_u32_e32 v18, v10
	v_min_u32_e32 v18, 32, v18
	v_subrev_u32_e32 v20, 28, v18
	v_lshlrev_b64 v[32:33], v20, v[2:3]
	v_lshrrev_b32_e32 v11, 3, v24
	v_sub_u32_e32 v18, 29, v18
	v_and_b32_e32 v20, 7, v32
	v_cmp_gt_u32_e64 s[6:7], 8, v24
	v_cndmask_b32_e64 v11, v11, v18, s[6:7]
	v_cndmask_b32_e64 v10, v10, v20, s[6:7]
	v_lshlrev_b32_e32 v2, 24, v2
	v_lshlrev_b32_e32 v10, 20, v10
	v_and_b32_e32 v2, 0x80000000, v2
	v_lshl_add_u32 v11, v11, 23, v39
	v_or3_b32 v22, v2, v11, v10
.LBB352_751:                            ;   in Loop: Header=BB352_351 Depth=1
	s_or_b64 exec, exec, s[34:35]
.LBB352_752:                            ;   in Loop: Header=BB352_351 Depth=1
	s_or_b64 exec, exec, s[30:31]
.LBB352_753:                            ;   in Loop: Header=BB352_351 Depth=1
	s_or_b64 exec, exec, s[28:29]
	v_mul_f32_e32 v2, v17, v22
	v_and_b32_e32 v10, 0x7f800000, v2
	v_cmp_ne_u32_e64 s[6:7], s9, v10
                                        ; implicit-def: $vgpr22
	s_and_saveexec_b64 s[28:29], s[6:7]
	s_xor_b64 s[6:7], exec, s[28:29]
; %bb.754:                              ;   in Loop: Header=BB352_351 Depth=1
	v_bfe_u32 v10, v2, 16, 1
	v_add3_u32 v22, v2, v10, s15
                                        ; implicit-def: $vgpr2
; %bb.755:                              ;   in Loop: Header=BB352_351 Depth=1
	s_andn2_saveexec_b64 s[28:29], s[6:7]
; %bb.756:                              ;   in Loop: Header=BB352_351 Depth=1
	v_or_b32_e32 v10, 0x10000, v2
	v_cmp_eq_u32_sdwa s[6:7], v2, v25 src0_sel:WORD_0 src1_sel:DWORD
	v_cndmask_b32_e64 v22, v10, v2, s[6:7]
; %bb.757:                              ;   in Loop: Header=BB352_351 Depth=1
	s_or_b64 exec, exec, s[28:29]
	v_cmp_lt_u32_e64 s[6:7], s21, v0
	v_mov_b32_e32 v24, 0
	s_and_saveexec_b64 s[28:29], s[6:7]
	s_cbranch_execz .LBB352_763
; %bb.758:                              ;   in Loop: Header=BB352_351 Depth=1
	v_lshrrev_b32_e32 v2, 24, v0
	v_cmp_ne_u32_e64 s[6:7], s36, v2
	v_bfrev_b32_e32 v24, 1
	s_and_saveexec_b64 s[30:31], s[6:7]
	s_cbranch_execz .LBB352_762
; %bb.759:                              ;   in Loop: Header=BB352_351 Depth=1
	v_bfe_u32 v27, v0, 24, 7
	v_cmp_ne_u32_e64 s[6:7], s37, v27
	v_mov_b32_e32 v24, 0x7f800001
	s_and_saveexec_b64 s[34:35], s[6:7]
	s_cbranch_execz .LBB352_761
; %bb.760:                              ;   in Loop: Header=BB352_351 Depth=1
	v_and_b32_e32 v10, 7, v2
	v_ffbh_u32_e32 v18, v10
	v_min_u32_e32 v18, 32, v18
	v_subrev_u32_e32 v20, 28, v18
	v_lshlrev_b64 v[32:33], v20, v[2:3]
	v_lshrrev_b32_e32 v11, 3, v27
	v_sub_u32_e32 v18, 29, v18
	v_and_b32_e32 v20, 7, v32
	v_cmp_gt_u32_e64 s[6:7], 8, v27
	v_cndmask_b32_e64 v11, v11, v18, s[6:7]
	v_cndmask_b32_e64 v10, v10, v20, s[6:7]
	v_lshlrev_b32_e32 v2, 24, v2
	v_lshlrev_b32_e32 v10, 20, v10
	v_and_b32_e32 v2, 0x80000000, v2
	v_lshl_add_u32 v11, v11, 23, v39
	v_or3_b32 v24, v2, v11, v10
.LBB352_761:                            ;   in Loop: Header=BB352_351 Depth=1
	s_or_b64 exec, exec, s[34:35]
.LBB352_762:                            ;   in Loop: Header=BB352_351 Depth=1
	s_or_b64 exec, exec, s[30:31]
.LBB352_763:                            ;   in Loop: Header=BB352_351 Depth=1
	s_or_b64 exec, exec, s[28:29]
	v_mul_f32_e32 v2, v17, v24
	v_and_b32_e32 v10, 0x7f800000, v2
	v_cmp_ne_u32_e64 s[6:7], s9, v10
                                        ; implicit-def: $vgpr27
	s_and_saveexec_b64 s[28:29], s[6:7]
	s_xor_b64 s[6:7], exec, s[28:29]
; %bb.764:                              ;   in Loop: Header=BB352_351 Depth=1
	v_bfe_u32 v10, v2, 16, 1
	v_add3_u32 v27, v2, v10, s15
                                        ; implicit-def: $vgpr2
; %bb.765:                              ;   in Loop: Header=BB352_351 Depth=1
	s_andn2_saveexec_b64 s[28:29], s[6:7]
; %bb.766:                              ;   in Loop: Header=BB352_351 Depth=1
	v_or_b32_e32 v10, 0x10000, v2
	v_cmp_eq_u32_sdwa s[6:7], v2, v25 src0_sel:WORD_0 src1_sel:DWORD
	v_cndmask_b32_e64 v27, v10, v2, s[6:7]
; %bb.767:                              ;   in Loop: Header=BB352_351 Depth=1
	s_or_b64 exec, exec, s[28:29]
	v_mov_b32_e32 v24, v1
	v_cmp_ne_u16_sdwa s[6:7], v1, v25 src0_sel:BYTE_0 src1_sel:DWORD
	v_mov_b32_e32 v2, 0
	s_and_saveexec_b64 s[28:29], s[6:7]
	s_cbranch_execz .LBB352_773
; %bb.768:                              ;   in Loop: Header=BB352_351 Depth=1
	v_cmp_ne_u16_sdwa s[6:7], v1, s36 src0_sel:BYTE_0 src1_sel:DWORD
	v_bfrev_b32_e32 v2, 1
	s_and_saveexec_b64 s[30:31], s[6:7]
	s_cbranch_execz .LBB352_772
; %bb.769:                              ;   in Loop: Header=BB352_351 Depth=1
	v_and_b32_e32 v20, 0x7f, v1
	v_cmp_ne_u32_e64 s[6:7], s37, v20
	v_mov_b32_e32 v2, 0x7f800001
	s_and_saveexec_b64 s[34:35], s[6:7]
	s_cbranch_execz .LBB352_771
; %bb.770:                              ;   in Loop: Header=BB352_351 Depth=1
	v_and_b32_e32 v2, 7, v1
	v_ffbh_u32_e32 v2, v2
	v_min_u32_e32 v2, 32, v2
	v_lshrrev_b32_e32 v10, 3, v20
	v_subrev_u32_e32 v11, 28, v2
	v_sub_u32_e32 v2, 29, v2
	v_cmp_gt_u32_e64 s[6:7], 8, v20
	v_cndmask_b32_e64 v2, v10, v2, s[6:7]
	v_cndmask_b32_e64 v10, 0, v11, s[6:7]
	v_lshlrev_b64 v[32:33], v10, v[24:25]
	v_lshlrev_b32_e32 v10, 20, v32
	v_lshlrev_b32_e32 v11, 24, v24
	v_and_b32_e32 v10, 0x700000, v10
	v_and_b32_e32 v11, 0x80000000, v11
	v_lshl_add_u32 v2, v2, 23, v39
	v_or3_b32 v2, v11, v2, v10
.LBB352_771:                            ;   in Loop: Header=BB352_351 Depth=1
	s_or_b64 exec, exec, s[34:35]
.LBB352_772:                            ;   in Loop: Header=BB352_351 Depth=1
	s_or_b64 exec, exec, s[30:31]
.LBB352_773:                            ;   in Loop: Header=BB352_351 Depth=1
	s_or_b64 exec, exec, s[28:29]
	v_mul_f32_e32 v2, v17, v2
	v_and_b32_e32 v10, 0x7f800000, v2
	v_cmp_ne_u32_e64 s[6:7], s9, v10
                                        ; implicit-def: $vgpr33
	s_and_saveexec_b64 s[28:29], s[6:7]
	s_xor_b64 s[6:7], exec, s[28:29]
; %bb.774:                              ;   in Loop: Header=BB352_351 Depth=1
	v_bfe_u32 v10, v2, 16, 1
	v_add3_u32 v33, v2, v10, s15
                                        ; implicit-def: $vgpr2
; %bb.775:                              ;   in Loop: Header=BB352_351 Depth=1
	s_andn2_saveexec_b64 s[28:29], s[6:7]
; %bb.776:                              ;   in Loop: Header=BB352_351 Depth=1
	v_or_b32_e32 v10, 0x10000, v2
	v_cmp_eq_u32_sdwa s[6:7], v2, v25 src0_sel:WORD_0 src1_sel:DWORD
	v_cndmask_b32_e64 v33, v10, v2, s[6:7]
; %bb.777:                              ;   in Loop: Header=BB352_351 Depth=1
	s_or_b64 exec, exec, s[28:29]
	v_lshrrev_b16_e32 v2, 8, v24
	v_cmp_ne_u16_e64 s[6:7], 0, v2
	v_mov_b32_e32 v38, 0
	s_and_saveexec_b64 s[28:29], s[6:7]
	s_cbranch_execz .LBB352_783
; %bb.778:                              ;   in Loop: Header=BB352_351 Depth=1
	v_cmp_ne_u16_e64 s[6:7], s36, v2
	v_bfrev_b32_e32 v38, 1
	s_and_saveexec_b64 s[30:31], s[6:7]
	s_cbranch_execz .LBB352_782
; %bb.779:                              ;   in Loop: Header=BB352_351 Depth=1
	v_and_b32_e32 v20, 0x7f, v2
	v_cmp_ne_u32_e64 s[6:7], s37, v20
	v_mov_b32_e32 v38, 0x7f800001
	s_and_saveexec_b64 s[34:35], s[6:7]
	s_cbranch_execz .LBB352_781
; %bb.780:                              ;   in Loop: Header=BB352_351 Depth=1
	v_and_b32_e32 v18, 7, v2
	v_ffbh_u32_e32 v10, v18
	v_min_u32_e32 v32, 32, v10
	v_subrev_u32_e32 v10, 28, v32
	v_lshlrev_b64 v[10:11], v10, v[2:3]
	v_lshrrev_b32_e32 v23, 3, v20
	v_sub_u32_e32 v2, 29, v32
	v_and_b32_e32 v10, 7, v10
	v_cmp_gt_u32_e64 s[6:7], 8, v20
	v_cndmask_b32_e64 v2, v23, v2, s[6:7]
	v_cndmask_b32_e64 v10, v18, v10, s[6:7]
	v_lshlrev_b32_e32 v11, 16, v24
	v_lshlrev_b32_e32 v10, 20, v10
	v_and_b32_e32 v11, 0x80000000, v11
	v_lshl_add_u32 v2, v2, 23, v39
	v_accvgpr_read_b32 v23, a15
	v_or3_b32 v38, v11, v2, v10
.LBB352_781:                            ;   in Loop: Header=BB352_351 Depth=1
	s_or_b64 exec, exec, s[34:35]
.LBB352_782:                            ;   in Loop: Header=BB352_351 Depth=1
	s_or_b64 exec, exec, s[30:31]
.LBB352_783:                            ;   in Loop: Header=BB352_351 Depth=1
	s_or_b64 exec, exec, s[28:29]
	v_mul_f32_e32 v2, v17, v38
	v_and_b32_e32 v10, 0x7f800000, v2
	v_cmp_ne_u32_e64 s[6:7], s9, v10
                                        ; implicit-def: $vgpr24
	s_and_saveexec_b64 s[28:29], s[6:7]
	s_xor_b64 s[6:7], exec, s[28:29]
; %bb.784:                              ;   in Loop: Header=BB352_351 Depth=1
	v_bfe_u32 v10, v2, 16, 1
	v_add3_u32 v24, v2, v10, s15
                                        ; implicit-def: $vgpr2
; %bb.785:                              ;   in Loop: Header=BB352_351 Depth=1
	s_andn2_saveexec_b64 s[28:29], s[6:7]
; %bb.786:                              ;   in Loop: Header=BB352_351 Depth=1
	v_or_b32_e32 v10, 0x10000, v2
	v_cmp_eq_u32_sdwa s[6:7], v2, v25 src0_sel:WORD_0 src1_sel:DWORD
	v_cndmask_b32_e64 v24, v10, v2, s[6:7]
; %bb.787:                              ;   in Loop: Header=BB352_351 Depth=1
	s_or_b64 exec, exec, s[28:29]
	v_lshrrev_b32_e32 v2, 16, v1
	v_cmp_ne_u16_sdwa s[6:7], v2, v25 src0_sel:BYTE_0 src1_sel:DWORD
	v_mov_b32_e32 v38, 0
	s_and_saveexec_b64 s[28:29], s[6:7]
	s_cbranch_execz .LBB352_793
; %bb.788:                              ;   in Loop: Header=BB352_351 Depth=1
	v_cmp_ne_u16_sdwa s[6:7], v2, s36 src0_sel:BYTE_0 src1_sel:DWORD
	v_bfrev_b32_e32 v38, 1
	s_and_saveexec_b64 s[30:31], s[6:7]
	s_cbranch_execz .LBB352_792
; %bb.789:                              ;   in Loop: Header=BB352_351 Depth=1
	v_bfe_u32 v20, v1, 16, 7
	v_cmp_ne_u32_e64 s[6:7], s37, v20
	v_mov_b32_e32 v38, 0x7f800001
	s_and_saveexec_b64 s[34:35], s[6:7]
	s_cbranch_execz .LBB352_791
; %bb.790:                              ;   in Loop: Header=BB352_351 Depth=1
	v_and_b32_e32 v18, 7, v2
	v_ffbh_u32_e32 v10, v18
	v_min_u32_e32 v32, 32, v10
	v_subrev_u32_e32 v10, 28, v32
	v_lshlrev_b64 v[10:11], v10, v[2:3]
	v_lshrrev_b32_e32 v23, 3, v20
	v_sub_u32_e32 v11, 29, v32
	v_and_b32_e32 v10, 7, v10
	v_cmp_gt_u32_e64 s[6:7], 8, v20
	v_cndmask_b32_e64 v11, v23, v11, s[6:7]
	v_cndmask_b32_e64 v10, v18, v10, s[6:7]
	v_lshlrev_b32_e32 v2, 24, v2
	v_lshlrev_b32_e32 v10, 20, v10
	v_and_b32_e32 v2, 0x80000000, v2
	v_lshl_add_u32 v11, v11, 23, v39
	v_accvgpr_read_b32 v23, a15
	v_or3_b32 v38, v2, v11, v10
.LBB352_791:                            ;   in Loop: Header=BB352_351 Depth=1
	s_or_b64 exec, exec, s[34:35]
.LBB352_792:                            ;   in Loop: Header=BB352_351 Depth=1
	s_or_b64 exec, exec, s[30:31]
.LBB352_793:                            ;   in Loop: Header=BB352_351 Depth=1
	s_or_b64 exec, exec, s[28:29]
	v_mul_f32_e32 v38, v17, v38
	v_and_b32_e32 v2, 0x7f800000, v38
	v_cmp_ne_u32_e64 s[6:7], s9, v2
                                        ; implicit-def: $vgpr2
	s_and_saveexec_b64 s[28:29], s[6:7]
	s_xor_b64 s[6:7], exec, s[28:29]
; %bb.794:                              ;   in Loop: Header=BB352_351 Depth=1
	v_bfe_u32 v2, v38, 16, 1
	v_add3_u32 v2, v38, v2, s15
                                        ; implicit-def: $vgpr38
; %bb.795:                              ;   in Loop: Header=BB352_351 Depth=1
	s_andn2_saveexec_b64 s[28:29], s[6:7]
; %bb.796:                              ;   in Loop: Header=BB352_351 Depth=1
	v_or_b32_e32 v2, 0x10000, v38
	v_cmp_eq_u32_sdwa s[6:7], v38, v25 src0_sel:WORD_0 src1_sel:DWORD
	v_cndmask_b32_e64 v2, v2, v38, s[6:7]
; %bb.797:                              ;   in Loop: Header=BB352_351 Depth=1
	s_or_b64 exec, exec, s[28:29]
	v_cmp_lt_u64_e64 s[6:7], s[20:21], v[0:1]
	v_mov_b32_e32 v38, 0
	s_and_saveexec_b64 s[28:29], s[6:7]
	s_cbranch_execz .LBB352_803
; %bb.798:                              ;   in Loop: Header=BB352_351 Depth=1
	v_lshrrev_b32_e32 v0, 24, v1
	v_cmp_ne_u32_e64 s[6:7], s36, v0
	v_bfrev_b32_e32 v38, 1
	s_and_saveexec_b64 s[30:31], s[6:7]
	s_cbranch_execz .LBB352_802
; %bb.799:                              ;   in Loop: Header=BB352_351 Depth=1
	v_bfe_u32 v1, v1, 24, 7
	v_cmp_ne_u32_e64 s[6:7], s37, v1
	v_mov_b32_e32 v38, 0x7f800001
	s_and_saveexec_b64 s[34:35], s[6:7]
	s_cbranch_execz .LBB352_801
; %bb.800:                              ;   in Loop: Header=BB352_351 Depth=1
	v_and_b32_e32 v18, 7, v0
	v_ffbh_u32_e32 v10, v18
	v_min_u32_e32 v23, 32, v10
	v_subrev_u32_e32 v10, 28, v23
	v_lshlrev_b64 v[10:11], v10, v[0:1]
	v_lshrrev_b32_e32 v20, 3, v1
	v_sub_u32_e32 v11, 29, v23
	v_and_b32_e32 v10, 7, v10
	v_cmp_gt_u32_e64 s[6:7], 8, v1
	v_cndmask_b32_e64 v1, v20, v11, s[6:7]
	v_cndmask_b32_e64 v10, v18, v10, s[6:7]
	v_lshlrev_b32_e32 v0, 24, v0
	v_lshlrev_b32_e32 v10, 20, v10
	v_and_b32_e32 v0, 0x80000000, v0
	v_lshl_add_u32 v1, v1, 23, v39
	v_accvgpr_read_b32 v23, a15
	v_or3_b32 v38, v0, v1, v10
.LBB352_801:                            ;   in Loop: Header=BB352_351 Depth=1
	s_or_b64 exec, exec, s[34:35]
.LBB352_802:                            ;   in Loop: Header=BB352_351 Depth=1
	s_or_b64 exec, exec, s[30:31]
.LBB352_803:                            ;   in Loop: Header=BB352_351 Depth=1
	s_or_b64 exec, exec, s[28:29]
	v_mul_f32_e32 v1, v17, v38
	v_and_b32_e32 v0, 0x7f800000, v1
	v_cmp_ne_u32_e64 s[6:7], s9, v0
                                        ; implicit-def: $vgpr0
	s_and_saveexec_b64 s[28:29], s[6:7]
	s_xor_b64 s[6:7], exec, s[28:29]
; %bb.804:                              ;   in Loop: Header=BB352_351 Depth=1
	v_bfe_u32 v0, v1, 16, 1
	v_add3_u32 v0, v1, v0, s15
                                        ; implicit-def: $vgpr1
; %bb.805:                              ;   in Loop: Header=BB352_351 Depth=1
	s_andn2_saveexec_b64 s[28:29], s[6:7]
; %bb.806:                              ;   in Loop: Header=BB352_351 Depth=1
	v_or_b32_e32 v0, 0x10000, v1
	v_cmp_eq_u32_sdwa s[6:7], v1, v25 src0_sel:WORD_0 src1_sel:DWORD
	v_cndmask_b32_e64 v0, v0, v1, s[6:7]
; %bb.807:                              ;   in Loop: Header=BB352_351 Depth=1
	s_or_b64 exec, exec, s[28:29]
	v_lshrrev_b32_e32 v17, 16, v24
	v_lshrrev_b32_e32 v24, 16, v33
	;; [unrolled: 1-line block ×8, first 2 shown]
	s_and_saveexec_b64 s[6:7], s[4:5]
	s_cbranch_execz .LBB352_809
; %bb.808:                              ;   in Loop: Header=BB352_351 Depth=1
	v_accvgpr_read_b32 v11, a5
	v_cmp_lt_i32_e64 s[4:5], v55, v11
	v_add_u32_e32 v10, 1, v55
	v_cndmask_b32_e64 v1, 0, v1, s[4:5]
	v_cmp_lt_i32_e64 s[4:5], v10, v11
	v_add_u32_e32 v10, 2, v55
	v_cndmask_b32_e64 v16, 0, v16, s[4:5]
	;; [unrolled: 3-line block ×7, first 2 shown]
	v_cmp_lt_i32_e64 s[4:5], v10, v11
	v_cndmask_b32_e64 v0, 0, v0, s[4:5]
.LBB352_809:                            ;   in Loop: Header=BB352_351 Depth=1
	s_or_b64 exec, exec, s[6:7]
	v_lshlrev_b32_e32 v1, 16, v1
	v_mul_f32_e32 v26, v40, v1
	v_and_b32_e32 v1, 0x7f800000, v26
	v_cmp_ne_u32_e64 s[4:5], s9, v1
                                        ; implicit-def: $vgpr1
	s_and_saveexec_b64 s[6:7], s[4:5]
	s_xor_b64 s[4:5], exec, s[6:7]
; %bb.810:                              ;   in Loop: Header=BB352_351 Depth=1
	v_bfe_u32 v1, v26, 16, 1
	v_add3_u32 v1, v26, v1, s15
                                        ; implicit-def: $vgpr26
; %bb.811:                              ;   in Loop: Header=BB352_351 Depth=1
	s_andn2_saveexec_b64 s[6:7], s[4:5]
; %bb.812:                              ;   in Loop: Header=BB352_351 Depth=1
	v_or_b32_e32 v1, 0x10000, v26
	v_cmp_eq_u32_sdwa s[4:5], v26, v25 src0_sel:WORD_0 src1_sel:DWORD
	v_cndmask_b32_e64 v1, v1, v26, s[4:5]
; %bb.813:                              ;   in Loop: Header=BB352_351 Depth=1
	s_or_b64 exec, exec, s[6:7]
	v_lshlrev_b32_e32 v10, 16, v16
	v_mul_f32_e32 v26, v42, v10
	v_and_b32_e32 v10, 0x7f800000, v26
	v_cmp_ne_u32_e64 s[4:5], s9, v10
                                        ; implicit-def: $vgpr16
	s_and_saveexec_b64 s[6:7], s[4:5]
	s_xor_b64 s[4:5], exec, s[6:7]
; %bb.814:                              ;   in Loop: Header=BB352_351 Depth=1
	v_bfe_u32 v10, v26, 16, 1
	v_add3_u32 v16, v26, v10, s15
                                        ; implicit-def: $vgpr26
; %bb.815:                              ;   in Loop: Header=BB352_351 Depth=1
	s_andn2_saveexec_b64 s[6:7], s[4:5]
; %bb.816:                              ;   in Loop: Header=BB352_351 Depth=1
	v_or_b32_e32 v10, 0x10000, v26
	v_cmp_eq_u32_sdwa s[4:5], v26, v25 src0_sel:WORD_0 src1_sel:DWORD
	v_cndmask_b32_e64 v16, v10, v26, s[4:5]
; %bb.817:                              ;   in Loop: Header=BB352_351 Depth=1
	s_or_b64 exec, exec, s[6:7]
	v_lshlrev_b32_e32 v10, 16, v22
	v_mul_f32_e32 v26, v46, v10
	v_and_b32_e32 v10, 0x7f800000, v26
	v_cmp_ne_u32_e64 s[4:5], s9, v10
                                        ; implicit-def: $vgpr22
	s_and_saveexec_b64 s[6:7], s[4:5]
	s_xor_b64 s[4:5], exec, s[6:7]
; %bb.818:                              ;   in Loop: Header=BB352_351 Depth=1
	v_bfe_u32 v10, v26, 16, 1
	v_add3_u32 v22, v26, v10, s15
                                        ; implicit-def: $vgpr26
; %bb.819:                              ;   in Loop: Header=BB352_351 Depth=1
	s_andn2_saveexec_b64 s[6:7], s[4:5]
; %bb.820:                              ;   in Loop: Header=BB352_351 Depth=1
	v_or_b32_e32 v10, 0x10000, v26
	v_cmp_eq_u32_sdwa s[4:5], v26, v25 src0_sel:WORD_0 src1_sel:DWORD
	v_cndmask_b32_e64 v22, v10, v26, s[4:5]
; %bb.821:                              ;   in Loop: Header=BB352_351 Depth=1
	s_or_b64 exec, exec, s[6:7]
	v_lshlrev_b32_e32 v10, 16, v27
	v_mul_f32_e32 v27, v47, v10
	v_and_b32_e32 v10, 0x7f800000, v27
	v_cmp_ne_u32_e64 s[4:5], s9, v10
                                        ; implicit-def: $vgpr26
	s_and_saveexec_b64 s[6:7], s[4:5]
	s_xor_b64 s[4:5], exec, s[6:7]
; %bb.822:                              ;   in Loop: Header=BB352_351 Depth=1
	v_bfe_u32 v10, v27, 16, 1
	v_add3_u32 v26, v27, v10, s15
                                        ; implicit-def: $vgpr27
; %bb.823:                              ;   in Loop: Header=BB352_351 Depth=1
	s_andn2_saveexec_b64 s[6:7], s[4:5]
; %bb.824:                              ;   in Loop: Header=BB352_351 Depth=1
	v_or_b32_e32 v10, 0x10000, v27
	v_cmp_eq_u32_sdwa s[4:5], v27, v25 src0_sel:WORD_0 src1_sel:DWORD
	v_cndmask_b32_e64 v26, v10, v27, s[4:5]
; %bb.825:                              ;   in Loop: Header=BB352_351 Depth=1
	s_or_b64 exec, exec, s[6:7]
	v_lshlrev_b32_e32 v10, 16, v24
	v_mul_f32_e32 v27, v56, v10
	v_and_b32_e32 v10, 0x7f800000, v27
	v_cmp_ne_u32_e64 s[4:5], s9, v10
                                        ; implicit-def: $vgpr24
	s_and_saveexec_b64 s[6:7], s[4:5]
	s_xor_b64 s[4:5], exec, s[6:7]
; %bb.826:                              ;   in Loop: Header=BB352_351 Depth=1
	v_bfe_u32 v10, v27, 16, 1
	v_add3_u32 v24, v27, v10, s15
                                        ; implicit-def: $vgpr27
; %bb.827:                              ;   in Loop: Header=BB352_351 Depth=1
	s_andn2_saveexec_b64 s[6:7], s[4:5]
; %bb.828:                              ;   in Loop: Header=BB352_351 Depth=1
	v_or_b32_e32 v10, 0x10000, v27
	v_cmp_eq_u32_sdwa s[4:5], v27, v25 src0_sel:WORD_0 src1_sel:DWORD
	v_cndmask_b32_e64 v24, v10, v27, s[4:5]
; %bb.829:                              ;   in Loop: Header=BB352_351 Depth=1
	s_or_b64 exec, exec, s[6:7]
	v_lshlrev_b32_e32 v10, 16, v17
	v_mul_f32_e32 v27, v57, v10
	v_and_b32_e32 v10, 0x7f800000, v27
	v_cmp_ne_u32_e64 s[4:5], s9, v10
                                        ; implicit-def: $vgpr17
	s_and_saveexec_b64 s[6:7], s[4:5]
	s_xor_b64 s[4:5], exec, s[6:7]
; %bb.830:                              ;   in Loop: Header=BB352_351 Depth=1
	v_bfe_u32 v10, v27, 16, 1
	v_add3_u32 v17, v27, v10, s15
                                        ; implicit-def: $vgpr27
; %bb.831:                              ;   in Loop: Header=BB352_351 Depth=1
	s_andn2_saveexec_b64 s[6:7], s[4:5]
; %bb.832:                              ;   in Loop: Header=BB352_351 Depth=1
	v_or_b32_e32 v10, 0x10000, v27
	v_cmp_eq_u32_sdwa s[4:5], v27, v25 src0_sel:WORD_0 src1_sel:DWORD
	v_cndmask_b32_e64 v17, v10, v27, s[4:5]
; %bb.833:                              ;   in Loop: Header=BB352_351 Depth=1
	s_or_b64 exec, exec, s[6:7]
	v_lshlrev_b32_e32 v2, 16, v2
	v_mul_f32_e32 v27, v58, v2
	v_and_b32_e32 v2, 0x7f800000, v27
	v_cmp_ne_u32_e64 s[4:5], s9, v2
                                        ; implicit-def: $vgpr2
	s_and_saveexec_b64 s[6:7], s[4:5]
	s_xor_b64 s[4:5], exec, s[6:7]
; %bb.834:                              ;   in Loop: Header=BB352_351 Depth=1
	v_bfe_u32 v2, v27, 16, 1
	v_add3_u32 v2, v27, v2, s15
                                        ; implicit-def: $vgpr27
; %bb.835:                              ;   in Loop: Header=BB352_351 Depth=1
	s_andn2_saveexec_b64 s[6:7], s[4:5]
; %bb.836:                              ;   in Loop: Header=BB352_351 Depth=1
	v_or_b32_e32 v2, 0x10000, v27
	v_cmp_eq_u32_sdwa s[4:5], v27, v25 src0_sel:WORD_0 src1_sel:DWORD
	v_cndmask_b32_e64 v2, v2, v27, s[4:5]
; %bb.837:                              ;   in Loop: Header=BB352_351 Depth=1
	s_or_b64 exec, exec, s[6:7]
	v_lshlrev_b32_e32 v0, 16, v0
	v_mul_f32_e32 v0, v59, v0
	v_and_b32_e32 v10, 0x7f800000, v0
	v_cmp_ne_u32_e64 s[4:5], s9, v10
                                        ; implicit-def: $vgpr27
	s_and_saveexec_b64 s[6:7], s[4:5]
	s_xor_b64 s[4:5], exec, s[6:7]
; %bb.838:                              ;   in Loop: Header=BB352_351 Depth=1
	v_bfe_u32 v10, v0, 16, 1
	v_add3_u32 v27, v0, v10, s15
                                        ; implicit-def: $vgpr0
; %bb.839:                              ;   in Loop: Header=BB352_351 Depth=1
	s_andn2_saveexec_b64 s[6:7], s[4:5]
	s_cbranch_execz .LBB352_348
; %bb.840:                              ;   in Loop: Header=BB352_351 Depth=1
	v_or_b32_e32 v10, 0x10000, v0
	v_cmp_eq_u32_sdwa s[4:5], v0, v25 src0_sel:WORD_0 src1_sel:DWORD
	v_cndmask_b32_e64 v27, v10, v0, s[4:5]
	s_branch .LBB352_348
.LBB352_841:
	s_or_b64 exec, exec, s[22:23]
	v_accvgpr_read_b32 v6, a16
.LBB352_842:
	s_or_b64 exec, exec, s[12:13]
	ds_bpermute_b32 v0, v41, v28
	ds_bpermute_b32 v1, v41, v29
	;; [unrolled: 1-line block ×4, first 2 shown]
	v_accvgpr_read_b32 v5, a6
	v_and_b32_e32 v4, 0x3c0, v5
	s_waitcnt lgkmcnt(0)
	v_pk_add_f32 v[0:1], v[28:29], v[0:1]
	v_cmp_eq_u32_e32 vcc, 64, v4
	v_pk_add_f32 v[2:3], v[12:13], v[2:3]
	s_barrier
	s_and_saveexec_b64 s[6:7], vcc
	s_cbranch_execz .LBB352_847
; %bb.843:
	v_cmp_eq_u32_e32 vcc, 0, v43
	s_and_saveexec_b64 s[4:5], vcc
	s_cbranch_execz .LBB352_845
; %bb.844:
	s_load_dword s9, s[10:11], 0x0
	s_waitcnt lgkmcnt(0)
	v_lshl_add_u32 v4, v6, 2, s9
	ds_write2_b32 v4, v0, v1 offset1:32
	ds_write_b32 v4, v2 offset:256
.LBB352_845:
	s_or_b64 exec, exec, s[4:5]
	v_or_b32_e32 v4, 0x60, v6
	s_movk_i32 s4, 0x78
	v_cmp_gt_u32_e64 s[4:5], s4, v4
	s_and_b64 s[4:5], vcc, s[4:5]
	s_and_b64 exec, exec, s[4:5]
	s_cbranch_execz .LBB352_847
; %bb.846:
	s_load_dword s4, s[10:11], 0x0
	s_waitcnt lgkmcnt(0)
	v_lshl_add_u32 v4, v6, 2, s4
	ds_write_b32 v4, v3 offset:384
.LBB352_847:
	s_or_b64 exec, exec, s[6:7]
	v_cmp_gt_u32_e32 vcc, 64, v5
	v_lshrrev_b32_e32 v6, 1, v5
	s_waitcnt lgkmcnt(0)
	s_barrier
	s_and_saveexec_b64 s[12:13], vcc
	s_cbranch_execz .LBB352_855
; %bb.848:
	v_cmp_eq_u32_e64 s[4:5], 0, v43
	s_and_saveexec_b64 s[6:7], s[4:5]
	s_cbranch_execnz .LBB352_877
; %bb.849:
	s_or_b64 exec, exec, s[6:7]
	s_and_saveexec_b64 s[6:7], s[4:5]
	s_cbranch_execnz .LBB352_878
.LBB352_850:
	s_or_b64 exec, exec, s[6:7]
	s_and_saveexec_b64 s[6:7], s[4:5]
	s_cbranch_execz .LBB352_852
.LBB352_851:
	s_load_dword s9, s[10:11], 0x0
	s_waitcnt lgkmcnt(0)
	v_lshl_add_u32 v4, v6, 2, s9
	ds_read_b32 v4, v4 offset:256
	s_waitcnt lgkmcnt(0)
	v_add_f32_e32 v2, v2, v4
.LBB352_852:
	s_or_b64 exec, exec, s[6:7]
	v_or_b32_e32 v4, 0x60, v6
	s_movk_i32 s6, 0x78
	v_cmp_gt_u32_e64 s[6:7], s6, v4
	s_and_b64 s[6:7], s[4:5], s[6:7]
	s_and_saveexec_b64 s[4:5], s[6:7]
	s_cbranch_execz .LBB352_854
; %bb.853:
	s_load_dword s6, s[10:11], 0x0
	s_waitcnt lgkmcnt(0)
	v_lshl_add_u32 v4, v6, 2, s6
	ds_read_b32 v4, v4 offset:384
	s_waitcnt lgkmcnt(0)
	v_add_f32_e32 v3, v3, v4
.LBB352_854:
	s_or_b64 exec, exec, s[4:5]
.LBB352_855:
	s_or_b64 exec, exec, s[12:13]
	s_barrier
	s_and_b64 exec, exec, vcc
	s_cbranch_execz .LBB352_876
; %bb.856:
	s_mul_i32 s4, s8, 0x78
	s_mul_i32 s6, s18, s19
	;; [unrolled: 1-line block ×3, first 2 shown]
	s_ashr_i32 s5, s4, 31
	s_ashr_i32 s7, s6, 31
	;; [unrolled: 1-line block ×3, first 2 shown]
	s_lshl_b64 s[4:5], s[4:5], 1
	s_lshl_b64 s[6:7], s[6:7], 1
	;; [unrolled: 1-line block ×3, first 2 shown]
	s_add_u32 s6, s8, s6
	s_addc_u32 s7, s9, s7
	s_add_u32 s4, s6, s4
	s_addc_u32 s5, s7, s5
	v_accvgpr_read_b32 v5, a1
	v_mov_b32_e32 v4, s5
	v_add_co_u32_e32 v7, vcc, s4, v5
	v_accvgpr_read_b32 v5, a0
	v_addc_co_u32_e32 v8, vcc, v4, v5, vcc
	v_cmp_eq_u32_e32 vcc, 0, v43
	s_and_saveexec_b64 s[6:7], vcc
	s_cbranch_execz .LBB352_870
; %bb.857:
	s_mov_b32 s4, 0x7f800000
	v_and_b32_e32 v4, 0x7f800000, v0
	v_cmp_ne_u32_e64 s[4:5], s4, v4
                                        ; implicit-def: $vgpr9
	s_and_saveexec_b64 s[8:9], s[4:5]
	s_xor_b64 s[4:5], exec, s[8:9]
; %bb.858:
	v_bfe_u32 v4, v0, 16, 1
	s_movk_i32 s8, 0x7fff
	v_add3_u32 v9, v0, v4, s8
; %bb.859:
	s_andn2_saveexec_b64 s[8:9], s[4:5]
; %bb.860:
	v_mov_b32_e32 v4, 0
	v_or_b32_e32 v5, 0x10000, v0
	v_cmp_eq_u32_sdwa s[4:5], v0, v4 src0_sel:WORD_0 src1_sel:DWORD
	v_cndmask_b32_e64 v9, v5, v0, s[4:5]
; %bb.861:
	s_or_b64 exec, exec, s[8:9]
	v_lshlrev_b32_e32 v0, 1, v6
	v_add_co_u32_e64 v4, s[4:5], v7, v0
	v_addc_co_u32_e64 v5, s[4:5], 0, v8, s[4:5]
	s_mov_b32 s4, 0x7f800000
	v_and_b32_e32 v0, 0x7f800000, v1
	v_cmp_ne_u32_e64 s[4:5], s4, v0
	flat_store_short_d16_hi v[4:5], v9
                                        ; implicit-def: $vgpr0
	s_and_saveexec_b64 s[8:9], s[4:5]
	s_xor_b64 s[4:5], exec, s[8:9]
; %bb.862:
	v_bfe_u32 v0, v1, 16, 1
	s_movk_i32 s8, 0x7fff
	v_add3_u32 v0, v1, v0, s8
; %bb.863:
	s_andn2_saveexec_b64 s[8:9], s[4:5]
; %bb.864:
	v_mov_b32_e32 v0, 0
	v_or_b32_e32 v9, 0x10000, v1
	v_cmp_eq_u32_sdwa s[4:5], v1, v0 src0_sel:WORD_0 src1_sel:DWORD
	v_cndmask_b32_e64 v0, v9, v1, s[4:5]
; %bb.865:
	s_or_b64 exec, exec, s[8:9]
	flat_store_short_d16_hi v[4:5], v0 offset:64
	s_mov_b32 s4, 0x7f800000
	v_and_b32_e32 v0, 0x7f800000, v2
	v_cmp_ne_u32_e64 s[4:5], s4, v0
                                        ; implicit-def: $vgpr0
	s_and_saveexec_b64 s[8:9], s[4:5]
	s_xor_b64 s[4:5], exec, s[8:9]
; %bb.866:
	v_bfe_u32 v0, v2, 16, 1
	s_movk_i32 s8, 0x7fff
	v_add3_u32 v0, v2, v0, s8
; %bb.867:
	s_andn2_saveexec_b64 s[8:9], s[4:5]
; %bb.868:
	v_mov_b32_e32 v0, 0
	v_or_b32_e32 v1, 0x10000, v2
	v_cmp_eq_u32_sdwa s[4:5], v2, v0 src0_sel:WORD_0 src1_sel:DWORD
	v_cndmask_b32_e64 v0, v1, v2, s[4:5]
; %bb.869:
	s_or_b64 exec, exec, s[8:9]
	flat_store_short_d16_hi v[4:5], v0 offset:128
.LBB352_870:
	s_or_b64 exec, exec, s[6:7]
	v_or_b32_e32 v0, 0x60, v6
	s_movk_i32 s4, 0x78
	v_cmp_gt_u32_e64 s[4:5], s4, v0
	s_and_b64 s[4:5], vcc, s[4:5]
	s_and_b64 exec, exec, s[4:5]
	s_cbranch_execz .LBB352_876
; %bb.871:
	s_mov_b32 s4, 0x7f800000
	v_and_b32_e32 v0, 0x7f800000, v3
	v_cmp_ne_u32_e32 vcc, s4, v0
                                        ; implicit-def: $vgpr4
	s_and_saveexec_b64 s[4:5], vcc
	s_xor_b64 s[4:5], exec, s[4:5]
; %bb.872:
	v_bfe_u32 v0, v3, 16, 1
	s_movk_i32 s6, 0x7fff
	v_add3_u32 v4, v3, v0, s6
                                        ; implicit-def: $vgpr0_vgpr1_vgpr2_vgpr3
; %bb.873:
	s_andn2_saveexec_b64 s[4:5], s[4:5]
; %bb.874:
	v_mov_b32_e32 v0, 0
	v_or_b32_e32 v1, 0x10000, v3
	v_cmp_eq_u32_sdwa vcc, v3, v0 src0_sel:WORD_0 src1_sel:DWORD
	v_cndmask_b32_e32 v4, v1, v3, vcc
; %bb.875:
	s_or_b64 exec, exec, s[4:5]
	v_lshlrev_b32_e32 v0, 1, v6
	v_add_co_u32_e32 v0, vcc, v7, v0
	v_addc_co_u32_e32 v1, vcc, 0, v8, vcc
	flat_store_short_d16_hi v[0:1], v4 offset:192
.LBB352_876:
	s_or_b64 exec, exec, s[16:17]
	buffer_load_dword a51, off, s[0:3], s32 offset:8 ; 4-byte Folded Reload
	buffer_load_dword a50, off, s[0:3], s32 offset:12 ; 4-byte Folded Reload
	;; [unrolled: 1-line block ×35, first 2 shown]
	v_readlane_b32 s30, v63, 9
	v_readlane_b32 s31, v63, 10
	;; [unrolled: 1-line block ×11, first 2 shown]
	s_or_saveexec_b64 s[4:5], -1
	buffer_load_dword v63, off, s[0:3], s32 offset:156 ; 4-byte Folded Reload
	s_mov_b64 exec, s[4:5]
	s_waitcnt vmcnt(0) lgkmcnt(0)
	s_setpc_b64 s[30:31]
.LBB352_877:
	s_load_dword s9, s[10:11], 0x0
	s_waitcnt lgkmcnt(0)
	v_lshl_add_u32 v4, v6, 2, s9
	ds_read_b32 v4, v4
	s_waitcnt lgkmcnt(0)
	v_add_f32_e32 v0, v0, v4
	s_or_b64 exec, exec, s[6:7]
	s_and_saveexec_b64 s[6:7], s[4:5]
	s_cbranch_execz .LBB352_850
.LBB352_878:
	s_load_dword s9, s[10:11], 0x0
	s_waitcnt lgkmcnt(0)
	v_lshl_add_u32 v4, v6, 2, s9
	ds_read_b32 v4, v4 offset:128
	s_waitcnt lgkmcnt(0)
	v_add_f32_e32 v1, v1, v4
	s_or_b64 exec, exec, s[6:7]
	s_and_saveexec_b64 s[6:7], s[4:5]
	s_cbranch_execnz .LBB352_851
	s_branch .LBB352_852
.Lfunc_end352:
	.size	_ZN4vllm22paged_attention_kernelI14__hip_bfloat16hLi120ELi16ELi128ELNS_18Fp8KVCacheDataTypeE1ELb1ELi512EEEvPfS3_PT_PKS4_PKT0_SA_ifPKiSC_iPKfiiiSE_SE_iiiii, .Lfunc_end352-_ZN4vllm22paged_attention_kernelI14__hip_bfloat16hLi120ELi16ELi128ELNS_18Fp8KVCacheDataTypeE1ELb1ELi512EEEvPfS3_PT_PKS4_PKT0_SA_ifPKiSC_iPKfiiiSE_SE_iiiii
                                        ; -- End function
	.section	.AMDGPU.csdata,"",@progbits
; Function info:
; codeLenInByte = 28780
; NumSgprs: 47
; NumVgprs: 64
; NumAgprs: 52
; TotalNumVgprs: 116
; ScratchSize: 164
; MemoryBound: 0
	.section	.text._ZN4vllm25paged_attention_v2_kernelI14__hip_bfloat16hLi120ELi16ELi128ELNS_18Fp8KVCacheDataTypeE1ELb1ELi512EEEvPfS3_PT_PKS4_PKT0_SA_ifPKiSC_iPKfiiiSE_SE_iiiii,"axG",@progbits,_ZN4vllm25paged_attention_v2_kernelI14__hip_bfloat16hLi120ELi16ELi128ELNS_18Fp8KVCacheDataTypeE1ELb1ELi512EEEvPfS3_PT_PKS4_PKT0_SA_ifPKiSC_iPKfiiiSE_SE_iiiii,comdat
	.protected	_ZN4vllm25paged_attention_v2_kernelI14__hip_bfloat16hLi120ELi16ELi128ELNS_18Fp8KVCacheDataTypeE1ELb1ELi512EEEvPfS3_PT_PKS4_PKT0_SA_ifPKiSC_iPKfiiiSE_SE_iiiii ; -- Begin function _ZN4vllm25paged_attention_v2_kernelI14__hip_bfloat16hLi120ELi16ELi128ELNS_18Fp8KVCacheDataTypeE1ELb1ELi512EEEvPfS3_PT_PKS4_PKT0_SA_ifPKiSC_iPKfiiiSE_SE_iiiii
	.globl	_ZN4vllm25paged_attention_v2_kernelI14__hip_bfloat16hLi120ELi16ELi128ELNS_18Fp8KVCacheDataTypeE1ELb1ELi512EEEvPfS3_PT_PKS4_PKT0_SA_ifPKiSC_iPKfiiiSE_SE_iiiii
	.p2align	8
	.type	_ZN4vllm25paged_attention_v2_kernelI14__hip_bfloat16hLi120ELi16ELi128ELNS_18Fp8KVCacheDataTypeE1ELb1ELi512EEEvPfS3_PT_PKS4_PKT0_SA_ifPKiSC_iPKfiiiSE_SE_iiiii,@function
_ZN4vllm25paged_attention_v2_kernelI14__hip_bfloat16hLi120ELi16ELi128ELNS_18Fp8KVCacheDataTypeE1ELb1ELi512EEEvPfS3_PT_PKS4_PKT0_SA_ifPKiSC_iPKfiiiSE_SE_iiiii: ; @_ZN4vllm25paged_attention_v2_kernelI14__hip_bfloat16hLi120ELi16ELi128ELNS_18Fp8KVCacheDataTypeE1ELb1ELi512EEEvPfS3_PT_PKS4_PKT0_SA_ifPKiSC_iPKfiiiSE_SE_iiiii
; %bb.0:
	s_add_u32 flat_scratch_lo, s6, s11
	s_addc_u32 flat_scratch_hi, s7, 0
	s_add_u32 s0, s0, s11
	s_mov_b32 s12, s8
	s_load_dwordx8 s[24:31], s[4:5], 0x0
	s_load_dwordx8 s[16:23], s[4:5], 0x20
	s_load_dwordx2 s[6:7], s[4:5], 0x40
	s_load_dwordx4 s[44:47], s[4:5], 0x78
	s_load_dwordx2 s[34:35], s[4:5], 0x50
	s_load_dword s11, s[4:5], 0x48
	s_load_dword s8, s[4:5], 0x88
	s_load_dwordx8 s[36:43], s[4:5], 0x58
	s_mov_b32 s32, 0
	s_addc_u32 s1, s1, 0
	s_waitcnt lgkmcnt(0)
	v_mov_b32_e32 v1, s47
	buffer_store_dword v1, off, s[0:3], s32
	v_mov_b32_e32 v1, s8
	s_add_u32 s8, s4, 0x90
	s_mov_b32 s13, s9
	buffer_store_dword v1, off, s[0:3], s32 offset:4
	s_addc_u32 s9, s5, 0
	s_mov_b32 s14, s10
	s_mov_b32 s15, 5
	v_mov_b32_e32 v31, v0
	v_mov_b32_e32 v0, s24
	;; [unrolled: 1-line block ×32, first 2 shown]
	s_getpc_b64 s[4:5]
	s_add_u32 s4, s4, _ZN4vllm22paged_attention_kernelI14__hip_bfloat16hLi120ELi16ELi128ELNS_18Fp8KVCacheDataTypeE1ELb1ELi512EEEvPfS3_PT_PKS4_PKT0_SA_ifPKiSC_iPKfiiiSE_SE_iiiii@rel32@lo+4
	s_addc_u32 s5, s5, _ZN4vllm22paged_attention_kernelI14__hip_bfloat16hLi120ELi16ELi128ELNS_18Fp8KVCacheDataTypeE1ELb1ELi512EEEvPfS3_PT_PKS4_PKT0_SA_ifPKiSC_iPKfiiiSE_SE_iiiii@rel32@hi+12
	s_swappc_b64 s[30:31], s[4:5]
	s_endpgm
	.section	.rodata,"a",@progbits
	.p2align	6, 0x0
	.amdhsa_kernel _ZN4vllm25paged_attention_v2_kernelI14__hip_bfloat16hLi120ELi16ELi128ELNS_18Fp8KVCacheDataTypeE1ELb1ELi512EEEvPfS3_PT_PKS4_PKT0_SA_ifPKiSC_iPKfiiiSE_SE_iiiii
		.amdhsa_group_segment_fixed_size 256
		.amdhsa_private_segment_fixed_size 164
		.amdhsa_kernarg_size 400
		.amdhsa_user_sgpr_count 8
		.amdhsa_user_sgpr_private_segment_buffer 1
		.amdhsa_user_sgpr_dispatch_ptr 0
		.amdhsa_user_sgpr_queue_ptr 0
		.amdhsa_user_sgpr_kernarg_segment_ptr 1
		.amdhsa_user_sgpr_dispatch_id 0
		.amdhsa_user_sgpr_flat_scratch_init 1
		.amdhsa_user_sgpr_kernarg_preload_length 0
		.amdhsa_user_sgpr_kernarg_preload_offset 0
		.amdhsa_user_sgpr_private_segment_size 0
		.amdhsa_uses_dynamic_stack 0
		.amdhsa_system_sgpr_private_segment_wavefront_offset 1
		.amdhsa_system_sgpr_workgroup_id_x 1
		.amdhsa_system_sgpr_workgroup_id_y 1
		.amdhsa_system_sgpr_workgroup_id_z 1
		.amdhsa_system_sgpr_workgroup_info 0
		.amdhsa_system_vgpr_workitem_id 0
		.amdhsa_next_free_vgpr 116
		.amdhsa_next_free_sgpr 48
		.amdhsa_accum_offset 64
		.amdhsa_reserve_vcc 1
		.amdhsa_reserve_flat_scratch 1
		.amdhsa_float_round_mode_32 0
		.amdhsa_float_round_mode_16_64 0
		.amdhsa_float_denorm_mode_32 3
		.amdhsa_float_denorm_mode_16_64 3
		.amdhsa_dx10_clamp 1
		.amdhsa_ieee_mode 1
		.amdhsa_fp16_overflow 0
		.amdhsa_tg_split 0
		.amdhsa_exception_fp_ieee_invalid_op 0
		.amdhsa_exception_fp_denorm_src 0
		.amdhsa_exception_fp_ieee_div_zero 0
		.amdhsa_exception_fp_ieee_overflow 0
		.amdhsa_exception_fp_ieee_underflow 0
		.amdhsa_exception_fp_ieee_inexact 0
		.amdhsa_exception_int_div_zero 0
	.end_amdhsa_kernel
	.section	.text._ZN4vllm25paged_attention_v2_kernelI14__hip_bfloat16hLi120ELi16ELi128ELNS_18Fp8KVCacheDataTypeE1ELb1ELi512EEEvPfS3_PT_PKS4_PKT0_SA_ifPKiSC_iPKfiiiSE_SE_iiiii,"axG",@progbits,_ZN4vllm25paged_attention_v2_kernelI14__hip_bfloat16hLi120ELi16ELi128ELNS_18Fp8KVCacheDataTypeE1ELb1ELi512EEEvPfS3_PT_PKS4_PKT0_SA_ifPKiSC_iPKfiiiSE_SE_iiiii,comdat
.Lfunc_end353:
	.size	_ZN4vllm25paged_attention_v2_kernelI14__hip_bfloat16hLi120ELi16ELi128ELNS_18Fp8KVCacheDataTypeE1ELb1ELi512EEEvPfS3_PT_PKS4_PKT0_SA_ifPKiSC_iPKfiiiSE_SE_iiiii, .Lfunc_end353-_ZN4vllm25paged_attention_v2_kernelI14__hip_bfloat16hLi120ELi16ELi128ELNS_18Fp8KVCacheDataTypeE1ELb1ELi512EEEvPfS3_PT_PKS4_PKT0_SA_ifPKiSC_iPKfiiiSE_SE_iiiii
                                        ; -- End function
	.section	.AMDGPU.csdata,"",@progbits
; Kernel info:
; codeLenInByte = 296
; NumSgprs: 54
; NumVgprs: 64
; NumAgprs: 52
; TotalNumVgprs: 116
; ScratchSize: 164
; MemoryBound: 0
; FloatMode: 240
; IeeeMode: 1
; LDSByteSize: 256 bytes/workgroup (compile time only)
; SGPRBlocks: 6
; VGPRBlocks: 14
; NumSGPRsForWavesPerEU: 54
; NumVGPRsForWavesPerEU: 116
; AccumOffset: 64
; Occupancy: 4
; WaveLimiterHint : 1
; COMPUTE_PGM_RSRC2:SCRATCH_EN: 1
; COMPUTE_PGM_RSRC2:USER_SGPR: 8
; COMPUTE_PGM_RSRC2:TRAP_HANDLER: 0
; COMPUTE_PGM_RSRC2:TGID_X_EN: 1
; COMPUTE_PGM_RSRC2:TGID_Y_EN: 1
; COMPUTE_PGM_RSRC2:TGID_Z_EN: 1
; COMPUTE_PGM_RSRC2:TIDIG_COMP_CNT: 0
; COMPUTE_PGM_RSRC3_GFX90A:ACCUM_OFFSET: 15
; COMPUTE_PGM_RSRC3_GFX90A:TG_SPLIT: 0
	.text
	.p2align	2                               ; -- Begin function _ZN4vllm22paged_attention_kernelI14__hip_bfloat16hLi128ELi16ELi128ELNS_18Fp8KVCacheDataTypeE1ELb1ELi512EEEvPfS3_PT_PKS4_PKT0_SA_ifPKiSC_iPKfiiiSE_SE_iiiii
	.type	_ZN4vllm22paged_attention_kernelI14__hip_bfloat16hLi128ELi16ELi128ELNS_18Fp8KVCacheDataTypeE1ELb1ELi512EEEvPfS3_PT_PKS4_PKT0_SA_ifPKiSC_iPKfiiiSE_SE_iiiii,@function
_ZN4vllm22paged_attention_kernelI14__hip_bfloat16hLi128ELi16ELi128ELNS_18Fp8KVCacheDataTypeE1ELb1ELi512EEEvPfS3_PT_PKS4_PKT0_SA_ifPKiSC_iPKfiiiSE_SE_iiiii: ; @_ZN4vllm22paged_attention_kernelI14__hip_bfloat16hLi128ELi16ELi128ELNS_18Fp8KVCacheDataTypeE1ELb1ELi512EEEvPfS3_PT_PKS4_PKT0_SA_ifPKiSC_iPKfiiiSE_SE_iiiii
; %bb.0:
	s_waitcnt vmcnt(0) expcnt(0) lgkmcnt(0)
	s_or_saveexec_b64 s[4:5], -1
	buffer_store_dword v63, off, s[0:3], s32 offset:160 ; 4-byte Folded Spill
	s_mov_b64 exec, s[4:5]
	buffer_store_dword v40, off, s[0:3], s32 offset:148 ; 4-byte Folded Spill
	buffer_store_dword v41, off, s[0:3], s32 offset:144 ; 4-byte Folded Spill
	;; [unrolled: 1-line block ×36, first 2 shown]
	v_writelane_b32 v63, s34, 0
	v_writelane_b32 v63, s35, 1
	;; [unrolled: 1-line block ×13, first 2 shown]
	s_mov_b32 s20, s13
	s_ashr_i32 s21, s13, 31
	v_accvgpr_write_b32 a33, v25
	s_lshl_b64 s[4:5], s[20:21], 2
	v_accvgpr_write_b32 a32, v24
	v_mov_b32_e32 v24, v1
	v_mov_b32_e32 v25, v0
	;; [unrolled: 1-line block ×3, first 2 shown]
	v_add_co_u32_e32 v0, vcc, s4, v16
	v_addc_co_u32_e32 v1, vcc, v17, v1, vcc
	v_mov_b32_e32 v55, v27
	v_mov_b32_e32 v27, v2
	flat_load_dword v2, v[0:1]
	s_nop 0
	buffer_load_dword v0, off, s[0:3], s32 offset:4
	buffer_load_dword v1, off, s[0:3], s32
	s_mov_b32 s24, s15
	s_lshl_b32 s15, s14, 9
	v_mov_b32_e32 v54, v26
	v_accvgpr_write_b32 a6, v22
	v_mov_b32_e32 v33, v20
	v_mov_b32_e32 v32, v19
	v_accvgpr_write_b32 a34, v13
	v_mov_b32_e32 v19, v11
	v_mov_b32_e32 v22, v10
	v_accvgpr_write_b32 a0, v5
	v_accvgpr_write_b32 a1, v4
	v_mov_b32_e32 v26, v3
	s_waitcnt vmcnt(0) lgkmcnt(0)
	v_accvgpr_write_b32 a3, v2
	v_cmp_lt_i32_e32 vcc, s15, v2
	s_and_saveexec_b64 s[18:19], vcc
	s_cbranch_execz .LBB354_888
; %bb.1:
	v_sub_u32_e32 v2, 0, v12
	v_max_i32_e32 v2, v12, v2
	v_cvt_f32_u32_e32 v3, v2
	s_load_dword s4, s[8:9], 0x10
	s_load_dword s6, s[8:9], 0x0
	v_sub_u32_e32 v5, 0, v2
	v_rcp_iflag_f32_e32 v3, v3
	s_waitcnt lgkmcnt(0)
	s_lshr_b32 s4, s4, 16
	s_cmp_lg_u32 s4, 0
	s_cselect_b64 s[4:5], -1, 0
	v_mul_f32_e32 v3, 0x4f7ffffe, v3
	v_cvt_u32_f32_e32 v3, v3
	s_cmp_lg_u64 s[4:5], 0
	s_addc_u32 s21, s6, 0
	s_abs_i32 s4, s21
	v_mul_lo_u32 v5, v5, v3
	v_mul_hi_u32 v5, v3, v5
	v_add_u32_e32 v3, v3, v5
	v_mul_hi_u32 v3, s4, v3
	v_mul_lo_u32 v5, v3, v2
	v_sub_u32_e32 v5, s4, v5
	v_add_u32_e32 v10, 1, v3
	v_cmp_ge_u32_e32 vcc, v5, v2
	v_cndmask_b32_e32 v3, v3, v10, vcc
	v_sub_u32_e32 v10, v5, v2
	v_cndmask_b32_e32 v5, v5, v10, vcc
	v_xor_b32_e32 v4, s21, v12
	v_add_u32_e32 v10, 1, v3
	v_cmp_ge_u32_e32 vcc, v5, v2
	v_ashrrev_i32_e32 v4, 31, v4
	v_cndmask_b32_e32 v2, v3, v10, vcc
	v_xor_b32_e32 v2, v2, v4
	v_sub_u32_e32 v2, v2, v4
	v_sub_u32_e32 v3, 0, v2
	v_max_i32_e32 v3, v2, v3
	v_cvt_f32_u32_e32 v4, v3
	v_sub_u32_e32 v5, 0, v3
	s_abs_i32 s10, s12
	v_cmp_ne_u64_e32 vcc, 0, v[32:33]
	v_rcp_iflag_f32_e32 v4, v4
	v_mul_f32_e32 v4, 0x4f7ffffe, v4
	v_cvt_u32_f32_e32 v4, v4
	v_mul_lo_u32 v5, v5, v4
	v_mul_hi_u32 v5, v4, v5
	v_add_u32_e32 v4, v4, v5
	v_mad_u64_u32 v[16:17], s[4:5], s10, v4, 0
	v_mov_b32_e32 v4, 0
	buffer_store_dword v4, off, s[0:3], s32 offset:156 ; 4-byte Folded Spill
	s_and_saveexec_b64 s[4:5], vcc
	s_cbranch_execz .LBB354_3
; %bb.2:
	s_ashr_i32 s13, s12, 31
	s_lshl_b64 s[6:7], s[12:13], 2
	v_mov_b32_e32 v5, s7
	v_add_co_u32_e32 v4, vcc, s6, v32
	v_addc_co_u32_e32 v5, vcc, v33, v5, vcc
	flat_load_dword v4, v[4:5]
	s_waitcnt vmcnt(0) lgkmcnt(0)
	buffer_store_dword v4, off, s[0:3], s32 offset:156 ; 4-byte Folded Spill
.LBB354_3:
	s_or_b64 exec, exec, s[4:5]
	v_and_b32_e32 v53, 0x3ff, v31
	s_ashr_i32 s11, s12, 31
	v_ashrrev_i32_e32 v4, 31, v2
	v_and_b32_e32 v2, 3, v53
	s_lshl_b32 s22, s12, 7
	v_cmp_gt_u32_e64 s[4:5], 64, v53
	s_and_saveexec_b64 s[6:7], s[4:5]
	s_cbranch_execz .LBB354_5
; %bb.4:
	v_mul_lo_u32 v10, s20, v21
	v_ashrrev_i32_e32 v11, 31, v10
	v_lshlrev_b64 v[10:11], 1, v[10:11]
	v_add_co_u32_e32 v5, vcc, v6, v10
	s_ashr_i32 s23, s22, 31
	v_addc_co_u32_e32 v6, vcc, v7, v11, vcc
	s_lshl_b64 s[16:17], s[22:23], 1
	v_mov_b32_e32 v7, s17
	v_add_co_u32_e32 v5, vcc, s16, v5
	v_addc_co_u32_e32 v7, vcc, v6, v7, vcc
	v_lshlrev_b32_e32 v6, 2, v53
	v_add_co_u32_e32 v6, vcc, v5, v6
	v_addc_co_u32_e32 v7, vcc, 0, v7, vcc
	flat_load_dword v5, v[6:7]
	v_and_b32_e32 v6, 0x3fc, v53
	v_lshl_add_u32 v6, v2, 6, v6
	s_waitcnt vmcnt(0) lgkmcnt(0)
	ds_write_b32 v6, v5
.LBB354_5:
	s_or_b64 exec, exec, s[6:7]
	v_mul_lo_u32 v5, v17, v3
	v_sub_u32_e32 v5, s10, v5
	v_add_u32_e32 v6, 1, v17
	v_cmp_ge_u32_e32 vcc, v5, v3
	v_sub_u32_e32 v7, v5, v3
	v_cndmask_b32_e32 v6, v17, v6, vcc
	v_cndmask_b32_e32 v5, v5, v7, vcc
	v_add_u32_e32 v7, 1, v6
	v_cmp_ge_u32_e32 vcc, v5, v3
	v_sub_u32_e32 v5, 0, v1
	v_cndmask_b32_e32 v3, v6, v7, vcc
	v_max_i32_e32 v7, v1, v5
	v_cvt_f32_u32_e32 v5, v7
	v_xor_b32_e32 v4, s11, v4
	v_xor_b32_e32 v3, v3, v4
	v_sub_u32_e32 v6, v3, v4
	v_rcp_iflag_f32_e32 v3, v5
	v_accvgpr_read_b32 v4, a3
	v_accvgpr_write_b32 a7, v7
	v_sub_u32_e32 v7, 0, v7
	v_mul_f32_e32 v3, 0x4f7ffffe, v3
	v_cvt_u32_f32_e32 v5, v3
	v_add_u32_e32 v4, -1, v4
	v_sub_u32_e32 v3, 0, v4
	v_max_i32_e32 v3, v4, v3
	v_mul_lo_u32 v7, v7, v5
	v_mul_hi_u32 v7, v5, v7
	v_add_u32_e32 v5, v5, v7
	v_accvgpr_write_b32 a8, v5
	v_mad_u64_u32 v[16:17], s[6:7], v3, v5, 0
	v_cmp_gt_i32_e32 vcc, 0, v0
	s_waitcnt lgkmcnt(0)
	s_barrier
	s_waitcnt lgkmcnt(0)
                                        ; implicit-def: $agpr10
	s_and_saveexec_b64 s[6:7], vcc
	s_xor_b64 s[6:7], exec, s[6:7]
; %bb.6:
	v_mad_u64_u32 v[10:11], s[10:11], v28, v12, v[6:7]
	v_mul_lo_u32 v0, v10, v0
	v_sub_u32_e32 v0, 1, v0
	v_accvgpr_write_b32 a10, v0
                                        ; implicit-def: $vgpr28
                                        ; implicit-def: $vgpr0
; %bb.7:
	s_or_saveexec_b64 s[6:7], s[6:7]
	v_ashrrev_i32_e32 v1, 31, v1
	v_ashrrev_i32_e32 v4, 31, v4
	v_accvgpr_write_b32 a9, v1
	s_xor_b64 exec, exec, s[6:7]
; %bb.8:
	v_mul_lo_u32 v1, s21, v28
	v_add_u32_e32 v1, s12, v1
	v_mad_u64_u32 v[0:1], s[10:11], v1, v0, 1
	v_accvgpr_write_b32 a10, v0
; %bb.9:
	s_or_b64 exec, exec, s[6:7]
	v_accvgpr_read_b32 v5, a9
	v_accvgpr_read_b32 v10, a7
	v_xor_b32_e32 v4, v4, v5
	v_mul_lo_u32 v5, v17, v10
	v_sub_u32_e32 v3, v3, v5
	v_add_u32_e32 v5, 1, v17
	v_cmp_ge_u32_e32 vcc, v3, v10
	v_sub_u32_e32 v7, v3, v10
	v_cndmask_b32_e32 v5, v17, v5, vcc
	v_cndmask_b32_e32 v3, v3, v7, vcc
	v_add_u32_e32 v7, 1, v5
	v_cmp_ge_u32_e32 vcc, v3, v10
	v_cndmask_b32_e32 v3, v5, v7, vcc
	v_xor_b32_e32 v3, v3, v4
	v_sub_u32_e32 v3, v3, v4
	v_accvgpr_read_b32 v4, a3
	v_add_u32_e32 v4, 15, v4
	v_mul_lo_u32 v0, s20, v18
	v_ashrrev_i32_e32 v5, 31, v4
	s_load_dword s40, s[8:9], 0x14
	s_load_dword s13, s[8:9], 0x8
	v_ashrrev_i32_e32 v1, 31, v0
	v_lshrrev_b32_e32 v5, 28, v5
	s_lshl_b32 s23, s14, 5
	v_lshrrev_b32_e32 v28, 6, v53
	v_add_u32_e32 v4, v4, v5
	v_or_b32_e32 v10, s23, v28
	v_lshlrev_b64 v[0:1], 2, v[0:1]
	v_ashrrev_i32_e32 v31, 4, v4
	s_add_i32 s6, s23, 32
	v_ashrrev_i32_e32 v11, 31, v10
	v_accvgpr_write_b32 a27, v1
	v_min_i32_e32 v4, s6, v31
	v_sub_u32_e32 v3, v3, v29
	v_mul_lo_u32 v23, v6, v23
	v_accvgpr_write_b32 a13, v11
	v_accvgpr_write_b32 a26, v0
	v_lshl_add_u32 v0, v28, 4, s15
	v_accvgpr_write_b32 a11, v4
	v_cmp_lt_i32_e64 s[6:7], v10, v4
	v_mov_b32_e32 v5, 0xff7fffff
	v_accvgpr_write_b32 a14, v3
	v_accvgpr_write_b32 a12, v10
	v_ashrrev_i32_e32 v29, 31, v23
	v_sub_u32_e32 v32, 0, v30
	v_accvgpr_write_b32 a15, v0
	v_mbcnt_lo_u32_b32 v0, -1, 0
	s_mov_b64 s[26:27], exec
	v_accvgpr_write_b32 a4, v54
	s_and_b64 s[8:9], s[26:27], s[6:7]
	v_accvgpr_write_b32 a2, v53
	v_accvgpr_write_b32 a5, v55
	s_mov_b64 exec, s[8:9]
	s_cbranch_execz .LBB354_339
; %bb.10:
	v_bfe_u32 v10, v53, 2, 4
	v_mov_b32_e32 v4, v0
	v_add_co_u32_e64 v0, s[8:9], v8, v23
	v_addc_co_u32_e64 v1, s[8:9], v9, v29, s[8:9]
	v_lshlrev_b32_e32 v3, 4, v10
	v_add_co_u32_e64 v0, s[8:9], v0, v3
	v_addc_co_u32_e64 v1, s[8:9], 0, v1, s[8:9]
	v_accvgpr_write_b32 a39, v1
	v_accvgpr_write_b32 a38, v0
	v_lshlrev_b32_e32 v1, 6, v2
	v_accvgpr_write_b32 a41, v1
	buffer_load_dword v1, off, s[0:3], s32 offset:156 ; 4-byte Folded Reload
	v_lshlrev_b32_e32 v0, 1, v2
	v_max_i32_e32 v3, v30, v32
	v_accvgpr_write_b32 a40, v0
	v_cvt_f32_u32_e32 v0, v3
	s_ashr_i32 s25, s24, 31
	v_cmp_eq_u32_e32 vcc, 0, v2
	s_lshl_b64 s[10:11], s[24:25], 2
	v_rcp_iflag_f32_e32 v0, v0
	v_accvgpr_write_b32 a37, v3
	s_getpc_b64 s[16:17]
	s_add_u32 s16, s16, llvm.amdgcn.dynlds.offset.table@rel32@lo+4
	s_addc_u32 s17, s17, llvm.amdgcn.dynlds.offset.table@rel32@hi+12
	s_add_u32 s28, s10, s16
	v_mul_f32_e32 v0, 0x4f7ffffe, v0
	v_cvt_u32_f32_e32 v0, v0
	v_accvgpr_read_b32 v6, a26
	s_addc_u32 s29, s11, s17
	v_accvgpr_read_b32 v7, a27
	s_load_dword s25, s[28:29], 0x0
	v_accvgpr_write_b32 a28, v31
	v_accvgpr_write_b32 a24, v27
	;; [unrolled: 1-line block ×13, first 2 shown]
	v_lshl_add_u32 v62, v28, 4, s15
	v_accvgpr_write_b32 a25, v28
	v_accvgpr_write_b32 a36, v10
	s_mov_b64 s[30:31], 0
	s_movk_i32 s41, 0x80
	s_movk_i32 s42, 0x7f
	s_mov_b32 s43, 0x7f800000
	s_movk_i32 s44, 0x7fff
	v_accvgpr_write_b32 a35, v4
	s_waitcnt vmcnt(0)
	v_cmp_neq_f32_e64 s[8:9], 0, v1
	v_sub_u32_e32 v1, 0, v3
	v_mul_lo_u32 v1, v1, v0
	v_mul_hi_u32 v1, v0, v1
	v_accvgpr_read_b32 v2, a12
	v_add_u32_e32 v0, v0, v1
	v_accvgpr_read_b32 v3, a13
	v_accvgpr_write_b32 a42, v0
	v_lshlrev_b64 v[0:1], 2, v[2:3]
	v_add_co_u32_e64 v0, s[10:11], v6, v0
	v_addc_co_u32_e64 v1, s[10:11], v7, v1, s[10:11]
	v_add_co_u32_e64 v54, s[10:11], v14, v0
	v_lshlrev_b32_e32 v0, 2, v10
	v_lshl_or_b32 v0, v28, 6, v0
	v_accvgpr_write_b32 a43, v0
	v_accvgpr_read_b32 v0, a3
	v_sub_u32_e32 v0, v10, v0
	v_add_u32_e32 v0, 1, v0
	v_accvgpr_write_b32 a44, v0
	v_mbcnt_hi_u32_b32 v0, -1, v4
	v_addc_co_u32_e64 v55, s[10:11], v15, v1, s[10:11]
	v_accvgpr_write_b32 a45, v0
	v_mov_b32_e32 v0, 0xff7fffff
	v_mov_b32_e32 v1, v2
	buffer_store_dword v0, off, s[0:3], s32 offset:152 ; 4-byte Folded Spill
	s_branch .LBB354_13
.LBB354_11:                             ;   in Loop: Header=BB354_13 Depth=1
	s_or_b64 exec, exec, s[34:35]
.LBB354_12:                             ;   in Loop: Header=BB354_13 Depth=1
	s_or_b64 exec, exec, s[16:17]
	s_waitcnt lgkmcnt(0)
	v_accvgpr_read_b32 v1, a46
	v_add_co_u32_e64 v54, s[10:11], 8, v54
	v_add_u32_e32 v1, 2, v1
	v_addc_co_u32_e64 v55, s[10:11], 0, v55, s[10:11]
	v_accvgpr_read_b32 v0, a11
	v_cmp_ge_i32_e64 s[10:11], v1, v0
	v_accvgpr_read_b32 v0, a43
	v_add_u32_e32 v0, 0x80, v0
	v_add_u32_e32 v62, 32, v62
	s_or_b64 s[30:31], s[10:11], s[30:31]
	v_accvgpr_write_b32 a43, v0
	s_andn2_b64 exec, exec, s[30:31]
	s_cbranch_execz .LBB354_338
.LBB354_13:                             ; =>This Inner Loop Header: Depth=1
	v_accvgpr_write_b32 a46, v1
	v_ashrrev_i32_e32 v0, 31, v62
	v_accvgpr_read_b32 v1, a9
	v_xor_b32_e32 v0, v0, v1
	v_sub_u32_e32 v1, 0, v62
	v_max_i32_e32 v1, v62, v1
	v_accvgpr_read_b32 v2, a8
	v_mul_hi_u32 v2, v1, v2
	v_accvgpr_read_b32 v4, a7
	v_mul_lo_u32 v3, v2, v4
	v_sub_u32_e32 v1, v1, v3
	v_add_u32_e32 v3, 1, v2
	v_cmp_ge_u32_e64 s[10:11], v1, v4
	v_cndmask_b32_e64 v2, v2, v3, s[10:11]
	v_sub_u32_e32 v3, v1, v4
	v_cndmask_b32_e64 v1, v1, v3, s[10:11]
	v_add_u32_e32 v3, 1, v2
	v_cmp_ge_u32_e64 s[10:11], v1, v4
	v_cndmask_b32_e64 v1, v2, v3, s[10:11]
	v_xor_b32_e32 v1, v1, v0
	v_sub_u32_e32 v0, v1, v0
	v_accvgpr_read_b32 v2, a10
	v_add_u32_e32 v1, v0, v2
	v_sub_u32_e32 v3, 0, v1
	v_ashrrev_i32_e32 v2, 31, v1
	v_max_i32_e32 v1, v1, v3
	v_accvgpr_read_b32 v4, a42
	v_mul_hi_u32 v3, v1, v4
	v_accvgpr_read_b32 v4, a37
	v_mul_lo_u32 v3, v3, v4
	v_sub_u32_e32 v1, v1, v3
	v_sub_u32_e32 v3, v1, v4
	v_cmp_ge_u32_e64 s[10:11], v1, v4
	v_cndmask_b32_e64 v1, v1, v3, s[10:11]
	v_sub_u32_e32 v3, v1, v4
	v_cmp_ge_u32_e64 s[10:11], v1, v4
	v_cndmask_b32_e64 v1, v1, v3, s[10:11]
	v_xor_b32_e32 v1, v1, v2
	v_sub_u32_e32 v1, v1, v2
	v_cmp_ne_u32_e64 s[10:11], 0, v1
	v_accvgpr_read_b32 v1, a14
	v_cmp_le_i32_e64 s[16:17], v0, v1
	s_and_b64 s[10:11], s[10:11], s[16:17]
	s_and_b64 s[34:35], vcc, s[10:11]
	s_and_saveexec_b64 s[16:17], s[34:35]
	s_cbranch_execz .LBB354_15
; %bb.14:                               ;   in Loop: Header=BB354_13 Depth=1
	v_accvgpr_read_b32 v0, a43
	s_waitcnt lgkmcnt(0)
	v_add_u32_e32 v0, s25, v0
	v_mov_b32_e32 v1, 0xff7fffff
	ds_write_b32 v0, v1
.LBB354_15:                             ;   in Loop: Header=BB354_13 Depth=1
	s_or_b64 exec, exec, s[16:17]
	s_xor_b64 s[10:11], s[10:11], -1
	s_and_saveexec_b64 s[16:17], s[10:11]
	s_cbranch_execz .LBB354_12
; %bb.16:                               ;   in Loop: Header=BB354_13 Depth=1
	flat_load_dword v0, v[54:55]
	v_accvgpr_read_b32 v6, a38
	v_accvgpr_read_b32 v2, a6
	v_accvgpr_read_b32 v7, a39
	s_waitcnt vmcnt(0) lgkmcnt(0)
	v_mad_i64_i32 v[0:1], s[10:11], v0, v2, v[6:7]
	v_accvgpr_read_b32 v2, a40
	v_add_co_u32_e64 v40, s[10:11], v0, v2
	v_addc_co_u32_e64 v41, s[10:11], 0, v1, s[10:11]
	v_accvgpr_read_b32 v2, a32
	flat_load_ushort v1, v[40:41]
	v_accvgpr_read_b32 v3, a33
	flat_load_dword v0, v[2:3]
	v_accvgpr_read_b32 v2, a41
	ds_read_b128 v[36:39], v2
	ds_read_b128 v[32:35], v2 offset:16
	ds_read_b128 v[16:19], v2 offset:32
	ds_read_b128 v[6:9], v2 offset:48
	v_mov_b32_e32 v2, 0
	s_waitcnt vmcnt(0) lgkmcnt(0)
	v_and_b32_e32 v42, 0xffff, v1
	v_cmp_ne_u16_sdwa s[10:11], v1, v2 src0_sel:BYTE_0 src1_sel:DWORD
	v_mov_b32_e32 v1, 0
	s_and_saveexec_b64 s[34:35], s[10:11]
	s_cbranch_execz .LBB354_22
; %bb.17:                               ;   in Loop: Header=BB354_13 Depth=1
	v_cmp_ne_u16_sdwa s[10:11], v42, s41 src0_sel:BYTE_0 src1_sel:DWORD
	v_bfrev_b32_e32 v1, 1
	s_and_saveexec_b64 s[36:37], s[10:11]
	s_cbranch_execz .LBB354_21
; %bb.18:                               ;   in Loop: Header=BB354_13 Depth=1
	v_and_b32_e32 v2, 0x7f, v42
	v_cmp_ne_u32_e64 s[10:11], s42, v2
	v_mov_b32_e32 v1, 0x7f800001
	s_and_saveexec_b64 s[38:39], s[10:11]
	s_cbranch_execz .LBB354_20
; %bb.19:                               ;   in Loop: Header=BB354_13 Depth=1
	v_and_b32_e32 v1, 7, v42
	v_ffbh_u32_e32 v12, v1
	v_min_u32_e32 v14, 32, v12
	v_subrev_u32_e32 v12, 28, v14
	v_lshlrev_b64 v[12:13], v12, v[42:43]
	v_lshrrev_b32_e32 v3, 3, v2
	v_sub_u32_e32 v13, 29, v14
	v_and_b32_e32 v12, 7, v12
	v_cmp_gt_u32_e64 s[10:11], 8, v2
	v_cndmask_b32_e64 v2, v3, v13, s[10:11]
	v_cndmask_b32_e64 v1, v1, v12, s[10:11]
	v_lshlrev_b32_e32 v3, 24, v42
	v_bfrev_b32_e32 v4, 60
	v_lshlrev_b32_e32 v1, 20, v1
	v_and_b32_e32 v3, 0x80000000, v3
	v_lshl_add_u32 v2, v2, 23, v4
	v_or3_b32 v1, v3, v2, v1
.LBB354_20:                             ;   in Loop: Header=BB354_13 Depth=1
	s_or_b64 exec, exec, s[38:39]
.LBB354_21:                             ;   in Loop: Header=BB354_13 Depth=1
	s_or_b64 exec, exec, s[36:37]
.LBB354_22:                             ;   in Loop: Header=BB354_13 Depth=1
	s_or_b64 exec, exec, s[34:35]
	v_mul_f32_e32 v1, v0, v1
	v_and_b32_e32 v2, 0x7f800000, v1
	v_cmp_ne_u32_e64 s[10:11], s43, v2
                                        ; implicit-def: $vgpr5
	s_and_saveexec_b64 s[34:35], s[10:11]
	s_xor_b64 s[10:11], exec, s[34:35]
; %bb.23:                               ;   in Loop: Header=BB354_13 Depth=1
	v_bfe_u32 v2, v1, 16, 1
	v_add3_u32 v5, v1, v2, s44
                                        ; implicit-def: $vgpr1
; %bb.24:                               ;   in Loop: Header=BB354_13 Depth=1
	s_andn2_saveexec_b64 s[34:35], s[10:11]
; %bb.25:                               ;   in Loop: Header=BB354_13 Depth=1
	v_mov_b32_e32 v3, 0
	v_or_b32_e32 v2, 0x10000, v1
	v_cmp_eq_u32_sdwa s[10:11], v1, v3 src0_sel:WORD_0 src1_sel:DWORD
	v_cndmask_b32_e64 v5, v2, v1, s[10:11]
; %bb.26:                               ;   in Loop: Header=BB354_13 Depth=1
	s_or_b64 exec, exec, s[34:35]
	v_lshrrev_b16_e32 v44, 8, v42
	v_cmp_ne_u16_e64 s[10:11], 0, v44
	v_mov_b32_e32 v2, 0
	s_and_saveexec_b64 s[34:35], s[10:11]
	s_cbranch_execz .LBB354_32
; %bb.27:                               ;   in Loop: Header=BB354_13 Depth=1
	v_cmp_ne_u16_e64 s[10:11], s41, v44
	v_bfrev_b32_e32 v2, 1
	s_and_saveexec_b64 s[36:37], s[10:11]
	s_cbranch_execz .LBB354_31
; %bb.28:                               ;   in Loop: Header=BB354_13 Depth=1
	v_and_b32_e32 v1, 0x7f, v44
	v_cmp_ne_u32_e64 s[10:11], s42, v1
	v_mov_b32_e32 v2, 0x7f800001
	s_and_saveexec_b64 s[38:39], s[10:11]
	s_cbranch_execz .LBB354_30
; %bb.29:                               ;   in Loop: Header=BB354_13 Depth=1
	v_and_b32_e32 v12, 7, v44
	v_ffbh_u32_e32 v2, v12
	v_min_u32_e32 v14, 32, v2
	v_subrev_u32_e32 v2, 28, v14
	v_lshlrev_b64 v[2:3], v2, v[44:45]
	v_lshrrev_b32_e32 v13, 3, v1
	v_sub_u32_e32 v3, 29, v14
	v_and_b32_e32 v2, 7, v2
	v_cmp_gt_u32_e64 s[10:11], 8, v1
	v_cndmask_b32_e64 v1, v13, v3, s[10:11]
	v_cndmask_b32_e64 v2, v12, v2, s[10:11]
	v_lshlrev_b32_e32 v3, 16, v42
	v_bfrev_b32_e32 v4, 60
	v_lshlrev_b32_e32 v2, 20, v2
	v_and_b32_e32 v3, 0x80000000, v3
	v_lshl_add_u32 v1, v1, 23, v4
	v_or3_b32 v2, v3, v1, v2
.LBB354_30:                             ;   in Loop: Header=BB354_13 Depth=1
	s_or_b64 exec, exec, s[38:39]
.LBB354_31:                             ;   in Loop: Header=BB354_13 Depth=1
	s_or_b64 exec, exec, s[36:37]
.LBB354_32:                             ;   in Loop: Header=BB354_13 Depth=1
	s_or_b64 exec, exec, s[34:35]
	v_mul_f32_e32 v1, v0, v2
	v_and_b32_e32 v2, 0x7f800000, v1
	v_cmp_ne_u32_e64 s[10:11], s43, v2
                                        ; implicit-def: $vgpr10
	s_and_saveexec_b64 s[34:35], s[10:11]
	s_xor_b64 s[10:11], exec, s[34:35]
; %bb.33:                               ;   in Loop: Header=BB354_13 Depth=1
	v_bfe_u32 v2, v1, 16, 1
	v_add3_u32 v10, v1, v2, s44
                                        ; implicit-def: $vgpr1
; %bb.34:                               ;   in Loop: Header=BB354_13 Depth=1
	s_andn2_saveexec_b64 s[34:35], s[10:11]
; %bb.35:                               ;   in Loop: Header=BB354_13 Depth=1
	v_mov_b32_e32 v3, 0
	v_or_b32_e32 v2, 0x10000, v1
	v_cmp_eq_u32_sdwa s[10:11], v1, v3 src0_sel:WORD_0 src1_sel:DWORD
	v_cndmask_b32_e64 v10, v2, v1, s[10:11]
; %bb.36:                               ;   in Loop: Header=BB354_13 Depth=1
	s_or_b64 exec, exec, s[34:35]
	flat_load_ushort v1, v[40:41] offset:8
	v_mov_b32_e32 v2, 0
	s_waitcnt vmcnt(0) lgkmcnt(0)
	v_and_b32_e32 v42, 0xffff, v1
	v_cmp_ne_u16_sdwa s[10:11], v1, v2 src0_sel:BYTE_0 src1_sel:DWORD
	v_mov_b32_e32 v2, 0
	s_and_saveexec_b64 s[34:35], s[10:11]
	s_cbranch_execz .LBB354_42
; %bb.37:                               ;   in Loop: Header=BB354_13 Depth=1
	v_cmp_ne_u16_sdwa s[10:11], v42, s41 src0_sel:BYTE_0 src1_sel:DWORD
	v_bfrev_b32_e32 v2, 1
	s_and_saveexec_b64 s[36:37], s[10:11]
	s_cbranch_execz .LBB354_41
; %bb.38:                               ;   in Loop: Header=BB354_13 Depth=1
	v_and_b32_e32 v1, 0x7f, v42
	v_cmp_ne_u32_e64 s[10:11], s42, v1
	v_mov_b32_e32 v2, 0x7f800001
	s_and_saveexec_b64 s[38:39], s[10:11]
	s_cbranch_execz .LBB354_40
; %bb.39:                               ;   in Loop: Header=BB354_13 Depth=1
	v_and_b32_e32 v12, 7, v42
	v_ffbh_u32_e32 v2, v12
	v_min_u32_e32 v14, 32, v2
	v_subrev_u32_e32 v2, 28, v14
	v_lshlrev_b64 v[2:3], v2, v[42:43]
	v_lshrrev_b32_e32 v13, 3, v1
	v_sub_u32_e32 v3, 29, v14
	v_and_b32_e32 v2, 7, v2
	v_cmp_gt_u32_e64 s[10:11], 8, v1
	v_cndmask_b32_e64 v1, v13, v3, s[10:11]
	v_cndmask_b32_e64 v2, v12, v2, s[10:11]
	v_lshlrev_b32_e32 v3, 24, v42
	v_bfrev_b32_e32 v4, 60
	v_lshlrev_b32_e32 v2, 20, v2
	v_and_b32_e32 v3, 0x80000000, v3
	v_lshl_add_u32 v1, v1, 23, v4
	v_or3_b32 v2, v3, v1, v2
.LBB354_40:                             ;   in Loop: Header=BB354_13 Depth=1
	s_or_b64 exec, exec, s[38:39]
.LBB354_41:                             ;   in Loop: Header=BB354_13 Depth=1
	s_or_b64 exec, exec, s[36:37]
.LBB354_42:                             ;   in Loop: Header=BB354_13 Depth=1
	s_or_b64 exec, exec, s[34:35]
	v_mul_f32_e32 v1, v0, v2
	v_and_b32_e32 v2, 0x7f800000, v1
	v_cmp_ne_u32_e64 s[10:11], s43, v2
                                        ; implicit-def: $vgpr23
	s_and_saveexec_b64 s[34:35], s[10:11]
	s_xor_b64 s[10:11], exec, s[34:35]
; %bb.43:                               ;   in Loop: Header=BB354_13 Depth=1
	v_bfe_u32 v2, v1, 16, 1
	v_add3_u32 v23, v1, v2, s44
                                        ; implicit-def: $vgpr1
; %bb.44:                               ;   in Loop: Header=BB354_13 Depth=1
	s_andn2_saveexec_b64 s[34:35], s[10:11]
; %bb.45:                               ;   in Loop: Header=BB354_13 Depth=1
	v_mov_b32_e32 v3, 0
	v_or_b32_e32 v2, 0x10000, v1
	v_cmp_eq_u32_sdwa s[10:11], v1, v3 src0_sel:WORD_0 src1_sel:DWORD
	v_cndmask_b32_e64 v23, v2, v1, s[10:11]
; %bb.46:                               ;   in Loop: Header=BB354_13 Depth=1
	s_or_b64 exec, exec, s[34:35]
	v_lshrrev_b16_e32 v44, 8, v42
	v_cmp_ne_u16_e64 s[10:11], 0, v44
	v_mov_b32_e32 v12, 0
	s_and_saveexec_b64 s[34:35], s[10:11]
	s_cbranch_execz .LBB354_52
; %bb.47:                               ;   in Loop: Header=BB354_13 Depth=1
	v_cmp_ne_u16_e64 s[10:11], s41, v44
	v_bfrev_b32_e32 v12, 1
	s_and_saveexec_b64 s[36:37], s[10:11]
	s_cbranch_execz .LBB354_51
; %bb.48:                               ;   in Loop: Header=BB354_13 Depth=1
	v_and_b32_e32 v1, 0x7f, v44
	v_cmp_ne_u32_e64 s[10:11], s42, v1
	v_mov_b32_e32 v12, 0x7f800001
	s_and_saveexec_b64 s[38:39], s[10:11]
	s_cbranch_execz .LBB354_50
; %bb.49:                               ;   in Loop: Header=BB354_13 Depth=1
	v_and_b32_e32 v2, 7, v44
	v_ffbh_u32_e32 v12, v2
	v_min_u32_e32 v14, 32, v12
	v_subrev_u32_e32 v12, 28, v14
	v_lshlrev_b64 v[12:13], v12, v[44:45]
	v_lshrrev_b32_e32 v3, 3, v1
	v_sub_u32_e32 v13, 29, v14
	v_and_b32_e32 v12, 7, v12
	v_cmp_gt_u32_e64 s[10:11], 8, v1
	v_cndmask_b32_e64 v1, v3, v13, s[10:11]
	v_cndmask_b32_e64 v2, v2, v12, s[10:11]
	v_lshlrev_b32_e32 v3, 16, v42
	v_bfrev_b32_e32 v4, 60
	v_lshlrev_b32_e32 v2, 20, v2
	v_and_b32_e32 v3, 0x80000000, v3
	v_lshl_add_u32 v1, v1, 23, v4
	v_or3_b32 v12, v3, v1, v2
.LBB354_50:                             ;   in Loop: Header=BB354_13 Depth=1
	s_or_b64 exec, exec, s[38:39]
.LBB354_51:                             ;   in Loop: Header=BB354_13 Depth=1
	s_or_b64 exec, exec, s[36:37]
.LBB354_52:                             ;   in Loop: Header=BB354_13 Depth=1
	s_or_b64 exec, exec, s[34:35]
	v_mul_f32_e32 v1, v0, v12
	v_and_b32_e32 v2, 0x7f800000, v1
	v_cmp_ne_u32_e64 s[10:11], s43, v2
                                        ; implicit-def: $vgpr28
	s_and_saveexec_b64 s[34:35], s[10:11]
	s_xor_b64 s[10:11], exec, s[34:35]
; %bb.53:                               ;   in Loop: Header=BB354_13 Depth=1
	v_bfe_u32 v2, v1, 16, 1
	v_add3_u32 v28, v1, v2, s44
                                        ; implicit-def: $vgpr1
; %bb.54:                               ;   in Loop: Header=BB354_13 Depth=1
	s_andn2_saveexec_b64 s[34:35], s[10:11]
; %bb.55:                               ;   in Loop: Header=BB354_13 Depth=1
	v_mov_b32_e32 v3, 0
	v_or_b32_e32 v2, 0x10000, v1
	v_cmp_eq_u32_sdwa s[10:11], v1, v3 src0_sel:WORD_0 src1_sel:DWORD
	v_cndmask_b32_e64 v28, v2, v1, s[10:11]
; %bb.56:                               ;   in Loop: Header=BB354_13 Depth=1
	s_or_b64 exec, exec, s[34:35]
	flat_load_ushort v1, v[40:41] offset:256
	v_mov_b32_e32 v2, 0
	v_mov_b32_e32 v12, 0
	s_waitcnt vmcnt(0) lgkmcnt(0)
	v_and_b32_e32 v42, 0xffff, v1
	v_cmp_ne_u16_sdwa s[10:11], v1, v2 src0_sel:BYTE_0 src1_sel:DWORD
	s_and_saveexec_b64 s[34:35], s[10:11]
	s_cbranch_execz .LBB354_62
; %bb.57:                               ;   in Loop: Header=BB354_13 Depth=1
	v_cmp_ne_u16_sdwa s[10:11], v42, s41 src0_sel:BYTE_0 src1_sel:DWORD
	v_bfrev_b32_e32 v12, 1
	s_and_saveexec_b64 s[36:37], s[10:11]
	s_cbranch_execz .LBB354_61
; %bb.58:                               ;   in Loop: Header=BB354_13 Depth=1
	v_and_b32_e32 v1, 0x7f, v42
	v_cmp_ne_u32_e64 s[10:11], s42, v1
	v_mov_b32_e32 v12, 0x7f800001
	s_and_saveexec_b64 s[38:39], s[10:11]
	s_cbranch_execz .LBB354_60
; %bb.59:                               ;   in Loop: Header=BB354_13 Depth=1
	v_and_b32_e32 v2, 7, v42
	v_ffbh_u32_e32 v12, v2
	v_min_u32_e32 v14, 32, v12
	v_subrev_u32_e32 v12, 28, v14
	v_lshlrev_b64 v[12:13], v12, v[42:43]
	v_lshrrev_b32_e32 v3, 3, v1
	v_sub_u32_e32 v13, 29, v14
	v_and_b32_e32 v12, 7, v12
	v_cmp_gt_u32_e64 s[10:11], 8, v1
	v_cndmask_b32_e64 v1, v3, v13, s[10:11]
	v_cndmask_b32_e64 v2, v2, v12, s[10:11]
	v_lshlrev_b32_e32 v3, 24, v42
	v_bfrev_b32_e32 v4, 60
	v_lshlrev_b32_e32 v2, 20, v2
	v_and_b32_e32 v3, 0x80000000, v3
	v_lshl_add_u32 v1, v1, 23, v4
	v_or3_b32 v12, v3, v1, v2
.LBB354_60:                             ;   in Loop: Header=BB354_13 Depth=1
	s_or_b64 exec, exec, s[38:39]
.LBB354_61:                             ;   in Loop: Header=BB354_13 Depth=1
	s_or_b64 exec, exec, s[36:37]
.LBB354_62:                             ;   in Loop: Header=BB354_13 Depth=1
	s_or_b64 exec, exec, s[34:35]
	v_mul_f32_e32 v1, v0, v12
	v_and_b32_e32 v2, 0x7f800000, v1
	v_cmp_ne_u32_e64 s[10:11], s43, v2
                                        ; implicit-def: $vgpr48
	s_and_saveexec_b64 s[34:35], s[10:11]
	s_xor_b64 s[10:11], exec, s[34:35]
; %bb.63:                               ;   in Loop: Header=BB354_13 Depth=1
	v_bfe_u32 v2, v1, 16, 1
	v_add3_u32 v48, v1, v2, s44
                                        ; implicit-def: $vgpr1
; %bb.64:                               ;   in Loop: Header=BB354_13 Depth=1
	s_andn2_saveexec_b64 s[34:35], s[10:11]
; %bb.65:                               ;   in Loop: Header=BB354_13 Depth=1
	v_mov_b32_e32 v3, 0
	v_or_b32_e32 v2, 0x10000, v1
	v_cmp_eq_u32_sdwa s[10:11], v1, v3 src0_sel:WORD_0 src1_sel:DWORD
	v_cndmask_b32_e64 v48, v2, v1, s[10:11]
; %bb.66:                               ;   in Loop: Header=BB354_13 Depth=1
	s_or_b64 exec, exec, s[34:35]
	v_lshrrev_b16_e32 v44, 8, v42
	v_cmp_ne_u16_e64 s[10:11], 0, v44
	v_mov_b32_e32 v12, 0
	s_and_saveexec_b64 s[34:35], s[10:11]
	s_cbranch_execz .LBB354_72
; %bb.67:                               ;   in Loop: Header=BB354_13 Depth=1
	v_cmp_ne_u16_e64 s[10:11], s41, v44
	v_bfrev_b32_e32 v12, 1
	s_and_saveexec_b64 s[36:37], s[10:11]
	s_cbranch_execz .LBB354_71
; %bb.68:                               ;   in Loop: Header=BB354_13 Depth=1
	v_and_b32_e32 v1, 0x7f, v44
	v_cmp_ne_u32_e64 s[10:11], s42, v1
	v_mov_b32_e32 v12, 0x7f800001
	s_and_saveexec_b64 s[38:39], s[10:11]
	s_cbranch_execz .LBB354_70
; %bb.69:                               ;   in Loop: Header=BB354_13 Depth=1
	v_and_b32_e32 v2, 7, v44
	v_ffbh_u32_e32 v12, v2
	v_min_u32_e32 v14, 32, v12
	v_subrev_u32_e32 v12, 28, v14
	v_lshlrev_b64 v[12:13], v12, v[44:45]
	v_lshrrev_b32_e32 v3, 3, v1
	v_sub_u32_e32 v13, 29, v14
	v_and_b32_e32 v12, 7, v12
	v_cmp_gt_u32_e64 s[10:11], 8, v1
	v_cndmask_b32_e64 v1, v3, v13, s[10:11]
	v_cndmask_b32_e64 v2, v2, v12, s[10:11]
	v_lshlrev_b32_e32 v3, 16, v42
	v_bfrev_b32_e32 v4, 60
	v_lshlrev_b32_e32 v2, 20, v2
	v_and_b32_e32 v3, 0x80000000, v3
	v_lshl_add_u32 v1, v1, 23, v4
	v_or3_b32 v12, v3, v1, v2
.LBB354_70:                             ;   in Loop: Header=BB354_13 Depth=1
	s_or_b64 exec, exec, s[38:39]
.LBB354_71:                             ;   in Loop: Header=BB354_13 Depth=1
	s_or_b64 exec, exec, s[36:37]
.LBB354_72:                             ;   in Loop: Header=BB354_13 Depth=1
	s_or_b64 exec, exec, s[34:35]
	v_mul_f32_e32 v1, v0, v12
	v_and_b32_e32 v2, 0x7f800000, v1
	v_cmp_ne_u32_e64 s[10:11], s43, v2
                                        ; implicit-def: $agpr47
	s_and_saveexec_b64 s[34:35], s[10:11]
	s_xor_b64 s[10:11], exec, s[34:35]
; %bb.73:                               ;   in Loop: Header=BB354_13 Depth=1
	v_bfe_u32 v2, v1, 16, 1
	v_add3_u32 v1, v1, v2, s44
	v_accvgpr_write_b32 a47, v1
                                        ; implicit-def: $vgpr1
; %bb.74:                               ;   in Loop: Header=BB354_13 Depth=1
	s_andn2_saveexec_b64 s[34:35], s[10:11]
; %bb.75:                               ;   in Loop: Header=BB354_13 Depth=1
	v_mov_b32_e32 v3, 0
	v_or_b32_e32 v2, 0x10000, v1
	v_cmp_eq_u32_sdwa s[10:11], v1, v3 src0_sel:WORD_0 src1_sel:DWORD
	v_cndmask_b32_e64 v1, v2, v1, s[10:11]
	v_accvgpr_write_b32 a47, v1
; %bb.76:                               ;   in Loop: Header=BB354_13 Depth=1
	s_or_b64 exec, exec, s[34:35]
	flat_load_ushort v1, v[40:41] offset:264
	v_mov_b32_e32 v2, 0
	v_mov_b32_e32 v12, 0
	s_waitcnt vmcnt(0) lgkmcnt(0)
	v_and_b32_e32 v42, 0xffff, v1
	v_cmp_ne_u16_sdwa s[10:11], v1, v2 src0_sel:BYTE_0 src1_sel:DWORD
	s_and_saveexec_b64 s[34:35], s[10:11]
	s_cbranch_execz .LBB354_82
; %bb.77:                               ;   in Loop: Header=BB354_13 Depth=1
	v_cmp_ne_u16_sdwa s[10:11], v42, s41 src0_sel:BYTE_0 src1_sel:DWORD
	v_bfrev_b32_e32 v12, 1
	s_and_saveexec_b64 s[36:37], s[10:11]
	s_cbranch_execz .LBB354_81
; %bb.78:                               ;   in Loop: Header=BB354_13 Depth=1
	v_and_b32_e32 v1, 0x7f, v42
	v_cmp_ne_u32_e64 s[10:11], s42, v1
	v_mov_b32_e32 v12, 0x7f800001
	s_and_saveexec_b64 s[38:39], s[10:11]
	s_cbranch_execz .LBB354_80
; %bb.79:                               ;   in Loop: Header=BB354_13 Depth=1
	v_and_b32_e32 v2, 7, v42
	v_ffbh_u32_e32 v12, v2
	v_min_u32_e32 v14, 32, v12
	v_subrev_u32_e32 v12, 28, v14
	v_lshlrev_b64 v[12:13], v12, v[42:43]
	v_lshrrev_b32_e32 v3, 3, v1
	v_sub_u32_e32 v13, 29, v14
	v_and_b32_e32 v12, 7, v12
	v_cmp_gt_u32_e64 s[10:11], 8, v1
	v_cndmask_b32_e64 v1, v3, v13, s[10:11]
	v_cndmask_b32_e64 v2, v2, v12, s[10:11]
	v_lshlrev_b32_e32 v3, 24, v42
	v_bfrev_b32_e32 v4, 60
	v_lshlrev_b32_e32 v2, 20, v2
	v_and_b32_e32 v3, 0x80000000, v3
	v_lshl_add_u32 v1, v1, 23, v4
	v_or3_b32 v12, v3, v1, v2
.LBB354_80:                             ;   in Loop: Header=BB354_13 Depth=1
	s_or_b64 exec, exec, s[38:39]
.LBB354_81:                             ;   in Loop: Header=BB354_13 Depth=1
	s_or_b64 exec, exec, s[36:37]
.LBB354_82:                             ;   in Loop: Header=BB354_13 Depth=1
	s_or_b64 exec, exec, s[34:35]
	v_mul_f32_e32 v1, v0, v12
	v_and_b32_e32 v2, 0x7f800000, v1
	v_cmp_ne_u32_e64 s[10:11], s43, v2
                                        ; implicit-def: $vgpr53
	s_and_saveexec_b64 s[34:35], s[10:11]
	s_xor_b64 s[10:11], exec, s[34:35]
; %bb.83:                               ;   in Loop: Header=BB354_13 Depth=1
	v_bfe_u32 v2, v1, 16, 1
	v_add3_u32 v53, v1, v2, s44
                                        ; implicit-def: $vgpr1
; %bb.84:                               ;   in Loop: Header=BB354_13 Depth=1
	s_andn2_saveexec_b64 s[34:35], s[10:11]
; %bb.85:                               ;   in Loop: Header=BB354_13 Depth=1
	v_mov_b32_e32 v3, 0
	v_or_b32_e32 v2, 0x10000, v1
	v_cmp_eq_u32_sdwa s[10:11], v1, v3 src0_sel:WORD_0 src1_sel:DWORD
	v_cndmask_b32_e64 v53, v2, v1, s[10:11]
; %bb.86:                               ;   in Loop: Header=BB354_13 Depth=1
	s_or_b64 exec, exec, s[34:35]
	v_lshrrev_b16_e32 v44, 8, v42
	v_cmp_ne_u16_e64 s[10:11], 0, v44
	v_mov_b32_e32 v12, 0
	s_and_saveexec_b64 s[34:35], s[10:11]
	s_cbranch_execz .LBB354_92
; %bb.87:                               ;   in Loop: Header=BB354_13 Depth=1
	v_cmp_ne_u16_e64 s[10:11], s41, v44
	v_bfrev_b32_e32 v12, 1
	s_and_saveexec_b64 s[36:37], s[10:11]
	s_cbranch_execz .LBB354_91
; %bb.88:                               ;   in Loop: Header=BB354_13 Depth=1
	v_and_b32_e32 v1, 0x7f, v44
	v_cmp_ne_u32_e64 s[10:11], s42, v1
	v_mov_b32_e32 v12, 0x7f800001
	s_and_saveexec_b64 s[38:39], s[10:11]
	s_cbranch_execz .LBB354_90
; %bb.89:                               ;   in Loop: Header=BB354_13 Depth=1
	v_and_b32_e32 v2, 7, v44
	v_ffbh_u32_e32 v12, v2
	v_min_u32_e32 v14, 32, v12
	v_subrev_u32_e32 v12, 28, v14
	v_lshlrev_b64 v[12:13], v12, v[44:45]
	v_lshrrev_b32_e32 v3, 3, v1
	v_sub_u32_e32 v13, 29, v14
	v_and_b32_e32 v12, 7, v12
	v_cmp_gt_u32_e64 s[10:11], 8, v1
	v_cndmask_b32_e64 v1, v3, v13, s[10:11]
	v_cndmask_b32_e64 v2, v2, v12, s[10:11]
	v_lshlrev_b32_e32 v3, 16, v42
	v_bfrev_b32_e32 v4, 60
	v_lshlrev_b32_e32 v2, 20, v2
	v_and_b32_e32 v3, 0x80000000, v3
	v_lshl_add_u32 v1, v1, 23, v4
	v_or3_b32 v12, v3, v1, v2
.LBB354_90:                             ;   in Loop: Header=BB354_13 Depth=1
	s_or_b64 exec, exec, s[38:39]
.LBB354_91:                             ;   in Loop: Header=BB354_13 Depth=1
	s_or_b64 exec, exec, s[36:37]
.LBB354_92:                             ;   in Loop: Header=BB354_13 Depth=1
	s_or_b64 exec, exec, s[34:35]
	v_mul_f32_e32 v1, v0, v12
	v_and_b32_e32 v2, 0x7f800000, v1
	v_cmp_ne_u32_e64 s[10:11], s43, v2
                                        ; implicit-def: $vgpr29
	s_and_saveexec_b64 s[34:35], s[10:11]
	s_xor_b64 s[10:11], exec, s[34:35]
; %bb.93:                               ;   in Loop: Header=BB354_13 Depth=1
	v_bfe_u32 v2, v1, 16, 1
	v_add3_u32 v29, v1, v2, s44
                                        ; implicit-def: $vgpr1
; %bb.94:                               ;   in Loop: Header=BB354_13 Depth=1
	s_andn2_saveexec_b64 s[34:35], s[10:11]
; %bb.95:                               ;   in Loop: Header=BB354_13 Depth=1
	v_mov_b32_e32 v3, 0
	v_or_b32_e32 v2, 0x10000, v1
	v_cmp_eq_u32_sdwa s[10:11], v1, v3 src0_sel:WORD_0 src1_sel:DWORD
	v_cndmask_b32_e64 v29, v2, v1, s[10:11]
; %bb.96:                               ;   in Loop: Header=BB354_13 Depth=1
	s_or_b64 exec, exec, s[34:35]
	flat_load_ushort v1, v[40:41] offset:512
	v_mov_b32_e32 v2, 0
	v_mov_b32_e32 v12, 0
	s_waitcnt vmcnt(0) lgkmcnt(0)
	v_and_b32_e32 v42, 0xffff, v1
	v_cmp_ne_u16_sdwa s[10:11], v1, v2 src0_sel:BYTE_0 src1_sel:DWORD
	s_and_saveexec_b64 s[34:35], s[10:11]
	s_cbranch_execz .LBB354_102
; %bb.97:                               ;   in Loop: Header=BB354_13 Depth=1
	v_cmp_ne_u16_sdwa s[10:11], v42, s41 src0_sel:BYTE_0 src1_sel:DWORD
	v_bfrev_b32_e32 v12, 1
	s_and_saveexec_b64 s[36:37], s[10:11]
	s_cbranch_execz .LBB354_101
; %bb.98:                               ;   in Loop: Header=BB354_13 Depth=1
	v_and_b32_e32 v1, 0x7f, v42
	v_cmp_ne_u32_e64 s[10:11], s42, v1
	v_mov_b32_e32 v12, 0x7f800001
	s_and_saveexec_b64 s[38:39], s[10:11]
	s_cbranch_execz .LBB354_100
; %bb.99:                               ;   in Loop: Header=BB354_13 Depth=1
	v_and_b32_e32 v2, 7, v42
	v_ffbh_u32_e32 v12, v2
	v_min_u32_e32 v14, 32, v12
	v_subrev_u32_e32 v12, 28, v14
	v_lshlrev_b64 v[12:13], v12, v[42:43]
	v_lshrrev_b32_e32 v3, 3, v1
	v_sub_u32_e32 v13, 29, v14
	v_and_b32_e32 v12, 7, v12
	v_cmp_gt_u32_e64 s[10:11], 8, v1
	v_cndmask_b32_e64 v1, v3, v13, s[10:11]
	v_cndmask_b32_e64 v2, v2, v12, s[10:11]
	v_lshlrev_b32_e32 v3, 24, v42
	v_bfrev_b32_e32 v4, 60
	v_lshlrev_b32_e32 v2, 20, v2
	v_and_b32_e32 v3, 0x80000000, v3
	v_lshl_add_u32 v1, v1, 23, v4
	v_or3_b32 v12, v3, v1, v2
.LBB354_100:                            ;   in Loop: Header=BB354_13 Depth=1
	s_or_b64 exec, exec, s[38:39]
.LBB354_101:                            ;   in Loop: Header=BB354_13 Depth=1
	s_or_b64 exec, exec, s[36:37]
.LBB354_102:                            ;   in Loop: Header=BB354_13 Depth=1
	s_or_b64 exec, exec, s[34:35]
	v_mul_f32_e32 v1, v0, v12
	v_and_b32_e32 v2, 0x7f800000, v1
	v_cmp_ne_u32_e64 s[10:11], s43, v2
                                        ; implicit-def: $agpr48
	s_and_saveexec_b64 s[34:35], s[10:11]
	s_xor_b64 s[10:11], exec, s[34:35]
; %bb.103:                              ;   in Loop: Header=BB354_13 Depth=1
	v_bfe_u32 v2, v1, 16, 1
	v_add3_u32 v1, v1, v2, s44
	v_accvgpr_write_b32 a48, v1
                                        ; implicit-def: $vgpr1
; %bb.104:                              ;   in Loop: Header=BB354_13 Depth=1
	s_andn2_saveexec_b64 s[34:35], s[10:11]
; %bb.105:                              ;   in Loop: Header=BB354_13 Depth=1
	v_mov_b32_e32 v3, 0
	v_or_b32_e32 v2, 0x10000, v1
	v_cmp_eq_u32_sdwa s[10:11], v1, v3 src0_sel:WORD_0 src1_sel:DWORD
	v_cndmask_b32_e64 v1, v2, v1, s[10:11]
	v_accvgpr_write_b32 a48, v1
; %bb.106:                              ;   in Loop: Header=BB354_13 Depth=1
	s_or_b64 exec, exec, s[34:35]
	v_lshrrev_b16_e32 v44, 8, v42
	v_cmp_ne_u16_e64 s[10:11], 0, v44
	v_mov_b32_e32 v13, 0
	s_and_saveexec_b64 s[34:35], s[10:11]
	s_cbranch_execz .LBB354_112
; %bb.107:                              ;   in Loop: Header=BB354_13 Depth=1
	v_cmp_ne_u16_e64 s[10:11], s41, v44
	v_bfrev_b32_e32 v13, 1
	s_and_saveexec_b64 s[36:37], s[10:11]
	s_cbranch_execz .LBB354_111
; %bb.108:                              ;   in Loop: Header=BB354_13 Depth=1
	v_and_b32_e32 v1, 0x7f, v44
	v_cmp_ne_u32_e64 s[10:11], s42, v1
	v_mov_b32_e32 v13, 0x7f800001
	s_and_saveexec_b64 s[38:39], s[10:11]
	s_cbranch_execz .LBB354_110
; %bb.109:                              ;   in Loop: Header=BB354_13 Depth=1
	v_and_b32_e32 v2, 7, v44
	v_ffbh_u32_e32 v13, v2
	v_min_u32_e32 v13, 32, v13
	v_subrev_u32_e32 v14, 28, v13
	v_lshlrev_b64 v[20:21], v14, v[44:45]
	v_lshrrev_b32_e32 v3, 3, v1
	v_sub_u32_e32 v13, 29, v13
	v_and_b32_e32 v14, 7, v20
	v_cmp_gt_u32_e64 s[10:11], 8, v1
	v_cndmask_b32_e64 v1, v3, v13, s[10:11]
	v_cndmask_b32_e64 v2, v2, v14, s[10:11]
	v_lshlrev_b32_e32 v3, 16, v42
	v_bfrev_b32_e32 v4, 60
	v_lshlrev_b32_e32 v2, 20, v2
	v_and_b32_e32 v3, 0x80000000, v3
	v_lshl_add_u32 v1, v1, 23, v4
	v_or3_b32 v13, v3, v1, v2
.LBB354_110:                            ;   in Loop: Header=BB354_13 Depth=1
	s_or_b64 exec, exec, s[38:39]
.LBB354_111:                            ;   in Loop: Header=BB354_13 Depth=1
	s_or_b64 exec, exec, s[36:37]
.LBB354_112:                            ;   in Loop: Header=BB354_13 Depth=1
	s_or_b64 exec, exec, s[34:35]
	v_mul_f32_e32 v1, v0, v13
	v_and_b32_e32 v2, 0x7f800000, v1
	v_cmp_ne_u32_e64 s[10:11], s43, v2
                                        ; implicit-def: $agpr49
	s_and_saveexec_b64 s[34:35], s[10:11]
	s_xor_b64 s[10:11], exec, s[34:35]
; %bb.113:                              ;   in Loop: Header=BB354_13 Depth=1
	v_bfe_u32 v2, v1, 16, 1
	v_add3_u32 v1, v1, v2, s44
	v_accvgpr_write_b32 a49, v1
                                        ; implicit-def: $vgpr1
; %bb.114:                              ;   in Loop: Header=BB354_13 Depth=1
	s_andn2_saveexec_b64 s[34:35], s[10:11]
; %bb.115:                              ;   in Loop: Header=BB354_13 Depth=1
	v_mov_b32_e32 v3, 0
	v_or_b32_e32 v2, 0x10000, v1
	v_cmp_eq_u32_sdwa s[10:11], v1, v3 src0_sel:WORD_0 src1_sel:DWORD
	v_cndmask_b32_e64 v1, v2, v1, s[10:11]
	v_accvgpr_write_b32 a49, v1
; %bb.116:                              ;   in Loop: Header=BB354_13 Depth=1
	s_or_b64 exec, exec, s[34:35]
	flat_load_ushort v1, v[40:41] offset:520
	v_mov_b32_e32 v2, 0
	v_mov_b32_e32 v13, 0
	s_waitcnt vmcnt(0) lgkmcnt(0)
	v_and_b32_e32 v42, 0xffff, v1
	v_cmp_ne_u16_sdwa s[10:11], v1, v2 src0_sel:BYTE_0 src1_sel:DWORD
	s_and_saveexec_b64 s[34:35], s[10:11]
	s_cbranch_execz .LBB354_122
; %bb.117:                              ;   in Loop: Header=BB354_13 Depth=1
	v_cmp_ne_u16_sdwa s[10:11], v42, s41 src0_sel:BYTE_0 src1_sel:DWORD
	v_bfrev_b32_e32 v13, 1
	s_and_saveexec_b64 s[36:37], s[10:11]
	s_cbranch_execz .LBB354_121
; %bb.118:                              ;   in Loop: Header=BB354_13 Depth=1
	v_and_b32_e32 v1, 0x7f, v42
	v_cmp_ne_u32_e64 s[10:11], s42, v1
	v_mov_b32_e32 v13, 0x7f800001
	s_and_saveexec_b64 s[38:39], s[10:11]
	s_cbranch_execz .LBB354_120
; %bb.119:                              ;   in Loop: Header=BB354_13 Depth=1
	v_and_b32_e32 v2, 7, v42
	v_ffbh_u32_e32 v13, v2
	v_min_u32_e32 v13, 32, v13
	v_subrev_u32_e32 v14, 28, v13
	v_lshlrev_b64 v[20:21], v14, v[42:43]
	v_lshrrev_b32_e32 v3, 3, v1
	v_sub_u32_e32 v13, 29, v13
	v_and_b32_e32 v14, 7, v20
	v_cmp_gt_u32_e64 s[10:11], 8, v1
	v_cndmask_b32_e64 v1, v3, v13, s[10:11]
	v_cndmask_b32_e64 v2, v2, v14, s[10:11]
	v_lshlrev_b32_e32 v3, 24, v42
	v_bfrev_b32_e32 v4, 60
	v_lshlrev_b32_e32 v2, 20, v2
	v_and_b32_e32 v3, 0x80000000, v3
	v_lshl_add_u32 v1, v1, 23, v4
	v_or3_b32 v13, v3, v1, v2
.LBB354_120:                            ;   in Loop: Header=BB354_13 Depth=1
	s_or_b64 exec, exec, s[38:39]
.LBB354_121:                            ;   in Loop: Header=BB354_13 Depth=1
	s_or_b64 exec, exec, s[36:37]
.LBB354_122:                            ;   in Loop: Header=BB354_13 Depth=1
	s_or_b64 exec, exec, s[34:35]
	v_mul_f32_e32 v1, v0, v13
	v_and_b32_e32 v2, 0x7f800000, v1
	v_cmp_ne_u32_e64 s[10:11], s43, v2
                                        ; implicit-def: $agpr50
	s_and_saveexec_b64 s[34:35], s[10:11]
	s_xor_b64 s[10:11], exec, s[34:35]
; %bb.123:                              ;   in Loop: Header=BB354_13 Depth=1
	v_bfe_u32 v2, v1, 16, 1
	v_add3_u32 v1, v1, v2, s44
	v_accvgpr_write_b32 a50, v1
                                        ; implicit-def: $vgpr1
; %bb.124:                              ;   in Loop: Header=BB354_13 Depth=1
	s_andn2_saveexec_b64 s[34:35], s[10:11]
; %bb.125:                              ;   in Loop: Header=BB354_13 Depth=1
	v_mov_b32_e32 v3, 0
	v_or_b32_e32 v2, 0x10000, v1
	v_cmp_eq_u32_sdwa s[10:11], v1, v3 src0_sel:WORD_0 src1_sel:DWORD
	v_cndmask_b32_e64 v1, v2, v1, s[10:11]
	v_accvgpr_write_b32 a50, v1
; %bb.126:                              ;   in Loop: Header=BB354_13 Depth=1
	s_or_b64 exec, exec, s[34:35]
	v_lshrrev_b16_e32 v44, 8, v42
	v_cmp_ne_u16_e64 s[10:11], 0, v44
	v_mov_b32_e32 v13, 0
	s_and_saveexec_b64 s[34:35], s[10:11]
	s_cbranch_execz .LBB354_132
; %bb.127:                              ;   in Loop: Header=BB354_13 Depth=1
	v_cmp_ne_u16_e64 s[10:11], s41, v44
	v_bfrev_b32_e32 v13, 1
	s_and_saveexec_b64 s[36:37], s[10:11]
	s_cbranch_execz .LBB354_131
; %bb.128:                              ;   in Loop: Header=BB354_13 Depth=1
	v_and_b32_e32 v1, 0x7f, v44
	v_cmp_ne_u32_e64 s[10:11], s42, v1
	v_mov_b32_e32 v13, 0x7f800001
	s_and_saveexec_b64 s[38:39], s[10:11]
	s_cbranch_execz .LBB354_130
; %bb.129:                              ;   in Loop: Header=BB354_13 Depth=1
	v_and_b32_e32 v2, 7, v44
	v_ffbh_u32_e32 v13, v2
	v_min_u32_e32 v13, 32, v13
	v_subrev_u32_e32 v14, 28, v13
	v_lshlrev_b64 v[20:21], v14, v[44:45]
	v_lshrrev_b32_e32 v3, 3, v1
	v_sub_u32_e32 v13, 29, v13
	v_and_b32_e32 v14, 7, v20
	v_cmp_gt_u32_e64 s[10:11], 8, v1
	v_cndmask_b32_e64 v1, v3, v13, s[10:11]
	v_cndmask_b32_e64 v2, v2, v14, s[10:11]
	v_lshlrev_b32_e32 v3, 16, v42
	v_bfrev_b32_e32 v4, 60
	v_lshlrev_b32_e32 v2, 20, v2
	v_and_b32_e32 v3, 0x80000000, v3
	v_lshl_add_u32 v1, v1, 23, v4
	v_or3_b32 v13, v3, v1, v2
.LBB354_130:                            ;   in Loop: Header=BB354_13 Depth=1
	s_or_b64 exec, exec, s[38:39]
.LBB354_131:                            ;   in Loop: Header=BB354_13 Depth=1
	s_or_b64 exec, exec, s[36:37]
.LBB354_132:                            ;   in Loop: Header=BB354_13 Depth=1
	s_or_b64 exec, exec, s[34:35]
	v_mul_f32_e32 v1, v0, v13
	v_and_b32_e32 v2, 0x7f800000, v1
	v_cmp_ne_u32_e64 s[10:11], s43, v2
                                        ; implicit-def: $agpr51
	s_and_saveexec_b64 s[34:35], s[10:11]
	s_xor_b64 s[10:11], exec, s[34:35]
; %bb.133:                              ;   in Loop: Header=BB354_13 Depth=1
	v_bfe_u32 v2, v1, 16, 1
	v_add3_u32 v1, v1, v2, s44
	v_accvgpr_write_b32 a51, v1
                                        ; implicit-def: $vgpr1
; %bb.134:                              ;   in Loop: Header=BB354_13 Depth=1
	s_andn2_saveexec_b64 s[34:35], s[10:11]
; %bb.135:                              ;   in Loop: Header=BB354_13 Depth=1
	v_mov_b32_e32 v3, 0
	v_or_b32_e32 v2, 0x10000, v1
	v_cmp_eq_u32_sdwa s[10:11], v1, v3 src0_sel:WORD_0 src1_sel:DWORD
	v_cndmask_b32_e64 v1, v2, v1, s[10:11]
	v_accvgpr_write_b32 a51, v1
; %bb.136:                              ;   in Loop: Header=BB354_13 Depth=1
	s_or_b64 exec, exec, s[34:35]
	flat_load_ushort v1, v[40:41] offset:768
	v_mov_b32_e32 v2, 0
	v_mov_b32_e32 v13, 0
	s_waitcnt vmcnt(0) lgkmcnt(0)
	v_and_b32_e32 v42, 0xffff, v1
	v_cmp_ne_u16_sdwa s[10:11], v1, v2 src0_sel:BYTE_0 src1_sel:DWORD
	s_and_saveexec_b64 s[34:35], s[10:11]
	s_cbranch_execz .LBB354_142
; %bb.137:                              ;   in Loop: Header=BB354_13 Depth=1
	v_cmp_ne_u16_sdwa s[10:11], v42, s41 src0_sel:BYTE_0 src1_sel:DWORD
	v_bfrev_b32_e32 v13, 1
	s_and_saveexec_b64 s[36:37], s[10:11]
	s_cbranch_execz .LBB354_141
; %bb.138:                              ;   in Loop: Header=BB354_13 Depth=1
	v_and_b32_e32 v1, 0x7f, v42
	v_cmp_ne_u32_e64 s[10:11], s42, v1
	v_mov_b32_e32 v13, 0x7f800001
	s_and_saveexec_b64 s[38:39], s[10:11]
	s_cbranch_execz .LBB354_140
; %bb.139:                              ;   in Loop: Header=BB354_13 Depth=1
	v_and_b32_e32 v2, 7, v42
	v_ffbh_u32_e32 v13, v2
	v_min_u32_e32 v13, 32, v13
	v_subrev_u32_e32 v14, 28, v13
	v_lshlrev_b64 v[20:21], v14, v[42:43]
	v_lshrrev_b32_e32 v3, 3, v1
	v_sub_u32_e32 v13, 29, v13
	v_and_b32_e32 v14, 7, v20
	v_cmp_gt_u32_e64 s[10:11], 8, v1
	v_cndmask_b32_e64 v1, v3, v13, s[10:11]
	v_cndmask_b32_e64 v2, v2, v14, s[10:11]
	v_lshlrev_b32_e32 v3, 24, v42
	v_bfrev_b32_e32 v4, 60
	v_lshlrev_b32_e32 v2, 20, v2
	v_and_b32_e32 v3, 0x80000000, v3
	v_lshl_add_u32 v1, v1, 23, v4
	v_or3_b32 v13, v3, v1, v2
.LBB354_140:                            ;   in Loop: Header=BB354_13 Depth=1
	s_or_b64 exec, exec, s[38:39]
.LBB354_141:                            ;   in Loop: Header=BB354_13 Depth=1
	s_or_b64 exec, exec, s[36:37]
.LBB354_142:                            ;   in Loop: Header=BB354_13 Depth=1
	s_or_b64 exec, exec, s[34:35]
	v_mul_f32_e32 v1, v0, v13
	v_and_b32_e32 v2, 0x7f800000, v1
	v_cmp_ne_u32_e64 s[10:11], s43, v2
                                        ; implicit-def: $agpr52
	s_and_saveexec_b64 s[34:35], s[10:11]
	s_xor_b64 s[10:11], exec, s[34:35]
; %bb.143:                              ;   in Loop: Header=BB354_13 Depth=1
	v_bfe_u32 v2, v1, 16, 1
	v_add3_u32 v1, v1, v2, s44
	v_accvgpr_write_b32 a52, v1
                                        ; implicit-def: $vgpr1
; %bb.144:                              ;   in Loop: Header=BB354_13 Depth=1
	s_andn2_saveexec_b64 s[34:35], s[10:11]
; %bb.145:                              ;   in Loop: Header=BB354_13 Depth=1
	v_mov_b32_e32 v3, 0
	v_or_b32_e32 v2, 0x10000, v1
	v_cmp_eq_u32_sdwa s[10:11], v1, v3 src0_sel:WORD_0 src1_sel:DWORD
	v_cndmask_b32_e64 v1, v2, v1, s[10:11]
	v_accvgpr_write_b32 a52, v1
; %bb.146:                              ;   in Loop: Header=BB354_13 Depth=1
	s_or_b64 exec, exec, s[34:35]
	v_lshrrev_b16_e32 v44, 8, v42
	v_cmp_ne_u16_e64 s[10:11], 0, v44
	v_mov_b32_e32 v13, 0
	s_and_saveexec_b64 s[34:35], s[10:11]
	s_cbranch_execz .LBB354_152
; %bb.147:                              ;   in Loop: Header=BB354_13 Depth=1
	v_cmp_ne_u16_e64 s[10:11], s41, v44
	v_bfrev_b32_e32 v13, 1
	s_and_saveexec_b64 s[36:37], s[10:11]
	s_cbranch_execz .LBB354_151
; %bb.148:                              ;   in Loop: Header=BB354_13 Depth=1
	v_and_b32_e32 v1, 0x7f, v44
	v_cmp_ne_u32_e64 s[10:11], s42, v1
	v_mov_b32_e32 v13, 0x7f800001
	s_and_saveexec_b64 s[38:39], s[10:11]
	s_cbranch_execz .LBB354_150
; %bb.149:                              ;   in Loop: Header=BB354_13 Depth=1
	v_and_b32_e32 v2, 7, v44
	v_ffbh_u32_e32 v13, v2
	v_min_u32_e32 v13, 32, v13
	v_subrev_u32_e32 v14, 28, v13
	v_lshlrev_b64 v[20:21], v14, v[44:45]
	v_lshrrev_b32_e32 v3, 3, v1
	v_sub_u32_e32 v13, 29, v13
	v_and_b32_e32 v14, 7, v20
	v_cmp_gt_u32_e64 s[10:11], 8, v1
	v_cndmask_b32_e64 v1, v3, v13, s[10:11]
	v_cndmask_b32_e64 v2, v2, v14, s[10:11]
	v_lshlrev_b32_e32 v3, 16, v42
	v_bfrev_b32_e32 v4, 60
	v_lshlrev_b32_e32 v2, 20, v2
	v_and_b32_e32 v3, 0x80000000, v3
	v_lshl_add_u32 v1, v1, 23, v4
	v_or3_b32 v13, v3, v1, v2
.LBB354_150:                            ;   in Loop: Header=BB354_13 Depth=1
	s_or_b64 exec, exec, s[38:39]
.LBB354_151:                            ;   in Loop: Header=BB354_13 Depth=1
	s_or_b64 exec, exec, s[36:37]
.LBB354_152:                            ;   in Loop: Header=BB354_13 Depth=1
	s_or_b64 exec, exec, s[34:35]
	v_mul_f32_e32 v1, v0, v13
	v_and_b32_e32 v2, 0x7f800000, v1
	v_cmp_ne_u32_e64 s[10:11], s43, v2
                                        ; implicit-def: $vgpr61
	s_and_saveexec_b64 s[34:35], s[10:11]
	s_xor_b64 s[10:11], exec, s[34:35]
; %bb.153:                              ;   in Loop: Header=BB354_13 Depth=1
	v_bfe_u32 v2, v1, 16, 1
	v_add3_u32 v61, v1, v2, s44
                                        ; implicit-def: $vgpr1
; %bb.154:                              ;   in Loop: Header=BB354_13 Depth=1
	s_andn2_saveexec_b64 s[34:35], s[10:11]
; %bb.155:                              ;   in Loop: Header=BB354_13 Depth=1
	v_mov_b32_e32 v3, 0
	v_or_b32_e32 v2, 0x10000, v1
	v_cmp_eq_u32_sdwa s[10:11], v1, v3 src0_sel:WORD_0 src1_sel:DWORD
	v_cndmask_b32_e64 v61, v2, v1, s[10:11]
; %bb.156:                              ;   in Loop: Header=BB354_13 Depth=1
	s_or_b64 exec, exec, s[34:35]
	flat_load_ushort v1, v[40:41] offset:776
	v_mov_b32_e32 v2, 0
	v_mov_b32_e32 v13, 0
	s_waitcnt vmcnt(0) lgkmcnt(0)
	v_and_b32_e32 v42, 0xffff, v1
	v_cmp_ne_u16_sdwa s[10:11], v1, v2 src0_sel:BYTE_0 src1_sel:DWORD
	s_and_saveexec_b64 s[34:35], s[10:11]
	s_cbranch_execz .LBB354_162
; %bb.157:                              ;   in Loop: Header=BB354_13 Depth=1
	v_cmp_ne_u16_sdwa s[10:11], v42, s41 src0_sel:BYTE_0 src1_sel:DWORD
	v_bfrev_b32_e32 v13, 1
	s_and_saveexec_b64 s[36:37], s[10:11]
	s_cbranch_execz .LBB354_161
; %bb.158:                              ;   in Loop: Header=BB354_13 Depth=1
	v_and_b32_e32 v1, 0x7f, v42
	v_cmp_ne_u32_e64 s[10:11], s42, v1
	v_mov_b32_e32 v13, 0x7f800001
	s_and_saveexec_b64 s[38:39], s[10:11]
	s_cbranch_execz .LBB354_160
; %bb.159:                              ;   in Loop: Header=BB354_13 Depth=1
	v_and_b32_e32 v2, 7, v42
	v_ffbh_u32_e32 v13, v2
	v_min_u32_e32 v13, 32, v13
	v_subrev_u32_e32 v14, 28, v13
	v_lshlrev_b64 v[20:21], v14, v[42:43]
	v_lshrrev_b32_e32 v3, 3, v1
	v_sub_u32_e32 v13, 29, v13
	v_and_b32_e32 v14, 7, v20
	v_cmp_gt_u32_e64 s[10:11], 8, v1
	v_cndmask_b32_e64 v1, v3, v13, s[10:11]
	v_cndmask_b32_e64 v2, v2, v14, s[10:11]
	v_lshlrev_b32_e32 v3, 24, v42
	v_bfrev_b32_e32 v4, 60
	v_lshlrev_b32_e32 v2, 20, v2
	v_and_b32_e32 v3, 0x80000000, v3
	v_lshl_add_u32 v1, v1, 23, v4
	v_or3_b32 v13, v3, v1, v2
.LBB354_160:                            ;   in Loop: Header=BB354_13 Depth=1
	s_or_b64 exec, exec, s[38:39]
.LBB354_161:                            ;   in Loop: Header=BB354_13 Depth=1
	s_or_b64 exec, exec, s[36:37]
.LBB354_162:                            ;   in Loop: Header=BB354_13 Depth=1
	s_or_b64 exec, exec, s[34:35]
	v_mul_f32_e32 v1, v0, v13
	v_and_b32_e32 v2, 0x7f800000, v1
	v_cmp_ne_u32_e64 s[10:11], s43, v2
                                        ; implicit-def: $vgpr13
	s_and_saveexec_b64 s[34:35], s[10:11]
	s_xor_b64 s[10:11], exec, s[34:35]
; %bb.163:                              ;   in Loop: Header=BB354_13 Depth=1
	v_bfe_u32 v2, v1, 16, 1
	v_add3_u32 v13, v1, v2, s44
                                        ; implicit-def: $vgpr1
; %bb.164:                              ;   in Loop: Header=BB354_13 Depth=1
	s_andn2_saveexec_b64 s[34:35], s[10:11]
; %bb.165:                              ;   in Loop: Header=BB354_13 Depth=1
	v_mov_b32_e32 v3, 0
	v_or_b32_e32 v2, 0x10000, v1
	v_cmp_eq_u32_sdwa s[10:11], v1, v3 src0_sel:WORD_0 src1_sel:DWORD
	v_cndmask_b32_e64 v13, v2, v1, s[10:11]
; %bb.166:                              ;   in Loop: Header=BB354_13 Depth=1
	s_or_b64 exec, exec, s[34:35]
	v_lshrrev_b16_e32 v44, 8, v42
	v_cmp_ne_u16_e64 s[10:11], 0, v44
	v_mov_b32_e32 v20, 0
	s_and_saveexec_b64 s[34:35], s[10:11]
	s_cbranch_execz .LBB354_172
; %bb.167:                              ;   in Loop: Header=BB354_13 Depth=1
	v_cmp_ne_u16_e64 s[10:11], s41, v44
	v_bfrev_b32_e32 v20, 1
	s_and_saveexec_b64 s[36:37], s[10:11]
	s_cbranch_execz .LBB354_171
; %bb.168:                              ;   in Loop: Header=BB354_13 Depth=1
	v_and_b32_e32 v1, 0x7f, v44
	v_cmp_ne_u32_e64 s[10:11], s42, v1
	v_mov_b32_e32 v20, 0x7f800001
	s_and_saveexec_b64 s[38:39], s[10:11]
	s_cbranch_execz .LBB354_170
; %bb.169:                              ;   in Loop: Header=BB354_13 Depth=1
	v_and_b32_e32 v2, 7, v44
	v_ffbh_u32_e32 v14, v2
	v_min_u32_e32 v14, 32, v14
	v_subrev_u32_e32 v15, 28, v14
	v_lshlrev_b64 v[20:21], v15, v[44:45]
	v_lshrrev_b32_e32 v3, 3, v1
	v_sub_u32_e32 v14, 29, v14
	v_and_b32_e32 v15, 7, v20
	v_cmp_gt_u32_e64 s[10:11], 8, v1
	v_cndmask_b32_e64 v1, v3, v14, s[10:11]
	v_cndmask_b32_e64 v2, v2, v15, s[10:11]
	v_lshlrev_b32_e32 v3, 16, v42
	v_bfrev_b32_e32 v4, 60
	v_lshlrev_b32_e32 v2, 20, v2
	v_and_b32_e32 v3, 0x80000000, v3
	v_lshl_add_u32 v1, v1, 23, v4
	v_or3_b32 v20, v3, v1, v2
.LBB354_170:                            ;   in Loop: Header=BB354_13 Depth=1
	s_or_b64 exec, exec, s[38:39]
.LBB354_171:                            ;   in Loop: Header=BB354_13 Depth=1
	s_or_b64 exec, exec, s[36:37]
.LBB354_172:                            ;   in Loop: Header=BB354_13 Depth=1
	s_or_b64 exec, exec, s[34:35]
	v_mul_f32_e32 v1, v0, v20
	v_and_b32_e32 v2, 0x7f800000, v1
	v_cmp_ne_u32_e64 s[10:11], s43, v2
                                        ; implicit-def: $vgpr47
	s_and_saveexec_b64 s[34:35], s[10:11]
	s_xor_b64 s[10:11], exec, s[34:35]
; %bb.173:                              ;   in Loop: Header=BB354_13 Depth=1
	v_bfe_u32 v2, v1, 16, 1
	v_add3_u32 v47, v1, v2, s44
                                        ; implicit-def: $vgpr1
; %bb.174:                              ;   in Loop: Header=BB354_13 Depth=1
	s_andn2_saveexec_b64 s[34:35], s[10:11]
; %bb.175:                              ;   in Loop: Header=BB354_13 Depth=1
	v_mov_b32_e32 v3, 0
	v_or_b32_e32 v2, 0x10000, v1
	v_cmp_eq_u32_sdwa s[10:11], v1, v3 src0_sel:WORD_0 src1_sel:DWORD
	v_cndmask_b32_e64 v47, v2, v1, s[10:11]
; %bb.176:                              ;   in Loop: Header=BB354_13 Depth=1
	s_or_b64 exec, exec, s[34:35]
	flat_load_ushort v1, v[40:41] offset:1024
	v_mov_b32_e32 v2, 0
	v_mov_b32_e32 v20, 0
	s_waitcnt vmcnt(0) lgkmcnt(0)
	v_and_b32_e32 v42, 0xffff, v1
	v_cmp_ne_u16_sdwa s[10:11], v1, v2 src0_sel:BYTE_0 src1_sel:DWORD
	s_and_saveexec_b64 s[34:35], s[10:11]
	s_cbranch_execz .LBB354_182
; %bb.177:                              ;   in Loop: Header=BB354_13 Depth=1
	v_cmp_ne_u16_sdwa s[10:11], v42, s41 src0_sel:BYTE_0 src1_sel:DWORD
	v_bfrev_b32_e32 v20, 1
	s_and_saveexec_b64 s[36:37], s[10:11]
	s_cbranch_execz .LBB354_181
; %bb.178:                              ;   in Loop: Header=BB354_13 Depth=1
	v_and_b32_e32 v1, 0x7f, v42
	v_cmp_ne_u32_e64 s[10:11], s42, v1
	v_mov_b32_e32 v20, 0x7f800001
	s_and_saveexec_b64 s[38:39], s[10:11]
	s_cbranch_execz .LBB354_180
; %bb.179:                              ;   in Loop: Header=BB354_13 Depth=1
	v_and_b32_e32 v2, 7, v42
	v_ffbh_u32_e32 v14, v2
	v_min_u32_e32 v14, 32, v14
	v_subrev_u32_e32 v15, 28, v14
	v_lshlrev_b64 v[20:21], v15, v[42:43]
	v_lshrrev_b32_e32 v3, 3, v1
	v_sub_u32_e32 v14, 29, v14
	v_and_b32_e32 v15, 7, v20
	v_cmp_gt_u32_e64 s[10:11], 8, v1
	v_cndmask_b32_e64 v1, v3, v14, s[10:11]
	v_cndmask_b32_e64 v2, v2, v15, s[10:11]
	v_lshlrev_b32_e32 v3, 24, v42
	v_bfrev_b32_e32 v4, 60
	v_lshlrev_b32_e32 v2, 20, v2
	v_and_b32_e32 v3, 0x80000000, v3
	v_lshl_add_u32 v1, v1, 23, v4
	v_or3_b32 v20, v3, v1, v2
.LBB354_180:                            ;   in Loop: Header=BB354_13 Depth=1
	s_or_b64 exec, exec, s[38:39]
.LBB354_181:                            ;   in Loop: Header=BB354_13 Depth=1
	s_or_b64 exec, exec, s[36:37]
.LBB354_182:                            ;   in Loop: Header=BB354_13 Depth=1
	s_or_b64 exec, exec, s[34:35]
	v_mul_f32_e32 v1, v0, v20
	v_and_b32_e32 v2, 0x7f800000, v1
	v_cmp_ne_u32_e64 s[10:11], s43, v2
                                        ; implicit-def: $vgpr45
	s_and_saveexec_b64 s[34:35], s[10:11]
	s_xor_b64 s[10:11], exec, s[34:35]
; %bb.183:                              ;   in Loop: Header=BB354_13 Depth=1
	v_bfe_u32 v2, v1, 16, 1
	v_add3_u32 v45, v1, v2, s44
                                        ; implicit-def: $vgpr1
; %bb.184:                              ;   in Loop: Header=BB354_13 Depth=1
	s_andn2_saveexec_b64 s[34:35], s[10:11]
; %bb.185:                              ;   in Loop: Header=BB354_13 Depth=1
	v_mov_b32_e32 v3, 0
	v_or_b32_e32 v2, 0x10000, v1
	v_cmp_eq_u32_sdwa s[10:11], v1, v3 src0_sel:WORD_0 src1_sel:DWORD
	v_cndmask_b32_e64 v45, v2, v1, s[10:11]
; %bb.186:                              ;   in Loop: Header=BB354_13 Depth=1
	s_or_b64 exec, exec, s[34:35]
	v_lshrrev_b16_e32 v44, 8, v42
	v_cmp_ne_u16_e64 s[10:11], 0, v44
	v_mov_b32_e32 v20, 0
	s_and_saveexec_b64 s[34:35], s[10:11]
	s_cbranch_execz .LBB354_192
; %bb.187:                              ;   in Loop: Header=BB354_13 Depth=1
	v_cmp_ne_u16_e64 s[10:11], s41, v44
	v_bfrev_b32_e32 v20, 1
	s_and_saveexec_b64 s[36:37], s[10:11]
	s_cbranch_execz .LBB354_191
; %bb.188:                              ;   in Loop: Header=BB354_13 Depth=1
	v_and_b32_e32 v1, 0x7f, v44
	v_cmp_ne_u32_e64 s[10:11], s42, v1
	v_mov_b32_e32 v20, 0x7f800001
	s_and_saveexec_b64 s[38:39], s[10:11]
	s_cbranch_execz .LBB354_190
; %bb.189:                              ;   in Loop: Header=BB354_13 Depth=1
	v_and_b32_e32 v2, 7, v44
	v_ffbh_u32_e32 v14, v2
	v_min_u32_e32 v14, 32, v14
	v_subrev_u32_e32 v15, 28, v14
	v_lshlrev_b64 v[20:21], v15, v[44:45]
	v_lshrrev_b32_e32 v3, 3, v1
	v_sub_u32_e32 v14, 29, v14
	v_and_b32_e32 v15, 7, v20
	v_cmp_gt_u32_e64 s[10:11], 8, v1
	v_cndmask_b32_e64 v1, v3, v14, s[10:11]
	v_cndmask_b32_e64 v2, v2, v15, s[10:11]
	v_lshlrev_b32_e32 v3, 16, v42
	v_bfrev_b32_e32 v4, 60
	v_lshlrev_b32_e32 v2, 20, v2
	v_and_b32_e32 v3, 0x80000000, v3
	v_lshl_add_u32 v1, v1, 23, v4
	v_or3_b32 v20, v3, v1, v2
.LBB354_190:                            ;   in Loop: Header=BB354_13 Depth=1
	s_or_b64 exec, exec, s[38:39]
.LBB354_191:                            ;   in Loop: Header=BB354_13 Depth=1
	s_or_b64 exec, exec, s[36:37]
.LBB354_192:                            ;   in Loop: Header=BB354_13 Depth=1
	s_or_b64 exec, exec, s[34:35]
	v_mul_f32_e32 v1, v0, v20
	v_and_b32_e32 v2, 0x7f800000, v1
	v_cmp_ne_u32_e64 s[10:11], s43, v2
                                        ; implicit-def: $vgpr46
	s_and_saveexec_b64 s[34:35], s[10:11]
	s_xor_b64 s[10:11], exec, s[34:35]
; %bb.193:                              ;   in Loop: Header=BB354_13 Depth=1
	v_bfe_u32 v2, v1, 16, 1
	v_add3_u32 v46, v1, v2, s44
                                        ; implicit-def: $vgpr1
; %bb.194:                              ;   in Loop: Header=BB354_13 Depth=1
	s_andn2_saveexec_b64 s[34:35], s[10:11]
; %bb.195:                              ;   in Loop: Header=BB354_13 Depth=1
	v_mov_b32_e32 v3, 0
	v_or_b32_e32 v2, 0x10000, v1
	v_cmp_eq_u32_sdwa s[10:11], v1, v3 src0_sel:WORD_0 src1_sel:DWORD
	v_cndmask_b32_e64 v46, v2, v1, s[10:11]
; %bb.196:                              ;   in Loop: Header=BB354_13 Depth=1
	s_or_b64 exec, exec, s[34:35]
	flat_load_ushort v1, v[40:41] offset:1032
	v_mov_b32_e32 v2, 0
	v_mov_b32_e32 v20, 0
	s_waitcnt vmcnt(0) lgkmcnt(0)
	v_and_b32_e32 v42, 0xffff, v1
	v_cmp_ne_u16_sdwa s[10:11], v1, v2 src0_sel:BYTE_0 src1_sel:DWORD
	s_and_saveexec_b64 s[34:35], s[10:11]
	s_cbranch_execz .LBB354_202
; %bb.197:                              ;   in Loop: Header=BB354_13 Depth=1
	v_cmp_ne_u16_sdwa s[10:11], v42, s41 src0_sel:BYTE_0 src1_sel:DWORD
	v_bfrev_b32_e32 v20, 1
	s_and_saveexec_b64 s[36:37], s[10:11]
	s_cbranch_execz .LBB354_201
; %bb.198:                              ;   in Loop: Header=BB354_13 Depth=1
	v_and_b32_e32 v1, 0x7f, v42
	v_cmp_ne_u32_e64 s[10:11], s42, v1
	v_mov_b32_e32 v20, 0x7f800001
	s_and_saveexec_b64 s[38:39], s[10:11]
	s_cbranch_execz .LBB354_200
; %bb.199:                              ;   in Loop: Header=BB354_13 Depth=1
	v_and_b32_e32 v2, 7, v42
	v_ffbh_u32_e32 v14, v2
	v_min_u32_e32 v14, 32, v14
	v_subrev_u32_e32 v15, 28, v14
	v_lshlrev_b64 v[20:21], v15, v[42:43]
	v_lshrrev_b32_e32 v3, 3, v1
	v_sub_u32_e32 v14, 29, v14
	v_and_b32_e32 v15, 7, v20
	v_cmp_gt_u32_e64 s[10:11], 8, v1
	v_cndmask_b32_e64 v1, v3, v14, s[10:11]
	v_cndmask_b32_e64 v2, v2, v15, s[10:11]
	v_lshlrev_b32_e32 v3, 24, v42
	v_bfrev_b32_e32 v4, 60
	v_lshlrev_b32_e32 v2, 20, v2
	v_and_b32_e32 v3, 0x80000000, v3
	v_lshl_add_u32 v1, v1, 23, v4
	v_or3_b32 v20, v3, v1, v2
.LBB354_200:                            ;   in Loop: Header=BB354_13 Depth=1
	s_or_b64 exec, exec, s[38:39]
.LBB354_201:                            ;   in Loop: Header=BB354_13 Depth=1
	s_or_b64 exec, exec, s[36:37]
.LBB354_202:                            ;   in Loop: Header=BB354_13 Depth=1
	s_or_b64 exec, exec, s[34:35]
	v_mul_f32_e32 v1, v0, v20
	v_and_b32_e32 v2, 0x7f800000, v1
	v_cmp_ne_u32_e64 s[10:11], s43, v2
                                        ; implicit-def: $vgpr21
	s_and_saveexec_b64 s[34:35], s[10:11]
	s_xor_b64 s[10:11], exec, s[34:35]
; %bb.203:                              ;   in Loop: Header=BB354_13 Depth=1
	v_bfe_u32 v2, v1, 16, 1
	v_add3_u32 v21, v1, v2, s44
                                        ; implicit-def: $vgpr1
; %bb.204:                              ;   in Loop: Header=BB354_13 Depth=1
	s_andn2_saveexec_b64 s[34:35], s[10:11]
; %bb.205:                              ;   in Loop: Header=BB354_13 Depth=1
	v_mov_b32_e32 v3, 0
	v_or_b32_e32 v2, 0x10000, v1
	v_cmp_eq_u32_sdwa s[10:11], v1, v3 src0_sel:WORD_0 src1_sel:DWORD
	v_cndmask_b32_e64 v21, v2, v1, s[10:11]
; %bb.206:                              ;   in Loop: Header=BB354_13 Depth=1
	s_or_b64 exec, exec, s[34:35]
	v_lshrrev_b16_e32 v44, 8, v42
	v_cmp_ne_u16_e64 s[10:11], 0, v44
	v_mov_b32_e32 v20, 0
	s_and_saveexec_b64 s[34:35], s[10:11]
	s_cbranch_execz .LBB354_212
; %bb.207:                              ;   in Loop: Header=BB354_13 Depth=1
	v_cmp_ne_u16_e64 s[10:11], s41, v44
	v_bfrev_b32_e32 v20, 1
	s_and_saveexec_b64 s[36:37], s[10:11]
	s_cbranch_execz .LBB354_211
; %bb.208:                              ;   in Loop: Header=BB354_13 Depth=1
	v_and_b32_e32 v1, 0x7f, v44
	v_cmp_ne_u32_e64 s[10:11], s42, v1
	v_mov_b32_e32 v20, 0x7f800001
	s_and_saveexec_b64 s[38:39], s[10:11]
	s_cbranch_execz .LBB354_210
; %bb.209:                              ;   in Loop: Header=BB354_13 Depth=1
	v_and_b32_e32 v2, 7, v44
	v_ffbh_u32_e32 v14, v2
	v_min_u32_e32 v14, 32, v14
	v_subrev_u32_e32 v15, 28, v14
	v_lshlrev_b64 v[24:25], v15, v[44:45]
	v_lshrrev_b32_e32 v3, 3, v1
	v_sub_u32_e32 v14, 29, v14
	v_and_b32_e32 v15, 7, v24
	v_cmp_gt_u32_e64 s[10:11], 8, v1
	v_cndmask_b32_e64 v1, v3, v14, s[10:11]
	v_cndmask_b32_e64 v2, v2, v15, s[10:11]
	v_lshlrev_b32_e32 v3, 16, v42
	v_bfrev_b32_e32 v4, 60
	v_lshlrev_b32_e32 v2, 20, v2
	v_and_b32_e32 v3, 0x80000000, v3
	v_lshl_add_u32 v1, v1, 23, v4
	v_or3_b32 v20, v3, v1, v2
.LBB354_210:                            ;   in Loop: Header=BB354_13 Depth=1
	s_or_b64 exec, exec, s[38:39]
.LBB354_211:                            ;   in Loop: Header=BB354_13 Depth=1
	s_or_b64 exec, exec, s[36:37]
.LBB354_212:                            ;   in Loop: Header=BB354_13 Depth=1
	s_or_b64 exec, exec, s[34:35]
	v_mul_f32_e32 v1, v0, v20
	v_and_b32_e32 v2, 0x7f800000, v1
	v_cmp_ne_u32_e64 s[10:11], s43, v2
                                        ; implicit-def: $vgpr52
	s_and_saveexec_b64 s[34:35], s[10:11]
	s_xor_b64 s[10:11], exec, s[34:35]
; %bb.213:                              ;   in Loop: Header=BB354_13 Depth=1
	v_bfe_u32 v2, v1, 16, 1
	v_add3_u32 v52, v1, v2, s44
                                        ; implicit-def: $vgpr1
; %bb.214:                              ;   in Loop: Header=BB354_13 Depth=1
	s_andn2_saveexec_b64 s[34:35], s[10:11]
; %bb.215:                              ;   in Loop: Header=BB354_13 Depth=1
	v_mov_b32_e32 v3, 0
	v_or_b32_e32 v2, 0x10000, v1
	v_cmp_eq_u32_sdwa s[10:11], v1, v3 src0_sel:WORD_0 src1_sel:DWORD
	v_cndmask_b32_e64 v52, v2, v1, s[10:11]
; %bb.216:                              ;   in Loop: Header=BB354_13 Depth=1
	s_or_b64 exec, exec, s[34:35]
	flat_load_ushort v1, v[40:41] offset:1280
	v_mov_b32_e32 v2, 0
	v_mov_b32_e32 v20, 0
	s_waitcnt vmcnt(0) lgkmcnt(0)
	v_and_b32_e32 v42, 0xffff, v1
	v_cmp_ne_u16_sdwa s[10:11], v1, v2 src0_sel:BYTE_0 src1_sel:DWORD
	s_and_saveexec_b64 s[34:35], s[10:11]
	s_cbranch_execz .LBB354_222
; %bb.217:                              ;   in Loop: Header=BB354_13 Depth=1
	v_cmp_ne_u16_sdwa s[10:11], v42, s41 src0_sel:BYTE_0 src1_sel:DWORD
	v_bfrev_b32_e32 v20, 1
	s_and_saveexec_b64 s[36:37], s[10:11]
	s_cbranch_execz .LBB354_221
; %bb.218:                              ;   in Loop: Header=BB354_13 Depth=1
	v_and_b32_e32 v1, 0x7f, v42
	v_cmp_ne_u32_e64 s[10:11], s42, v1
	v_mov_b32_e32 v20, 0x7f800001
	s_and_saveexec_b64 s[38:39], s[10:11]
	s_cbranch_execz .LBB354_220
; %bb.219:                              ;   in Loop: Header=BB354_13 Depth=1
	v_and_b32_e32 v2, 7, v42
	v_ffbh_u32_e32 v14, v2
	v_min_u32_e32 v14, 32, v14
	v_subrev_u32_e32 v15, 28, v14
	v_lshlrev_b64 v[24:25], v15, v[42:43]
	v_lshrrev_b32_e32 v3, 3, v1
	v_sub_u32_e32 v14, 29, v14
	v_and_b32_e32 v15, 7, v24
	v_cmp_gt_u32_e64 s[10:11], 8, v1
	v_cndmask_b32_e64 v1, v3, v14, s[10:11]
	v_cndmask_b32_e64 v2, v2, v15, s[10:11]
	v_lshlrev_b32_e32 v3, 24, v42
	v_bfrev_b32_e32 v4, 60
	v_lshlrev_b32_e32 v2, 20, v2
	v_and_b32_e32 v3, 0x80000000, v3
	v_lshl_add_u32 v1, v1, 23, v4
	v_or3_b32 v20, v3, v1, v2
.LBB354_220:                            ;   in Loop: Header=BB354_13 Depth=1
	s_or_b64 exec, exec, s[38:39]
.LBB354_221:                            ;   in Loop: Header=BB354_13 Depth=1
	s_or_b64 exec, exec, s[36:37]
.LBB354_222:                            ;   in Loop: Header=BB354_13 Depth=1
	s_or_b64 exec, exec, s[34:35]
	v_mul_f32_e32 v1, v0, v20
	v_and_b32_e32 v2, 0x7f800000, v1
	v_cmp_ne_u32_e64 s[10:11], s43, v2
                                        ; implicit-def: $vgpr50
	s_and_saveexec_b64 s[34:35], s[10:11]
	s_xor_b64 s[10:11], exec, s[34:35]
; %bb.223:                              ;   in Loop: Header=BB354_13 Depth=1
	v_bfe_u32 v2, v1, 16, 1
	v_add3_u32 v50, v1, v2, s44
                                        ; implicit-def: $vgpr1
; %bb.224:                              ;   in Loop: Header=BB354_13 Depth=1
	s_andn2_saveexec_b64 s[34:35], s[10:11]
; %bb.225:                              ;   in Loop: Header=BB354_13 Depth=1
	v_mov_b32_e32 v3, 0
	v_or_b32_e32 v2, 0x10000, v1
	v_cmp_eq_u32_sdwa s[10:11], v1, v3 src0_sel:WORD_0 src1_sel:DWORD
	v_cndmask_b32_e64 v50, v2, v1, s[10:11]
; %bb.226:                              ;   in Loop: Header=BB354_13 Depth=1
	s_or_b64 exec, exec, s[34:35]
	v_lshrrev_b16_e32 v44, 8, v42
	v_cmp_ne_u16_e64 s[10:11], 0, v44
	v_mov_b32_e32 v20, 0
	s_and_saveexec_b64 s[34:35], s[10:11]
	s_cbranch_execz .LBB354_232
; %bb.227:                              ;   in Loop: Header=BB354_13 Depth=1
	v_cmp_ne_u16_e64 s[10:11], s41, v44
	v_bfrev_b32_e32 v20, 1
	s_and_saveexec_b64 s[36:37], s[10:11]
	s_cbranch_execz .LBB354_231
; %bb.228:                              ;   in Loop: Header=BB354_13 Depth=1
	v_and_b32_e32 v1, 0x7f, v44
	v_cmp_ne_u32_e64 s[10:11], s42, v1
	v_mov_b32_e32 v20, 0x7f800001
	s_and_saveexec_b64 s[38:39], s[10:11]
	s_cbranch_execz .LBB354_230
; %bb.229:                              ;   in Loop: Header=BB354_13 Depth=1
	v_and_b32_e32 v2, 7, v44
	v_ffbh_u32_e32 v14, v2
	v_min_u32_e32 v14, 32, v14
	v_subrev_u32_e32 v15, 28, v14
	v_lshlrev_b64 v[24:25], v15, v[44:45]
	v_lshrrev_b32_e32 v3, 3, v1
	v_sub_u32_e32 v14, 29, v14
	v_and_b32_e32 v15, 7, v24
	v_cmp_gt_u32_e64 s[10:11], 8, v1
	v_cndmask_b32_e64 v1, v3, v14, s[10:11]
	v_cndmask_b32_e64 v2, v2, v15, s[10:11]
	v_lshlrev_b32_e32 v3, 16, v42
	v_bfrev_b32_e32 v4, 60
	v_lshlrev_b32_e32 v2, 20, v2
	v_and_b32_e32 v3, 0x80000000, v3
	v_lshl_add_u32 v1, v1, 23, v4
	v_or3_b32 v20, v3, v1, v2
.LBB354_230:                            ;   in Loop: Header=BB354_13 Depth=1
	s_or_b64 exec, exec, s[38:39]
.LBB354_231:                            ;   in Loop: Header=BB354_13 Depth=1
	s_or_b64 exec, exec, s[36:37]
.LBB354_232:                            ;   in Loop: Header=BB354_13 Depth=1
	s_or_b64 exec, exec, s[34:35]
	v_mul_f32_e32 v1, v0, v20
	v_and_b32_e32 v2, 0x7f800000, v1
	v_cmp_ne_u32_e64 s[10:11], s43, v2
                                        ; implicit-def: $vgpr51
	s_and_saveexec_b64 s[34:35], s[10:11]
	s_xor_b64 s[10:11], exec, s[34:35]
; %bb.233:                              ;   in Loop: Header=BB354_13 Depth=1
	v_bfe_u32 v2, v1, 16, 1
	v_add3_u32 v51, v1, v2, s44
                                        ; implicit-def: $vgpr1
; %bb.234:                              ;   in Loop: Header=BB354_13 Depth=1
	s_andn2_saveexec_b64 s[34:35], s[10:11]
; %bb.235:                              ;   in Loop: Header=BB354_13 Depth=1
	v_mov_b32_e32 v3, 0
	v_or_b32_e32 v2, 0x10000, v1
	v_cmp_eq_u32_sdwa s[10:11], v1, v3 src0_sel:WORD_0 src1_sel:DWORD
	v_cndmask_b32_e64 v51, v2, v1, s[10:11]
; %bb.236:                              ;   in Loop: Header=BB354_13 Depth=1
	s_or_b64 exec, exec, s[34:35]
	flat_load_ushort v1, v[40:41] offset:1288
	v_mov_b32_e32 v2, 0
	v_mov_b32_e32 v20, 0
	s_waitcnt vmcnt(0) lgkmcnt(0)
	v_and_b32_e32 v42, 0xffff, v1
	v_cmp_ne_u16_sdwa s[10:11], v1, v2 src0_sel:BYTE_0 src1_sel:DWORD
	s_and_saveexec_b64 s[34:35], s[10:11]
	s_cbranch_execz .LBB354_242
; %bb.237:                              ;   in Loop: Header=BB354_13 Depth=1
	v_cmp_ne_u16_sdwa s[10:11], v42, s41 src0_sel:BYTE_0 src1_sel:DWORD
	v_bfrev_b32_e32 v20, 1
	s_and_saveexec_b64 s[36:37], s[10:11]
	s_cbranch_execz .LBB354_241
; %bb.238:                              ;   in Loop: Header=BB354_13 Depth=1
	v_and_b32_e32 v1, 0x7f, v42
	v_cmp_ne_u32_e64 s[10:11], s42, v1
	v_mov_b32_e32 v20, 0x7f800001
	s_and_saveexec_b64 s[38:39], s[10:11]
	s_cbranch_execz .LBB354_240
; %bb.239:                              ;   in Loop: Header=BB354_13 Depth=1
	v_and_b32_e32 v2, 7, v42
	v_ffbh_u32_e32 v14, v2
	v_min_u32_e32 v14, 32, v14
	v_subrev_u32_e32 v15, 28, v14
	v_lshlrev_b64 v[24:25], v15, v[42:43]
	v_lshrrev_b32_e32 v3, 3, v1
	v_sub_u32_e32 v14, 29, v14
	v_and_b32_e32 v15, 7, v24
	v_cmp_gt_u32_e64 s[10:11], 8, v1
	v_cndmask_b32_e64 v1, v3, v14, s[10:11]
	v_cndmask_b32_e64 v2, v2, v15, s[10:11]
	v_lshlrev_b32_e32 v3, 24, v42
	v_bfrev_b32_e32 v4, 60
	v_lshlrev_b32_e32 v2, 20, v2
	v_and_b32_e32 v3, 0x80000000, v3
	v_lshl_add_u32 v1, v1, 23, v4
	v_or3_b32 v20, v3, v1, v2
.LBB354_240:                            ;   in Loop: Header=BB354_13 Depth=1
	s_or_b64 exec, exec, s[38:39]
.LBB354_241:                            ;   in Loop: Header=BB354_13 Depth=1
	s_or_b64 exec, exec, s[36:37]
.LBB354_242:                            ;   in Loop: Header=BB354_13 Depth=1
	s_or_b64 exec, exec, s[34:35]
	v_mul_f32_e32 v1, v0, v20
	v_and_b32_e32 v2, 0x7f800000, v1
	v_cmp_ne_u32_e64 s[10:11], s43, v2
                                        ; implicit-def: $vgpr20
	s_and_saveexec_b64 s[34:35], s[10:11]
	s_xor_b64 s[10:11], exec, s[34:35]
; %bb.243:                              ;   in Loop: Header=BB354_13 Depth=1
	v_bfe_u32 v2, v1, 16, 1
	v_add3_u32 v20, v1, v2, s44
                                        ; implicit-def: $vgpr1
; %bb.244:                              ;   in Loop: Header=BB354_13 Depth=1
	s_andn2_saveexec_b64 s[34:35], s[10:11]
; %bb.245:                              ;   in Loop: Header=BB354_13 Depth=1
	v_mov_b32_e32 v3, 0
	v_or_b32_e32 v2, 0x10000, v1
	v_cmp_eq_u32_sdwa s[10:11], v1, v3 src0_sel:WORD_0 src1_sel:DWORD
	v_cndmask_b32_e64 v20, v2, v1, s[10:11]
; %bb.246:                              ;   in Loop: Header=BB354_13 Depth=1
	s_or_b64 exec, exec, s[34:35]
	v_lshrrev_b16_e32 v44, 8, v42
	v_cmp_ne_u16_e64 s[10:11], 0, v44
	v_mov_b32_e32 v22, 0
	s_and_saveexec_b64 s[34:35], s[10:11]
	s_cbranch_execz .LBB354_252
; %bb.247:                              ;   in Loop: Header=BB354_13 Depth=1
	v_cmp_ne_u16_e64 s[10:11], s41, v44
	v_bfrev_b32_e32 v22, 1
	s_and_saveexec_b64 s[36:37], s[10:11]
	s_cbranch_execz .LBB354_251
; %bb.248:                              ;   in Loop: Header=BB354_13 Depth=1
	v_and_b32_e32 v1, 0x7f, v44
	v_cmp_ne_u32_e64 s[10:11], s42, v1
	v_mov_b32_e32 v22, 0x7f800001
	s_and_saveexec_b64 s[38:39], s[10:11]
	s_cbranch_execz .LBB354_250
; %bb.249:                              ;   in Loop: Header=BB354_13 Depth=1
	v_and_b32_e32 v2, 7, v44
	v_ffbh_u32_e32 v14, v2
	v_min_u32_e32 v14, 32, v14
	v_subrev_u32_e32 v15, 28, v14
	v_lshlrev_b64 v[24:25], v15, v[44:45]
	v_lshrrev_b32_e32 v3, 3, v1
	v_sub_u32_e32 v14, 29, v14
	v_and_b32_e32 v15, 7, v24
	v_cmp_gt_u32_e64 s[10:11], 8, v1
	v_cndmask_b32_e64 v1, v3, v14, s[10:11]
	v_cndmask_b32_e64 v2, v2, v15, s[10:11]
	v_lshlrev_b32_e32 v3, 16, v42
	v_bfrev_b32_e32 v4, 60
	v_lshlrev_b32_e32 v2, 20, v2
	v_and_b32_e32 v3, 0x80000000, v3
	v_lshl_add_u32 v1, v1, 23, v4
	v_or3_b32 v22, v3, v1, v2
.LBB354_250:                            ;   in Loop: Header=BB354_13 Depth=1
	s_or_b64 exec, exec, s[38:39]
.LBB354_251:                            ;   in Loop: Header=BB354_13 Depth=1
	s_or_b64 exec, exec, s[36:37]
.LBB354_252:                            ;   in Loop: Header=BB354_13 Depth=1
	s_or_b64 exec, exec, s[34:35]
	v_mul_f32_e32 v1, v0, v22
	v_and_b32_e32 v2, 0x7f800000, v1
	v_cmp_ne_u32_e64 s[10:11], s43, v2
                                        ; implicit-def: $vgpr57
	s_and_saveexec_b64 s[34:35], s[10:11]
	s_xor_b64 s[10:11], exec, s[34:35]
; %bb.253:                              ;   in Loop: Header=BB354_13 Depth=1
	v_bfe_u32 v2, v1, 16, 1
	v_add3_u32 v57, v1, v2, s44
                                        ; implicit-def: $vgpr1
; %bb.254:                              ;   in Loop: Header=BB354_13 Depth=1
	s_andn2_saveexec_b64 s[34:35], s[10:11]
; %bb.255:                              ;   in Loop: Header=BB354_13 Depth=1
	v_mov_b32_e32 v3, 0
	v_or_b32_e32 v2, 0x10000, v1
	v_cmp_eq_u32_sdwa s[10:11], v1, v3 src0_sel:WORD_0 src1_sel:DWORD
	v_cndmask_b32_e64 v57, v2, v1, s[10:11]
; %bb.256:                              ;   in Loop: Header=BB354_13 Depth=1
	s_or_b64 exec, exec, s[34:35]
	flat_load_ushort v1, v[40:41] offset:1536
	v_mov_b32_e32 v2, 0
	v_mov_b32_e32 v22, 0
	s_waitcnt vmcnt(0) lgkmcnt(0)
	v_and_b32_e32 v42, 0xffff, v1
	v_cmp_ne_u16_sdwa s[10:11], v1, v2 src0_sel:BYTE_0 src1_sel:DWORD
	s_and_saveexec_b64 s[34:35], s[10:11]
	s_cbranch_execz .LBB354_262
; %bb.257:                              ;   in Loop: Header=BB354_13 Depth=1
	v_cmp_ne_u16_sdwa s[10:11], v42, s41 src0_sel:BYTE_0 src1_sel:DWORD
	v_bfrev_b32_e32 v22, 1
	s_and_saveexec_b64 s[36:37], s[10:11]
	s_cbranch_execz .LBB354_261
; %bb.258:                              ;   in Loop: Header=BB354_13 Depth=1
	v_and_b32_e32 v1, 0x7f, v42
	v_cmp_ne_u32_e64 s[10:11], s42, v1
	v_mov_b32_e32 v22, 0x7f800001
	s_and_saveexec_b64 s[38:39], s[10:11]
	s_cbranch_execz .LBB354_260
; %bb.259:                              ;   in Loop: Header=BB354_13 Depth=1
	v_and_b32_e32 v2, 7, v42
	v_ffbh_u32_e32 v14, v2
	v_min_u32_e32 v14, 32, v14
	v_subrev_u32_e32 v15, 28, v14
	v_lshlrev_b64 v[24:25], v15, v[42:43]
	v_lshrrev_b32_e32 v3, 3, v1
	v_sub_u32_e32 v14, 29, v14
	v_and_b32_e32 v15, 7, v24
	v_cmp_gt_u32_e64 s[10:11], 8, v1
	v_cndmask_b32_e64 v1, v3, v14, s[10:11]
	v_cndmask_b32_e64 v2, v2, v15, s[10:11]
	v_lshlrev_b32_e32 v3, 24, v42
	v_bfrev_b32_e32 v4, 60
	v_lshlrev_b32_e32 v2, 20, v2
	v_and_b32_e32 v3, 0x80000000, v3
	v_lshl_add_u32 v1, v1, 23, v4
	v_or3_b32 v22, v3, v1, v2
.LBB354_260:                            ;   in Loop: Header=BB354_13 Depth=1
	s_or_b64 exec, exec, s[38:39]
.LBB354_261:                            ;   in Loop: Header=BB354_13 Depth=1
	s_or_b64 exec, exec, s[36:37]
.LBB354_262:                            ;   in Loop: Header=BB354_13 Depth=1
	s_or_b64 exec, exec, s[34:35]
	v_mul_f32_e32 v1, v0, v22
	v_and_b32_e32 v2, 0x7f800000, v1
	v_cmp_ne_u32_e64 s[10:11], s43, v2
                                        ; implicit-def: $vgpr22
	s_and_saveexec_b64 s[34:35], s[10:11]
	s_xor_b64 s[10:11], exec, s[34:35]
; %bb.263:                              ;   in Loop: Header=BB354_13 Depth=1
	v_bfe_u32 v2, v1, 16, 1
	v_add3_u32 v22, v1, v2, s44
                                        ; implicit-def: $vgpr1
; %bb.264:                              ;   in Loop: Header=BB354_13 Depth=1
	s_andn2_saveexec_b64 s[34:35], s[10:11]
; %bb.265:                              ;   in Loop: Header=BB354_13 Depth=1
	v_mov_b32_e32 v3, 0
	v_or_b32_e32 v2, 0x10000, v1
	v_cmp_eq_u32_sdwa s[10:11], v1, v3 src0_sel:WORD_0 src1_sel:DWORD
	v_cndmask_b32_e64 v22, v2, v1, s[10:11]
; %bb.266:                              ;   in Loop: Header=BB354_13 Depth=1
	s_or_b64 exec, exec, s[34:35]
	v_lshrrev_b16_e32 v44, 8, v42
	v_cmp_ne_u16_e64 s[10:11], 0, v44
	v_mov_b32_e32 v24, 0
	s_and_saveexec_b64 s[34:35], s[10:11]
	s_cbranch_execz .LBB354_272
; %bb.267:                              ;   in Loop: Header=BB354_13 Depth=1
	v_cmp_ne_u16_e64 s[10:11], s41, v44
	v_bfrev_b32_e32 v24, 1
	s_and_saveexec_b64 s[36:37], s[10:11]
	s_cbranch_execz .LBB354_271
; %bb.268:                              ;   in Loop: Header=BB354_13 Depth=1
	v_and_b32_e32 v1, 0x7f, v44
	v_cmp_ne_u32_e64 s[10:11], s42, v1
	v_mov_b32_e32 v24, 0x7f800001
	s_and_saveexec_b64 s[38:39], s[10:11]
	s_cbranch_execz .LBB354_270
; %bb.269:                              ;   in Loop: Header=BB354_13 Depth=1
	v_and_b32_e32 v2, 7, v44
	v_ffbh_u32_e32 v14, v2
	v_min_u32_e32 v14, 32, v14
	v_subrev_u32_e32 v15, 28, v14
	v_lshlrev_b64 v[24:25], v15, v[44:45]
	v_lshrrev_b32_e32 v3, 3, v1
	v_sub_u32_e32 v14, 29, v14
	v_and_b32_e32 v15, 7, v24
	v_cmp_gt_u32_e64 s[10:11], 8, v1
	v_cndmask_b32_e64 v1, v3, v14, s[10:11]
	v_cndmask_b32_e64 v2, v2, v15, s[10:11]
	v_lshlrev_b32_e32 v3, 16, v42
	v_bfrev_b32_e32 v4, 60
	v_lshlrev_b32_e32 v2, 20, v2
	v_and_b32_e32 v3, 0x80000000, v3
	v_lshl_add_u32 v1, v1, 23, v4
	v_or3_b32 v24, v3, v1, v2
.LBB354_270:                            ;   in Loop: Header=BB354_13 Depth=1
	s_or_b64 exec, exec, s[38:39]
.LBB354_271:                            ;   in Loop: Header=BB354_13 Depth=1
	s_or_b64 exec, exec, s[36:37]
.LBB354_272:                            ;   in Loop: Header=BB354_13 Depth=1
	s_or_b64 exec, exec, s[34:35]
	v_mul_f32_e32 v1, v0, v24
	v_and_b32_e32 v2, 0x7f800000, v1
	v_cmp_ne_u32_e64 s[10:11], s43, v2
                                        ; implicit-def: $vgpr25
	s_and_saveexec_b64 s[34:35], s[10:11]
	s_xor_b64 s[10:11], exec, s[34:35]
; %bb.273:                              ;   in Loop: Header=BB354_13 Depth=1
	v_bfe_u32 v2, v1, 16, 1
	v_add3_u32 v25, v1, v2, s44
                                        ; implicit-def: $vgpr1
; %bb.274:                              ;   in Loop: Header=BB354_13 Depth=1
	s_andn2_saveexec_b64 s[34:35], s[10:11]
; %bb.275:                              ;   in Loop: Header=BB354_13 Depth=1
	v_mov_b32_e32 v3, 0
	v_or_b32_e32 v2, 0x10000, v1
	v_cmp_eq_u32_sdwa s[10:11], v1, v3 src0_sel:WORD_0 src1_sel:DWORD
	v_cndmask_b32_e64 v25, v2, v1, s[10:11]
; %bb.276:                              ;   in Loop: Header=BB354_13 Depth=1
	s_or_b64 exec, exec, s[34:35]
	flat_load_ushort v1, v[40:41] offset:1544
	v_mov_b32_e32 v2, 0
	v_mov_b32_e32 v24, 0
	s_waitcnt vmcnt(0) lgkmcnt(0)
	v_and_b32_e32 v42, 0xffff, v1
	v_cmp_ne_u16_sdwa s[10:11], v1, v2 src0_sel:BYTE_0 src1_sel:DWORD
	s_and_saveexec_b64 s[34:35], s[10:11]
	s_cbranch_execz .LBB354_282
; %bb.277:                              ;   in Loop: Header=BB354_13 Depth=1
	v_cmp_ne_u16_sdwa s[10:11], v42, s41 src0_sel:BYTE_0 src1_sel:DWORD
	v_bfrev_b32_e32 v24, 1
	s_and_saveexec_b64 s[36:37], s[10:11]
	s_cbranch_execz .LBB354_281
; %bb.278:                              ;   in Loop: Header=BB354_13 Depth=1
	v_and_b32_e32 v1, 0x7f, v42
	v_cmp_ne_u32_e64 s[10:11], s42, v1
	v_mov_b32_e32 v24, 0x7f800001
	s_and_saveexec_b64 s[38:39], s[10:11]
	s_cbranch_execz .LBB354_280
; %bb.279:                              ;   in Loop: Header=BB354_13 Depth=1
	v_and_b32_e32 v14, 7, v42
	v_ffbh_u32_e32 v2, v14
	v_min_u32_e32 v24, 32, v2
	v_subrev_u32_e32 v2, 28, v24
	v_lshlrev_b64 v[2:3], v2, v[42:43]
	v_lshrrev_b32_e32 v15, 3, v1
	v_sub_u32_e32 v3, 29, v24
	v_and_b32_e32 v2, 7, v2
	v_cmp_gt_u32_e64 s[10:11], 8, v1
	v_cndmask_b32_e64 v1, v15, v3, s[10:11]
	v_cndmask_b32_e64 v2, v14, v2, s[10:11]
	v_lshlrev_b32_e32 v3, 24, v42
	v_bfrev_b32_e32 v4, 60
	v_lshlrev_b32_e32 v2, 20, v2
	v_and_b32_e32 v3, 0x80000000, v3
	v_lshl_add_u32 v1, v1, 23, v4
	v_or3_b32 v24, v3, v1, v2
.LBB354_280:                            ;   in Loop: Header=BB354_13 Depth=1
	s_or_b64 exec, exec, s[38:39]
.LBB354_281:                            ;   in Loop: Header=BB354_13 Depth=1
	s_or_b64 exec, exec, s[36:37]
.LBB354_282:                            ;   in Loop: Header=BB354_13 Depth=1
	s_or_b64 exec, exec, s[34:35]
	v_mul_f32_e32 v1, v0, v24
	v_and_b32_e32 v2, 0x7f800000, v1
	v_cmp_ne_u32_e64 s[10:11], s43, v2
                                        ; implicit-def: $vgpr24
	s_and_saveexec_b64 s[34:35], s[10:11]
	s_xor_b64 s[10:11], exec, s[34:35]
; %bb.283:                              ;   in Loop: Header=BB354_13 Depth=1
	v_bfe_u32 v2, v1, 16, 1
	v_add3_u32 v24, v1, v2, s44
                                        ; implicit-def: $vgpr1
; %bb.284:                              ;   in Loop: Header=BB354_13 Depth=1
	s_andn2_saveexec_b64 s[34:35], s[10:11]
; %bb.285:                              ;   in Loop: Header=BB354_13 Depth=1
	v_mov_b32_e32 v3, 0
	v_or_b32_e32 v2, 0x10000, v1
	v_cmp_eq_u32_sdwa s[10:11], v1, v3 src0_sel:WORD_0 src1_sel:DWORD
	v_cndmask_b32_e64 v24, v2, v1, s[10:11]
; %bb.286:                              ;   in Loop: Header=BB354_13 Depth=1
	s_or_b64 exec, exec, s[34:35]
	v_lshrrev_b16_e32 v44, 8, v42
	v_cmp_ne_u16_e64 s[10:11], 0, v44
	v_mov_b32_e32 v49, 0
	s_and_saveexec_b64 s[34:35], s[10:11]
	s_cbranch_execz .LBB354_292
; %bb.287:                              ;   in Loop: Header=BB354_13 Depth=1
	v_cmp_ne_u16_e64 s[10:11], s41, v44
	v_bfrev_b32_e32 v49, 1
	s_and_saveexec_b64 s[36:37], s[10:11]
	s_cbranch_execz .LBB354_291
; %bb.288:                              ;   in Loop: Header=BB354_13 Depth=1
	v_and_b32_e32 v1, 0x7f, v44
	v_cmp_ne_u32_e64 s[10:11], s42, v1
	v_mov_b32_e32 v49, 0x7f800001
	s_and_saveexec_b64 s[38:39], s[10:11]
	s_cbranch_execz .LBB354_290
; %bb.289:                              ;   in Loop: Header=BB354_13 Depth=1
	v_and_b32_e32 v14, 7, v44
	v_ffbh_u32_e32 v2, v14
	v_min_u32_e32 v49, 32, v2
	v_subrev_u32_e32 v2, 28, v49
	v_lshlrev_b64 v[2:3], v2, v[44:45]
	v_lshrrev_b32_e32 v15, 3, v1
	v_sub_u32_e32 v3, 29, v49
	v_and_b32_e32 v2, 7, v2
	v_cmp_gt_u32_e64 s[10:11], 8, v1
	v_cndmask_b32_e64 v1, v15, v3, s[10:11]
	v_cndmask_b32_e64 v2, v14, v2, s[10:11]
	v_lshlrev_b32_e32 v3, 16, v42
	v_bfrev_b32_e32 v4, 60
	v_lshlrev_b32_e32 v2, 20, v2
	v_and_b32_e32 v3, 0x80000000, v3
	v_lshl_add_u32 v1, v1, 23, v4
	v_or3_b32 v49, v3, v1, v2
.LBB354_290:                            ;   in Loop: Header=BB354_13 Depth=1
	s_or_b64 exec, exec, s[38:39]
.LBB354_291:                            ;   in Loop: Header=BB354_13 Depth=1
	s_or_b64 exec, exec, s[36:37]
.LBB354_292:                            ;   in Loop: Header=BB354_13 Depth=1
	s_or_b64 exec, exec, s[34:35]
	v_mul_f32_e32 v1, v0, v49
	v_and_b32_e32 v2, 0x7f800000, v1
	v_cmp_ne_u32_e64 s[10:11], s43, v2
                                        ; implicit-def: $vgpr60
	s_and_saveexec_b64 s[34:35], s[10:11]
	s_xor_b64 s[10:11], exec, s[34:35]
; %bb.293:                              ;   in Loop: Header=BB354_13 Depth=1
	v_bfe_u32 v2, v1, 16, 1
	v_add3_u32 v60, v1, v2, s44
                                        ; implicit-def: $vgpr1
; %bb.294:                              ;   in Loop: Header=BB354_13 Depth=1
	s_andn2_saveexec_b64 s[34:35], s[10:11]
; %bb.295:                              ;   in Loop: Header=BB354_13 Depth=1
	v_mov_b32_e32 v3, 0
	v_or_b32_e32 v2, 0x10000, v1
	v_cmp_eq_u32_sdwa s[10:11], v1, v3 src0_sel:WORD_0 src1_sel:DWORD
	v_cndmask_b32_e64 v60, v2, v1, s[10:11]
; %bb.296:                              ;   in Loop: Header=BB354_13 Depth=1
	s_or_b64 exec, exec, s[34:35]
	flat_load_ushort v1, v[40:41] offset:1792
	v_mov_b32_e32 v2, 0
	v_mov_b32_e32 v49, 0
	s_waitcnt vmcnt(0) lgkmcnt(0)
	v_and_b32_e32 v42, 0xffff, v1
	v_cmp_ne_u16_sdwa s[10:11], v1, v2 src0_sel:BYTE_0 src1_sel:DWORD
	s_and_saveexec_b64 s[34:35], s[10:11]
	s_cbranch_execz .LBB354_302
; %bb.297:                              ;   in Loop: Header=BB354_13 Depth=1
	v_cmp_ne_u16_sdwa s[10:11], v42, s41 src0_sel:BYTE_0 src1_sel:DWORD
	v_bfrev_b32_e32 v49, 1
	s_and_saveexec_b64 s[36:37], s[10:11]
	s_cbranch_execz .LBB354_301
; %bb.298:                              ;   in Loop: Header=BB354_13 Depth=1
	v_and_b32_e32 v1, 0x7f, v42
	v_cmp_ne_u32_e64 s[10:11], s42, v1
	v_mov_b32_e32 v49, 0x7f800001
	s_and_saveexec_b64 s[38:39], s[10:11]
	s_cbranch_execz .LBB354_300
; %bb.299:                              ;   in Loop: Header=BB354_13 Depth=1
	v_and_b32_e32 v14, 7, v42
	v_ffbh_u32_e32 v2, v14
	v_min_u32_e32 v49, 32, v2
	v_subrev_u32_e32 v2, 28, v49
	v_lshlrev_b64 v[2:3], v2, v[42:43]
	v_lshrrev_b32_e32 v15, 3, v1
	v_sub_u32_e32 v3, 29, v49
	v_and_b32_e32 v2, 7, v2
	v_cmp_gt_u32_e64 s[10:11], 8, v1
	v_cndmask_b32_e64 v1, v15, v3, s[10:11]
	v_cndmask_b32_e64 v2, v14, v2, s[10:11]
	v_lshlrev_b32_e32 v3, 24, v42
	v_bfrev_b32_e32 v4, 60
	v_lshlrev_b32_e32 v2, 20, v2
	v_and_b32_e32 v3, 0x80000000, v3
	v_lshl_add_u32 v1, v1, 23, v4
	v_or3_b32 v49, v3, v1, v2
.LBB354_300:                            ;   in Loop: Header=BB354_13 Depth=1
	s_or_b64 exec, exec, s[38:39]
.LBB354_301:                            ;   in Loop: Header=BB354_13 Depth=1
	s_or_b64 exec, exec, s[36:37]
.LBB354_302:                            ;   in Loop: Header=BB354_13 Depth=1
	s_or_b64 exec, exec, s[34:35]
	v_mul_f32_e32 v1, v0, v49
	v_and_b32_e32 v2, 0x7f800000, v1
	v_cmp_ne_u32_e64 s[10:11], s43, v2
                                        ; implicit-def: $vgpr49
	s_and_saveexec_b64 s[34:35], s[10:11]
	s_xor_b64 s[10:11], exec, s[34:35]
; %bb.303:                              ;   in Loop: Header=BB354_13 Depth=1
	v_bfe_u32 v2, v1, 16, 1
	v_add3_u32 v49, v1, v2, s44
                                        ; implicit-def: $vgpr1
; %bb.304:                              ;   in Loop: Header=BB354_13 Depth=1
	s_andn2_saveexec_b64 s[34:35], s[10:11]
; %bb.305:                              ;   in Loop: Header=BB354_13 Depth=1
	v_mov_b32_e32 v3, 0
	v_or_b32_e32 v2, 0x10000, v1
	v_cmp_eq_u32_sdwa s[10:11], v1, v3 src0_sel:WORD_0 src1_sel:DWORD
	v_cndmask_b32_e64 v49, v2, v1, s[10:11]
; %bb.306:                              ;   in Loop: Header=BB354_13 Depth=1
	s_or_b64 exec, exec, s[34:35]
	v_lshrrev_b16_e32 v44, 8, v42
	v_cmp_ne_u16_e64 s[10:11], 0, v44
	v_mov_b32_e32 v1, 0
	s_and_saveexec_b64 s[34:35], s[10:11]
	s_cbranch_execz .LBB354_312
; %bb.307:                              ;   in Loop: Header=BB354_13 Depth=1
	v_cmp_ne_u16_e64 s[10:11], s41, v44
	v_bfrev_b32_e32 v1, 1
	s_and_saveexec_b64 s[36:37], s[10:11]
	s_cbranch_execz .LBB354_311
; %bb.308:                              ;   in Loop: Header=BB354_13 Depth=1
	v_and_b32_e32 v3, 0x7f, v44
	v_cmp_ne_u32_e64 s[10:11], s42, v3
	v_mov_b32_e32 v1, 0x7f800001
	s_and_saveexec_b64 s[38:39], s[10:11]
	s_cbranch_execz .LBB354_310
; %bb.309:                              ;   in Loop: Header=BB354_13 Depth=1
	v_and_b32_e32 v1, 7, v44
	v_ffbh_u32_e32 v14, v1
	v_min_u32_e32 v11, 32, v14
	v_subrev_u32_e32 v14, 28, v11
	v_lshlrev_b64 v[14:15], v14, v[44:45]
	v_lshrrev_b32_e32 v2, 3, v3
	v_sub_u32_e32 v11, 29, v11
	v_and_b32_e32 v14, 7, v14
	v_cmp_gt_u32_e64 s[10:11], 8, v3
	v_cndmask_b32_e64 v2, v2, v11, s[10:11]
	v_cndmask_b32_e64 v1, v1, v14, s[10:11]
	v_lshlrev_b32_e32 v3, 16, v42
	v_bfrev_b32_e32 v4, 60
	v_lshlrev_b32_e32 v1, 20, v1
	v_and_b32_e32 v3, 0x80000000, v3
	v_lshl_add_u32 v2, v2, 23, v4
	v_or3_b32 v1, v3, v2, v1
.LBB354_310:                            ;   in Loop: Header=BB354_13 Depth=1
	s_or_b64 exec, exec, s[38:39]
.LBB354_311:                            ;   in Loop: Header=BB354_13 Depth=1
	s_or_b64 exec, exec, s[36:37]
.LBB354_312:                            ;   in Loop: Header=BB354_13 Depth=1
	s_or_b64 exec, exec, s[34:35]
	v_mul_f32_e32 v1, v0, v1
	v_and_b32_e32 v2, 0x7f800000, v1
	v_cmp_ne_u32_e64 s[10:11], s43, v2
                                        ; implicit-def: $vgpr44
	s_and_saveexec_b64 s[34:35], s[10:11]
	s_xor_b64 s[10:11], exec, s[34:35]
; %bb.313:                              ;   in Loop: Header=BB354_13 Depth=1
	v_bfe_u32 v2, v1, 16, 1
	v_add3_u32 v44, v1, v2, s44
                                        ; implicit-def: $vgpr1
; %bb.314:                              ;   in Loop: Header=BB354_13 Depth=1
	s_andn2_saveexec_b64 s[34:35], s[10:11]
; %bb.315:                              ;   in Loop: Header=BB354_13 Depth=1
	v_mov_b32_e32 v3, 0
	v_or_b32_e32 v2, 0x10000, v1
	v_cmp_eq_u32_sdwa s[10:11], v1, v3 src0_sel:WORD_0 src1_sel:DWORD
	v_cndmask_b32_e64 v44, v2, v1, s[10:11]
; %bb.316:                              ;   in Loop: Header=BB354_13 Depth=1
	s_or_b64 exec, exec, s[34:35]
	flat_load_ushort v1, v[40:41] offset:1800
	v_mov_b32_e32 v2, 0
	s_waitcnt vmcnt(0) lgkmcnt(0)
	v_and_b32_e32 v40, 0xffff, v1
	v_cmp_ne_u16_sdwa s[10:11], v1, v2 src0_sel:BYTE_0 src1_sel:DWORD
	v_mov_b32_e32 v1, 0
	s_and_saveexec_b64 s[34:35], s[10:11]
	s_cbranch_execz .LBB354_322
; %bb.317:                              ;   in Loop: Header=BB354_13 Depth=1
	v_cmp_ne_u16_sdwa s[10:11], v40, s41 src0_sel:BYTE_0 src1_sel:DWORD
	v_bfrev_b32_e32 v1, 1
	s_and_saveexec_b64 s[36:37], s[10:11]
	s_cbranch_execz .LBB354_321
; %bb.318:                              ;   in Loop: Header=BB354_13 Depth=1
	v_and_b32_e32 v3, 0x7f, v40
	v_cmp_ne_u32_e64 s[10:11], s42, v3
	v_mov_b32_e32 v1, 0x7f800001
	s_and_saveexec_b64 s[38:39], s[10:11]
	s_cbranch_execz .LBB354_320
; %bb.319:                              ;   in Loop: Header=BB354_13 Depth=1
	v_and_b32_e32 v1, 7, v40
	v_ffbh_u32_e32 v11, v1
	v_min_u32_e32 v11, 32, v11
	v_subrev_u32_e32 v14, 28, v11
	v_lshlrev_b64 v[14:15], v14, v[40:41]
	v_lshrrev_b32_e32 v2, 3, v3
	v_sub_u32_e32 v11, 29, v11
	v_and_b32_e32 v14, 7, v14
	v_cmp_gt_u32_e64 s[10:11], 8, v3
	v_cndmask_b32_e64 v2, v2, v11, s[10:11]
	v_cndmask_b32_e64 v1, v1, v14, s[10:11]
	v_lshlrev_b32_e32 v3, 24, v40
	v_bfrev_b32_e32 v4, 60
	v_lshlrev_b32_e32 v1, 20, v1
	v_and_b32_e32 v3, 0x80000000, v3
	v_lshl_add_u32 v2, v2, 23, v4
	v_or3_b32 v1, v3, v2, v1
.LBB354_320:                            ;   in Loop: Header=BB354_13 Depth=1
	s_or_b64 exec, exec, s[38:39]
.LBB354_321:                            ;   in Loop: Header=BB354_13 Depth=1
	s_or_b64 exec, exec, s[36:37]
.LBB354_322:                            ;   in Loop: Header=BB354_13 Depth=1
	s_or_b64 exec, exec, s[34:35]
	v_mul_f32_e32 v1, v0, v1
	v_and_b32_e32 v2, 0x7f800000, v1
	v_cmp_ne_u32_e64 s[10:11], s43, v2
                                        ; implicit-def: $vgpr41
	s_and_saveexec_b64 s[34:35], s[10:11]
	s_xor_b64 s[10:11], exec, s[34:35]
; %bb.323:                              ;   in Loop: Header=BB354_13 Depth=1
	v_bfe_u32 v2, v1, 16, 1
	v_add3_u32 v41, v1, v2, s44
                                        ; implicit-def: $vgpr1
; %bb.324:                              ;   in Loop: Header=BB354_13 Depth=1
	s_andn2_saveexec_b64 s[34:35], s[10:11]
; %bb.325:                              ;   in Loop: Header=BB354_13 Depth=1
	v_mov_b32_e32 v3, 0
	v_or_b32_e32 v2, 0x10000, v1
	v_cmp_eq_u32_sdwa s[10:11], v1, v3 src0_sel:WORD_0 src1_sel:DWORD
	v_cndmask_b32_e64 v41, v2, v1, s[10:11]
; %bb.326:                              ;   in Loop: Header=BB354_13 Depth=1
	s_or_b64 exec, exec, s[34:35]
	v_lshrrev_b16_e32 v42, 8, v40
	v_cmp_ne_u16_e64 s[10:11], 0, v42
	v_mov_b32_e32 v1, 0
	s_and_saveexec_b64 s[34:35], s[10:11]
	s_cbranch_execz .LBB354_332
; %bb.327:                              ;   in Loop: Header=BB354_13 Depth=1
	v_cmp_ne_u16_e64 s[10:11], s41, v42
	v_bfrev_b32_e32 v1, 1
	s_and_saveexec_b64 s[36:37], s[10:11]
	s_cbranch_execz .LBB354_331
; %bb.328:                              ;   in Loop: Header=BB354_13 Depth=1
	v_and_b32_e32 v3, 0x7f, v42
	v_cmp_ne_u32_e64 s[10:11], s42, v3
	v_mov_b32_e32 v1, 0x7f800001
	s_and_saveexec_b64 s[38:39], s[10:11]
	s_cbranch_execz .LBB354_330
; %bb.329:                              ;   in Loop: Header=BB354_13 Depth=1
	v_and_b32_e32 v1, 7, v42
	v_ffbh_u32_e32 v11, v1
	v_min_u32_e32 v11, 32, v11
	v_subrev_u32_e32 v14, 28, v11
	v_lshlrev_b64 v[14:15], v14, v[42:43]
	v_lshrrev_b32_e32 v2, 3, v3
	v_sub_u32_e32 v11, 29, v11
	v_and_b32_e32 v14, 7, v14
	v_cmp_gt_u32_e64 s[10:11], 8, v3
	v_cndmask_b32_e64 v2, v2, v11, s[10:11]
	v_cndmask_b32_e64 v1, v1, v14, s[10:11]
	v_lshlrev_b32_e32 v3, 16, v40
	v_bfrev_b32_e32 v4, 60
	v_lshlrev_b32_e32 v1, 20, v1
	v_and_b32_e32 v3, 0x80000000, v3
	v_lshl_add_u32 v2, v2, 23, v4
	v_or3_b32 v1, v3, v2, v1
.LBB354_330:                            ;   in Loop: Header=BB354_13 Depth=1
	s_or_b64 exec, exec, s[38:39]
.LBB354_331:                            ;   in Loop: Header=BB354_13 Depth=1
	s_or_b64 exec, exec, s[36:37]
.LBB354_332:                            ;   in Loop: Header=BB354_13 Depth=1
	s_or_b64 exec, exec, s[34:35]
	v_mul_f32_e32 v1, v0, v1
	v_and_b32_e32 v0, 0x7f800000, v1
	v_cmp_ne_u32_e64 s[10:11], s43, v0
                                        ; implicit-def: $vgpr0
	s_and_saveexec_b64 s[34:35], s[10:11]
	s_xor_b64 s[10:11], exec, s[34:35]
; %bb.333:                              ;   in Loop: Header=BB354_13 Depth=1
	v_bfe_u32 v0, v1, 16, 1
	v_add3_u32 v0, v1, v0, s44
                                        ; implicit-def: $vgpr1
; %bb.334:                              ;   in Loop: Header=BB354_13 Depth=1
	s_andn2_saveexec_b64 s[34:35], s[10:11]
; %bb.335:                              ;   in Loop: Header=BB354_13 Depth=1
	v_mov_b32_e32 v2, 0
	v_or_b32_e32 v0, 0x10000, v1
	v_cmp_eq_u32_sdwa s[10:11], v1, v2 src0_sel:WORD_0 src1_sel:DWORD
	v_cndmask_b32_e64 v0, v0, v1, s[10:11]
; %bb.336:                              ;   in Loop: Header=BB354_13 Depth=1
	s_or_b64 exec, exec, s[34:35]
	v_lshlrev_b32_e32 v2, 16, v37
	v_and_b32_e32 v30, 0xffff0000, v23
	v_lshlrev_b32_e32 v1, 16, v36
	v_mul_f32_e32 v2, v2, v30
	v_and_b32_e32 v30, 0xffff0000, v5
	v_and_b32_e32 v37, 0xffff0000, v37
	v_fmac_f32_e32 v2, v1, v30
	v_and_b32_e32 v1, 0xffff0000, v28
	v_and_b32_e32 v36, 0xffff0000, v36
	v_mul_f32_e32 v1, v37, v1
	v_and_b32_e32 v30, 0xffff0000, v10
	v_accvgpr_read_b32 v4, a52
	v_accvgpr_read_b32 v5, a48
	v_fmac_f32_e32 v1, v36, v30
	v_and_b32_e32 v30, 0xffff0000, v41
	v_and_b32_e32 v41, 0xffff0000, v57
	;; [unrolled: 1-line block ×3, first 2 shown]
	v_accvgpr_read_b32 v4, a51
	v_and_b32_e32 v28, 0xffff0000, v5
	v_accvgpr_read_b32 v5, a47
	v_lshlrev_b32_e32 v3, 16, v38
	v_and_b32_e32 v38, 0xffff0000, v38
	v_and_b32_e32 v37, 0xffff0000, v49
	v_and_b32_e32 v49, 0xffff0000, v60
	v_and_b32_e32 v60, 0xffff0000, v4
	v_accvgpr_read_b32 v4, a50
	v_and_b32_e32 v23, 0xffff0000, v5
	v_and_b32_e32 v48, 0xffff0000, v48
	v_lshlrev_b32_e32 v11, 16, v39
	v_and_b32_e32 v39, 0xffff0000, v39
	v_and_b32_e32 v36, 0xffff0000, v44
	;; [unrolled: 1-line block ×6, first 2 shown]
	v_accvgpr_read_b32 v4, a49
	v_and_b32_e32 v29, 0xffff0000, v29
	v_and_b32_e32 v53, 0xffff0000, v53
	v_fmac_f32_e32 v2, v3, v48
	v_fmac_f32_e32 v1, v38, v23
	v_lshlrev_b32_e32 v14, 16, v32
	v_and_b32_e32 v32, 0xffff0000, v32
	v_and_b32_e32 v4, 0xffff0000, v4
	v_fmac_f32_e32 v2, v11, v53
	v_fmac_f32_e32 v1, v39, v29
	v_lshlrev_b32_e32 v15, 16, v33
	v_and_b32_e32 v33, 0xffff0000, v33
	v_fmac_f32_e32 v2, v14, v28
	v_fmac_f32_e32 v1, v32, v4
	v_lshlrev_b32_e32 v40, 16, v34
	v_and_b32_e32 v34, 0xffff0000, v34
	v_fmac_f32_e32 v2, v15, v61
	v_fmac_f32_e32 v1, v33, v60
	v_lshlrev_b32_e32 v42, 16, v35
	v_and_b32_e32 v35, 0xffff0000, v35
	v_and_b32_e32 v13, 0xffff0000, v13
	v_fmac_f32_e32 v2, v40, v57
	v_fmac_f32_e32 v1, v34, v47
	v_lshlrev_b32_e32 v59, 16, v16
	v_and_b32_e32 v16, 0xffff0000, v16
	v_and_b32_e32 v45, 0xffff0000, v45
	v_fmac_f32_e32 v2, v42, v13
	v_fmac_f32_e32 v1, v35, v46
	v_lshlrev_b32_e32 v56, 16, v17
	v_and_b32_e32 v17, 0xffff0000, v17
	v_and_b32_e32 v52, 0xffff0000, v52
	v_and_b32_e32 v21, 0xffff0000, v21
	v_fmac_f32_e32 v2, v59, v45
	v_fmac_f32_e32 v1, v16, v44
	v_lshlrev_b32_e32 v31, 16, v18
	v_and_b32_e32 v18, 0xffff0000, v18
	v_and_b32_e32 v51, 0xffff0000, v51
	v_and_b32_e32 v50, 0xffff0000, v50
	v_fmac_f32_e32 v2, v56, v21
	v_fmac_f32_e32 v1, v17, v52
	v_lshlrev_b32_e32 v12, 16, v19
	v_and_b32_e32 v19, 0xffff0000, v19
	v_and_b32_e32 v20, 0xffff0000, v20
	v_fmac_f32_e32 v2, v31, v50
	v_fmac_f32_e32 v1, v18, v51
	v_lshlrev_b32_e32 v26, 16, v6
	v_and_b32_e32 v6, 0xffff0000, v6
	v_and_b32_e32 v25, 0xffff0000, v25
	;; [unrolled: 1-line block ×3, first 2 shown]
	v_accvgpr_read_b32 v5, a45
	v_fmac_f32_e32 v2, v12, v20
	v_fmac_f32_e32 v1, v19, v41
	v_lshlrev_b32_e32 v27, 16, v7
	v_and_b32_e32 v7, 0xffff0000, v7
	v_and_b32_e32 v24, 0xffff0000, v24
	;; [unrolled: 1-line block ×3, first 2 shown]
	v_fmac_f32_e32 v2, v26, v22
	v_fmac_f32_e32 v1, v6, v25
	v_lshlrev_b32_e32 v43, 16, v8
	v_and_b32_e32 v8, 0xffff0000, v8
	v_add_u32_e32 v10, 64, v10
	v_xor_b32_e32 v3, 2, v5
	v_fmac_f32_e32 v2, v27, v24
	v_fmac_f32_e32 v1, v7, v49
	v_lshlrev_b32_e32 v58, 16, v9
	v_and_b32_e32 v9, 0xffff0000, v9
	v_cmp_lt_i32_e64 s[10:11], v3, v10
	v_and_b32_e32 v0, 0xffff0000, v0
	v_fmac_f32_e32 v2, v43, v37
	v_fmac_f32_e32 v1, v8, v36
	v_cndmask_b32_e64 v3, v5, v3, s[10:11]
	v_fmac_f32_e32 v2, v58, v30
	v_fmac_f32_e32 v1, v9, v0
	v_lshlrev_b32_e32 v3, 2, v3
	v_add_f32_e32 v0, v2, v1
	ds_bpermute_b32 v1, v3, v0
	v_xor_b32_e32 v2, 1, v5
	v_cmp_lt_i32_e64 s[10:11], v2, v10
	v_cndmask_b32_e64 v2, v5, v2, s[10:11]
	v_lshlrev_b32_e32 v2, 2, v2
	s_waitcnt lgkmcnt(0)
	v_add_f32_e32 v0, v0, v1
	ds_bpermute_b32 v1, v2, v0
	s_and_saveexec_b64 s[34:35], vcc
	s_cbranch_execz .LBB354_11
; %bb.337:                              ;   in Loop: Header=BB354_13 Depth=1
	buffer_load_dword v4, off, s[0:3], s32 offset:156 ; 4-byte Folded Reload
	v_accvgpr_read_b32 v2, a44
	v_add_u32_e32 v2, v2, v62
	v_cvt_f32_i32_e32 v2, v2
	s_waitcnt lgkmcnt(0)
	v_add_f32_e32 v0, v0, v1
	v_accvgpr_read_b32 v1, a34
	s_load_dword s10, s[28:29], 0x0
	v_accvgpr_read_b32 v3, a36
	v_add_u32_e32 v3, v3, v62
	s_waitcnt vmcnt(0)
	v_mul_f32_e32 v2, v4, v2
	v_cndmask_b32_e64 v2, 0, v2, s[8:9]
	v_fmac_f32_e32 v2, v0, v1
	buffer_load_dword v1, off, s[0:3], s32 offset:152 ; 4-byte Folded Reload
	v_accvgpr_read_b32 v4, a43
	v_accvgpr_read_b32 v0, a3
	s_waitcnt lgkmcnt(0)
	v_add_u32_e32 v4, s10, v4
	v_cmp_lt_i32_e64 s[10:11], v3, v0
	v_cndmask_b32_e64 v0, 0, v2, s[10:11]
	ds_write_b32 v4, v0
	s_waitcnt vmcnt(0)
	v_max_f32_e32 v0, v1, v1
	v_max_f32_e32 v0, v0, v2
	v_cndmask_b32_e64 v1, v1, v0, s[10:11]
	buffer_store_dword v1, off, s[0:3], s32 offset:152 ; 4-byte Folded Spill
	s_branch .LBB354_11
.LBB354_338:
	s_or_b64 exec, exec, s[30:31]
	buffer_load_dword v5, off, s[0:3], s32 offset:152 ; 4-byte Folded Reload
	v_accvgpr_read_b32 v55, a5
	v_accvgpr_read_b32 v53, a2
	;; [unrolled: 1-line block ×18, first 2 shown]
.LBB354_339:
	s_or_b64 exec, exec, s[26:27]
	v_mbcnt_hi_u32_b32 v2, -1, v0
	v_and_b32_e32 v0, 64, v2
	v_add_u32_e32 v3, 64, v0
	v_xor_b32_e32 v0, 32, v2
	v_cmp_lt_i32_e32 vcc, v0, v3
	v_cndmask_b32_e32 v0, v2, v0, vcc
	v_lshlrev_b32_e32 v4, 2, v0
	s_waitcnt vmcnt(0)
	ds_bpermute_b32 v0, v4, v5
	v_max_f32_e32 v1, v5, v5
	v_xor_b32_e32 v5, 16, v2
	v_cmp_lt_i32_e32 vcc, v5, v3
	v_xor_b32_e32 v6, 8, v2
	s_waitcnt lgkmcnt(0)
	v_max_f32_e32 v0, v0, v0
	v_max_f32_e32 v0, v1, v0
	v_cndmask_b32_e32 v1, v2, v5, vcc
	v_lshlrev_b32_e32 v5, 2, v1
	ds_bpermute_b32 v1, v5, v0
	v_cmp_lt_i32_e32 vcc, v6, v3
	v_and_b32_e32 v43, 63, v53
	s_lshr_b32 s30, s40, 16
	s_waitcnt lgkmcnt(0)
	v_max_f32_e32 v1, v1, v1
	v_max_f32_e32 v0, v0, v1
	v_cndmask_b32_e32 v1, v2, v6, vcc
	v_lshlrev_b32_e32 v8, 2, v1
	ds_bpermute_b32 v1, v8, v0
	v_xor_b32_e32 v6, 4, v2
	v_cmp_lt_i32_e32 vcc, v6, v3
	s_waitcnt lgkmcnt(0)
	v_max_f32_e32 v1, v1, v1
	v_max_f32_e32 v0, v0, v1
	v_cndmask_b32_e32 v1, v2, v6, vcc
	v_lshlrev_b32_e32 v10, 2, v1
	ds_bpermute_b32 v1, v10, v0
	v_cmp_eq_u32_e32 vcc, 0, v43
	v_lshlrev_b32_e32 v6, 2, v28
	s_and_saveexec_b64 s[8:9], vcc
	s_cbranch_execz .LBB354_341
; %bb.340:
	s_waitcnt lgkmcnt(0)
	v_max_f32_e32 v1, v1, v1
	v_max_f32_e32 v0, v0, v0
	;; [unrolled: 1-line block ×3, first 2 shown]
	ds_write_b32 v6, v0 offset:256
.LBB354_341:
	s_or_b64 exec, exec, s[8:9]
	v_cmp_gt_u32_e64 s[8:9], 2, v43
	v_mov_b32_e32 v0, 0xff7fffff
	v_lshlrev_b32_e32 v7, 2, v43
	s_waitcnt lgkmcnt(0)
	s_barrier
	s_and_saveexec_b64 s[10:11], s[8:9]
	s_cbranch_execz .LBB354_343
; %bb.342:
	ds_read_b32 v0, v7 offset:256
.LBB354_343:
	s_or_b64 exec, exec, s[10:11]
	v_xor_b32_e32 v1, 1, v2
	v_cmp_lt_i32_e64 s[10:11], v1, v3
	v_cndmask_b32_e64 v1, v2, v1, s[10:11]
	v_lshlrev_b32_e32 v18, 2, v1
	s_waitcnt lgkmcnt(0)
	ds_bpermute_b32 v1, v18, v0
	v_max_f32_e32 v0, v0, v0
	v_accvgpr_read_b32 v9, a11
	v_subrev_u32_e32 v9, s23, v9
	v_lshl_add_u32 v9, v9, 4, s15
	s_waitcnt lgkmcnt(0)
	v_max_f32_e32 v1, v1, v1
	v_max_f32_e32 v0, v0, v1
	v_lshlrev_b32_e32 v1, 2, v2
	v_and_b32_e32 v11, 0x100, v1
	ds_bpermute_b32 v0, v11, v0
	v_accvgpr_read_b32 v1, a3
	v_min_i32_e32 v9, v9, v1
	v_subrev_u32_e32 v1, s15, v9
	v_cmp_lt_i32_e64 s[10:11], v53, v1
	v_mov_b32_e32 v12, 0
	s_and_saveexec_b64 s[26:27], s[10:11]
	s_cbranch_execz .LBB354_347
; %bb.344:
	s_ashr_i32 s25, s24, 31
	s_lshl_b64 s[16:17], s[24:25], 2
	s_getpc_b64 s[28:29]
	s_add_u32 s28, s28, llvm.amdgcn.dynlds.offset.table@rel32@lo+4
	s_addc_u32 s29, s29, llvm.amdgcn.dynlds.offset.table@rel32@hi+12
	s_add_u32 s16, s16, s28
	s_addc_u32 s17, s17, s29
	s_load_dword s16, s[16:17], 0x0
	s_mov_b64 s[28:29], 0
	v_mov_b32_e32 v12, 0
	v_mov_b32_e32 v17, v53
	s_waitcnt lgkmcnt(0)
	v_lshl_add_u32 v13, v53, 2, s16
.LBB354_345:                            ; =>This Inner Loop Header: Depth=1
	ds_read_b32 v16, v13
	v_add_u32_e32 v17, 0x80, v17
	v_cmp_ge_i32_e64 s[16:17], v17, v1
	s_or_b64 s[28:29], s[16:17], s[28:29]
	s_waitcnt lgkmcnt(0)
	v_sub_f32_e32 v16, v16, v0
	v_mul_f32_e32 v16, 0x3fb8aa3b, v16
	v_exp_f32_e32 v16, v16
	ds_write_b32 v13, v16
	v_add_f32_e32 v12, v12, v16
	v_add_u32_e32 v13, 0x200, v13
	s_andn2_b64 exec, exec, s[28:29]
	s_cbranch_execnz .LBB354_345
; %bb.346:
	s_or_b64 exec, exec, s[28:29]
.LBB354_347:
	s_or_b64 exec, exec, s[26:27]
	ds_bpermute_b32 v4, v4, v12
	s_waitcnt lgkmcnt(0)
	v_add_f32_e32 v4, v12, v4
	ds_bpermute_b32 v5, v5, v4
	s_waitcnt lgkmcnt(0)
	v_add_f32_e32 v4, v4, v5
	ds_bpermute_b32 v5, v8, v4
	v_xor_b32_e32 v8, 2, v2
	v_cmp_lt_i32_e64 s[16:17], v8, v3
	v_cndmask_b32_e64 v2, v2, v8, s[16:17]
	v_lshlrev_b32_e32 v2, 2, v2
	s_waitcnt lgkmcnt(0)
	v_add_f32_e32 v4, v4, v5
	ds_bpermute_b32 v5, v10, v4
	s_waitcnt lgkmcnt(0)
	v_add_f32_e32 v3, v4, v5
	ds_bpermute_b32 v2, v2, v3
	s_waitcnt lgkmcnt(0)
	v_add_f32_e32 v2, v3, v2
	ds_bpermute_b32 v3, v18, v2
	s_waitcnt lgkmcnt(0)
	v_add_f32_e32 v2, v2, v3
	s_and_saveexec_b64 s[16:17], vcc
	s_cbranch_execz .LBB354_349
; %bb.348:
	ds_write_b32 v6, v2 offset:264
.LBB354_349:
	s_or_b64 exec, exec, s[16:17]
	s_waitcnt lgkmcnt(0)
	s_barrier
	s_mov_b64 s[16:17], exec
	s_and_b64 s[8:9], s[16:17], s[8:9]
	v_accvgpr_read_b32 v8, a15
	s_mov_b64 exec, s[8:9]
	s_cbranch_execz .LBB354_351
; %bb.350:
	ds_read_b32 v2, v7 offset:264
.LBB354_351:
	s_or_b64 exec, exec, s[16:17]
	s_waitcnt lgkmcnt(0)
	ds_bpermute_b32 v3, v18, v2
	s_waitcnt lgkmcnt(0)
	v_add_f32_e32 v2, v2, v3
	ds_bpermute_b32 v2, v11, v2
	s_and_saveexec_b64 s[8:9], s[10:11]
	s_cbranch_execz .LBB354_364
; %bb.352:
	s_waitcnt lgkmcnt(0)
	v_add_f32_e32 v3, 0x358637bd, v2
	v_div_scale_f32 v4, s[10:11], v3, v3, 1.0
	v_rcp_f32_e32 v5, v4
	v_div_scale_f32 v6, vcc, 1.0, v3, 1.0
	s_movk_i32 s10, 0x7f
	v_fma_f32 v7, -v4, v5, 1.0
	v_fmac_f32_e32 v5, v7, v5
	v_mul_f32_e32 v7, v6, v5
	v_fma_f32 v8, -v4, v7, v6
	v_fmac_f32_e32 v7, v8, v5
	v_fma_f32 v4, -v4, v7, v6
	v_div_fmas_f32 v4, v4, v5, v7
	v_div_fixup_f32 v6, v4, v3, 1.0
	v_xad_u32 v3, v53, -1, v9
	v_subrev_u32_e32 v4, s15, v3
	v_cmp_lt_u32_e32 vcc, s10, v4
	s_mov_b64 s[16:17], -1
	v_mov_b32_e32 v3, v53
	s_and_saveexec_b64 s[10:11], vcc
	s_cbranch_execz .LBB354_361
; %bb.353:
	v_lshrrev_b32_e32 v3, 7, v4
	v_add_u32_e32 v5, -1, v3
	v_lshrrev_b32_e32 v4, 1, v5
	v_mov_b32_e32 v7, v6
	v_add_u32_e32 v4, 1, v4
	v_cmp_lt_u32_e32 vcc, 13, v5
	v_mov_b32_e32 v9, 0
	s_and_saveexec_b64 s[16:17], vcc
	s_cbranch_execz .LBB354_357
; %bb.354:
	s_ashr_i32 s25, s24, 31
	s_lshl_b64 s[26:27], s[24:25], 2
	s_getpc_b64 s[28:29]
	s_add_u32 s28, s28, llvm.amdgcn.dynlds.offset.table@rel32@lo+4
	s_addc_u32 s29, s29, llvm.amdgcn.dynlds.offset.table@rel32@hi+12
	s_add_u32 s26, s26, s28
	s_addc_u32 s27, s27, s29
	s_load_dword s23, s[26:27], 0x0
	v_and_b32_e32 v5, -8, v4
	s_mov_b32 s15, 0
	s_mov_b64 s[26:27], 0
	s_waitcnt lgkmcnt(0)
	v_lshl_add_u32 v8, v53, 2, s23
.LBB354_355:                            ; =>This Inner Loop Header: Depth=1
	ds_read2st64_b32 v[10:11], v8 offset1:2
	ds_read2st64_b32 v[12:13], v8 offset0:4 offset1:6
	ds_read2st64_b32 v[20:21], v8 offset0:8 offset1:10
	;; [unrolled: 1-line block ×3, first 2 shown]
	v_add_u32_e32 v5, -8, v5
	s_waitcnt lgkmcnt(3)
	v_pk_mul_f32 v[10:11], v[6:7], v[10:11]
	s_waitcnt lgkmcnt(2)
	v_pk_mul_f32 v[12:13], v[6:7], v[12:13]
	ds_write2st64_b32 v8, v10, v11 offset1:2
	ds_write2st64_b32 v8, v12, v13 offset0:4 offset1:6
	ds_read2st64_b32 v[12:13], v8 offset0:16 offset1:18
	s_waitcnt lgkmcnt(4)
	v_pk_mul_f32 v[10:11], v[6:7], v[20:21]
	ds_write2st64_b32 v8, v10, v11 offset0:8 offset1:10
	s_waitcnt lgkmcnt(4)
	v_pk_mul_f32 v[10:11], v[6:7], v[16:17]
	ds_write2st64_b32 v8, v10, v11 offset0:12 offset1:14
	ds_read2st64_b32 v[10:11], v8 offset0:20 offset1:22
	s_waitcnt lgkmcnt(3)
	v_pk_mul_f32 v[12:13], v[6:7], v[12:13]
	ds_read2st64_b32 v[16:17], v8 offset0:24 offset1:26
	ds_write2st64_b32 v8, v12, v13 offset0:16 offset1:18
	ds_read2st64_b32 v[12:13], v8 offset0:28 offset1:30
	s_waitcnt lgkmcnt(3)
	v_pk_mul_f32 v[10:11], v[6:7], v[10:11]
	ds_write2st64_b32 v8, v10, v11 offset0:20 offset1:22
	s_waitcnt lgkmcnt(3)
	v_pk_mul_f32 v[10:11], v[6:7], v[16:17]
	ds_write2st64_b32 v8, v10, v11 offset0:24 offset1:26
	s_waitcnt lgkmcnt(2)
	v_pk_mul_f32 v[10:11], v[6:7], v[12:13]
	s_add_i32 s15, s15, 16
	v_cmp_eq_u32_e32 vcc, 0, v5
	ds_write2st64_b32 v8, v10, v11 offset0:28 offset1:30
	v_add_u32_e32 v8, 0x2000, v8
	s_or_b64 s[26:27], vcc, s[26:27]
	v_mov_b32_e32 v9, s15
	s_andn2_b64 exec, exec, s[26:27]
	s_cbranch_execnz .LBB354_355
; %bb.356:
	s_or_b64 exec, exec, s[26:27]
.LBB354_357:
	s_or_b64 exec, exec, s[16:17]
	v_and_b32_e32 v4, 7, v4
	v_cmp_ne_u32_e32 vcc, 0, v4
	s_and_saveexec_b64 s[16:17], vcc
	s_cbranch_execz .LBB354_360
; %bb.358:
	s_ashr_i32 s25, s24, 31
	s_lshl_b64 s[26:27], s[24:25], 2
	s_getpc_b64 s[28:29]
	s_add_u32 s28, s28, llvm.amdgcn.dynlds.offset.table@rel32@lo+4
	s_addc_u32 s29, s29, llvm.amdgcn.dynlds.offset.table@rel32@hi+12
	s_add_u32 s26, s26, s28
	s_addc_u32 s27, s27, s29
	s_load_dword s15, s[26:27], 0x0
	v_lshlrev_b32_e32 v5, 9, v9
	v_lshlrev_b32_e32 v8, 2, v53
	s_mov_b64 s[26:27], 0
	s_waitcnt lgkmcnt(0)
	v_add3_u32 v5, v5, v8, s15
.LBB354_359:                            ; =>This Inner Loop Header: Depth=1
	ds_read2st64_b32 v[8:9], v5 offset1:2
	v_add_u32_e32 v4, -1, v4
	v_cmp_eq_u32_e32 vcc, 0, v4
	s_or_b64 s[26:27], vcc, s[26:27]
	s_waitcnt lgkmcnt(0)
	v_pk_mul_f32 v[8:9], v[6:7], v[8:9]
	ds_write2st64_b32 v5, v8, v9 offset1:2
	v_add_u32_e32 v5, 0x400, v5
	s_andn2_b64 exec, exec, s[26:27]
	s_cbranch_execnz .LBB354_359
.LBB354_360:
	s_or_b64 exec, exec, s[16:17]
	v_add_u32_e32 v4, 1, v3
	v_and_b32_e32 v5, 0x3fffffe, v4
	v_cmp_ne_u32_e32 vcc, v4, v5
	v_lshl_add_u32 v3, v5, 7, v53
	s_orn2_b64 s[16:17], vcc, exec
.LBB354_361:
	s_or_b64 exec, exec, s[10:11]
	s_and_b64 s[10:11], exec, s[16:17]
	v_accvgpr_read_b32 v8, a15
	s_mov_b64 exec, s[10:11]
	s_cbranch_execz .LBB354_364
; %bb.362:
	s_ashr_i32 s25, s24, 31
	s_lshl_b64 s[10:11], s[24:25], 2
	s_getpc_b64 s[16:17]
	s_add_u32 s16, s16, llvm.amdgcn.dynlds.offset.table@rel32@lo+4
	s_addc_u32 s17, s17, llvm.amdgcn.dynlds.offset.table@rel32@hi+12
	s_add_u32 s10, s10, s16
	s_addc_u32 s11, s11, s17
	s_load_dword s10, s[10:11], 0x0
	s_waitcnt lgkmcnt(0)
	v_lshl_add_u32 v4, v3, 2, s10
	s_mov_b64 s[10:11], 0
.LBB354_363:                            ; =>This Inner Loop Header: Depth=1
	ds_read_b32 v5, v4
	v_add_u32_e32 v3, 0x80, v3
	v_cmp_ge_i32_e32 vcc, v3, v1
	s_or_b64 s[10:11], vcc, s[10:11]
	s_waitcnt lgkmcnt(0)
	v_mul_f32_e32 v5, v6, v5
	ds_write_b32 v4, v5
	v_add_u32_e32 v4, 0x200, v4
	s_andn2_b64 exec, exec, s[10:11]
	s_cbranch_execnz .LBB354_363
.LBB354_364:
	s_or_b64 exec, exec, s[8:9]
	v_cmp_ne_u16_e64 s[8:9], s30, 0
	s_cmp_lg_u64 s[8:9], 0
	s_addc_u32 s23, s13, 0
	v_cmp_eq_u32_e32 vcc, 0, v53
	s_waitcnt lgkmcnt(0)
	s_barrier
	s_and_saveexec_b64 s[8:9], vcc
	s_cbranch_execz .LBB354_366
; %bb.365:
	s_mul_i32 s10, s23, s20
	s_mul_i32 s10, s10, s21
	;; [unrolled: 1-line block ×3, first 2 shown]
	s_ashr_i32 s11, s10, 31
	s_ashr_i32 s13, s12, 31
	s_ashr_i32 s15, s14, 31
	s_lshl_b64 s[10:11], s[10:11], 2
	s_lshl_b64 s[12:13], s[12:13], 2
	;; [unrolled: 1-line block ×3, first 2 shown]
	s_add_u32 s12, s16, s12
	s_addc_u32 s13, s17, s13
	s_add_u32 s10, s12, s10
	s_addc_u32 s11, s13, s11
	v_mov_b32_e32 v1, s11
	v_add_co_u32_e32 v4, vcc, s10, v27
	v_addc_co_u32_e32 v5, vcc, v1, v26, vcc
	flat_store_dword v[4:5], v0
	v_add_co_u32_e32 v0, vcc, s10, v25
	v_addc_co_u32_e32 v1, vcc, v1, v24, vcc
	flat_store_dword v[0:1], v2
.LBB354_366:
	s_or_b64 exec, exec, s[8:9]
	s_ashr_i32 s25, s24, 31
	s_lshl_b64 s[8:9], s[24:25], 2
	s_getpc_b64 s[10:11]
	s_add_u32 s10, s10, llvm.amdgcn.dynlds.offset.table@rel32@lo+4
	s_addc_u32 s11, s11, llvm.amdgcn.dynlds.offset.table@rel32@hi+12
	s_add_u32 s12, s8, s10
	s_addc_u32 s13, s9, s11
	s_mov_b32 s8, 0
	v_mov_b32_e32 v3, 0
	v_and_b32_e32 v9, 1, v53
	v_mov_b32_e32 v2, 0
	v_mov_b32_e32 v1, 0
	;; [unrolled: 1-line block ×3, first 2 shown]
	s_and_saveexec_b64 s[16:17], s[6:7]
	s_cbranch_execz .LBB354_860
; %bb.367:
	v_lshlrev_b32_e32 v0, 3, v53
	v_and_b32_e32 v1, 8, v0
	v_max_i32_e32 v30, v30, v32
	v_accvgpr_write_b32 a17, v1
	v_cvt_f32_u32_e32 v1, v30
	v_add_u32_e32 v4, -1, v31
	v_add_co_u32_e32 v2, vcc, v22, v23
	v_rcp_iflag_f32_e32 v1, v1
	v_accvgpr_write_b32 a18, v4
	v_sub_u32_e32 v4, 0, v30
	v_addc_co_u32_e32 v3, vcc, v19, v29, vcc
	v_mul_f32_e32 v1, 0x4f7ffffe, v1
	v_cvt_u32_f32_e32 v1, v1
	v_and_b32_e32 v0, 0x1f8, v0
	v_add_co_u32_e32 v0, vcc, v2, v0
	v_mul_lo_u32 v4, v4, v1
	v_mul_hi_u32 v4, v1, v4
	v_add_u32_e32 v4, v1, v4
	v_addc_co_u32_e32 v1, vcc, 0, v3, vcc
	v_accvgpr_write_b32 a23, v1
	v_accvgpr_write_b32 a22, v0
	v_accvgpr_read_b32 v0, a12
	v_accvgpr_read_b32 v1, a13
	s_load_dword s6, s[12:13], 0x0
	v_lshlrev_b64 v[0:1], 2, v[0:1]
	v_accvgpr_read_b32 v2, a26
	v_accvgpr_read_b32 v3, a27
	v_add_co_u32_e32 v0, vcc, v2, v0
	v_addc_co_u32_e32 v1, vcc, v3, v1, vcc
	v_add_co_u32_e32 v14, vcc, v14, v0
	v_lshlrev_b32_e32 v0, 5, v9
	v_lshl_or_b32 v0, v28, 6, v0
	s_mov_b32 s9, s8
	s_mov_b32 s24, -1
	v_addc_co_u32_e32 v15, vcc, v15, v1, vcc
	s_waitcnt lgkmcnt(0)
	v_add_u32_e32 v29, s6, v0
	s_mov_b32 s10, s8
	s_mov_b32 s11, s8
	v_pk_mov_b32 v[0:1], s[8:9], s[8:9] op_sel:[0,1]
	v_accvgpr_write_b32 a15, v18
	s_mov_b32 s25, 0xffffff
	v_mov_b32_e32 v17, 0
	v_accvgpr_write_b32 a20, v4
	v_accvgpr_write_b32 a16, v9
	s_mov_b64 s[26:27], 0
	v_pk_mov_b32 v[2:3], s[10:11], s[10:11] op_sel:[0,1]
	s_mov_b32 s15, 0x7f800000
	s_movk_i32 s34, 0x7fff
	s_movk_i32 s35, 0x80
	;; [unrolled: 1-line block ×3, first 2 shown]
	v_bfrev_b32_e32 v51, 60
	s_branch .LBB354_370
.LBB354_368:                            ;   in Loop: Header=BB354_370 Depth=1
	s_or_b64 exec, exec, s[6:7]
	v_and_b32_e32 v48, 0xffff0000, v5
	v_and_b32_e32 v5, 0xffff0000, v39
	;; [unrolled: 1-line block ×8, first 2 shown]
	v_pk_add_f32 v[12:13], v[12:13], v[38:39]
	v_pk_add_f32 v[4:5], v[4:5], v[48:49]
	v_add_f32_e32 v12, v12, v13
	v_add_f32_e32 v4, v12, v4
	;; [unrolled: 1-line block ×3, first 2 shown]
	v_and_b32_e32 v5, 0xffff0000, v18
	v_and_b32_e32 v12, 0xffff0000, v32
	;; [unrolled: 1-line block ×6, first 2 shown]
	v_add_f32_e32 v0, v0, v4
	v_and_b32_e32 v4, 0xffff0000, v34
	v_and_b32_e32 v13, 0xffff0000, v35
	v_pk_add_f32 v[18:19], v[32:33], v[18:19]
	v_pk_add_f32 v[4:5], v[12:13], v[4:5]
	v_add_f32_e32 v12, v18, v19
	v_add_f32_e32 v4, v12, v4
	;; [unrolled: 1-line block ×3, first 2 shown]
	v_and_b32_e32 v5, 0xffff0000, v26
	v_and_b32_e32 v19, 0xffff0000, v27
	;; [unrolled: 1-line block ×5, first 2 shown]
	v_add_f32_e32 v1, v1, v4
	v_and_b32_e32 v4, 0xffff0000, v46
	v_and_b32_e32 v13, 0xffff0000, v47
	;; [unrolled: 1-line block ×3, first 2 shown]
	v_pk_add_f32 v[18:19], v[26:27], v[18:19]
	v_pk_add_f32 v[4:5], v[12:13], v[4:5]
	v_add_f32_e32 v9, v18, v19
	v_add_f32_e32 v4, v9, v4
	;; [unrolled: 1-line block ×3, first 2 shown]
	v_and_b32_e32 v13, 0xffff0000, v20
	v_and_b32_e32 v12, 0xffff0000, v7
	;; [unrolled: 1-line block ×4, first 2 shown]
	v_add_f32_e32 v2, v2, v4
	v_and_b32_e32 v5, 0xffff0000, v8
	v_and_b32_e32 v4, 0xffff0000, v24
	;; [unrolled: 1-line block ×4, first 2 shown]
	v_pk_add_f32 v[6:7], v[6:7], v[12:13]
	v_pk_add_f32 v[4:5], v[8:9], v[4:5]
	v_add_f32_e32 v6, v6, v7
	v_add_f32_e32 v4, v6, v4
	;; [unrolled: 1-line block ×4, first 2 shown]
.LBB354_369:                            ;   in Loop: Header=BB354_370 Depth=1
	s_or_b64 exec, exec, s[8:9]
	v_accvgpr_read_b32 v6, a12
	v_add_co_u32_e32 v14, vcc, 8, v14
	v_add_u32_e32 v6, 2, v6
	v_addc_co_u32_e32 v15, vcc, 0, v15, vcc
	v_accvgpr_read_b32 v4, a11
	v_accvgpr_read_b32 v8, a13
	v_cmp_ge_i32_e32 vcc, v6, v4
	v_add_u32_e32 v8, 32, v8
	v_accvgpr_write_b32 a12, v6
	s_or_b64 s[26:27], vcc, s[26:27]
	v_add_u32_e32 v29, 0x80, v29
	s_andn2_b64 exec, exec, s[26:27]
	s_cbranch_execz .LBB354_859
.LBB354_370:                            ; =>This Inner Loop Header: Depth=1
	v_ashrrev_i32_e32 v4, 31, v8
	v_accvgpr_read_b32 v5, a9
	v_xor_b32_e32 v4, v4, v5
	v_sub_u32_e32 v5, 0, v8
	v_max_i32_e32 v5, v8, v5
	v_accvgpr_read_b32 v6, a8
	v_accvgpr_write_b32 a13, v8
	v_mul_hi_u32 v6, v5, v6
	v_accvgpr_read_b32 v8, a7
	v_mul_lo_u32 v7, v6, v8
	v_sub_u32_e32 v5, v5, v7
	v_add_u32_e32 v7, 1, v6
	v_cmp_ge_u32_e32 vcc, v5, v8
	v_cndmask_b32_e32 v6, v6, v7, vcc
	v_sub_u32_e32 v7, v5, v8
	v_cndmask_b32_e32 v5, v5, v7, vcc
	v_add_u32_e32 v7, 1, v6
	v_cmp_ge_u32_e32 vcc, v5, v8
	v_cndmask_b32_e32 v5, v6, v7, vcc
	v_xor_b32_e32 v5, v5, v4
	v_sub_u32_e32 v4, v5, v4
	v_accvgpr_read_b32 v6, a10
	v_add_u32_e32 v5, v4, v6
	v_sub_u32_e32 v7, 0, v5
	v_ashrrev_i32_e32 v6, 31, v5
	v_max_i32_e32 v5, v5, v7
	v_accvgpr_read_b32 v8, a20
	v_mul_hi_u32 v7, v5, v8
	v_mul_lo_u32 v7, v7, v30
	v_sub_u32_e32 v5, v5, v7
	v_sub_u32_e32 v7, v5, v30
	v_cmp_ge_u32_e32 vcc, v5, v30
	v_cndmask_b32_e32 v5, v5, v7, vcc
	v_sub_u32_e32 v7, v5, v30
	v_cmp_ge_u32_e32 vcc, v5, v30
	v_cndmask_b32_e32 v5, v5, v7, vcc
	v_xor_b32_e32 v5, v5, v6
	v_sub_u32_e32 v5, v5, v6
	v_cmp_eq_u32_e32 vcc, 0, v5
	v_accvgpr_read_b32 v5, a14
	v_cmp_gt_i32_e64 s[6:7], v4, v5
	s_or_b64 s[6:7], vcc, s[6:7]
	s_and_saveexec_b64 s[8:9], s[6:7]
	s_cbranch_execz .LBB354_369
; %bb.371:                              ;   in Loop: Header=BB354_370 Depth=1
	flat_load_dword v16, v[14:15]
	ds_read2_b64 v[10:13], v29 offset1:1
	ds_read2_b64 v[6:9], v29 offset0:2 offset1:3
                                        ; implicit-def: $vgpr31
	s_waitcnt lgkmcnt(0)
	v_and_b32_e32 v4, 0x7f800000, v10
	v_cmp_ne_u32_e32 vcc, s15, v4
	s_and_saveexec_b64 s[6:7], vcc
	s_xor_b64 s[6:7], exec, s[6:7]
; %bb.372:                              ;   in Loop: Header=BB354_370 Depth=1
	v_bfe_u32 v4, v10, 16, 1
	v_add3_u32 v31, v10, v4, s34
; %bb.373:                              ;   in Loop: Header=BB354_370 Depth=1
	s_andn2_saveexec_b64 s[6:7], s[6:7]
; %bb.374:                              ;   in Loop: Header=BB354_370 Depth=1
	v_or_b32_e32 v4, 0x10000, v10
	v_cmp_eq_u32_sdwa vcc, v10, v17 src0_sel:WORD_0 src1_sel:DWORD
	v_cndmask_b32_e32 v31, v4, v10, vcc
; %bb.375:                              ;   in Loop: Header=BB354_370 Depth=1
	s_or_b64 exec, exec, s[6:7]
	v_and_b32_e32 v4, 0x7f800000, v11
	v_cmp_ne_u32_e32 vcc, s15, v4
                                        ; implicit-def: $vgpr27
	s_and_saveexec_b64 s[6:7], vcc
	s_xor_b64 s[6:7], exec, s[6:7]
; %bb.376:                              ;   in Loop: Header=BB354_370 Depth=1
	v_bfe_u32 v4, v11, 16, 1
	v_add3_u32 v27, v11, v4, s34
; %bb.377:                              ;   in Loop: Header=BB354_370 Depth=1
	s_andn2_saveexec_b64 s[6:7], s[6:7]
; %bb.378:                              ;   in Loop: Header=BB354_370 Depth=1
	v_or_b32_e32 v4, 0x10000, v11
	v_cmp_eq_u32_sdwa vcc, v11, v17 src0_sel:WORD_0 src1_sel:DWORD
	v_cndmask_b32_e32 v27, v4, v11, vcc
; %bb.379:                              ;   in Loop: Header=BB354_370 Depth=1
	s_or_b64 exec, exec, s[6:7]
	v_and_b32_e32 v4, 0x7f800000, v12
	v_cmp_ne_u32_e32 vcc, s15, v4
                                        ; implicit-def: $vgpr26
	s_and_saveexec_b64 s[6:7], vcc
	s_xor_b64 s[6:7], exec, s[6:7]
; %bb.380:                              ;   in Loop: Header=BB354_370 Depth=1
	v_bfe_u32 v4, v12, 16, 1
	v_add3_u32 v26, v12, v4, s34
; %bb.381:                              ;   in Loop: Header=BB354_370 Depth=1
	s_andn2_saveexec_b64 s[6:7], s[6:7]
; %bb.382:                              ;   in Loop: Header=BB354_370 Depth=1
	v_or_b32_e32 v4, 0x10000, v12
	v_cmp_eq_u32_sdwa vcc, v12, v17 src0_sel:WORD_0 src1_sel:DWORD
	v_cndmask_b32_e32 v26, v4, v12, vcc
; %bb.383:                              ;   in Loop: Header=BB354_370 Depth=1
	s_or_b64 exec, exec, s[6:7]
	v_and_b32_e32 v4, 0x7f800000, v13
	v_cmp_ne_u32_e32 vcc, s15, v4
                                        ; implicit-def: $vgpr21
	s_and_saveexec_b64 s[6:7], vcc
	s_xor_b64 s[6:7], exec, s[6:7]
; %bb.384:                              ;   in Loop: Header=BB354_370 Depth=1
	v_bfe_u32 v4, v13, 16, 1
	v_add3_u32 v21, v13, v4, s34
                                        ; implicit-def: $vgpr10_vgpr11_vgpr12_vgpr13
; %bb.385:                              ;   in Loop: Header=BB354_370 Depth=1
	s_andn2_saveexec_b64 s[6:7], s[6:7]
; %bb.386:                              ;   in Loop: Header=BB354_370 Depth=1
	v_or_b32_e32 v4, 0x10000, v13
	v_cmp_eq_u32_sdwa vcc, v13, v17 src0_sel:WORD_0 src1_sel:DWORD
	v_cndmask_b32_e32 v21, v4, v13, vcc
; %bb.387:                              ;   in Loop: Header=BB354_370 Depth=1
	s_or_b64 exec, exec, s[6:7]
	v_and_b32_e32 v4, 0x7f800000, v6
	v_cmp_ne_u32_e32 vcc, s15, v4
                                        ; implicit-def: $vgpr4
	s_and_saveexec_b64 s[6:7], vcc
	s_xor_b64 s[6:7], exec, s[6:7]
; %bb.388:                              ;   in Loop: Header=BB354_370 Depth=1
	v_bfe_u32 v4, v6, 16, 1
	v_add3_u32 v4, v6, v4, s34
; %bb.389:                              ;   in Loop: Header=BB354_370 Depth=1
	s_andn2_saveexec_b64 s[6:7], s[6:7]
; %bb.390:                              ;   in Loop: Header=BB354_370 Depth=1
	v_or_b32_e32 v4, 0x10000, v6
	v_cmp_eq_u32_sdwa vcc, v6, v17 src0_sel:WORD_0 src1_sel:DWORD
	v_cndmask_b32_e32 v4, v4, v6, vcc
; %bb.391:                              ;   in Loop: Header=BB354_370 Depth=1
	s_or_b64 exec, exec, s[6:7]
	v_and_b32_e32 v5, 0x7f800000, v7
	v_cmp_ne_u32_e32 vcc, s15, v5
                                        ; implicit-def: $vgpr5
	s_and_saveexec_b64 s[6:7], vcc
	s_xor_b64 s[6:7], exec, s[6:7]
; %bb.392:                              ;   in Loop: Header=BB354_370 Depth=1
	v_bfe_u32 v5, v7, 16, 1
	v_add3_u32 v5, v7, v5, s34
; %bb.393:                              ;   in Loop: Header=BB354_370 Depth=1
	s_andn2_saveexec_b64 s[6:7], s[6:7]
; %bb.394:                              ;   in Loop: Header=BB354_370 Depth=1
	v_or_b32_e32 v5, 0x10000, v7
	v_cmp_eq_u32_sdwa vcc, v7, v17 src0_sel:WORD_0 src1_sel:DWORD
	v_cndmask_b32_e32 v5, v5, v7, vcc
; %bb.395:                              ;   in Loop: Header=BB354_370 Depth=1
	s_or_b64 exec, exec, s[6:7]
	v_and_b32_e32 v6, 0x7f800000, v8
	v_cmp_ne_u32_e32 vcc, s15, v6
                                        ; implicit-def: $vgpr19
	s_and_saveexec_b64 s[6:7], vcc
	s_xor_b64 s[6:7], exec, s[6:7]
; %bb.396:                              ;   in Loop: Header=BB354_370 Depth=1
	v_bfe_u32 v6, v8, 16, 1
	v_add3_u32 v19, v8, v6, s34
; %bb.397:                              ;   in Loop: Header=BB354_370 Depth=1
	s_andn2_saveexec_b64 s[6:7], s[6:7]
; %bb.398:                              ;   in Loop: Header=BB354_370 Depth=1
	v_or_b32_e32 v6, 0x10000, v8
	v_cmp_eq_u32_sdwa vcc, v8, v17 src0_sel:WORD_0 src1_sel:DWORD
	v_cndmask_b32_e32 v19, v6, v8, vcc
; %bb.399:                              ;   in Loop: Header=BB354_370 Depth=1
	s_or_b64 exec, exec, s[6:7]
	v_and_b32_e32 v6, 0x7f800000, v9
	v_cmp_ne_u32_e32 vcc, s15, v6
                                        ; implicit-def: $vgpr18
	s_and_saveexec_b64 s[6:7], vcc
	s_xor_b64 s[6:7], exec, s[6:7]
; %bb.400:                              ;   in Loop: Header=BB354_370 Depth=1
	v_bfe_u32 v6, v9, 16, 1
	v_add3_u32 v18, v9, v6, s34
                                        ; implicit-def: $vgpr6_vgpr7_vgpr8_vgpr9
; %bb.401:                              ;   in Loop: Header=BB354_370 Depth=1
	s_andn2_saveexec_b64 s[6:7], s[6:7]
; %bb.402:                              ;   in Loop: Header=BB354_370 Depth=1
	v_or_b32_e32 v6, 0x10000, v9
	v_cmp_eq_u32_sdwa vcc, v9, v17 src0_sel:WORD_0 src1_sel:DWORD
	v_cndmask_b32_e32 v18, v6, v9, vcc
; %bb.403:                              ;   in Loop: Header=BB354_370 Depth=1
	s_or_b64 exec, exec, s[6:7]
	v_accvgpr_read_b32 v8, a22
	v_accvgpr_read_b32 v6, a6
	;; [unrolled: 1-line block ×3, first 2 shown]
	s_waitcnt vmcnt(0)
	v_mad_i64_i32 v[6:7], s[6:7], v16, v6, v[8:9]
	flat_load_dwordx2 v[8:9], v[6:7]
	flat_load_dword v11, v[54:55]
	v_mov_b32_e32 v10, 0
	s_waitcnt vmcnt(0) lgkmcnt(0)
	v_cmp_ne_u16_sdwa s[10:11], v8, v17 src0_sel:BYTE_0 src1_sel:DWORD
	s_and_saveexec_b64 s[6:7], s[10:11]
	s_cbranch_execz .LBB354_409
; %bb.404:                              ;   in Loop: Header=BB354_370 Depth=1
	v_cmp_ne_u16_sdwa s[28:29], v8, s35 src0_sel:BYTE_0 src1_sel:DWORD
	v_bfrev_b32_e32 v10, 1
	s_and_saveexec_b64 s[10:11], s[28:29]
	s_cbranch_execz .LBB354_408
; %bb.405:                              ;   in Loop: Header=BB354_370 Depth=1
	v_and_b32_e32 v12, 0x7f, v8
	v_cmp_ne_u32_e32 vcc, s36, v12
	v_mov_b32_e32 v10, 0x7f800001
	s_and_saveexec_b64 s[28:29], vcc
	s_cbranch_execz .LBB354_407
; %bb.406:                              ;   in Loop: Header=BB354_370 Depth=1
	v_and_b32_e32 v10, 7, v8
	v_ffbh_u32_e32 v10, v10
	v_min_u32_e32 v10, 32, v10
	v_subrev_u32_e32 v16, 28, v10
	v_cmp_gt_u32_e32 vcc, 8, v12
	v_lshrrev_b32_e32 v13, 3, v12
	v_sub_u32_e32 v10, 29, v10
	v_cndmask_b32_e32 v12, 0, v16, vcc
	v_cndmask_b32_e32 v10, v13, v10, vcc
	v_lshlrev_b64 v[12:13], v12, v[8:9]
	v_lshlrev_b32_e32 v12, 20, v12
	v_lshlrev_b32_e32 v13, 24, v8
	v_and_b32_e32 v12, 0x700000, v12
	v_and_b32_e32 v13, 0x80000000, v13
	v_lshl_add_u32 v10, v10, 23, v51
	v_or3_b32 v10, v13, v10, v12
.LBB354_407:                            ;   in Loop: Header=BB354_370 Depth=1
	s_or_b64 exec, exec, s[28:29]
.LBB354_408:                            ;   in Loop: Header=BB354_370 Depth=1
	s_or_b64 exec, exec, s[10:11]
.LBB354_409:                            ;   in Loop: Header=BB354_370 Depth=1
	s_or_b64 exec, exec, s[6:7]
	v_mul_f32_e32 v10, v11, v10
	v_and_b32_e32 v12, 0x7f800000, v10
	v_cmp_ne_u32_e32 vcc, s15, v12
                                        ; implicit-def: $vgpr12
	s_and_saveexec_b64 s[6:7], vcc
	s_xor_b64 s[6:7], exec, s[6:7]
; %bb.410:                              ;   in Loop: Header=BB354_370 Depth=1
	v_bfe_u32 v12, v10, 16, 1
	v_add3_u32 v12, v10, v12, s34
                                        ; implicit-def: $vgpr10
; %bb.411:                              ;   in Loop: Header=BB354_370 Depth=1
	s_andn2_saveexec_b64 s[6:7], s[6:7]
; %bb.412:                              ;   in Loop: Header=BB354_370 Depth=1
	v_or_b32_e32 v12, 0x10000, v10
	v_cmp_eq_u32_sdwa vcc, v10, v17 src0_sel:WORD_0 src1_sel:DWORD
	v_cndmask_b32_e32 v12, v12, v10, vcc
; %bb.413:                              ;   in Loop: Header=BB354_370 Depth=1
	s_or_b64 exec, exec, s[6:7]
	v_lshrrev_b16_e32 v10, 8, v8
	v_cmp_ne_u16_e32 vcc, 0, v10
	v_mov_b32_e32 v13, 0
	s_and_saveexec_b64 s[6:7], vcc
	s_cbranch_execz .LBB354_419
; %bb.414:                              ;   in Loop: Header=BB354_370 Depth=1
	v_cmp_ne_u16_e32 vcc, s35, v10
	v_bfrev_b32_e32 v13, 1
	s_and_saveexec_b64 s[10:11], vcc
	s_cbranch_execz .LBB354_418
; %bb.415:                              ;   in Loop: Header=BB354_370 Depth=1
	v_and_b32_e32 v16, 0x7f, v10
	v_cmp_ne_u32_e32 vcc, s36, v16
	v_mov_b32_e32 v13, 0x7f800001
	s_and_saveexec_b64 s[28:29], vcc
	s_cbranch_execz .LBB354_417
; %bb.416:                              ;   in Loop: Header=BB354_370 Depth=1
	v_and_b32_e32 v13, 7, v10
	v_ffbh_u32_e32 v22, v13
	v_min_u32_e32 v22, 32, v22
	v_subrev_u32_e32 v23, 28, v22
	v_lshlrev_b64 v[24:25], v23, v[10:11]
	v_lshrrev_b32_e32 v20, 3, v16
	v_sub_u32_e32 v10, 29, v22
	v_and_b32_e32 v22, 7, v24
	v_cmp_gt_u32_e32 vcc, 8, v16
	v_cndmask_b32_e32 v10, v20, v10, vcc
	v_cndmask_b32_e32 v13, v13, v22, vcc
	v_lshlrev_b32_e32 v16, 16, v8
	v_lshlrev_b32_e32 v13, 20, v13
	v_and_b32_e32 v16, 0x80000000, v16
	v_lshl_add_u32 v10, v10, 23, v51
	v_or3_b32 v13, v16, v10, v13
.LBB354_417:                            ;   in Loop: Header=BB354_370 Depth=1
	s_or_b64 exec, exec, s[28:29]
.LBB354_418:                            ;   in Loop: Header=BB354_370 Depth=1
	s_or_b64 exec, exec, s[10:11]
.LBB354_419:                            ;   in Loop: Header=BB354_370 Depth=1
	s_or_b64 exec, exec, s[6:7]
	v_mul_f32_e32 v10, v11, v13
	v_and_b32_e32 v13, 0x7f800000, v10
	v_cmp_ne_u32_e32 vcc, s15, v13
                                        ; implicit-def: $vgpr13
	s_and_saveexec_b64 s[6:7], vcc
	s_xor_b64 s[6:7], exec, s[6:7]
; %bb.420:                              ;   in Loop: Header=BB354_370 Depth=1
	v_bfe_u32 v13, v10, 16, 1
	v_add3_u32 v13, v10, v13, s34
                                        ; implicit-def: $vgpr10
; %bb.421:                              ;   in Loop: Header=BB354_370 Depth=1
	s_andn2_saveexec_b64 s[6:7], s[6:7]
; %bb.422:                              ;   in Loop: Header=BB354_370 Depth=1
	v_or_b32_e32 v13, 0x10000, v10
	v_cmp_eq_u32_sdwa vcc, v10, v17 src0_sel:WORD_0 src1_sel:DWORD
	v_cndmask_b32_e32 v13, v13, v10, vcc
; %bb.423:                              ;   in Loop: Header=BB354_370 Depth=1
	s_or_b64 exec, exec, s[6:7]
	v_lshrrev_b32_e32 v10, 16, v8
	v_cmp_ne_u16_sdwa s[10:11], v10, v17 src0_sel:BYTE_0 src1_sel:DWORD
	v_mov_b32_e32 v16, 0
	s_and_saveexec_b64 s[6:7], s[10:11]
	s_cbranch_execz .LBB354_429
; %bb.424:                              ;   in Loop: Header=BB354_370 Depth=1
	v_cmp_ne_u16_sdwa s[28:29], v10, s35 src0_sel:BYTE_0 src1_sel:DWORD
	v_bfrev_b32_e32 v16, 1
	s_and_saveexec_b64 s[10:11], s[28:29]
	s_cbranch_execz .LBB354_428
; %bb.425:                              ;   in Loop: Header=BB354_370 Depth=1
	v_bfe_u32 v20, v8, 16, 7
	v_cmp_ne_u32_e32 vcc, s36, v20
	v_mov_b32_e32 v16, 0x7f800001
	s_and_saveexec_b64 s[28:29], vcc
	s_cbranch_execz .LBB354_427
; %bb.426:                              ;   in Loop: Header=BB354_370 Depth=1
	v_and_b32_e32 v16, 7, v10
	v_ffbh_u32_e32 v23, v16
	v_min_u32_e32 v23, 32, v23
	v_subrev_u32_e32 v24, 28, v23
	v_lshlrev_b64 v[24:25], v24, v[10:11]
	v_lshrrev_b32_e32 v22, 3, v20
	v_sub_u32_e32 v23, 29, v23
	v_and_b32_e32 v24, 7, v24
	v_cmp_gt_u32_e32 vcc, 8, v20
	v_cndmask_b32_e32 v20, v22, v23, vcc
	v_cndmask_b32_e32 v16, v16, v24, vcc
	v_lshlrev_b32_e32 v10, 24, v10
	v_lshlrev_b32_e32 v16, 20, v16
	v_and_b32_e32 v10, 0x80000000, v10
	v_lshl_add_u32 v20, v20, 23, v51
	v_or3_b32 v16, v10, v20, v16
.LBB354_427:                            ;   in Loop: Header=BB354_370 Depth=1
	s_or_b64 exec, exec, s[28:29]
.LBB354_428:                            ;   in Loop: Header=BB354_370 Depth=1
	s_or_b64 exec, exec, s[10:11]
.LBB354_429:                            ;   in Loop: Header=BB354_370 Depth=1
	s_or_b64 exec, exec, s[6:7]
	v_mul_f32_e32 v10, v11, v16
	v_and_b32_e32 v16, 0x7f800000, v10
	v_cmp_ne_u32_e32 vcc, s15, v16
                                        ; implicit-def: $vgpr20
	s_and_saveexec_b64 s[6:7], vcc
	s_xor_b64 s[6:7], exec, s[6:7]
; %bb.430:                              ;   in Loop: Header=BB354_370 Depth=1
	v_bfe_u32 v16, v10, 16, 1
	v_add3_u32 v20, v10, v16, s34
                                        ; implicit-def: $vgpr10
; %bb.431:                              ;   in Loop: Header=BB354_370 Depth=1
	s_andn2_saveexec_b64 s[6:7], s[6:7]
; %bb.432:                              ;   in Loop: Header=BB354_370 Depth=1
	v_or_b32_e32 v16, 0x10000, v10
	v_cmp_eq_u32_sdwa vcc, v10, v17 src0_sel:WORD_0 src1_sel:DWORD
	v_cndmask_b32_e32 v20, v16, v10, vcc
; %bb.433:                              ;   in Loop: Header=BB354_370 Depth=1
	s_or_b64 exec, exec, s[6:7]
	v_cmp_lt_u32_e32 vcc, s25, v8
	v_mov_b32_e32 v16, 0
	s_and_saveexec_b64 s[6:7], vcc
	s_cbranch_execz .LBB354_439
; %bb.434:                              ;   in Loop: Header=BB354_370 Depth=1
	v_lshrrev_b32_e32 v10, 24, v8
	v_cmp_ne_u32_e32 vcc, s35, v10
	v_bfrev_b32_e32 v16, 1
	s_and_saveexec_b64 s[10:11], vcc
	s_cbranch_execz .LBB354_438
; %bb.435:                              ;   in Loop: Header=BB354_370 Depth=1
	v_bfe_u32 v22, v8, 24, 7
	v_cmp_ne_u32_e32 vcc, s36, v22
	v_mov_b32_e32 v16, 0x7f800001
	s_and_saveexec_b64 s[28:29], vcc
	s_cbranch_execz .LBB354_437
; %bb.436:                              ;   in Loop: Header=BB354_370 Depth=1
	v_and_b32_e32 v16, 7, v10
	v_ffbh_u32_e32 v24, v16
	v_min_u32_e32 v28, 32, v24
	v_subrev_u32_e32 v24, 28, v28
	v_lshlrev_b64 v[24:25], v24, v[10:11]
	v_lshrrev_b32_e32 v23, 3, v22
	v_sub_u32_e32 v25, 29, v28
	v_and_b32_e32 v24, 7, v24
	v_cmp_gt_u32_e32 vcc, 8, v22
	v_cndmask_b32_e32 v22, v23, v25, vcc
	v_cndmask_b32_e32 v16, v16, v24, vcc
	v_lshlrev_b32_e32 v10, 24, v10
	v_lshlrev_b32_e32 v16, 20, v16
	v_and_b32_e32 v10, 0x80000000, v10
	v_lshl_add_u32 v22, v22, 23, v51
	v_or3_b32 v16, v10, v22, v16
.LBB354_437:                            ;   in Loop: Header=BB354_370 Depth=1
	s_or_b64 exec, exec, s[28:29]
.LBB354_438:                            ;   in Loop: Header=BB354_370 Depth=1
	s_or_b64 exec, exec, s[10:11]
.LBB354_439:                            ;   in Loop: Header=BB354_370 Depth=1
	s_or_b64 exec, exec, s[6:7]
	v_mul_f32_e32 v10, v11, v16
	v_and_b32_e32 v16, 0x7f800000, v10
	v_cmp_ne_u32_e32 vcc, s15, v16
                                        ; implicit-def: $vgpr22
	s_and_saveexec_b64 s[6:7], vcc
	s_xor_b64 s[6:7], exec, s[6:7]
; %bb.440:                              ;   in Loop: Header=BB354_370 Depth=1
	v_bfe_u32 v16, v10, 16, 1
	v_add3_u32 v22, v10, v16, s34
                                        ; implicit-def: $vgpr10
; %bb.441:                              ;   in Loop: Header=BB354_370 Depth=1
	s_andn2_saveexec_b64 s[6:7], s[6:7]
; %bb.442:                              ;   in Loop: Header=BB354_370 Depth=1
	v_or_b32_e32 v16, 0x10000, v10
	v_cmp_eq_u32_sdwa vcc, v10, v17 src0_sel:WORD_0 src1_sel:DWORD
	v_cndmask_b32_e32 v22, v16, v10, vcc
; %bb.443:                              ;   in Loop: Header=BB354_370 Depth=1
	s_or_b64 exec, exec, s[6:7]
	v_mov_b32_e32 v16, v9
	v_cmp_ne_u16_sdwa s[10:11], v9, v17 src0_sel:BYTE_0 src1_sel:DWORD
	v_mov_b32_e32 v10, 0
	s_and_saveexec_b64 s[6:7], s[10:11]
	s_cbranch_execz .LBB354_449
; %bb.444:                              ;   in Loop: Header=BB354_370 Depth=1
	v_cmp_ne_u16_sdwa s[28:29], v9, s35 src0_sel:BYTE_0 src1_sel:DWORD
	v_bfrev_b32_e32 v10, 1
	s_and_saveexec_b64 s[10:11], s[28:29]
	s_cbranch_execz .LBB354_448
; %bb.445:                              ;   in Loop: Header=BB354_370 Depth=1
	v_and_b32_e32 v24, 0x7f, v9
	v_cmp_ne_u32_e32 vcc, s36, v24
	v_mov_b32_e32 v10, 0x7f800001
	s_and_saveexec_b64 s[28:29], vcc
	s_cbranch_execz .LBB354_447
; %bb.446:                              ;   in Loop: Header=BB354_370 Depth=1
	v_and_b32_e32 v10, 7, v9
	v_ffbh_u32_e32 v10, v10
	v_min_u32_e32 v10, 32, v10
	v_lshrrev_b32_e32 v23, 3, v24
	v_subrev_u32_e32 v25, 28, v10
	v_sub_u32_e32 v10, 29, v10
	v_cmp_gt_u32_e32 vcc, 8, v24
	v_cndmask_b32_e32 v10, v23, v10, vcc
	v_cndmask_b32_e32 v23, 0, v25, vcc
	v_lshlrev_b64 v[24:25], v23, v[16:17]
	v_lshlrev_b32_e32 v23, 20, v24
	v_lshlrev_b32_e32 v24, 24, v16
	v_and_b32_e32 v23, 0x700000, v23
	v_and_b32_e32 v24, 0x80000000, v24
	v_lshl_add_u32 v10, v10, 23, v51
	v_or3_b32 v10, v24, v10, v23
.LBB354_447:                            ;   in Loop: Header=BB354_370 Depth=1
	s_or_b64 exec, exec, s[28:29]
.LBB354_448:                            ;   in Loop: Header=BB354_370 Depth=1
	s_or_b64 exec, exec, s[10:11]
.LBB354_449:                            ;   in Loop: Header=BB354_370 Depth=1
	s_or_b64 exec, exec, s[6:7]
	v_mul_f32_e32 v10, v11, v10
	v_and_b32_e32 v23, 0x7f800000, v10
	v_cmp_ne_u32_e32 vcc, s15, v23
                                        ; implicit-def: $vgpr24
	s_and_saveexec_b64 s[6:7], vcc
	s_xor_b64 s[6:7], exec, s[6:7]
; %bb.450:                              ;   in Loop: Header=BB354_370 Depth=1
	v_bfe_u32 v23, v10, 16, 1
	v_add3_u32 v24, v10, v23, s34
                                        ; implicit-def: $vgpr10
; %bb.451:                              ;   in Loop: Header=BB354_370 Depth=1
	s_andn2_saveexec_b64 s[6:7], s[6:7]
; %bb.452:                              ;   in Loop: Header=BB354_370 Depth=1
	v_or_b32_e32 v23, 0x10000, v10
	v_cmp_eq_u32_sdwa vcc, v10, v17 src0_sel:WORD_0 src1_sel:DWORD
	v_cndmask_b32_e32 v24, v23, v10, vcc
; %bb.453:                              ;   in Loop: Header=BB354_370 Depth=1
	s_or_b64 exec, exec, s[6:7]
	v_lshrrev_b16_e32 v10, 8, v16
	v_cmp_ne_u16_e32 vcc, 0, v10
	v_mov_b32_e32 v25, 0
	s_and_saveexec_b64 s[6:7], vcc
	s_cbranch_execz .LBB354_459
; %bb.454:                              ;   in Loop: Header=BB354_370 Depth=1
	v_cmp_ne_u16_e32 vcc, s35, v10
	v_bfrev_b32_e32 v25, 1
	s_and_saveexec_b64 s[10:11], vcc
	s_cbranch_execz .LBB354_458
; %bb.455:                              ;   in Loop: Header=BB354_370 Depth=1
	v_and_b32_e32 v32, 0x7f, v10
	v_cmp_ne_u32_e32 vcc, s36, v32
	v_mov_b32_e32 v25, 0x7f800001
	s_and_saveexec_b64 s[28:29], vcc
	s_cbranch_execz .LBB354_457
; %bb.456:                              ;   in Loop: Header=BB354_370 Depth=1
	v_and_b32_e32 v23, 7, v10
	v_ffbh_u32_e32 v28, v23
	v_min_u32_e32 v28, 32, v28
	v_subrev_u32_e32 v33, 28, v28
	v_lshlrev_b64 v[34:35], v33, v[10:11]
	v_lshrrev_b32_e32 v25, 3, v32
	v_sub_u32_e32 v10, 29, v28
	v_and_b32_e32 v28, 7, v34
	v_cmp_gt_u32_e32 vcc, 8, v32
	v_cndmask_b32_e32 v10, v25, v10, vcc
	v_cndmask_b32_e32 v23, v23, v28, vcc
	v_lshlrev_b32_e32 v16, 16, v16
	v_lshlrev_b32_e32 v23, 20, v23
	v_and_b32_e32 v16, 0x80000000, v16
	v_lshl_add_u32 v10, v10, 23, v51
	v_or3_b32 v25, v16, v10, v23
.LBB354_457:                            ;   in Loop: Header=BB354_370 Depth=1
	s_or_b64 exec, exec, s[28:29]
.LBB354_458:                            ;   in Loop: Header=BB354_370 Depth=1
	s_or_b64 exec, exec, s[10:11]
.LBB354_459:                            ;   in Loop: Header=BB354_370 Depth=1
	s_or_b64 exec, exec, s[6:7]
	v_mul_f32_e32 v10, v11, v25
	v_and_b32_e32 v16, 0x7f800000, v10
	v_cmp_ne_u32_e32 vcc, s15, v16
                                        ; implicit-def: $vgpr16
	s_and_saveexec_b64 s[6:7], vcc
	s_xor_b64 s[6:7], exec, s[6:7]
; %bb.460:                              ;   in Loop: Header=BB354_370 Depth=1
	v_bfe_u32 v16, v10, 16, 1
	v_add3_u32 v16, v10, v16, s34
                                        ; implicit-def: $vgpr10
; %bb.461:                              ;   in Loop: Header=BB354_370 Depth=1
	s_andn2_saveexec_b64 s[6:7], s[6:7]
; %bb.462:                              ;   in Loop: Header=BB354_370 Depth=1
	v_or_b32_e32 v16, 0x10000, v10
	v_cmp_eq_u32_sdwa vcc, v10, v17 src0_sel:WORD_0 src1_sel:DWORD
	v_cndmask_b32_e32 v16, v16, v10, vcc
; %bb.463:                              ;   in Loop: Header=BB354_370 Depth=1
	s_or_b64 exec, exec, s[6:7]
	v_lshrrev_b32_e32 v10, 16, v9
	v_cmp_ne_u16_sdwa s[10:11], v10, v17 src0_sel:BYTE_0 src1_sel:DWORD
	v_mov_b32_e32 v25, 0
	s_and_saveexec_b64 s[6:7], s[10:11]
	s_cbranch_execz .LBB354_469
; %bb.464:                              ;   in Loop: Header=BB354_370 Depth=1
	v_cmp_ne_u16_sdwa s[28:29], v10, s35 src0_sel:BYTE_0 src1_sel:DWORD
	v_bfrev_b32_e32 v25, 1
	s_and_saveexec_b64 s[10:11], s[28:29]
	s_cbranch_execz .LBB354_468
; %bb.465:                              ;   in Loop: Header=BB354_370 Depth=1
	v_bfe_u32 v32, v9, 16, 7
	v_cmp_ne_u32_e32 vcc, s36, v32
	v_mov_b32_e32 v25, 0x7f800001
	s_and_saveexec_b64 s[28:29], vcc
	s_cbranch_execz .LBB354_467
; %bb.466:                              ;   in Loop: Header=BB354_370 Depth=1
	v_and_b32_e32 v23, 7, v10
	v_ffbh_u32_e32 v28, v23
	v_min_u32_e32 v28, 32, v28
	v_subrev_u32_e32 v33, 28, v28
	v_lshlrev_b64 v[34:35], v33, v[10:11]
	v_lshrrev_b32_e32 v25, 3, v32
	v_sub_u32_e32 v28, 29, v28
	v_and_b32_e32 v33, 7, v34
	v_cmp_gt_u32_e32 vcc, 8, v32
	v_cndmask_b32_e32 v25, v25, v28, vcc
	v_cndmask_b32_e32 v23, v23, v33, vcc
	v_lshlrev_b32_e32 v10, 24, v10
	v_lshlrev_b32_e32 v23, 20, v23
	v_and_b32_e32 v10, 0x80000000, v10
	v_lshl_add_u32 v25, v25, 23, v51
	v_or3_b32 v25, v10, v25, v23
.LBB354_467:                            ;   in Loop: Header=BB354_370 Depth=1
	s_or_b64 exec, exec, s[28:29]
.LBB354_468:                            ;   in Loop: Header=BB354_370 Depth=1
	s_or_b64 exec, exec, s[10:11]
.LBB354_469:                            ;   in Loop: Header=BB354_370 Depth=1
	s_or_b64 exec, exec, s[6:7]
	v_mul_f32_e32 v10, v11, v25
	v_and_b32_e32 v23, 0x7f800000, v10
	v_cmp_ne_u32_e32 vcc, s15, v23
                                        ; implicit-def: $vgpr25
	s_and_saveexec_b64 s[6:7], vcc
	s_xor_b64 s[6:7], exec, s[6:7]
; %bb.470:                              ;   in Loop: Header=BB354_370 Depth=1
	v_bfe_u32 v23, v10, 16, 1
	v_add3_u32 v25, v10, v23, s34
                                        ; implicit-def: $vgpr10
; %bb.471:                              ;   in Loop: Header=BB354_370 Depth=1
	s_andn2_saveexec_b64 s[6:7], s[6:7]
; %bb.472:                              ;   in Loop: Header=BB354_370 Depth=1
	v_or_b32_e32 v23, 0x10000, v10
	v_cmp_eq_u32_sdwa vcc, v10, v17 src0_sel:WORD_0 src1_sel:DWORD
	v_cndmask_b32_e32 v25, v23, v10, vcc
; %bb.473:                              ;   in Loop: Header=BB354_370 Depth=1
	s_or_b64 exec, exec, s[6:7]
	v_cmp_lt_u64_e32 vcc, s[24:25], v[8:9]
	v_mov_b32_e32 v10, 0
	s_and_saveexec_b64 s[6:7], vcc
	s_cbranch_execz .LBB354_479
; %bb.474:                              ;   in Loop: Header=BB354_370 Depth=1
	v_lshrrev_b32_e32 v8, 24, v9
	v_cmp_ne_u32_e32 vcc, s35, v8
	v_bfrev_b32_e32 v10, 1
	s_and_saveexec_b64 s[10:11], vcc
	s_cbranch_execz .LBB354_478
; %bb.475:                              ;   in Loop: Header=BB354_370 Depth=1
	v_bfe_u32 v9, v9, 24, 7
	v_cmp_ne_u32_e32 vcc, s36, v9
	v_mov_b32_e32 v10, 0x7f800001
	s_and_saveexec_b64 s[28:29], vcc
	s_cbranch_execz .LBB354_477
; %bb.476:                              ;   in Loop: Header=BB354_370 Depth=1
	v_and_b32_e32 v10, 7, v8
	v_ffbh_u32_e32 v28, v10
	v_min_u32_e32 v28, 32, v28
	v_subrev_u32_e32 v32, 28, v28
	v_lshlrev_b64 v[32:33], v32, v[8:9]
	v_lshrrev_b32_e32 v23, 3, v9
	v_sub_u32_e32 v28, 29, v28
	v_and_b32_e32 v32, 7, v32
	v_cmp_gt_u32_e32 vcc, 8, v9
	v_cndmask_b32_e32 v9, v23, v28, vcc
	v_cndmask_b32_e32 v10, v10, v32, vcc
	v_lshlrev_b32_e32 v8, 24, v8
	v_lshlrev_b32_e32 v10, 20, v10
	v_and_b32_e32 v8, 0x80000000, v8
	v_lshl_add_u32 v9, v9, 23, v51
	v_or3_b32 v10, v8, v9, v10
.LBB354_477:                            ;   in Loop: Header=BB354_370 Depth=1
	s_or_b64 exec, exec, s[28:29]
.LBB354_478:                            ;   in Loop: Header=BB354_370 Depth=1
	s_or_b64 exec, exec, s[10:11]
.LBB354_479:                            ;   in Loop: Header=BB354_370 Depth=1
	s_or_b64 exec, exec, s[6:7]
	v_mul_f32_e32 v9, v11, v10
	v_and_b32_e32 v8, 0x7f800000, v9
	v_cmp_ne_u32_e32 vcc, s15, v8
                                        ; implicit-def: $vgpr8
	s_and_saveexec_b64 s[6:7], vcc
	s_xor_b64 s[6:7], exec, s[6:7]
; %bb.480:                              ;   in Loop: Header=BB354_370 Depth=1
	v_bfe_u32 v8, v9, 16, 1
	v_add3_u32 v8, v9, v8, s34
                                        ; implicit-def: $vgpr9
; %bb.481:                              ;   in Loop: Header=BB354_370 Depth=1
	s_andn2_saveexec_b64 s[6:7], s[6:7]
; %bb.482:                              ;   in Loop: Header=BB354_370 Depth=1
	v_or_b32_e32 v8, 0x10000, v9
	v_cmp_eq_u32_sdwa vcc, v9, v17 src0_sel:WORD_0 src1_sel:DWORD
	v_cndmask_b32_e32 v8, v8, v9, vcc
; %bb.483:                              ;   in Loop: Header=BB354_370 Depth=1
	s_or_b64 exec, exec, s[6:7]
	v_accvgpr_read_b32 v10, a12
	v_accvgpr_read_b32 v9, a18
	v_cmp_eq_u32_e32 vcc, v9, v10
	v_accvgpr_read_b32 v9, a13
	v_accvgpr_read_b32 v10, a17
	v_add_u32_e32 v48, v10, v9
	v_add_u32_e32 v23, 2, v48
	v_accvgpr_write_b32 a26, v23
	v_add_u32_e32 v23, 4, v48
	v_accvgpr_write_b32 a25, v23
	;; [unrolled: 2-line block ×4, first 2 shown]
	v_add_u32_e32 v23, 7, v48
	v_lshrrev_b32_e32 v10, 16, v16
	v_lshrrev_b32_e32 v16, 16, v24
	;; [unrolled: 1-line block ×8, first 2 shown]
	v_add_u32_e32 v40, 1, v48
	v_add_u32_e32 v52, 3, v48
	v_accvgpr_write_b32 a19, v23
	s_and_saveexec_b64 s[10:11], vcc
	s_cbranch_execz .LBB354_485
; %bb.484:                              ;   in Loop: Header=BB354_370 Depth=1
	v_accvgpr_read_b32 v23, a3
	v_cmp_lt_i32_e64 s[6:7], v48, v23
	v_cndmask_b32_e64 v12, 0, v12, s[6:7]
	v_cmp_lt_i32_e64 s[6:7], v40, v23
	v_accvgpr_read_b32 v24, a26
	v_cndmask_b32_e64 v13, 0, v13, s[6:7]
	v_cmp_lt_i32_e64 s[6:7], v24, v23
	v_cndmask_b32_e64 v20, 0, v20, s[6:7]
	v_cmp_lt_i32_e64 s[6:7], v52, v23
	v_accvgpr_read_b32 v24, a25
	v_cndmask_b32_e64 v22, 0, v22, s[6:7]
	v_cmp_lt_i32_e64 s[6:7], v24, v23
	v_accvgpr_read_b32 v24, a24
	;; [unrolled: 3-line block ×4, first 2 shown]
	v_cndmask_b32_e64 v9, 0, v9, s[6:7]
	v_cmp_lt_i32_e64 s[6:7], v24, v23
	v_cndmask_b32_e64 v8, 0, v8, s[6:7]
.LBB354_485:                            ;   in Loop: Header=BB354_370 Depth=1
	s_or_b64 exec, exec, s[10:11]
	v_and_b32_e32 v42, 0xffff0000, v31
	v_lshlrev_b32_e32 v12, 16, v12
	v_mul_f32_e32 v24, v42, v12
	v_and_b32_e32 v12, 0x7f800000, v24
	v_cmp_ne_u32_e64 s[6:7], s15, v12
                                        ; implicit-def: $vgpr12
	s_and_saveexec_b64 s[10:11], s[6:7]
	s_xor_b64 s[6:7], exec, s[10:11]
; %bb.486:                              ;   in Loop: Header=BB354_370 Depth=1
	v_bfe_u32 v12, v24, 16, 1
	v_add3_u32 v12, v24, v12, s34
                                        ; implicit-def: $vgpr24
; %bb.487:                              ;   in Loop: Header=BB354_370 Depth=1
	s_andn2_saveexec_b64 s[10:11], s[6:7]
; %bb.488:                              ;   in Loop: Header=BB354_370 Depth=1
	v_or_b32_e32 v12, 0x10000, v24
	v_cmp_eq_u32_sdwa s[6:7], v24, v17 src0_sel:WORD_0 src1_sel:DWORD
	v_cndmask_b32_e64 v12, v12, v24, s[6:7]
; %bb.489:                              ;   in Loop: Header=BB354_370 Depth=1
	s_or_b64 exec, exec, s[10:11]
	v_and_b32_e32 v44, 0xffff0000, v27
	v_lshlrev_b32_e32 v13, 16, v13
	v_mul_f32_e32 v24, v44, v13
	v_and_b32_e32 v13, 0x7f800000, v24
	v_cmp_ne_u32_e64 s[6:7], s15, v13
                                        ; implicit-def: $vgpr13
	s_and_saveexec_b64 s[10:11], s[6:7]
	s_xor_b64 s[6:7], exec, s[10:11]
; %bb.490:                              ;   in Loop: Header=BB354_370 Depth=1
	v_bfe_u32 v13, v24, 16, 1
	v_add3_u32 v13, v24, v13, s34
                                        ; implicit-def: $vgpr24
; %bb.491:                              ;   in Loop: Header=BB354_370 Depth=1
	s_andn2_saveexec_b64 s[10:11], s[6:7]
; %bb.492:                              ;   in Loop: Header=BB354_370 Depth=1
	v_or_b32_e32 v13, 0x10000, v24
	v_cmp_eq_u32_sdwa s[6:7], v24, v17 src0_sel:WORD_0 src1_sel:DWORD
	v_cndmask_b32_e64 v13, v13, v24, s[6:7]
; %bb.493:                              ;   in Loop: Header=BB354_370 Depth=1
	s_or_b64 exec, exec, s[10:11]
	v_and_b32_e32 v56, 0xffff0000, v26
	v_lshlrev_b32_e32 v20, 16, v20
	v_mul_f32_e32 v20, v56, v20
	v_and_b32_e32 v23, 0x7f800000, v20
	v_cmp_ne_u32_e64 s[6:7], s15, v23
                                        ; implicit-def: $vgpr37
	s_and_saveexec_b64 s[10:11], s[6:7]
	s_xor_b64 s[6:7], exec, s[10:11]
; %bb.494:                              ;   in Loop: Header=BB354_370 Depth=1
	v_bfe_u32 v23, v20, 16, 1
	v_add3_u32 v37, v20, v23, s34
                                        ; implicit-def: $vgpr20
; %bb.495:                              ;   in Loop: Header=BB354_370 Depth=1
	s_andn2_saveexec_b64 s[10:11], s[6:7]
; %bb.496:                              ;   in Loop: Header=BB354_370 Depth=1
	v_or_b32_e32 v23, 0x10000, v20
	v_cmp_eq_u32_sdwa s[6:7], v20, v17 src0_sel:WORD_0 src1_sel:DWORD
	v_cndmask_b32_e64 v37, v23, v20, s[6:7]
; %bb.497:                              ;   in Loop: Header=BB354_370 Depth=1
	s_or_b64 exec, exec, s[10:11]
	v_and_b32_e32 v57, 0xffff0000, v21
	v_lshlrev_b32_e32 v20, 16, v22
	v_mul_f32_e32 v20, v57, v20
	v_and_b32_e32 v21, 0x7f800000, v20
	v_cmp_ne_u32_e64 s[6:7], s15, v21
                                        ; implicit-def: $vgpr38
	s_and_saveexec_b64 s[10:11], s[6:7]
	s_xor_b64 s[6:7], exec, s[10:11]
; %bb.498:                              ;   in Loop: Header=BB354_370 Depth=1
	v_bfe_u32 v21, v20, 16, 1
	v_add3_u32 v38, v20, v21, s34
                                        ; implicit-def: $vgpr20
; %bb.499:                              ;   in Loop: Header=BB354_370 Depth=1
	s_andn2_saveexec_b64 s[10:11], s[6:7]
; %bb.500:                              ;   in Loop: Header=BB354_370 Depth=1
	v_or_b32_e32 v21, 0x10000, v20
	v_cmp_eq_u32_sdwa s[6:7], v20, v17 src0_sel:WORD_0 src1_sel:DWORD
	v_cndmask_b32_e64 v38, v21, v20, s[6:7]
; %bb.501:                              ;   in Loop: Header=BB354_370 Depth=1
	s_or_b64 exec, exec, s[10:11]
	v_and_b32_e32 v58, 0xffff0000, v4
	v_lshlrev_b32_e32 v4, 16, v16
	v_mul_f32_e32 v16, v58, v4
	v_and_b32_e32 v4, 0x7f800000, v16
	v_cmp_ne_u32_e64 s[6:7], s15, v4
                                        ; implicit-def: $vgpr4
	s_and_saveexec_b64 s[10:11], s[6:7]
	s_xor_b64 s[6:7], exec, s[10:11]
; %bb.502:                              ;   in Loop: Header=BB354_370 Depth=1
	v_bfe_u32 v4, v16, 16, 1
	v_add3_u32 v4, v16, v4, s34
                                        ; implicit-def: $vgpr16
; %bb.503:                              ;   in Loop: Header=BB354_370 Depth=1
	s_andn2_saveexec_b64 s[10:11], s[6:7]
; %bb.504:                              ;   in Loop: Header=BB354_370 Depth=1
	v_or_b32_e32 v4, 0x10000, v16
	v_cmp_eq_u32_sdwa s[6:7], v16, v17 src0_sel:WORD_0 src1_sel:DWORD
	v_cndmask_b32_e64 v4, v4, v16, s[6:7]
; %bb.505:                              ;   in Loop: Header=BB354_370 Depth=1
	s_or_b64 exec, exec, s[10:11]
	v_and_b32_e32 v59, 0xffff0000, v5
	v_lshlrev_b32_e32 v5, 16, v10
	v_mul_f32_e32 v10, v59, v5
	v_and_b32_e32 v5, 0x7f800000, v10
	v_cmp_ne_u32_e64 s[6:7], s15, v5
                                        ; implicit-def: $vgpr5
	s_and_saveexec_b64 s[10:11], s[6:7]
	s_xor_b64 s[6:7], exec, s[10:11]
; %bb.506:                              ;   in Loop: Header=BB354_370 Depth=1
	v_bfe_u32 v5, v10, 16, 1
	v_add3_u32 v5, v10, v5, s34
                                        ; implicit-def: $vgpr10
; %bb.507:                              ;   in Loop: Header=BB354_370 Depth=1
	s_andn2_saveexec_b64 s[10:11], s[6:7]
; %bb.508:                              ;   in Loop: Header=BB354_370 Depth=1
	v_or_b32_e32 v5, 0x10000, v10
	v_cmp_eq_u32_sdwa s[6:7], v10, v17 src0_sel:WORD_0 src1_sel:DWORD
	v_cndmask_b32_e64 v5, v5, v10, s[6:7]
; %bb.509:                              ;   in Loop: Header=BB354_370 Depth=1
	s_or_b64 exec, exec, s[10:11]
	v_and_b32_e32 v60, 0xffff0000, v19
	v_lshlrev_b32_e32 v9, 16, v9
	v_mul_f32_e32 v9, v60, v9
	v_and_b32_e32 v10, 0x7f800000, v9
	v_cmp_ne_u32_e64 s[6:7], s15, v10
                                        ; implicit-def: $vgpr39
	s_and_saveexec_b64 s[10:11], s[6:7]
	s_xor_b64 s[6:7], exec, s[10:11]
; %bb.510:                              ;   in Loop: Header=BB354_370 Depth=1
	v_bfe_u32 v10, v9, 16, 1
	v_add3_u32 v39, v9, v10, s34
                                        ; implicit-def: $vgpr9
; %bb.511:                              ;   in Loop: Header=BB354_370 Depth=1
	s_andn2_saveexec_b64 s[10:11], s[6:7]
; %bb.512:                              ;   in Loop: Header=BB354_370 Depth=1
	v_or_b32_e32 v10, 0x10000, v9
	v_cmp_eq_u32_sdwa s[6:7], v9, v17 src0_sel:WORD_0 src1_sel:DWORD
	v_cndmask_b32_e64 v39, v10, v9, s[6:7]
; %bb.513:                              ;   in Loop: Header=BB354_370 Depth=1
	s_or_b64 exec, exec, s[10:11]
	v_and_b32_e32 v61, 0xffff0000, v18
	v_lshlrev_b32_e32 v8, 16, v8
	v_mul_f32_e32 v8, v61, v8
	v_and_b32_e32 v9, 0x7f800000, v8
	v_cmp_ne_u32_e64 s[6:7], s15, v9
                                        ; implicit-def: $vgpr41
	s_and_saveexec_b64 s[10:11], s[6:7]
	s_xor_b64 s[6:7], exec, s[10:11]
; %bb.514:                              ;   in Loop: Header=BB354_370 Depth=1
	v_bfe_u32 v9, v8, 16, 1
	v_add3_u32 v41, v8, v9, s34
                                        ; implicit-def: $vgpr8
; %bb.515:                              ;   in Loop: Header=BB354_370 Depth=1
	s_andn2_saveexec_b64 s[10:11], s[6:7]
; %bb.516:                              ;   in Loop: Header=BB354_370 Depth=1
	v_or_b32_e32 v9, 0x10000, v8
	v_cmp_eq_u32_sdwa s[6:7], v8, v17 src0_sel:WORD_0 src1_sel:DWORD
	v_cndmask_b32_e64 v41, v9, v8, s[6:7]
; %bb.517:                              ;   in Loop: Header=BB354_370 Depth=1
	s_or_b64 exec, exec, s[10:11]
	flat_load_dwordx2 v[8:9], v[6:7] offset:512
	v_mov_b32_e32 v10, 0
	s_waitcnt vmcnt(0) lgkmcnt(0)
	v_cmp_ne_u16_sdwa s[6:7], v8, v17 src0_sel:BYTE_0 src1_sel:DWORD
	s_and_saveexec_b64 s[10:11], s[6:7]
	s_cbranch_execz .LBB354_523
; %bb.518:                              ;   in Loop: Header=BB354_370 Depth=1
	v_cmp_ne_u16_sdwa s[6:7], v8, s35 src0_sel:BYTE_0 src1_sel:DWORD
	v_bfrev_b32_e32 v10, 1
	s_and_saveexec_b64 s[28:29], s[6:7]
	s_cbranch_execz .LBB354_522
; %bb.519:                              ;   in Loop: Header=BB354_370 Depth=1
	v_and_b32_e32 v16, 0x7f, v8
	v_cmp_ne_u32_e64 s[6:7], s36, v16
	v_mov_b32_e32 v10, 0x7f800001
	s_and_saveexec_b64 s[30:31], s[6:7]
	s_cbranch_execz .LBB354_521
; %bb.520:                              ;   in Loop: Header=BB354_370 Depth=1
	v_and_b32_e32 v10, 7, v8
	v_ffbh_u32_e32 v10, v10
	v_min_u32_e32 v10, 32, v10
	v_subrev_u32_e32 v19, 28, v10
	v_cmp_gt_u32_e64 s[6:7], 8, v16
	v_lshrrev_b32_e32 v18, 3, v16
	v_sub_u32_e32 v10, 29, v10
	v_cndmask_b32_e64 v16, 0, v19, s[6:7]
	v_cndmask_b32_e64 v10, v18, v10, s[6:7]
	v_lshlrev_b64 v[18:19], v16, v[8:9]
	v_lshlrev_b32_e32 v16, 20, v18
	v_lshlrev_b32_e32 v18, 24, v8
	v_and_b32_e32 v16, 0x700000, v16
	v_and_b32_e32 v18, 0x80000000, v18
	v_lshl_add_u32 v10, v10, 23, v51
	v_or3_b32 v10, v18, v10, v16
.LBB354_521:                            ;   in Loop: Header=BB354_370 Depth=1
	s_or_b64 exec, exec, s[30:31]
.LBB354_522:                            ;   in Loop: Header=BB354_370 Depth=1
	s_or_b64 exec, exec, s[28:29]
.LBB354_523:                            ;   in Loop: Header=BB354_370 Depth=1
	s_or_b64 exec, exec, s[10:11]
	v_mul_f32_e32 v10, v11, v10
	v_and_b32_e32 v16, 0x7f800000, v10
	v_cmp_ne_u32_e64 s[6:7], s15, v16
                                        ; implicit-def: $vgpr18
	s_and_saveexec_b64 s[10:11], s[6:7]
	s_xor_b64 s[6:7], exec, s[10:11]
; %bb.524:                              ;   in Loop: Header=BB354_370 Depth=1
	v_bfe_u32 v16, v10, 16, 1
	v_add3_u32 v18, v10, v16, s34
                                        ; implicit-def: $vgpr10
; %bb.525:                              ;   in Loop: Header=BB354_370 Depth=1
	s_andn2_saveexec_b64 s[10:11], s[6:7]
; %bb.526:                              ;   in Loop: Header=BB354_370 Depth=1
	v_or_b32_e32 v16, 0x10000, v10
	v_cmp_eq_u32_sdwa s[6:7], v10, v17 src0_sel:WORD_0 src1_sel:DWORD
	v_cndmask_b32_e64 v18, v16, v10, s[6:7]
; %bb.527:                              ;   in Loop: Header=BB354_370 Depth=1
	s_or_b64 exec, exec, s[10:11]
	v_lshrrev_b16_e32 v10, 8, v8
	v_cmp_ne_u16_e64 s[6:7], 0, v10
	v_mov_b32_e32 v16, 0
	s_and_saveexec_b64 s[10:11], s[6:7]
	s_cbranch_execz .LBB354_533
; %bb.528:                              ;   in Loop: Header=BB354_370 Depth=1
	v_cmp_ne_u16_e64 s[6:7], s35, v10
	v_bfrev_b32_e32 v16, 1
	s_and_saveexec_b64 s[28:29], s[6:7]
	s_cbranch_execz .LBB354_532
; %bb.529:                              ;   in Loop: Header=BB354_370 Depth=1
	v_and_b32_e32 v19, 0x7f, v10
	v_cmp_ne_u32_e64 s[6:7], s36, v19
	v_mov_b32_e32 v16, 0x7f800001
	s_and_saveexec_b64 s[30:31], s[6:7]
	s_cbranch_execz .LBB354_531
; %bb.530:                              ;   in Loop: Header=BB354_370 Depth=1
	v_and_b32_e32 v16, 7, v10
	v_ffbh_u32_e32 v20, v16
	v_min_u32_e32 v23, 32, v20
	v_subrev_u32_e32 v20, 28, v23
	v_lshlrev_b64 v[20:21], v20, v[10:11]
	v_lshrrev_b32_e32 v22, 3, v19
	v_sub_u32_e32 v10, 29, v23
	v_and_b32_e32 v20, 7, v20
	v_cmp_gt_u32_e64 s[6:7], 8, v19
	v_cndmask_b32_e64 v10, v22, v10, s[6:7]
	v_cndmask_b32_e64 v16, v16, v20, s[6:7]
	v_lshlrev_b32_e32 v19, 16, v8
	v_lshlrev_b32_e32 v16, 20, v16
	v_and_b32_e32 v19, 0x80000000, v19
	v_lshl_add_u32 v10, v10, 23, v51
	v_or3_b32 v16, v19, v10, v16
.LBB354_531:                            ;   in Loop: Header=BB354_370 Depth=1
	s_or_b64 exec, exec, s[30:31]
.LBB354_532:                            ;   in Loop: Header=BB354_370 Depth=1
	s_or_b64 exec, exec, s[28:29]
.LBB354_533:                            ;   in Loop: Header=BB354_370 Depth=1
	s_or_b64 exec, exec, s[10:11]
	v_mul_f32_e32 v10, v11, v16
	v_and_b32_e32 v16, 0x7f800000, v10
	v_cmp_ne_u32_e64 s[6:7], s15, v16
                                        ; implicit-def: $vgpr19
	s_and_saveexec_b64 s[10:11], s[6:7]
	s_xor_b64 s[6:7], exec, s[10:11]
; %bb.534:                              ;   in Loop: Header=BB354_370 Depth=1
	v_bfe_u32 v16, v10, 16, 1
	v_add3_u32 v19, v10, v16, s34
                                        ; implicit-def: $vgpr10
; %bb.535:                              ;   in Loop: Header=BB354_370 Depth=1
	s_andn2_saveexec_b64 s[10:11], s[6:7]
; %bb.536:                              ;   in Loop: Header=BB354_370 Depth=1
	v_or_b32_e32 v16, 0x10000, v10
	v_cmp_eq_u32_sdwa s[6:7], v10, v17 src0_sel:WORD_0 src1_sel:DWORD
	v_cndmask_b32_e64 v19, v16, v10, s[6:7]
; %bb.537:                              ;   in Loop: Header=BB354_370 Depth=1
	s_or_b64 exec, exec, s[10:11]
	v_lshrrev_b32_e32 v10, 16, v8
	v_cmp_ne_u16_sdwa s[6:7], v10, v17 src0_sel:BYTE_0 src1_sel:DWORD
	v_mov_b32_e32 v16, 0
	s_and_saveexec_b64 s[10:11], s[6:7]
	s_cbranch_execz .LBB354_543
; %bb.538:                              ;   in Loop: Header=BB354_370 Depth=1
	v_cmp_ne_u16_sdwa s[6:7], v10, s35 src0_sel:BYTE_0 src1_sel:DWORD
	v_bfrev_b32_e32 v16, 1
	s_and_saveexec_b64 s[28:29], s[6:7]
	s_cbranch_execz .LBB354_542
; %bb.539:                              ;   in Loop: Header=BB354_370 Depth=1
	v_bfe_u32 v20, v8, 16, 7
	v_cmp_ne_u32_e64 s[6:7], s36, v20
	v_mov_b32_e32 v16, 0x7f800001
	s_and_saveexec_b64 s[30:31], s[6:7]
	s_cbranch_execz .LBB354_541
; %bb.540:                              ;   in Loop: Header=BB354_370 Depth=1
	v_and_b32_e32 v16, 7, v10
	v_ffbh_u32_e32 v22, v16
	v_min_u32_e32 v22, 32, v22
	v_subrev_u32_e32 v23, 28, v22
	v_lshlrev_b64 v[24:25], v23, v[10:11]
	v_lshrrev_b32_e32 v21, 3, v20
	v_sub_u32_e32 v22, 29, v22
	v_and_b32_e32 v23, 7, v24
	v_cmp_gt_u32_e64 s[6:7], 8, v20
	v_cndmask_b32_e64 v20, v21, v22, s[6:7]
	v_cndmask_b32_e64 v16, v16, v23, s[6:7]
	v_lshlrev_b32_e32 v10, 24, v10
	v_lshlrev_b32_e32 v16, 20, v16
	v_and_b32_e32 v10, 0x80000000, v10
	v_lshl_add_u32 v20, v20, 23, v51
	v_or3_b32 v16, v10, v20, v16
.LBB354_541:                            ;   in Loop: Header=BB354_370 Depth=1
	s_or_b64 exec, exec, s[30:31]
.LBB354_542:                            ;   in Loop: Header=BB354_370 Depth=1
	s_or_b64 exec, exec, s[28:29]
.LBB354_543:                            ;   in Loop: Header=BB354_370 Depth=1
	s_or_b64 exec, exec, s[10:11]
	v_mul_f32_e32 v10, v11, v16
	v_and_b32_e32 v16, 0x7f800000, v10
	v_cmp_ne_u32_e64 s[6:7], s15, v16
                                        ; implicit-def: $vgpr20
	s_and_saveexec_b64 s[10:11], s[6:7]
	s_xor_b64 s[6:7], exec, s[10:11]
; %bb.544:                              ;   in Loop: Header=BB354_370 Depth=1
	v_bfe_u32 v16, v10, 16, 1
	v_add3_u32 v20, v10, v16, s34
                                        ; implicit-def: $vgpr10
; %bb.545:                              ;   in Loop: Header=BB354_370 Depth=1
	s_andn2_saveexec_b64 s[10:11], s[6:7]
; %bb.546:                              ;   in Loop: Header=BB354_370 Depth=1
	v_or_b32_e32 v16, 0x10000, v10
	v_cmp_eq_u32_sdwa s[6:7], v10, v17 src0_sel:WORD_0 src1_sel:DWORD
	v_cndmask_b32_e64 v20, v16, v10, s[6:7]
; %bb.547:                              ;   in Loop: Header=BB354_370 Depth=1
	s_or_b64 exec, exec, s[10:11]
	v_cmp_lt_u32_e64 s[6:7], s25, v8
	v_mov_b32_e32 v16, 0
	s_and_saveexec_b64 s[10:11], s[6:7]
	s_cbranch_execz .LBB354_553
; %bb.548:                              ;   in Loop: Header=BB354_370 Depth=1
	v_lshrrev_b32_e32 v10, 24, v8
	v_cmp_ne_u32_e64 s[6:7], s35, v10
	v_bfrev_b32_e32 v16, 1
	s_and_saveexec_b64 s[28:29], s[6:7]
	s_cbranch_execz .LBB354_552
; %bb.549:                              ;   in Loop: Header=BB354_370 Depth=1
	v_bfe_u32 v21, v8, 24, 7
	v_cmp_ne_u32_e64 s[6:7], s36, v21
	v_mov_b32_e32 v16, 0x7f800001
	s_and_saveexec_b64 s[30:31], s[6:7]
	s_cbranch_execz .LBB354_551
; %bb.550:                              ;   in Loop: Header=BB354_370 Depth=1
	v_and_b32_e32 v16, 7, v10
	v_ffbh_u32_e32 v23, v16
	v_min_u32_e32 v23, 32, v23
	v_subrev_u32_e32 v24, 28, v23
	v_lshlrev_b64 v[24:25], v24, v[10:11]
	v_lshrrev_b32_e32 v22, 3, v21
	v_sub_u32_e32 v23, 29, v23
	v_and_b32_e32 v24, 7, v24
	v_cmp_gt_u32_e64 s[6:7], 8, v21
	v_cndmask_b32_e64 v21, v22, v23, s[6:7]
	v_cndmask_b32_e64 v16, v16, v24, s[6:7]
	v_lshlrev_b32_e32 v10, 24, v10
	v_lshlrev_b32_e32 v16, 20, v16
	v_and_b32_e32 v10, 0x80000000, v10
	v_lshl_add_u32 v21, v21, 23, v51
	v_or3_b32 v16, v10, v21, v16
.LBB354_551:                            ;   in Loop: Header=BB354_370 Depth=1
	s_or_b64 exec, exec, s[30:31]
.LBB354_552:                            ;   in Loop: Header=BB354_370 Depth=1
	s_or_b64 exec, exec, s[28:29]
.LBB354_553:                            ;   in Loop: Header=BB354_370 Depth=1
	s_or_b64 exec, exec, s[10:11]
	v_mul_f32_e32 v10, v11, v16
	v_and_b32_e32 v16, 0x7f800000, v10
	v_cmp_ne_u32_e64 s[6:7], s15, v16
                                        ; implicit-def: $vgpr21
	s_and_saveexec_b64 s[10:11], s[6:7]
	s_xor_b64 s[6:7], exec, s[10:11]
; %bb.554:                              ;   in Loop: Header=BB354_370 Depth=1
	v_bfe_u32 v16, v10, 16, 1
	v_add3_u32 v21, v10, v16, s34
                                        ; implicit-def: $vgpr10
; %bb.555:                              ;   in Loop: Header=BB354_370 Depth=1
	s_andn2_saveexec_b64 s[10:11], s[6:7]
; %bb.556:                              ;   in Loop: Header=BB354_370 Depth=1
	v_or_b32_e32 v16, 0x10000, v10
	v_cmp_eq_u32_sdwa s[6:7], v10, v17 src0_sel:WORD_0 src1_sel:DWORD
	v_cndmask_b32_e64 v21, v16, v10, s[6:7]
; %bb.557:                              ;   in Loop: Header=BB354_370 Depth=1
	s_or_b64 exec, exec, s[10:11]
	v_mov_b32_e32 v16, v9
	v_cmp_ne_u16_sdwa s[6:7], v9, v17 src0_sel:BYTE_0 src1_sel:DWORD
	v_mov_b32_e32 v10, 0
	s_and_saveexec_b64 s[10:11], s[6:7]
	s_cbranch_execz .LBB354_563
; %bb.558:                              ;   in Loop: Header=BB354_370 Depth=1
	v_cmp_ne_u16_sdwa s[6:7], v9, s35 src0_sel:BYTE_0 src1_sel:DWORD
	v_bfrev_b32_e32 v10, 1
	s_and_saveexec_b64 s[28:29], s[6:7]
	s_cbranch_execz .LBB354_562
; %bb.559:                              ;   in Loop: Header=BB354_370 Depth=1
	v_and_b32_e32 v22, 0x7f, v9
	v_cmp_ne_u32_e64 s[6:7], s36, v22
	v_mov_b32_e32 v10, 0x7f800001
	s_and_saveexec_b64 s[30:31], s[6:7]
	s_cbranch_execz .LBB354_561
; %bb.560:                              ;   in Loop: Header=BB354_370 Depth=1
	v_and_b32_e32 v10, 7, v9
	v_ffbh_u32_e32 v10, v10
	v_min_u32_e32 v10, 32, v10
	v_subrev_u32_e32 v24, 28, v10
	v_cmp_gt_u32_e64 s[6:7], 8, v22
	v_lshrrev_b32_e32 v23, 3, v22
	v_cndmask_b32_e64 v22, 0, v24, s[6:7]
	v_sub_u32_e32 v10, 29, v10
	v_lshlrev_b64 v[24:25], v22, v[16:17]
	v_cndmask_b32_e64 v10, v23, v10, s[6:7]
	v_lshlrev_b32_e32 v22, 20, v24
	v_lshlrev_b32_e32 v23, 24, v16
	v_and_b32_e32 v22, 0x700000, v22
	v_and_b32_e32 v23, 0x80000000, v23
	v_lshl_add_u32 v10, v10, 23, v51
	v_or3_b32 v10, v23, v10, v22
.LBB354_561:                            ;   in Loop: Header=BB354_370 Depth=1
	s_or_b64 exec, exec, s[30:31]
.LBB354_562:                            ;   in Loop: Header=BB354_370 Depth=1
	s_or_b64 exec, exec, s[28:29]
.LBB354_563:                            ;   in Loop: Header=BB354_370 Depth=1
	s_or_b64 exec, exec, s[10:11]
	v_mul_f32_e32 v10, v11, v10
	v_and_b32_e32 v22, 0x7f800000, v10
	v_cmp_ne_u32_e64 s[6:7], s15, v22
                                        ; implicit-def: $vgpr22
	s_and_saveexec_b64 s[10:11], s[6:7]
	s_xor_b64 s[6:7], exec, s[10:11]
; %bb.564:                              ;   in Loop: Header=BB354_370 Depth=1
	v_bfe_u32 v22, v10, 16, 1
	v_add3_u32 v22, v10, v22, s34
                                        ; implicit-def: $vgpr10
; %bb.565:                              ;   in Loop: Header=BB354_370 Depth=1
	s_andn2_saveexec_b64 s[10:11], s[6:7]
; %bb.566:                              ;   in Loop: Header=BB354_370 Depth=1
	v_or_b32_e32 v22, 0x10000, v10
	v_cmp_eq_u32_sdwa s[6:7], v10, v17 src0_sel:WORD_0 src1_sel:DWORD
	v_cndmask_b32_e64 v22, v22, v10, s[6:7]
; %bb.567:                              ;   in Loop: Header=BB354_370 Depth=1
	s_or_b64 exec, exec, s[10:11]
	v_lshrrev_b16_e32 v10, 8, v16
	v_cmp_ne_u16_e64 s[6:7], 0, v10
	v_mov_b32_e32 v24, 0
	s_and_saveexec_b64 s[10:11], s[6:7]
	s_cbranch_execz .LBB354_573
; %bb.568:                              ;   in Loop: Header=BB354_370 Depth=1
	v_cmp_ne_u16_e64 s[6:7], s35, v10
	v_bfrev_b32_e32 v24, 1
	s_and_saveexec_b64 s[28:29], s[6:7]
	s_cbranch_execz .LBB354_572
; %bb.569:                              ;   in Loop: Header=BB354_370 Depth=1
	v_and_b32_e32 v25, 0x7f, v10
	v_cmp_ne_u32_e64 s[6:7], s36, v25
	v_mov_b32_e32 v24, 0x7f800001
	s_and_saveexec_b64 s[30:31], s[6:7]
	s_cbranch_execz .LBB354_571
; %bb.570:                              ;   in Loop: Header=BB354_370 Depth=1
	v_and_b32_e32 v23, 7, v10
	v_ffbh_u32_e32 v26, v23
	v_min_u32_e32 v28, 32, v26
	v_subrev_u32_e32 v26, 28, v28
	v_lshlrev_b64 v[26:27], v26, v[10:11]
	v_lshrrev_b32_e32 v24, 3, v25
	v_sub_u32_e32 v10, 29, v28
	v_and_b32_e32 v26, 7, v26
	v_cmp_gt_u32_e64 s[6:7], 8, v25
	v_cndmask_b32_e64 v10, v24, v10, s[6:7]
	v_cndmask_b32_e64 v23, v23, v26, s[6:7]
	v_lshlrev_b32_e32 v16, 16, v16
	v_lshlrev_b32_e32 v23, 20, v23
	v_and_b32_e32 v16, 0x80000000, v16
	v_lshl_add_u32 v10, v10, 23, v51
	v_or3_b32 v24, v16, v10, v23
.LBB354_571:                            ;   in Loop: Header=BB354_370 Depth=1
	s_or_b64 exec, exec, s[30:31]
.LBB354_572:                            ;   in Loop: Header=BB354_370 Depth=1
	s_or_b64 exec, exec, s[28:29]
.LBB354_573:                            ;   in Loop: Header=BB354_370 Depth=1
	s_or_b64 exec, exec, s[10:11]
	v_mul_f32_e32 v10, v11, v24
	v_and_b32_e32 v16, 0x7f800000, v10
	v_cmp_ne_u32_e64 s[6:7], s15, v16
                                        ; implicit-def: $vgpr16
	s_and_saveexec_b64 s[10:11], s[6:7]
	s_xor_b64 s[6:7], exec, s[10:11]
; %bb.574:                              ;   in Loop: Header=BB354_370 Depth=1
	v_bfe_u32 v16, v10, 16, 1
	v_add3_u32 v16, v10, v16, s34
                                        ; implicit-def: $vgpr10
; %bb.575:                              ;   in Loop: Header=BB354_370 Depth=1
	s_andn2_saveexec_b64 s[10:11], s[6:7]
; %bb.576:                              ;   in Loop: Header=BB354_370 Depth=1
	v_or_b32_e32 v16, 0x10000, v10
	v_cmp_eq_u32_sdwa s[6:7], v10, v17 src0_sel:WORD_0 src1_sel:DWORD
	v_cndmask_b32_e64 v16, v16, v10, s[6:7]
; %bb.577:                              ;   in Loop: Header=BB354_370 Depth=1
	s_or_b64 exec, exec, s[10:11]
	v_lshrrev_b32_e32 v10, 16, v9
	v_cmp_ne_u16_sdwa s[6:7], v10, v17 src0_sel:BYTE_0 src1_sel:DWORD
	v_mov_b32_e32 v24, 0
	s_and_saveexec_b64 s[10:11], s[6:7]
	s_cbranch_execz .LBB354_583
; %bb.578:                              ;   in Loop: Header=BB354_370 Depth=1
	v_cmp_ne_u16_sdwa s[6:7], v10, s35 src0_sel:BYTE_0 src1_sel:DWORD
	v_bfrev_b32_e32 v24, 1
	s_and_saveexec_b64 s[28:29], s[6:7]
	s_cbranch_execz .LBB354_582
; %bb.579:                              ;   in Loop: Header=BB354_370 Depth=1
	v_bfe_u32 v25, v9, 16, 7
	v_cmp_ne_u32_e64 s[6:7], s36, v25
	v_mov_b32_e32 v24, 0x7f800001
	s_and_saveexec_b64 s[30:31], s[6:7]
	s_cbranch_execz .LBB354_581
; %bb.580:                              ;   in Loop: Header=BB354_370 Depth=1
	v_and_b32_e32 v23, 7, v10
	v_ffbh_u32_e32 v26, v23
	v_min_u32_e32 v28, 32, v26
	v_subrev_u32_e32 v26, 28, v28
	v_lshlrev_b64 v[26:27], v26, v[10:11]
	v_lshrrev_b32_e32 v24, 3, v25
	v_sub_u32_e32 v27, 29, v28
	v_and_b32_e32 v26, 7, v26
	v_cmp_gt_u32_e64 s[6:7], 8, v25
	v_cndmask_b32_e64 v24, v24, v27, s[6:7]
	v_cndmask_b32_e64 v23, v23, v26, s[6:7]
	v_lshlrev_b32_e32 v10, 24, v10
	v_lshlrev_b32_e32 v23, 20, v23
	v_and_b32_e32 v10, 0x80000000, v10
	v_lshl_add_u32 v24, v24, 23, v51
	v_or3_b32 v24, v10, v24, v23
.LBB354_581:                            ;   in Loop: Header=BB354_370 Depth=1
	s_or_b64 exec, exec, s[30:31]
.LBB354_582:                            ;   in Loop: Header=BB354_370 Depth=1
	s_or_b64 exec, exec, s[28:29]
.LBB354_583:                            ;   in Loop: Header=BB354_370 Depth=1
	s_or_b64 exec, exec, s[10:11]
	v_mul_f32_e32 v10, v11, v24
	v_and_b32_e32 v23, 0x7f800000, v10
	v_cmp_ne_u32_e64 s[6:7], s15, v23
                                        ; implicit-def: $vgpr24
	s_and_saveexec_b64 s[10:11], s[6:7]
	s_xor_b64 s[6:7], exec, s[10:11]
; %bb.584:                              ;   in Loop: Header=BB354_370 Depth=1
	v_bfe_u32 v23, v10, 16, 1
	v_add3_u32 v24, v10, v23, s34
                                        ; implicit-def: $vgpr10
; %bb.585:                              ;   in Loop: Header=BB354_370 Depth=1
	s_andn2_saveexec_b64 s[10:11], s[6:7]
; %bb.586:                              ;   in Loop: Header=BB354_370 Depth=1
	v_or_b32_e32 v23, 0x10000, v10
	v_cmp_eq_u32_sdwa s[6:7], v10, v17 src0_sel:WORD_0 src1_sel:DWORD
	v_cndmask_b32_e64 v24, v23, v10, s[6:7]
; %bb.587:                              ;   in Loop: Header=BB354_370 Depth=1
	s_or_b64 exec, exec, s[10:11]
	v_cmp_lt_u64_e64 s[6:7], s[24:25], v[8:9]
	v_mov_b32_e32 v10, 0
	s_and_saveexec_b64 s[10:11], s[6:7]
	s_cbranch_execz .LBB354_593
; %bb.588:                              ;   in Loop: Header=BB354_370 Depth=1
	v_lshrrev_b32_e32 v8, 24, v9
	v_cmp_ne_u32_e64 s[6:7], s35, v8
	v_bfrev_b32_e32 v10, 1
	s_and_saveexec_b64 s[28:29], s[6:7]
	s_cbranch_execz .LBB354_592
; %bb.589:                              ;   in Loop: Header=BB354_370 Depth=1
	v_bfe_u32 v9, v9, 24, 7
	v_cmp_ne_u32_e64 s[6:7], s36, v9
	v_mov_b32_e32 v10, 0x7f800001
	s_and_saveexec_b64 s[30:31], s[6:7]
	s_cbranch_execz .LBB354_591
; %bb.590:                              ;   in Loop: Header=BB354_370 Depth=1
	v_and_b32_e32 v10, 7, v8
	v_ffbh_u32_e32 v25, v10
	v_min_u32_e32 v25, 32, v25
	v_subrev_u32_e32 v26, 28, v25
	v_lshlrev_b64 v[26:27], v26, v[8:9]
	v_lshrrev_b32_e32 v23, 3, v9
	v_sub_u32_e32 v25, 29, v25
	v_and_b32_e32 v26, 7, v26
	v_cmp_gt_u32_e64 s[6:7], 8, v9
	v_cndmask_b32_e64 v9, v23, v25, s[6:7]
	v_cndmask_b32_e64 v10, v10, v26, s[6:7]
	v_lshlrev_b32_e32 v8, 24, v8
	v_lshlrev_b32_e32 v10, 20, v10
	v_and_b32_e32 v8, 0x80000000, v8
	v_lshl_add_u32 v9, v9, 23, v51
	v_or3_b32 v10, v8, v9, v10
.LBB354_591:                            ;   in Loop: Header=BB354_370 Depth=1
	s_or_b64 exec, exec, s[30:31]
.LBB354_592:                            ;   in Loop: Header=BB354_370 Depth=1
	s_or_b64 exec, exec, s[28:29]
.LBB354_593:                            ;   in Loop: Header=BB354_370 Depth=1
	s_or_b64 exec, exec, s[10:11]
	v_mul_f32_e32 v9, v11, v10
	v_and_b32_e32 v8, 0x7f800000, v9
	v_cmp_ne_u32_e64 s[6:7], s15, v8
                                        ; implicit-def: $vgpr8
	s_and_saveexec_b64 s[10:11], s[6:7]
	s_xor_b64 s[6:7], exec, s[10:11]
; %bb.594:                              ;   in Loop: Header=BB354_370 Depth=1
	v_bfe_u32 v8, v9, 16, 1
	v_add3_u32 v8, v9, v8, s34
                                        ; implicit-def: $vgpr9
; %bb.595:                              ;   in Loop: Header=BB354_370 Depth=1
	s_andn2_saveexec_b64 s[10:11], s[6:7]
; %bb.596:                              ;   in Loop: Header=BB354_370 Depth=1
	v_or_b32_e32 v8, 0x10000, v9
	v_cmp_eq_u32_sdwa s[6:7], v9, v17 src0_sel:WORD_0 src1_sel:DWORD
	v_cndmask_b32_e64 v8, v8, v9, s[6:7]
; %bb.597:                              ;   in Loop: Header=BB354_370 Depth=1
	s_or_b64 exec, exec, s[10:11]
	v_lshrrev_b32_e32 v10, 16, v16
	v_lshrrev_b32_e32 v16, 16, v22
	;; [unrolled: 1-line block ×8, first 2 shown]
	s_and_saveexec_b64 s[10:11], vcc
	s_cbranch_execz .LBB354_599
; %bb.598:                              ;   in Loop: Header=BB354_370 Depth=1
	v_accvgpr_read_b32 v22, a3
	v_cmp_lt_i32_e64 s[6:7], v48, v22
	v_cndmask_b32_e64 v18, 0, v18, s[6:7]
	v_cmp_lt_i32_e64 s[6:7], v40, v22
	v_accvgpr_read_b32 v23, a26
	v_cndmask_b32_e64 v19, 0, v19, s[6:7]
	v_cmp_lt_i32_e64 s[6:7], v23, v22
	v_cndmask_b32_e64 v20, 0, v20, s[6:7]
	v_cmp_lt_i32_e64 s[6:7], v52, v22
	v_accvgpr_read_b32 v23, a25
	v_cndmask_b32_e64 v21, 0, v21, s[6:7]
	v_cmp_lt_i32_e64 s[6:7], v23, v22
	v_accvgpr_read_b32 v23, a24
	;; [unrolled: 3-line block ×4, first 2 shown]
	v_cndmask_b32_e64 v9, 0, v9, s[6:7]
	v_cmp_lt_i32_e64 s[6:7], v23, v22
	v_cndmask_b32_e64 v8, 0, v8, s[6:7]
.LBB354_599:                            ;   in Loop: Header=BB354_370 Depth=1
	s_or_b64 exec, exec, s[10:11]
	v_lshlrev_b32_e32 v18, 16, v18
	v_mul_f32_e32 v18, v42, v18
	v_and_b32_e32 v22, 0x7f800000, v18
	v_cmp_ne_u32_e64 s[6:7], s15, v22
                                        ; implicit-def: $vgpr31
	s_and_saveexec_b64 s[10:11], s[6:7]
	s_xor_b64 s[6:7], exec, s[10:11]
; %bb.600:                              ;   in Loop: Header=BB354_370 Depth=1
	v_bfe_u32 v22, v18, 16, 1
	v_add3_u32 v31, v18, v22, s34
                                        ; implicit-def: $vgpr18
; %bb.601:                              ;   in Loop: Header=BB354_370 Depth=1
	s_andn2_saveexec_b64 s[10:11], s[6:7]
; %bb.602:                              ;   in Loop: Header=BB354_370 Depth=1
	v_or_b32_e32 v22, 0x10000, v18
	v_cmp_eq_u32_sdwa s[6:7], v18, v17 src0_sel:WORD_0 src1_sel:DWORD
	v_cndmask_b32_e64 v31, v22, v18, s[6:7]
; %bb.603:                              ;   in Loop: Header=BB354_370 Depth=1
	s_or_b64 exec, exec, s[10:11]
	v_lshlrev_b32_e32 v18, 16, v19
	v_mul_f32_e32 v18, v44, v18
	v_and_b32_e32 v19, 0x7f800000, v18
	v_cmp_ne_u32_e64 s[6:7], s15, v19
                                        ; implicit-def: $vgpr62
	s_and_saveexec_b64 s[10:11], s[6:7]
	s_xor_b64 s[6:7], exec, s[10:11]
; %bb.604:                              ;   in Loop: Header=BB354_370 Depth=1
	v_bfe_u32 v19, v18, 16, 1
	v_add3_u32 v62, v18, v19, s34
                                        ; implicit-def: $vgpr18
; %bb.605:                              ;   in Loop: Header=BB354_370 Depth=1
	s_andn2_saveexec_b64 s[10:11], s[6:7]
; %bb.606:                              ;   in Loop: Header=BB354_370 Depth=1
	v_or_b32_e32 v19, 0x10000, v18
	v_cmp_eq_u32_sdwa s[6:7], v18, v17 src0_sel:WORD_0 src1_sel:DWORD
	v_cndmask_b32_e64 v62, v19, v18, s[6:7]
; %bb.607:                              ;   in Loop: Header=BB354_370 Depth=1
	s_or_b64 exec, exec, s[10:11]
	v_lshlrev_b32_e32 v18, 16, v20
	v_mul_f32_e32 v18, v56, v18
	v_and_b32_e32 v19, 0x7f800000, v18
	v_cmp_ne_u32_e64 s[6:7], s15, v19
                                        ; implicit-def: $vgpr33
	s_and_saveexec_b64 s[10:11], s[6:7]
	s_xor_b64 s[6:7], exec, s[10:11]
; %bb.608:                              ;   in Loop: Header=BB354_370 Depth=1
	v_bfe_u32 v19, v18, 16, 1
	v_add3_u32 v33, v18, v19, s34
                                        ; implicit-def: $vgpr18
; %bb.609:                              ;   in Loop: Header=BB354_370 Depth=1
	s_andn2_saveexec_b64 s[10:11], s[6:7]
; %bb.610:                              ;   in Loop: Header=BB354_370 Depth=1
	v_or_b32_e32 v19, 0x10000, v18
	v_cmp_eq_u32_sdwa s[6:7], v18, v17 src0_sel:WORD_0 src1_sel:DWORD
	v_cndmask_b32_e64 v33, v19, v18, s[6:7]
; %bb.611:                              ;   in Loop: Header=BB354_370 Depth=1
	s_or_b64 exec, exec, s[10:11]
	v_lshlrev_b32_e32 v18, 16, v21
	v_mul_f32_e32 v18, v57, v18
	v_and_b32_e32 v19, 0x7f800000, v18
	v_cmp_ne_u32_e64 s[6:7], s15, v19
                                        ; implicit-def: $vgpr19
	s_and_saveexec_b64 s[10:11], s[6:7]
	s_xor_b64 s[6:7], exec, s[10:11]
; %bb.612:                              ;   in Loop: Header=BB354_370 Depth=1
	v_bfe_u32 v19, v18, 16, 1
	v_add3_u32 v19, v18, v19, s34
                                        ; implicit-def: $vgpr18
; %bb.613:                              ;   in Loop: Header=BB354_370 Depth=1
	s_andn2_saveexec_b64 s[10:11], s[6:7]
; %bb.614:                              ;   in Loop: Header=BB354_370 Depth=1
	v_or_b32_e32 v19, 0x10000, v18
	v_cmp_eq_u32_sdwa s[6:7], v18, v17 src0_sel:WORD_0 src1_sel:DWORD
	v_cndmask_b32_e64 v19, v19, v18, s[6:7]
; %bb.615:                              ;   in Loop: Header=BB354_370 Depth=1
	s_or_b64 exec, exec, s[10:11]
	v_lshlrev_b32_e32 v16, 16, v16
	v_mul_f32_e32 v16, v58, v16
	v_and_b32_e32 v18, 0x7f800000, v16
	v_cmp_ne_u32_e64 s[6:7], s15, v18
                                        ; implicit-def: $vgpr32
	s_and_saveexec_b64 s[10:11], s[6:7]
	s_xor_b64 s[6:7], exec, s[10:11]
; %bb.616:                              ;   in Loop: Header=BB354_370 Depth=1
	v_bfe_u32 v18, v16, 16, 1
	v_add3_u32 v32, v16, v18, s34
                                        ; implicit-def: $vgpr16
; %bb.617:                              ;   in Loop: Header=BB354_370 Depth=1
	s_andn2_saveexec_b64 s[10:11], s[6:7]
; %bb.618:                              ;   in Loop: Header=BB354_370 Depth=1
	v_or_b32_e32 v18, 0x10000, v16
	v_cmp_eq_u32_sdwa s[6:7], v16, v17 src0_sel:WORD_0 src1_sel:DWORD
	v_cndmask_b32_e64 v32, v18, v16, s[6:7]
; %bb.619:                              ;   in Loop: Header=BB354_370 Depth=1
	s_or_b64 exec, exec, s[10:11]
	v_lshlrev_b32_e32 v10, 16, v10
	v_mul_f32_e32 v10, v59, v10
	v_and_b32_e32 v16, 0x7f800000, v10
	v_cmp_ne_u32_e64 s[6:7], s15, v16
                                        ; implicit-def: $vgpr34
	s_and_saveexec_b64 s[10:11], s[6:7]
	s_xor_b64 s[6:7], exec, s[10:11]
; %bb.620:                              ;   in Loop: Header=BB354_370 Depth=1
	v_bfe_u32 v16, v10, 16, 1
	v_add3_u32 v34, v10, v16, s34
                                        ; implicit-def: $vgpr10
; %bb.621:                              ;   in Loop: Header=BB354_370 Depth=1
	s_andn2_saveexec_b64 s[10:11], s[6:7]
; %bb.622:                              ;   in Loop: Header=BB354_370 Depth=1
	v_or_b32_e32 v16, 0x10000, v10
	v_cmp_eq_u32_sdwa s[6:7], v10, v17 src0_sel:WORD_0 src1_sel:DWORD
	v_cndmask_b32_e64 v34, v16, v10, s[6:7]
; %bb.623:                              ;   in Loop: Header=BB354_370 Depth=1
	s_or_b64 exec, exec, s[10:11]
	v_lshlrev_b32_e32 v9, 16, v9
	v_mul_f32_e32 v9, v60, v9
	v_and_b32_e32 v10, 0x7f800000, v9
	v_cmp_ne_u32_e64 s[6:7], s15, v10
                                        ; implicit-def: $vgpr35
	s_and_saveexec_b64 s[10:11], s[6:7]
	s_xor_b64 s[6:7], exec, s[10:11]
; %bb.624:                              ;   in Loop: Header=BB354_370 Depth=1
	v_bfe_u32 v10, v9, 16, 1
	v_add3_u32 v35, v9, v10, s34
                                        ; implicit-def: $vgpr9
; %bb.625:                              ;   in Loop: Header=BB354_370 Depth=1
	s_andn2_saveexec_b64 s[10:11], s[6:7]
; %bb.626:                              ;   in Loop: Header=BB354_370 Depth=1
	v_or_b32_e32 v10, 0x10000, v9
	v_cmp_eq_u32_sdwa s[6:7], v9, v17 src0_sel:WORD_0 src1_sel:DWORD
	v_cndmask_b32_e64 v35, v10, v9, s[6:7]
; %bb.627:                              ;   in Loop: Header=BB354_370 Depth=1
	s_or_b64 exec, exec, s[10:11]
	v_lshlrev_b32_e32 v8, 16, v8
	v_mul_f32_e32 v8, v61, v8
	v_and_b32_e32 v9, 0x7f800000, v8
	v_cmp_ne_u32_e64 s[6:7], s15, v9
                                        ; implicit-def: $vgpr18
	s_and_saveexec_b64 s[10:11], s[6:7]
	s_xor_b64 s[6:7], exec, s[10:11]
; %bb.628:                              ;   in Loop: Header=BB354_370 Depth=1
	v_bfe_u32 v9, v8, 16, 1
	v_add3_u32 v18, v8, v9, s34
                                        ; implicit-def: $vgpr8
; %bb.629:                              ;   in Loop: Header=BB354_370 Depth=1
	s_andn2_saveexec_b64 s[10:11], s[6:7]
; %bb.630:                              ;   in Loop: Header=BB354_370 Depth=1
	v_or_b32_e32 v9, 0x10000, v8
	v_cmp_eq_u32_sdwa s[6:7], v8, v17 src0_sel:WORD_0 src1_sel:DWORD
	v_cndmask_b32_e64 v18, v9, v8, s[6:7]
; %bb.631:                              ;   in Loop: Header=BB354_370 Depth=1
	s_or_b64 exec, exec, s[10:11]
	flat_load_dwordx2 v[8:9], v[6:7] offset:1024
	v_mov_b32_e32 v10, 0
	s_waitcnt vmcnt(0) lgkmcnt(0)
	v_cmp_ne_u16_sdwa s[6:7], v8, v17 src0_sel:BYTE_0 src1_sel:DWORD
	s_and_saveexec_b64 s[10:11], s[6:7]
	s_cbranch_execz .LBB354_637
; %bb.632:                              ;   in Loop: Header=BB354_370 Depth=1
	v_cmp_ne_u16_sdwa s[6:7], v8, s35 src0_sel:BYTE_0 src1_sel:DWORD
	v_bfrev_b32_e32 v10, 1
	s_and_saveexec_b64 s[28:29], s[6:7]
	s_cbranch_execz .LBB354_636
; %bb.633:                              ;   in Loop: Header=BB354_370 Depth=1
	v_and_b32_e32 v16, 0x7f, v8
	v_cmp_ne_u32_e64 s[6:7], s36, v16
	v_mov_b32_e32 v10, 0x7f800001
	s_and_saveexec_b64 s[30:31], s[6:7]
	s_cbranch_execz .LBB354_635
; %bb.634:                              ;   in Loop: Header=BB354_370 Depth=1
	v_and_b32_e32 v10, 7, v8
	v_ffbh_u32_e32 v10, v10
	v_min_u32_e32 v10, 32, v10
	v_subrev_u32_e32 v21, 28, v10
	v_cmp_gt_u32_e64 s[6:7], 8, v16
	v_lshrrev_b32_e32 v20, 3, v16
	v_sub_u32_e32 v10, 29, v10
	v_cndmask_b32_e64 v16, 0, v21, s[6:7]
	v_cndmask_b32_e64 v10, v20, v10, s[6:7]
	v_lshlrev_b64 v[20:21], v16, v[8:9]
	v_lshlrev_b32_e32 v16, 20, v20
	v_lshlrev_b32_e32 v20, 24, v8
	v_and_b32_e32 v16, 0x700000, v16
	v_and_b32_e32 v20, 0x80000000, v20
	v_lshl_add_u32 v10, v10, 23, v51
	v_or3_b32 v10, v20, v10, v16
.LBB354_635:                            ;   in Loop: Header=BB354_370 Depth=1
	s_or_b64 exec, exec, s[30:31]
.LBB354_636:                            ;   in Loop: Header=BB354_370 Depth=1
	s_or_b64 exec, exec, s[28:29]
.LBB354_637:                            ;   in Loop: Header=BB354_370 Depth=1
	s_or_b64 exec, exec, s[10:11]
	v_mul_f32_e32 v10, v11, v10
	v_and_b32_e32 v16, 0x7f800000, v10
	v_cmp_ne_u32_e64 s[6:7], s15, v16
                                        ; implicit-def: $vgpr20
	s_and_saveexec_b64 s[10:11], s[6:7]
	s_xor_b64 s[6:7], exec, s[10:11]
; %bb.638:                              ;   in Loop: Header=BB354_370 Depth=1
	v_bfe_u32 v16, v10, 16, 1
	v_add3_u32 v20, v10, v16, s34
                                        ; implicit-def: $vgpr10
; %bb.639:                              ;   in Loop: Header=BB354_370 Depth=1
	s_andn2_saveexec_b64 s[10:11], s[6:7]
; %bb.640:                              ;   in Loop: Header=BB354_370 Depth=1
	v_or_b32_e32 v16, 0x10000, v10
	v_cmp_eq_u32_sdwa s[6:7], v10, v17 src0_sel:WORD_0 src1_sel:DWORD
	v_cndmask_b32_e64 v20, v16, v10, s[6:7]
; %bb.641:                              ;   in Loop: Header=BB354_370 Depth=1
	s_or_b64 exec, exec, s[10:11]
	v_lshrrev_b16_e32 v10, 8, v8
	v_cmp_ne_u16_e64 s[6:7], 0, v10
	v_mov_b32_e32 v16, 0
	s_and_saveexec_b64 s[10:11], s[6:7]
	s_cbranch_execz .LBB354_647
; %bb.642:                              ;   in Loop: Header=BB354_370 Depth=1
	v_cmp_ne_u16_e64 s[6:7], s35, v10
	v_bfrev_b32_e32 v16, 1
	s_and_saveexec_b64 s[28:29], s[6:7]
	s_cbranch_execz .LBB354_646
; %bb.643:                              ;   in Loop: Header=BB354_370 Depth=1
	v_and_b32_e32 v21, 0x7f, v10
	v_cmp_ne_u32_e64 s[6:7], s36, v21
	v_mov_b32_e32 v16, 0x7f800001
	s_and_saveexec_b64 s[30:31], s[6:7]
	s_cbranch_execz .LBB354_645
; %bb.644:                              ;   in Loop: Header=BB354_370 Depth=1
	v_and_b32_e32 v16, 7, v10
	v_ffbh_u32_e32 v23, v16
	v_min_u32_e32 v23, 32, v23
	v_subrev_u32_e32 v24, 28, v23
	v_lshlrev_b64 v[24:25], v24, v[10:11]
	v_lshrrev_b32_e32 v22, 3, v21
	v_sub_u32_e32 v10, 29, v23
	v_and_b32_e32 v23, 7, v24
	v_cmp_gt_u32_e64 s[6:7], 8, v21
	v_cndmask_b32_e64 v10, v22, v10, s[6:7]
	v_cndmask_b32_e64 v16, v16, v23, s[6:7]
	v_lshlrev_b32_e32 v21, 16, v8
	v_lshlrev_b32_e32 v16, 20, v16
	v_and_b32_e32 v21, 0x80000000, v21
	v_lshl_add_u32 v10, v10, 23, v51
	v_or3_b32 v16, v21, v10, v16
.LBB354_645:                            ;   in Loop: Header=BB354_370 Depth=1
	s_or_b64 exec, exec, s[30:31]
.LBB354_646:                            ;   in Loop: Header=BB354_370 Depth=1
	s_or_b64 exec, exec, s[28:29]
.LBB354_647:                            ;   in Loop: Header=BB354_370 Depth=1
	s_or_b64 exec, exec, s[10:11]
	v_mul_f32_e32 v10, v11, v16
	v_and_b32_e32 v16, 0x7f800000, v10
	v_cmp_ne_u32_e64 s[6:7], s15, v16
                                        ; implicit-def: $vgpr21
	s_and_saveexec_b64 s[10:11], s[6:7]
	s_xor_b64 s[6:7], exec, s[10:11]
; %bb.648:                              ;   in Loop: Header=BB354_370 Depth=1
	v_bfe_u32 v16, v10, 16, 1
	v_add3_u32 v21, v10, v16, s34
                                        ; implicit-def: $vgpr10
; %bb.649:                              ;   in Loop: Header=BB354_370 Depth=1
	s_andn2_saveexec_b64 s[10:11], s[6:7]
; %bb.650:                              ;   in Loop: Header=BB354_370 Depth=1
	v_or_b32_e32 v16, 0x10000, v10
	v_cmp_eq_u32_sdwa s[6:7], v10, v17 src0_sel:WORD_0 src1_sel:DWORD
	v_cndmask_b32_e64 v21, v16, v10, s[6:7]
; %bb.651:                              ;   in Loop: Header=BB354_370 Depth=1
	s_or_b64 exec, exec, s[10:11]
	v_lshrrev_b32_e32 v10, 16, v8
	v_cmp_ne_u16_sdwa s[6:7], v10, v17 src0_sel:BYTE_0 src1_sel:DWORD
	v_mov_b32_e32 v16, 0
	s_and_saveexec_b64 s[10:11], s[6:7]
	s_cbranch_execz .LBB354_657
; %bb.652:                              ;   in Loop: Header=BB354_370 Depth=1
	v_cmp_ne_u16_sdwa s[6:7], v10, s35 src0_sel:BYTE_0 src1_sel:DWORD
	v_bfrev_b32_e32 v16, 1
	s_and_saveexec_b64 s[28:29], s[6:7]
	s_cbranch_execz .LBB354_656
; %bb.653:                              ;   in Loop: Header=BB354_370 Depth=1
	v_bfe_u32 v22, v8, 16, 7
	v_cmp_ne_u32_e64 s[6:7], s36, v22
	v_mov_b32_e32 v16, 0x7f800001
	s_and_saveexec_b64 s[30:31], s[6:7]
	s_cbranch_execz .LBB354_655
; %bb.654:                              ;   in Loop: Header=BB354_370 Depth=1
	v_and_b32_e32 v16, 7, v10
	v_ffbh_u32_e32 v24, v16
	v_min_u32_e32 v26, 32, v24
	v_subrev_u32_e32 v24, 28, v26
	v_lshlrev_b64 v[24:25], v24, v[10:11]
	v_lshrrev_b32_e32 v23, 3, v22
	v_sub_u32_e32 v25, 29, v26
	v_and_b32_e32 v24, 7, v24
	v_cmp_gt_u32_e64 s[6:7], 8, v22
	v_cndmask_b32_e64 v22, v23, v25, s[6:7]
	v_cndmask_b32_e64 v16, v16, v24, s[6:7]
	v_lshlrev_b32_e32 v10, 24, v10
	v_lshlrev_b32_e32 v16, 20, v16
	v_and_b32_e32 v10, 0x80000000, v10
	v_lshl_add_u32 v22, v22, 23, v51
	v_or3_b32 v16, v10, v22, v16
.LBB354_655:                            ;   in Loop: Header=BB354_370 Depth=1
	s_or_b64 exec, exec, s[30:31]
.LBB354_656:                            ;   in Loop: Header=BB354_370 Depth=1
	s_or_b64 exec, exec, s[28:29]
.LBB354_657:                            ;   in Loop: Header=BB354_370 Depth=1
	s_or_b64 exec, exec, s[10:11]
	v_mul_f32_e32 v10, v11, v16
	v_and_b32_e32 v16, 0x7f800000, v10
	v_cmp_ne_u32_e64 s[6:7], s15, v16
                                        ; implicit-def: $vgpr22
	s_and_saveexec_b64 s[10:11], s[6:7]
	s_xor_b64 s[6:7], exec, s[10:11]
; %bb.658:                              ;   in Loop: Header=BB354_370 Depth=1
	v_bfe_u32 v16, v10, 16, 1
	v_add3_u32 v22, v10, v16, s34
                                        ; implicit-def: $vgpr10
; %bb.659:                              ;   in Loop: Header=BB354_370 Depth=1
	s_andn2_saveexec_b64 s[10:11], s[6:7]
; %bb.660:                              ;   in Loop: Header=BB354_370 Depth=1
	v_or_b32_e32 v16, 0x10000, v10
	v_cmp_eq_u32_sdwa s[6:7], v10, v17 src0_sel:WORD_0 src1_sel:DWORD
	v_cndmask_b32_e64 v22, v16, v10, s[6:7]
; %bb.661:                              ;   in Loop: Header=BB354_370 Depth=1
	s_or_b64 exec, exec, s[10:11]
	v_cmp_lt_u32_e64 s[6:7], s25, v8
	v_mov_b32_e32 v16, 0
	s_and_saveexec_b64 s[10:11], s[6:7]
	s_cbranch_execz .LBB354_667
; %bb.662:                              ;   in Loop: Header=BB354_370 Depth=1
	v_lshrrev_b32_e32 v10, 24, v8
	v_cmp_ne_u32_e64 s[6:7], s35, v10
	v_bfrev_b32_e32 v16, 1
	s_and_saveexec_b64 s[28:29], s[6:7]
	s_cbranch_execz .LBB354_666
; %bb.663:                              ;   in Loop: Header=BB354_370 Depth=1
	v_bfe_u32 v24, v8, 24, 7
	v_cmp_ne_u32_e64 s[6:7], s36, v24
	v_mov_b32_e32 v16, 0x7f800001
	s_and_saveexec_b64 s[30:31], s[6:7]
	s_cbranch_execz .LBB354_665
; %bb.664:                              ;   in Loop: Header=BB354_370 Depth=1
	v_and_b32_e32 v16, 7, v10
	v_ffbh_u32_e32 v25, v16
	v_min_u32_e32 v25, 32, v25
	v_subrev_u32_e32 v26, 28, v25
	v_lshlrev_b64 v[26:27], v26, v[10:11]
	v_lshrrev_b32_e32 v23, 3, v24
	v_sub_u32_e32 v25, 29, v25
	v_and_b32_e32 v26, 7, v26
	v_cmp_gt_u32_e64 s[6:7], 8, v24
	v_cndmask_b32_e64 v23, v23, v25, s[6:7]
	v_cndmask_b32_e64 v16, v16, v26, s[6:7]
	v_lshlrev_b32_e32 v10, 24, v10
	v_lshlrev_b32_e32 v16, 20, v16
	v_and_b32_e32 v10, 0x80000000, v10
	v_lshl_add_u32 v23, v23, 23, v51
	v_or3_b32 v16, v10, v23, v16
.LBB354_665:                            ;   in Loop: Header=BB354_370 Depth=1
	s_or_b64 exec, exec, s[30:31]
.LBB354_666:                            ;   in Loop: Header=BB354_370 Depth=1
	s_or_b64 exec, exec, s[28:29]
.LBB354_667:                            ;   in Loop: Header=BB354_370 Depth=1
	s_or_b64 exec, exec, s[10:11]
	v_mul_f32_e32 v10, v11, v16
	v_and_b32_e32 v16, 0x7f800000, v10
	v_cmp_ne_u32_e64 s[6:7], s15, v16
                                        ; implicit-def: $vgpr24
	s_and_saveexec_b64 s[10:11], s[6:7]
	s_xor_b64 s[6:7], exec, s[10:11]
; %bb.668:                              ;   in Loop: Header=BB354_370 Depth=1
	v_bfe_u32 v16, v10, 16, 1
	v_add3_u32 v24, v10, v16, s34
                                        ; implicit-def: $vgpr10
; %bb.669:                              ;   in Loop: Header=BB354_370 Depth=1
	s_andn2_saveexec_b64 s[10:11], s[6:7]
; %bb.670:                              ;   in Loop: Header=BB354_370 Depth=1
	v_or_b32_e32 v16, 0x10000, v10
	v_cmp_eq_u32_sdwa s[6:7], v10, v17 src0_sel:WORD_0 src1_sel:DWORD
	v_cndmask_b32_e64 v24, v16, v10, s[6:7]
; %bb.671:                              ;   in Loop: Header=BB354_370 Depth=1
	s_or_b64 exec, exec, s[10:11]
	v_mov_b32_e32 v16, v9
	v_cmp_ne_u16_sdwa s[6:7], v9, v17 src0_sel:BYTE_0 src1_sel:DWORD
	v_mov_b32_e32 v10, 0
	s_and_saveexec_b64 s[10:11], s[6:7]
	s_cbranch_execz .LBB354_677
; %bb.672:                              ;   in Loop: Header=BB354_370 Depth=1
	v_cmp_ne_u16_sdwa s[6:7], v9, s35 src0_sel:BYTE_0 src1_sel:DWORD
	v_bfrev_b32_e32 v10, 1
	s_and_saveexec_b64 s[28:29], s[6:7]
	s_cbranch_execz .LBB354_676
; %bb.673:                              ;   in Loop: Header=BB354_370 Depth=1
	v_and_b32_e32 v25, 0x7f, v9
	v_cmp_ne_u32_e64 s[6:7], s36, v25
	v_mov_b32_e32 v10, 0x7f800001
	s_and_saveexec_b64 s[30:31], s[6:7]
	s_cbranch_execz .LBB354_675
; %bb.674:                              ;   in Loop: Header=BB354_370 Depth=1
	v_and_b32_e32 v10, 7, v9
	v_ffbh_u32_e32 v10, v10
	v_min_u32_e32 v10, 32, v10
	v_lshrrev_b32_e32 v23, 3, v25
	v_subrev_u32_e32 v26, 28, v10
	v_sub_u32_e32 v10, 29, v10
	v_cmp_gt_u32_e64 s[6:7], 8, v25
	v_cndmask_b32_e64 v10, v23, v10, s[6:7]
	v_cndmask_b32_e64 v23, 0, v26, s[6:7]
	v_lshlrev_b64 v[26:27], v23, v[16:17]
	v_lshlrev_b32_e32 v23, 20, v26
	v_lshlrev_b32_e32 v25, 24, v16
	v_and_b32_e32 v23, 0x700000, v23
	v_and_b32_e32 v25, 0x80000000, v25
	v_lshl_add_u32 v10, v10, 23, v51
	v_or3_b32 v10, v25, v10, v23
.LBB354_675:                            ;   in Loop: Header=BB354_370 Depth=1
	s_or_b64 exec, exec, s[30:31]
.LBB354_676:                            ;   in Loop: Header=BB354_370 Depth=1
	s_or_b64 exec, exec, s[28:29]
.LBB354_677:                            ;   in Loop: Header=BB354_370 Depth=1
	s_or_b64 exec, exec, s[10:11]
	v_mul_f32_e32 v10, v11, v10
	v_and_b32_e32 v23, 0x7f800000, v10
	v_cmp_ne_u32_e64 s[6:7], s15, v23
                                        ; implicit-def: $vgpr25
	s_and_saveexec_b64 s[10:11], s[6:7]
	s_xor_b64 s[6:7], exec, s[10:11]
; %bb.678:                              ;   in Loop: Header=BB354_370 Depth=1
	v_bfe_u32 v23, v10, 16, 1
	v_add3_u32 v25, v10, v23, s34
                                        ; implicit-def: $vgpr10
; %bb.679:                              ;   in Loop: Header=BB354_370 Depth=1
	s_andn2_saveexec_b64 s[10:11], s[6:7]
; %bb.680:                              ;   in Loop: Header=BB354_370 Depth=1
	v_or_b32_e32 v23, 0x10000, v10
	v_cmp_eq_u32_sdwa s[6:7], v10, v17 src0_sel:WORD_0 src1_sel:DWORD
	v_cndmask_b32_e64 v25, v23, v10, s[6:7]
; %bb.681:                              ;   in Loop: Header=BB354_370 Depth=1
	s_or_b64 exec, exec, s[10:11]
	v_lshrrev_b16_e32 v10, 8, v16
	v_cmp_ne_u16_e64 s[6:7], 0, v10
	v_mov_b32_e32 v26, 0
	s_and_saveexec_b64 s[10:11], s[6:7]
	s_cbranch_execz .LBB354_687
; %bb.682:                              ;   in Loop: Header=BB354_370 Depth=1
	v_cmp_ne_u16_e64 s[6:7], s35, v10
	v_bfrev_b32_e32 v26, 1
	s_and_saveexec_b64 s[28:29], s[6:7]
	s_cbranch_execz .LBB354_686
; %bb.683:                              ;   in Loop: Header=BB354_370 Depth=1
	v_and_b32_e32 v27, 0x7f, v10
	v_cmp_ne_u32_e64 s[6:7], s36, v27
	v_mov_b32_e32 v26, 0x7f800001
	s_and_saveexec_b64 s[30:31], s[6:7]
	s_cbranch_execz .LBB354_685
; %bb.684:                              ;   in Loop: Header=BB354_370 Depth=1
	v_and_b32_e32 v23, 7, v10
	v_ffbh_u32_e32 v28, v23
	v_min_u32_e32 v28, 32, v28
	v_subrev_u32_e32 v36, 28, v28
	v_lshlrev_b64 v[46:47], v36, v[10:11]
	v_lshrrev_b32_e32 v26, 3, v27
	v_sub_u32_e32 v10, 29, v28
	v_and_b32_e32 v28, 7, v46
	v_cmp_gt_u32_e64 s[6:7], 8, v27
	v_cndmask_b32_e64 v10, v26, v10, s[6:7]
	v_cndmask_b32_e64 v23, v23, v28, s[6:7]
	v_lshlrev_b32_e32 v16, 16, v16
	v_lshlrev_b32_e32 v23, 20, v23
	v_and_b32_e32 v16, 0x80000000, v16
	v_lshl_add_u32 v10, v10, 23, v51
	v_or3_b32 v26, v16, v10, v23
.LBB354_685:                            ;   in Loop: Header=BB354_370 Depth=1
	s_or_b64 exec, exec, s[30:31]
.LBB354_686:                            ;   in Loop: Header=BB354_370 Depth=1
	s_or_b64 exec, exec, s[28:29]
.LBB354_687:                            ;   in Loop: Header=BB354_370 Depth=1
	s_or_b64 exec, exec, s[10:11]
	v_mul_f32_e32 v10, v11, v26
	v_and_b32_e32 v16, 0x7f800000, v10
	v_cmp_ne_u32_e64 s[6:7], s15, v16
                                        ; implicit-def: $vgpr16
	s_and_saveexec_b64 s[10:11], s[6:7]
	s_xor_b64 s[6:7], exec, s[10:11]
; %bb.688:                              ;   in Loop: Header=BB354_370 Depth=1
	v_bfe_u32 v16, v10, 16, 1
	v_add3_u32 v16, v10, v16, s34
                                        ; implicit-def: $vgpr10
; %bb.689:                              ;   in Loop: Header=BB354_370 Depth=1
	s_andn2_saveexec_b64 s[10:11], s[6:7]
; %bb.690:                              ;   in Loop: Header=BB354_370 Depth=1
	v_or_b32_e32 v16, 0x10000, v10
	v_cmp_eq_u32_sdwa s[6:7], v10, v17 src0_sel:WORD_0 src1_sel:DWORD
	v_cndmask_b32_e64 v16, v16, v10, s[6:7]
; %bb.691:                              ;   in Loop: Header=BB354_370 Depth=1
	s_or_b64 exec, exec, s[10:11]
	v_lshrrev_b32_e32 v10, 16, v9
	v_cmp_ne_u16_sdwa s[6:7], v10, v17 src0_sel:BYTE_0 src1_sel:DWORD
	v_mov_b32_e32 v26, 0
	s_and_saveexec_b64 s[10:11], s[6:7]
	s_cbranch_execz .LBB354_697
; %bb.692:                              ;   in Loop: Header=BB354_370 Depth=1
	v_cmp_ne_u16_sdwa s[6:7], v10, s35 src0_sel:BYTE_0 src1_sel:DWORD
	v_bfrev_b32_e32 v26, 1
	s_and_saveexec_b64 s[28:29], s[6:7]
	s_cbranch_execz .LBB354_696
; %bb.693:                              ;   in Loop: Header=BB354_370 Depth=1
	v_bfe_u32 v27, v9, 16, 7
	v_cmp_ne_u32_e64 s[6:7], s36, v27
	v_mov_b32_e32 v26, 0x7f800001
	s_and_saveexec_b64 s[30:31], s[6:7]
	s_cbranch_execz .LBB354_695
; %bb.694:                              ;   in Loop: Header=BB354_370 Depth=1
	v_and_b32_e32 v23, 7, v10
	v_ffbh_u32_e32 v28, v23
	v_min_u32_e32 v28, 32, v28
	v_subrev_u32_e32 v36, 28, v28
	v_lshlrev_b64 v[46:47], v36, v[10:11]
	v_lshrrev_b32_e32 v26, 3, v27
	v_sub_u32_e32 v28, 29, v28
	v_and_b32_e32 v36, 7, v46
	v_cmp_gt_u32_e64 s[6:7], 8, v27
	v_cndmask_b32_e64 v26, v26, v28, s[6:7]
	v_cndmask_b32_e64 v23, v23, v36, s[6:7]
	v_lshlrev_b32_e32 v10, 24, v10
	v_lshlrev_b32_e32 v23, 20, v23
	v_and_b32_e32 v10, 0x80000000, v10
	v_lshl_add_u32 v26, v26, 23, v51
	v_or3_b32 v26, v10, v26, v23
.LBB354_695:                            ;   in Loop: Header=BB354_370 Depth=1
	s_or_b64 exec, exec, s[30:31]
.LBB354_696:                            ;   in Loop: Header=BB354_370 Depth=1
	s_or_b64 exec, exec, s[28:29]
.LBB354_697:                            ;   in Loop: Header=BB354_370 Depth=1
	s_or_b64 exec, exec, s[10:11]
	v_mul_f32_e32 v26, v11, v26
	v_and_b32_e32 v10, 0x7f800000, v26
	v_cmp_ne_u32_e64 s[6:7], s15, v10
                                        ; implicit-def: $vgpr10
	s_and_saveexec_b64 s[10:11], s[6:7]
	s_xor_b64 s[6:7], exec, s[10:11]
; %bb.698:                              ;   in Loop: Header=BB354_370 Depth=1
	v_bfe_u32 v10, v26, 16, 1
	v_add3_u32 v10, v26, v10, s34
                                        ; implicit-def: $vgpr26
; %bb.699:                              ;   in Loop: Header=BB354_370 Depth=1
	s_andn2_saveexec_b64 s[10:11], s[6:7]
; %bb.700:                              ;   in Loop: Header=BB354_370 Depth=1
	v_or_b32_e32 v10, 0x10000, v26
	v_cmp_eq_u32_sdwa s[6:7], v26, v17 src0_sel:WORD_0 src1_sel:DWORD
	v_cndmask_b32_e64 v10, v10, v26, s[6:7]
; %bb.701:                              ;   in Loop: Header=BB354_370 Depth=1
	s_or_b64 exec, exec, s[10:11]
	v_cmp_lt_u64_e64 s[6:7], s[24:25], v[8:9]
	v_mov_b32_e32 v26, 0
	s_and_saveexec_b64 s[10:11], s[6:7]
	s_cbranch_execz .LBB354_707
; %bb.702:                              ;   in Loop: Header=BB354_370 Depth=1
	v_lshrrev_b32_e32 v8, 24, v9
	v_cmp_ne_u32_e64 s[6:7], s35, v8
	v_bfrev_b32_e32 v26, 1
	s_and_saveexec_b64 s[28:29], s[6:7]
	s_cbranch_execz .LBB354_706
; %bb.703:                              ;   in Loop: Header=BB354_370 Depth=1
	v_bfe_u32 v9, v9, 24, 7
	v_cmp_ne_u32_e64 s[6:7], s36, v9
	v_mov_b32_e32 v26, 0x7f800001
	s_and_saveexec_b64 s[30:31], s[6:7]
	s_cbranch_execz .LBB354_705
; %bb.704:                              ;   in Loop: Header=BB354_370 Depth=1
	v_and_b32_e32 v23, 7, v8
	v_ffbh_u32_e32 v26, v23
	v_min_u32_e32 v36, 32, v26
	v_subrev_u32_e32 v26, 28, v36
	v_lshlrev_b64 v[26:27], v26, v[8:9]
	v_lshrrev_b32_e32 v28, 3, v9
	v_sub_u32_e32 v27, 29, v36
	v_and_b32_e32 v26, 7, v26
	v_cmp_gt_u32_e64 s[6:7], 8, v9
	v_cndmask_b32_e64 v9, v28, v27, s[6:7]
	v_cndmask_b32_e64 v23, v23, v26, s[6:7]
	v_lshlrev_b32_e32 v8, 24, v8
	v_lshlrev_b32_e32 v23, 20, v23
	v_and_b32_e32 v8, 0x80000000, v8
	v_lshl_add_u32 v9, v9, 23, v51
	v_or3_b32 v26, v8, v9, v23
.LBB354_705:                            ;   in Loop: Header=BB354_370 Depth=1
	s_or_b64 exec, exec, s[30:31]
.LBB354_706:                            ;   in Loop: Header=BB354_370 Depth=1
	s_or_b64 exec, exec, s[28:29]
.LBB354_707:                            ;   in Loop: Header=BB354_370 Depth=1
	s_or_b64 exec, exec, s[10:11]
	v_mul_f32_e32 v9, v11, v26
	v_and_b32_e32 v8, 0x7f800000, v9
	v_cmp_ne_u32_e64 s[6:7], s15, v8
                                        ; implicit-def: $vgpr8
	s_and_saveexec_b64 s[10:11], s[6:7]
	s_xor_b64 s[6:7], exec, s[10:11]
; %bb.708:                              ;   in Loop: Header=BB354_370 Depth=1
	v_bfe_u32 v8, v9, 16, 1
	v_add3_u32 v8, v9, v8, s34
                                        ; implicit-def: $vgpr9
; %bb.709:                              ;   in Loop: Header=BB354_370 Depth=1
	s_andn2_saveexec_b64 s[10:11], s[6:7]
; %bb.710:                              ;   in Loop: Header=BB354_370 Depth=1
	v_or_b32_e32 v8, 0x10000, v9
	v_cmp_eq_u32_sdwa s[6:7], v9, v17 src0_sel:WORD_0 src1_sel:DWORD
	v_cndmask_b32_e64 v8, v8, v9, s[6:7]
; %bb.711:                              ;   in Loop: Header=BB354_370 Depth=1
	s_or_b64 exec, exec, s[10:11]
	v_lshrrev_b32_e32 v26, 16, v16
	v_lshrrev_b32_e32 v25, 16, v25
	;; [unrolled: 1-line block ×8, first 2 shown]
	s_and_saveexec_b64 s[10:11], vcc
	s_cbranch_execz .LBB354_713
; %bb.712:                              ;   in Loop: Header=BB354_370 Depth=1
	v_accvgpr_read_b32 v10, a3
	v_cmp_lt_i32_e64 s[6:7], v48, v10
	v_cndmask_b32_e64 v9, 0, v9, s[6:7]
	v_cmp_lt_i32_e64 s[6:7], v40, v10
	v_accvgpr_read_b32 v20, a26
	v_cndmask_b32_e64 v21, 0, v21, s[6:7]
	v_cmp_lt_i32_e64 s[6:7], v20, v10
	v_cndmask_b32_e64 v22, 0, v22, s[6:7]
	v_cmp_lt_i32_e64 s[6:7], v52, v10
	v_accvgpr_read_b32 v20, a25
	v_cndmask_b32_e64 v24, 0, v24, s[6:7]
	v_cmp_lt_i32_e64 s[6:7], v20, v10
	v_accvgpr_read_b32 v20, a24
	;; [unrolled: 3-line block ×4, first 2 shown]
	v_cndmask_b32_e64 v16, 0, v16, s[6:7]
	v_cmp_lt_i32_e64 s[6:7], v20, v10
	v_cndmask_b32_e64 v8, 0, v8, s[6:7]
.LBB354_713:                            ;   in Loop: Header=BB354_370 Depth=1
	s_or_b64 exec, exec, s[10:11]
	v_lshlrev_b32_e32 v9, 16, v9
	v_mul_f32_e32 v10, v42, v9
	v_and_b32_e32 v9, 0x7f800000, v10
	v_cmp_ne_u32_e64 s[6:7], s15, v9
                                        ; implicit-def: $vgpr9
	s_and_saveexec_b64 s[10:11], s[6:7]
	s_xor_b64 s[6:7], exec, s[10:11]
; %bb.714:                              ;   in Loop: Header=BB354_370 Depth=1
	v_bfe_u32 v9, v10, 16, 1
	v_add3_u32 v9, v10, v9, s34
                                        ; implicit-def: $vgpr10
; %bb.715:                              ;   in Loop: Header=BB354_370 Depth=1
	s_andn2_saveexec_b64 s[10:11], s[6:7]
; %bb.716:                              ;   in Loop: Header=BB354_370 Depth=1
	v_or_b32_e32 v9, 0x10000, v10
	v_cmp_eq_u32_sdwa s[6:7], v10, v17 src0_sel:WORD_0 src1_sel:DWORD
	v_cndmask_b32_e64 v9, v9, v10, s[6:7]
; %bb.717:                              ;   in Loop: Header=BB354_370 Depth=1
	s_or_b64 exec, exec, s[10:11]
	v_lshlrev_b32_e32 v10, 16, v21
	v_mul_f32_e32 v20, v44, v10
	v_and_b32_e32 v10, 0x7f800000, v20
	v_cmp_ne_u32_e64 s[6:7], s15, v10
                                        ; implicit-def: $vgpr10
	s_and_saveexec_b64 s[10:11], s[6:7]
	s_xor_b64 s[6:7], exec, s[10:11]
; %bb.718:                              ;   in Loop: Header=BB354_370 Depth=1
	v_bfe_u32 v10, v20, 16, 1
	v_add3_u32 v10, v20, v10, s34
                                        ; implicit-def: $vgpr20
; %bb.719:                              ;   in Loop: Header=BB354_370 Depth=1
	s_andn2_saveexec_b64 s[10:11], s[6:7]
; %bb.720:                              ;   in Loop: Header=BB354_370 Depth=1
	v_or_b32_e32 v10, 0x10000, v20
	v_cmp_eq_u32_sdwa s[6:7], v20, v17 src0_sel:WORD_0 src1_sel:DWORD
	v_cndmask_b32_e64 v10, v10, v20, s[6:7]
; %bb.721:                              ;   in Loop: Header=BB354_370 Depth=1
	s_or_b64 exec, exec, s[10:11]
	v_lshlrev_b32_e32 v20, 16, v22
	v_mul_f32_e32 v20, v56, v20
	v_and_b32_e32 v21, 0x7f800000, v20
	v_cmp_ne_u32_e64 s[6:7], s15, v21
                                        ; implicit-def: $vgpr21
	s_and_saveexec_b64 s[10:11], s[6:7]
	s_xor_b64 s[6:7], exec, s[10:11]
; %bb.722:                              ;   in Loop: Header=BB354_370 Depth=1
	v_bfe_u32 v21, v20, 16, 1
	v_add3_u32 v21, v20, v21, s34
                                        ; implicit-def: $vgpr20
; %bb.723:                              ;   in Loop: Header=BB354_370 Depth=1
	s_andn2_saveexec_b64 s[10:11], s[6:7]
; %bb.724:                              ;   in Loop: Header=BB354_370 Depth=1
	v_or_b32_e32 v21, 0x10000, v20
	v_cmp_eq_u32_sdwa s[6:7], v20, v17 src0_sel:WORD_0 src1_sel:DWORD
	v_cndmask_b32_e64 v21, v21, v20, s[6:7]
; %bb.725:                              ;   in Loop: Header=BB354_370 Depth=1
	s_or_b64 exec, exec, s[10:11]
	v_lshlrev_b32_e32 v20, 16, v24
	v_mul_f32_e32 v20, v57, v20
	v_and_b32_e32 v22, 0x7f800000, v20
	v_cmp_ne_u32_e64 s[6:7], s15, v22
                                        ; implicit-def: $vgpr27
	s_and_saveexec_b64 s[10:11], s[6:7]
	s_xor_b64 s[6:7], exec, s[10:11]
; %bb.726:                              ;   in Loop: Header=BB354_370 Depth=1
	v_bfe_u32 v22, v20, 16, 1
	v_add3_u32 v27, v20, v22, s34
                                        ; implicit-def: $vgpr20
; %bb.727:                              ;   in Loop: Header=BB354_370 Depth=1
	s_andn2_saveexec_b64 s[10:11], s[6:7]
; %bb.728:                              ;   in Loop: Header=BB354_370 Depth=1
	v_or_b32_e32 v22, 0x10000, v20
	v_cmp_eq_u32_sdwa s[6:7], v20, v17 src0_sel:WORD_0 src1_sel:DWORD
	v_cndmask_b32_e64 v27, v22, v20, s[6:7]
; %bb.729:                              ;   in Loop: Header=BB354_370 Depth=1
	s_or_b64 exec, exec, s[10:11]
	v_lshlrev_b32_e32 v20, 16, v25
	v_mul_f32_e32 v20, v58, v20
	v_and_b32_e32 v22, 0x7f800000, v20
	v_cmp_ne_u32_e64 s[6:7], s15, v22
                                        ; implicit-def: $vgpr45
	s_and_saveexec_b64 s[10:11], s[6:7]
	s_xor_b64 s[6:7], exec, s[10:11]
; %bb.730:                              ;   in Loop: Header=BB354_370 Depth=1
	v_bfe_u32 v22, v20, 16, 1
	v_add3_u32 v45, v20, v22, s34
                                        ; implicit-def: $vgpr20
; %bb.731:                              ;   in Loop: Header=BB354_370 Depth=1
	s_andn2_saveexec_b64 s[10:11], s[6:7]
; %bb.732:                              ;   in Loop: Header=BB354_370 Depth=1
	v_or_b32_e32 v22, 0x10000, v20
	v_cmp_eq_u32_sdwa s[6:7], v20, v17 src0_sel:WORD_0 src1_sel:DWORD
	v_cndmask_b32_e64 v45, v22, v20, s[6:7]
; %bb.733:                              ;   in Loop: Header=BB354_370 Depth=1
	s_or_b64 exec, exec, s[10:11]
	v_lshlrev_b32_e32 v20, 16, v26
	v_mul_f32_e32 v20, v59, v20
	v_and_b32_e32 v22, 0x7f800000, v20
	v_cmp_ne_u32_e64 s[6:7], s15, v22
                                        ; implicit-def: $vgpr46
	s_and_saveexec_b64 s[10:11], s[6:7]
	s_xor_b64 s[6:7], exec, s[10:11]
; %bb.734:                              ;   in Loop: Header=BB354_370 Depth=1
	v_bfe_u32 v22, v20, 16, 1
	v_add3_u32 v46, v20, v22, s34
                                        ; implicit-def: $vgpr20
; %bb.735:                              ;   in Loop: Header=BB354_370 Depth=1
	s_andn2_saveexec_b64 s[10:11], s[6:7]
; %bb.736:                              ;   in Loop: Header=BB354_370 Depth=1
	v_or_b32_e32 v22, 0x10000, v20
	v_cmp_eq_u32_sdwa s[6:7], v20, v17 src0_sel:WORD_0 src1_sel:DWORD
	v_cndmask_b32_e64 v46, v22, v20, s[6:7]
; %bb.737:                              ;   in Loop: Header=BB354_370 Depth=1
	s_or_b64 exec, exec, s[10:11]
	v_lshlrev_b32_e32 v16, 16, v16
	v_mul_f32_e32 v16, v60, v16
	v_and_b32_e32 v20, 0x7f800000, v16
	v_cmp_ne_u32_e64 s[6:7], s15, v20
                                        ; implicit-def: $vgpr47
	s_and_saveexec_b64 s[10:11], s[6:7]
	s_xor_b64 s[6:7], exec, s[10:11]
; %bb.738:                              ;   in Loop: Header=BB354_370 Depth=1
	v_bfe_u32 v20, v16, 16, 1
	v_add3_u32 v47, v16, v20, s34
                                        ; implicit-def: $vgpr16
; %bb.739:                              ;   in Loop: Header=BB354_370 Depth=1
	s_andn2_saveexec_b64 s[10:11], s[6:7]
; %bb.740:                              ;   in Loop: Header=BB354_370 Depth=1
	v_or_b32_e32 v20, 0x10000, v16
	v_cmp_eq_u32_sdwa s[6:7], v16, v17 src0_sel:WORD_0 src1_sel:DWORD
	v_cndmask_b32_e64 v47, v20, v16, s[6:7]
; %bb.741:                              ;   in Loop: Header=BB354_370 Depth=1
	s_or_b64 exec, exec, s[10:11]
	v_lshlrev_b32_e32 v8, 16, v8
	v_mul_f32_e32 v8, v61, v8
	v_and_b32_e32 v16, 0x7f800000, v8
	v_cmp_ne_u32_e64 s[6:7], s15, v16
                                        ; implicit-def: $vgpr26
	s_and_saveexec_b64 s[10:11], s[6:7]
	s_xor_b64 s[6:7], exec, s[10:11]
; %bb.742:                              ;   in Loop: Header=BB354_370 Depth=1
	v_bfe_u32 v16, v8, 16, 1
	v_add3_u32 v26, v8, v16, s34
                                        ; implicit-def: $vgpr8
; %bb.743:                              ;   in Loop: Header=BB354_370 Depth=1
	s_andn2_saveexec_b64 s[10:11], s[6:7]
; %bb.744:                              ;   in Loop: Header=BB354_370 Depth=1
	v_or_b32_e32 v16, 0x10000, v8
	v_cmp_eq_u32_sdwa s[6:7], v8, v17 src0_sel:WORD_0 src1_sel:DWORD
	v_cndmask_b32_e64 v26, v16, v8, s[6:7]
; %bb.745:                              ;   in Loop: Header=BB354_370 Depth=1
	s_or_b64 exec, exec, s[10:11]
	flat_load_dwordx2 v[6:7], v[6:7] offset:1536
	v_mov_b32_e32 v8, 0
	s_waitcnt vmcnt(0) lgkmcnt(0)
	v_cmp_ne_u16_sdwa s[6:7], v6, v17 src0_sel:BYTE_0 src1_sel:DWORD
	s_and_saveexec_b64 s[10:11], s[6:7]
	s_cbranch_execz .LBB354_751
; %bb.746:                              ;   in Loop: Header=BB354_370 Depth=1
	v_cmp_ne_u16_sdwa s[6:7], v6, s35 src0_sel:BYTE_0 src1_sel:DWORD
	v_bfrev_b32_e32 v8, 1
	s_and_saveexec_b64 s[28:29], s[6:7]
	s_cbranch_execz .LBB354_750
; %bb.747:                              ;   in Loop: Header=BB354_370 Depth=1
	v_and_b32_e32 v16, 0x7f, v6
	v_cmp_ne_u32_e64 s[6:7], s36, v16
	v_mov_b32_e32 v8, 0x7f800001
	s_and_saveexec_b64 s[30:31], s[6:7]
	s_cbranch_execz .LBB354_749
; %bb.748:                              ;   in Loop: Header=BB354_370 Depth=1
	v_and_b32_e32 v8, 7, v6
	v_ffbh_u32_e32 v8, v8
	v_min_u32_e32 v8, 32, v8
	v_subrev_u32_e32 v22, 28, v8
	v_cmp_gt_u32_e64 s[6:7], 8, v16
	v_lshrrev_b32_e32 v20, 3, v16
	v_cndmask_b32_e64 v16, 0, v22, s[6:7]
	v_sub_u32_e32 v8, 29, v8
	v_lshlrev_b64 v[24:25], v16, v[6:7]
	v_cndmask_b32_e64 v8, v20, v8, s[6:7]
	v_lshlrev_b32_e32 v16, 20, v24
	v_lshlrev_b32_e32 v20, 24, v6
	v_and_b32_e32 v16, 0x700000, v16
	v_and_b32_e32 v20, 0x80000000, v20
	v_lshl_add_u32 v8, v8, 23, v51
	v_or3_b32 v8, v20, v8, v16
.LBB354_749:                            ;   in Loop: Header=BB354_370 Depth=1
	s_or_b64 exec, exec, s[30:31]
.LBB354_750:                            ;   in Loop: Header=BB354_370 Depth=1
	s_or_b64 exec, exec, s[28:29]
.LBB354_751:                            ;   in Loop: Header=BB354_370 Depth=1
	s_or_b64 exec, exec, s[10:11]
	v_mul_f32_e32 v8, v11, v8
	v_and_b32_e32 v16, 0x7f800000, v8
	v_cmp_ne_u32_e64 s[6:7], s15, v16
                                        ; implicit-def: $vgpr20
	s_and_saveexec_b64 s[10:11], s[6:7]
	s_xor_b64 s[6:7], exec, s[10:11]
; %bb.752:                              ;   in Loop: Header=BB354_370 Depth=1
	v_bfe_u32 v16, v8, 16, 1
	v_add3_u32 v20, v8, v16, s34
                                        ; implicit-def: $vgpr8
; %bb.753:                              ;   in Loop: Header=BB354_370 Depth=1
	s_andn2_saveexec_b64 s[10:11], s[6:7]
; %bb.754:                              ;   in Loop: Header=BB354_370 Depth=1
	v_or_b32_e32 v16, 0x10000, v8
	v_cmp_eq_u32_sdwa s[6:7], v8, v17 src0_sel:WORD_0 src1_sel:DWORD
	v_cndmask_b32_e64 v20, v16, v8, s[6:7]
; %bb.755:                              ;   in Loop: Header=BB354_370 Depth=1
	s_or_b64 exec, exec, s[10:11]
	v_lshrrev_b16_e32 v8, 8, v6
	v_cmp_ne_u16_e64 s[6:7], 0, v8
	v_mov_b32_e32 v16, 0
	s_and_saveexec_b64 s[10:11], s[6:7]
	s_cbranch_execz .LBB354_761
; %bb.756:                              ;   in Loop: Header=BB354_370 Depth=1
	v_cmp_ne_u16_e64 s[6:7], s35, v8
	v_bfrev_b32_e32 v16, 1
	s_and_saveexec_b64 s[28:29], s[6:7]
	s_cbranch_execz .LBB354_760
; %bb.757:                              ;   in Loop: Header=BB354_370 Depth=1
	v_and_b32_e32 v22, 0x7f, v8
	v_cmp_ne_u32_e64 s[6:7], s36, v22
	v_mov_b32_e32 v16, 0x7f800001
	s_and_saveexec_b64 s[30:31], s[6:7]
	s_cbranch_execz .LBB354_759
; %bb.758:                              ;   in Loop: Header=BB354_370 Depth=1
	v_and_b32_e32 v16, 7, v8
	v_ffbh_u32_e32 v24, v16
	v_min_u32_e32 v28, 32, v24
	v_subrev_u32_e32 v24, 28, v28
	v_lshlrev_b64 v[24:25], v24, v[8:9]
	v_lshrrev_b32_e32 v23, 3, v22
	v_sub_u32_e32 v8, 29, v28
	v_and_b32_e32 v24, 7, v24
	v_cmp_gt_u32_e64 s[6:7], 8, v22
	v_cndmask_b32_e64 v8, v23, v8, s[6:7]
	v_cndmask_b32_e64 v16, v16, v24, s[6:7]
	v_lshlrev_b32_e32 v22, 16, v6
	v_lshlrev_b32_e32 v16, 20, v16
	v_and_b32_e32 v22, 0x80000000, v22
	v_lshl_add_u32 v8, v8, 23, v51
	v_or3_b32 v16, v22, v8, v16
.LBB354_759:                            ;   in Loop: Header=BB354_370 Depth=1
	s_or_b64 exec, exec, s[30:31]
.LBB354_760:                            ;   in Loop: Header=BB354_370 Depth=1
	s_or_b64 exec, exec, s[28:29]
.LBB354_761:                            ;   in Loop: Header=BB354_370 Depth=1
	s_or_b64 exec, exec, s[10:11]
	v_mul_f32_e32 v8, v11, v16
	v_and_b32_e32 v16, 0x7f800000, v8
	v_cmp_ne_u32_e64 s[6:7], s15, v16
                                        ; implicit-def: $vgpr22
	s_and_saveexec_b64 s[10:11], s[6:7]
	s_xor_b64 s[6:7], exec, s[10:11]
; %bb.762:                              ;   in Loop: Header=BB354_370 Depth=1
	v_bfe_u32 v16, v8, 16, 1
	v_add3_u32 v22, v8, v16, s34
                                        ; implicit-def: $vgpr8
; %bb.763:                              ;   in Loop: Header=BB354_370 Depth=1
	s_andn2_saveexec_b64 s[10:11], s[6:7]
; %bb.764:                              ;   in Loop: Header=BB354_370 Depth=1
	v_or_b32_e32 v16, 0x10000, v8
	v_cmp_eq_u32_sdwa s[6:7], v8, v17 src0_sel:WORD_0 src1_sel:DWORD
	v_cndmask_b32_e64 v22, v16, v8, s[6:7]
; %bb.765:                              ;   in Loop: Header=BB354_370 Depth=1
	s_or_b64 exec, exec, s[10:11]
	v_lshrrev_b32_e32 v8, 16, v6
	v_cmp_ne_u16_sdwa s[6:7], v8, v17 src0_sel:BYTE_0 src1_sel:DWORD
	v_mov_b32_e32 v16, 0
	s_and_saveexec_b64 s[10:11], s[6:7]
	s_cbranch_execz .LBB354_771
; %bb.766:                              ;   in Loop: Header=BB354_370 Depth=1
	v_cmp_ne_u16_sdwa s[6:7], v8, s35 src0_sel:BYTE_0 src1_sel:DWORD
	v_bfrev_b32_e32 v16, 1
	s_and_saveexec_b64 s[28:29], s[6:7]
	s_cbranch_execz .LBB354_770
; %bb.767:                              ;   in Loop: Header=BB354_370 Depth=1
	v_bfe_u32 v24, v6, 16, 7
	v_cmp_ne_u32_e64 s[6:7], s36, v24
	v_mov_b32_e32 v16, 0x7f800001
	s_and_saveexec_b64 s[30:31], s[6:7]
	s_cbranch_execz .LBB354_769
; %bb.768:                              ;   in Loop: Header=BB354_370 Depth=1
	v_and_b32_e32 v16, 7, v8
	v_ffbh_u32_e32 v25, v16
	v_min_u32_e32 v25, 32, v25
	v_subrev_u32_e32 v28, 28, v25
	v_lshlrev_b64 v[50:51], v28, v[8:9]
	v_lshrrev_b32_e32 v23, 3, v24
	v_sub_u32_e32 v25, 29, v25
	v_and_b32_e32 v28, 7, v50
	v_cmp_gt_u32_e64 s[6:7], 8, v24
	v_bfrev_b32_e32 v51, 60
	v_cndmask_b32_e64 v23, v23, v25, s[6:7]
	v_cndmask_b32_e64 v16, v16, v28, s[6:7]
	v_lshlrev_b32_e32 v8, 24, v8
	v_lshlrev_b32_e32 v16, 20, v16
	v_and_b32_e32 v8, 0x80000000, v8
	v_lshl_add_u32 v23, v23, 23, v51
	v_or3_b32 v16, v8, v23, v16
.LBB354_769:                            ;   in Loop: Header=BB354_370 Depth=1
	s_or_b64 exec, exec, s[30:31]
.LBB354_770:                            ;   in Loop: Header=BB354_370 Depth=1
	s_or_b64 exec, exec, s[28:29]
.LBB354_771:                            ;   in Loop: Header=BB354_370 Depth=1
	s_or_b64 exec, exec, s[10:11]
	v_mul_f32_e32 v8, v11, v16
	v_and_b32_e32 v16, 0x7f800000, v8
	v_cmp_ne_u32_e64 s[6:7], s15, v16
                                        ; implicit-def: $vgpr24
	s_and_saveexec_b64 s[10:11], s[6:7]
	s_xor_b64 s[6:7], exec, s[10:11]
; %bb.772:                              ;   in Loop: Header=BB354_370 Depth=1
	v_bfe_u32 v16, v8, 16, 1
	v_add3_u32 v24, v8, v16, s34
                                        ; implicit-def: $vgpr8
; %bb.773:                              ;   in Loop: Header=BB354_370 Depth=1
	s_andn2_saveexec_b64 s[10:11], s[6:7]
; %bb.774:                              ;   in Loop: Header=BB354_370 Depth=1
	v_or_b32_e32 v16, 0x10000, v8
	v_cmp_eq_u32_sdwa s[6:7], v8, v17 src0_sel:WORD_0 src1_sel:DWORD
	v_cndmask_b32_e64 v24, v16, v8, s[6:7]
; %bb.775:                              ;   in Loop: Header=BB354_370 Depth=1
	s_or_b64 exec, exec, s[10:11]
	v_cmp_lt_u32_e64 s[6:7], s25, v6
	v_mov_b32_e32 v16, 0
	s_and_saveexec_b64 s[10:11], s[6:7]
	s_cbranch_execz .LBB354_781
; %bb.776:                              ;   in Loop: Header=BB354_370 Depth=1
	v_lshrrev_b32_e32 v8, 24, v6
	v_cmp_ne_u32_e64 s[6:7], s35, v8
	v_bfrev_b32_e32 v16, 1
	s_and_saveexec_b64 s[28:29], s[6:7]
	s_cbranch_execz .LBB354_780
; %bb.777:                              ;   in Loop: Header=BB354_370 Depth=1
	v_bfe_u32 v25, v6, 24, 7
	v_cmp_ne_u32_e64 s[6:7], s36, v25
	v_mov_b32_e32 v16, 0x7f800001
	s_and_saveexec_b64 s[30:31], s[6:7]
	s_cbranch_execz .LBB354_779
; %bb.778:                              ;   in Loop: Header=BB354_370 Depth=1
	v_and_b32_e32 v16, 7, v8
	v_ffbh_u32_e32 v28, v16
	v_min_u32_e32 v28, 32, v28
	v_subrev_u32_e32 v36, 28, v28
	v_lshlrev_b64 v[50:51], v36, v[8:9]
	v_lshrrev_b32_e32 v23, 3, v25
	v_sub_u32_e32 v28, 29, v28
	v_and_b32_e32 v36, 7, v50
	v_cmp_gt_u32_e64 s[6:7], 8, v25
	v_bfrev_b32_e32 v51, 60
	v_cndmask_b32_e64 v23, v23, v28, s[6:7]
	v_cndmask_b32_e64 v16, v16, v36, s[6:7]
	v_lshlrev_b32_e32 v8, 24, v8
	v_lshlrev_b32_e32 v16, 20, v16
	v_and_b32_e32 v8, 0x80000000, v8
	v_lshl_add_u32 v23, v23, 23, v51
	v_or3_b32 v16, v8, v23, v16
.LBB354_779:                            ;   in Loop: Header=BB354_370 Depth=1
	s_or_b64 exec, exec, s[30:31]
.LBB354_780:                            ;   in Loop: Header=BB354_370 Depth=1
	s_or_b64 exec, exec, s[28:29]
.LBB354_781:                            ;   in Loop: Header=BB354_370 Depth=1
	s_or_b64 exec, exec, s[10:11]
	v_mul_f32_e32 v8, v11, v16
	v_and_b32_e32 v16, 0x7f800000, v8
	v_cmp_ne_u32_e64 s[6:7], s15, v16
                                        ; implicit-def: $vgpr25
	s_and_saveexec_b64 s[10:11], s[6:7]
	s_xor_b64 s[6:7], exec, s[10:11]
; %bb.782:                              ;   in Loop: Header=BB354_370 Depth=1
	v_bfe_u32 v16, v8, 16, 1
	v_add3_u32 v25, v8, v16, s34
                                        ; implicit-def: $vgpr8
; %bb.783:                              ;   in Loop: Header=BB354_370 Depth=1
	s_andn2_saveexec_b64 s[10:11], s[6:7]
; %bb.784:                              ;   in Loop: Header=BB354_370 Depth=1
	v_or_b32_e32 v16, 0x10000, v8
	v_cmp_eq_u32_sdwa s[6:7], v8, v17 src0_sel:WORD_0 src1_sel:DWORD
	v_cndmask_b32_e64 v25, v16, v8, s[6:7]
; %bb.785:                              ;   in Loop: Header=BB354_370 Depth=1
	s_or_b64 exec, exec, s[10:11]
	v_mov_b32_e32 v16, v7
	v_cmp_ne_u16_sdwa s[6:7], v7, v17 src0_sel:BYTE_0 src1_sel:DWORD
	v_mov_b32_e32 v8, 0
	s_and_saveexec_b64 s[10:11], s[6:7]
	s_cbranch_execz .LBB354_791
; %bb.786:                              ;   in Loop: Header=BB354_370 Depth=1
	v_cmp_ne_u16_sdwa s[6:7], v7, s35 src0_sel:BYTE_0 src1_sel:DWORD
	v_bfrev_b32_e32 v8, 1
	s_and_saveexec_b64 s[28:29], s[6:7]
	s_cbranch_execz .LBB354_790
; %bb.787:                              ;   in Loop: Header=BB354_370 Depth=1
	v_and_b32_e32 v36, 0x7f, v7
	v_cmp_ne_u32_e64 s[6:7], s36, v36
	v_mov_b32_e32 v8, 0x7f800001
	s_and_saveexec_b64 s[30:31], s[6:7]
	s_cbranch_execz .LBB354_789
; %bb.788:                              ;   in Loop: Header=BB354_370 Depth=1
	v_and_b32_e32 v8, 7, v7
	v_ffbh_u32_e32 v8, v8
	v_min_u32_e32 v8, 32, v8
	v_lshrrev_b32_e32 v23, 3, v36
	v_subrev_u32_e32 v28, 28, v8
	v_sub_u32_e32 v8, 29, v8
	v_cmp_gt_u32_e64 s[6:7], 8, v36
	v_cndmask_b32_e64 v8, v23, v8, s[6:7]
	v_cndmask_b32_e64 v23, 0, v28, s[6:7]
	v_lshlrev_b64 v[50:51], v23, v[16:17]
	v_bfrev_b32_e32 v51, 60
	v_lshlrev_b32_e32 v23, 20, v50
	v_lshlrev_b32_e32 v28, 24, v16
	v_and_b32_e32 v23, 0x700000, v23
	v_and_b32_e32 v28, 0x80000000, v28
	v_lshl_add_u32 v8, v8, 23, v51
	v_or3_b32 v8, v28, v8, v23
.LBB354_789:                            ;   in Loop: Header=BB354_370 Depth=1
	s_or_b64 exec, exec, s[30:31]
.LBB354_790:                            ;   in Loop: Header=BB354_370 Depth=1
	s_or_b64 exec, exec, s[28:29]
.LBB354_791:                            ;   in Loop: Header=BB354_370 Depth=1
	s_or_b64 exec, exec, s[10:11]
	v_mul_f32_e32 v8, v11, v8
	v_and_b32_e32 v23, 0x7f800000, v8
	v_cmp_ne_u32_e64 s[6:7], s15, v23
                                        ; implicit-def: $vgpr36
	s_and_saveexec_b64 s[10:11], s[6:7]
	s_xor_b64 s[6:7], exec, s[10:11]
; %bb.792:                              ;   in Loop: Header=BB354_370 Depth=1
	v_bfe_u32 v23, v8, 16, 1
	v_add3_u32 v36, v8, v23, s34
                                        ; implicit-def: $vgpr8
; %bb.793:                              ;   in Loop: Header=BB354_370 Depth=1
	s_andn2_saveexec_b64 s[10:11], s[6:7]
; %bb.794:                              ;   in Loop: Header=BB354_370 Depth=1
	v_or_b32_e32 v23, 0x10000, v8
	v_cmp_eq_u32_sdwa s[6:7], v8, v17 src0_sel:WORD_0 src1_sel:DWORD
	v_cndmask_b32_e64 v36, v23, v8, s[6:7]
; %bb.795:                              ;   in Loop: Header=BB354_370 Depth=1
	s_or_b64 exec, exec, s[10:11]
	v_lshrrev_b16_e32 v8, 8, v16
	v_cmp_ne_u16_e64 s[6:7], 0, v8
	v_mov_b32_e32 v49, 0
	s_and_saveexec_b64 s[10:11], s[6:7]
	s_cbranch_execz .LBB354_801
; %bb.796:                              ;   in Loop: Header=BB354_370 Depth=1
	v_cmp_ne_u16_e64 s[6:7], s35, v8
	v_bfrev_b32_e32 v49, 1
	s_and_saveexec_b64 s[28:29], s[6:7]
	s_cbranch_execz .LBB354_800
; %bb.797:                              ;   in Loop: Header=BB354_370 Depth=1
	v_and_b32_e32 v50, 0x7f, v8
	v_cmp_ne_u32_e64 s[6:7], s36, v50
	v_mov_b32_e32 v49, 0x7f800001
	s_and_saveexec_b64 s[30:31], s[6:7]
	s_cbranch_execz .LBB354_799
; %bb.798:                              ;   in Loop: Header=BB354_370 Depth=1
	v_and_b32_e32 v23, 7, v8
	v_ffbh_u32_e32 v49, v23
	v_min_u32_e32 v49, 32, v49
	v_subrev_u32_e32 v51, 28, v49
	v_lshlrev_b64 v[54:55], v51, v[8:9]
	v_lshrrev_b32_e32 v28, 3, v50
	v_sub_u32_e32 v8, 29, v49
	v_and_b32_e32 v49, 7, v54
	v_cmp_gt_u32_e64 s[6:7], 8, v50
	v_bfrev_b32_e32 v51, 60
	v_cndmask_b32_e64 v8, v28, v8, s[6:7]
	v_cndmask_b32_e64 v23, v23, v49, s[6:7]
	v_lshlrev_b32_e32 v16, 16, v16
	v_accvgpr_read_b32 v55, a5
	v_lshlrev_b32_e32 v23, 20, v23
	v_and_b32_e32 v16, 0x80000000, v16
	v_lshl_add_u32 v8, v8, 23, v51
	v_accvgpr_read_b32 v54, a4
	v_accvgpr_read_b32 v53, a2
	v_or3_b32 v49, v16, v8, v23
.LBB354_799:                            ;   in Loop: Header=BB354_370 Depth=1
	s_or_b64 exec, exec, s[30:31]
.LBB354_800:                            ;   in Loop: Header=BB354_370 Depth=1
	s_or_b64 exec, exec, s[28:29]
.LBB354_801:                            ;   in Loop: Header=BB354_370 Depth=1
	s_or_b64 exec, exec, s[10:11]
	v_mul_f32_e32 v8, v11, v49
	v_and_b32_e32 v16, 0x7f800000, v8
	v_cmp_ne_u32_e64 s[6:7], s15, v16
                                        ; implicit-def: $vgpr16
	s_and_saveexec_b64 s[10:11], s[6:7]
	s_xor_b64 s[6:7], exec, s[10:11]
; %bb.802:                              ;   in Loop: Header=BB354_370 Depth=1
	v_bfe_u32 v16, v8, 16, 1
	v_add3_u32 v16, v8, v16, s34
                                        ; implicit-def: $vgpr8
; %bb.803:                              ;   in Loop: Header=BB354_370 Depth=1
	s_andn2_saveexec_b64 s[10:11], s[6:7]
; %bb.804:                              ;   in Loop: Header=BB354_370 Depth=1
	v_or_b32_e32 v16, 0x10000, v8
	v_cmp_eq_u32_sdwa s[6:7], v8, v17 src0_sel:WORD_0 src1_sel:DWORD
	v_cndmask_b32_e64 v16, v16, v8, s[6:7]
; %bb.805:                              ;   in Loop: Header=BB354_370 Depth=1
	s_or_b64 exec, exec, s[10:11]
	v_lshrrev_b32_e32 v8, 16, v7
	v_cmp_ne_u16_sdwa s[6:7], v8, v17 src0_sel:BYTE_0 src1_sel:DWORD
	v_mov_b32_e32 v49, 0
	s_and_saveexec_b64 s[10:11], s[6:7]
	s_cbranch_execz .LBB354_811
; %bb.806:                              ;   in Loop: Header=BB354_370 Depth=1
	v_cmp_ne_u16_sdwa s[6:7], v8, s35 src0_sel:BYTE_0 src1_sel:DWORD
	v_bfrev_b32_e32 v49, 1
	s_and_saveexec_b64 s[28:29], s[6:7]
	s_cbranch_execz .LBB354_810
; %bb.807:                              ;   in Loop: Header=BB354_370 Depth=1
	v_bfe_u32 v50, v7, 16, 7
	v_cmp_ne_u32_e64 s[6:7], s36, v50
	v_mov_b32_e32 v49, 0x7f800001
	s_and_saveexec_b64 s[30:31], s[6:7]
	s_cbranch_execz .LBB354_809
; %bb.808:                              ;   in Loop: Header=BB354_370 Depth=1
	v_and_b32_e32 v23, 7, v8
	v_ffbh_u32_e32 v49, v23
	v_min_u32_e32 v49, 32, v49
	v_subrev_u32_e32 v51, 28, v49
	v_lshlrev_b64 v[54:55], v51, v[8:9]
	v_lshrrev_b32_e32 v28, 3, v50
	v_sub_u32_e32 v49, 29, v49
	v_and_b32_e32 v51, 7, v54
	v_cmp_gt_u32_e64 s[6:7], 8, v50
	v_cndmask_b32_e64 v28, v28, v49, s[6:7]
	v_cndmask_b32_e64 v23, v23, v51, s[6:7]
	v_bfrev_b32_e32 v51, 60
	v_lshlrev_b32_e32 v8, 24, v8
	v_accvgpr_read_b32 v55, a5
	v_lshlrev_b32_e32 v23, 20, v23
	v_and_b32_e32 v8, 0x80000000, v8
	v_lshl_add_u32 v28, v28, 23, v51
	v_accvgpr_read_b32 v54, a4
	v_accvgpr_read_b32 v53, a2
	v_or3_b32 v49, v8, v28, v23
.LBB354_809:                            ;   in Loop: Header=BB354_370 Depth=1
	s_or_b64 exec, exec, s[30:31]
.LBB354_810:                            ;   in Loop: Header=BB354_370 Depth=1
	s_or_b64 exec, exec, s[28:29]
.LBB354_811:                            ;   in Loop: Header=BB354_370 Depth=1
	s_or_b64 exec, exec, s[10:11]
	v_mul_f32_e32 v49, v11, v49
	v_and_b32_e32 v8, 0x7f800000, v49
	v_cmp_ne_u32_e64 s[6:7], s15, v8
                                        ; implicit-def: $vgpr8
	s_and_saveexec_b64 s[10:11], s[6:7]
	s_xor_b64 s[6:7], exec, s[10:11]
; %bb.812:                              ;   in Loop: Header=BB354_370 Depth=1
	v_bfe_u32 v8, v49, 16, 1
	v_add3_u32 v8, v49, v8, s34
                                        ; implicit-def: $vgpr49
; %bb.813:                              ;   in Loop: Header=BB354_370 Depth=1
	s_andn2_saveexec_b64 s[10:11], s[6:7]
; %bb.814:                              ;   in Loop: Header=BB354_370 Depth=1
	v_or_b32_e32 v8, 0x10000, v49
	v_cmp_eq_u32_sdwa s[6:7], v49, v17 src0_sel:WORD_0 src1_sel:DWORD
	v_cndmask_b32_e64 v8, v8, v49, s[6:7]
; %bb.815:                              ;   in Loop: Header=BB354_370 Depth=1
	s_or_b64 exec, exec, s[10:11]
	v_cmp_lt_u64_e64 s[6:7], s[24:25], v[6:7]
	v_mov_b32_e32 v49, 0
	s_and_saveexec_b64 s[10:11], s[6:7]
	s_cbranch_execz .LBB354_821
; %bb.816:                              ;   in Loop: Header=BB354_370 Depth=1
	v_lshrrev_b32_e32 v6, 24, v7
	v_cmp_ne_u32_e64 s[6:7], s35, v6
	v_bfrev_b32_e32 v49, 1
	s_and_saveexec_b64 s[28:29], s[6:7]
	s_cbranch_execz .LBB354_820
; %bb.817:                              ;   in Loop: Header=BB354_370 Depth=1
	v_bfe_u32 v7, v7, 24, 7
	v_cmp_ne_u32_e64 s[6:7], s36, v7
	v_mov_b32_e32 v49, 0x7f800001
	s_and_saveexec_b64 s[30:31], s[6:7]
	s_cbranch_execz .LBB354_819
; %bb.818:                              ;   in Loop: Header=BB354_370 Depth=1
	v_and_b32_e32 v23, 7, v6
	v_ffbh_u32_e32 v49, v23
	v_min_u32_e32 v49, 32, v49
	v_subrev_u32_e32 v50, 28, v49
	v_lshlrev_b64 v[50:51], v50, v[6:7]
	v_lshrrev_b32_e32 v28, 3, v7
	v_sub_u32_e32 v49, 29, v49
	v_and_b32_e32 v50, 7, v50
	v_cmp_gt_u32_e64 s[6:7], 8, v7
	v_bfrev_b32_e32 v51, 60
	v_cndmask_b32_e64 v7, v28, v49, s[6:7]
	v_cndmask_b32_e64 v23, v23, v50, s[6:7]
	v_lshlrev_b32_e32 v6, 24, v6
	v_lshlrev_b32_e32 v23, 20, v23
	v_and_b32_e32 v6, 0x80000000, v6
	v_lshl_add_u32 v7, v7, 23, v51
	v_or3_b32 v49, v6, v7, v23
.LBB354_819:                            ;   in Loop: Header=BB354_370 Depth=1
	s_or_b64 exec, exec, s[30:31]
.LBB354_820:                            ;   in Loop: Header=BB354_370 Depth=1
	s_or_b64 exec, exec, s[28:29]
.LBB354_821:                            ;   in Loop: Header=BB354_370 Depth=1
	s_or_b64 exec, exec, s[10:11]
	v_mul_f32_e32 v6, v11, v49
	v_and_b32_e32 v7, 0x7f800000, v6
	v_cmp_ne_u32_e64 s[6:7], s15, v7
                                        ; implicit-def: $vgpr50
	s_and_saveexec_b64 s[10:11], s[6:7]
	s_xor_b64 s[6:7], exec, s[10:11]
; %bb.822:                              ;   in Loop: Header=BB354_370 Depth=1
	v_bfe_u32 v7, v6, 16, 1
	v_add3_u32 v50, v6, v7, s34
                                        ; implicit-def: $vgpr6
; %bb.823:                              ;   in Loop: Header=BB354_370 Depth=1
	s_andn2_saveexec_b64 s[10:11], s[6:7]
; %bb.824:                              ;   in Loop: Header=BB354_370 Depth=1
	v_or_b32_e32 v7, 0x10000, v6
	v_cmp_eq_u32_sdwa s[6:7], v6, v17 src0_sel:WORD_0 src1_sel:DWORD
	v_cndmask_b32_e64 v50, v7, v6, s[6:7]
; %bb.825:                              ;   in Loop: Header=BB354_370 Depth=1
	s_or_b64 exec, exec, s[10:11]
	v_lshrrev_b32_e32 v49, 16, v16
	v_lshrrev_b32_e32 v36, 16, v36
	;; [unrolled: 1-line block ×8, first 2 shown]
	s_and_saveexec_b64 s[6:7], vcc
	s_cbranch_execz .LBB354_827
; %bb.826:                              ;   in Loop: Header=BB354_370 Depth=1
	v_accvgpr_read_b32 v20, a3
	v_cmp_lt_i32_e32 vcc, v48, v20
	v_cndmask_b32_e32 v6, 0, v6, vcc
	v_cmp_lt_i32_e32 vcc, v40, v20
	v_accvgpr_read_b32 v22, a26
	v_cndmask_b32_e32 v7, 0, v7, vcc
	v_cmp_lt_i32_e32 vcc, v22, v20
	v_cndmask_b32_e32 v11, 0, v11, vcc
	v_cmp_lt_i32_e32 vcc, v52, v20
	v_accvgpr_read_b32 v22, a25
	v_cndmask_b32_e32 v25, 0, v25, vcc
	v_cmp_lt_i32_e32 vcc, v22, v20
	v_accvgpr_read_b32 v22, a24
	;; [unrolled: 3-line block ×4, first 2 shown]
	v_cndmask_b32_e32 v16, 0, v16, vcc
	v_cmp_lt_i32_e32 vcc, v22, v20
	v_cndmask_b32_e32 v8, 0, v8, vcc
.LBB354_827:                            ;   in Loop: Header=BB354_370 Depth=1
	s_or_b64 exec, exec, s[6:7]
	v_lshlrev_b32_e32 v6, 16, v6
	v_mul_f32_e32 v20, v42, v6
	v_and_b32_e32 v6, 0x7f800000, v20
	v_cmp_ne_u32_e32 vcc, s15, v6
                                        ; implicit-def: $vgpr6
	s_and_saveexec_b64 s[6:7], vcc
	s_xor_b64 s[6:7], exec, s[6:7]
; %bb.828:                              ;   in Loop: Header=BB354_370 Depth=1
	v_bfe_u32 v6, v20, 16, 1
	v_add3_u32 v6, v20, v6, s34
                                        ; implicit-def: $vgpr20
; %bb.829:                              ;   in Loop: Header=BB354_370 Depth=1
	s_andn2_saveexec_b64 s[6:7], s[6:7]
; %bb.830:                              ;   in Loop: Header=BB354_370 Depth=1
	v_or_b32_e32 v6, 0x10000, v20
	v_cmp_eq_u32_sdwa vcc, v20, v17 src0_sel:WORD_0 src1_sel:DWORD
	v_cndmask_b32_e32 v6, v6, v20, vcc
; %bb.831:                              ;   in Loop: Header=BB354_370 Depth=1
	s_or_b64 exec, exec, s[6:7]
	v_lshlrev_b32_e32 v7, 16, v7
	v_mul_f32_e32 v20, v44, v7
	v_and_b32_e32 v7, 0x7f800000, v20
	v_cmp_ne_u32_e32 vcc, s15, v7
                                        ; implicit-def: $vgpr7
	s_and_saveexec_b64 s[6:7], vcc
	s_xor_b64 s[6:7], exec, s[6:7]
; %bb.832:                              ;   in Loop: Header=BB354_370 Depth=1
	v_bfe_u32 v7, v20, 16, 1
	v_add3_u32 v7, v20, v7, s34
                                        ; implicit-def: $vgpr20
; %bb.833:                              ;   in Loop: Header=BB354_370 Depth=1
	s_andn2_saveexec_b64 s[6:7], s[6:7]
; %bb.834:                              ;   in Loop: Header=BB354_370 Depth=1
	v_or_b32_e32 v7, 0x10000, v20
	v_cmp_eq_u32_sdwa vcc, v20, v17 src0_sel:WORD_0 src1_sel:DWORD
	v_cndmask_b32_e32 v7, v7, v20, vcc
; %bb.835:                              ;   in Loop: Header=BB354_370 Depth=1
	s_or_b64 exec, exec, s[6:7]
	v_lshlrev_b32_e32 v11, 16, v11
	v_mul_f32_e32 v20, v56, v11
	v_and_b32_e32 v11, 0x7f800000, v20
	v_cmp_ne_u32_e32 vcc, s15, v11
                                        ; implicit-def: $vgpr11
	s_and_saveexec_b64 s[6:7], vcc
	s_xor_b64 s[6:7], exec, s[6:7]
; %bb.836:                              ;   in Loop: Header=BB354_370 Depth=1
	v_bfe_u32 v11, v20, 16, 1
	v_add3_u32 v11, v20, v11, s34
                                        ; implicit-def: $vgpr20
; %bb.837:                              ;   in Loop: Header=BB354_370 Depth=1
	s_andn2_saveexec_b64 s[6:7], s[6:7]
; %bb.838:                              ;   in Loop: Header=BB354_370 Depth=1
	v_or_b32_e32 v11, 0x10000, v20
	v_cmp_eq_u32_sdwa vcc, v20, v17 src0_sel:WORD_0 src1_sel:DWORD
	v_cndmask_b32_e32 v11, v11, v20, vcc
; %bb.839:                              ;   in Loop: Header=BB354_370 Depth=1
	s_or_b64 exec, exec, s[6:7]
	v_lshlrev_b32_e32 v20, 16, v25
	v_mul_f32_e32 v22, v57, v20
	v_and_b32_e32 v20, 0x7f800000, v22
	v_cmp_ne_u32_e32 vcc, s15, v20
                                        ; implicit-def: $vgpr20
	s_and_saveexec_b64 s[6:7], vcc
	s_xor_b64 s[6:7], exec, s[6:7]
; %bb.840:                              ;   in Loop: Header=BB354_370 Depth=1
	v_bfe_u32 v20, v22, 16, 1
	v_add3_u32 v20, v22, v20, s34
                                        ; implicit-def: $vgpr22
; %bb.841:                              ;   in Loop: Header=BB354_370 Depth=1
	s_andn2_saveexec_b64 s[6:7], s[6:7]
; %bb.842:                              ;   in Loop: Header=BB354_370 Depth=1
	v_or_b32_e32 v20, 0x10000, v22
	v_cmp_eq_u32_sdwa vcc, v22, v17 src0_sel:WORD_0 src1_sel:DWORD
	v_cndmask_b32_e32 v20, v20, v22, vcc
; %bb.843:                              ;   in Loop: Header=BB354_370 Depth=1
	s_or_b64 exec, exec, s[6:7]
	v_lshlrev_b32_e32 v22, 16, v36
	v_mul_f32_e32 v24, v58, v22
	v_and_b32_e32 v22, 0x7f800000, v24
	v_cmp_ne_u32_e32 vcc, s15, v22
                                        ; implicit-def: $vgpr22
	s_and_saveexec_b64 s[6:7], vcc
	s_xor_b64 s[6:7], exec, s[6:7]
; %bb.844:                              ;   in Loop: Header=BB354_370 Depth=1
	v_bfe_u32 v22, v24, 16, 1
	v_add3_u32 v22, v24, v22, s34
                                        ; implicit-def: $vgpr24
; %bb.845:                              ;   in Loop: Header=BB354_370 Depth=1
	s_andn2_saveexec_b64 s[6:7], s[6:7]
; %bb.846:                              ;   in Loop: Header=BB354_370 Depth=1
	v_or_b32_e32 v22, 0x10000, v24
	v_cmp_eq_u32_sdwa vcc, v24, v17 src0_sel:WORD_0 src1_sel:DWORD
	v_cndmask_b32_e32 v22, v22, v24, vcc
; %bb.847:                              ;   in Loop: Header=BB354_370 Depth=1
	s_or_b64 exec, exec, s[6:7]
	v_lshlrev_b32_e32 v23, 16, v49
	v_mul_f32_e32 v25, v59, v23
	v_and_b32_e32 v23, 0x7f800000, v25
	v_cmp_ne_u32_e32 vcc, s15, v23
                                        ; implicit-def: $vgpr24
	s_and_saveexec_b64 s[6:7], vcc
	s_xor_b64 s[6:7], exec, s[6:7]
; %bb.848:                              ;   in Loop: Header=BB354_370 Depth=1
	v_bfe_u32 v23, v25, 16, 1
	v_add3_u32 v24, v25, v23, s34
                                        ; implicit-def: $vgpr25
; %bb.849:                              ;   in Loop: Header=BB354_370 Depth=1
	s_andn2_saveexec_b64 s[6:7], s[6:7]
; %bb.850:                              ;   in Loop: Header=BB354_370 Depth=1
	v_or_b32_e32 v23, 0x10000, v25
	v_cmp_eq_u32_sdwa vcc, v25, v17 src0_sel:WORD_0 src1_sel:DWORD
	v_cndmask_b32_e32 v24, v23, v25, vcc
; %bb.851:                              ;   in Loop: Header=BB354_370 Depth=1
	s_or_b64 exec, exec, s[6:7]
	v_lshlrev_b32_e32 v16, 16, v16
	v_mul_f32_e32 v25, v60, v16
	v_and_b32_e32 v16, 0x7f800000, v25
	v_cmp_ne_u32_e32 vcc, s15, v16
                                        ; implicit-def: $vgpr16
	s_and_saveexec_b64 s[6:7], vcc
	s_xor_b64 s[6:7], exec, s[6:7]
; %bb.852:                              ;   in Loop: Header=BB354_370 Depth=1
	v_bfe_u32 v16, v25, 16, 1
	v_add3_u32 v16, v25, v16, s34
                                        ; implicit-def: $vgpr25
; %bb.853:                              ;   in Loop: Header=BB354_370 Depth=1
	s_andn2_saveexec_b64 s[6:7], s[6:7]
; %bb.854:                              ;   in Loop: Header=BB354_370 Depth=1
	v_or_b32_e32 v16, 0x10000, v25
	v_cmp_eq_u32_sdwa vcc, v25, v17 src0_sel:WORD_0 src1_sel:DWORD
	v_cndmask_b32_e32 v16, v16, v25, vcc
; %bb.855:                              ;   in Loop: Header=BB354_370 Depth=1
	s_or_b64 exec, exec, s[6:7]
	v_lshlrev_b32_e32 v8, 16, v8
	v_mul_f32_e32 v25, v61, v8
	v_and_b32_e32 v8, 0x7f800000, v25
	v_cmp_ne_u32_e32 vcc, s15, v8
                                        ; implicit-def: $vgpr8
	s_and_saveexec_b64 s[6:7], vcc
	s_xor_b64 s[6:7], exec, s[6:7]
; %bb.856:                              ;   in Loop: Header=BB354_370 Depth=1
	v_bfe_u32 v8, v25, 16, 1
	v_add3_u32 v8, v25, v8, s34
                                        ; implicit-def: $vgpr25
; %bb.857:                              ;   in Loop: Header=BB354_370 Depth=1
	s_andn2_saveexec_b64 s[6:7], s[6:7]
	s_cbranch_execz .LBB354_368
; %bb.858:                              ;   in Loop: Header=BB354_370 Depth=1
	v_or_b32_e32 v8, 0x10000, v25
	v_cmp_eq_u32_sdwa vcc, v25, v17 src0_sel:WORD_0 src1_sel:DWORD
	v_cndmask_b32_e32 v8, v8, v25, vcc
	s_branch .LBB354_368
.LBB354_859:
	s_or_b64 exec, exec, s[26:27]
	v_accvgpr_read_b32 v18, a15
	v_accvgpr_read_b32 v9, a16
.LBB354_860:
	s_or_b64 exec, exec, s[16:17]
	ds_bpermute_b32 v4, v18, v0
	ds_bpermute_b32 v5, v18, v1
	;; [unrolled: 1-line block ×4, first 2 shown]
	s_waitcnt lgkmcnt(0)
	s_barrier
	v_pk_add_f32 v[0:1], v[0:1], v[4:5]
	v_and_b32_e32 v4, 0x3c1, v53
	v_pk_add_f32 v[2:3], v[2:3], v[6:7]
	v_cmp_eq_u32_e32 vcc, 64, v4
	s_and_saveexec_b64 s[6:7], vcc
	s_cbranch_execz .LBB354_862
; %bb.861:
	s_load_dword s8, s[12:13], 0x0
	s_waitcnt lgkmcnt(0)
	v_lshl_add_u32 v4, v43, 1, s8
	ds_write2_b32 v4, v0, v1 offset1:32
	ds_write2_b32 v4, v2, v3 offset0:64 offset1:96
.LBB354_862:
	s_or_b64 exec, exec, s[6:7]
	s_waitcnt lgkmcnt(0)
	s_barrier
	s_and_saveexec_b64 s[6:7], s[4:5]
	s_cbranch_execz .LBB354_869
; %bb.863:
	v_cmp_eq_u32_e32 vcc, 0, v9
	v_lshrrev_b32_e32 v4, 1, v53
	s_and_saveexec_b64 s[8:9], vcc
	s_cbranch_execnz .LBB354_889
; %bb.864:
	s_or_b64 exec, exec, s[8:9]
	s_and_saveexec_b64 s[8:9], vcc
	s_cbranch_execnz .LBB354_890
.LBB354_865:
	s_or_b64 exec, exec, s[8:9]
	s_and_saveexec_b64 s[8:9], vcc
	s_cbranch_execnz .LBB354_891
.LBB354_866:
	s_or_b64 exec, exec, s[8:9]
	s_and_saveexec_b64 s[8:9], vcc
	s_cbranch_execz .LBB354_868
.LBB354_867:
	s_load_dword s10, s[12:13], 0x0
	s_waitcnt lgkmcnt(0)
	v_lshl_add_u32 v4, v4, 2, s10
	ds_read_b32 v4, v4 offset:384
	s_waitcnt lgkmcnt(0)
	v_add_f32_e32 v3, v3, v4
.LBB354_868:
	s_or_b64 exec, exec, s[8:9]
.LBB354_869:
	s_or_b64 exec, exec, s[6:7]
	s_barrier
	s_and_b64 exec, exec, s[4:5]
	s_cbranch_execz .LBB354_888
; %bb.870:
	v_cmp_eq_u32_e32 vcc, 0, v9
	s_and_b64 exec, exec, vcc
	s_cbranch_execz .LBB354_888
; %bb.871:
	s_mov_b32 s4, 0x7f800000
	v_and_b32_e32 v4, 0x7f800000, v0
	v_cmp_ne_u32_e32 vcc, s4, v4
                                        ; implicit-def: $vgpr6
	s_and_saveexec_b64 s[4:5], vcc
	s_xor_b64 s[4:5], exec, s[4:5]
; %bb.872:
	v_bfe_u32 v4, v0, 16, 1
	s_movk_i32 s6, 0x7fff
	v_add3_u32 v6, v0, v4, s6
; %bb.873:
	s_andn2_saveexec_b64 s[4:5], s[4:5]
; %bb.874:
	v_mov_b32_e32 v4, 0
	v_or_b32_e32 v5, 0x10000, v0
	v_cmp_eq_u32_sdwa vcc, v0, v4 src0_sel:WORD_0 src1_sel:DWORD
	v_cndmask_b32_e32 v6, v5, v0, vcc
; %bb.875:
	s_or_b64 exec, exec, s[4:5]
	s_mul_i32 s4, s23, s20
	s_mul_i32 s4, s4, s21
	s_lshl_b32 s4, s4, 7
	s_mul_i32 s6, s22, s23
	s_lshl_b32 s8, s14, 7
	s_ashr_i32 s5, s4, 31
	s_ashr_i32 s7, s6, 31
	;; [unrolled: 1-line block ×3, first 2 shown]
	s_lshl_b64 s[4:5], s[4:5], 1
	s_lshl_b64 s[6:7], s[6:7], 1
	;; [unrolled: 1-line block ×3, first 2 shown]
	s_add_u32 s6, s8, s6
	s_addc_u32 s7, s9, s7
	s_add_u32 s4, s6, s4
	s_addc_u32 s5, s7, s5
	v_accvgpr_read_b32 v4, a1
	v_mov_b32_e32 v0, s5
	v_add_co_u32_e32 v4, vcc, s4, v4
	v_accvgpr_read_b32 v5, a0
	v_addc_co_u32_e32 v0, vcc, v0, v5, vcc
	v_and_b32_e32 v5, 0x3fe, v53
	v_add_co_u32_e32 v4, vcc, v4, v5
	v_addc_co_u32_e32 v5, vcc, 0, v0, vcc
	s_mov_b32 s4, 0x7f800000
	v_and_b32_e32 v0, 0x7f800000, v1
	v_cmp_ne_u32_e32 vcc, s4, v0
	flat_store_short_d16_hi v[4:5], v6
                                        ; implicit-def: $vgpr0
	s_and_saveexec_b64 s[4:5], vcc
	s_xor_b64 s[4:5], exec, s[4:5]
; %bb.876:
	v_bfe_u32 v0, v1, 16, 1
	s_movk_i32 s6, 0x7fff
	v_add3_u32 v0, v1, v0, s6
; %bb.877:
	s_andn2_saveexec_b64 s[4:5], s[4:5]
; %bb.878:
	v_mov_b32_e32 v0, 0
	v_or_b32_e32 v6, 0x10000, v1
	v_cmp_eq_u32_sdwa vcc, v1, v0 src0_sel:WORD_0 src1_sel:DWORD
	v_cndmask_b32_e32 v0, v6, v1, vcc
; %bb.879:
	s_or_b64 exec, exec, s[4:5]
	flat_store_short_d16_hi v[4:5], v0 offset:64
	s_mov_b32 s4, 0x7f800000
	v_and_b32_e32 v0, 0x7f800000, v2
	v_cmp_ne_u32_e32 vcc, s4, v0
                                        ; implicit-def: $vgpr0
	s_and_saveexec_b64 s[4:5], vcc
	s_xor_b64 s[4:5], exec, s[4:5]
; %bb.880:
	v_bfe_u32 v0, v2, 16, 1
	s_movk_i32 s6, 0x7fff
	v_add3_u32 v0, v2, v0, s6
; %bb.881:
	s_andn2_saveexec_b64 s[4:5], s[4:5]
; %bb.882:
	v_mov_b32_e32 v0, 0
	v_or_b32_e32 v1, 0x10000, v2
	v_cmp_eq_u32_sdwa vcc, v2, v0 src0_sel:WORD_0 src1_sel:DWORD
	v_cndmask_b32_e32 v0, v1, v2, vcc
; %bb.883:
	s_or_b64 exec, exec, s[4:5]
	flat_store_short_d16_hi v[4:5], v0 offset:128
	s_mov_b32 s4, 0x7f800000
	v_and_b32_e32 v0, 0x7f800000, v3
	v_cmp_ne_u32_e32 vcc, s4, v0
                                        ; implicit-def: $vgpr6
	s_and_saveexec_b64 s[4:5], vcc
	s_xor_b64 s[4:5], exec, s[4:5]
; %bb.884:
	v_bfe_u32 v0, v3, 16, 1
	s_movk_i32 s6, 0x7fff
	v_add3_u32 v6, v3, v0, s6
                                        ; implicit-def: $vgpr0_vgpr1_vgpr2_vgpr3
; %bb.885:
	s_andn2_saveexec_b64 s[4:5], s[4:5]
; %bb.886:
	v_mov_b32_e32 v0, 0
	v_or_b32_e32 v1, 0x10000, v3
	v_cmp_eq_u32_sdwa vcc, v3, v0 src0_sel:WORD_0 src1_sel:DWORD
	v_cndmask_b32_e32 v6, v1, v3, vcc
; %bb.887:
	s_or_b64 exec, exec, s[4:5]
	flat_store_short_d16_hi v[4:5], v6 offset:192
.LBB354_888:
	s_or_b64 exec, exec, s[18:19]
	buffer_load_dword a52, off, s[0:3], s32 offset:8 ; 4-byte Folded Reload
	buffer_load_dword a51, off, s[0:3], s32 offset:12 ; 4-byte Folded Reload
	;; [unrolled: 1-line block ×36, first 2 shown]
	v_readlane_b32 s30, v63, 11
	v_readlane_b32 s31, v63, 12
	v_readlane_b32 s44, v63, 10
	v_readlane_b32 s43, v63, 9
	v_readlane_b32 s42, v63, 8
	v_readlane_b32 s41, v63, 7
	v_readlane_b32 s40, v63, 6
	v_readlane_b32 s39, v63, 5
	v_readlane_b32 s38, v63, 4
	v_readlane_b32 s37, v63, 3
	v_readlane_b32 s36, v63, 2
	v_readlane_b32 s35, v63, 1
	v_readlane_b32 s34, v63, 0
	s_or_saveexec_b64 s[4:5], -1
	buffer_load_dword v63, off, s[0:3], s32 offset:160 ; 4-byte Folded Reload
	s_mov_b64 exec, s[4:5]
	s_waitcnt vmcnt(0) lgkmcnt(0)
	s_setpc_b64 s[30:31]
.LBB354_889:
	s_load_dword s10, s[12:13], 0x0
	s_waitcnt lgkmcnt(0)
	v_lshl_add_u32 v5, v4, 2, s10
	ds_read_b32 v5, v5
	s_waitcnt lgkmcnt(0)
	v_add_f32_e32 v0, v0, v5
	s_or_b64 exec, exec, s[8:9]
	s_and_saveexec_b64 s[8:9], vcc
	s_cbranch_execz .LBB354_865
.LBB354_890:
	s_load_dword s10, s[12:13], 0x0
	s_waitcnt lgkmcnt(0)
	v_lshl_add_u32 v5, v4, 2, s10
	ds_read_b32 v5, v5 offset:128
	s_waitcnt lgkmcnt(0)
	v_add_f32_e32 v1, v1, v5
	s_or_b64 exec, exec, s[8:9]
	s_and_saveexec_b64 s[8:9], vcc
	s_cbranch_execz .LBB354_866
.LBB354_891:
	s_load_dword s10, s[12:13], 0x0
	s_waitcnt lgkmcnt(0)
	v_lshl_add_u32 v5, v4, 2, s10
	ds_read_b32 v5, v5 offset:256
	s_waitcnt lgkmcnt(0)
	v_add_f32_e32 v2, v2, v5
	s_or_b64 exec, exec, s[8:9]
	s_and_saveexec_b64 s[8:9], vcc
	s_cbranch_execnz .LBB354_867
	s_branch .LBB354_868
.Lfunc_end354:
	.size	_ZN4vllm22paged_attention_kernelI14__hip_bfloat16hLi128ELi16ELi128ELNS_18Fp8KVCacheDataTypeE1ELb1ELi512EEEvPfS3_PT_PKS4_PKT0_SA_ifPKiSC_iPKfiiiSE_SE_iiiii, .Lfunc_end354-_ZN4vllm22paged_attention_kernelI14__hip_bfloat16hLi128ELi16ELi128ELNS_18Fp8KVCacheDataTypeE1ELb1ELi512EEEvPfS3_PT_PKS4_PKT0_SA_ifPKiSC_iPKfiiiSE_SE_iiiii
                                        ; -- End function
	.section	.AMDGPU.csdata,"",@progbits
; Function info:
; codeLenInByte = 28816
; NumSgprs: 49
; NumVgprs: 64
; NumAgprs: 53
; TotalNumVgprs: 117
; ScratchSize: 168
; MemoryBound: 0
	.section	.text._ZN4vllm25paged_attention_v2_kernelI14__hip_bfloat16hLi128ELi16ELi128ELNS_18Fp8KVCacheDataTypeE1ELb1ELi512EEEvPfS3_PT_PKS4_PKT0_SA_ifPKiSC_iPKfiiiSE_SE_iiiii,"axG",@progbits,_ZN4vllm25paged_attention_v2_kernelI14__hip_bfloat16hLi128ELi16ELi128ELNS_18Fp8KVCacheDataTypeE1ELb1ELi512EEEvPfS3_PT_PKS4_PKT0_SA_ifPKiSC_iPKfiiiSE_SE_iiiii,comdat
	.protected	_ZN4vllm25paged_attention_v2_kernelI14__hip_bfloat16hLi128ELi16ELi128ELNS_18Fp8KVCacheDataTypeE1ELb1ELi512EEEvPfS3_PT_PKS4_PKT0_SA_ifPKiSC_iPKfiiiSE_SE_iiiii ; -- Begin function _ZN4vllm25paged_attention_v2_kernelI14__hip_bfloat16hLi128ELi16ELi128ELNS_18Fp8KVCacheDataTypeE1ELb1ELi512EEEvPfS3_PT_PKS4_PKT0_SA_ifPKiSC_iPKfiiiSE_SE_iiiii
	.globl	_ZN4vllm25paged_attention_v2_kernelI14__hip_bfloat16hLi128ELi16ELi128ELNS_18Fp8KVCacheDataTypeE1ELb1ELi512EEEvPfS3_PT_PKS4_PKT0_SA_ifPKiSC_iPKfiiiSE_SE_iiiii
	.p2align	8
	.type	_ZN4vllm25paged_attention_v2_kernelI14__hip_bfloat16hLi128ELi16ELi128ELNS_18Fp8KVCacheDataTypeE1ELb1ELi512EEEvPfS3_PT_PKS4_PKT0_SA_ifPKiSC_iPKfiiiSE_SE_iiiii,@function
_ZN4vllm25paged_attention_v2_kernelI14__hip_bfloat16hLi128ELi16ELi128ELNS_18Fp8KVCacheDataTypeE1ELb1ELi512EEEvPfS3_PT_PKS4_PKT0_SA_ifPKiSC_iPKfiiiSE_SE_iiiii: ; @_ZN4vllm25paged_attention_v2_kernelI14__hip_bfloat16hLi128ELi16ELi128ELNS_18Fp8KVCacheDataTypeE1ELb1ELi512EEEvPfS3_PT_PKS4_PKT0_SA_ifPKiSC_iPKfiiiSE_SE_iiiii
; %bb.0:
	s_add_u32 flat_scratch_lo, s6, s11
	s_addc_u32 flat_scratch_hi, s7, 0
	s_add_u32 s0, s0, s11
	s_mov_b32 s12, s8
	s_load_dwordx8 s[24:31], s[4:5], 0x0
	s_load_dwordx8 s[16:23], s[4:5], 0x20
	s_load_dwordx2 s[6:7], s[4:5], 0x40
	s_load_dwordx4 s[44:47], s[4:5], 0x78
	s_load_dwordx2 s[34:35], s[4:5], 0x50
	s_load_dword s11, s[4:5], 0x48
	s_load_dword s8, s[4:5], 0x88
	s_load_dwordx8 s[36:43], s[4:5], 0x58
	s_mov_b32 s32, 0
	s_addc_u32 s1, s1, 0
	s_waitcnt lgkmcnt(0)
	v_mov_b32_e32 v1, s47
	buffer_store_dword v1, off, s[0:3], s32
	v_mov_b32_e32 v1, s8
	s_add_u32 s8, s4, 0x90
	s_mov_b32 s13, s9
	buffer_store_dword v1, off, s[0:3], s32 offset:4
	s_addc_u32 s9, s5, 0
	s_mov_b32 s14, s10
	s_mov_b32 s15, 9
	v_mov_b32_e32 v31, v0
	v_mov_b32_e32 v0, s24
	;; [unrolled: 1-line block ×32, first 2 shown]
	s_getpc_b64 s[4:5]
	s_add_u32 s4, s4, _ZN4vllm22paged_attention_kernelI14__hip_bfloat16hLi128ELi16ELi128ELNS_18Fp8KVCacheDataTypeE1ELb1ELi512EEEvPfS3_PT_PKS4_PKT0_SA_ifPKiSC_iPKfiiiSE_SE_iiiii@rel32@lo+4
	s_addc_u32 s5, s5, _ZN4vllm22paged_attention_kernelI14__hip_bfloat16hLi128ELi16ELi128ELNS_18Fp8KVCacheDataTypeE1ELb1ELi512EEEvPfS3_PT_PKS4_PKT0_SA_ifPKiSC_iPKfiiiSE_SE_iiiii@rel32@hi+12
	s_swappc_b64 s[30:31], s[4:5]
	s_endpgm
	.section	.rodata,"a",@progbits
	.p2align	6, 0x0
	.amdhsa_kernel _ZN4vllm25paged_attention_v2_kernelI14__hip_bfloat16hLi128ELi16ELi128ELNS_18Fp8KVCacheDataTypeE1ELb1ELi512EEEvPfS3_PT_PKS4_PKT0_SA_ifPKiSC_iPKfiiiSE_SE_iiiii
		.amdhsa_group_segment_fixed_size 272
		.amdhsa_private_segment_fixed_size 168
		.amdhsa_kernarg_size 400
		.amdhsa_user_sgpr_count 8
		.amdhsa_user_sgpr_private_segment_buffer 1
		.amdhsa_user_sgpr_dispatch_ptr 0
		.amdhsa_user_sgpr_queue_ptr 0
		.amdhsa_user_sgpr_kernarg_segment_ptr 1
		.amdhsa_user_sgpr_dispatch_id 0
		.amdhsa_user_sgpr_flat_scratch_init 1
		.amdhsa_user_sgpr_kernarg_preload_length 0
		.amdhsa_user_sgpr_kernarg_preload_offset 0
		.amdhsa_user_sgpr_private_segment_size 0
		.amdhsa_uses_dynamic_stack 0
		.amdhsa_system_sgpr_private_segment_wavefront_offset 1
		.amdhsa_system_sgpr_workgroup_id_x 1
		.amdhsa_system_sgpr_workgroup_id_y 1
		.amdhsa_system_sgpr_workgroup_id_z 1
		.amdhsa_system_sgpr_workgroup_info 0
		.amdhsa_system_vgpr_workitem_id 0
		.amdhsa_next_free_vgpr 117
		.amdhsa_next_free_sgpr 48
		.amdhsa_accum_offset 64
		.amdhsa_reserve_vcc 1
		.amdhsa_reserve_flat_scratch 1
		.amdhsa_float_round_mode_32 0
		.amdhsa_float_round_mode_16_64 0
		.amdhsa_float_denorm_mode_32 3
		.amdhsa_float_denorm_mode_16_64 3
		.amdhsa_dx10_clamp 1
		.amdhsa_ieee_mode 1
		.amdhsa_fp16_overflow 0
		.amdhsa_tg_split 0
		.amdhsa_exception_fp_ieee_invalid_op 0
		.amdhsa_exception_fp_denorm_src 0
		.amdhsa_exception_fp_ieee_div_zero 0
		.amdhsa_exception_fp_ieee_overflow 0
		.amdhsa_exception_fp_ieee_underflow 0
		.amdhsa_exception_fp_ieee_inexact 0
		.amdhsa_exception_int_div_zero 0
	.end_amdhsa_kernel
	.section	.text._ZN4vllm25paged_attention_v2_kernelI14__hip_bfloat16hLi128ELi16ELi128ELNS_18Fp8KVCacheDataTypeE1ELb1ELi512EEEvPfS3_PT_PKS4_PKT0_SA_ifPKiSC_iPKfiiiSE_SE_iiiii,"axG",@progbits,_ZN4vllm25paged_attention_v2_kernelI14__hip_bfloat16hLi128ELi16ELi128ELNS_18Fp8KVCacheDataTypeE1ELb1ELi512EEEvPfS3_PT_PKS4_PKT0_SA_ifPKiSC_iPKfiiiSE_SE_iiiii,comdat
.Lfunc_end355:
	.size	_ZN4vllm25paged_attention_v2_kernelI14__hip_bfloat16hLi128ELi16ELi128ELNS_18Fp8KVCacheDataTypeE1ELb1ELi512EEEvPfS3_PT_PKS4_PKT0_SA_ifPKiSC_iPKfiiiSE_SE_iiiii, .Lfunc_end355-_ZN4vllm25paged_attention_v2_kernelI14__hip_bfloat16hLi128ELi16ELi128ELNS_18Fp8KVCacheDataTypeE1ELb1ELi512EEEvPfS3_PT_PKS4_PKT0_SA_ifPKiSC_iPKfiiiSE_SE_iiiii
                                        ; -- End function
	.section	.AMDGPU.csdata,"",@progbits
; Kernel info:
; codeLenInByte = 296
; NumSgprs: 54
; NumVgprs: 64
; NumAgprs: 53
; TotalNumVgprs: 117
; ScratchSize: 168
; MemoryBound: 0
; FloatMode: 240
; IeeeMode: 1
; LDSByteSize: 272 bytes/workgroup (compile time only)
; SGPRBlocks: 6
; VGPRBlocks: 14
; NumSGPRsForWavesPerEU: 54
; NumVGPRsForWavesPerEU: 117
; AccumOffset: 64
; Occupancy: 4
; WaveLimiterHint : 1
; COMPUTE_PGM_RSRC2:SCRATCH_EN: 1
; COMPUTE_PGM_RSRC2:USER_SGPR: 8
; COMPUTE_PGM_RSRC2:TRAP_HANDLER: 0
; COMPUTE_PGM_RSRC2:TGID_X_EN: 1
; COMPUTE_PGM_RSRC2:TGID_Y_EN: 1
; COMPUTE_PGM_RSRC2:TGID_Z_EN: 1
; COMPUTE_PGM_RSRC2:TIDIG_COMP_CNT: 0
; COMPUTE_PGM_RSRC3_GFX90A:ACCUM_OFFSET: 15
; COMPUTE_PGM_RSRC3_GFX90A:TG_SPLIT: 0
	.text
	.p2align	2                               ; -- Begin function _ZN4vllm22paged_attention_kernelI14__hip_bfloat16hLi192ELi16ELi128ELNS_18Fp8KVCacheDataTypeE1ELb1ELi512EEEvPfS3_PT_PKS4_PKT0_SA_ifPKiSC_iPKfiiiSE_SE_iiiii
	.type	_ZN4vllm22paged_attention_kernelI14__hip_bfloat16hLi192ELi16ELi128ELNS_18Fp8KVCacheDataTypeE1ELb1ELi512EEEvPfS3_PT_PKS4_PKT0_SA_ifPKiSC_iPKfiiiSE_SE_iiiii,@function
_ZN4vllm22paged_attention_kernelI14__hip_bfloat16hLi192ELi16ELi128ELNS_18Fp8KVCacheDataTypeE1ELb1ELi512EEEvPfS3_PT_PKS4_PKT0_SA_ifPKiSC_iPKfiiiSE_SE_iiiii: ; @_ZN4vllm22paged_attention_kernelI14__hip_bfloat16hLi192ELi16ELi128ELNS_18Fp8KVCacheDataTypeE1ELb1ELi512EEEvPfS3_PT_PKS4_PKT0_SA_ifPKiSC_iPKfiiiSE_SE_iiiii
; %bb.0:
	s_waitcnt vmcnt(0) expcnt(0) lgkmcnt(0)
	s_or_saveexec_b64 s[4:5], -1
	buffer_store_dword v63, off, s[0:3], s32 offset:292 ; 4-byte Folded Spill
	s_mov_b64 exec, s[4:5]
	buffer_store_dword v40, off, s[0:3], s32 offset:192 ; 4-byte Folded Spill
	buffer_store_dword v41, off, s[0:3], s32 offset:188 ; 4-byte Folded Spill
	;; [unrolled: 1-line block ×47, first 2 shown]
	v_writelane_b32 v63, s34, 0
	v_writelane_b32 v63, s35, 1
	;; [unrolled: 1-line block ×11, first 2 shown]
	s_mov_b32 s18, s13
	s_ashr_i32 s19, s13, 31
	v_accvgpr_write_b32 a4, v26
	v_accvgpr_write_b32 a33, v25
	s_lshl_b64 s[4:5], s[18:19], 2
	v_accvgpr_write_b32 a5, v27
	v_accvgpr_write_b32 a32, v24
	v_mov_b32_e32 v25, v1
	v_mov_b32_e32 v26, v0
	;; [unrolled: 1-line block ×3, first 2 shown]
	v_add_co_u32_e32 v0, vcc, s4, v16
	buffer_store_dword v5, off, s[0:3], s32 offset:216 ; 4-byte Folded Spill
	buffer_store_dword v4, off, s[0:3], s32 offset:220 ; 4-byte Folded Spill
	v_addc_co_u32_e32 v1, vcc, v17, v1, vcc
	v_mov_b32_e32 v34, v2
	flat_load_dword v2, v[0:1]
	s_nop 0
	buffer_load_dword v0, off, s[0:3], s32 offset:4
	buffer_load_dword v1, off, s[0:3], s32
	s_mov_b32 s22, s15
	s_lshl_b32 s15, s14, 9
	v_accvgpr_write_b32 a6, v22
	v_mov_b32_e32 v33, v20
	v_mov_b32_e32 v32, v19
	v_accvgpr_write_b32 a34, v13
	v_mov_b32_e32 v22, v11
	v_mov_b32_e32 v24, v10
	;; [unrolled: 1-line block ×3, first 2 shown]
	s_waitcnt vmcnt(0) lgkmcnt(0)
	v_accvgpr_write_b32 a3, v2
	v_cmp_lt_i32_e32 vcc, s15, v2
	s_and_saveexec_b64 s[16:17], vcc
	s_cbranch_execz .LBB356_1286
; %bb.1:
	v_sub_u32_e32 v2, 0, v12
	v_max_i32_e32 v2, v12, v2
	v_cvt_f32_u32_e32 v3, v2
	s_load_dword s4, s[8:9], 0x10
	s_load_dword s6, s[8:9], 0x0
	v_sub_u32_e32 v5, 0, v2
	v_rcp_iflag_f32_e32 v3, v3
	s_waitcnt lgkmcnt(0)
	s_lshr_b32 s4, s4, 16
	s_cmp_lg_u32 s4, 0
	s_cselect_b64 s[4:5], -1, 0
	v_mul_f32_e32 v3, 0x4f7ffffe, v3
	v_cvt_u32_f32_e32 v3, v3
	s_cmp_lg_u64 s[4:5], 0
	s_addc_u32 s19, s6, 0
	s_abs_i32 s4, s19
	v_mul_lo_u32 v5, v5, v3
	v_mul_hi_u32 v5, v3, v5
	v_add_u32_e32 v3, v3, v5
	v_mul_hi_u32 v3, s4, v3
	v_mul_lo_u32 v5, v3, v2
	v_sub_u32_e32 v5, s4, v5
	v_add_u32_e32 v10, 1, v3
	v_cmp_ge_u32_e32 vcc, v5, v2
	v_cndmask_b32_e32 v3, v3, v10, vcc
	v_sub_u32_e32 v10, v5, v2
	v_cndmask_b32_e32 v5, v5, v10, vcc
	v_xor_b32_e32 v4, s19, v12
	v_add_u32_e32 v10, 1, v3
	v_cmp_ge_u32_e32 vcc, v5, v2
	v_ashrrev_i32_e32 v4, 31, v4
	v_cndmask_b32_e32 v2, v3, v10, vcc
	v_xor_b32_e32 v2, v2, v4
	v_sub_u32_e32 v2, v2, v4
	v_sub_u32_e32 v3, 0, v2
	v_max_i32_e32 v3, v2, v3
	v_cvt_f32_u32_e32 v4, v3
	v_sub_u32_e32 v5, 0, v3
	s_abs_i32 s6, s12
	v_cmp_ne_u64_e32 vcc, 0, v[32:33]
	v_rcp_iflag_f32_e32 v4, v4
	v_mul_f32_e32 v4, 0x4f7ffffe, v4
	v_cvt_u32_f32_e32 v4, v4
	v_mul_lo_u32 v5, v5, v4
	v_mul_hi_u32 v5, v4, v5
	v_add_u32_e32 v4, v4, v5
	v_mad_u64_u32 v[16:17], s[4:5], s6, v4, 0
	v_mov_b32_e32 v4, 0
	buffer_store_dword v4, off, s[0:3], s32 offset:204 ; 4-byte Folded Spill
	s_and_saveexec_b64 s[4:5], vcc
	s_cbranch_execz .LBB356_3
; %bb.2:
	s_ashr_i32 s13, s12, 31
	s_lshl_b64 s[10:11], s[12:13], 2
	v_mov_b32_e32 v5, s11
	v_add_co_u32_e32 v4, vcc, s10, v32
	v_addc_co_u32_e32 v5, vcc, v33, v5, vcc
	flat_load_dword v4, v[4:5]
	s_waitcnt vmcnt(0) lgkmcnt(0)
	buffer_store_dword v4, off, s[0:3], s32 offset:204 ; 4-byte Folded Spill
.LBB356_3:
	s_or_b64 exec, exec, s[4:5]
	v_and_b32_e32 v5, 0x3ff, v31
	s_movk_i32 s10, 0x60
	s_ashr_i32 s7, s12, 31
	v_ashrrev_i32_e32 v4, 31, v2
	v_and_b32_e32 v2, 3, v5
	s_mul_i32 s20, s12, 0xc0
	v_cmp_gt_u32_e32 vcc, s10, v5
	buffer_store_dword v5, off, s[0:3], s32 offset:196 ; 4-byte Folded Spill
	s_and_saveexec_b64 s[4:5], vcc
	s_cbranch_execz .LBB356_5
; %bb.4:
	v_mul_lo_u32 v10, s18, v21
	v_ashrrev_i32_e32 v11, 31, v10
	v_lshlrev_b64 v[10:11], 1, v[10:11]
	v_add_co_u32_e32 v5, vcc, v6, v10
	buffer_load_dword v10, off, s[0:3], s32 offset:196 ; 4-byte Folded Reload
	s_ashr_i32 s21, s20, 31
	v_addc_co_u32_e32 v6, vcc, v7, v11, vcc
	s_lshl_b64 s[24:25], s[20:21], 1
	v_mov_b32_e32 v7, s25
	v_add_co_u32_e32 v5, vcc, s24, v5
	v_addc_co_u32_e32 v7, vcc, v6, v7, vcc
	s_waitcnt vmcnt(0)
	v_lshlrev_b32_e32 v6, 2, v10
	v_add_co_u32_e32 v6, vcc, v5, v6
	v_addc_co_u32_e32 v7, vcc, 0, v7, vcc
	flat_load_dword v5, v[6:7]
	v_and_b32_e32 v6, 0x3fc, v10
	v_mad_u32_u24 v6, v2, s10, v6
	s_waitcnt vmcnt(0) lgkmcnt(0)
	ds_write_b32 v6, v5
.LBB356_5:
	s_or_b64 exec, exec, s[4:5]
	v_mul_lo_u32 v5, v17, v3
	v_sub_u32_e32 v5, s6, v5
	v_add_u32_e32 v6, 1, v17
	v_cmp_ge_u32_e32 vcc, v5, v3
	v_sub_u32_e32 v7, v5, v3
	v_cndmask_b32_e32 v6, v17, v6, vcc
	v_cndmask_b32_e32 v5, v5, v7, vcc
	v_add_u32_e32 v7, 1, v6
	v_cmp_ge_u32_e32 vcc, v5, v3
	v_sub_u32_e32 v5, 0, v1
	v_cndmask_b32_e32 v3, v6, v7, vcc
	v_max_i32_e32 v7, v1, v5
	v_cvt_f32_u32_e32 v5, v7
	v_xor_b32_e32 v4, s7, v4
	v_xor_b32_e32 v3, v3, v4
	v_sub_u32_e32 v6, v3, v4
	v_rcp_iflag_f32_e32 v3, v5
	v_accvgpr_read_b32 v4, a3
	v_accvgpr_write_b32 a7, v7
	v_sub_u32_e32 v7, 0, v7
	v_mul_f32_e32 v3, 0x4f7ffffe, v3
	v_cvt_u32_f32_e32 v5, v3
	v_add_u32_e32 v4, -1, v4
	v_sub_u32_e32 v3, 0, v4
	v_max_i32_e32 v3, v4, v3
	v_mul_lo_u32 v7, v7, v5
	v_mul_hi_u32 v7, v5, v7
	v_add_u32_e32 v5, v5, v7
	v_accvgpr_write_b32 a8, v5
	v_mad_u64_u32 v[16:17], s[4:5], v3, v5, 0
	v_cmp_gt_i32_e32 vcc, 0, v0
	s_waitcnt lgkmcnt(0)
	s_barrier
	s_waitcnt lgkmcnt(0)
                                        ; implicit-def: $agpr10
	s_and_saveexec_b64 s[4:5], vcc
	s_xor_b64 s[4:5], exec, s[4:5]
; %bb.6:
	v_mad_u64_u32 v[10:11], s[6:7], v28, v12, v[6:7]
	v_mul_lo_u32 v0, v10, v0
	v_sub_u32_e32 v0, 1, v0
	v_accvgpr_write_b32 a10, v0
                                        ; implicit-def: $vgpr28
                                        ; implicit-def: $vgpr0
; %bb.7:
	s_or_saveexec_b64 s[4:5], s[4:5]
	v_ashrrev_i32_e32 v1, 31, v1
	v_ashrrev_i32_e32 v4, 31, v4
	v_accvgpr_write_b32 a9, v1
	s_xor_b64 exec, exec, s[4:5]
; %bb.8:
	v_mul_lo_u32 v1, s19, v28
	v_add_u32_e32 v1, s12, v1
	v_mad_u64_u32 v[0:1], s[6:7], v1, v0, 1
	v_accvgpr_write_b32 a10, v0
; %bb.9:
	s_or_b64 exec, exec, s[4:5]
	v_accvgpr_read_b32 v5, a9
	v_accvgpr_read_b32 v10, a7
	v_xor_b32_e32 v4, v4, v5
	v_mul_lo_u32 v5, v17, v10
	v_sub_u32_e32 v3, v3, v5
	v_add_u32_e32 v5, 1, v17
	v_cmp_ge_u32_e32 vcc, v3, v10
	v_sub_u32_e32 v7, v3, v10
	v_cndmask_b32_e32 v5, v17, v5, vcc
	v_cndmask_b32_e32 v3, v3, v7, vcc
	v_add_u32_e32 v7, 1, v5
	v_cmp_ge_u32_e32 vcc, v3, v10
	v_cndmask_b32_e32 v3, v5, v7, vcc
	v_xor_b32_e32 v3, v3, v4
	v_sub_u32_e32 v3, v3, v4
	v_accvgpr_read_b32 v4, a3
	v_add_u32_e32 v4, 15, v4
	v_ashrrev_i32_e32 v5, 31, v4
	v_lshrrev_b32_e32 v5, 28, v5
	v_add_u32_e32 v4, v4, v5
	s_load_dword s38, s[8:9], 0x14
	s_load_dword s13, s[8:9], 0x8
	v_ashrrev_i32_e32 v31, 4, v4
	buffer_load_dword v4, off, s[0:3], s32 offset:196 ; 4-byte Folded Reload
	s_lshl_b32 s21, s14, 5
	s_add_i32 s4, s21, 32
	v_min_i32_e32 v5, s4, v31
	v_mul_lo_u32 v0, s18, v18
	v_accvgpr_write_b32 a11, v5
	v_ashrrev_i32_e32 v1, 31, v0
	v_sub_u32_e32 v3, v3, v29
	v_mul_lo_u32 v23, v6, v23
	v_mov_b32_e32 v7, 0xff7fffff
	v_accvgpr_write_b32 a14, v3
	v_ashrrev_i32_e32 v32, 31, v23
	v_sub_u32_e32 v33, 0, v30
	v_lshlrev_b64 v[28:29], 2, v[0:1]
	v_mbcnt_lo_u32_b32 v1, -1, 0
	s_waitcnt vmcnt(0)
	v_lshrrev_b32_e32 v21, 6, v4
	v_or_b32_e32 v4, s21, v21
	v_cmp_lt_i32_e64 s[4:5], v4, v5
	v_ashrrev_i32_e32 v5, 31, v4
	v_accvgpr_write_b32 a13, v5
	v_accvgpr_write_b32 a12, v4
	v_lshl_add_u32 v0, v21, 4, s15
	buffer_store_dword v0, off, s[0:3], s32 offset:224 ; 4-byte Folded Spill
	s_and_saveexec_b64 s[24:25], s[4:5]
	s_cbranch_execz .LBB356_499
; %bb.10:
	buffer_store_dword v31, off, s[0:3], s32 offset:228 ; 4-byte Folded Spill
	buffer_store_dword v34, off, s[0:3], s32 offset:260 ; 4-byte Folded Spill
	;; [unrolled: 1-line block ×7, first 2 shown]
	buffer_load_dword v0, off, s[0:3], s32 offset:196 ; 4-byte Folded Reload
	v_mov_b32_e32 v5, v1
	buffer_store_dword v23, off, s[0:3], s32 offset:232 ; 4-byte Folded Spill
	buffer_store_dword v32, off, s[0:3], s32 offset:236 ; 4-byte Folded Spill
	;; [unrolled: 1-line block ×4, first 2 shown]
	s_ashr_i32 s23, s22, 31
	s_lshl_b64 s[8:9], s[22:23], 2
	v_cmp_eq_u32_e32 vcc, 0, v2
	s_getpc_b64 s[10:11]
	s_add_u32 s10, s10, llvm.amdgcn.dynlds.offset.table@rel32@lo+4
	s_addc_u32 s11, s11, llvm.amdgcn.dynlds.offset.table@rel32@hi+12
	s_add_u32 s26, s8, s10
	s_addc_u32 s27, s9, s11
	s_load_dword s23, s[26:27], 0x0
	v_mov_b32_e32 v4, 0
	s_mov_b64 s[28:29], 0
	s_movk_i32 s39, 0x80
	s_movk_i32 s40, 0x7f
	s_mov_b32 s41, 0x7f800000
	s_movk_i32 s42, 0x7fff
	s_waitcnt vmcnt(4)
	v_bfe_u32 v6, v0, 2, 4
	v_add_co_u32_e64 v0, s[6:7], v8, v23
	v_addc_co_u32_e64 v1, s[6:7], v9, v32, s[6:7]
	v_lshlrev_b32_e32 v3, 4, v6
	v_add_co_u32_e64 v0, s[6:7], v0, v3
	v_addc_co_u32_e64 v1, s[6:7], 0, v1, s[6:7]
	v_accvgpr_write_b32 a39, v1
	v_accvgpr_write_b32 a38, v0
	v_mul_u32_u24_e32 v1, 0x60, v2
	v_accvgpr_write_b32 a41, v1
	buffer_load_dword v1, off, s[0:3], s32 offset:204 ; 4-byte Folded Reload
	v_lshlrev_b32_e32 v0, 1, v2
	v_max_i32_e32 v3, v30, v33
	v_accvgpr_write_b32 a40, v0
	v_cvt_f32_u32_e32 v0, v3
	v_accvgpr_write_b32 a37, v3
	v_rcp_iflag_f32_e32 v0, v0
	v_mul_f32_e32 v0, 0x4f7ffffe, v0
	v_cvt_u32_f32_e32 v0, v0
	s_waitcnt vmcnt(0)
	v_cmp_neq_f32_e64 s[6:7], 0, v1
	v_sub_u32_e32 v1, 0, v3
	v_mul_lo_u32 v1, v1, v0
	v_mul_hi_u32 v1, v0, v1
	v_accvgpr_read_b32 v2, a12
	v_add_u32_e32 v0, v0, v1
	v_accvgpr_read_b32 v3, a13
	v_accvgpr_write_b32 a42, v0
	v_lshlrev_b64 v[0:1], 2, v[2:3]
	v_add_co_u32_e64 v0, s[8:9], v28, v0
	buffer_store_dword v28, off, s[0:3], s32 offset:244 ; 4-byte Folded Spill
	s_nop 0
	buffer_store_dword v29, off, s[0:3], s32 offset:248 ; 4-byte Folded Spill
	v_mov_b32_e32 v3, v14
	buffer_store_dword v14, off, s[0:3], s32 offset:284 ; 4-byte Folded Spill
	buffer_store_dword v15, off, s[0:3], s32 offset:288 ; 4-byte Folded Spill
	;; [unrolled: 1-line block ×4, first 2 shown]
	v_addc_co_u32_e64 v1, s[8:9], v29, v1, s[8:9]
	v_add_co_u32_e64 v46, s[8:9], v3, v0
	v_addc_co_u32_e64 v47, s[8:9], v15, v1, s[8:9]
	v_lshlrev_b32_e32 v1, 2, v6
	v_lshl_or_b32 v1, v21, 6, v1
	v_accvgpr_write_b32 a43, v1
	v_accvgpr_read_b32 v1, a3
	v_sub_u32_e32 v1, v6, v1
	v_add_u32_e32 v1, 1, v1
	buffer_store_dword v1, off, s[0:3], s32 offset:212 ; 4-byte Folded Spill
	v_mbcnt_hi_u32_b32 v1, -1, v5
	v_lshl_add_u32 v0, v21, 4, s15
	v_accvgpr_write_b32 a45, v1
	v_mov_b32_e32 v1, 0xff7fffff
	buffer_store_dword v1, off, s[0:3], s32 offset:200 ; 4-byte Folded Spill
	s_branch .LBB356_13
.LBB356_11:                             ;   in Loop: Header=BB356_13 Depth=1
	s_or_b64 exec, exec, s[30:31]
	v_accvgpr_read_b32 v0, a46
.LBB356_12:                             ;   in Loop: Header=BB356_13 Depth=1
	s_or_b64 exec, exec, s[10:11]
	s_waitcnt lgkmcnt(0)
	v_accvgpr_read_b32 v2, a47
	v_add_co_u32_e64 v46, s[8:9], 8, v46
	v_add_u32_e32 v2, 2, v2
	v_addc_co_u32_e64 v47, s[8:9], 0, v47, s[8:9]
	v_accvgpr_read_b32 v1, a11
	v_cmp_ge_i32_e64 s[8:9], v2, v1
	v_accvgpr_read_b32 v1, a43
	v_add_u32_e32 v1, 0x80, v1
	v_add_u32_e32 v0, 32, v0
	s_or_b64 s[28:29], s[8:9], s[28:29]
	v_accvgpr_write_b32 a43, v1
	s_andn2_b64 exec, exec, s[28:29]
	s_cbranch_execz .LBB356_498
.LBB356_13:                             ; =>This Inner Loop Header: Depth=1
	v_accvgpr_write_b32 a47, v2
	v_ashrrev_i32_e32 v1, 31, v0
	v_accvgpr_read_b32 v2, a9
	v_xor_b32_e32 v1, v1, v2
	v_sub_u32_e32 v2, 0, v0
	v_max_i32_e32 v2, v0, v2
	v_accvgpr_read_b32 v3, a8
	v_mul_hi_u32 v5, v2, v3
	v_accvgpr_read_b32 v3, a7
	v_mul_lo_u32 v6, v5, v3
	v_sub_u32_e32 v2, v2, v6
	v_add_u32_e32 v6, 1, v5
	v_cmp_ge_u32_e64 s[8:9], v2, v3
	v_cndmask_b32_e64 v5, v5, v6, s[8:9]
	v_sub_u32_e32 v6, v2, v3
	v_cndmask_b32_e64 v2, v2, v6, s[8:9]
	v_add_u32_e32 v6, 1, v5
	v_cmp_ge_u32_e64 s[8:9], v2, v3
	v_cndmask_b32_e64 v2, v5, v6, s[8:9]
	v_xor_b32_e32 v2, v2, v1
	v_sub_u32_e32 v1, v2, v1
	v_accvgpr_read_b32 v2, a10
	v_add_u32_e32 v2, v1, v2
	v_sub_u32_e32 v6, 0, v2
	v_ashrrev_i32_e32 v5, 31, v2
	v_max_i32_e32 v2, v2, v6
	v_accvgpr_read_b32 v6, a42
	v_mul_hi_u32 v6, v2, v6
	v_accvgpr_read_b32 v3, a37
	v_mul_lo_u32 v6, v6, v3
	v_sub_u32_e32 v2, v2, v6
	v_sub_u32_e32 v6, v2, v3
	v_cmp_ge_u32_e64 s[8:9], v2, v3
	v_cndmask_b32_e64 v2, v2, v6, s[8:9]
	v_sub_u32_e32 v6, v2, v3
	v_cmp_ge_u32_e64 s[8:9], v2, v3
	v_cndmask_b32_e64 v2, v2, v6, s[8:9]
	v_xor_b32_e32 v2, v2, v5
	v_sub_u32_e32 v2, v2, v5
	v_cmp_ne_u32_e64 s[8:9], 0, v2
	v_accvgpr_read_b32 v2, a14
	v_cmp_le_i32_e64 s[10:11], v1, v2
	s_and_b64 s[8:9], s[8:9], s[10:11]
	v_accvgpr_write_b32 a46, v0
	s_and_b64 s[30:31], vcc, s[8:9]
	s_and_saveexec_b64 s[10:11], s[30:31]
	s_cbranch_execz .LBB356_15
; %bb.14:                               ;   in Loop: Header=BB356_13 Depth=1
	v_accvgpr_read_b32 v1, a43
	s_waitcnt lgkmcnt(0)
	v_add_u32_e32 v1, s23, v1
	v_mov_b32_e32 v2, 0xff7fffff
	ds_write_b32 v1, v2
.LBB356_15:                             ;   in Loop: Header=BB356_13 Depth=1
	s_or_b64 exec, exec, s[10:11]
	s_xor_b64 s[8:9], s[8:9], -1
	s_mov_b64 s[10:11], exec
	s_and_b64 s[8:9], s[10:11], s[8:9]
	v_accvgpr_read_b32 v0, a46
	s_mov_b64 exec, s[8:9]
	s_cbranch_execz .LBB356_12
; %bb.16:                               ;   in Loop: Header=BB356_13 Depth=1
	flat_load_dword v1, v[46:47]
	v_accvgpr_read_b32 v6, a38
	v_accvgpr_read_b32 v2, a6
	;; [unrolled: 1-line block ×3, first 2 shown]
	s_waitcnt vmcnt(0) lgkmcnt(0)
	v_mad_i64_i32 v[6:7], s[8:9], v1, v2, v[6:7]
	v_accvgpr_read_b32 v2, a40
	v_add_co_u32_e64 v56, s[8:9], v6, v2
	v_addc_co_u32_e64 v57, s[8:9], 0, v7, s[8:9]
	v_accvgpr_read_b32 v2, a32
	flat_load_ushort v1, v[56:57]
	v_accvgpr_read_b32 v3, a33
	flat_load_dword v12, v[2:3]
	v_accvgpr_read_b32 v2, a41
	ds_read_b128 v[52:55], v2
	ds_read_b128 v[48:51], v2 offset:16
	ds_read_b128 v[36:39], v2 offset:32
	;; [unrolled: 1-line block ×5, first 2 shown]
	s_waitcnt vmcnt(0) lgkmcnt(0)
	v_and_b32_e32 v58, 0xffff, v1
	v_cmp_ne_u16_sdwa s[8:9], v1, v4 src0_sel:BYTE_0 src1_sel:DWORD
	v_mov_b32_e32 v1, 0
	s_and_saveexec_b64 s[30:31], s[8:9]
	s_cbranch_execz .LBB356_22
; %bb.17:                               ;   in Loop: Header=BB356_13 Depth=1
	v_cmp_ne_u16_sdwa s[8:9], v58, s39 src0_sel:BYTE_0 src1_sel:DWORD
	v_bfrev_b32_e32 v1, 1
	s_and_saveexec_b64 s[34:35], s[8:9]
	s_cbranch_execz .LBB356_21
; %bb.18:                               ;   in Loop: Header=BB356_13 Depth=1
	v_and_b32_e32 v2, 0x7f, v58
	v_cmp_ne_u32_e64 s[8:9], s40, v2
	v_mov_b32_e32 v1, 0x7f800001
	s_and_saveexec_b64 s[36:37], s[8:9]
	s_cbranch_execz .LBB356_20
; %bb.19:                               ;   in Loop: Header=BB356_13 Depth=1
	v_and_b32_e32 v1, 7, v58
	v_ffbh_u32_e32 v10, v1
	v_min_u32_e32 v10, 32, v10
	v_subrev_u32_e32 v13, 28, v10
	v_lshlrev_b64 v[20:21], v13, v[58:59]
	v_lshrrev_b32_e32 v5, 3, v2
	v_sub_u32_e32 v10, 29, v10
	v_and_b32_e32 v13, 7, v20
	v_cmp_gt_u32_e64 s[8:9], 8, v2
	v_cndmask_b32_e64 v2, v5, v10, s[8:9]
	v_cndmask_b32_e64 v1, v1, v13, s[8:9]
	v_lshlrev_b32_e32 v5, 24, v58
	v_bfrev_b32_e32 v3, 60
	v_lshlrev_b32_e32 v1, 20, v1
	v_and_b32_e32 v5, 0x80000000, v5
	v_lshl_add_u32 v2, v2, 23, v3
	v_or3_b32 v1, v5, v2, v1
.LBB356_20:                             ;   in Loop: Header=BB356_13 Depth=1
	s_or_b64 exec, exec, s[36:37]
.LBB356_21:                             ;   in Loop: Header=BB356_13 Depth=1
	s_or_b64 exec, exec, s[34:35]
.LBB356_22:                             ;   in Loop: Header=BB356_13 Depth=1
	s_or_b64 exec, exec, s[30:31]
	v_mul_f32_e32 v1, v12, v1
	v_and_b32_e32 v2, 0x7f800000, v1
	v_cmp_ne_u32_e64 s[8:9], s41, v2
                                        ; implicit-def: $vgpr0
	s_and_saveexec_b64 s[30:31], s[8:9]
	s_xor_b64 s[8:9], exec, s[30:31]
; %bb.23:                               ;   in Loop: Header=BB356_13 Depth=1
	v_bfe_u32 v2, v1, 16, 1
	v_add3_u32 v0, v1, v2, s42
                                        ; implicit-def: $vgpr1
; %bb.24:                               ;   in Loop: Header=BB356_13 Depth=1
	s_andn2_saveexec_b64 s[30:31], s[8:9]
; %bb.25:                               ;   in Loop: Header=BB356_13 Depth=1
	v_or_b32_e32 v2, 0x10000, v1
	v_cmp_eq_u32_sdwa s[8:9], v1, v4 src0_sel:WORD_0 src1_sel:DWORD
	v_cndmask_b32_e64 v0, v2, v1, s[8:9]
; %bb.26:                               ;   in Loop: Header=BB356_13 Depth=1
	s_or_b64 exec, exec, s[30:31]
	v_lshrrev_b16_e32 v60, 8, v58
	v_cmp_ne_u16_e64 s[8:9], 0, v60
	v_mov_b32_e32 v1, 0
	s_and_saveexec_b64 s[30:31], s[8:9]
	s_cbranch_execz .LBB356_32
; %bb.27:                               ;   in Loop: Header=BB356_13 Depth=1
	v_cmp_ne_u16_e64 s[8:9], s39, v60
	v_bfrev_b32_e32 v1, 1
	s_and_saveexec_b64 s[34:35], s[8:9]
	s_cbranch_execz .LBB356_31
; %bb.28:                               ;   in Loop: Header=BB356_13 Depth=1
	v_and_b32_e32 v2, 0x7f, v60
	v_cmp_ne_u32_e64 s[8:9], s40, v2
	v_mov_b32_e32 v1, 0x7f800001
	s_and_saveexec_b64 s[36:37], s[8:9]
	s_cbranch_execz .LBB356_30
; %bb.29:                               ;   in Loop: Header=BB356_13 Depth=1
	v_and_b32_e32 v1, 7, v60
	v_ffbh_u32_e32 v10, v1
	v_min_u32_e32 v10, 32, v10
	v_subrev_u32_e32 v13, 28, v10
	v_lshlrev_b64 v[20:21], v13, v[60:61]
	v_lshrrev_b32_e32 v5, 3, v2
	v_sub_u32_e32 v10, 29, v10
	v_and_b32_e32 v13, 7, v20
	v_cmp_gt_u32_e64 s[8:9], 8, v2
	v_cndmask_b32_e64 v2, v5, v10, s[8:9]
	v_cndmask_b32_e64 v1, v1, v13, s[8:9]
	v_lshlrev_b32_e32 v5, 16, v58
	v_bfrev_b32_e32 v3, 60
	v_lshlrev_b32_e32 v1, 20, v1
	v_and_b32_e32 v5, 0x80000000, v5
	v_lshl_add_u32 v2, v2, 23, v3
	v_or3_b32 v1, v5, v2, v1
.LBB356_30:                             ;   in Loop: Header=BB356_13 Depth=1
	s_or_b64 exec, exec, s[36:37]
.LBB356_31:                             ;   in Loop: Header=BB356_13 Depth=1
	s_or_b64 exec, exec, s[34:35]
.LBB356_32:                             ;   in Loop: Header=BB356_13 Depth=1
	s_or_b64 exec, exec, s[30:31]
	v_mul_f32_e32 v1, v12, v1
	v_and_b32_e32 v2, 0x7f800000, v1
	v_cmp_ne_u32_e64 s[8:9], s41, v2
                                        ; implicit-def: $vgpr15
	s_and_saveexec_b64 s[30:31], s[8:9]
	s_xor_b64 s[8:9], exec, s[30:31]
; %bb.33:                               ;   in Loop: Header=BB356_13 Depth=1
	v_bfe_u32 v2, v1, 16, 1
	v_add3_u32 v15, v1, v2, s42
                                        ; implicit-def: $vgpr1
; %bb.34:                               ;   in Loop: Header=BB356_13 Depth=1
	s_andn2_saveexec_b64 s[30:31], s[8:9]
; %bb.35:                               ;   in Loop: Header=BB356_13 Depth=1
	v_or_b32_e32 v2, 0x10000, v1
	v_cmp_eq_u32_sdwa s[8:9], v1, v4 src0_sel:WORD_0 src1_sel:DWORD
	v_cndmask_b32_e64 v15, v2, v1, s[8:9]
; %bb.36:                               ;   in Loop: Header=BB356_13 Depth=1
	s_or_b64 exec, exec, s[30:31]
	flat_load_ushort v1, v[56:57] offset:8
	s_waitcnt vmcnt(0) lgkmcnt(0)
	v_and_b32_e32 v58, 0xffff, v1
	v_cmp_ne_u16_sdwa s[8:9], v1, v4 src0_sel:BYTE_0 src1_sel:DWORD
	v_mov_b32_e32 v1, 0
	s_and_saveexec_b64 s[30:31], s[8:9]
	s_cbranch_execz .LBB356_42
; %bb.37:                               ;   in Loop: Header=BB356_13 Depth=1
	v_cmp_ne_u16_sdwa s[8:9], v58, s39 src0_sel:BYTE_0 src1_sel:DWORD
	v_bfrev_b32_e32 v1, 1
	s_and_saveexec_b64 s[34:35], s[8:9]
	s_cbranch_execz .LBB356_41
; %bb.38:                               ;   in Loop: Header=BB356_13 Depth=1
	v_and_b32_e32 v2, 0x7f, v58
	v_cmp_ne_u32_e64 s[8:9], s40, v2
	v_mov_b32_e32 v1, 0x7f800001
	s_and_saveexec_b64 s[36:37], s[8:9]
	s_cbranch_execz .LBB356_40
; %bb.39:                               ;   in Loop: Header=BB356_13 Depth=1
	v_and_b32_e32 v1, 7, v58
	v_ffbh_u32_e32 v10, v1
	v_min_u32_e32 v10, 32, v10
	v_subrev_u32_e32 v13, 28, v10
	v_lshlrev_b64 v[20:21], v13, v[58:59]
	v_lshrrev_b32_e32 v5, 3, v2
	v_sub_u32_e32 v10, 29, v10
	v_and_b32_e32 v13, 7, v20
	v_cmp_gt_u32_e64 s[8:9], 8, v2
	v_cndmask_b32_e64 v2, v5, v10, s[8:9]
	v_cndmask_b32_e64 v1, v1, v13, s[8:9]
	v_lshlrev_b32_e32 v5, 24, v58
	v_bfrev_b32_e32 v3, 60
	v_lshlrev_b32_e32 v1, 20, v1
	v_and_b32_e32 v5, 0x80000000, v5
	v_lshl_add_u32 v2, v2, 23, v3
	v_or3_b32 v1, v5, v2, v1
.LBB356_40:                             ;   in Loop: Header=BB356_13 Depth=1
	s_or_b64 exec, exec, s[36:37]
.LBB356_41:                             ;   in Loop: Header=BB356_13 Depth=1
	s_or_b64 exec, exec, s[34:35]
.LBB356_42:                             ;   in Loop: Header=BB356_13 Depth=1
	s_or_b64 exec, exec, s[30:31]
	v_mul_f32_e32 v1, v12, v1
	v_and_b32_e32 v2, 0x7f800000, v1
	v_cmp_ne_u32_e64 s[8:9], s41, v2
                                        ; implicit-def: $agpr48
	s_and_saveexec_b64 s[30:31], s[8:9]
	s_xor_b64 s[8:9], exec, s[30:31]
; %bb.43:                               ;   in Loop: Header=BB356_13 Depth=1
	v_bfe_u32 v2, v1, 16, 1
	v_add3_u32 v1, v1, v2, s42
	v_accvgpr_write_b32 a48, v1
                                        ; implicit-def: $vgpr1
; %bb.44:                               ;   in Loop: Header=BB356_13 Depth=1
	s_andn2_saveexec_b64 s[30:31], s[8:9]
; %bb.45:                               ;   in Loop: Header=BB356_13 Depth=1
	v_or_b32_e32 v2, 0x10000, v1
	v_cmp_eq_u32_sdwa s[8:9], v1, v4 src0_sel:WORD_0 src1_sel:DWORD
	v_cndmask_b32_e64 v1, v2, v1, s[8:9]
	v_accvgpr_write_b32 a48, v1
; %bb.46:                               ;   in Loop: Header=BB356_13 Depth=1
	s_or_b64 exec, exec, s[30:31]
	v_lshrrev_b16_e32 v60, 8, v58
	v_cmp_ne_u16_e64 s[8:9], 0, v60
	v_mov_b32_e32 v1, 0
	s_and_saveexec_b64 s[30:31], s[8:9]
	s_cbranch_execz .LBB356_52
; %bb.47:                               ;   in Loop: Header=BB356_13 Depth=1
	v_cmp_ne_u16_e64 s[8:9], s39, v60
	v_bfrev_b32_e32 v1, 1
	s_and_saveexec_b64 s[34:35], s[8:9]
	s_cbranch_execz .LBB356_51
; %bb.48:                               ;   in Loop: Header=BB356_13 Depth=1
	v_and_b32_e32 v2, 0x7f, v60
	v_cmp_ne_u32_e64 s[8:9], s40, v2
	v_mov_b32_e32 v1, 0x7f800001
	s_and_saveexec_b64 s[36:37], s[8:9]
	s_cbranch_execz .LBB356_50
; %bb.49:                               ;   in Loop: Header=BB356_13 Depth=1
	v_and_b32_e32 v1, 7, v60
	v_ffbh_u32_e32 v10, v1
	v_min_u32_e32 v10, 32, v10
	v_subrev_u32_e32 v13, 28, v10
	v_lshlrev_b64 v[20:21], v13, v[60:61]
	v_lshrrev_b32_e32 v5, 3, v2
	v_sub_u32_e32 v10, 29, v10
	v_and_b32_e32 v13, 7, v20
	v_cmp_gt_u32_e64 s[8:9], 8, v2
	v_cndmask_b32_e64 v2, v5, v10, s[8:9]
	v_cndmask_b32_e64 v1, v1, v13, s[8:9]
	v_lshlrev_b32_e32 v5, 16, v58
	v_bfrev_b32_e32 v3, 60
	v_lshlrev_b32_e32 v1, 20, v1
	v_and_b32_e32 v5, 0x80000000, v5
	v_lshl_add_u32 v2, v2, 23, v3
	v_or3_b32 v1, v5, v2, v1
.LBB356_50:                             ;   in Loop: Header=BB356_13 Depth=1
	s_or_b64 exec, exec, s[36:37]
.LBB356_51:                             ;   in Loop: Header=BB356_13 Depth=1
	s_or_b64 exec, exec, s[34:35]
.LBB356_52:                             ;   in Loop: Header=BB356_13 Depth=1
	s_or_b64 exec, exec, s[30:31]
	v_mul_f32_e32 v1, v12, v1
	v_and_b32_e32 v2, 0x7f800000, v1
	v_cmp_ne_u32_e64 s[8:9], s41, v2
                                        ; implicit-def: $agpr49
	s_and_saveexec_b64 s[30:31], s[8:9]
	s_xor_b64 s[8:9], exec, s[30:31]
; %bb.53:                               ;   in Loop: Header=BB356_13 Depth=1
	v_bfe_u32 v2, v1, 16, 1
	v_add3_u32 v1, v1, v2, s42
	v_accvgpr_write_b32 a49, v1
                                        ; implicit-def: $vgpr1
; %bb.54:                               ;   in Loop: Header=BB356_13 Depth=1
	s_andn2_saveexec_b64 s[30:31], s[8:9]
; %bb.55:                               ;   in Loop: Header=BB356_13 Depth=1
	v_or_b32_e32 v2, 0x10000, v1
	v_cmp_eq_u32_sdwa s[8:9], v1, v4 src0_sel:WORD_0 src1_sel:DWORD
	v_cndmask_b32_e64 v1, v2, v1, s[8:9]
	v_accvgpr_write_b32 a49, v1
; %bb.56:                               ;   in Loop: Header=BB356_13 Depth=1
	s_or_b64 exec, exec, s[30:31]
	flat_load_ushort v1, v[56:57] offset:256
	s_waitcnt vmcnt(0) lgkmcnt(0)
	v_and_b32_e32 v58, 0xffff, v1
	v_cmp_ne_u16_sdwa s[8:9], v1, v4 src0_sel:BYTE_0 src1_sel:DWORD
	v_mov_b32_e32 v1, 0
	s_and_saveexec_b64 s[30:31], s[8:9]
	s_cbranch_execz .LBB356_62
; %bb.57:                               ;   in Loop: Header=BB356_13 Depth=1
	v_cmp_ne_u16_sdwa s[8:9], v58, s39 src0_sel:BYTE_0 src1_sel:DWORD
	v_bfrev_b32_e32 v1, 1
	s_and_saveexec_b64 s[34:35], s[8:9]
	s_cbranch_execz .LBB356_61
; %bb.58:                               ;   in Loop: Header=BB356_13 Depth=1
	v_and_b32_e32 v2, 0x7f, v58
	v_cmp_ne_u32_e64 s[8:9], s40, v2
	v_mov_b32_e32 v1, 0x7f800001
	s_and_saveexec_b64 s[36:37], s[8:9]
	s_cbranch_execz .LBB356_60
; %bb.59:                               ;   in Loop: Header=BB356_13 Depth=1
	v_and_b32_e32 v1, 7, v58
	v_ffbh_u32_e32 v10, v1
	v_min_u32_e32 v10, 32, v10
	v_subrev_u32_e32 v13, 28, v10
	v_lshlrev_b64 v[20:21], v13, v[58:59]
	v_lshrrev_b32_e32 v5, 3, v2
	v_sub_u32_e32 v10, 29, v10
	v_and_b32_e32 v13, 7, v20
	v_cmp_gt_u32_e64 s[8:9], 8, v2
	v_cndmask_b32_e64 v2, v5, v10, s[8:9]
	v_cndmask_b32_e64 v1, v1, v13, s[8:9]
	v_lshlrev_b32_e32 v5, 24, v58
	v_bfrev_b32_e32 v3, 60
	v_lshlrev_b32_e32 v1, 20, v1
	v_and_b32_e32 v5, 0x80000000, v5
	v_lshl_add_u32 v2, v2, 23, v3
	v_or3_b32 v1, v5, v2, v1
.LBB356_60:                             ;   in Loop: Header=BB356_13 Depth=1
	s_or_b64 exec, exec, s[36:37]
.LBB356_61:                             ;   in Loop: Header=BB356_13 Depth=1
	s_or_b64 exec, exec, s[34:35]
.LBB356_62:                             ;   in Loop: Header=BB356_13 Depth=1
	s_or_b64 exec, exec, s[30:31]
	v_mul_f32_e32 v1, v12, v1
	v_and_b32_e32 v2, 0x7f800000, v1
	v_cmp_ne_u32_e64 s[8:9], s41, v2
                                        ; implicit-def: $agpr50
	s_and_saveexec_b64 s[30:31], s[8:9]
	s_xor_b64 s[8:9], exec, s[30:31]
; %bb.63:                               ;   in Loop: Header=BB356_13 Depth=1
	v_bfe_u32 v2, v1, 16, 1
	v_add3_u32 v1, v1, v2, s42
	v_accvgpr_write_b32 a50, v1
                                        ; implicit-def: $vgpr1
; %bb.64:                               ;   in Loop: Header=BB356_13 Depth=1
	s_andn2_saveexec_b64 s[30:31], s[8:9]
; %bb.65:                               ;   in Loop: Header=BB356_13 Depth=1
	v_or_b32_e32 v2, 0x10000, v1
	v_cmp_eq_u32_sdwa s[8:9], v1, v4 src0_sel:WORD_0 src1_sel:DWORD
	v_cndmask_b32_e64 v1, v2, v1, s[8:9]
	v_accvgpr_write_b32 a50, v1
; %bb.66:                               ;   in Loop: Header=BB356_13 Depth=1
	s_or_b64 exec, exec, s[30:31]
	v_lshrrev_b16_e32 v60, 8, v58
	v_cmp_ne_u16_e64 s[8:9], 0, v60
	v_mov_b32_e32 v1, 0
	s_and_saveexec_b64 s[30:31], s[8:9]
	s_cbranch_execz .LBB356_72
; %bb.67:                               ;   in Loop: Header=BB356_13 Depth=1
	v_cmp_ne_u16_e64 s[8:9], s39, v60
	v_bfrev_b32_e32 v1, 1
	s_and_saveexec_b64 s[34:35], s[8:9]
	s_cbranch_execz .LBB356_71
; %bb.68:                               ;   in Loop: Header=BB356_13 Depth=1
	v_and_b32_e32 v2, 0x7f, v60
	v_cmp_ne_u32_e64 s[8:9], s40, v2
	v_mov_b32_e32 v1, 0x7f800001
	s_and_saveexec_b64 s[36:37], s[8:9]
	s_cbranch_execz .LBB356_70
; %bb.69:                               ;   in Loop: Header=BB356_13 Depth=1
	v_and_b32_e32 v1, 7, v60
	v_ffbh_u32_e32 v10, v1
	v_min_u32_e32 v10, 32, v10
	v_subrev_u32_e32 v13, 28, v10
	v_lshlrev_b64 v[20:21], v13, v[60:61]
	v_lshrrev_b32_e32 v5, 3, v2
	v_sub_u32_e32 v10, 29, v10
	v_and_b32_e32 v13, 7, v20
	v_cmp_gt_u32_e64 s[8:9], 8, v2
	v_cndmask_b32_e64 v2, v5, v10, s[8:9]
	v_cndmask_b32_e64 v1, v1, v13, s[8:9]
	v_lshlrev_b32_e32 v5, 16, v58
	v_bfrev_b32_e32 v3, 60
	v_lshlrev_b32_e32 v1, 20, v1
	v_and_b32_e32 v5, 0x80000000, v5
	v_lshl_add_u32 v2, v2, 23, v3
	v_or3_b32 v1, v5, v2, v1
.LBB356_70:                             ;   in Loop: Header=BB356_13 Depth=1
	s_or_b64 exec, exec, s[36:37]
.LBB356_71:                             ;   in Loop: Header=BB356_13 Depth=1
	s_or_b64 exec, exec, s[34:35]
.LBB356_72:                             ;   in Loop: Header=BB356_13 Depth=1
	s_or_b64 exec, exec, s[30:31]
	v_mul_f32_e32 v1, v12, v1
	v_and_b32_e32 v2, 0x7f800000, v1
	v_cmp_ne_u32_e64 s[8:9], s41, v2
                                        ; implicit-def: $agpr51
	s_and_saveexec_b64 s[30:31], s[8:9]
	s_xor_b64 s[8:9], exec, s[30:31]
; %bb.73:                               ;   in Loop: Header=BB356_13 Depth=1
	v_bfe_u32 v2, v1, 16, 1
	v_add3_u32 v1, v1, v2, s42
	v_accvgpr_write_b32 a51, v1
                                        ; implicit-def: $vgpr1
; %bb.74:                               ;   in Loop: Header=BB356_13 Depth=1
	s_andn2_saveexec_b64 s[30:31], s[8:9]
; %bb.75:                               ;   in Loop: Header=BB356_13 Depth=1
	v_or_b32_e32 v2, 0x10000, v1
	v_cmp_eq_u32_sdwa s[8:9], v1, v4 src0_sel:WORD_0 src1_sel:DWORD
	v_cndmask_b32_e64 v1, v2, v1, s[8:9]
	v_accvgpr_write_b32 a51, v1
; %bb.76:                               ;   in Loop: Header=BB356_13 Depth=1
	s_or_b64 exec, exec, s[30:31]
	flat_load_ushort v1, v[56:57] offset:264
	s_waitcnt vmcnt(0) lgkmcnt(0)
	v_and_b32_e32 v58, 0xffff, v1
	v_cmp_ne_u16_sdwa s[8:9], v1, v4 src0_sel:BYTE_0 src1_sel:DWORD
	v_mov_b32_e32 v1, 0
	s_and_saveexec_b64 s[30:31], s[8:9]
	s_cbranch_execz .LBB356_82
; %bb.77:                               ;   in Loop: Header=BB356_13 Depth=1
	v_cmp_ne_u16_sdwa s[8:9], v58, s39 src0_sel:BYTE_0 src1_sel:DWORD
	v_bfrev_b32_e32 v1, 1
	s_and_saveexec_b64 s[34:35], s[8:9]
	s_cbranch_execz .LBB356_81
; %bb.78:                               ;   in Loop: Header=BB356_13 Depth=1
	v_and_b32_e32 v2, 0x7f, v58
	v_cmp_ne_u32_e64 s[8:9], s40, v2
	v_mov_b32_e32 v1, 0x7f800001
	s_and_saveexec_b64 s[36:37], s[8:9]
	s_cbranch_execz .LBB356_80
; %bb.79:                               ;   in Loop: Header=BB356_13 Depth=1
	v_and_b32_e32 v1, 7, v58
	v_ffbh_u32_e32 v10, v1
	v_min_u32_e32 v10, 32, v10
	v_subrev_u32_e32 v13, 28, v10
	v_lshlrev_b64 v[20:21], v13, v[58:59]
	v_lshrrev_b32_e32 v5, 3, v2
	v_sub_u32_e32 v10, 29, v10
	v_and_b32_e32 v13, 7, v20
	v_cmp_gt_u32_e64 s[8:9], 8, v2
	v_cndmask_b32_e64 v2, v5, v10, s[8:9]
	v_cndmask_b32_e64 v1, v1, v13, s[8:9]
	v_lshlrev_b32_e32 v5, 24, v58
	v_bfrev_b32_e32 v3, 60
	v_lshlrev_b32_e32 v1, 20, v1
	v_and_b32_e32 v5, 0x80000000, v5
	v_lshl_add_u32 v2, v2, 23, v3
	v_or3_b32 v1, v5, v2, v1
.LBB356_80:                             ;   in Loop: Header=BB356_13 Depth=1
	s_or_b64 exec, exec, s[36:37]
.LBB356_81:                             ;   in Loop: Header=BB356_13 Depth=1
	s_or_b64 exec, exec, s[34:35]
.LBB356_82:                             ;   in Loop: Header=BB356_13 Depth=1
	s_or_b64 exec, exec, s[30:31]
	v_mul_f32_e32 v1, v12, v1
	v_and_b32_e32 v2, 0x7f800000, v1
	v_cmp_ne_u32_e64 s[8:9], s41, v2
                                        ; implicit-def: $agpr52
	s_and_saveexec_b64 s[30:31], s[8:9]
	s_xor_b64 s[8:9], exec, s[30:31]
; %bb.83:                               ;   in Loop: Header=BB356_13 Depth=1
	v_bfe_u32 v2, v1, 16, 1
	v_add3_u32 v1, v1, v2, s42
	v_accvgpr_write_b32 a52, v1
                                        ; implicit-def: $vgpr1
; %bb.84:                               ;   in Loop: Header=BB356_13 Depth=1
	s_andn2_saveexec_b64 s[30:31], s[8:9]
; %bb.85:                               ;   in Loop: Header=BB356_13 Depth=1
	v_or_b32_e32 v2, 0x10000, v1
	v_cmp_eq_u32_sdwa s[8:9], v1, v4 src0_sel:WORD_0 src1_sel:DWORD
	v_cndmask_b32_e64 v1, v2, v1, s[8:9]
	v_accvgpr_write_b32 a52, v1
; %bb.86:                               ;   in Loop: Header=BB356_13 Depth=1
	s_or_b64 exec, exec, s[30:31]
	v_lshrrev_b16_e32 v60, 8, v58
	v_cmp_ne_u16_e64 s[8:9], 0, v60
	v_mov_b32_e32 v1, 0
	s_and_saveexec_b64 s[30:31], s[8:9]
	s_cbranch_execz .LBB356_92
; %bb.87:                               ;   in Loop: Header=BB356_13 Depth=1
	v_cmp_ne_u16_e64 s[8:9], s39, v60
	v_bfrev_b32_e32 v1, 1
	s_and_saveexec_b64 s[34:35], s[8:9]
	s_cbranch_execz .LBB356_91
; %bb.88:                               ;   in Loop: Header=BB356_13 Depth=1
	v_and_b32_e32 v2, 0x7f, v60
	v_cmp_ne_u32_e64 s[8:9], s40, v2
	v_mov_b32_e32 v1, 0x7f800001
	s_and_saveexec_b64 s[36:37], s[8:9]
	s_cbranch_execz .LBB356_90
; %bb.89:                               ;   in Loop: Header=BB356_13 Depth=1
	v_and_b32_e32 v1, 7, v60
	v_ffbh_u32_e32 v10, v1
	v_min_u32_e32 v10, 32, v10
	v_subrev_u32_e32 v13, 28, v10
	v_lshlrev_b64 v[20:21], v13, v[60:61]
	v_lshrrev_b32_e32 v5, 3, v2
	v_sub_u32_e32 v10, 29, v10
	v_and_b32_e32 v13, 7, v20
	v_cmp_gt_u32_e64 s[8:9], 8, v2
	v_cndmask_b32_e64 v2, v5, v10, s[8:9]
	v_cndmask_b32_e64 v1, v1, v13, s[8:9]
	v_lshlrev_b32_e32 v5, 16, v58
	v_bfrev_b32_e32 v3, 60
	v_lshlrev_b32_e32 v1, 20, v1
	v_and_b32_e32 v5, 0x80000000, v5
	v_lshl_add_u32 v2, v2, 23, v3
	v_or3_b32 v1, v5, v2, v1
.LBB356_90:                             ;   in Loop: Header=BB356_13 Depth=1
	s_or_b64 exec, exec, s[36:37]
.LBB356_91:                             ;   in Loop: Header=BB356_13 Depth=1
	s_or_b64 exec, exec, s[34:35]
.LBB356_92:                             ;   in Loop: Header=BB356_13 Depth=1
	s_or_b64 exec, exec, s[30:31]
	v_mul_f32_e32 v1, v12, v1
	v_and_b32_e32 v2, 0x7f800000, v1
	v_cmp_ne_u32_e64 s[8:9], s41, v2
                                        ; implicit-def: $agpr53
	s_and_saveexec_b64 s[30:31], s[8:9]
	s_xor_b64 s[8:9], exec, s[30:31]
; %bb.93:                               ;   in Loop: Header=BB356_13 Depth=1
	v_bfe_u32 v2, v1, 16, 1
	v_add3_u32 v1, v1, v2, s42
	v_accvgpr_write_b32 a53, v1
                                        ; implicit-def: $vgpr1
; %bb.94:                               ;   in Loop: Header=BB356_13 Depth=1
	s_andn2_saveexec_b64 s[30:31], s[8:9]
; %bb.95:                               ;   in Loop: Header=BB356_13 Depth=1
	v_or_b32_e32 v2, 0x10000, v1
	v_cmp_eq_u32_sdwa s[8:9], v1, v4 src0_sel:WORD_0 src1_sel:DWORD
	v_cndmask_b32_e64 v1, v2, v1, s[8:9]
	v_accvgpr_write_b32 a53, v1
; %bb.96:                               ;   in Loop: Header=BB356_13 Depth=1
	s_or_b64 exec, exec, s[30:31]
	flat_load_ushort v1, v[56:57] offset:512
	s_waitcnt vmcnt(0) lgkmcnt(0)
	v_and_b32_e32 v58, 0xffff, v1
	v_cmp_ne_u16_sdwa s[8:9], v1, v4 src0_sel:BYTE_0 src1_sel:DWORD
	v_mov_b32_e32 v1, 0
	s_and_saveexec_b64 s[30:31], s[8:9]
	s_cbranch_execz .LBB356_102
; %bb.97:                               ;   in Loop: Header=BB356_13 Depth=1
	v_cmp_ne_u16_sdwa s[8:9], v58, s39 src0_sel:BYTE_0 src1_sel:DWORD
	v_bfrev_b32_e32 v1, 1
	s_and_saveexec_b64 s[34:35], s[8:9]
	s_cbranch_execz .LBB356_101
; %bb.98:                               ;   in Loop: Header=BB356_13 Depth=1
	v_and_b32_e32 v2, 0x7f, v58
	v_cmp_ne_u32_e64 s[8:9], s40, v2
	v_mov_b32_e32 v1, 0x7f800001
	s_and_saveexec_b64 s[36:37], s[8:9]
	s_cbranch_execz .LBB356_100
; %bb.99:                               ;   in Loop: Header=BB356_13 Depth=1
	v_and_b32_e32 v1, 7, v58
	v_ffbh_u32_e32 v10, v1
	v_min_u32_e32 v10, 32, v10
	v_subrev_u32_e32 v13, 28, v10
	v_lshlrev_b64 v[20:21], v13, v[58:59]
	v_lshrrev_b32_e32 v5, 3, v2
	v_sub_u32_e32 v10, 29, v10
	v_and_b32_e32 v13, 7, v20
	v_cmp_gt_u32_e64 s[8:9], 8, v2
	v_cndmask_b32_e64 v2, v5, v10, s[8:9]
	v_cndmask_b32_e64 v1, v1, v13, s[8:9]
	v_lshlrev_b32_e32 v5, 24, v58
	v_bfrev_b32_e32 v3, 60
	v_lshlrev_b32_e32 v1, 20, v1
	v_and_b32_e32 v5, 0x80000000, v5
	v_lshl_add_u32 v2, v2, 23, v3
	v_or3_b32 v1, v5, v2, v1
.LBB356_100:                            ;   in Loop: Header=BB356_13 Depth=1
	s_or_b64 exec, exec, s[36:37]
.LBB356_101:                            ;   in Loop: Header=BB356_13 Depth=1
	s_or_b64 exec, exec, s[34:35]
.LBB356_102:                            ;   in Loop: Header=BB356_13 Depth=1
	s_or_b64 exec, exec, s[30:31]
	v_mul_f32_e32 v1, v12, v1
	v_and_b32_e32 v2, 0x7f800000, v1
	v_cmp_ne_u32_e64 s[8:9], s41, v2
                                        ; implicit-def: $agpr54
	s_and_saveexec_b64 s[30:31], s[8:9]
	s_xor_b64 s[8:9], exec, s[30:31]
; %bb.103:                              ;   in Loop: Header=BB356_13 Depth=1
	v_bfe_u32 v2, v1, 16, 1
	v_add3_u32 v1, v1, v2, s42
	v_accvgpr_write_b32 a54, v1
                                        ; implicit-def: $vgpr1
; %bb.104:                              ;   in Loop: Header=BB356_13 Depth=1
	s_andn2_saveexec_b64 s[30:31], s[8:9]
; %bb.105:                              ;   in Loop: Header=BB356_13 Depth=1
	v_or_b32_e32 v2, 0x10000, v1
	v_cmp_eq_u32_sdwa s[8:9], v1, v4 src0_sel:WORD_0 src1_sel:DWORD
	v_cndmask_b32_e64 v1, v2, v1, s[8:9]
	v_accvgpr_write_b32 a54, v1
; %bb.106:                              ;   in Loop: Header=BB356_13 Depth=1
	s_or_b64 exec, exec, s[30:31]
	v_lshrrev_b16_e32 v60, 8, v58
	v_cmp_ne_u16_e64 s[8:9], 0, v60
	v_mov_b32_e32 v1, 0
	s_and_saveexec_b64 s[30:31], s[8:9]
	s_cbranch_execz .LBB356_112
; %bb.107:                              ;   in Loop: Header=BB356_13 Depth=1
	v_cmp_ne_u16_e64 s[8:9], s39, v60
	v_bfrev_b32_e32 v1, 1
	s_and_saveexec_b64 s[34:35], s[8:9]
	s_cbranch_execz .LBB356_111
; %bb.108:                              ;   in Loop: Header=BB356_13 Depth=1
	v_and_b32_e32 v2, 0x7f, v60
	v_cmp_ne_u32_e64 s[8:9], s40, v2
	v_mov_b32_e32 v1, 0x7f800001
	s_and_saveexec_b64 s[36:37], s[8:9]
	s_cbranch_execz .LBB356_110
; %bb.109:                              ;   in Loop: Header=BB356_13 Depth=1
	v_and_b32_e32 v1, 7, v60
	v_ffbh_u32_e32 v10, v1
	v_min_u32_e32 v10, 32, v10
	v_subrev_u32_e32 v13, 28, v10
	v_lshlrev_b64 v[20:21], v13, v[60:61]
	v_lshrrev_b32_e32 v5, 3, v2
	v_sub_u32_e32 v10, 29, v10
	v_and_b32_e32 v13, 7, v20
	v_cmp_gt_u32_e64 s[8:9], 8, v2
	v_cndmask_b32_e64 v2, v5, v10, s[8:9]
	v_cndmask_b32_e64 v1, v1, v13, s[8:9]
	v_lshlrev_b32_e32 v5, 16, v58
	v_bfrev_b32_e32 v3, 60
	v_lshlrev_b32_e32 v1, 20, v1
	v_and_b32_e32 v5, 0x80000000, v5
	v_lshl_add_u32 v2, v2, 23, v3
	v_or3_b32 v1, v5, v2, v1
.LBB356_110:                            ;   in Loop: Header=BB356_13 Depth=1
	s_or_b64 exec, exec, s[36:37]
.LBB356_111:                            ;   in Loop: Header=BB356_13 Depth=1
	s_or_b64 exec, exec, s[34:35]
.LBB356_112:                            ;   in Loop: Header=BB356_13 Depth=1
	s_or_b64 exec, exec, s[30:31]
	v_mul_f32_e32 v1, v12, v1
	v_and_b32_e32 v2, 0x7f800000, v1
	v_cmp_ne_u32_e64 s[8:9], s41, v2
                                        ; implicit-def: $agpr55
	s_and_saveexec_b64 s[30:31], s[8:9]
	s_xor_b64 s[8:9], exec, s[30:31]
; %bb.113:                              ;   in Loop: Header=BB356_13 Depth=1
	v_bfe_u32 v2, v1, 16, 1
	v_add3_u32 v1, v1, v2, s42
	v_accvgpr_write_b32 a55, v1
                                        ; implicit-def: $vgpr1
; %bb.114:                              ;   in Loop: Header=BB356_13 Depth=1
	s_andn2_saveexec_b64 s[30:31], s[8:9]
; %bb.115:                              ;   in Loop: Header=BB356_13 Depth=1
	v_or_b32_e32 v2, 0x10000, v1
	v_cmp_eq_u32_sdwa s[8:9], v1, v4 src0_sel:WORD_0 src1_sel:DWORD
	v_cndmask_b32_e64 v1, v2, v1, s[8:9]
	v_accvgpr_write_b32 a55, v1
; %bb.116:                              ;   in Loop: Header=BB356_13 Depth=1
	s_or_b64 exec, exec, s[30:31]
	flat_load_ushort v1, v[56:57] offset:520
	s_waitcnt vmcnt(0) lgkmcnt(0)
	v_and_b32_e32 v58, 0xffff, v1
	v_cmp_ne_u16_sdwa s[8:9], v1, v4 src0_sel:BYTE_0 src1_sel:DWORD
	v_mov_b32_e32 v1, 0
	s_and_saveexec_b64 s[30:31], s[8:9]
	s_cbranch_execz .LBB356_122
; %bb.117:                              ;   in Loop: Header=BB356_13 Depth=1
	v_cmp_ne_u16_sdwa s[8:9], v58, s39 src0_sel:BYTE_0 src1_sel:DWORD
	v_bfrev_b32_e32 v1, 1
	s_and_saveexec_b64 s[34:35], s[8:9]
	s_cbranch_execz .LBB356_121
; %bb.118:                              ;   in Loop: Header=BB356_13 Depth=1
	v_and_b32_e32 v2, 0x7f, v58
	v_cmp_ne_u32_e64 s[8:9], s40, v2
	v_mov_b32_e32 v1, 0x7f800001
	s_and_saveexec_b64 s[36:37], s[8:9]
	s_cbranch_execz .LBB356_120
; %bb.119:                              ;   in Loop: Header=BB356_13 Depth=1
	v_and_b32_e32 v1, 7, v58
	v_ffbh_u32_e32 v10, v1
	v_min_u32_e32 v10, 32, v10
	v_subrev_u32_e32 v13, 28, v10
	v_lshlrev_b64 v[20:21], v13, v[58:59]
	v_lshrrev_b32_e32 v5, 3, v2
	v_sub_u32_e32 v10, 29, v10
	v_and_b32_e32 v13, 7, v20
	v_cmp_gt_u32_e64 s[8:9], 8, v2
	v_cndmask_b32_e64 v2, v5, v10, s[8:9]
	v_cndmask_b32_e64 v1, v1, v13, s[8:9]
	v_lshlrev_b32_e32 v5, 24, v58
	v_bfrev_b32_e32 v3, 60
	v_lshlrev_b32_e32 v1, 20, v1
	v_and_b32_e32 v5, 0x80000000, v5
	v_lshl_add_u32 v2, v2, 23, v3
	v_or3_b32 v1, v5, v2, v1
.LBB356_120:                            ;   in Loop: Header=BB356_13 Depth=1
	s_or_b64 exec, exec, s[36:37]
.LBB356_121:                            ;   in Loop: Header=BB356_13 Depth=1
	s_or_b64 exec, exec, s[34:35]
.LBB356_122:                            ;   in Loop: Header=BB356_13 Depth=1
	s_or_b64 exec, exec, s[30:31]
	v_mul_f32_e32 v1, v12, v1
	v_and_b32_e32 v2, 0x7f800000, v1
	v_cmp_ne_u32_e64 s[8:9], s41, v2
                                        ; implicit-def: $agpr56
	s_and_saveexec_b64 s[30:31], s[8:9]
	s_xor_b64 s[8:9], exec, s[30:31]
; %bb.123:                              ;   in Loop: Header=BB356_13 Depth=1
	v_bfe_u32 v2, v1, 16, 1
	v_add3_u32 v1, v1, v2, s42
	v_accvgpr_write_b32 a56, v1
                                        ; implicit-def: $vgpr1
; %bb.124:                              ;   in Loop: Header=BB356_13 Depth=1
	s_andn2_saveexec_b64 s[30:31], s[8:9]
; %bb.125:                              ;   in Loop: Header=BB356_13 Depth=1
	v_or_b32_e32 v2, 0x10000, v1
	v_cmp_eq_u32_sdwa s[8:9], v1, v4 src0_sel:WORD_0 src1_sel:DWORD
	v_cndmask_b32_e64 v1, v2, v1, s[8:9]
	v_accvgpr_write_b32 a56, v1
; %bb.126:                              ;   in Loop: Header=BB356_13 Depth=1
	s_or_b64 exec, exec, s[30:31]
	v_lshrrev_b16_e32 v60, 8, v58
	v_cmp_ne_u16_e64 s[8:9], 0, v60
	v_mov_b32_e32 v1, 0
	s_and_saveexec_b64 s[30:31], s[8:9]
	s_cbranch_execz .LBB356_132
; %bb.127:                              ;   in Loop: Header=BB356_13 Depth=1
	v_cmp_ne_u16_e64 s[8:9], s39, v60
	v_bfrev_b32_e32 v1, 1
	s_and_saveexec_b64 s[34:35], s[8:9]
	s_cbranch_execz .LBB356_131
; %bb.128:                              ;   in Loop: Header=BB356_13 Depth=1
	v_and_b32_e32 v2, 0x7f, v60
	v_cmp_ne_u32_e64 s[8:9], s40, v2
	v_mov_b32_e32 v1, 0x7f800001
	s_and_saveexec_b64 s[36:37], s[8:9]
	s_cbranch_execz .LBB356_130
; %bb.129:                              ;   in Loop: Header=BB356_13 Depth=1
	v_and_b32_e32 v1, 7, v60
	v_ffbh_u32_e32 v10, v1
	v_min_u32_e32 v10, 32, v10
	v_subrev_u32_e32 v13, 28, v10
	v_lshlrev_b64 v[20:21], v13, v[60:61]
	v_lshrrev_b32_e32 v5, 3, v2
	v_sub_u32_e32 v10, 29, v10
	v_and_b32_e32 v13, 7, v20
	v_cmp_gt_u32_e64 s[8:9], 8, v2
	v_cndmask_b32_e64 v2, v5, v10, s[8:9]
	v_cndmask_b32_e64 v1, v1, v13, s[8:9]
	v_lshlrev_b32_e32 v5, 16, v58
	v_bfrev_b32_e32 v3, 60
	v_lshlrev_b32_e32 v1, 20, v1
	v_and_b32_e32 v5, 0x80000000, v5
	v_lshl_add_u32 v2, v2, 23, v3
	v_or3_b32 v1, v5, v2, v1
.LBB356_130:                            ;   in Loop: Header=BB356_13 Depth=1
	s_or_b64 exec, exec, s[36:37]
.LBB356_131:                            ;   in Loop: Header=BB356_13 Depth=1
	s_or_b64 exec, exec, s[34:35]
.LBB356_132:                            ;   in Loop: Header=BB356_13 Depth=1
	s_or_b64 exec, exec, s[30:31]
	v_mul_f32_e32 v1, v12, v1
	v_and_b32_e32 v2, 0x7f800000, v1
	v_cmp_ne_u32_e64 s[8:9], s41, v2
                                        ; implicit-def: $agpr57
	s_and_saveexec_b64 s[30:31], s[8:9]
	s_xor_b64 s[8:9], exec, s[30:31]
; %bb.133:                              ;   in Loop: Header=BB356_13 Depth=1
	v_bfe_u32 v2, v1, 16, 1
	v_add3_u32 v1, v1, v2, s42
	v_accvgpr_write_b32 a57, v1
                                        ; implicit-def: $vgpr1
; %bb.134:                              ;   in Loop: Header=BB356_13 Depth=1
	s_andn2_saveexec_b64 s[30:31], s[8:9]
; %bb.135:                              ;   in Loop: Header=BB356_13 Depth=1
	v_or_b32_e32 v2, 0x10000, v1
	v_cmp_eq_u32_sdwa s[8:9], v1, v4 src0_sel:WORD_0 src1_sel:DWORD
	v_cndmask_b32_e64 v1, v2, v1, s[8:9]
	v_accvgpr_write_b32 a57, v1
; %bb.136:                              ;   in Loop: Header=BB356_13 Depth=1
	s_or_b64 exec, exec, s[30:31]
	flat_load_ushort v1, v[56:57] offset:768
	s_waitcnt vmcnt(0) lgkmcnt(0)
	v_and_b32_e32 v58, 0xffff, v1
	v_cmp_ne_u16_sdwa s[8:9], v1, v4 src0_sel:BYTE_0 src1_sel:DWORD
	v_mov_b32_e32 v1, 0
	s_and_saveexec_b64 s[30:31], s[8:9]
	s_cbranch_execz .LBB356_142
; %bb.137:                              ;   in Loop: Header=BB356_13 Depth=1
	v_cmp_ne_u16_sdwa s[8:9], v58, s39 src0_sel:BYTE_0 src1_sel:DWORD
	v_bfrev_b32_e32 v1, 1
	s_and_saveexec_b64 s[34:35], s[8:9]
	s_cbranch_execz .LBB356_141
; %bb.138:                              ;   in Loop: Header=BB356_13 Depth=1
	v_and_b32_e32 v2, 0x7f, v58
	v_cmp_ne_u32_e64 s[8:9], s40, v2
	v_mov_b32_e32 v1, 0x7f800001
	s_and_saveexec_b64 s[36:37], s[8:9]
	s_cbranch_execz .LBB356_140
; %bb.139:                              ;   in Loop: Header=BB356_13 Depth=1
	v_and_b32_e32 v1, 7, v58
	v_ffbh_u32_e32 v10, v1
	v_min_u32_e32 v10, 32, v10
	v_subrev_u32_e32 v13, 28, v10
	v_lshlrev_b64 v[20:21], v13, v[58:59]
	v_lshrrev_b32_e32 v5, 3, v2
	v_sub_u32_e32 v10, 29, v10
	v_and_b32_e32 v13, 7, v20
	v_cmp_gt_u32_e64 s[8:9], 8, v2
	v_cndmask_b32_e64 v2, v5, v10, s[8:9]
	v_cndmask_b32_e64 v1, v1, v13, s[8:9]
	v_lshlrev_b32_e32 v5, 24, v58
	v_bfrev_b32_e32 v3, 60
	v_lshlrev_b32_e32 v1, 20, v1
	v_and_b32_e32 v5, 0x80000000, v5
	v_lshl_add_u32 v2, v2, 23, v3
	v_or3_b32 v1, v5, v2, v1
.LBB356_140:                            ;   in Loop: Header=BB356_13 Depth=1
	s_or_b64 exec, exec, s[36:37]
.LBB356_141:                            ;   in Loop: Header=BB356_13 Depth=1
	s_or_b64 exec, exec, s[34:35]
.LBB356_142:                            ;   in Loop: Header=BB356_13 Depth=1
	s_or_b64 exec, exec, s[30:31]
	v_mul_f32_e32 v1, v12, v1
	v_and_b32_e32 v2, 0x7f800000, v1
	v_cmp_ne_u32_e64 s[8:9], s41, v2
                                        ; implicit-def: $agpr58
	s_and_saveexec_b64 s[30:31], s[8:9]
	s_xor_b64 s[8:9], exec, s[30:31]
; %bb.143:                              ;   in Loop: Header=BB356_13 Depth=1
	v_bfe_u32 v2, v1, 16, 1
	v_add3_u32 v1, v1, v2, s42
	v_accvgpr_write_b32 a58, v1
                                        ; implicit-def: $vgpr1
; %bb.144:                              ;   in Loop: Header=BB356_13 Depth=1
	s_andn2_saveexec_b64 s[30:31], s[8:9]
; %bb.145:                              ;   in Loop: Header=BB356_13 Depth=1
	v_or_b32_e32 v2, 0x10000, v1
	v_cmp_eq_u32_sdwa s[8:9], v1, v4 src0_sel:WORD_0 src1_sel:DWORD
	v_cndmask_b32_e64 v1, v2, v1, s[8:9]
	v_accvgpr_write_b32 a58, v1
; %bb.146:                              ;   in Loop: Header=BB356_13 Depth=1
	s_or_b64 exec, exec, s[30:31]
	v_lshrrev_b16_e32 v60, 8, v58
	v_cmp_ne_u16_e64 s[8:9], 0, v60
	v_mov_b32_e32 v1, 0
	s_and_saveexec_b64 s[30:31], s[8:9]
	s_cbranch_execz .LBB356_152
; %bb.147:                              ;   in Loop: Header=BB356_13 Depth=1
	v_cmp_ne_u16_e64 s[8:9], s39, v60
	v_bfrev_b32_e32 v1, 1
	s_and_saveexec_b64 s[34:35], s[8:9]
	s_cbranch_execz .LBB356_151
; %bb.148:                              ;   in Loop: Header=BB356_13 Depth=1
	v_and_b32_e32 v2, 0x7f, v60
	v_cmp_ne_u32_e64 s[8:9], s40, v2
	v_mov_b32_e32 v1, 0x7f800001
	s_and_saveexec_b64 s[36:37], s[8:9]
	s_cbranch_execz .LBB356_150
; %bb.149:                              ;   in Loop: Header=BB356_13 Depth=1
	v_and_b32_e32 v1, 7, v60
	v_ffbh_u32_e32 v10, v1
	v_min_u32_e32 v10, 32, v10
	v_subrev_u32_e32 v13, 28, v10
	v_lshlrev_b64 v[20:21], v13, v[60:61]
	v_lshrrev_b32_e32 v5, 3, v2
	v_sub_u32_e32 v10, 29, v10
	v_and_b32_e32 v13, 7, v20
	v_cmp_gt_u32_e64 s[8:9], 8, v2
	v_cndmask_b32_e64 v2, v5, v10, s[8:9]
	v_cndmask_b32_e64 v1, v1, v13, s[8:9]
	v_lshlrev_b32_e32 v5, 16, v58
	v_bfrev_b32_e32 v3, 60
	v_lshlrev_b32_e32 v1, 20, v1
	v_and_b32_e32 v5, 0x80000000, v5
	v_lshl_add_u32 v2, v2, 23, v3
	v_or3_b32 v1, v5, v2, v1
.LBB356_150:                            ;   in Loop: Header=BB356_13 Depth=1
	s_or_b64 exec, exec, s[36:37]
.LBB356_151:                            ;   in Loop: Header=BB356_13 Depth=1
	s_or_b64 exec, exec, s[34:35]
.LBB356_152:                            ;   in Loop: Header=BB356_13 Depth=1
	s_or_b64 exec, exec, s[30:31]
	v_mul_f32_e32 v1, v12, v1
	v_and_b32_e32 v2, 0x7f800000, v1
	v_cmp_ne_u32_e64 s[8:9], s41, v2
                                        ; implicit-def: $agpr59
	s_and_saveexec_b64 s[30:31], s[8:9]
	s_xor_b64 s[8:9], exec, s[30:31]
; %bb.153:                              ;   in Loop: Header=BB356_13 Depth=1
	v_bfe_u32 v2, v1, 16, 1
	v_add3_u32 v1, v1, v2, s42
	v_accvgpr_write_b32 a59, v1
                                        ; implicit-def: $vgpr1
; %bb.154:                              ;   in Loop: Header=BB356_13 Depth=1
	s_andn2_saveexec_b64 s[30:31], s[8:9]
; %bb.155:                              ;   in Loop: Header=BB356_13 Depth=1
	v_or_b32_e32 v2, 0x10000, v1
	v_cmp_eq_u32_sdwa s[8:9], v1, v4 src0_sel:WORD_0 src1_sel:DWORD
	v_cndmask_b32_e64 v1, v2, v1, s[8:9]
	v_accvgpr_write_b32 a59, v1
; %bb.156:                              ;   in Loop: Header=BB356_13 Depth=1
	s_or_b64 exec, exec, s[30:31]
	flat_load_ushort v1, v[56:57] offset:776
	s_waitcnt vmcnt(0) lgkmcnt(0)
	v_and_b32_e32 v58, 0xffff, v1
	v_cmp_ne_u16_sdwa s[8:9], v1, v4 src0_sel:BYTE_0 src1_sel:DWORD
	v_mov_b32_e32 v1, 0
	s_and_saveexec_b64 s[30:31], s[8:9]
	s_cbranch_execz .LBB356_162
; %bb.157:                              ;   in Loop: Header=BB356_13 Depth=1
	v_cmp_ne_u16_sdwa s[8:9], v58, s39 src0_sel:BYTE_0 src1_sel:DWORD
	v_bfrev_b32_e32 v1, 1
	s_and_saveexec_b64 s[34:35], s[8:9]
	s_cbranch_execz .LBB356_161
; %bb.158:                              ;   in Loop: Header=BB356_13 Depth=1
	v_and_b32_e32 v2, 0x7f, v58
	v_cmp_ne_u32_e64 s[8:9], s40, v2
	v_mov_b32_e32 v1, 0x7f800001
	s_and_saveexec_b64 s[36:37], s[8:9]
	s_cbranch_execz .LBB356_160
; %bb.159:                              ;   in Loop: Header=BB356_13 Depth=1
	v_and_b32_e32 v1, 7, v58
	v_ffbh_u32_e32 v10, v1
	v_min_u32_e32 v10, 32, v10
	v_subrev_u32_e32 v13, 28, v10
	v_lshlrev_b64 v[20:21], v13, v[58:59]
	v_lshrrev_b32_e32 v5, 3, v2
	v_sub_u32_e32 v10, 29, v10
	v_and_b32_e32 v13, 7, v20
	v_cmp_gt_u32_e64 s[8:9], 8, v2
	v_cndmask_b32_e64 v2, v5, v10, s[8:9]
	v_cndmask_b32_e64 v1, v1, v13, s[8:9]
	v_lshlrev_b32_e32 v5, 24, v58
	v_bfrev_b32_e32 v3, 60
	v_lshlrev_b32_e32 v1, 20, v1
	v_and_b32_e32 v5, 0x80000000, v5
	v_lshl_add_u32 v2, v2, 23, v3
	v_or3_b32 v1, v5, v2, v1
.LBB356_160:                            ;   in Loop: Header=BB356_13 Depth=1
	s_or_b64 exec, exec, s[36:37]
.LBB356_161:                            ;   in Loop: Header=BB356_13 Depth=1
	s_or_b64 exec, exec, s[34:35]
.LBB356_162:                            ;   in Loop: Header=BB356_13 Depth=1
	s_or_b64 exec, exec, s[30:31]
	v_mul_f32_e32 v1, v12, v1
	v_and_b32_e32 v2, 0x7f800000, v1
	v_cmp_ne_u32_e64 s[8:9], s41, v2
                                        ; implicit-def: $agpr60
	s_and_saveexec_b64 s[30:31], s[8:9]
	s_xor_b64 s[8:9], exec, s[30:31]
; %bb.163:                              ;   in Loop: Header=BB356_13 Depth=1
	v_bfe_u32 v2, v1, 16, 1
	v_add3_u32 v1, v1, v2, s42
	v_accvgpr_write_b32 a60, v1
                                        ; implicit-def: $vgpr1
; %bb.164:                              ;   in Loop: Header=BB356_13 Depth=1
	s_andn2_saveexec_b64 s[30:31], s[8:9]
; %bb.165:                              ;   in Loop: Header=BB356_13 Depth=1
	v_or_b32_e32 v2, 0x10000, v1
	v_cmp_eq_u32_sdwa s[8:9], v1, v4 src0_sel:WORD_0 src1_sel:DWORD
	v_cndmask_b32_e64 v1, v2, v1, s[8:9]
	v_accvgpr_write_b32 a60, v1
; %bb.166:                              ;   in Loop: Header=BB356_13 Depth=1
	s_or_b64 exec, exec, s[30:31]
	v_lshrrev_b16_e32 v60, 8, v58
	v_cmp_ne_u16_e64 s[8:9], 0, v60
	v_mov_b32_e32 v1, 0
	s_and_saveexec_b64 s[30:31], s[8:9]
	s_cbranch_execz .LBB356_172
; %bb.167:                              ;   in Loop: Header=BB356_13 Depth=1
	v_cmp_ne_u16_e64 s[8:9], s39, v60
	v_bfrev_b32_e32 v1, 1
	s_and_saveexec_b64 s[34:35], s[8:9]
	s_cbranch_execz .LBB356_171
; %bb.168:                              ;   in Loop: Header=BB356_13 Depth=1
	v_and_b32_e32 v2, 0x7f, v60
	v_cmp_ne_u32_e64 s[8:9], s40, v2
	v_mov_b32_e32 v1, 0x7f800001
	s_and_saveexec_b64 s[36:37], s[8:9]
	s_cbranch_execz .LBB356_170
; %bb.169:                              ;   in Loop: Header=BB356_13 Depth=1
	v_and_b32_e32 v1, 7, v60
	v_ffbh_u32_e32 v10, v1
	v_min_u32_e32 v10, 32, v10
	v_subrev_u32_e32 v13, 28, v10
	v_lshlrev_b64 v[20:21], v13, v[60:61]
	v_lshrrev_b32_e32 v5, 3, v2
	v_sub_u32_e32 v10, 29, v10
	v_and_b32_e32 v13, 7, v20
	v_cmp_gt_u32_e64 s[8:9], 8, v2
	v_cndmask_b32_e64 v2, v5, v10, s[8:9]
	v_cndmask_b32_e64 v1, v1, v13, s[8:9]
	v_lshlrev_b32_e32 v5, 16, v58
	v_bfrev_b32_e32 v3, 60
	v_lshlrev_b32_e32 v1, 20, v1
	v_and_b32_e32 v5, 0x80000000, v5
	v_lshl_add_u32 v2, v2, 23, v3
	v_or3_b32 v1, v5, v2, v1
.LBB356_170:                            ;   in Loop: Header=BB356_13 Depth=1
	s_or_b64 exec, exec, s[36:37]
.LBB356_171:                            ;   in Loop: Header=BB356_13 Depth=1
	s_or_b64 exec, exec, s[34:35]
.LBB356_172:                            ;   in Loop: Header=BB356_13 Depth=1
	s_or_b64 exec, exec, s[30:31]
	v_mul_f32_e32 v1, v12, v1
	v_and_b32_e32 v2, 0x7f800000, v1
	v_cmp_ne_u32_e64 s[8:9], s41, v2
                                        ; implicit-def: $agpr61
	s_and_saveexec_b64 s[30:31], s[8:9]
	s_xor_b64 s[8:9], exec, s[30:31]
; %bb.173:                              ;   in Loop: Header=BB356_13 Depth=1
	v_bfe_u32 v2, v1, 16, 1
	v_add3_u32 v1, v1, v2, s42
	v_accvgpr_write_b32 a61, v1
                                        ; implicit-def: $vgpr1
; %bb.174:                              ;   in Loop: Header=BB356_13 Depth=1
	s_andn2_saveexec_b64 s[30:31], s[8:9]
; %bb.175:                              ;   in Loop: Header=BB356_13 Depth=1
	v_or_b32_e32 v2, 0x10000, v1
	v_cmp_eq_u32_sdwa s[8:9], v1, v4 src0_sel:WORD_0 src1_sel:DWORD
	v_cndmask_b32_e64 v1, v2, v1, s[8:9]
	v_accvgpr_write_b32 a61, v1
; %bb.176:                              ;   in Loop: Header=BB356_13 Depth=1
	s_or_b64 exec, exec, s[30:31]
	flat_load_ushort v1, v[56:57] offset:1024
	s_waitcnt vmcnt(0) lgkmcnt(0)
	v_and_b32_e32 v58, 0xffff, v1
	v_cmp_ne_u16_sdwa s[8:9], v1, v4 src0_sel:BYTE_0 src1_sel:DWORD
	v_mov_b32_e32 v1, 0
	s_and_saveexec_b64 s[30:31], s[8:9]
	s_cbranch_execz .LBB356_182
; %bb.177:                              ;   in Loop: Header=BB356_13 Depth=1
	v_cmp_ne_u16_sdwa s[8:9], v58, s39 src0_sel:BYTE_0 src1_sel:DWORD
	v_bfrev_b32_e32 v1, 1
	s_and_saveexec_b64 s[34:35], s[8:9]
	s_cbranch_execz .LBB356_181
; %bb.178:                              ;   in Loop: Header=BB356_13 Depth=1
	v_and_b32_e32 v2, 0x7f, v58
	v_cmp_ne_u32_e64 s[8:9], s40, v2
	v_mov_b32_e32 v1, 0x7f800001
	s_and_saveexec_b64 s[36:37], s[8:9]
	s_cbranch_execz .LBB356_180
; %bb.179:                              ;   in Loop: Header=BB356_13 Depth=1
	v_and_b32_e32 v1, 7, v58
	v_ffbh_u32_e32 v10, v1
	v_min_u32_e32 v10, 32, v10
	v_subrev_u32_e32 v13, 28, v10
	v_lshlrev_b64 v[20:21], v13, v[58:59]
	v_lshrrev_b32_e32 v5, 3, v2
	v_sub_u32_e32 v10, 29, v10
	v_and_b32_e32 v13, 7, v20
	v_cmp_gt_u32_e64 s[8:9], 8, v2
	v_cndmask_b32_e64 v2, v5, v10, s[8:9]
	v_cndmask_b32_e64 v1, v1, v13, s[8:9]
	v_lshlrev_b32_e32 v5, 24, v58
	v_bfrev_b32_e32 v3, 60
	v_lshlrev_b32_e32 v1, 20, v1
	v_and_b32_e32 v5, 0x80000000, v5
	v_lshl_add_u32 v2, v2, 23, v3
	v_or3_b32 v1, v5, v2, v1
.LBB356_180:                            ;   in Loop: Header=BB356_13 Depth=1
	s_or_b64 exec, exec, s[36:37]
.LBB356_181:                            ;   in Loop: Header=BB356_13 Depth=1
	s_or_b64 exec, exec, s[34:35]
.LBB356_182:                            ;   in Loop: Header=BB356_13 Depth=1
	s_or_b64 exec, exec, s[30:31]
	v_mul_f32_e32 v1, v12, v1
	v_and_b32_e32 v2, 0x7f800000, v1
	v_cmp_ne_u32_e64 s[8:9], s41, v2
                                        ; implicit-def: $agpr62
	s_and_saveexec_b64 s[30:31], s[8:9]
	s_xor_b64 s[8:9], exec, s[30:31]
; %bb.183:                              ;   in Loop: Header=BB356_13 Depth=1
	v_bfe_u32 v2, v1, 16, 1
	v_add3_u32 v1, v1, v2, s42
	v_accvgpr_write_b32 a62, v1
                                        ; implicit-def: $vgpr1
; %bb.184:                              ;   in Loop: Header=BB356_13 Depth=1
	s_andn2_saveexec_b64 s[30:31], s[8:9]
; %bb.185:                              ;   in Loop: Header=BB356_13 Depth=1
	v_or_b32_e32 v2, 0x10000, v1
	v_cmp_eq_u32_sdwa s[8:9], v1, v4 src0_sel:WORD_0 src1_sel:DWORD
	v_cndmask_b32_e64 v1, v2, v1, s[8:9]
	v_accvgpr_write_b32 a62, v1
; %bb.186:                              ;   in Loop: Header=BB356_13 Depth=1
	s_or_b64 exec, exec, s[30:31]
	v_lshrrev_b16_e32 v60, 8, v58
	v_cmp_ne_u16_e64 s[8:9], 0, v60
	v_mov_b32_e32 v1, 0
	s_and_saveexec_b64 s[30:31], s[8:9]
	s_cbranch_execz .LBB356_192
; %bb.187:                              ;   in Loop: Header=BB356_13 Depth=1
	v_cmp_ne_u16_e64 s[8:9], s39, v60
	v_bfrev_b32_e32 v1, 1
	s_and_saveexec_b64 s[34:35], s[8:9]
	s_cbranch_execz .LBB356_191
; %bb.188:                              ;   in Loop: Header=BB356_13 Depth=1
	v_and_b32_e32 v2, 0x7f, v60
	v_cmp_ne_u32_e64 s[8:9], s40, v2
	v_mov_b32_e32 v1, 0x7f800001
	s_and_saveexec_b64 s[36:37], s[8:9]
	s_cbranch_execz .LBB356_190
; %bb.189:                              ;   in Loop: Header=BB356_13 Depth=1
	v_and_b32_e32 v1, 7, v60
	v_ffbh_u32_e32 v10, v1
	v_min_u32_e32 v10, 32, v10
	v_subrev_u32_e32 v13, 28, v10
	v_lshlrev_b64 v[20:21], v13, v[60:61]
	v_lshrrev_b32_e32 v5, 3, v2
	v_sub_u32_e32 v10, 29, v10
	v_and_b32_e32 v13, 7, v20
	v_cmp_gt_u32_e64 s[8:9], 8, v2
	v_cndmask_b32_e64 v2, v5, v10, s[8:9]
	v_cndmask_b32_e64 v1, v1, v13, s[8:9]
	v_lshlrev_b32_e32 v5, 16, v58
	v_bfrev_b32_e32 v3, 60
	v_lshlrev_b32_e32 v1, 20, v1
	v_and_b32_e32 v5, 0x80000000, v5
	v_lshl_add_u32 v2, v2, 23, v3
	v_or3_b32 v1, v5, v2, v1
.LBB356_190:                            ;   in Loop: Header=BB356_13 Depth=1
	s_or_b64 exec, exec, s[36:37]
.LBB356_191:                            ;   in Loop: Header=BB356_13 Depth=1
	s_or_b64 exec, exec, s[34:35]
.LBB356_192:                            ;   in Loop: Header=BB356_13 Depth=1
	s_or_b64 exec, exec, s[30:31]
	v_mul_f32_e32 v1, v12, v1
	v_and_b32_e32 v2, 0x7f800000, v1
	v_cmp_ne_u32_e64 s[8:9], s41, v2
                                        ; implicit-def: $agpr63
	s_and_saveexec_b64 s[30:31], s[8:9]
	s_xor_b64 s[8:9], exec, s[30:31]
; %bb.193:                              ;   in Loop: Header=BB356_13 Depth=1
	v_bfe_u32 v2, v1, 16, 1
	v_add3_u32 v1, v1, v2, s42
	v_accvgpr_write_b32 a63, v1
                                        ; implicit-def: $vgpr1
; %bb.194:                              ;   in Loop: Header=BB356_13 Depth=1
	s_andn2_saveexec_b64 s[30:31], s[8:9]
; %bb.195:                              ;   in Loop: Header=BB356_13 Depth=1
	v_or_b32_e32 v2, 0x10000, v1
	v_cmp_eq_u32_sdwa s[8:9], v1, v4 src0_sel:WORD_0 src1_sel:DWORD
	v_cndmask_b32_e64 v1, v2, v1, s[8:9]
	v_accvgpr_write_b32 a63, v1
; %bb.196:                              ;   in Loop: Header=BB356_13 Depth=1
	s_or_b64 exec, exec, s[30:31]
	flat_load_ushort v1, v[56:57] offset:1032
	s_waitcnt vmcnt(0) lgkmcnt(0)
	v_and_b32_e32 v58, 0xffff, v1
	v_cmp_ne_u16_sdwa s[8:9], v1, v4 src0_sel:BYTE_0 src1_sel:DWORD
	v_mov_b32_e32 v1, 0
	s_and_saveexec_b64 s[30:31], s[8:9]
	s_cbranch_execz .LBB356_202
; %bb.197:                              ;   in Loop: Header=BB356_13 Depth=1
	v_cmp_ne_u16_sdwa s[8:9], v58, s39 src0_sel:BYTE_0 src1_sel:DWORD
	v_bfrev_b32_e32 v1, 1
	s_and_saveexec_b64 s[34:35], s[8:9]
	s_cbranch_execz .LBB356_201
; %bb.198:                              ;   in Loop: Header=BB356_13 Depth=1
	v_and_b32_e32 v2, 0x7f, v58
	v_cmp_ne_u32_e64 s[8:9], s40, v2
	v_mov_b32_e32 v1, 0x7f800001
	s_and_saveexec_b64 s[36:37], s[8:9]
	s_cbranch_execz .LBB356_200
; %bb.199:                              ;   in Loop: Header=BB356_13 Depth=1
	v_and_b32_e32 v1, 7, v58
	v_ffbh_u32_e32 v10, v1
	v_min_u32_e32 v10, 32, v10
	v_subrev_u32_e32 v13, 28, v10
	v_lshlrev_b64 v[20:21], v13, v[58:59]
	v_lshrrev_b32_e32 v5, 3, v2
	v_sub_u32_e32 v10, 29, v10
	v_and_b32_e32 v13, 7, v20
	v_cmp_gt_u32_e64 s[8:9], 8, v2
	v_cndmask_b32_e64 v2, v5, v10, s[8:9]
	v_cndmask_b32_e64 v1, v1, v13, s[8:9]
	v_lshlrev_b32_e32 v5, 24, v58
	v_bfrev_b32_e32 v3, 60
	v_lshlrev_b32_e32 v1, 20, v1
	v_and_b32_e32 v5, 0x80000000, v5
	v_lshl_add_u32 v2, v2, 23, v3
	v_or3_b32 v1, v5, v2, v1
.LBB356_200:                            ;   in Loop: Header=BB356_13 Depth=1
	s_or_b64 exec, exec, s[36:37]
.LBB356_201:                            ;   in Loop: Header=BB356_13 Depth=1
	s_or_b64 exec, exec, s[34:35]
.LBB356_202:                            ;   in Loop: Header=BB356_13 Depth=1
	s_or_b64 exec, exec, s[30:31]
	v_mul_f32_e32 v1, v12, v1
	v_and_b32_e32 v2, 0x7f800000, v1
	v_cmp_ne_u32_e64 s[8:9], s41, v2
                                        ; implicit-def: $agpr28
	s_and_saveexec_b64 s[30:31], s[8:9]
	s_xor_b64 s[8:9], exec, s[30:31]
; %bb.203:                              ;   in Loop: Header=BB356_13 Depth=1
	v_bfe_u32 v2, v1, 16, 1
	v_add3_u32 v1, v1, v2, s42
	v_accvgpr_write_b32 a28, v1
                                        ; implicit-def: $vgpr1
; %bb.204:                              ;   in Loop: Header=BB356_13 Depth=1
	s_andn2_saveexec_b64 s[30:31], s[8:9]
; %bb.205:                              ;   in Loop: Header=BB356_13 Depth=1
	v_or_b32_e32 v2, 0x10000, v1
	v_cmp_eq_u32_sdwa s[8:9], v1, v4 src0_sel:WORD_0 src1_sel:DWORD
	v_cndmask_b32_e64 v1, v2, v1, s[8:9]
	v_accvgpr_write_b32 a28, v1
; %bb.206:                              ;   in Loop: Header=BB356_13 Depth=1
	s_or_b64 exec, exec, s[30:31]
	v_lshrrev_b16_e32 v60, 8, v58
	v_cmp_ne_u16_e64 s[8:9], 0, v60
	v_mov_b32_e32 v1, 0
	s_and_saveexec_b64 s[30:31], s[8:9]
	s_cbranch_execz .LBB356_212
; %bb.207:                              ;   in Loop: Header=BB356_13 Depth=1
	v_cmp_ne_u16_e64 s[8:9], s39, v60
	v_bfrev_b32_e32 v1, 1
	s_and_saveexec_b64 s[34:35], s[8:9]
	s_cbranch_execz .LBB356_211
; %bb.208:                              ;   in Loop: Header=BB356_13 Depth=1
	v_and_b32_e32 v2, 0x7f, v60
	v_cmp_ne_u32_e64 s[8:9], s40, v2
	v_mov_b32_e32 v1, 0x7f800001
	s_and_saveexec_b64 s[36:37], s[8:9]
	s_cbranch_execz .LBB356_210
; %bb.209:                              ;   in Loop: Header=BB356_13 Depth=1
	v_and_b32_e32 v1, 7, v60
	v_ffbh_u32_e32 v10, v1
	v_min_u32_e32 v10, 32, v10
	v_subrev_u32_e32 v13, 28, v10
	v_lshlrev_b64 v[20:21], v13, v[60:61]
	v_lshrrev_b32_e32 v5, 3, v2
	v_sub_u32_e32 v10, 29, v10
	v_and_b32_e32 v13, 7, v20
	v_cmp_gt_u32_e64 s[8:9], 8, v2
	v_cndmask_b32_e64 v2, v5, v10, s[8:9]
	v_cndmask_b32_e64 v1, v1, v13, s[8:9]
	v_lshlrev_b32_e32 v5, 16, v58
	v_bfrev_b32_e32 v3, 60
	v_lshlrev_b32_e32 v1, 20, v1
	v_and_b32_e32 v5, 0x80000000, v5
	v_lshl_add_u32 v2, v2, 23, v3
	v_or3_b32 v1, v5, v2, v1
.LBB356_210:                            ;   in Loop: Header=BB356_13 Depth=1
	s_or_b64 exec, exec, s[36:37]
.LBB356_211:                            ;   in Loop: Header=BB356_13 Depth=1
	s_or_b64 exec, exec, s[34:35]
.LBB356_212:                            ;   in Loop: Header=BB356_13 Depth=1
	s_or_b64 exec, exec, s[30:31]
	v_mul_f32_e32 v1, v12, v1
	v_and_b32_e32 v2, 0x7f800000, v1
	v_cmp_ne_u32_e64 s[8:9], s41, v2
                                        ; implicit-def: $agpr29
	s_and_saveexec_b64 s[30:31], s[8:9]
	s_xor_b64 s[8:9], exec, s[30:31]
; %bb.213:                              ;   in Loop: Header=BB356_13 Depth=1
	v_bfe_u32 v2, v1, 16, 1
	v_add3_u32 v1, v1, v2, s42
	v_accvgpr_write_b32 a29, v1
                                        ; implicit-def: $vgpr1
; %bb.214:                              ;   in Loop: Header=BB356_13 Depth=1
	s_andn2_saveexec_b64 s[30:31], s[8:9]
; %bb.215:                              ;   in Loop: Header=BB356_13 Depth=1
	v_or_b32_e32 v2, 0x10000, v1
	v_cmp_eq_u32_sdwa s[8:9], v1, v4 src0_sel:WORD_0 src1_sel:DWORD
	v_cndmask_b32_e64 v1, v2, v1, s[8:9]
	v_accvgpr_write_b32 a29, v1
; %bb.216:                              ;   in Loop: Header=BB356_13 Depth=1
	s_or_b64 exec, exec, s[30:31]
	flat_load_ushort v1, v[56:57] offset:1280
	s_waitcnt vmcnt(0) lgkmcnt(0)
	v_and_b32_e32 v58, 0xffff, v1
	v_cmp_ne_u16_sdwa s[8:9], v1, v4 src0_sel:BYTE_0 src1_sel:DWORD
	v_mov_b32_e32 v1, 0
	s_and_saveexec_b64 s[30:31], s[8:9]
	s_cbranch_execz .LBB356_222
; %bb.217:                              ;   in Loop: Header=BB356_13 Depth=1
	v_cmp_ne_u16_sdwa s[8:9], v58, s39 src0_sel:BYTE_0 src1_sel:DWORD
	v_bfrev_b32_e32 v1, 1
	s_and_saveexec_b64 s[34:35], s[8:9]
	s_cbranch_execz .LBB356_221
; %bb.218:                              ;   in Loop: Header=BB356_13 Depth=1
	v_and_b32_e32 v2, 0x7f, v58
	v_cmp_ne_u32_e64 s[8:9], s40, v2
	v_mov_b32_e32 v1, 0x7f800001
	s_and_saveexec_b64 s[36:37], s[8:9]
	s_cbranch_execz .LBB356_220
; %bb.219:                              ;   in Loop: Header=BB356_13 Depth=1
	v_and_b32_e32 v1, 7, v58
	v_ffbh_u32_e32 v10, v1
	v_min_u32_e32 v10, 32, v10
	v_subrev_u32_e32 v13, 28, v10
	v_lshlrev_b64 v[20:21], v13, v[58:59]
	v_lshrrev_b32_e32 v5, 3, v2
	v_sub_u32_e32 v10, 29, v10
	v_and_b32_e32 v13, 7, v20
	v_cmp_gt_u32_e64 s[8:9], 8, v2
	v_cndmask_b32_e64 v2, v5, v10, s[8:9]
	v_cndmask_b32_e64 v1, v1, v13, s[8:9]
	v_lshlrev_b32_e32 v5, 24, v58
	v_bfrev_b32_e32 v3, 60
	v_lshlrev_b32_e32 v1, 20, v1
	v_and_b32_e32 v5, 0x80000000, v5
	v_lshl_add_u32 v2, v2, 23, v3
	v_or3_b32 v1, v5, v2, v1
.LBB356_220:                            ;   in Loop: Header=BB356_13 Depth=1
	s_or_b64 exec, exec, s[36:37]
.LBB356_221:                            ;   in Loop: Header=BB356_13 Depth=1
	s_or_b64 exec, exec, s[34:35]
.LBB356_222:                            ;   in Loop: Header=BB356_13 Depth=1
	s_or_b64 exec, exec, s[30:31]
	v_mul_f32_e32 v1, v12, v1
	v_and_b32_e32 v2, 0x7f800000, v1
	v_cmp_ne_u32_e64 s[8:9], s41, v2
                                        ; implicit-def: $agpr30
	s_and_saveexec_b64 s[30:31], s[8:9]
	s_xor_b64 s[8:9], exec, s[30:31]
; %bb.223:                              ;   in Loop: Header=BB356_13 Depth=1
	v_bfe_u32 v2, v1, 16, 1
	v_add3_u32 v1, v1, v2, s42
	v_accvgpr_write_b32 a30, v1
                                        ; implicit-def: $vgpr1
; %bb.224:                              ;   in Loop: Header=BB356_13 Depth=1
	s_andn2_saveexec_b64 s[30:31], s[8:9]
; %bb.225:                              ;   in Loop: Header=BB356_13 Depth=1
	v_or_b32_e32 v2, 0x10000, v1
	v_cmp_eq_u32_sdwa s[8:9], v1, v4 src0_sel:WORD_0 src1_sel:DWORD
	v_cndmask_b32_e64 v1, v2, v1, s[8:9]
	v_accvgpr_write_b32 a30, v1
; %bb.226:                              ;   in Loop: Header=BB356_13 Depth=1
	s_or_b64 exec, exec, s[30:31]
	v_lshrrev_b16_e32 v60, 8, v58
	v_cmp_ne_u16_e64 s[8:9], 0, v60
	v_mov_b32_e32 v1, 0
	s_and_saveexec_b64 s[30:31], s[8:9]
	s_cbranch_execz .LBB356_232
; %bb.227:                              ;   in Loop: Header=BB356_13 Depth=1
	v_cmp_ne_u16_e64 s[8:9], s39, v60
	v_bfrev_b32_e32 v1, 1
	s_and_saveexec_b64 s[34:35], s[8:9]
	s_cbranch_execz .LBB356_231
; %bb.228:                              ;   in Loop: Header=BB356_13 Depth=1
	v_and_b32_e32 v2, 0x7f, v60
	v_cmp_ne_u32_e64 s[8:9], s40, v2
	v_mov_b32_e32 v1, 0x7f800001
	s_and_saveexec_b64 s[36:37], s[8:9]
	s_cbranch_execz .LBB356_230
; %bb.229:                              ;   in Loop: Header=BB356_13 Depth=1
	v_and_b32_e32 v1, 7, v60
	v_ffbh_u32_e32 v10, v1
	v_min_u32_e32 v10, 32, v10
	v_subrev_u32_e32 v13, 28, v10
	v_lshlrev_b64 v[20:21], v13, v[60:61]
	v_lshrrev_b32_e32 v5, 3, v2
	v_sub_u32_e32 v10, 29, v10
	v_and_b32_e32 v13, 7, v20
	v_cmp_gt_u32_e64 s[8:9], 8, v2
	v_cndmask_b32_e64 v2, v5, v10, s[8:9]
	v_cndmask_b32_e64 v1, v1, v13, s[8:9]
	v_lshlrev_b32_e32 v5, 16, v58
	v_bfrev_b32_e32 v3, 60
	v_lshlrev_b32_e32 v1, 20, v1
	v_and_b32_e32 v5, 0x80000000, v5
	v_lshl_add_u32 v2, v2, 23, v3
	v_or3_b32 v1, v5, v2, v1
.LBB356_230:                            ;   in Loop: Header=BB356_13 Depth=1
	s_or_b64 exec, exec, s[36:37]
.LBB356_231:                            ;   in Loop: Header=BB356_13 Depth=1
	s_or_b64 exec, exec, s[34:35]
.LBB356_232:                            ;   in Loop: Header=BB356_13 Depth=1
	s_or_b64 exec, exec, s[30:31]
	v_mul_f32_e32 v1, v12, v1
	v_and_b32_e32 v2, 0x7f800000, v1
	v_cmp_ne_u32_e64 s[8:9], s41, v2
                                        ; implicit-def: $agpr31
	s_and_saveexec_b64 s[30:31], s[8:9]
	s_xor_b64 s[8:9], exec, s[30:31]
; %bb.233:                              ;   in Loop: Header=BB356_13 Depth=1
	v_bfe_u32 v2, v1, 16, 1
	v_add3_u32 v1, v1, v2, s42
	v_accvgpr_write_b32 a31, v1
                                        ; implicit-def: $vgpr1
; %bb.234:                              ;   in Loop: Header=BB356_13 Depth=1
	s_andn2_saveexec_b64 s[30:31], s[8:9]
; %bb.235:                              ;   in Loop: Header=BB356_13 Depth=1
	v_or_b32_e32 v2, 0x10000, v1
	v_cmp_eq_u32_sdwa s[8:9], v1, v4 src0_sel:WORD_0 src1_sel:DWORD
	v_cndmask_b32_e64 v1, v2, v1, s[8:9]
	v_accvgpr_write_b32 a31, v1
; %bb.236:                              ;   in Loop: Header=BB356_13 Depth=1
	s_or_b64 exec, exec, s[30:31]
	flat_load_ushort v1, v[56:57] offset:1288
	s_waitcnt vmcnt(0) lgkmcnt(0)
	v_and_b32_e32 v58, 0xffff, v1
	v_cmp_ne_u16_sdwa s[8:9], v1, v4 src0_sel:BYTE_0 src1_sel:DWORD
	v_mov_b32_e32 v1, 0
	s_and_saveexec_b64 s[30:31], s[8:9]
	s_cbranch_execz .LBB356_242
; %bb.237:                              ;   in Loop: Header=BB356_13 Depth=1
	v_cmp_ne_u16_sdwa s[8:9], v58, s39 src0_sel:BYTE_0 src1_sel:DWORD
	v_bfrev_b32_e32 v1, 1
	s_and_saveexec_b64 s[34:35], s[8:9]
	s_cbranch_execz .LBB356_241
; %bb.238:                              ;   in Loop: Header=BB356_13 Depth=1
	v_and_b32_e32 v2, 0x7f, v58
	v_cmp_ne_u32_e64 s[8:9], s40, v2
	v_mov_b32_e32 v1, 0x7f800001
	s_and_saveexec_b64 s[36:37], s[8:9]
	s_cbranch_execz .LBB356_240
; %bb.239:                              ;   in Loop: Header=BB356_13 Depth=1
	v_and_b32_e32 v1, 7, v58
	v_ffbh_u32_e32 v10, v1
	v_min_u32_e32 v10, 32, v10
	v_subrev_u32_e32 v13, 28, v10
	v_lshlrev_b64 v[20:21], v13, v[58:59]
	v_lshrrev_b32_e32 v5, 3, v2
	v_sub_u32_e32 v10, 29, v10
	v_and_b32_e32 v13, 7, v20
	v_cmp_gt_u32_e64 s[8:9], 8, v2
	v_cndmask_b32_e64 v2, v5, v10, s[8:9]
	v_cndmask_b32_e64 v1, v1, v13, s[8:9]
	v_lshlrev_b32_e32 v5, 24, v58
	v_bfrev_b32_e32 v3, 60
	v_lshlrev_b32_e32 v1, 20, v1
	v_and_b32_e32 v5, 0x80000000, v5
	v_lshl_add_u32 v2, v2, 23, v3
	v_or3_b32 v1, v5, v2, v1
.LBB356_240:                            ;   in Loop: Header=BB356_13 Depth=1
	s_or_b64 exec, exec, s[36:37]
.LBB356_241:                            ;   in Loop: Header=BB356_13 Depth=1
	s_or_b64 exec, exec, s[34:35]
.LBB356_242:                            ;   in Loop: Header=BB356_13 Depth=1
	s_or_b64 exec, exec, s[30:31]
	v_mul_f32_e32 v1, v12, v1
	v_and_b32_e32 v2, 0x7f800000, v1
	v_cmp_ne_u32_e64 s[8:9], s41, v2
                                        ; implicit-def: $agpr26
	s_and_saveexec_b64 s[30:31], s[8:9]
	s_xor_b64 s[8:9], exec, s[30:31]
; %bb.243:                              ;   in Loop: Header=BB356_13 Depth=1
	v_bfe_u32 v2, v1, 16, 1
	v_add3_u32 v1, v1, v2, s42
	v_accvgpr_write_b32 a26, v1
                                        ; implicit-def: $vgpr1
; %bb.244:                              ;   in Loop: Header=BB356_13 Depth=1
	s_andn2_saveexec_b64 s[30:31], s[8:9]
; %bb.245:                              ;   in Loop: Header=BB356_13 Depth=1
	v_or_b32_e32 v2, 0x10000, v1
	v_cmp_eq_u32_sdwa s[8:9], v1, v4 src0_sel:WORD_0 src1_sel:DWORD
	v_cndmask_b32_e64 v1, v2, v1, s[8:9]
	v_accvgpr_write_b32 a26, v1
; %bb.246:                              ;   in Loop: Header=BB356_13 Depth=1
	s_or_b64 exec, exec, s[30:31]
	v_lshrrev_b16_e32 v60, 8, v58
	v_cmp_ne_u16_e64 s[8:9], 0, v60
	v_mov_b32_e32 v1, 0
	s_and_saveexec_b64 s[30:31], s[8:9]
	s_cbranch_execz .LBB356_252
; %bb.247:                              ;   in Loop: Header=BB356_13 Depth=1
	v_cmp_ne_u16_e64 s[8:9], s39, v60
	v_bfrev_b32_e32 v1, 1
	s_and_saveexec_b64 s[34:35], s[8:9]
	s_cbranch_execz .LBB356_251
; %bb.248:                              ;   in Loop: Header=BB356_13 Depth=1
	v_and_b32_e32 v2, 0x7f, v60
	v_cmp_ne_u32_e64 s[8:9], s40, v2
	v_mov_b32_e32 v1, 0x7f800001
	s_and_saveexec_b64 s[36:37], s[8:9]
	s_cbranch_execz .LBB356_250
; %bb.249:                              ;   in Loop: Header=BB356_13 Depth=1
	v_and_b32_e32 v1, 7, v60
	v_ffbh_u32_e32 v10, v1
	v_min_u32_e32 v10, 32, v10
	v_subrev_u32_e32 v13, 28, v10
	v_lshlrev_b64 v[20:21], v13, v[60:61]
	v_lshrrev_b32_e32 v5, 3, v2
	v_sub_u32_e32 v10, 29, v10
	v_and_b32_e32 v13, 7, v20
	v_cmp_gt_u32_e64 s[8:9], 8, v2
	v_cndmask_b32_e64 v2, v5, v10, s[8:9]
	v_cndmask_b32_e64 v1, v1, v13, s[8:9]
	v_lshlrev_b32_e32 v5, 16, v58
	v_bfrev_b32_e32 v3, 60
	v_lshlrev_b32_e32 v1, 20, v1
	v_and_b32_e32 v5, 0x80000000, v5
	v_lshl_add_u32 v2, v2, 23, v3
	v_or3_b32 v1, v5, v2, v1
.LBB356_250:                            ;   in Loop: Header=BB356_13 Depth=1
	s_or_b64 exec, exec, s[36:37]
.LBB356_251:                            ;   in Loop: Header=BB356_13 Depth=1
	s_or_b64 exec, exec, s[34:35]
.LBB356_252:                            ;   in Loop: Header=BB356_13 Depth=1
	s_or_b64 exec, exec, s[30:31]
	v_mul_f32_e32 v1, v12, v1
	v_and_b32_e32 v2, 0x7f800000, v1
	v_cmp_ne_u32_e64 s[8:9], s41, v2
                                        ; implicit-def: $agpr27
	s_and_saveexec_b64 s[30:31], s[8:9]
	s_xor_b64 s[8:9], exec, s[30:31]
; %bb.253:                              ;   in Loop: Header=BB356_13 Depth=1
	v_bfe_u32 v2, v1, 16, 1
	v_add3_u32 v1, v1, v2, s42
	v_accvgpr_write_b32 a27, v1
                                        ; implicit-def: $vgpr1
; %bb.254:                              ;   in Loop: Header=BB356_13 Depth=1
	s_andn2_saveexec_b64 s[30:31], s[8:9]
; %bb.255:                              ;   in Loop: Header=BB356_13 Depth=1
	v_or_b32_e32 v2, 0x10000, v1
	v_cmp_eq_u32_sdwa s[8:9], v1, v4 src0_sel:WORD_0 src1_sel:DWORD
	v_cndmask_b32_e64 v1, v2, v1, s[8:9]
	v_accvgpr_write_b32 a27, v1
; %bb.256:                              ;   in Loop: Header=BB356_13 Depth=1
	s_or_b64 exec, exec, s[30:31]
	flat_load_ushort v1, v[56:57] offset:1536
	s_waitcnt vmcnt(0) lgkmcnt(0)
	v_and_b32_e32 v58, 0xffff, v1
	v_cmp_ne_u16_sdwa s[8:9], v1, v4 src0_sel:BYTE_0 src1_sel:DWORD
	v_mov_b32_e32 v1, 0
	s_and_saveexec_b64 s[30:31], s[8:9]
	s_cbranch_execz .LBB356_262
; %bb.257:                              ;   in Loop: Header=BB356_13 Depth=1
	v_cmp_ne_u16_sdwa s[8:9], v58, s39 src0_sel:BYTE_0 src1_sel:DWORD
	v_bfrev_b32_e32 v1, 1
	s_and_saveexec_b64 s[34:35], s[8:9]
	s_cbranch_execz .LBB356_261
; %bb.258:                              ;   in Loop: Header=BB356_13 Depth=1
	v_and_b32_e32 v2, 0x7f, v58
	v_cmp_ne_u32_e64 s[8:9], s40, v2
	v_mov_b32_e32 v1, 0x7f800001
	s_and_saveexec_b64 s[36:37], s[8:9]
	s_cbranch_execz .LBB356_260
; %bb.259:                              ;   in Loop: Header=BB356_13 Depth=1
	v_and_b32_e32 v1, 7, v58
	v_ffbh_u32_e32 v10, v1
	v_min_u32_e32 v10, 32, v10
	v_subrev_u32_e32 v13, 28, v10
	v_lshlrev_b64 v[20:21], v13, v[58:59]
	v_lshrrev_b32_e32 v5, 3, v2
	v_sub_u32_e32 v10, 29, v10
	v_and_b32_e32 v13, 7, v20
	v_cmp_gt_u32_e64 s[8:9], 8, v2
	v_cndmask_b32_e64 v2, v5, v10, s[8:9]
	v_cndmask_b32_e64 v1, v1, v13, s[8:9]
	v_lshlrev_b32_e32 v5, 24, v58
	v_bfrev_b32_e32 v3, 60
	v_lshlrev_b32_e32 v1, 20, v1
	v_and_b32_e32 v5, 0x80000000, v5
	v_lshl_add_u32 v2, v2, 23, v3
	v_or3_b32 v1, v5, v2, v1
.LBB356_260:                            ;   in Loop: Header=BB356_13 Depth=1
	s_or_b64 exec, exec, s[36:37]
.LBB356_261:                            ;   in Loop: Header=BB356_13 Depth=1
	s_or_b64 exec, exec, s[34:35]
.LBB356_262:                            ;   in Loop: Header=BB356_13 Depth=1
	s_or_b64 exec, exec, s[30:31]
	v_mul_f32_e32 v1, v12, v1
	v_and_b32_e32 v2, 0x7f800000, v1
	v_cmp_ne_u32_e64 s[8:9], s41, v2
                                        ; implicit-def: $agpr25
	s_and_saveexec_b64 s[30:31], s[8:9]
	s_xor_b64 s[8:9], exec, s[30:31]
; %bb.263:                              ;   in Loop: Header=BB356_13 Depth=1
	v_bfe_u32 v2, v1, 16, 1
	v_add3_u32 v1, v1, v2, s42
	v_accvgpr_write_b32 a25, v1
                                        ; implicit-def: $vgpr1
; %bb.264:                              ;   in Loop: Header=BB356_13 Depth=1
	s_andn2_saveexec_b64 s[30:31], s[8:9]
; %bb.265:                              ;   in Loop: Header=BB356_13 Depth=1
	v_or_b32_e32 v2, 0x10000, v1
	v_cmp_eq_u32_sdwa s[8:9], v1, v4 src0_sel:WORD_0 src1_sel:DWORD
	v_cndmask_b32_e64 v1, v2, v1, s[8:9]
	v_accvgpr_write_b32 a25, v1
; %bb.266:                              ;   in Loop: Header=BB356_13 Depth=1
	s_or_b64 exec, exec, s[30:31]
	v_lshrrev_b16_e32 v60, 8, v58
	v_cmp_ne_u16_e64 s[8:9], 0, v60
	v_mov_b32_e32 v1, 0
	s_and_saveexec_b64 s[30:31], s[8:9]
	s_cbranch_execz .LBB356_272
; %bb.267:                              ;   in Loop: Header=BB356_13 Depth=1
	v_cmp_ne_u16_e64 s[8:9], s39, v60
	v_bfrev_b32_e32 v1, 1
	s_and_saveexec_b64 s[34:35], s[8:9]
	s_cbranch_execz .LBB356_271
; %bb.268:                              ;   in Loop: Header=BB356_13 Depth=1
	v_and_b32_e32 v2, 0x7f, v60
	v_cmp_ne_u32_e64 s[8:9], s40, v2
	v_mov_b32_e32 v1, 0x7f800001
	s_and_saveexec_b64 s[36:37], s[8:9]
	s_cbranch_execz .LBB356_270
; %bb.269:                              ;   in Loop: Header=BB356_13 Depth=1
	v_and_b32_e32 v1, 7, v60
	v_ffbh_u32_e32 v10, v1
	v_min_u32_e32 v10, 32, v10
	v_subrev_u32_e32 v13, 28, v10
	v_lshlrev_b64 v[20:21], v13, v[60:61]
	v_lshrrev_b32_e32 v5, 3, v2
	v_sub_u32_e32 v10, 29, v10
	v_and_b32_e32 v13, 7, v20
	v_cmp_gt_u32_e64 s[8:9], 8, v2
	v_cndmask_b32_e64 v2, v5, v10, s[8:9]
	v_cndmask_b32_e64 v1, v1, v13, s[8:9]
	v_lshlrev_b32_e32 v5, 16, v58
	v_bfrev_b32_e32 v3, 60
	v_lshlrev_b32_e32 v1, 20, v1
	v_and_b32_e32 v5, 0x80000000, v5
	v_lshl_add_u32 v2, v2, 23, v3
	v_or3_b32 v1, v5, v2, v1
.LBB356_270:                            ;   in Loop: Header=BB356_13 Depth=1
	s_or_b64 exec, exec, s[36:37]
.LBB356_271:                            ;   in Loop: Header=BB356_13 Depth=1
	s_or_b64 exec, exec, s[34:35]
.LBB356_272:                            ;   in Loop: Header=BB356_13 Depth=1
	s_or_b64 exec, exec, s[30:31]
	v_mul_f32_e32 v1, v12, v1
	v_and_b32_e32 v2, 0x7f800000, v1
	v_cmp_ne_u32_e64 s[8:9], s41, v2
                                        ; implicit-def: $agpr35
	s_and_saveexec_b64 s[30:31], s[8:9]
	s_xor_b64 s[8:9], exec, s[30:31]
; %bb.273:                              ;   in Loop: Header=BB356_13 Depth=1
	v_bfe_u32 v2, v1, 16, 1
	v_add3_u32 v1, v1, v2, s42
	v_accvgpr_write_b32 a35, v1
                                        ; implicit-def: $vgpr1
; %bb.274:                              ;   in Loop: Header=BB356_13 Depth=1
	s_andn2_saveexec_b64 s[30:31], s[8:9]
; %bb.275:                              ;   in Loop: Header=BB356_13 Depth=1
	v_or_b32_e32 v2, 0x10000, v1
	v_cmp_eq_u32_sdwa s[8:9], v1, v4 src0_sel:WORD_0 src1_sel:DWORD
	v_cndmask_b32_e64 v1, v2, v1, s[8:9]
	v_accvgpr_write_b32 a35, v1
; %bb.276:                              ;   in Loop: Header=BB356_13 Depth=1
	s_or_b64 exec, exec, s[30:31]
	flat_load_ushort v1, v[56:57] offset:1544
	s_waitcnt vmcnt(0) lgkmcnt(0)
	v_and_b32_e32 v58, 0xffff, v1
	v_cmp_ne_u16_sdwa s[8:9], v1, v4 src0_sel:BYTE_0 src1_sel:DWORD
	v_mov_b32_e32 v1, 0
	s_and_saveexec_b64 s[30:31], s[8:9]
	s_cbranch_execz .LBB356_282
; %bb.277:                              ;   in Loop: Header=BB356_13 Depth=1
	v_cmp_ne_u16_sdwa s[8:9], v58, s39 src0_sel:BYTE_0 src1_sel:DWORD
	v_bfrev_b32_e32 v1, 1
	s_and_saveexec_b64 s[34:35], s[8:9]
	s_cbranch_execz .LBB356_281
; %bb.278:                              ;   in Loop: Header=BB356_13 Depth=1
	v_and_b32_e32 v2, 0x7f, v58
	v_cmp_ne_u32_e64 s[8:9], s40, v2
	v_mov_b32_e32 v1, 0x7f800001
	s_and_saveexec_b64 s[36:37], s[8:9]
	s_cbranch_execz .LBB356_280
; %bb.279:                              ;   in Loop: Header=BB356_13 Depth=1
	v_and_b32_e32 v1, 7, v58
	v_ffbh_u32_e32 v10, v1
	v_min_u32_e32 v10, 32, v10
	v_subrev_u32_e32 v13, 28, v10
	v_lshlrev_b64 v[20:21], v13, v[58:59]
	v_lshrrev_b32_e32 v5, 3, v2
	v_sub_u32_e32 v10, 29, v10
	v_and_b32_e32 v13, 7, v20
	v_cmp_gt_u32_e64 s[8:9], 8, v2
	v_cndmask_b32_e64 v2, v5, v10, s[8:9]
	v_cndmask_b32_e64 v1, v1, v13, s[8:9]
	v_lshlrev_b32_e32 v5, 24, v58
	v_bfrev_b32_e32 v3, 60
	v_lshlrev_b32_e32 v1, 20, v1
	v_and_b32_e32 v5, 0x80000000, v5
	v_lshl_add_u32 v2, v2, 23, v3
	v_or3_b32 v1, v5, v2, v1
.LBB356_280:                            ;   in Loop: Header=BB356_13 Depth=1
	s_or_b64 exec, exec, s[36:37]
.LBB356_281:                            ;   in Loop: Header=BB356_13 Depth=1
	s_or_b64 exec, exec, s[34:35]
.LBB356_282:                            ;   in Loop: Header=BB356_13 Depth=1
	s_or_b64 exec, exec, s[30:31]
	v_mul_f32_e32 v1, v12, v1
	v_and_b32_e32 v2, 0x7f800000, v1
	v_cmp_ne_u32_e64 s[8:9], s41, v2
                                        ; implicit-def: $agpr15
	s_and_saveexec_b64 s[30:31], s[8:9]
	s_xor_b64 s[8:9], exec, s[30:31]
; %bb.283:                              ;   in Loop: Header=BB356_13 Depth=1
	v_bfe_u32 v2, v1, 16, 1
	v_add3_u32 v1, v1, v2, s42
	v_accvgpr_write_b32 a15, v1
                                        ; implicit-def: $vgpr1
; %bb.284:                              ;   in Loop: Header=BB356_13 Depth=1
	s_andn2_saveexec_b64 s[30:31], s[8:9]
; %bb.285:                              ;   in Loop: Header=BB356_13 Depth=1
	v_or_b32_e32 v2, 0x10000, v1
	v_cmp_eq_u32_sdwa s[8:9], v1, v4 src0_sel:WORD_0 src1_sel:DWORD
	v_cndmask_b32_e64 v1, v2, v1, s[8:9]
	v_accvgpr_write_b32 a15, v1
; %bb.286:                              ;   in Loop: Header=BB356_13 Depth=1
	s_or_b64 exec, exec, s[30:31]
	v_lshrrev_b16_e32 v60, 8, v58
	v_cmp_ne_u16_e64 s[8:9], 0, v60
	v_mov_b32_e32 v1, 0
	s_and_saveexec_b64 s[30:31], s[8:9]
	s_cbranch_execz .LBB356_292
; %bb.287:                              ;   in Loop: Header=BB356_13 Depth=1
	v_cmp_ne_u16_e64 s[8:9], s39, v60
	v_bfrev_b32_e32 v1, 1
	s_and_saveexec_b64 s[34:35], s[8:9]
	s_cbranch_execz .LBB356_291
; %bb.288:                              ;   in Loop: Header=BB356_13 Depth=1
	v_and_b32_e32 v2, 0x7f, v60
	v_cmp_ne_u32_e64 s[8:9], s40, v2
	v_mov_b32_e32 v1, 0x7f800001
	s_and_saveexec_b64 s[36:37], s[8:9]
	s_cbranch_execz .LBB356_290
; %bb.289:                              ;   in Loop: Header=BB356_13 Depth=1
	v_and_b32_e32 v1, 7, v60
	v_ffbh_u32_e32 v10, v1
	v_min_u32_e32 v10, 32, v10
	v_subrev_u32_e32 v13, 28, v10
	v_lshlrev_b64 v[20:21], v13, v[60:61]
	v_lshrrev_b32_e32 v5, 3, v2
	v_sub_u32_e32 v10, 29, v10
	v_and_b32_e32 v13, 7, v20
	v_cmp_gt_u32_e64 s[8:9], 8, v2
	v_cndmask_b32_e64 v2, v5, v10, s[8:9]
	v_cndmask_b32_e64 v1, v1, v13, s[8:9]
	v_lshlrev_b32_e32 v5, 16, v58
	v_bfrev_b32_e32 v3, 60
	v_lshlrev_b32_e32 v1, 20, v1
	v_and_b32_e32 v5, 0x80000000, v5
	v_lshl_add_u32 v2, v2, 23, v3
	v_or3_b32 v1, v5, v2, v1
.LBB356_290:                            ;   in Loop: Header=BB356_13 Depth=1
	s_or_b64 exec, exec, s[36:37]
.LBB356_291:                            ;   in Loop: Header=BB356_13 Depth=1
	s_or_b64 exec, exec, s[34:35]
.LBB356_292:                            ;   in Loop: Header=BB356_13 Depth=1
	s_or_b64 exec, exec, s[30:31]
	v_mul_f32_e32 v1, v12, v1
	v_and_b32_e32 v2, 0x7f800000, v1
	v_cmp_ne_u32_e64 s[8:9], s41, v2
                                        ; implicit-def: $agpr0
	s_and_saveexec_b64 s[30:31], s[8:9]
	s_xor_b64 s[8:9], exec, s[30:31]
; %bb.293:                              ;   in Loop: Header=BB356_13 Depth=1
	v_bfe_u32 v2, v1, 16, 1
	v_add3_u32 v1, v1, v2, s42
	v_accvgpr_write_b32 a0, v1
                                        ; implicit-def: $vgpr1
; %bb.294:                              ;   in Loop: Header=BB356_13 Depth=1
	s_andn2_saveexec_b64 s[30:31], s[8:9]
; %bb.295:                              ;   in Loop: Header=BB356_13 Depth=1
	v_or_b32_e32 v2, 0x10000, v1
	v_cmp_eq_u32_sdwa s[8:9], v1, v4 src0_sel:WORD_0 src1_sel:DWORD
	v_cndmask_b32_e64 v1, v2, v1, s[8:9]
	v_accvgpr_write_b32 a0, v1
; %bb.296:                              ;   in Loop: Header=BB356_13 Depth=1
	s_or_b64 exec, exec, s[30:31]
	flat_load_ushort v1, v[56:57] offset:1792
	s_waitcnt vmcnt(0) lgkmcnt(0)
	v_and_b32_e32 v58, 0xffff, v1
	v_cmp_ne_u16_sdwa s[8:9], v1, v4 src0_sel:BYTE_0 src1_sel:DWORD
	v_mov_b32_e32 v1, 0
	s_and_saveexec_b64 s[30:31], s[8:9]
	s_cbranch_execz .LBB356_302
; %bb.297:                              ;   in Loop: Header=BB356_13 Depth=1
	v_cmp_ne_u16_sdwa s[8:9], v58, s39 src0_sel:BYTE_0 src1_sel:DWORD
	v_bfrev_b32_e32 v1, 1
	s_and_saveexec_b64 s[34:35], s[8:9]
	s_cbranch_execz .LBB356_301
; %bb.298:                              ;   in Loop: Header=BB356_13 Depth=1
	v_and_b32_e32 v2, 0x7f, v58
	v_cmp_ne_u32_e64 s[8:9], s40, v2
	v_mov_b32_e32 v1, 0x7f800001
	s_and_saveexec_b64 s[36:37], s[8:9]
	s_cbranch_execz .LBB356_300
; %bb.299:                              ;   in Loop: Header=BB356_13 Depth=1
	v_and_b32_e32 v1, 7, v58
	v_ffbh_u32_e32 v10, v1
	v_min_u32_e32 v10, 32, v10
	v_subrev_u32_e32 v13, 28, v10
	v_lshlrev_b64 v[20:21], v13, v[58:59]
	v_lshrrev_b32_e32 v5, 3, v2
	v_sub_u32_e32 v10, 29, v10
	v_and_b32_e32 v13, 7, v20
	v_cmp_gt_u32_e64 s[8:9], 8, v2
	v_cndmask_b32_e64 v2, v5, v10, s[8:9]
	v_cndmask_b32_e64 v1, v1, v13, s[8:9]
	v_lshlrev_b32_e32 v5, 24, v58
	v_bfrev_b32_e32 v3, 60
	v_lshlrev_b32_e32 v1, 20, v1
	v_and_b32_e32 v5, 0x80000000, v5
	v_lshl_add_u32 v2, v2, 23, v3
	v_or3_b32 v1, v5, v2, v1
.LBB356_300:                            ;   in Loop: Header=BB356_13 Depth=1
	s_or_b64 exec, exec, s[36:37]
.LBB356_301:                            ;   in Loop: Header=BB356_13 Depth=1
	s_or_b64 exec, exec, s[34:35]
.LBB356_302:                            ;   in Loop: Header=BB356_13 Depth=1
	s_or_b64 exec, exec, s[30:31]
	v_mul_f32_e32 v1, v12, v1
	v_and_b32_e32 v2, 0x7f800000, v1
	v_cmp_ne_u32_e64 s[8:9], s41, v2
                                        ; implicit-def: $agpr1
	s_and_saveexec_b64 s[30:31], s[8:9]
	s_xor_b64 s[8:9], exec, s[30:31]
; %bb.303:                              ;   in Loop: Header=BB356_13 Depth=1
	v_bfe_u32 v2, v1, 16, 1
	v_add3_u32 v1, v1, v2, s42
	v_accvgpr_write_b32 a1, v1
                                        ; implicit-def: $vgpr1
; %bb.304:                              ;   in Loop: Header=BB356_13 Depth=1
	s_andn2_saveexec_b64 s[30:31], s[8:9]
; %bb.305:                              ;   in Loop: Header=BB356_13 Depth=1
	v_or_b32_e32 v2, 0x10000, v1
	v_cmp_eq_u32_sdwa s[8:9], v1, v4 src0_sel:WORD_0 src1_sel:DWORD
	v_cndmask_b32_e64 v1, v2, v1, s[8:9]
	v_accvgpr_write_b32 a1, v1
; %bb.306:                              ;   in Loop: Header=BB356_13 Depth=1
	s_or_b64 exec, exec, s[30:31]
	v_lshrrev_b16_e32 v60, 8, v58
	v_cmp_ne_u16_e64 s[8:9], 0, v60
	v_mov_b32_e32 v1, 0
	s_and_saveexec_b64 s[30:31], s[8:9]
	s_cbranch_execz .LBB356_312
; %bb.307:                              ;   in Loop: Header=BB356_13 Depth=1
	v_cmp_ne_u16_e64 s[8:9], s39, v60
	v_bfrev_b32_e32 v1, 1
	s_and_saveexec_b64 s[34:35], s[8:9]
	s_cbranch_execz .LBB356_311
; %bb.308:                              ;   in Loop: Header=BB356_13 Depth=1
	v_and_b32_e32 v2, 0x7f, v60
	v_cmp_ne_u32_e64 s[8:9], s40, v2
	v_mov_b32_e32 v1, 0x7f800001
	s_and_saveexec_b64 s[36:37], s[8:9]
	s_cbranch_execz .LBB356_310
; %bb.309:                              ;   in Loop: Header=BB356_13 Depth=1
	v_and_b32_e32 v1, 7, v60
	v_ffbh_u32_e32 v10, v1
	v_min_u32_e32 v10, 32, v10
	v_subrev_u32_e32 v13, 28, v10
	v_lshlrev_b64 v[20:21], v13, v[60:61]
	v_lshrrev_b32_e32 v5, 3, v2
	v_sub_u32_e32 v10, 29, v10
	v_and_b32_e32 v13, 7, v20
	v_cmp_gt_u32_e64 s[8:9], 8, v2
	v_cndmask_b32_e64 v2, v5, v10, s[8:9]
	v_cndmask_b32_e64 v1, v1, v13, s[8:9]
	v_lshlrev_b32_e32 v5, 16, v58
	v_bfrev_b32_e32 v3, 60
	v_lshlrev_b32_e32 v1, 20, v1
	v_and_b32_e32 v5, 0x80000000, v5
	v_lshl_add_u32 v2, v2, 23, v3
	v_or3_b32 v1, v5, v2, v1
.LBB356_310:                            ;   in Loop: Header=BB356_13 Depth=1
	s_or_b64 exec, exec, s[36:37]
.LBB356_311:                            ;   in Loop: Header=BB356_13 Depth=1
	s_or_b64 exec, exec, s[34:35]
.LBB356_312:                            ;   in Loop: Header=BB356_13 Depth=1
	s_or_b64 exec, exec, s[30:31]
	v_mul_f32_e32 v1, v12, v1
	v_and_b32_e32 v2, 0x7f800000, v1
	v_cmp_ne_u32_e64 s[8:9], s41, v2
                                        ; implicit-def: $agpr23
	s_and_saveexec_b64 s[30:31], s[8:9]
	s_xor_b64 s[8:9], exec, s[30:31]
; %bb.313:                              ;   in Loop: Header=BB356_13 Depth=1
	v_bfe_u32 v2, v1, 16, 1
	v_add3_u32 v1, v1, v2, s42
	v_accvgpr_write_b32 a23, v1
                                        ; implicit-def: $vgpr1
; %bb.314:                              ;   in Loop: Header=BB356_13 Depth=1
	s_andn2_saveexec_b64 s[30:31], s[8:9]
; %bb.315:                              ;   in Loop: Header=BB356_13 Depth=1
	v_or_b32_e32 v2, 0x10000, v1
	v_cmp_eq_u32_sdwa s[8:9], v1, v4 src0_sel:WORD_0 src1_sel:DWORD
	v_cndmask_b32_e64 v1, v2, v1, s[8:9]
	v_accvgpr_write_b32 a23, v1
; %bb.316:                              ;   in Loop: Header=BB356_13 Depth=1
	s_or_b64 exec, exec, s[30:31]
	flat_load_ushort v1, v[56:57] offset:1800
	s_waitcnt vmcnt(0) lgkmcnt(0)
	v_and_b32_e32 v58, 0xffff, v1
	v_cmp_ne_u16_sdwa s[8:9], v1, v4 src0_sel:BYTE_0 src1_sel:DWORD
	v_mov_b32_e32 v1, 0
	s_and_saveexec_b64 s[30:31], s[8:9]
	s_cbranch_execz .LBB356_322
; %bb.317:                              ;   in Loop: Header=BB356_13 Depth=1
	v_cmp_ne_u16_sdwa s[8:9], v58, s39 src0_sel:BYTE_0 src1_sel:DWORD
	v_bfrev_b32_e32 v1, 1
	s_and_saveexec_b64 s[34:35], s[8:9]
	s_cbranch_execz .LBB356_321
; %bb.318:                              ;   in Loop: Header=BB356_13 Depth=1
	v_and_b32_e32 v2, 0x7f, v58
	v_cmp_ne_u32_e64 s[8:9], s40, v2
	v_mov_b32_e32 v1, 0x7f800001
	s_and_saveexec_b64 s[36:37], s[8:9]
	s_cbranch_execz .LBB356_320
; %bb.319:                              ;   in Loop: Header=BB356_13 Depth=1
	v_and_b32_e32 v1, 7, v58
	v_ffbh_u32_e32 v10, v1
	v_min_u32_e32 v10, 32, v10
	v_subrev_u32_e32 v13, 28, v10
	v_lshlrev_b64 v[20:21], v13, v[58:59]
	v_lshrrev_b32_e32 v5, 3, v2
	v_sub_u32_e32 v10, 29, v10
	v_and_b32_e32 v13, 7, v20
	v_cmp_gt_u32_e64 s[8:9], 8, v2
	v_cndmask_b32_e64 v2, v5, v10, s[8:9]
	v_cndmask_b32_e64 v1, v1, v13, s[8:9]
	v_lshlrev_b32_e32 v5, 24, v58
	v_bfrev_b32_e32 v3, 60
	v_lshlrev_b32_e32 v1, 20, v1
	v_and_b32_e32 v5, 0x80000000, v5
	v_lshl_add_u32 v2, v2, 23, v3
	v_or3_b32 v1, v5, v2, v1
.LBB356_320:                            ;   in Loop: Header=BB356_13 Depth=1
	s_or_b64 exec, exec, s[36:37]
.LBB356_321:                            ;   in Loop: Header=BB356_13 Depth=1
	s_or_b64 exec, exec, s[34:35]
.LBB356_322:                            ;   in Loop: Header=BB356_13 Depth=1
	s_or_b64 exec, exec, s[30:31]
	v_mul_f32_e32 v1, v12, v1
	v_and_b32_e32 v2, 0x7f800000, v1
	v_cmp_ne_u32_e64 s[8:9], s41, v2
                                        ; implicit-def: $agpr24
	s_and_saveexec_b64 s[30:31], s[8:9]
	s_xor_b64 s[8:9], exec, s[30:31]
; %bb.323:                              ;   in Loop: Header=BB356_13 Depth=1
	v_bfe_u32 v2, v1, 16, 1
	v_add3_u32 v1, v1, v2, s42
	v_accvgpr_write_b32 a24, v1
                                        ; implicit-def: $vgpr1
; %bb.324:                              ;   in Loop: Header=BB356_13 Depth=1
	s_andn2_saveexec_b64 s[30:31], s[8:9]
; %bb.325:                              ;   in Loop: Header=BB356_13 Depth=1
	v_or_b32_e32 v2, 0x10000, v1
	v_cmp_eq_u32_sdwa s[8:9], v1, v4 src0_sel:WORD_0 src1_sel:DWORD
	v_cndmask_b32_e64 v1, v2, v1, s[8:9]
	v_accvgpr_write_b32 a24, v1
; %bb.326:                              ;   in Loop: Header=BB356_13 Depth=1
	s_or_b64 exec, exec, s[30:31]
	v_lshrrev_b16_e32 v60, 8, v58
	v_cmp_ne_u16_e64 s[8:9], 0, v60
	v_mov_b32_e32 v1, 0
	s_and_saveexec_b64 s[30:31], s[8:9]
	s_cbranch_execz .LBB356_332
; %bb.327:                              ;   in Loop: Header=BB356_13 Depth=1
	v_cmp_ne_u16_e64 s[8:9], s39, v60
	v_bfrev_b32_e32 v1, 1
	s_and_saveexec_b64 s[34:35], s[8:9]
	s_cbranch_execz .LBB356_331
; %bb.328:                              ;   in Loop: Header=BB356_13 Depth=1
	v_and_b32_e32 v2, 0x7f, v60
	v_cmp_ne_u32_e64 s[8:9], s40, v2
	v_mov_b32_e32 v1, 0x7f800001
	s_and_saveexec_b64 s[36:37], s[8:9]
	s_cbranch_execz .LBB356_330
; %bb.329:                              ;   in Loop: Header=BB356_13 Depth=1
	v_and_b32_e32 v1, 7, v60
	v_ffbh_u32_e32 v10, v1
	v_min_u32_e32 v10, 32, v10
	v_subrev_u32_e32 v13, 28, v10
	v_lshlrev_b64 v[24:25], v13, v[60:61]
	v_lshrrev_b32_e32 v5, 3, v2
	v_sub_u32_e32 v10, 29, v10
	v_and_b32_e32 v13, 7, v24
	v_cmp_gt_u32_e64 s[8:9], 8, v2
	v_cndmask_b32_e64 v2, v5, v10, s[8:9]
	v_cndmask_b32_e64 v1, v1, v13, s[8:9]
	v_lshlrev_b32_e32 v5, 16, v58
	v_bfrev_b32_e32 v3, 60
	v_lshlrev_b32_e32 v1, 20, v1
	v_and_b32_e32 v5, 0x80000000, v5
	v_lshl_add_u32 v2, v2, 23, v3
	v_or3_b32 v1, v5, v2, v1
.LBB356_330:                            ;   in Loop: Header=BB356_13 Depth=1
	s_or_b64 exec, exec, s[36:37]
.LBB356_331:                            ;   in Loop: Header=BB356_13 Depth=1
	s_or_b64 exec, exec, s[34:35]
.LBB356_332:                            ;   in Loop: Header=BB356_13 Depth=1
	s_or_b64 exec, exec, s[30:31]
	v_mul_f32_e32 v1, v12, v1
	v_and_b32_e32 v2, 0x7f800000, v1
	v_cmp_ne_u32_e64 s[8:9], s41, v2
                                        ; implicit-def: $agpr21
	s_and_saveexec_b64 s[30:31], s[8:9]
	s_xor_b64 s[8:9], exec, s[30:31]
; %bb.333:                              ;   in Loop: Header=BB356_13 Depth=1
	v_bfe_u32 v2, v1, 16, 1
	v_add3_u32 v1, v1, v2, s42
	v_accvgpr_write_b32 a21, v1
                                        ; implicit-def: $vgpr1
; %bb.334:                              ;   in Loop: Header=BB356_13 Depth=1
	s_andn2_saveexec_b64 s[30:31], s[8:9]
; %bb.335:                              ;   in Loop: Header=BB356_13 Depth=1
	v_or_b32_e32 v2, 0x10000, v1
	v_cmp_eq_u32_sdwa s[8:9], v1, v4 src0_sel:WORD_0 src1_sel:DWORD
	v_cndmask_b32_e64 v1, v2, v1, s[8:9]
	v_accvgpr_write_b32 a21, v1
; %bb.336:                              ;   in Loop: Header=BB356_13 Depth=1
	s_or_b64 exec, exec, s[30:31]
	flat_load_ushort v1, v[56:57] offset:2048
	s_waitcnt vmcnt(0) lgkmcnt(0)
	v_and_b32_e32 v58, 0xffff, v1
	v_cmp_ne_u16_sdwa s[8:9], v1, v4 src0_sel:BYTE_0 src1_sel:DWORD
	v_mov_b32_e32 v1, 0
	s_and_saveexec_b64 s[30:31], s[8:9]
	s_cbranch_execz .LBB356_342
; %bb.337:                              ;   in Loop: Header=BB356_13 Depth=1
	v_cmp_ne_u16_sdwa s[8:9], v58, s39 src0_sel:BYTE_0 src1_sel:DWORD
	v_bfrev_b32_e32 v1, 1
	s_and_saveexec_b64 s[34:35], s[8:9]
	s_cbranch_execz .LBB356_341
; %bb.338:                              ;   in Loop: Header=BB356_13 Depth=1
	v_and_b32_e32 v2, 0x7f, v58
	v_cmp_ne_u32_e64 s[8:9], s40, v2
	v_mov_b32_e32 v1, 0x7f800001
	s_and_saveexec_b64 s[36:37], s[8:9]
	s_cbranch_execz .LBB356_340
; %bb.339:                              ;   in Loop: Header=BB356_13 Depth=1
	v_and_b32_e32 v1, 7, v58
	v_ffbh_u32_e32 v10, v1
	v_min_u32_e32 v10, 32, v10
	v_subrev_u32_e32 v13, 28, v10
	v_lshlrev_b64 v[24:25], v13, v[58:59]
	v_lshrrev_b32_e32 v5, 3, v2
	v_sub_u32_e32 v10, 29, v10
	v_and_b32_e32 v13, 7, v24
	v_cmp_gt_u32_e64 s[8:9], 8, v2
	v_cndmask_b32_e64 v2, v5, v10, s[8:9]
	v_cndmask_b32_e64 v1, v1, v13, s[8:9]
	v_lshlrev_b32_e32 v5, 24, v58
	v_bfrev_b32_e32 v3, 60
	v_lshlrev_b32_e32 v1, 20, v1
	v_and_b32_e32 v5, 0x80000000, v5
	v_lshl_add_u32 v2, v2, 23, v3
	v_or3_b32 v1, v5, v2, v1
.LBB356_340:                            ;   in Loop: Header=BB356_13 Depth=1
	s_or_b64 exec, exec, s[36:37]
.LBB356_341:                            ;   in Loop: Header=BB356_13 Depth=1
	s_or_b64 exec, exec, s[34:35]
.LBB356_342:                            ;   in Loop: Header=BB356_13 Depth=1
	s_or_b64 exec, exec, s[30:31]
	v_mul_f32_e32 v1, v12, v1
	v_and_b32_e32 v2, 0x7f800000, v1
	v_cmp_ne_u32_e64 s[8:9], s41, v2
                                        ; implicit-def: $agpr22
	s_and_saveexec_b64 s[30:31], s[8:9]
	s_xor_b64 s[8:9], exec, s[30:31]
; %bb.343:                              ;   in Loop: Header=BB356_13 Depth=1
	v_bfe_u32 v2, v1, 16, 1
	v_add3_u32 v1, v1, v2, s42
	v_accvgpr_write_b32 a22, v1
                                        ; implicit-def: $vgpr1
; %bb.344:                              ;   in Loop: Header=BB356_13 Depth=1
	s_andn2_saveexec_b64 s[30:31], s[8:9]
; %bb.345:                              ;   in Loop: Header=BB356_13 Depth=1
	v_or_b32_e32 v2, 0x10000, v1
	v_cmp_eq_u32_sdwa s[8:9], v1, v4 src0_sel:WORD_0 src1_sel:DWORD
	v_cndmask_b32_e64 v1, v2, v1, s[8:9]
	v_accvgpr_write_b32 a22, v1
; %bb.346:                              ;   in Loop: Header=BB356_13 Depth=1
	s_or_b64 exec, exec, s[30:31]
	v_lshrrev_b16_e32 v60, 8, v58
	v_cmp_ne_u16_e64 s[8:9], 0, v60
	v_mov_b32_e32 v1, 0
	s_and_saveexec_b64 s[30:31], s[8:9]
	s_cbranch_execz .LBB356_352
; %bb.347:                              ;   in Loop: Header=BB356_13 Depth=1
	v_cmp_ne_u16_e64 s[8:9], s39, v60
	v_bfrev_b32_e32 v1, 1
	s_and_saveexec_b64 s[34:35], s[8:9]
	s_cbranch_execz .LBB356_351
; %bb.348:                              ;   in Loop: Header=BB356_13 Depth=1
	v_and_b32_e32 v2, 0x7f, v60
	v_cmp_ne_u32_e64 s[8:9], s40, v2
	v_mov_b32_e32 v1, 0x7f800001
	s_and_saveexec_b64 s[36:37], s[8:9]
	s_cbranch_execz .LBB356_350
; %bb.349:                              ;   in Loop: Header=BB356_13 Depth=1
	v_and_b32_e32 v1, 7, v60
	v_ffbh_u32_e32 v10, v1
	v_min_u32_e32 v10, 32, v10
	v_subrev_u32_e32 v13, 28, v10
	v_lshlrev_b64 v[24:25], v13, v[60:61]
	v_lshrrev_b32_e32 v5, 3, v2
	v_sub_u32_e32 v10, 29, v10
	v_and_b32_e32 v13, 7, v24
	v_cmp_gt_u32_e64 s[8:9], 8, v2
	v_cndmask_b32_e64 v2, v5, v10, s[8:9]
	v_cndmask_b32_e64 v1, v1, v13, s[8:9]
	v_lshlrev_b32_e32 v5, 16, v58
	v_bfrev_b32_e32 v3, 60
	v_lshlrev_b32_e32 v1, 20, v1
	v_and_b32_e32 v5, 0x80000000, v5
	v_lshl_add_u32 v2, v2, 23, v3
	v_or3_b32 v1, v5, v2, v1
.LBB356_350:                            ;   in Loop: Header=BB356_13 Depth=1
	s_or_b64 exec, exec, s[36:37]
.LBB356_351:                            ;   in Loop: Header=BB356_13 Depth=1
	s_or_b64 exec, exec, s[34:35]
.LBB356_352:                            ;   in Loop: Header=BB356_13 Depth=1
	s_or_b64 exec, exec, s[30:31]
	v_mul_f32_e32 v1, v12, v1
	v_and_b32_e32 v2, 0x7f800000, v1
	v_cmp_ne_u32_e64 s[8:9], s41, v2
                                        ; implicit-def: $agpr19
	s_and_saveexec_b64 s[30:31], s[8:9]
	s_xor_b64 s[8:9], exec, s[30:31]
; %bb.353:                              ;   in Loop: Header=BB356_13 Depth=1
	v_bfe_u32 v2, v1, 16, 1
	v_add3_u32 v1, v1, v2, s42
	v_accvgpr_write_b32 a19, v1
                                        ; implicit-def: $vgpr1
; %bb.354:                              ;   in Loop: Header=BB356_13 Depth=1
	s_andn2_saveexec_b64 s[30:31], s[8:9]
; %bb.355:                              ;   in Loop: Header=BB356_13 Depth=1
	v_or_b32_e32 v2, 0x10000, v1
	v_cmp_eq_u32_sdwa s[8:9], v1, v4 src0_sel:WORD_0 src1_sel:DWORD
	v_cndmask_b32_e64 v1, v2, v1, s[8:9]
	v_accvgpr_write_b32 a19, v1
; %bb.356:                              ;   in Loop: Header=BB356_13 Depth=1
	s_or_b64 exec, exec, s[30:31]
	flat_load_ushort v1, v[56:57] offset:2056
	s_waitcnt vmcnt(0) lgkmcnt(0)
	v_and_b32_e32 v58, 0xffff, v1
	v_cmp_ne_u16_sdwa s[8:9], v1, v4 src0_sel:BYTE_0 src1_sel:DWORD
	v_mov_b32_e32 v1, 0
	s_and_saveexec_b64 s[30:31], s[8:9]
	s_cbranch_execz .LBB356_362
; %bb.357:                              ;   in Loop: Header=BB356_13 Depth=1
	v_cmp_ne_u16_sdwa s[8:9], v58, s39 src0_sel:BYTE_0 src1_sel:DWORD
	v_bfrev_b32_e32 v1, 1
	s_and_saveexec_b64 s[34:35], s[8:9]
	s_cbranch_execz .LBB356_361
; %bb.358:                              ;   in Loop: Header=BB356_13 Depth=1
	v_and_b32_e32 v2, 0x7f, v58
	v_cmp_ne_u32_e64 s[8:9], s40, v2
	v_mov_b32_e32 v1, 0x7f800001
	s_and_saveexec_b64 s[36:37], s[8:9]
	s_cbranch_execz .LBB356_360
; %bb.359:                              ;   in Loop: Header=BB356_13 Depth=1
	v_and_b32_e32 v1, 7, v58
	v_ffbh_u32_e32 v10, v1
	v_min_u32_e32 v10, 32, v10
	v_subrev_u32_e32 v13, 28, v10
	v_lshlrev_b64 v[24:25], v13, v[58:59]
	v_lshrrev_b32_e32 v5, 3, v2
	v_sub_u32_e32 v10, 29, v10
	v_and_b32_e32 v13, 7, v24
	v_cmp_gt_u32_e64 s[8:9], 8, v2
	v_cndmask_b32_e64 v2, v5, v10, s[8:9]
	v_cndmask_b32_e64 v1, v1, v13, s[8:9]
	v_lshlrev_b32_e32 v5, 24, v58
	v_bfrev_b32_e32 v3, 60
	v_lshlrev_b32_e32 v1, 20, v1
	v_and_b32_e32 v5, 0x80000000, v5
	v_lshl_add_u32 v2, v2, 23, v3
	v_or3_b32 v1, v5, v2, v1
.LBB356_360:                            ;   in Loop: Header=BB356_13 Depth=1
	s_or_b64 exec, exec, s[36:37]
.LBB356_361:                            ;   in Loop: Header=BB356_13 Depth=1
	s_or_b64 exec, exec, s[34:35]
.LBB356_362:                            ;   in Loop: Header=BB356_13 Depth=1
	s_or_b64 exec, exec, s[30:31]
	v_mul_f32_e32 v1, v12, v1
	v_and_b32_e32 v2, 0x7f800000, v1
	v_cmp_ne_u32_e64 s[8:9], s41, v2
                                        ; implicit-def: $agpr20
	s_and_saveexec_b64 s[30:31], s[8:9]
	s_xor_b64 s[8:9], exec, s[30:31]
; %bb.363:                              ;   in Loop: Header=BB356_13 Depth=1
	v_bfe_u32 v2, v1, 16, 1
	v_add3_u32 v1, v1, v2, s42
	v_accvgpr_write_b32 a20, v1
                                        ; implicit-def: $vgpr1
; %bb.364:                              ;   in Loop: Header=BB356_13 Depth=1
	s_andn2_saveexec_b64 s[30:31], s[8:9]
; %bb.365:                              ;   in Loop: Header=BB356_13 Depth=1
	v_or_b32_e32 v2, 0x10000, v1
	v_cmp_eq_u32_sdwa s[8:9], v1, v4 src0_sel:WORD_0 src1_sel:DWORD
	v_cndmask_b32_e64 v1, v2, v1, s[8:9]
	v_accvgpr_write_b32 a20, v1
; %bb.366:                              ;   in Loop: Header=BB356_13 Depth=1
	s_or_b64 exec, exec, s[30:31]
	v_lshrrev_b16_e32 v60, 8, v58
	v_cmp_ne_u16_e64 s[8:9], 0, v60
	v_mov_b32_e32 v1, 0
	s_and_saveexec_b64 s[30:31], s[8:9]
	s_cbranch_execz .LBB356_372
; %bb.367:                              ;   in Loop: Header=BB356_13 Depth=1
	v_cmp_ne_u16_e64 s[8:9], s39, v60
	v_bfrev_b32_e32 v1, 1
	s_and_saveexec_b64 s[34:35], s[8:9]
	s_cbranch_execz .LBB356_371
; %bb.368:                              ;   in Loop: Header=BB356_13 Depth=1
	v_and_b32_e32 v2, 0x7f, v60
	v_cmp_ne_u32_e64 s[8:9], s40, v2
	v_mov_b32_e32 v1, 0x7f800001
	s_and_saveexec_b64 s[36:37], s[8:9]
	s_cbranch_execz .LBB356_370
; %bb.369:                              ;   in Loop: Header=BB356_13 Depth=1
	v_and_b32_e32 v1, 7, v60
	v_ffbh_u32_e32 v13, v1
	v_min_u32_e32 v13, 32, v13
	v_subrev_u32_e32 v14, 28, v13
	v_lshlrev_b64 v[24:25], v14, v[60:61]
	v_lshrrev_b32_e32 v5, 3, v2
	v_sub_u32_e32 v13, 29, v13
	v_and_b32_e32 v14, 7, v24
	v_cmp_gt_u32_e64 s[8:9], 8, v2
	v_cndmask_b32_e64 v2, v5, v13, s[8:9]
	v_cndmask_b32_e64 v1, v1, v14, s[8:9]
	v_lshlrev_b32_e32 v5, 16, v58
	v_bfrev_b32_e32 v3, 60
	v_lshlrev_b32_e32 v1, 20, v1
	v_and_b32_e32 v5, 0x80000000, v5
	v_lshl_add_u32 v2, v2, 23, v3
	v_or3_b32 v1, v5, v2, v1
.LBB356_370:                            ;   in Loop: Header=BB356_13 Depth=1
	s_or_b64 exec, exec, s[36:37]
.LBB356_371:                            ;   in Loop: Header=BB356_13 Depth=1
	s_or_b64 exec, exec, s[34:35]
.LBB356_372:                            ;   in Loop: Header=BB356_13 Depth=1
	s_or_b64 exec, exec, s[30:31]
	v_mul_f32_e32 v1, v12, v1
	v_and_b32_e32 v2, 0x7f800000, v1
	v_cmp_ne_u32_e64 s[8:9], s41, v2
                                        ; implicit-def: $agpr18
	s_and_saveexec_b64 s[30:31], s[8:9]
	s_xor_b64 s[8:9], exec, s[30:31]
; %bb.373:                              ;   in Loop: Header=BB356_13 Depth=1
	v_bfe_u32 v2, v1, 16, 1
	v_add3_u32 v1, v1, v2, s42
	v_accvgpr_write_b32 a18, v1
                                        ; implicit-def: $vgpr1
; %bb.374:                              ;   in Loop: Header=BB356_13 Depth=1
	s_andn2_saveexec_b64 s[30:31], s[8:9]
; %bb.375:                              ;   in Loop: Header=BB356_13 Depth=1
	v_or_b32_e32 v2, 0x10000, v1
	v_cmp_eq_u32_sdwa s[8:9], v1, v4 src0_sel:WORD_0 src1_sel:DWORD
	v_cndmask_b32_e64 v1, v2, v1, s[8:9]
	v_accvgpr_write_b32 a18, v1
; %bb.376:                              ;   in Loop: Header=BB356_13 Depth=1
	s_or_b64 exec, exec, s[30:31]
	flat_load_ushort v1, v[56:57] offset:2304
	s_waitcnt vmcnt(0) lgkmcnt(0)
	v_and_b32_e32 v58, 0xffff, v1
	v_cmp_ne_u16_sdwa s[8:9], v1, v4 src0_sel:BYTE_0 src1_sel:DWORD
	v_mov_b32_e32 v1, 0
	s_and_saveexec_b64 s[30:31], s[8:9]
	s_cbranch_execz .LBB356_382
; %bb.377:                              ;   in Loop: Header=BB356_13 Depth=1
	v_cmp_ne_u16_sdwa s[8:9], v58, s39 src0_sel:BYTE_0 src1_sel:DWORD
	v_bfrev_b32_e32 v1, 1
	s_and_saveexec_b64 s[34:35], s[8:9]
	s_cbranch_execz .LBB356_381
; %bb.378:                              ;   in Loop: Header=BB356_13 Depth=1
	v_and_b32_e32 v2, 0x7f, v58
	v_cmp_ne_u32_e64 s[8:9], s40, v2
	v_mov_b32_e32 v1, 0x7f800001
	s_and_saveexec_b64 s[36:37], s[8:9]
	s_cbranch_execz .LBB356_380
; %bb.379:                              ;   in Loop: Header=BB356_13 Depth=1
	v_and_b32_e32 v1, 7, v58
	v_ffbh_u32_e32 v13, v1
	v_min_u32_e32 v13, 32, v13
	v_subrev_u32_e32 v14, 28, v13
	v_lshlrev_b64 v[24:25], v14, v[58:59]
	v_lshrrev_b32_e32 v5, 3, v2
	v_sub_u32_e32 v13, 29, v13
	v_and_b32_e32 v14, 7, v24
	v_cmp_gt_u32_e64 s[8:9], 8, v2
	v_cndmask_b32_e64 v2, v5, v13, s[8:9]
	v_cndmask_b32_e64 v1, v1, v14, s[8:9]
	v_lshlrev_b32_e32 v5, 24, v58
	v_bfrev_b32_e32 v3, 60
	v_lshlrev_b32_e32 v1, 20, v1
	v_and_b32_e32 v5, 0x80000000, v5
	v_lshl_add_u32 v2, v2, 23, v3
	v_or3_b32 v1, v5, v2, v1
.LBB356_380:                            ;   in Loop: Header=BB356_13 Depth=1
	s_or_b64 exec, exec, s[36:37]
.LBB356_381:                            ;   in Loop: Header=BB356_13 Depth=1
	s_or_b64 exec, exec, s[34:35]
.LBB356_382:                            ;   in Loop: Header=BB356_13 Depth=1
	s_or_b64 exec, exec, s[30:31]
	v_mul_f32_e32 v1, v12, v1
	v_and_b32_e32 v2, 0x7f800000, v1
	v_cmp_ne_u32_e64 s[8:9], s41, v2
                                        ; implicit-def: $agpr17
	s_and_saveexec_b64 s[30:31], s[8:9]
	s_xor_b64 s[8:9], exec, s[30:31]
; %bb.383:                              ;   in Loop: Header=BB356_13 Depth=1
	v_bfe_u32 v2, v1, 16, 1
	v_add3_u32 v1, v1, v2, s42
	v_accvgpr_write_b32 a17, v1
                                        ; implicit-def: $vgpr1
; %bb.384:                              ;   in Loop: Header=BB356_13 Depth=1
	s_andn2_saveexec_b64 s[30:31], s[8:9]
; %bb.385:                              ;   in Loop: Header=BB356_13 Depth=1
	v_or_b32_e32 v2, 0x10000, v1
	v_cmp_eq_u32_sdwa s[8:9], v1, v4 src0_sel:WORD_0 src1_sel:DWORD
	v_cndmask_b32_e64 v1, v2, v1, s[8:9]
	v_accvgpr_write_b32 a17, v1
; %bb.386:                              ;   in Loop: Header=BB356_13 Depth=1
	s_or_b64 exec, exec, s[30:31]
	v_lshrrev_b16_e32 v60, 8, v58
	v_cmp_ne_u16_e64 s[8:9], 0, v60
	v_mov_b32_e32 v1, 0
	s_and_saveexec_b64 s[30:31], s[8:9]
	s_cbranch_execz .LBB356_392
; %bb.387:                              ;   in Loop: Header=BB356_13 Depth=1
	v_cmp_ne_u16_e64 s[8:9], s39, v60
	v_bfrev_b32_e32 v1, 1
	s_and_saveexec_b64 s[34:35], s[8:9]
	s_cbranch_execz .LBB356_391
; %bb.388:                              ;   in Loop: Header=BB356_13 Depth=1
	v_and_b32_e32 v2, 0x7f, v60
	v_cmp_ne_u32_e64 s[8:9], s40, v2
	v_mov_b32_e32 v1, 0x7f800001
	s_and_saveexec_b64 s[36:37], s[8:9]
	s_cbranch_execz .LBB356_390
; %bb.389:                              ;   in Loop: Header=BB356_13 Depth=1
	v_and_b32_e32 v1, 7, v60
	v_ffbh_u32_e32 v13, v1
	v_min_u32_e32 v13, 32, v13
	v_subrev_u32_e32 v14, 28, v13
	v_lshlrev_b64 v[24:25], v14, v[60:61]
	v_lshrrev_b32_e32 v5, 3, v2
	v_sub_u32_e32 v13, 29, v13
	v_and_b32_e32 v14, 7, v24
	v_cmp_gt_u32_e64 s[8:9], 8, v2
	v_cndmask_b32_e64 v2, v5, v13, s[8:9]
	v_cndmask_b32_e64 v1, v1, v14, s[8:9]
	v_lshlrev_b32_e32 v5, 16, v58
	v_bfrev_b32_e32 v3, 60
	v_lshlrev_b32_e32 v1, 20, v1
	v_and_b32_e32 v5, 0x80000000, v5
	v_lshl_add_u32 v2, v2, 23, v3
	v_or3_b32 v1, v5, v2, v1
.LBB356_390:                            ;   in Loop: Header=BB356_13 Depth=1
	s_or_b64 exec, exec, s[36:37]
.LBB356_391:                            ;   in Loop: Header=BB356_13 Depth=1
	s_or_b64 exec, exec, s[34:35]
.LBB356_392:                            ;   in Loop: Header=BB356_13 Depth=1
	s_or_b64 exec, exec, s[30:31]
	v_mul_f32_e32 v1, v12, v1
	v_and_b32_e32 v2, 0x7f800000, v1
	v_cmp_ne_u32_e64 s[8:9], s41, v2
                                        ; implicit-def: $agpr16
	s_and_saveexec_b64 s[30:31], s[8:9]
	s_xor_b64 s[8:9], exec, s[30:31]
; %bb.393:                              ;   in Loop: Header=BB356_13 Depth=1
	v_bfe_u32 v2, v1, 16, 1
	v_add3_u32 v1, v1, v2, s42
	v_accvgpr_write_b32 a16, v1
                                        ; implicit-def: $vgpr1
; %bb.394:                              ;   in Loop: Header=BB356_13 Depth=1
	s_andn2_saveexec_b64 s[30:31], s[8:9]
; %bb.395:                              ;   in Loop: Header=BB356_13 Depth=1
	v_or_b32_e32 v2, 0x10000, v1
	v_cmp_eq_u32_sdwa s[8:9], v1, v4 src0_sel:WORD_0 src1_sel:DWORD
	v_cndmask_b32_e64 v1, v2, v1, s[8:9]
	v_accvgpr_write_b32 a16, v1
; %bb.396:                              ;   in Loop: Header=BB356_13 Depth=1
	s_or_b64 exec, exec, s[30:31]
	flat_load_ushort v1, v[56:57] offset:2312
	s_waitcnt vmcnt(0) lgkmcnt(0)
	v_and_b32_e32 v58, 0xffff, v1
	v_cmp_ne_u16_sdwa s[8:9], v1, v4 src0_sel:BYTE_0 src1_sel:DWORD
	v_mov_b32_e32 v1, 0
	s_and_saveexec_b64 s[30:31], s[8:9]
	s_cbranch_execz .LBB356_402
; %bb.397:                              ;   in Loop: Header=BB356_13 Depth=1
	v_cmp_ne_u16_sdwa s[8:9], v58, s39 src0_sel:BYTE_0 src1_sel:DWORD
	v_bfrev_b32_e32 v1, 1
	s_and_saveexec_b64 s[34:35], s[8:9]
	s_cbranch_execz .LBB356_401
; %bb.398:                              ;   in Loop: Header=BB356_13 Depth=1
	v_and_b32_e32 v2, 0x7f, v58
	v_cmp_ne_u32_e64 s[8:9], s40, v2
	v_mov_b32_e32 v1, 0x7f800001
	s_and_saveexec_b64 s[36:37], s[8:9]
	s_cbranch_execz .LBB356_400
; %bb.399:                              ;   in Loop: Header=BB356_13 Depth=1
	v_and_b32_e32 v1, 7, v58
	v_ffbh_u32_e32 v13, v1
	v_min_u32_e32 v13, 32, v13
	v_subrev_u32_e32 v14, 28, v13
	v_lshlrev_b64 v[24:25], v14, v[58:59]
	v_lshrrev_b32_e32 v5, 3, v2
	v_sub_u32_e32 v13, 29, v13
	v_and_b32_e32 v14, 7, v24
	v_cmp_gt_u32_e64 s[8:9], 8, v2
	v_cndmask_b32_e64 v2, v5, v13, s[8:9]
	v_cndmask_b32_e64 v1, v1, v14, s[8:9]
	v_lshlrev_b32_e32 v5, 24, v58
	v_bfrev_b32_e32 v3, 60
	v_lshlrev_b32_e32 v1, 20, v1
	v_and_b32_e32 v5, 0x80000000, v5
	v_lshl_add_u32 v2, v2, 23, v3
	v_or3_b32 v1, v5, v2, v1
.LBB356_400:                            ;   in Loop: Header=BB356_13 Depth=1
	s_or_b64 exec, exec, s[36:37]
.LBB356_401:                            ;   in Loop: Header=BB356_13 Depth=1
	s_or_b64 exec, exec, s[34:35]
.LBB356_402:                            ;   in Loop: Header=BB356_13 Depth=1
	s_or_b64 exec, exec, s[30:31]
	v_mul_f32_e32 v2, v12, v1
	v_and_b32_e32 v1, 0x7f800000, v2
	v_cmp_ne_u32_e64 s[8:9], s41, v1
                                        ; implicit-def: $agpr36
	s_and_saveexec_b64 s[30:31], s[8:9]
	s_xor_b64 s[8:9], exec, s[30:31]
; %bb.403:                              ;   in Loop: Header=BB356_13 Depth=1
	v_bfe_u32 v1, v2, 16, 1
	v_add3_u32 v1, v2, v1, s42
	v_accvgpr_write_b32 a36, v1
                                        ; implicit-def: $vgpr2
; %bb.404:                              ;   in Loop: Header=BB356_13 Depth=1
	s_andn2_saveexec_b64 s[30:31], s[8:9]
; %bb.405:                              ;   in Loop: Header=BB356_13 Depth=1
	v_or_b32_e32 v1, 0x10000, v2
	v_cmp_eq_u32_sdwa s[8:9], v2, v4 src0_sel:WORD_0 src1_sel:DWORD
	v_cndmask_b32_e64 v1, v1, v2, s[8:9]
	v_accvgpr_write_b32 a36, v1
; %bb.406:                              ;   in Loop: Header=BB356_13 Depth=1
	s_or_b64 exec, exec, s[30:31]
	v_lshrrev_b16_e32 v60, 8, v58
	v_cmp_ne_u16_e64 s[8:9], 0, v60
	v_mov_b32_e32 v2, 0
	s_and_saveexec_b64 s[30:31], s[8:9]
	s_cbranch_execz .LBB356_412
; %bb.407:                              ;   in Loop: Header=BB356_13 Depth=1
	v_cmp_ne_u16_e64 s[8:9], s39, v60
	v_bfrev_b32_e32 v2, 1
	s_and_saveexec_b64 s[34:35], s[8:9]
	s_cbranch_execz .LBB356_411
; %bb.408:                              ;   in Loop: Header=BB356_13 Depth=1
	v_and_b32_e32 v5, 0x7f, v60
	v_cmp_ne_u32_e64 s[8:9], s40, v5
	v_mov_b32_e32 v2, 0x7f800001
	s_and_saveexec_b64 s[36:37], s[8:9]
	s_cbranch_execz .LBB356_410
; %bb.409:                              ;   in Loop: Header=BB356_13 Depth=1
	v_and_b32_e32 v2, 7, v60
	v_lshrrev_b32_e32 v13, 3, v5
	v_cmp_gt_u32_e64 s[8:9], 8, v5
	v_ffbh_u32_e32 v5, v2
	v_min_u32_e32 v5, 32, v5
	v_subrev_u32_e32 v14, 28, v5
	v_lshlrev_b64 v[24:25], v14, v[60:61]
	v_sub_u32_e32 v5, 29, v5
	v_and_b32_e32 v14, 7, v24
	v_cndmask_b32_e64 v5, v13, v5, s[8:9]
	v_cndmask_b32_e64 v2, v2, v14, s[8:9]
	v_lshlrev_b32_e32 v13, 16, v58
	v_bfrev_b32_e32 v1, 60
	v_lshlrev_b32_e32 v2, 20, v2
	v_and_b32_e32 v13, 0x80000000, v13
	v_lshl_add_u32 v5, v5, 23, v1
	v_or3_b32 v2, v13, v5, v2
.LBB356_410:                            ;   in Loop: Header=BB356_13 Depth=1
	s_or_b64 exec, exec, s[36:37]
.LBB356_411:                            ;   in Loop: Header=BB356_13 Depth=1
	s_or_b64 exec, exec, s[34:35]
.LBB356_412:                            ;   in Loop: Header=BB356_13 Depth=1
	s_or_b64 exec, exec, s[30:31]
	v_mul_f32_e32 v2, v12, v2
	v_and_b32_e32 v5, 0x7f800000, v2
	v_cmp_ne_u32_e64 s[8:9], s41, v5
                                        ; implicit-def: $agpr44
	s_and_saveexec_b64 s[30:31], s[8:9]
	s_xor_b64 s[8:9], exec, s[30:31]
; %bb.413:                              ;   in Loop: Header=BB356_13 Depth=1
	v_bfe_u32 v5, v2, 16, 1
	v_add3_u32 v1, v2, v5, s42
	v_accvgpr_write_b32 a44, v1
                                        ; implicit-def: $vgpr2
; %bb.414:                              ;   in Loop: Header=BB356_13 Depth=1
	s_andn2_saveexec_b64 s[30:31], s[8:9]
; %bb.415:                              ;   in Loop: Header=BB356_13 Depth=1
	v_or_b32_e32 v5, 0x10000, v2
	v_cmp_eq_u32_sdwa s[8:9], v2, v4 src0_sel:WORD_0 src1_sel:DWORD
	v_cndmask_b32_e64 v1, v5, v2, s[8:9]
	v_accvgpr_write_b32 a44, v1
; %bb.416:                              ;   in Loop: Header=BB356_13 Depth=1
	s_or_b64 exec, exec, s[30:31]
	flat_load_ushort v2, v[56:57] offset:2560
	s_waitcnt vmcnt(0) lgkmcnt(0)
	v_and_b32_e32 v58, 0xffff, v2
	v_cmp_ne_u16_sdwa s[8:9], v2, v4 src0_sel:BYTE_0 src1_sel:DWORD
	v_mov_b32_e32 v2, 0
	s_and_saveexec_b64 s[30:31], s[8:9]
	s_cbranch_execz .LBB356_422
; %bb.417:                              ;   in Loop: Header=BB356_13 Depth=1
	v_cmp_ne_u16_sdwa s[8:9], v58, s39 src0_sel:BYTE_0 src1_sel:DWORD
	v_bfrev_b32_e32 v2, 1
	s_and_saveexec_b64 s[34:35], s[8:9]
	s_cbranch_execz .LBB356_421
; %bb.418:                              ;   in Loop: Header=BB356_13 Depth=1
	v_and_b32_e32 v5, 0x7f, v58
	v_cmp_ne_u32_e64 s[8:9], s40, v5
	v_mov_b32_e32 v2, 0x7f800001
	s_and_saveexec_b64 s[36:37], s[8:9]
	s_cbranch_execz .LBB356_420
; %bb.419:                              ;   in Loop: Header=BB356_13 Depth=1
	v_and_b32_e32 v2, 7, v58
	v_lshrrev_b32_e32 v13, 3, v5
	v_cmp_gt_u32_e64 s[8:9], 8, v5
	v_ffbh_u32_e32 v5, v2
	v_min_u32_e32 v5, 32, v5
	v_subrev_u32_e32 v14, 28, v5
	v_lshlrev_b64 v[26:27], v14, v[58:59]
	v_sub_u32_e32 v5, 29, v5
	v_and_b32_e32 v14, 7, v26
	v_cndmask_b32_e64 v5, v13, v5, s[8:9]
	v_cndmask_b32_e64 v2, v2, v14, s[8:9]
	v_lshlrev_b32_e32 v13, 24, v58
	v_bfrev_b32_e32 v1, 60
	v_lshlrev_b32_e32 v2, 20, v2
	v_and_b32_e32 v13, 0x80000000, v13
	v_lshl_add_u32 v5, v5, 23, v1
	v_or3_b32 v2, v13, v5, v2
.LBB356_420:                            ;   in Loop: Header=BB356_13 Depth=1
	s_or_b64 exec, exec, s[36:37]
.LBB356_421:                            ;   in Loop: Header=BB356_13 Depth=1
	s_or_b64 exec, exec, s[34:35]
.LBB356_422:                            ;   in Loop: Header=BB356_13 Depth=1
	s_or_b64 exec, exec, s[30:31]
	v_mul_f32_e32 v2, v12, v2
	v_and_b32_e32 v5, 0x7f800000, v2
	v_cmp_ne_u32_e64 s[8:9], s41, v5
                                        ; implicit-def: $agpr2
	s_and_saveexec_b64 s[30:31], s[8:9]
	s_xor_b64 s[8:9], exec, s[30:31]
; %bb.423:                              ;   in Loop: Header=BB356_13 Depth=1
	v_bfe_u32 v5, v2, 16, 1
	v_add3_u32 v1, v2, v5, s42
	v_accvgpr_write_b32 a2, v1
                                        ; implicit-def: $vgpr2
; %bb.424:                              ;   in Loop: Header=BB356_13 Depth=1
	s_andn2_saveexec_b64 s[30:31], s[8:9]
; %bb.425:                              ;   in Loop: Header=BB356_13 Depth=1
	v_or_b32_e32 v5, 0x10000, v2
	v_cmp_eq_u32_sdwa s[8:9], v2, v4 src0_sel:WORD_0 src1_sel:DWORD
	v_cndmask_b32_e64 v1, v5, v2, s[8:9]
	v_accvgpr_write_b32 a2, v1
; %bb.426:                              ;   in Loop: Header=BB356_13 Depth=1
	s_or_b64 exec, exec, s[30:31]
	v_lshrrev_b16_e32 v60, 8, v58
	v_cmp_ne_u16_e64 s[8:9], 0, v60
	v_mov_b32_e32 v2, 0
	s_and_saveexec_b64 s[30:31], s[8:9]
	s_cbranch_execz .LBB356_432
; %bb.427:                              ;   in Loop: Header=BB356_13 Depth=1
	v_cmp_ne_u16_e64 s[8:9], s39, v60
	v_bfrev_b32_e32 v2, 1
	s_and_saveexec_b64 s[34:35], s[8:9]
	s_cbranch_execz .LBB356_431
; %bb.428:                              ;   in Loop: Header=BB356_13 Depth=1
	v_and_b32_e32 v5, 0x7f, v60
	v_cmp_ne_u32_e64 s[8:9], s40, v5
	v_mov_b32_e32 v2, 0x7f800001
	s_and_saveexec_b64 s[36:37], s[8:9]
	s_cbranch_execz .LBB356_430
; %bb.429:                              ;   in Loop: Header=BB356_13 Depth=1
	v_and_b32_e32 v2, 7, v60
	v_lshrrev_b32_e32 v13, 3, v5
	v_cmp_gt_u32_e64 s[8:9], 8, v5
	v_ffbh_u32_e32 v5, v2
	v_min_u32_e32 v5, 32, v5
	v_subrev_u32_e32 v14, 28, v5
	v_lshlrev_b64 v[26:27], v14, v[60:61]
	v_sub_u32_e32 v5, 29, v5
	v_and_b32_e32 v14, 7, v26
	v_cndmask_b32_e64 v5, v13, v5, s[8:9]
	v_cndmask_b32_e64 v2, v2, v14, s[8:9]
	v_lshlrev_b32_e32 v13, 16, v58
	v_bfrev_b32_e32 v1, 60
	v_lshlrev_b32_e32 v2, 20, v2
	v_and_b32_e32 v13, 0x80000000, v13
	v_lshl_add_u32 v5, v5, 23, v1
	v_or3_b32 v2, v13, v5, v2
.LBB356_430:                            ;   in Loop: Header=BB356_13 Depth=1
	s_or_b64 exec, exec, s[36:37]
.LBB356_431:                            ;   in Loop: Header=BB356_13 Depth=1
	s_or_b64 exec, exec, s[34:35]
.LBB356_432:                            ;   in Loop: Header=BB356_13 Depth=1
	s_or_b64 exec, exec, s[30:31]
	v_mul_f32_e32 v2, v12, v2
	v_and_b32_e32 v5, 0x7f800000, v2
	v_cmp_ne_u32_e64 s[8:9], s41, v5
                                        ; implicit-def: $vgpr24
	s_and_saveexec_b64 s[30:31], s[8:9]
	s_xor_b64 s[8:9], exec, s[30:31]
; %bb.433:                              ;   in Loop: Header=BB356_13 Depth=1
	v_bfe_u32 v5, v2, 16, 1
	v_add3_u32 v24, v2, v5, s42
                                        ; implicit-def: $vgpr2
; %bb.434:                              ;   in Loop: Header=BB356_13 Depth=1
	s_andn2_saveexec_b64 s[30:31], s[8:9]
; %bb.435:                              ;   in Loop: Header=BB356_13 Depth=1
	v_or_b32_e32 v5, 0x10000, v2
	v_cmp_eq_u32_sdwa s[8:9], v2, v4 src0_sel:WORD_0 src1_sel:DWORD
	v_cndmask_b32_e64 v24, v5, v2, s[8:9]
; %bb.436:                              ;   in Loop: Header=BB356_13 Depth=1
	s_or_b64 exec, exec, s[30:31]
	flat_load_ushort v2, v[56:57] offset:2568
	s_waitcnt vmcnt(0) lgkmcnt(0)
	v_and_b32_e32 v58, 0xffff, v2
	v_cmp_ne_u16_sdwa s[8:9], v2, v4 src0_sel:BYTE_0 src1_sel:DWORD
	v_mov_b32_e32 v2, 0
	s_and_saveexec_b64 s[30:31], s[8:9]
	s_cbranch_execz .LBB356_442
; %bb.437:                              ;   in Loop: Header=BB356_13 Depth=1
	v_cmp_ne_u16_sdwa s[8:9], v58, s39 src0_sel:BYTE_0 src1_sel:DWORD
	v_bfrev_b32_e32 v2, 1
	s_and_saveexec_b64 s[34:35], s[8:9]
	s_cbranch_execz .LBB356_441
; %bb.438:                              ;   in Loop: Header=BB356_13 Depth=1
	v_and_b32_e32 v5, 0x7f, v58
	v_cmp_ne_u32_e64 s[8:9], s40, v5
	v_mov_b32_e32 v2, 0x7f800001
	s_and_saveexec_b64 s[36:37], s[8:9]
	s_cbranch_execz .LBB356_440
; %bb.439:                              ;   in Loop: Header=BB356_13 Depth=1
	v_and_b32_e32 v2, 7, v58
	v_lshrrev_b32_e32 v13, 3, v5
	v_cmp_gt_u32_e64 s[8:9], 8, v5
	v_ffbh_u32_e32 v5, v2
	v_min_u32_e32 v5, 32, v5
	v_subrev_u32_e32 v14, 28, v5
	v_lshlrev_b64 v[26:27], v14, v[58:59]
	v_sub_u32_e32 v5, 29, v5
	v_and_b32_e32 v14, 7, v26
	v_cndmask_b32_e64 v5, v13, v5, s[8:9]
	v_cndmask_b32_e64 v2, v2, v14, s[8:9]
	v_lshlrev_b32_e32 v13, 24, v58
	v_bfrev_b32_e32 v1, 60
	v_lshlrev_b32_e32 v2, 20, v2
	v_and_b32_e32 v13, 0x80000000, v13
	v_lshl_add_u32 v5, v5, 23, v1
	v_or3_b32 v2, v13, v5, v2
.LBB356_440:                            ;   in Loop: Header=BB356_13 Depth=1
	s_or_b64 exec, exec, s[36:37]
.LBB356_441:                            ;   in Loop: Header=BB356_13 Depth=1
	s_or_b64 exec, exec, s[34:35]
.LBB356_442:                            ;   in Loop: Header=BB356_13 Depth=1
	s_or_b64 exec, exec, s[30:31]
	v_mul_f32_e32 v2, v12, v2
	v_and_b32_e32 v5, 0x7f800000, v2
	v_cmp_ne_u32_e64 s[8:9], s41, v5
                                        ; implicit-def: $vgpr14
	s_and_saveexec_b64 s[30:31], s[8:9]
	s_xor_b64 s[8:9], exec, s[30:31]
; %bb.443:                              ;   in Loop: Header=BB356_13 Depth=1
	v_bfe_u32 v5, v2, 16, 1
	v_add3_u32 v14, v2, v5, s42
                                        ; implicit-def: $vgpr2
; %bb.444:                              ;   in Loop: Header=BB356_13 Depth=1
	s_andn2_saveexec_b64 s[30:31], s[8:9]
; %bb.445:                              ;   in Loop: Header=BB356_13 Depth=1
	v_or_b32_e32 v5, 0x10000, v2
	v_cmp_eq_u32_sdwa s[8:9], v2, v4 src0_sel:WORD_0 src1_sel:DWORD
	v_cndmask_b32_e64 v14, v5, v2, s[8:9]
; %bb.446:                              ;   in Loop: Header=BB356_13 Depth=1
	s_or_b64 exec, exec, s[30:31]
	v_lshrrev_b16_e32 v60, 8, v58
	v_cmp_ne_u16_e64 s[8:9], 0, v60
	v_mov_b32_e32 v2, 0
	s_and_saveexec_b64 s[30:31], s[8:9]
	s_cbranch_execz .LBB356_452
; %bb.447:                              ;   in Loop: Header=BB356_13 Depth=1
	v_cmp_ne_u16_e64 s[8:9], s39, v60
	v_bfrev_b32_e32 v2, 1
	s_and_saveexec_b64 s[34:35], s[8:9]
	s_cbranch_execz .LBB356_451
; %bb.448:                              ;   in Loop: Header=BB356_13 Depth=1
	v_and_b32_e32 v5, 0x7f, v60
	v_cmp_ne_u32_e64 s[8:9], s40, v5
	v_mov_b32_e32 v2, 0x7f800001
	s_and_saveexec_b64 s[36:37], s[8:9]
	s_cbranch_execz .LBB356_450
; %bb.449:                              ;   in Loop: Header=BB356_13 Depth=1
	v_and_b32_e32 v2, 7, v60
	v_lshrrev_b32_e32 v13, 3, v5
	v_cmp_gt_u32_e64 s[8:9], 8, v5
	v_ffbh_u32_e32 v5, v2
	v_min_u32_e32 v5, 32, v5
	v_subrev_u32_e32 v26, 28, v5
	v_lshlrev_b64 v[26:27], v26, v[60:61]
	v_sub_u32_e32 v5, 29, v5
	v_and_b32_e32 v26, 7, v26
	v_cndmask_b32_e64 v5, v13, v5, s[8:9]
	v_cndmask_b32_e64 v2, v2, v26, s[8:9]
	v_lshlrev_b32_e32 v13, 16, v58
	v_bfrev_b32_e32 v1, 60
	v_lshlrev_b32_e32 v2, 20, v2
	v_and_b32_e32 v13, 0x80000000, v13
	v_lshl_add_u32 v5, v5, 23, v1
	v_or3_b32 v2, v13, v5, v2
.LBB356_450:                            ;   in Loop: Header=BB356_13 Depth=1
	s_or_b64 exec, exec, s[36:37]
.LBB356_451:                            ;   in Loop: Header=BB356_13 Depth=1
	s_or_b64 exec, exec, s[34:35]
.LBB356_452:                            ;   in Loop: Header=BB356_13 Depth=1
	s_or_b64 exec, exec, s[30:31]
	v_mul_f32_e32 v5, v12, v2
	v_and_b32_e32 v2, 0x7f800000, v5
	v_cmp_ne_u32_e64 s[8:9], s41, v2
                                        ; implicit-def: $vgpr2
	s_and_saveexec_b64 s[30:31], s[8:9]
	s_xor_b64 s[8:9], exec, s[30:31]
; %bb.453:                              ;   in Loop: Header=BB356_13 Depth=1
	v_bfe_u32 v2, v5, 16, 1
	v_add3_u32 v2, v5, v2, s42
                                        ; implicit-def: $vgpr5
; %bb.454:                              ;   in Loop: Header=BB356_13 Depth=1
	s_andn2_saveexec_b64 s[30:31], s[8:9]
; %bb.455:                              ;   in Loop: Header=BB356_13 Depth=1
	v_or_b32_e32 v2, 0x10000, v5
	v_cmp_eq_u32_sdwa s[8:9], v5, v4 src0_sel:WORD_0 src1_sel:DWORD
	v_cndmask_b32_e64 v2, v2, v5, s[8:9]
; %bb.456:                              ;   in Loop: Header=BB356_13 Depth=1
	s_or_b64 exec, exec, s[30:31]
	flat_load_ushort v5, v[56:57] offset:2816
	s_waitcnt vmcnt(0) lgkmcnt(0)
	v_and_b32_e32 v58, 0xffff, v5
	v_cmp_ne_u16_sdwa s[8:9], v5, v4 src0_sel:BYTE_0 src1_sel:DWORD
	v_mov_b32_e32 v5, 0
	s_and_saveexec_b64 s[30:31], s[8:9]
	s_cbranch_execz .LBB356_462
; %bb.457:                              ;   in Loop: Header=BB356_13 Depth=1
	v_cmp_ne_u16_sdwa s[8:9], v58, s39 src0_sel:BYTE_0 src1_sel:DWORD
	v_bfrev_b32_e32 v5, 1
	s_and_saveexec_b64 s[34:35], s[8:9]
	s_cbranch_execz .LBB356_461
; %bb.458:                              ;   in Loop: Header=BB356_13 Depth=1
	v_and_b32_e32 v13, 0x7f, v58
	v_cmp_ne_u32_e64 s[8:9], s40, v13
	v_mov_b32_e32 v5, 0x7f800001
	s_and_saveexec_b64 s[36:37], s[8:9]
	s_cbranch_execz .LBB356_460
; %bb.459:                              ;   in Loop: Header=BB356_13 Depth=1
	v_and_b32_e32 v5, 7, v58
	v_lshrrev_b32_e32 v30, 3, v13
	v_cmp_gt_u32_e64 s[8:9], 8, v13
	v_ffbh_u32_e32 v13, v5
	v_min_u32_e32 v13, 32, v13
	v_subrev_u32_e32 v26, 28, v13
	v_lshlrev_b64 v[26:27], v26, v[58:59]
	v_sub_u32_e32 v13, 29, v13
	v_and_b32_e32 v26, 7, v26
	v_cndmask_b32_e64 v13, v30, v13, s[8:9]
	v_cndmask_b32_e64 v5, v5, v26, s[8:9]
	v_lshlrev_b32_e32 v26, 24, v58
	v_bfrev_b32_e32 v1, 60
	v_lshlrev_b32_e32 v5, 20, v5
	v_and_b32_e32 v26, 0x80000000, v26
	v_lshl_add_u32 v13, v13, 23, v1
	v_or3_b32 v5, v26, v13, v5
.LBB356_460:                            ;   in Loop: Header=BB356_13 Depth=1
	s_or_b64 exec, exec, s[36:37]
.LBB356_461:                            ;   in Loop: Header=BB356_13 Depth=1
	s_or_b64 exec, exec, s[34:35]
.LBB356_462:                            ;   in Loop: Header=BB356_13 Depth=1
	s_or_b64 exec, exec, s[30:31]
	v_mul_f32_e32 v5, v12, v5
	v_and_b32_e32 v13, 0x7f800000, v5
	v_cmp_ne_u32_e64 s[8:9], s41, v13
                                        ; implicit-def: $vgpr26
	s_and_saveexec_b64 s[30:31], s[8:9]
	s_xor_b64 s[8:9], exec, s[30:31]
; %bb.463:                              ;   in Loop: Header=BB356_13 Depth=1
	v_bfe_u32 v13, v5, 16, 1
	v_add3_u32 v26, v5, v13, s42
                                        ; implicit-def: $vgpr5
; %bb.464:                              ;   in Loop: Header=BB356_13 Depth=1
	s_andn2_saveexec_b64 s[30:31], s[8:9]
; %bb.465:                              ;   in Loop: Header=BB356_13 Depth=1
	v_or_b32_e32 v13, 0x10000, v5
	v_cmp_eq_u32_sdwa s[8:9], v5, v4 src0_sel:WORD_0 src1_sel:DWORD
	v_cndmask_b32_e64 v26, v13, v5, s[8:9]
; %bb.466:                              ;   in Loop: Header=BB356_13 Depth=1
	s_or_b64 exec, exec, s[30:31]
	v_lshrrev_b16_e32 v60, 8, v58
	v_cmp_ne_u16_e64 s[8:9], 0, v60
	v_mov_b32_e32 v5, 0
	s_and_saveexec_b64 s[30:31], s[8:9]
	s_cbranch_execz .LBB356_472
; %bb.467:                              ;   in Loop: Header=BB356_13 Depth=1
	v_cmp_ne_u16_e64 s[8:9], s39, v60
	v_bfrev_b32_e32 v5, 1
	s_and_saveexec_b64 s[34:35], s[8:9]
	s_cbranch_execz .LBB356_471
; %bb.468:                              ;   in Loop: Header=BB356_13 Depth=1
	v_and_b32_e32 v13, 0x7f, v60
	v_cmp_ne_u32_e64 s[8:9], s40, v13
	v_mov_b32_e32 v5, 0x7f800001
	s_and_saveexec_b64 s[36:37], s[8:9]
	s_cbranch_execz .LBB356_470
; %bb.469:                              ;   in Loop: Header=BB356_13 Depth=1
	v_and_b32_e32 v5, 7, v60
	v_lshrrev_b32_e32 v27, 3, v13
	v_cmp_gt_u32_e64 s[8:9], 8, v13
	v_ffbh_u32_e32 v13, v5
	v_min_u32_e32 v13, 32, v13
	v_subrev_u32_e32 v30, 28, v13
	v_lshlrev_b64 v[30:31], v30, v[60:61]
	v_sub_u32_e32 v13, 29, v13
	v_and_b32_e32 v30, 7, v30
	v_cndmask_b32_e64 v13, v27, v13, s[8:9]
	v_cndmask_b32_e64 v5, v5, v30, s[8:9]
	v_lshlrev_b32_e32 v27, 16, v58
	v_bfrev_b32_e32 v1, 60
	v_lshlrev_b32_e32 v5, 20, v5
	v_and_b32_e32 v27, 0x80000000, v27
	v_lshl_add_u32 v13, v13, 23, v1
	v_or3_b32 v5, v27, v13, v5
.LBB356_470:                            ;   in Loop: Header=BB356_13 Depth=1
	s_or_b64 exec, exec, s[36:37]
.LBB356_471:                            ;   in Loop: Header=BB356_13 Depth=1
	s_or_b64 exec, exec, s[34:35]
.LBB356_472:                            ;   in Loop: Header=BB356_13 Depth=1
	s_or_b64 exec, exec, s[30:31]
	v_mul_f32_e32 v5, v12, v5
	v_and_b32_e32 v13, 0x7f800000, v5
	v_cmp_ne_u32_e64 s[8:9], s41, v13
                                        ; implicit-def: $vgpr60
	s_and_saveexec_b64 s[30:31], s[8:9]
	s_xor_b64 s[8:9], exec, s[30:31]
; %bb.473:                              ;   in Loop: Header=BB356_13 Depth=1
	v_bfe_u32 v13, v5, 16, 1
	v_add3_u32 v60, v5, v13, s42
                                        ; implicit-def: $vgpr5
; %bb.474:                              ;   in Loop: Header=BB356_13 Depth=1
	s_andn2_saveexec_b64 s[30:31], s[8:9]
; %bb.475:                              ;   in Loop: Header=BB356_13 Depth=1
	v_or_b32_e32 v13, 0x10000, v5
	v_cmp_eq_u32_sdwa s[8:9], v5, v4 src0_sel:WORD_0 src1_sel:DWORD
	v_cndmask_b32_e64 v60, v13, v5, s[8:9]
; %bb.476:                              ;   in Loop: Header=BB356_13 Depth=1
	s_or_b64 exec, exec, s[30:31]
	flat_load_ushort v5, v[56:57] offset:2824
	s_waitcnt vmcnt(0) lgkmcnt(0)
	v_and_b32_e32 v56, 0xffff, v5
	v_cmp_ne_u16_sdwa s[8:9], v5, v4 src0_sel:BYTE_0 src1_sel:DWORD
	v_mov_b32_e32 v5, 0
	s_and_saveexec_b64 s[30:31], s[8:9]
	s_cbranch_execz .LBB356_482
; %bb.477:                              ;   in Loop: Header=BB356_13 Depth=1
	v_cmp_ne_u16_sdwa s[8:9], v56, s39 src0_sel:BYTE_0 src1_sel:DWORD
	v_bfrev_b32_e32 v5, 1
	s_and_saveexec_b64 s[34:35], s[8:9]
	s_cbranch_execz .LBB356_481
; %bb.478:                              ;   in Loop: Header=BB356_13 Depth=1
	v_and_b32_e32 v13, 0x7f, v56
	v_cmp_ne_u32_e64 s[8:9], s40, v13
	v_mov_b32_e32 v5, 0x7f800001
	s_and_saveexec_b64 s[36:37], s[8:9]
	s_cbranch_execz .LBB356_480
; %bb.479:                              ;   in Loop: Header=BB356_13 Depth=1
	v_and_b32_e32 v5, 7, v56
	v_lshrrev_b32_e32 v27, 3, v13
	v_cmp_gt_u32_e64 s[8:9], 8, v13
	v_ffbh_u32_e32 v13, v5
	v_min_u32_e32 v13, 32, v13
	v_subrev_u32_e32 v30, 28, v13
	v_lshlrev_b64 v[30:31], v30, v[56:57]
	v_sub_u32_e32 v13, 29, v13
	v_and_b32_e32 v30, 7, v30
	v_cndmask_b32_e64 v13, v27, v13, s[8:9]
	v_cndmask_b32_e64 v5, v5, v30, s[8:9]
	v_lshlrev_b32_e32 v27, 24, v56
	v_bfrev_b32_e32 v1, 60
	v_lshlrev_b32_e32 v5, 20, v5
	v_and_b32_e32 v27, 0x80000000, v27
	v_lshl_add_u32 v13, v13, 23, v1
	v_or3_b32 v5, v27, v13, v5
.LBB356_480:                            ;   in Loop: Header=BB356_13 Depth=1
	s_or_b64 exec, exec, s[36:37]
.LBB356_481:                            ;   in Loop: Header=BB356_13 Depth=1
	s_or_b64 exec, exec, s[34:35]
.LBB356_482:                            ;   in Loop: Header=BB356_13 Depth=1
	s_or_b64 exec, exec, s[30:31]
	v_mul_f32_e32 v5, v12, v5
	v_and_b32_e32 v13, 0x7f800000, v5
	v_cmp_ne_u32_e64 s[8:9], s41, v13
                                        ; implicit-def: $vgpr57
	s_and_saveexec_b64 s[30:31], s[8:9]
	s_xor_b64 s[8:9], exec, s[30:31]
; %bb.483:                              ;   in Loop: Header=BB356_13 Depth=1
	v_bfe_u32 v13, v5, 16, 1
	v_add3_u32 v57, v5, v13, s42
                                        ; implicit-def: $vgpr5
; %bb.484:                              ;   in Loop: Header=BB356_13 Depth=1
	s_andn2_saveexec_b64 s[30:31], s[8:9]
; %bb.485:                              ;   in Loop: Header=BB356_13 Depth=1
	v_or_b32_e32 v13, 0x10000, v5
	v_cmp_eq_u32_sdwa s[8:9], v5, v4 src0_sel:WORD_0 src1_sel:DWORD
	v_cndmask_b32_e64 v57, v13, v5, s[8:9]
; %bb.486:                              ;   in Loop: Header=BB356_13 Depth=1
	s_or_b64 exec, exec, s[30:31]
	v_lshrrev_b16_e32 v58, 8, v56
	v_cmp_ne_u16_e64 s[8:9], 0, v58
	v_mov_b32_e32 v5, 0
	s_and_saveexec_b64 s[30:31], s[8:9]
	s_cbranch_execz .LBB356_492
; %bb.487:                              ;   in Loop: Header=BB356_13 Depth=1
	v_cmp_ne_u16_e64 s[8:9], s39, v58
	v_bfrev_b32_e32 v5, 1
	s_and_saveexec_b64 s[34:35], s[8:9]
	s_cbranch_execz .LBB356_491
; %bb.488:                              ;   in Loop: Header=BB356_13 Depth=1
	v_and_b32_e32 v13, 0x7f, v58
	v_cmp_ne_u32_e64 s[8:9], s40, v13
	v_mov_b32_e32 v5, 0x7f800001
	s_and_saveexec_b64 s[36:37], s[8:9]
	s_cbranch_execz .LBB356_490
; %bb.489:                              ;   in Loop: Header=BB356_13 Depth=1
	v_and_b32_e32 v5, 7, v58
	v_lshrrev_b32_e32 v27, 3, v13
	v_cmp_gt_u32_e64 s[8:9], 8, v13
	v_ffbh_u32_e32 v13, v5
	v_min_u32_e32 v13, 32, v13
	v_subrev_u32_e32 v30, 28, v13
	v_lshlrev_b64 v[30:31], v30, v[58:59]
	v_sub_u32_e32 v13, 29, v13
	v_and_b32_e32 v30, 7, v30
	v_cndmask_b32_e64 v13, v27, v13, s[8:9]
	v_cndmask_b32_e64 v5, v5, v30, s[8:9]
	v_lshlrev_b32_e32 v27, 16, v56
	v_bfrev_b32_e32 v1, 60
	v_lshlrev_b32_e32 v5, 20, v5
	v_and_b32_e32 v27, 0x80000000, v27
	v_lshl_add_u32 v13, v13, 23, v1
	v_or3_b32 v5, v27, v13, v5
.LBB356_490:                            ;   in Loop: Header=BB356_13 Depth=1
	s_or_b64 exec, exec, s[36:37]
.LBB356_491:                            ;   in Loop: Header=BB356_13 Depth=1
	s_or_b64 exec, exec, s[34:35]
.LBB356_492:                            ;   in Loop: Header=BB356_13 Depth=1
	s_or_b64 exec, exec, s[30:31]
	v_mul_f32_e32 v5, v12, v5
	v_and_b32_e32 v12, 0x7f800000, v5
	v_cmp_ne_u32_e64 s[8:9], s41, v12
                                        ; implicit-def: $vgpr12
	s_and_saveexec_b64 s[30:31], s[8:9]
	s_xor_b64 s[8:9], exec, s[30:31]
; %bb.493:                              ;   in Loop: Header=BB356_13 Depth=1
	v_bfe_u32 v12, v5, 16, 1
	v_add3_u32 v12, v5, v12, s42
                                        ; implicit-def: $vgpr5
; %bb.494:                              ;   in Loop: Header=BB356_13 Depth=1
	s_andn2_saveexec_b64 s[30:31], s[8:9]
; %bb.495:                              ;   in Loop: Header=BB356_13 Depth=1
	v_or_b32_e32 v12, 0x10000, v5
	v_cmp_eq_u32_sdwa s[8:9], v5, v4 src0_sel:WORD_0 src1_sel:DWORD
	v_cndmask_b32_e64 v12, v12, v5, s[8:9]
; %bb.496:                              ;   in Loop: Header=BB356_13 Depth=1
	s_or_b64 exec, exec, s[30:31]
	v_accvgpr_read_b32 v3, a48
	v_lshlrev_b32_e32 v41, 16, v53
	v_and_b32_e32 v21, 0xffff0000, v53
	v_lshlrev_b32_e32 v28, 16, v48
	v_lshlrev_b32_e32 v43, 16, v50
	v_lshlrev_b32_e32 v10, 16, v51
	v_and_b32_e32 v20, 0xffff0000, v48
	v_and_b32_e32 v45, 0xffff0000, v50
	v_and_b32_e32 v22, 0xffff0000, v51
	v_lshlrev_b32_e32 v59, 16, v37
	v_lshlrev_b32_e32 v13, 16, v38
	v_lshlrev_b32_e32 v30, 16, v39
	v_and_b32_e32 v61, 0xffff0000, v37
	v_and_b32_e32 v5, 0xffff0000, v38
	;; [unrolled: 6-line block ×4, first 2 shown]
	v_and_b32_e32 v34, 0xffff0000, v19
	v_lshlrev_b32_e32 v18, 16, v7
	v_lshlrev_b32_e32 v17, 16, v8
	v_and_b32_e32 v19, 0xffff0000, v7
	v_and_b32_e32 v7, 0xffff0000, v8
	;; [unrolled: 1-line block ×3, first 2 shown]
	v_lshlrev_b32_e32 v31, 16, v52
	v_lshlrev_b32_e32 v62, 16, v54
	;; [unrolled: 1-line block ×3, first 2 shown]
	v_and_b32_e32 v40, 0xffff0000, v52
	v_and_b32_e32 v44, 0xffff0000, v54
	;; [unrolled: 1-line block ×3, first 2 shown]
	v_lshlrev_b32_e32 v29, 16, v49
	v_and_b32_e32 v23, 0xffff0000, v49
	v_lshlrev_b32_e32 v1, 16, v36
	v_and_b32_e32 v25, 0xffff0000, v36
	;; [unrolled: 2-line block ×4, first 2 shown]
	v_lshlrev_b32_e32 v33, 16, v6
	v_lshlrev_b32_e32 v16, 16, v9
	v_and_b32_e32 v36, 0xffff0000, v6
	v_and_b32_e32 v6, 0xffff0000, v9
	v_mul_f32_e32 v8, v41, v8
	v_and_b32_e32 v9, 0xffff0000, v0
	v_accvgpr_read_b32 v0, a49
	v_fmac_f32_e32 v8, v31, v9
	v_and_b32_e32 v9, 0xffff0000, v0
	v_mul_f32_e32 v9, v21, v9
	v_and_b32_e32 v21, 0xffff0000, v15
	v_accvgpr_read_b32 v0, a50
	v_fmac_f32_e32 v9, v40, v21
	v_and_b32_e32 v21, 0xffff0000, v0
	v_accvgpr_read_b32 v0, a51
	v_fmac_f32_e32 v8, v62, v21
	;; [unrolled: 3-line block ×17, first 2 shown]
	v_and_b32_e32 v61, 0xffff0000, v0
	v_accvgpr_read_b32 v0, a44
	v_and_b32_e32 v25, 0xffff0000, v0
	v_accvgpr_read_b32 v0, a36
	;; [unrolled: 2-line block ×20, first 2 shown]
	v_and_b32_e32 v3, 0xffff0000, v0
	v_fmac_f32_e32 v8, v13, v3
	v_fmac_f32_e32 v9, v5, v62
	;; [unrolled: 1-line block ×18, first 2 shown]
	v_and_b32_e32 v24, 0xffff0000, v24
	v_accvgpr_read_b32 v0, a45
	v_fmac_f32_e32 v8, v32, v1
	v_fmac_f32_e32 v9, v34, v25
	v_and_b32_e32 v2, 0xffff0000, v2
	v_and_b32_e32 v14, 0xffff0000, v14
	;; [unrolled: 1-line block ×3, first 2 shown]
	v_fmac_f32_e32 v8, v33, v61
	v_fmac_f32_e32 v9, v36, v24
	v_and_b32_e32 v60, 0xffff0000, v60
	v_and_b32_e32 v26, 0xffff0000, v26
	v_add_u32_e32 v15, 64, v15
	v_xor_b32_e32 v3, 2, v0
	v_fmac_f32_e32 v8, v18, v14
	v_fmac_f32_e32 v9, v19, v2
	v_and_b32_e32 v57, 0xffff0000, v57
	v_cmp_lt_i32_e64 s[8:9], v3, v15
	v_and_b32_e32 v12, 0xffff0000, v12
	v_fmac_f32_e32 v8, v17, v26
	v_fmac_f32_e32 v9, v7, v60
	v_cndmask_b32_e64 v3, v0, v3, s[8:9]
	v_fmac_f32_e32 v8, v16, v57
	v_fmac_f32_e32 v9, v6, v12
	v_lshlrev_b32_e32 v3, 2, v3
	v_add_f32_e32 v1, v8, v9
	ds_bpermute_b32 v2, v3, v1
	v_xor_b32_e32 v3, 1, v0
	v_cmp_lt_i32_e64 s[8:9], v3, v15
	v_cndmask_b32_e64 v3, v0, v3, s[8:9]
	v_lshlrev_b32_e32 v3, 2, v3
	s_waitcnt lgkmcnt(0)
	v_add_f32_e32 v1, v1, v2
	ds_bpermute_b32 v2, v3, v1
	s_and_saveexec_b64 s[30:31], vcc
	s_cbranch_execz .LBB356_11
; %bb.497:                              ;   in Loop: Header=BB356_13 Depth=1
	buffer_load_dword v3, off, s[0:3], s32 offset:212 ; 4-byte Folded Reload
	buffer_load_dword v6, off, s[0:3], s32 offset:204 ; 4-byte Folded Reload
	v_accvgpr_read_b32 v0, a46
	buffer_load_dword v5, off, s[0:3], s32 offset:208 ; 4-byte Folded Reload
	s_waitcnt lgkmcnt(0)
	v_add_f32_e32 v1, v1, v2
	v_accvgpr_read_b32 v2, a34
	s_load_dword s8, s[26:27], 0x0
	s_waitcnt vmcnt(2)
	v_add_u32_e32 v3, v3, v0
	v_cvt_f32_i32_e32 v3, v3
	s_waitcnt vmcnt(1)
	v_mul_f32_e32 v3, v6, v3
	v_cndmask_b32_e64 v3, 0, v3, s[6:7]
	v_fmac_f32_e32 v3, v1, v2
	buffer_load_dword v2, off, s[0:3], s32 offset:200 ; 4-byte Folded Reload
	s_waitcnt vmcnt(1)
	v_add_u32_e32 v5, v5, v0
	v_accvgpr_read_b32 v6, a43
	v_accvgpr_read_b32 v1, a3
	s_waitcnt lgkmcnt(0)
	v_add_u32_e32 v6, s8, v6
	v_cmp_lt_i32_e64 s[8:9], v5, v1
	v_cndmask_b32_e64 v1, 0, v3, s[8:9]
	ds_write_b32 v6, v1
	s_waitcnt vmcnt(0)
	v_max_f32_e32 v1, v2, v2
	v_max_f32_e32 v1, v1, v3
	v_cndmask_b32_e64 v2, v2, v1, s[8:9]
	buffer_store_dword v2, off, s[0:3], s32 offset:200 ; 4-byte Folded Spill
	s_branch .LBB356_11
.LBB356_498:
	s_or_b64 exec, exec, s[28:29]
	buffer_load_dword v15, off, s[0:3], s32 offset:288 ; 4-byte Folded Reload
	buffer_load_dword v14, off, s[0:3], s32 offset:284 ; 4-byte Folded Reload
	;; [unrolled: 1-line block ×17, first 2 shown]
	v_mbcnt_lo_u32_b32 v1, -1, 0
.LBB356_499:
	s_or_b64 exec, exec, s[24:25]
	v_mbcnt_hi_u32_b32 v2, -1, v1
	v_and_b32_e32 v0, 64, v2
	v_add_u32_e32 v3, 64, v0
	v_xor_b32_e32 v0, 32, v2
	v_cmp_lt_i32_e32 vcc, v0, v3
	v_cndmask_b32_e32 v0, v2, v0, vcc
	v_lshlrev_b32_e32 v4, 2, v0
	s_waitcnt vmcnt(0)
	ds_bpermute_b32 v0, v4, v7
	v_xor_b32_e32 v5, 16, v2
	v_max_f32_e32 v1, v7, v7
	v_cmp_lt_i32_e32 vcc, v5, v3
	v_xor_b32_e32 v6, 8, v2
	s_waitcnt lgkmcnt(0)
	v_max_f32_e32 v0, v0, v0
	v_max_f32_e32 v0, v1, v0
	v_cndmask_b32_e32 v1, v2, v5, vcc
	v_lshlrev_b32_e32 v5, 2, v1
	ds_bpermute_b32 v1, v5, v0
	v_cmp_lt_i32_e32 vcc, v6, v3
	s_lshr_b32 s28, s38, 16
	s_waitcnt lgkmcnt(0)
	v_max_f32_e32 v1, v1, v1
	v_max_f32_e32 v0, v0, v1
	v_cndmask_b32_e32 v1, v2, v6, vcc
	v_lshlrev_b32_e32 v8, 2, v1
	ds_bpermute_b32 v1, v8, v0
	v_xor_b32_e32 v6, 4, v2
	v_cmp_lt_i32_e32 vcc, v6, v3
	s_waitcnt lgkmcnt(0)
	v_max_f32_e32 v1, v1, v1
	v_max_f32_e32 v0, v0, v1
	v_cndmask_b32_e32 v1, v2, v6, vcc
	buffer_load_dword v6, off, s[0:3], s32 offset:196 ; 4-byte Folded Reload
	v_lshlrev_b32_e32 v10, 2, v1
	ds_bpermute_b32 v1, v10, v0
	s_waitcnt vmcnt(0)
	v_and_b32_e32 v59, 63, v6
	v_cmp_eq_u32_e32 vcc, 0, v59
	v_lshlrev_b32_e32 v6, 2, v21
	s_and_saveexec_b64 s[6:7], vcc
	s_cbranch_execz .LBB356_501
; %bb.500:
	s_waitcnt lgkmcnt(0)
	v_max_f32_e32 v1, v1, v1
	v_max_f32_e32 v0, v0, v0
	v_max_f32_e32 v0, v0, v1
	ds_write_b32 v6, v0 offset:384
.LBB356_501:
	s_or_b64 exec, exec, s[6:7]
	v_cmp_gt_u32_e64 s[6:7], 2, v59
	v_mov_b32_e32 v0, 0xff7fffff
	v_lshlrev_b32_e32 v7, 2, v59
	s_waitcnt lgkmcnt(0)
	s_barrier
	s_and_saveexec_b64 s[8:9], s[6:7]
	s_cbranch_execz .LBB356_503
; %bb.502:
	ds_read_b32 v0, v7 offset:384
.LBB356_503:
	s_or_b64 exec, exec, s[8:9]
	buffer_load_dword v12, off, s[0:3], s32 offset:196 ; 4-byte Folded Reload
	v_xor_b32_e32 v1, 1, v2
	v_cmp_lt_i32_e64 s[8:9], v1, v3
	v_cndmask_b32_e64 v1, v2, v1, s[8:9]
	v_lshlrev_b32_e32 v20, 2, v1
	s_waitcnt lgkmcnt(0)
	ds_bpermute_b32 v1, v20, v0
	v_max_f32_e32 v0, v0, v0
	v_accvgpr_read_b32 v9, a11
	v_subrev_u32_e32 v9, s21, v9
	v_lshl_add_u32 v9, v9, 4, s15
	s_waitcnt lgkmcnt(0)
	v_max_f32_e32 v1, v1, v1
	v_max_f32_e32 v0, v0, v1
	v_lshlrev_b32_e32 v1, 2, v2
	v_and_b32_e32 v11, 0x100, v1
	ds_bpermute_b32 v0, v11, v0
	v_accvgpr_read_b32 v1, a3
	v_min_i32_e32 v9, v9, v1
	v_subrev_u32_e32 v1, s15, v9
	s_waitcnt vmcnt(0)
	v_cmp_lt_i32_e64 s[8:9], v12, v1
	v_mov_b32_e32 v12, 0
	s_and_saveexec_b64 s[24:25], s[8:9]
	s_cbranch_execz .LBB356_507
; %bb.504:
	v_mov_b32_e32 v17, v14
	buffer_load_dword v14, off, s[0:3], s32 offset:196 ; 4-byte Folded Reload
	s_ashr_i32 s23, s22, 31
	s_lshl_b64 s[10:11], s[22:23], 2
	s_getpc_b64 s[26:27]
	s_add_u32 s26, s26, llvm.amdgcn.dynlds.offset.table@rel32@lo+4
	s_addc_u32 s27, s27, llvm.amdgcn.dynlds.offset.table@rel32@hi+12
	s_add_u32 s10, s10, s26
	s_addc_u32 s11, s11, s27
	s_load_dword s10, s[10:11], 0x0
	s_mov_b64 s[26:27], 0
	v_mov_b32_e32 v12, 0
	s_waitcnt vmcnt(0) lgkmcnt(0)
	v_lshl_add_u32 v13, v14, 2, s10
.LBB356_505:                            ; =>This Inner Loop Header: Depth=1
	ds_read_b32 v16, v13
	v_add_u32_e32 v14, 0x80, v14
	v_cmp_ge_i32_e64 s[10:11], v14, v1
	s_or_b64 s[26:27], s[10:11], s[26:27]
	s_waitcnt lgkmcnt(0)
	v_sub_f32_e32 v16, v16, v0
	v_mul_f32_e32 v16, 0x3fb8aa3b, v16
	v_exp_f32_e32 v16, v16
	ds_write_b32 v13, v16
	v_add_f32_e32 v12, v12, v16
	v_add_u32_e32 v13, 0x200, v13
	s_andn2_b64 exec, exec, s[26:27]
	s_cbranch_execnz .LBB356_505
; %bb.506:
	s_or_b64 exec, exec, s[26:27]
	v_mov_b32_e32 v14, v17
.LBB356_507:
	s_or_b64 exec, exec, s[24:25]
	ds_bpermute_b32 v4, v4, v12
	s_waitcnt lgkmcnt(0)
	v_add_f32_e32 v4, v12, v4
	ds_bpermute_b32 v5, v5, v4
	s_waitcnt lgkmcnt(0)
	v_add_f32_e32 v4, v4, v5
	ds_bpermute_b32 v5, v8, v4
	v_xor_b32_e32 v8, 2, v2
	v_cmp_lt_i32_e64 s[10:11], v8, v3
	v_cndmask_b32_e64 v2, v2, v8, s[10:11]
	v_lshlrev_b32_e32 v2, 2, v2
	s_waitcnt lgkmcnt(0)
	v_add_f32_e32 v4, v4, v5
	ds_bpermute_b32 v5, v10, v4
	s_waitcnt lgkmcnt(0)
	v_add_f32_e32 v3, v4, v5
	ds_bpermute_b32 v2, v2, v3
	;; [unrolled: 3-line block ×3, first 2 shown]
	s_waitcnt lgkmcnt(0)
	v_add_f32_e32 v2, v2, v3
	s_and_saveexec_b64 s[10:11], vcc
	s_cbranch_execz .LBB356_509
; %bb.508:
	ds_write_b32 v6, v2 offset:392
.LBB356_509:
	s_or_b64 exec, exec, s[10:11]
	s_waitcnt lgkmcnt(0)
	s_barrier
	s_and_saveexec_b64 s[10:11], s[6:7]
	s_cbranch_execz .LBB356_511
; %bb.510:
	ds_read_b32 v2, v7 offset:392
.LBB356_511:
	s_or_b64 exec, exec, s[10:11]
	s_waitcnt lgkmcnt(0)
	ds_bpermute_b32 v3, v20, v2
	s_waitcnt lgkmcnt(0)
	v_add_f32_e32 v2, v2, v3
	ds_bpermute_b32 v2, v11, v2
	s_and_saveexec_b64 s[6:7], s[8:9]
	s_cbranch_execz .LBB356_524
; %bb.512:
	s_waitcnt lgkmcnt(0)
	v_add_f32_e32 v3, 0x358637bd, v2
	v_div_scale_f32 v4, s[8:9], v3, v3, 1.0
	v_rcp_f32_e32 v5, v4
	v_div_scale_f32 v6, vcc, 1.0, v3, 1.0
	s_movk_i32 s8, 0x7f
	v_fma_f32 v7, -v4, v5, 1.0
	v_fmac_f32_e32 v5, v7, v5
	v_mul_f32_e32 v7, v6, v5
	v_fma_f32 v8, -v4, v7, v6
	v_fmac_f32_e32 v7, v8, v5
	v_fma_f32 v4, -v4, v7, v6
	v_div_fmas_f32 v4, v4, v5, v7
	buffer_load_dword v5, off, s[0:3], s32 offset:196 ; 4-byte Folded Reload
	v_div_fixup_f32 v6, v4, v3, 1.0
	s_mov_b64 s[10:11], -1
	s_waitcnt vmcnt(0)
	v_xad_u32 v3, v5, -1, v9
	v_subrev_u32_e32 v4, s15, v3
	v_cmp_lt_u32_e32 vcc, s8, v4
	v_mov_b32_e32 v3, v5
	s_and_saveexec_b64 s[8:9], vcc
	s_cbranch_execz .LBB356_521
; %bb.513:
	v_lshrrev_b32_e32 v3, 7, v4
	v_add_u32_e32 v5, -1, v3
	v_lshrrev_b32_e32 v4, 1, v5
	v_mov_b32_e32 v7, v6
	v_add_u32_e32 v4, 1, v4
	v_cmp_lt_u32_e32 vcc, 13, v5
	v_mov_b32_e32 v9, 0
	s_and_saveexec_b64 s[10:11], vcc
	s_cbranch_execz .LBB356_517
; %bb.514:
	buffer_load_dword v8, off, s[0:3], s32 offset:196 ; 4-byte Folded Reload
	s_ashr_i32 s23, s22, 31
	s_lshl_b64 s[24:25], s[22:23], 2
	s_getpc_b64 s[26:27]
	s_add_u32 s26, s26, llvm.amdgcn.dynlds.offset.table@rel32@lo+4
	s_addc_u32 s27, s27, llvm.amdgcn.dynlds.offset.table@rel32@hi+12
	s_add_u32 s24, s24, s26
	s_addc_u32 s25, s25, s27
	s_load_dword s21, s[24:25], 0x0
	v_and_b32_e32 v5, -8, v4
	s_mov_b32 s15, 0
	s_mov_b64 s[24:25], 0
	s_waitcnt vmcnt(0) lgkmcnt(0)
	v_lshl_add_u32 v8, v8, 2, s21
.LBB356_515:                            ; =>This Inner Loop Header: Depth=1
	ds_read2st64_b32 v[10:11], v8 offset1:2
	ds_read2st64_b32 v[12:13], v8 offset0:4 offset1:6
	ds_read2st64_b32 v[18:19], v8 offset0:8 offset1:10
	;; [unrolled: 1-line block ×3, first 2 shown]
	v_add_u32_e32 v5, -8, v5
	s_waitcnt lgkmcnt(3)
	v_pk_mul_f32 v[10:11], v[6:7], v[10:11]
	s_waitcnt lgkmcnt(2)
	v_pk_mul_f32 v[12:13], v[6:7], v[12:13]
	ds_write2st64_b32 v8, v10, v11 offset1:2
	ds_write2st64_b32 v8, v12, v13 offset0:4 offset1:6
	ds_read2st64_b32 v[12:13], v8 offset0:16 offset1:18
	s_waitcnt lgkmcnt(4)
	v_pk_mul_f32 v[10:11], v[6:7], v[18:19]
	ds_write2st64_b32 v8, v10, v11 offset0:8 offset1:10
	s_waitcnt lgkmcnt(4)
	v_pk_mul_f32 v[10:11], v[6:7], v[16:17]
	ds_write2st64_b32 v8, v10, v11 offset0:12 offset1:14
	ds_read2st64_b32 v[10:11], v8 offset0:20 offset1:22
	s_waitcnt lgkmcnt(3)
	v_pk_mul_f32 v[12:13], v[6:7], v[12:13]
	ds_read2st64_b32 v[16:17], v8 offset0:24 offset1:26
	ds_write2st64_b32 v8, v12, v13 offset0:16 offset1:18
	ds_read2st64_b32 v[12:13], v8 offset0:28 offset1:30
	s_waitcnt lgkmcnt(3)
	v_pk_mul_f32 v[10:11], v[6:7], v[10:11]
	ds_write2st64_b32 v8, v10, v11 offset0:20 offset1:22
	s_waitcnt lgkmcnt(3)
	v_pk_mul_f32 v[10:11], v[6:7], v[16:17]
	ds_write2st64_b32 v8, v10, v11 offset0:24 offset1:26
	s_waitcnt lgkmcnt(2)
	v_pk_mul_f32 v[10:11], v[6:7], v[12:13]
	s_add_i32 s15, s15, 16
	v_cmp_eq_u32_e32 vcc, 0, v5
	ds_write2st64_b32 v8, v10, v11 offset0:28 offset1:30
	v_add_u32_e32 v8, 0x2000, v8
	s_or_b64 s[24:25], vcc, s[24:25]
	v_mov_b32_e32 v9, s15
	s_andn2_b64 exec, exec, s[24:25]
	s_cbranch_execnz .LBB356_515
; %bb.516:
	s_or_b64 exec, exec, s[24:25]
.LBB356_517:
	s_or_b64 exec, exec, s[10:11]
	v_and_b32_e32 v4, 7, v4
	v_cmp_ne_u32_e32 vcc, 0, v4
	s_and_saveexec_b64 s[10:11], vcc
	s_cbranch_execz .LBB356_520
; %bb.518:
	buffer_load_dword v8, off, s[0:3], s32 offset:196 ; 4-byte Folded Reload
	s_ashr_i32 s23, s22, 31
	s_lshl_b64 s[24:25], s[22:23], 2
	s_getpc_b64 s[26:27]
	s_add_u32 s26, s26, llvm.amdgcn.dynlds.offset.table@rel32@lo+4
	s_addc_u32 s27, s27, llvm.amdgcn.dynlds.offset.table@rel32@hi+12
	s_add_u32 s24, s24, s26
	s_addc_u32 s25, s25, s27
	s_load_dword s15, s[24:25], 0x0
	v_lshlrev_b32_e32 v5, 9, v9
	s_mov_b64 s[24:25], 0
	s_waitcnt vmcnt(0)
	v_lshlrev_b32_e32 v8, 2, v8
	s_waitcnt lgkmcnt(0)
	v_add3_u32 v5, v5, v8, s15
.LBB356_519:                            ; =>This Inner Loop Header: Depth=1
	ds_read2st64_b32 v[8:9], v5 offset1:2
	v_add_u32_e32 v4, -1, v4
	v_cmp_eq_u32_e32 vcc, 0, v4
	s_or_b64 s[24:25], vcc, s[24:25]
	s_waitcnt lgkmcnt(0)
	v_pk_mul_f32 v[8:9], v[6:7], v[8:9]
	ds_write2st64_b32 v5, v8, v9 offset1:2
	v_add_u32_e32 v5, 0x400, v5
	s_andn2_b64 exec, exec, s[24:25]
	s_cbranch_execnz .LBB356_519
.LBB356_520:
	s_or_b64 exec, exec, s[10:11]
	v_add_u32_e32 v4, 1, v3
	buffer_load_dword v3, off, s[0:3], s32 offset:196 ; 4-byte Folded Reload
	v_and_b32_e32 v5, 0x3fffffe, v4
	v_cmp_ne_u32_e32 vcc, v4, v5
	s_orn2_b64 s[10:11], vcc, exec
	s_waitcnt vmcnt(0)
	v_lshl_add_u32 v3, v5, 7, v3
.LBB356_521:
	s_or_b64 exec, exec, s[8:9]
	s_and_b64 exec, exec, s[10:11]
	s_cbranch_execz .LBB356_524
; %bb.522:
	s_ashr_i32 s23, s22, 31
	s_lshl_b64 s[8:9], s[22:23], 2
	s_getpc_b64 s[10:11]
	s_add_u32 s10, s10, llvm.amdgcn.dynlds.offset.table@rel32@lo+4
	s_addc_u32 s11, s11, llvm.amdgcn.dynlds.offset.table@rel32@hi+12
	s_add_u32 s8, s8, s10
	s_addc_u32 s9, s9, s11
	s_load_dword s8, s[8:9], 0x0
	s_waitcnt lgkmcnt(0)
	v_lshl_add_u32 v4, v3, 2, s8
	s_mov_b64 s[8:9], 0
.LBB356_523:                            ; =>This Inner Loop Header: Depth=1
	ds_read_b32 v5, v4
	v_add_u32_e32 v3, 0x80, v3
	v_cmp_ge_i32_e32 vcc, v3, v1
	s_or_b64 s[8:9], vcc, s[8:9]
	s_waitcnt lgkmcnt(0)
	v_mul_f32_e32 v5, v6, v5
	ds_write_b32 v4, v5
	v_add_u32_e32 v4, 0x200, v4
	s_andn2_b64 exec, exec, s[8:9]
	s_cbranch_execnz .LBB356_523
.LBB356_524:
	s_or_b64 exec, exec, s[6:7]
	s_waitcnt lgkmcnt(0)
	s_barrier
	buffer_load_dword v1, off, s[0:3], s32 offset:196 ; 4-byte Folded Reload
	v_cmp_ne_u16_e64 s[6:7], s28, 0
	s_cmp_lg_u64 s[6:7], 0
	s_addc_u32 s21, s13, 0
	s_waitcnt vmcnt(0)
	v_cmp_eq_u32_e32 vcc, 0, v1
	s_and_saveexec_b64 s[6:7], vcc
	s_cbranch_execz .LBB356_526
; %bb.525:
	s_mul_i32 s8, s21, s18
	s_mul_i32 s8, s8, s19
	;; [unrolled: 1-line block ×3, first 2 shown]
	s_ashr_i32 s9, s8, 31
	s_ashr_i32 s11, s10, 31
	;; [unrolled: 1-line block ×3, first 2 shown]
	s_lshl_b64 s[8:9], s[8:9], 2
	s_lshl_b64 s[10:11], s[10:11], 2
	;; [unrolled: 1-line block ×3, first 2 shown]
	s_add_u32 s10, s12, s10
	s_addc_u32 s11, s13, s11
	s_add_u32 s8, s10, s8
	s_addc_u32 s9, s11, s9
	v_mov_b32_e32 v1, s9
	v_add_co_u32_e32 v4, vcc, s8, v34
	v_addc_co_u32_e32 v5, vcc, v1, v27, vcc
	flat_store_dword v[4:5], v0
	v_add_co_u32_e32 v0, vcc, s8, v26
	v_addc_co_u32_e32 v1, vcc, v1, v25, vcc
	flat_store_dword v[0:1], v2
.LBB356_526:
	s_or_b64 exec, exec, s[6:7]
	buffer_load_dword v0, off, s[0:3], s32 offset:196 ; 4-byte Folded Reload
	s_ashr_i32 s23, s22, 31
	s_lshl_b64 s[6:7], s[22:23], 2
	s_getpc_b64 s[8:9]
	s_add_u32 s8, s8, llvm.amdgcn.dynlds.offset.table@rel32@lo+4
	s_addc_u32 s9, s9, llvm.amdgcn.dynlds.offset.table@rel32@hi+12
	s_add_u32 s6, s6, s8
	s_addc_u32 s7, s7, s9
	v_mov_b32_e32 v13, 0
	v_mov_b32_e32 v12, 0
	;; [unrolled: 1-line block ×6, first 2 shown]
	s_waitcnt vmcnt(0)
	v_and_b32_e32 v8, 1, v0
	s_and_saveexec_b64 s[8:9], s[4:5]
	s_cbranch_execz .LBB356_1248
; %bb.527:
	buffer_load_dword v0, off, s[0:3], s32 offset:196 ; 4-byte Folded Reload
	v_max_i32_e32 v35, v30, v33
	v_add_u32_e32 v4, -1, v31
	v_add_co_u32_e32 v2, vcc, v24, v23
	v_accvgpr_write_b32 a19, v4
	v_sub_u32_e32 v4, 0, v35
	v_addc_co_u32_e32 v3, vcc, v22, v32, vcc
	s_load_dword s4, s[6:7], 0x0
	s_mov_b32 s10, -1
	v_accvgpr_write_b32 a16, v20
	s_mov_b32 s11, 0xffffff
	v_mov_b32_e32 v11, 0
	v_accvgpr_write_b32 a17, v8
	s_mov_b64 s[12:13], 0
	s_mov_b32 s15, 0x7f800000
	s_movk_i32 s30, 0x7fff
	s_movk_i32 s31, 0x80
	;; [unrolled: 1-line block ×3, first 2 shown]
	v_mov_b32_e32 v18, 0
	v_mov_b32_e32 v19, 0
	;; [unrolled: 1-line block ×6, first 2 shown]
	s_waitcnt vmcnt(0)
	v_lshlrev_b32_e32 v0, 3, v0
	v_and_b32_e32 v1, 8, v0
	v_accvgpr_write_b32 a18, v1
	v_cvt_f32_u32_e32 v1, v35
	v_and_b32_e32 v0, 0x1f8, v0
	v_add_co_u32_e32 v0, vcc, v2, v0
	v_rcp_iflag_f32_e32 v1, v1
	v_mul_f32_e32 v1, 0x4f7ffffe, v1
	v_cvt_u32_f32_e32 v1, v1
	v_mul_lo_u32 v4, v4, v1
	v_mul_hi_u32 v4, v1, v4
	v_add_u32_e32 v4, v1, v4
	v_addc_co_u32_e32 v1, vcc, 0, v3, vcc
	v_accvgpr_write_b32 a23, v1
	v_accvgpr_write_b32 a22, v0
	v_accvgpr_read_b32 v0, a12
	v_accvgpr_read_b32 v1, a13
	v_lshlrev_b64 v[0:1], 2, v[0:1]
	v_add_co_u32_e32 v0, vcc, v28, v0
	v_addc_co_u32_e32 v1, vcc, v29, v1, vcc
	v_add_co_u32_e32 v14, vcc, v14, v0
	v_addc_co_u32_e32 v15, vcc, v15, v1, vcc
	buffer_load_dword v1, off, s[0:3], s32 offset:224 ; 4-byte Folded Reload
	v_lshlrev_b32_e32 v0, 5, v8
	v_lshl_or_b32 v0, v21, 6, v0
	v_accvgpr_write_b32 a20, v4
	s_waitcnt lgkmcnt(0)
	v_add_u32_e32 v4, s4, v0
	v_bfrev_b32_e32 v28, 60
	s_branch .LBB356_530
.LBB356_528:                            ;   in Loop: Header=BB356_530 Depth=1
	s_or_b64 exec, exec, s[4:5]
	v_and_b32_e32 v32, 0xffff0000, v53
	v_and_b32_e32 v53, 0xffff0000, v52
	;; [unrolled: 1-line block ×8, first 2 shown]
	v_pk_add_f32 v[50:51], v[50:51], v[52:53]
	v_pk_add_f32 v[26:27], v[32:33], v[26:27]
	v_add_f32_e32 v3, v50, v51
	v_add_f32_e32 v3, v3, v26
	v_and_b32_e32 v26, 0xffff0000, v39
	v_and_b32_e32 v32, 0xffff0000, v38
	;; [unrolled: 1-line block ×6, first 2 shown]
	v_add_f32_e32 v3, v3, v27
	v_and_b32_e32 v27, 0xffff0000, v49
	v_and_b32_e32 v33, 0xffff0000, v48
	v_pk_add_f32 v[36:37], v[38:39], v[36:37]
	v_add_f32_e32 v12, v12, v3
	v_pk_add_f32 v[26:27], v[32:33], v[26:27]
	v_add_f32_e32 v3, v36, v37
	v_add_f32_e32 v3, v3, v26
	v_and_b32_e32 v9, 0xffff0000, v8
	v_and_b32_e32 v8, 0xffff0000, v31
	;; [unrolled: 1-line block ×7, first 2 shown]
	v_add_f32_e32 v3, v3, v27
	v_and_b32_e32 v27, 0xffff0000, v20
	v_pk_add_f32 v[20:21], v[32:33], v[30:31]
	v_add_f32_e32 v17, v17, v3
	v_pk_add_f32 v[8:9], v[26:27], v[8:9]
	v_add_f32_e32 v3, v20, v21
	v_add_f32_e32 v3, v3, v8
	;; [unrolled: 1-line block ×4, first 2 shown]
	v_accvgpr_read_b32 v3, a44
	v_and_b32_e32 v9, 0xffff0000, v3
	v_accvgpr_read_b32 v3, a42
	v_and_b32_e32 v8, 0xffff0000, v3
	;; [unrolled: 2-line block ×8, first 2 shown]
	v_pk_add_f32 v[26:27], v[30:31], v[26:27]
	v_pk_add_f32 v[8:9], v[20:21], v[8:9]
	v_add_f32_e32 v3, v26, v27
	v_add_f32_e32 v3, v3, v8
	;; [unrolled: 1-line block ×4, first 2 shown]
	v_accvgpr_read_b32 v3, a29
	v_and_b32_e32 v9, 0xffff0000, v3
	v_accvgpr_read_b32 v3, a27
	v_and_b32_e32 v8, 0xffff0000, v3
	;; [unrolled: 2-line block ×8, first 2 shown]
	v_pk_add_f32 v[26:27], v[30:31], v[26:27]
	v_pk_add_f32 v[8:9], v[20:21], v[8:9]
	v_add_f32_e32 v3, v26, v27
	v_add_f32_e32 v3, v3, v8
	v_and_b32_e32 v7, 0xffff0000, v7
	v_and_b32_e32 v6, 0xffff0000, v1
	;; [unrolled: 1-line block ×4, first 2 shown]
	v_add_f32_e32 v3, v3, v9
	v_and_b32_e32 v9, 0xffff0000, v5
	v_and_b32_e32 v8, 0xffff0000, v34
	;; [unrolled: 1-line block ×4, first 2 shown]
	v_pk_add_f32 v[0:1], v[0:1], v[6:7]
	v_add_f32_e32 v18, v18, v3
	v_pk_add_f32 v[2:3], v[20:21], v[8:9]
	v_add_f32_e32 v0, v0, v1
	v_add_f32_e32 v0, v0, v2
	;; [unrolled: 1-line block ×4, first 2 shown]
.LBB356_529:                            ;   in Loop: Header=BB356_530 Depth=1
	s_or_b64 exec, exec, s[22:23]
	v_accvgpr_read_b32 v2, a12
	v_add_co_u32_e32 v14, vcc, 8, v14
	v_add_u32_e32 v2, 2, v2
	v_addc_co_u32_e32 v15, vcc, 0, v15, vcc
	v_accvgpr_read_b32 v0, a11
	v_accvgpr_read_b32 v1, a13
	v_cmp_ge_i32_e32 vcc, v2, v0
	v_add_u32_e32 v1, 32, v1
	v_accvgpr_write_b32 a12, v2
	s_or_b64 s[12:13], vcc, s[12:13]
	v_add_u32_e32 v4, 0x80, v4
	s_andn2_b64 exec, exec, s[12:13]
	s_cbranch_execz .LBB356_1247
.LBB356_530:                            ; =>This Inner Loop Header: Depth=1
	s_waitcnt vmcnt(0)
	v_ashrrev_i32_e32 v0, 31, v1
	v_mov_b32_e32 v2, v1
	v_accvgpr_read_b32 v1, a9
	v_xor_b32_e32 v0, v0, v1
	v_sub_u32_e32 v1, 0, v2
	v_accvgpr_write_b32 a13, v2
	v_max_i32_e32 v1, v2, v1
	v_accvgpr_read_b32 v2, a8
	v_mul_hi_u32 v2, v1, v2
	v_accvgpr_read_b32 v5, a7
	v_mul_lo_u32 v3, v2, v5
	v_sub_u32_e32 v1, v1, v3
	v_add_u32_e32 v3, 1, v2
	v_cmp_ge_u32_e32 vcc, v1, v5
	v_cndmask_b32_e32 v2, v2, v3, vcc
	v_sub_u32_e32 v3, v1, v5
	v_cndmask_b32_e32 v1, v1, v3, vcc
	v_add_u32_e32 v3, 1, v2
	v_cmp_ge_u32_e32 vcc, v1, v5
	v_cndmask_b32_e32 v1, v2, v3, vcc
	v_xor_b32_e32 v1, v1, v0
	v_sub_u32_e32 v0, v1, v0
	v_accvgpr_read_b32 v2, a10
	v_add_u32_e32 v1, v0, v2
	v_sub_u32_e32 v3, 0, v1
	v_ashrrev_i32_e32 v2, 31, v1
	v_max_i32_e32 v1, v1, v3
	v_accvgpr_read_b32 v6, a20
	v_mul_hi_u32 v3, v1, v6
	v_mul_lo_u32 v3, v3, v35
	v_sub_u32_e32 v1, v1, v3
	v_sub_u32_e32 v3, v1, v35
	v_cmp_ge_u32_e32 vcc, v1, v35
	v_cndmask_b32_e32 v1, v1, v3, vcc
	v_sub_u32_e32 v3, v1, v35
	v_cmp_ge_u32_e32 vcc, v1, v35
	v_cndmask_b32_e32 v1, v1, v3, vcc
	v_xor_b32_e32 v1, v1, v2
	v_sub_u32_e32 v1, v1, v2
	v_cmp_eq_u32_e32 vcc, 0, v1
	v_accvgpr_read_b32 v1, a14
	v_cmp_gt_i32_e64 s[4:5], v0, v1
	s_or_b64 s[4:5], vcc, s[4:5]
	s_and_saveexec_b64 s[22:23], s[4:5]
	s_cbranch_execz .LBB356_529
; %bb.531:                              ;   in Loop: Header=BB356_530 Depth=1
	flat_load_dword v5, v[14:15]
	ds_read2_b64 v[6:9], v4 offset1:1
	ds_read2_b64 v[0:3], v4 offset0:2 offset1:3
                                        ; implicit-def: $vgpr26
	s_waitcnt lgkmcnt(0)
	v_and_b32_e32 v10, 0x7f800000, v6
	v_cmp_ne_u32_e32 vcc, s15, v10
	s_and_saveexec_b64 s[4:5], vcc
	s_xor_b64 s[4:5], exec, s[4:5]
; %bb.532:                              ;   in Loop: Header=BB356_530 Depth=1
	v_bfe_u32 v10, v6, 16, 1
	v_add3_u32 v26, v6, v10, s30
; %bb.533:                              ;   in Loop: Header=BB356_530 Depth=1
	s_andn2_saveexec_b64 s[4:5], s[4:5]
; %bb.534:                              ;   in Loop: Header=BB356_530 Depth=1
	v_or_b32_e32 v10, 0x10000, v6
	v_cmp_eq_u32_sdwa vcc, v6, v11 src0_sel:WORD_0 src1_sel:DWORD
	v_cndmask_b32_e32 v26, v10, v6, vcc
; %bb.535:                              ;   in Loop: Header=BB356_530 Depth=1
	s_or_b64 exec, exec, s[4:5]
	v_and_b32_e32 v6, 0x7f800000, v7
	v_cmp_ne_u32_e32 vcc, s15, v6
                                        ; implicit-def: $vgpr25
	s_and_saveexec_b64 s[4:5], vcc
	s_xor_b64 s[4:5], exec, s[4:5]
; %bb.536:                              ;   in Loop: Header=BB356_530 Depth=1
	v_bfe_u32 v6, v7, 16, 1
	v_add3_u32 v25, v7, v6, s30
; %bb.537:                              ;   in Loop: Header=BB356_530 Depth=1
	s_andn2_saveexec_b64 s[4:5], s[4:5]
; %bb.538:                              ;   in Loop: Header=BB356_530 Depth=1
	v_or_b32_e32 v6, 0x10000, v7
	v_cmp_eq_u32_sdwa vcc, v7, v11 src0_sel:WORD_0 src1_sel:DWORD
	v_cndmask_b32_e32 v25, v6, v7, vcc
; %bb.539:                              ;   in Loop: Header=BB356_530 Depth=1
	s_or_b64 exec, exec, s[4:5]
	v_and_b32_e32 v6, 0x7f800000, v8
	v_cmp_ne_u32_e32 vcc, s15, v6
                                        ; implicit-def: $vgpr24
	s_and_saveexec_b64 s[4:5], vcc
	s_xor_b64 s[4:5], exec, s[4:5]
; %bb.540:                              ;   in Loop: Header=BB356_530 Depth=1
	v_bfe_u32 v6, v8, 16, 1
	v_add3_u32 v24, v8, v6, s30
; %bb.541:                              ;   in Loop: Header=BB356_530 Depth=1
	s_andn2_saveexec_b64 s[4:5], s[4:5]
; %bb.542:                              ;   in Loop: Header=BB356_530 Depth=1
	v_or_b32_e32 v6, 0x10000, v8
	v_cmp_eq_u32_sdwa vcc, v8, v11 src0_sel:WORD_0 src1_sel:DWORD
	v_cndmask_b32_e32 v24, v6, v8, vcc
; %bb.543:                              ;   in Loop: Header=BB356_530 Depth=1
	s_or_b64 exec, exec, s[4:5]
	v_and_b32_e32 v6, 0x7f800000, v9
	v_cmp_ne_u32_e32 vcc, s15, v6
                                        ; implicit-def: $vgpr22
	s_and_saveexec_b64 s[4:5], vcc
	s_xor_b64 s[4:5], exec, s[4:5]
; %bb.544:                              ;   in Loop: Header=BB356_530 Depth=1
	v_bfe_u32 v6, v9, 16, 1
	v_add3_u32 v22, v9, v6, s30
                                        ; implicit-def: $vgpr6_vgpr7_vgpr8_vgpr9
; %bb.545:                              ;   in Loop: Header=BB356_530 Depth=1
	s_andn2_saveexec_b64 s[4:5], s[4:5]
; %bb.546:                              ;   in Loop: Header=BB356_530 Depth=1
	v_or_b32_e32 v6, 0x10000, v9
	v_cmp_eq_u32_sdwa vcc, v9, v11 src0_sel:WORD_0 src1_sel:DWORD
	v_cndmask_b32_e32 v22, v6, v9, vcc
; %bb.547:                              ;   in Loop: Header=BB356_530 Depth=1
	s_or_b64 exec, exec, s[4:5]
	v_and_b32_e32 v6, 0x7f800000, v0
	v_cmp_ne_u32_e32 vcc, s15, v6
                                        ; implicit-def: $vgpr21
	s_and_saveexec_b64 s[4:5], vcc
	s_xor_b64 s[4:5], exec, s[4:5]
; %bb.548:                              ;   in Loop: Header=BB356_530 Depth=1
	v_bfe_u32 v6, v0, 16, 1
	v_add3_u32 v21, v0, v6, s30
; %bb.549:                              ;   in Loop: Header=BB356_530 Depth=1
	s_andn2_saveexec_b64 s[4:5], s[4:5]
; %bb.550:                              ;   in Loop: Header=BB356_530 Depth=1
	v_or_b32_e32 v6, 0x10000, v0
	v_cmp_eq_u32_sdwa vcc, v0, v11 src0_sel:WORD_0 src1_sel:DWORD
	v_cndmask_b32_e32 v21, v6, v0, vcc
; %bb.551:                              ;   in Loop: Header=BB356_530 Depth=1
	s_or_b64 exec, exec, s[4:5]
	v_and_b32_e32 v0, 0x7f800000, v1
	v_cmp_ne_u32_e32 vcc, s15, v0
                                        ; implicit-def: $vgpr20
	s_and_saveexec_b64 s[4:5], vcc
	s_xor_b64 s[4:5], exec, s[4:5]
; %bb.552:                              ;   in Loop: Header=BB356_530 Depth=1
	v_bfe_u32 v0, v1, 16, 1
	v_add3_u32 v20, v1, v0, s30
; %bb.553:                              ;   in Loop: Header=BB356_530 Depth=1
	s_andn2_saveexec_b64 s[4:5], s[4:5]
; %bb.554:                              ;   in Loop: Header=BB356_530 Depth=1
	v_or_b32_e32 v0, 0x10000, v1
	v_cmp_eq_u32_sdwa vcc, v1, v11 src0_sel:WORD_0 src1_sel:DWORD
	v_cndmask_b32_e32 v20, v0, v1, vcc
; %bb.555:                              ;   in Loop: Header=BB356_530 Depth=1
	s_or_b64 exec, exec, s[4:5]
	v_and_b32_e32 v0, 0x7f800000, v2
	v_cmp_ne_u32_e32 vcc, s15, v0
                                        ; implicit-def: $vgpr9
	s_and_saveexec_b64 s[4:5], vcc
	s_xor_b64 s[4:5], exec, s[4:5]
; %bb.556:                              ;   in Loop: Header=BB356_530 Depth=1
	v_bfe_u32 v0, v2, 16, 1
	v_add3_u32 v9, v2, v0, s30
; %bb.557:                              ;   in Loop: Header=BB356_530 Depth=1
	s_andn2_saveexec_b64 s[4:5], s[4:5]
; %bb.558:                              ;   in Loop: Header=BB356_530 Depth=1
	v_or_b32_e32 v0, 0x10000, v2
	v_cmp_eq_u32_sdwa vcc, v2, v11 src0_sel:WORD_0 src1_sel:DWORD
	v_cndmask_b32_e32 v9, v0, v2, vcc
; %bb.559:                              ;   in Loop: Header=BB356_530 Depth=1
	s_or_b64 exec, exec, s[4:5]
	v_and_b32_e32 v0, 0x7f800000, v3
	v_cmp_ne_u32_e32 vcc, s15, v0
                                        ; implicit-def: $vgpr8
	s_and_saveexec_b64 s[4:5], vcc
	s_xor_b64 s[4:5], exec, s[4:5]
; %bb.560:                              ;   in Loop: Header=BB356_530 Depth=1
	v_bfe_u32 v0, v3, 16, 1
	v_add3_u32 v8, v3, v0, s30
                                        ; implicit-def: $vgpr0_vgpr1_vgpr2_vgpr3
; %bb.561:                              ;   in Loop: Header=BB356_530 Depth=1
	s_andn2_saveexec_b64 s[4:5], s[4:5]
; %bb.562:                              ;   in Loop: Header=BB356_530 Depth=1
	v_or_b32_e32 v0, 0x10000, v3
	v_cmp_eq_u32_sdwa vcc, v3, v11 src0_sel:WORD_0 src1_sel:DWORD
	v_cndmask_b32_e32 v8, v0, v3, vcc
; %bb.563:                              ;   in Loop: Header=BB356_530 Depth=1
	s_or_b64 exec, exec, s[4:5]
	v_accvgpr_read_b32 v2, a22
	v_accvgpr_read_b32 v0, a6
	;; [unrolled: 1-line block ×3, first 2 shown]
	s_waitcnt vmcnt(0)
	v_mad_i64_i32 v[0:1], s[4:5], v5, v0, v[2:3]
	v_accvgpr_read_b32 v7, a5
	flat_load_dwordx2 v[2:3], v[0:1]
	v_accvgpr_read_b32 v6, a4
	flat_load_dword v7, v[6:7]
	v_mov_b32_e32 v5, 0
	s_waitcnt vmcnt(0) lgkmcnt(0)
	v_cmp_ne_u16_sdwa s[24:25], v2, v11 src0_sel:BYTE_0 src1_sel:DWORD
	s_and_saveexec_b64 s[4:5], s[24:25]
	s_cbranch_execz .LBB356_569
; %bb.564:                              ;   in Loop: Header=BB356_530 Depth=1
	v_cmp_ne_u16_sdwa s[26:27], v2, s31 src0_sel:BYTE_0 src1_sel:DWORD
	v_bfrev_b32_e32 v5, 1
	s_and_saveexec_b64 s[24:25], s[26:27]
	s_cbranch_execz .LBB356_568
; %bb.565:                              ;   in Loop: Header=BB356_530 Depth=1
	v_and_b32_e32 v6, 0x7f, v2
	v_cmp_ne_u32_e32 vcc, s34, v6
	v_mov_b32_e32 v5, 0x7f800001
	s_and_saveexec_b64 s[26:27], vcc
	s_cbranch_execz .LBB356_567
; %bb.566:                              ;   in Loop: Header=BB356_530 Depth=1
	v_and_b32_e32 v5, 7, v2
	v_ffbh_u32_e32 v5, v5
	v_min_u32_e32 v5, 32, v5
	v_subrev_u32_e32 v23, 28, v5
	v_cmp_gt_u32_e32 vcc, 8, v6
	v_lshrrev_b32_e32 v10, 3, v6
	v_cndmask_b32_e32 v6, 0, v23, vcc
	v_sub_u32_e32 v5, 29, v5
	v_lshlrev_b64 v[30:31], v6, v[2:3]
	v_cndmask_b32_e32 v5, v10, v5, vcc
	v_lshlrev_b32_e32 v6, 20, v30
	v_lshlrev_b32_e32 v10, 24, v2
	v_and_b32_e32 v6, 0x700000, v6
	v_and_b32_e32 v10, 0x80000000, v10
	v_lshl_add_u32 v5, v5, 23, v28
	v_or3_b32 v5, v10, v5, v6
.LBB356_567:                            ;   in Loop: Header=BB356_530 Depth=1
	s_or_b64 exec, exec, s[26:27]
.LBB356_568:                            ;   in Loop: Header=BB356_530 Depth=1
	s_or_b64 exec, exec, s[24:25]
.LBB356_569:                            ;   in Loop: Header=BB356_530 Depth=1
	s_or_b64 exec, exec, s[4:5]
	v_mul_f32_e32 v5, v7, v5
	v_and_b32_e32 v6, 0x7f800000, v5
	v_cmp_ne_u32_e32 vcc, s15, v6
                                        ; implicit-def: $vgpr27
	s_and_saveexec_b64 s[4:5], vcc
	s_xor_b64 s[4:5], exec, s[4:5]
; %bb.570:                              ;   in Loop: Header=BB356_530 Depth=1
	v_bfe_u32 v6, v5, 16, 1
	v_add3_u32 v27, v5, v6, s30
                                        ; implicit-def: $vgpr5
; %bb.571:                              ;   in Loop: Header=BB356_530 Depth=1
	s_andn2_saveexec_b64 s[4:5], s[4:5]
; %bb.572:                              ;   in Loop: Header=BB356_530 Depth=1
	v_or_b32_e32 v6, 0x10000, v5
	v_cmp_eq_u32_sdwa vcc, v5, v11 src0_sel:WORD_0 src1_sel:DWORD
	v_cndmask_b32_e32 v27, v6, v5, vcc
; %bb.573:                              ;   in Loop: Header=BB356_530 Depth=1
	s_or_b64 exec, exec, s[4:5]
	v_lshrrev_b16_e32 v6, 8, v2
	v_cmp_ne_u16_e32 vcc, 0, v6
	v_mov_b32_e32 v5, 0
	s_and_saveexec_b64 s[4:5], vcc
	s_cbranch_execz .LBB356_579
; %bb.574:                              ;   in Loop: Header=BB356_530 Depth=1
	v_cmp_ne_u16_e32 vcc, s31, v6
	v_bfrev_b32_e32 v5, 1
	s_and_saveexec_b64 s[24:25], vcc
	s_cbranch_execz .LBB356_578
; %bb.575:                              ;   in Loop: Header=BB356_530 Depth=1
	v_and_b32_e32 v10, 0x7f, v6
	v_cmp_ne_u32_e32 vcc, s34, v10
	v_mov_b32_e32 v5, 0x7f800001
	s_and_saveexec_b64 s[26:27], vcc
	s_cbranch_execz .LBB356_577
; %bb.576:                              ;   in Loop: Header=BB356_530 Depth=1
	v_and_b32_e32 v5, 7, v6
	v_ffbh_u32_e32 v28, v5
	v_min_u32_e32 v28, 32, v28
	v_subrev_u32_e32 v29, 28, v28
	v_lshlrev_b64 v[30:31], v29, v[6:7]
	v_lshrrev_b32_e32 v23, 3, v10
	v_sub_u32_e32 v6, 29, v28
	v_and_b32_e32 v28, 7, v30
	v_cmp_gt_u32_e32 vcc, 8, v10
	v_cndmask_b32_e32 v6, v23, v6, vcc
	v_cndmask_b32_e32 v5, v5, v28, vcc
	v_bfrev_b32_e32 v28, 60
	v_lshlrev_b32_e32 v10, 16, v2
	v_lshlrev_b32_e32 v5, 20, v5
	v_and_b32_e32 v10, 0x80000000, v10
	v_lshl_add_u32 v6, v6, 23, v28
	v_or3_b32 v5, v10, v6, v5
.LBB356_577:                            ;   in Loop: Header=BB356_530 Depth=1
	s_or_b64 exec, exec, s[26:27]
.LBB356_578:                            ;   in Loop: Header=BB356_530 Depth=1
	s_or_b64 exec, exec, s[24:25]
.LBB356_579:                            ;   in Loop: Header=BB356_530 Depth=1
	s_or_b64 exec, exec, s[4:5]
	v_mul_f32_e32 v5, v7, v5
	v_and_b32_e32 v6, 0x7f800000, v5
	v_cmp_ne_u32_e32 vcc, s15, v6
                                        ; implicit-def: $vgpr29
	s_and_saveexec_b64 s[4:5], vcc
	s_xor_b64 s[4:5], exec, s[4:5]
; %bb.580:                              ;   in Loop: Header=BB356_530 Depth=1
	v_bfe_u32 v6, v5, 16, 1
	v_add3_u32 v29, v5, v6, s30
                                        ; implicit-def: $vgpr5
; %bb.581:                              ;   in Loop: Header=BB356_530 Depth=1
	s_andn2_saveexec_b64 s[4:5], s[4:5]
; %bb.582:                              ;   in Loop: Header=BB356_530 Depth=1
	v_or_b32_e32 v6, 0x10000, v5
	v_cmp_eq_u32_sdwa vcc, v5, v11 src0_sel:WORD_0 src1_sel:DWORD
	v_cndmask_b32_e32 v29, v6, v5, vcc
; %bb.583:                              ;   in Loop: Header=BB356_530 Depth=1
	s_or_b64 exec, exec, s[4:5]
	v_lshrrev_b32_e32 v6, 16, v2
	v_cmp_ne_u16_sdwa s[24:25], v6, v11 src0_sel:BYTE_0 src1_sel:DWORD
	v_mov_b32_e32 v5, 0
	s_and_saveexec_b64 s[4:5], s[24:25]
	s_cbranch_execz .LBB356_589
; %bb.584:                              ;   in Loop: Header=BB356_530 Depth=1
	v_cmp_ne_u16_sdwa s[26:27], v6, s31 src0_sel:BYTE_0 src1_sel:DWORD
	v_bfrev_b32_e32 v5, 1
	s_and_saveexec_b64 s[24:25], s[26:27]
	s_cbranch_execz .LBB356_588
; %bb.585:                              ;   in Loop: Header=BB356_530 Depth=1
	v_bfe_u32 v10, v2, 16, 7
	v_cmp_ne_u32_e32 vcc, s34, v10
	v_mov_b32_e32 v5, 0x7f800001
	s_and_saveexec_b64 s[26:27], vcc
	s_cbranch_execz .LBB356_587
; %bb.586:                              ;   in Loop: Header=BB356_530 Depth=1
	v_and_b32_e32 v5, 7, v6
	v_ffbh_u32_e32 v28, v5
	v_min_u32_e32 v28, 32, v28
	v_subrev_u32_e32 v30, 28, v28
	v_lshlrev_b64 v[30:31], v30, v[6:7]
	v_lshrrev_b32_e32 v23, 3, v10
	v_sub_u32_e32 v28, 29, v28
	v_and_b32_e32 v30, 7, v30
	v_cmp_gt_u32_e32 vcc, 8, v10
	v_cndmask_b32_e32 v10, v23, v28, vcc
	v_bfrev_b32_e32 v28, 60
	v_cndmask_b32_e32 v5, v5, v30, vcc
	v_lshlrev_b32_e32 v6, 24, v6
	v_lshlrev_b32_e32 v5, 20, v5
	v_and_b32_e32 v6, 0x80000000, v6
	v_lshl_add_u32 v10, v10, 23, v28
	v_or3_b32 v5, v6, v10, v5
.LBB356_587:                            ;   in Loop: Header=BB356_530 Depth=1
	s_or_b64 exec, exec, s[26:27]
.LBB356_588:                            ;   in Loop: Header=BB356_530 Depth=1
	s_or_b64 exec, exec, s[24:25]
.LBB356_589:                            ;   in Loop: Header=BB356_530 Depth=1
	s_or_b64 exec, exec, s[4:5]
	v_mul_f32_e32 v5, v7, v5
	v_and_b32_e32 v6, 0x7f800000, v5
	v_cmp_ne_u32_e32 vcc, s15, v6
                                        ; implicit-def: $vgpr30
	s_and_saveexec_b64 s[4:5], vcc
	s_xor_b64 s[4:5], exec, s[4:5]
; %bb.590:                              ;   in Loop: Header=BB356_530 Depth=1
	v_bfe_u32 v6, v5, 16, 1
	v_add3_u32 v30, v5, v6, s30
                                        ; implicit-def: $vgpr5
; %bb.591:                              ;   in Loop: Header=BB356_530 Depth=1
	s_andn2_saveexec_b64 s[4:5], s[4:5]
; %bb.592:                              ;   in Loop: Header=BB356_530 Depth=1
	v_or_b32_e32 v6, 0x10000, v5
	v_cmp_eq_u32_sdwa vcc, v5, v11 src0_sel:WORD_0 src1_sel:DWORD
	v_cndmask_b32_e32 v30, v6, v5, vcc
; %bb.593:                              ;   in Loop: Header=BB356_530 Depth=1
	s_or_b64 exec, exec, s[4:5]
	v_cmp_lt_u32_e32 vcc, s11, v2
	v_mov_b32_e32 v5, 0
	s_and_saveexec_b64 s[4:5], vcc
	s_cbranch_execz .LBB356_599
; %bb.594:                              ;   in Loop: Header=BB356_530 Depth=1
	v_lshrrev_b32_e32 v6, 24, v2
	v_cmp_ne_u32_e32 vcc, s31, v6
	v_bfrev_b32_e32 v5, 1
	s_and_saveexec_b64 s[24:25], vcc
	s_cbranch_execz .LBB356_598
; %bb.595:                              ;   in Loop: Header=BB356_530 Depth=1
	v_bfe_u32 v10, v2, 24, 7
	v_cmp_ne_u32_e32 vcc, s34, v10
	v_mov_b32_e32 v5, 0x7f800001
	s_and_saveexec_b64 s[26:27], vcc
	s_cbranch_execz .LBB356_597
; %bb.596:                              ;   in Loop: Header=BB356_530 Depth=1
	v_and_b32_e32 v5, 7, v6
	v_ffbh_u32_e32 v28, v5
	v_min_u32_e32 v28, 32, v28
	v_subrev_u32_e32 v31, 28, v28
	v_lshlrev_b64 v[32:33], v31, v[6:7]
	v_lshrrev_b32_e32 v23, 3, v10
	v_sub_u32_e32 v28, 29, v28
	v_and_b32_e32 v31, 7, v32
	v_cmp_gt_u32_e32 vcc, 8, v10
	v_cndmask_b32_e32 v10, v23, v28, vcc
	v_bfrev_b32_e32 v28, 60
	v_cndmask_b32_e32 v5, v5, v31, vcc
	v_lshlrev_b32_e32 v6, 24, v6
	v_lshlrev_b32_e32 v5, 20, v5
	v_and_b32_e32 v6, 0x80000000, v6
	v_lshl_add_u32 v10, v10, 23, v28
	v_or3_b32 v5, v6, v10, v5
.LBB356_597:                            ;   in Loop: Header=BB356_530 Depth=1
	s_or_b64 exec, exec, s[26:27]
.LBB356_598:                            ;   in Loop: Header=BB356_530 Depth=1
	s_or_b64 exec, exec, s[24:25]
.LBB356_599:                            ;   in Loop: Header=BB356_530 Depth=1
	s_or_b64 exec, exec, s[4:5]
	v_mul_f32_e32 v5, v7, v5
	v_and_b32_e32 v6, 0x7f800000, v5
	v_cmp_ne_u32_e32 vcc, s15, v6
                                        ; implicit-def: $vgpr31
	s_and_saveexec_b64 s[4:5], vcc
	s_xor_b64 s[4:5], exec, s[4:5]
; %bb.600:                              ;   in Loop: Header=BB356_530 Depth=1
	v_bfe_u32 v6, v5, 16, 1
	v_add3_u32 v31, v5, v6, s30
                                        ; implicit-def: $vgpr5
; %bb.601:                              ;   in Loop: Header=BB356_530 Depth=1
	s_andn2_saveexec_b64 s[4:5], s[4:5]
; %bb.602:                              ;   in Loop: Header=BB356_530 Depth=1
	v_or_b32_e32 v6, 0x10000, v5
	v_cmp_eq_u32_sdwa vcc, v5, v11 src0_sel:WORD_0 src1_sel:DWORD
	v_cndmask_b32_e32 v31, v6, v5, vcc
; %bb.603:                              ;   in Loop: Header=BB356_530 Depth=1
	s_or_b64 exec, exec, s[4:5]
	v_mov_b32_e32 v10, v3
	v_cmp_ne_u16_sdwa s[24:25], v3, v11 src0_sel:BYTE_0 src1_sel:DWORD
	v_mov_b32_e32 v5, 0
	s_and_saveexec_b64 s[4:5], s[24:25]
	s_cbranch_execz .LBB356_609
; %bb.604:                              ;   in Loop: Header=BB356_530 Depth=1
	v_cmp_ne_u16_sdwa s[26:27], v3, s31 src0_sel:BYTE_0 src1_sel:DWORD
	v_bfrev_b32_e32 v5, 1
	s_and_saveexec_b64 s[24:25], s[26:27]
	s_cbranch_execz .LBB356_608
; %bb.605:                              ;   in Loop: Header=BB356_530 Depth=1
	v_and_b32_e32 v6, 0x7f, v3
	v_cmp_ne_u32_e32 vcc, s34, v6
	v_mov_b32_e32 v5, 0x7f800001
	s_and_saveexec_b64 s[26:27], vcc
	s_cbranch_execz .LBB356_607
; %bb.606:                              ;   in Loop: Header=BB356_530 Depth=1
	v_and_b32_e32 v5, 7, v3
	v_ffbh_u32_e32 v5, v5
	v_min_u32_e32 v5, 32, v5
	v_subrev_u32_e32 v28, 28, v5
	v_cmp_gt_u32_e32 vcc, 8, v6
	v_lshrrev_b32_e32 v23, 3, v6
	v_cndmask_b32_e32 v6, 0, v28, vcc
	v_sub_u32_e32 v5, 29, v5
	v_lshlrev_b64 v[32:33], v6, v[10:11]
	v_cndmask_b32_e32 v5, v23, v5, vcc
	v_bfrev_b32_e32 v28, 60
	v_lshlrev_b32_e32 v6, 20, v32
	v_lshlrev_b32_e32 v23, 24, v10
	v_and_b32_e32 v6, 0x700000, v6
	v_and_b32_e32 v23, 0x80000000, v23
	v_lshl_add_u32 v5, v5, 23, v28
	v_or3_b32 v5, v23, v5, v6
.LBB356_607:                            ;   in Loop: Header=BB356_530 Depth=1
	s_or_b64 exec, exec, s[26:27]
.LBB356_608:                            ;   in Loop: Header=BB356_530 Depth=1
	s_or_b64 exec, exec, s[24:25]
.LBB356_609:                            ;   in Loop: Header=BB356_530 Depth=1
	s_or_b64 exec, exec, s[4:5]
	v_mul_f32_e32 v5, v7, v5
	v_and_b32_e32 v6, 0x7f800000, v5
	v_cmp_ne_u32_e32 vcc, s15, v6
                                        ; implicit-def: $vgpr32
	s_and_saveexec_b64 s[4:5], vcc
	s_xor_b64 s[4:5], exec, s[4:5]
; %bb.610:                              ;   in Loop: Header=BB356_530 Depth=1
	v_bfe_u32 v6, v5, 16, 1
	v_add3_u32 v32, v5, v6, s30
                                        ; implicit-def: $vgpr5
; %bb.611:                              ;   in Loop: Header=BB356_530 Depth=1
	s_andn2_saveexec_b64 s[4:5], s[4:5]
; %bb.612:                              ;   in Loop: Header=BB356_530 Depth=1
	v_or_b32_e32 v6, 0x10000, v5
	v_cmp_eq_u32_sdwa vcc, v5, v11 src0_sel:WORD_0 src1_sel:DWORD
	v_cndmask_b32_e32 v32, v6, v5, vcc
; %bb.613:                              ;   in Loop: Header=BB356_530 Depth=1
	s_or_b64 exec, exec, s[4:5]
	v_lshrrev_b16_e32 v6, 8, v10
	v_cmp_ne_u16_e32 vcc, 0, v6
	v_mov_b32_e32 v5, 0
	s_and_saveexec_b64 s[4:5], vcc
	s_cbranch_execz .LBB356_619
; %bb.614:                              ;   in Loop: Header=BB356_530 Depth=1
	v_cmp_ne_u16_e32 vcc, s31, v6
	v_bfrev_b32_e32 v5, 1
	s_and_saveexec_b64 s[24:25], vcc
	s_cbranch_execz .LBB356_618
; %bb.615:                              ;   in Loop: Header=BB356_530 Depth=1
	v_and_b32_e32 v33, 0x7f, v6
	v_cmp_ne_u32_e32 vcc, s34, v33
	v_mov_b32_e32 v5, 0x7f800001
	s_and_saveexec_b64 s[26:27], vcc
	s_cbranch_execz .LBB356_617
; %bb.616:                              ;   in Loop: Header=BB356_530 Depth=1
	v_and_b32_e32 v5, 7, v6
	v_ffbh_u32_e32 v28, v5
	v_min_u32_e32 v28, 32, v28
	v_subrev_u32_e32 v34, 28, v28
	v_lshlrev_b64 v[36:37], v34, v[6:7]
	v_lshrrev_b32_e32 v23, 3, v33
	v_sub_u32_e32 v6, 29, v28
	v_and_b32_e32 v28, 7, v36
	v_cmp_gt_u32_e32 vcc, 8, v33
	v_cndmask_b32_e32 v6, v23, v6, vcc
	v_cndmask_b32_e32 v5, v5, v28, vcc
	v_bfrev_b32_e32 v28, 60
	v_lshlrev_b32_e32 v10, 16, v10
	v_lshlrev_b32_e32 v5, 20, v5
	v_and_b32_e32 v10, 0x80000000, v10
	v_lshl_add_u32 v6, v6, 23, v28
	v_or3_b32 v5, v10, v6, v5
.LBB356_617:                            ;   in Loop: Header=BB356_530 Depth=1
	s_or_b64 exec, exec, s[26:27]
.LBB356_618:                            ;   in Loop: Header=BB356_530 Depth=1
	s_or_b64 exec, exec, s[24:25]
.LBB356_619:                            ;   in Loop: Header=BB356_530 Depth=1
	s_or_b64 exec, exec, s[4:5]
	v_mul_f32_e32 v6, v7, v5
	v_and_b32_e32 v5, 0x7f800000, v6
	v_cmp_ne_u32_e32 vcc, s15, v5
                                        ; implicit-def: $vgpr5
	s_and_saveexec_b64 s[4:5], vcc
	s_xor_b64 s[4:5], exec, s[4:5]
; %bb.620:                              ;   in Loop: Header=BB356_530 Depth=1
	v_bfe_u32 v5, v6, 16, 1
	v_add3_u32 v5, v6, v5, s30
                                        ; implicit-def: $vgpr6
; %bb.621:                              ;   in Loop: Header=BB356_530 Depth=1
	s_andn2_saveexec_b64 s[4:5], s[4:5]
; %bb.622:                              ;   in Loop: Header=BB356_530 Depth=1
	v_or_b32_e32 v5, 0x10000, v6
	v_cmp_eq_u32_sdwa vcc, v6, v11 src0_sel:WORD_0 src1_sel:DWORD
	v_cndmask_b32_e32 v5, v5, v6, vcc
; %bb.623:                              ;   in Loop: Header=BB356_530 Depth=1
	s_or_b64 exec, exec, s[4:5]
	v_lshrrev_b32_e32 v6, 16, v3
	v_cmp_ne_u16_sdwa s[24:25], v6, v11 src0_sel:BYTE_0 src1_sel:DWORD
	v_mov_b32_e32 v10, 0
	s_and_saveexec_b64 s[4:5], s[24:25]
	s_cbranch_execz .LBB356_629
; %bb.624:                              ;   in Loop: Header=BB356_530 Depth=1
	v_cmp_ne_u16_sdwa s[26:27], v6, s31 src0_sel:BYTE_0 src1_sel:DWORD
	v_bfrev_b32_e32 v10, 1
	s_and_saveexec_b64 s[24:25], s[26:27]
	s_cbranch_execz .LBB356_628
; %bb.625:                              ;   in Loop: Header=BB356_530 Depth=1
	v_bfe_u32 v33, v3, 16, 7
	v_cmp_ne_u32_e32 vcc, s34, v33
	v_mov_b32_e32 v10, 0x7f800001
	s_and_saveexec_b64 s[26:27], vcc
	s_cbranch_execz .LBB356_627
; %bb.626:                              ;   in Loop: Header=BB356_530 Depth=1
	v_and_b32_e32 v10, 7, v6
	v_ffbh_u32_e32 v28, v10
	v_min_u32_e32 v28, 32, v28
	v_subrev_u32_e32 v34, 28, v28
	v_lshlrev_b64 v[36:37], v34, v[6:7]
	v_lshrrev_b32_e32 v23, 3, v33
	v_sub_u32_e32 v28, 29, v28
	v_and_b32_e32 v34, 7, v36
	v_cmp_gt_u32_e32 vcc, 8, v33
	v_cndmask_b32_e32 v23, v23, v28, vcc
	v_bfrev_b32_e32 v28, 60
	v_cndmask_b32_e32 v10, v10, v34, vcc
	v_lshlrev_b32_e32 v6, 24, v6
	v_lshlrev_b32_e32 v10, 20, v10
	v_and_b32_e32 v6, 0x80000000, v6
	v_lshl_add_u32 v23, v23, 23, v28
	v_or3_b32 v10, v6, v23, v10
.LBB356_627:                            ;   in Loop: Header=BB356_530 Depth=1
	s_or_b64 exec, exec, s[26:27]
.LBB356_628:                            ;   in Loop: Header=BB356_530 Depth=1
	s_or_b64 exec, exec, s[24:25]
.LBB356_629:                            ;   in Loop: Header=BB356_530 Depth=1
	s_or_b64 exec, exec, s[4:5]
	v_mul_f32_e32 v6, v7, v10
	v_and_b32_e32 v10, 0x7f800000, v6
	v_cmp_ne_u32_e32 vcc, s15, v10
                                        ; implicit-def: $vgpr33
	s_and_saveexec_b64 s[4:5], vcc
	s_xor_b64 s[4:5], exec, s[4:5]
; %bb.630:                              ;   in Loop: Header=BB356_530 Depth=1
	v_bfe_u32 v10, v6, 16, 1
	v_add3_u32 v33, v6, v10, s30
                                        ; implicit-def: $vgpr6
; %bb.631:                              ;   in Loop: Header=BB356_530 Depth=1
	s_andn2_saveexec_b64 s[4:5], s[4:5]
; %bb.632:                              ;   in Loop: Header=BB356_530 Depth=1
	v_or_b32_e32 v10, 0x10000, v6
	v_cmp_eq_u32_sdwa vcc, v6, v11 src0_sel:WORD_0 src1_sel:DWORD
	v_cndmask_b32_e32 v33, v10, v6, vcc
; %bb.633:                              ;   in Loop: Header=BB356_530 Depth=1
	s_or_b64 exec, exec, s[4:5]
	v_cmp_lt_u64_e32 vcc, s[10:11], v[2:3]
	v_mov_b32_e32 v6, 0
	s_and_saveexec_b64 s[4:5], vcc
	s_cbranch_execz .LBB356_639
; %bb.634:                              ;   in Loop: Header=BB356_530 Depth=1
	v_lshrrev_b32_e32 v2, 24, v3
	v_cmp_ne_u32_e32 vcc, s31, v2
	v_bfrev_b32_e32 v6, 1
	s_and_saveexec_b64 s[24:25], vcc
	s_cbranch_execz .LBB356_638
; %bb.635:                              ;   in Loop: Header=BB356_530 Depth=1
	v_bfe_u32 v3, v3, 24, 7
	v_cmp_ne_u32_e32 vcc, s34, v3
	v_mov_b32_e32 v6, 0x7f800001
	s_and_saveexec_b64 s[26:27], vcc
	s_cbranch_execz .LBB356_637
; %bb.636:                              ;   in Loop: Header=BB356_530 Depth=1
	v_and_b32_e32 v6, 7, v2
	v_ffbh_u32_e32 v23, v6
	v_min_u32_e32 v23, 32, v23
	v_subrev_u32_e32 v28, 28, v23
	v_lshlrev_b64 v[36:37], v28, v[2:3]
	v_lshrrev_b32_e32 v10, 3, v3
	v_sub_u32_e32 v23, 29, v23
	v_and_b32_e32 v28, 7, v36
	v_cmp_gt_u32_e32 vcc, 8, v3
	v_cndmask_b32_e32 v3, v10, v23, vcc
	v_cndmask_b32_e32 v6, v6, v28, vcc
	v_bfrev_b32_e32 v28, 60
	v_lshlrev_b32_e32 v2, 24, v2
	v_lshlrev_b32_e32 v6, 20, v6
	v_and_b32_e32 v2, 0x80000000, v2
	v_lshl_add_u32 v3, v3, 23, v28
	v_or3_b32 v6, v2, v3, v6
.LBB356_637:                            ;   in Loop: Header=BB356_530 Depth=1
	s_or_b64 exec, exec, s[26:27]
.LBB356_638:                            ;   in Loop: Header=BB356_530 Depth=1
	s_or_b64 exec, exec, s[24:25]
.LBB356_639:                            ;   in Loop: Header=BB356_530 Depth=1
	s_or_b64 exec, exec, s[4:5]
	v_mul_f32_e32 v3, v7, v6
	v_and_b32_e32 v2, 0x7f800000, v3
	v_cmp_ne_u32_e32 vcc, s15, v2
                                        ; implicit-def: $vgpr2
	s_and_saveexec_b64 s[4:5], vcc
	s_xor_b64 s[4:5], exec, s[4:5]
; %bb.640:                              ;   in Loop: Header=BB356_530 Depth=1
	v_bfe_u32 v2, v3, 16, 1
	v_add3_u32 v2, v3, v2, s30
                                        ; implicit-def: $vgpr3
; %bb.641:                              ;   in Loop: Header=BB356_530 Depth=1
	s_andn2_saveexec_b64 s[4:5], s[4:5]
; %bb.642:                              ;   in Loop: Header=BB356_530 Depth=1
	v_or_b32_e32 v2, 0x10000, v3
	v_cmp_eq_u32_sdwa vcc, v3, v11 src0_sel:WORD_0 src1_sel:DWORD
	v_cndmask_b32_e32 v2, v2, v3, vcc
; %bb.643:                              ;   in Loop: Header=BB356_530 Depth=1
	s_or_b64 exec, exec, s[4:5]
	v_accvgpr_read_b32 v6, a12
	v_accvgpr_read_b32 v3, a19
	v_cmp_eq_u32_e32 vcc, v3, v6
	v_accvgpr_read_b32 v3, a13
	v_accvgpr_read_b32 v6, a18
	v_add_u32_e32 v50, v6, v3
	v_add_u32_e32 v23, 1, v50
	v_accvgpr_write_b32 a36, v23
	v_add_u32_e32 v23, 2, v50
	v_accvgpr_write_b32 a35, v23
	;; [unrolled: 2-line block ×6, first 2 shown]
	v_add_u32_e32 v23, 7, v50
	v_lshrrev_b32_e32 v5, 16, v5
	v_lshrrev_b32_e32 v6, 16, v32
	;; [unrolled: 1-line block ×8, first 2 shown]
	v_accvgpr_write_b32 a30, v23
	s_and_saveexec_b64 s[24:25], vcc
	s_cbranch_execz .LBB356_645
; %bb.644:                              ;   in Loop: Header=BB356_530 Depth=1
	v_accvgpr_read_b32 v23, a3
	v_cmp_lt_i32_e64 s[4:5], v50, v23
	v_accvgpr_read_b32 v31, a36
	v_cndmask_b32_e64 v27, 0, v27, s[4:5]
	v_cmp_lt_i32_e64 s[4:5], v31, v23
	v_accvgpr_read_b32 v31, a35
	v_cndmask_b32_e64 v29, 0, v29, s[4:5]
	;; [unrolled: 3-line block ×7, first 2 shown]
	v_cmp_lt_i32_e64 s[4:5], v31, v23
	v_cndmask_b32_e64 v2, 0, v2, s[4:5]
.LBB356_645:                            ;   in Loop: Header=BB356_530 Depth=1
	s_or_b64 exec, exec, s[24:25]
	v_and_b32_e32 v44, 0xffff0000, v26
	v_lshlrev_b32_e32 v23, 16, v27
	v_mul_f32_e32 v26, v44, v23
	v_and_b32_e32 v23, 0x7f800000, v26
	v_cmp_ne_u32_e64 s[4:5], s15, v23
                                        ; implicit-def: $agpr15
	s_and_saveexec_b64 s[24:25], s[4:5]
	s_xor_b64 s[4:5], exec, s[24:25]
; %bb.646:                              ;   in Loop: Header=BB356_530 Depth=1
	v_bfe_u32 v23, v26, 16, 1
	v_add3_u32 v23, v26, v23, s30
	v_accvgpr_write_b32 a15, v23
                                        ; implicit-def: $vgpr26
; %bb.647:                              ;   in Loop: Header=BB356_530 Depth=1
	s_andn2_saveexec_b64 s[24:25], s[4:5]
; %bb.648:                              ;   in Loop: Header=BB356_530 Depth=1
	v_or_b32_e32 v23, 0x10000, v26
	v_cmp_eq_u32_sdwa s[4:5], v26, v11 src0_sel:WORD_0 src1_sel:DWORD
	v_cndmask_b32_e64 v23, v23, v26, s[4:5]
	v_accvgpr_write_b32 a15, v23
; %bb.649:                              ;   in Loop: Header=BB356_530 Depth=1
	s_or_b64 exec, exec, s[24:25]
	v_and_b32_e32 v46, 0xffff0000, v25
	v_lshlrev_b32_e32 v23, 16, v29
	v_mul_f32_e32 v25, v46, v23
	v_and_b32_e32 v23, 0x7f800000, v25
	v_cmp_ne_u32_e64 s[4:5], s15, v23
                                        ; implicit-def: $agpr21
	s_and_saveexec_b64 s[24:25], s[4:5]
	s_xor_b64 s[4:5], exec, s[24:25]
; %bb.650:                              ;   in Loop: Header=BB356_530 Depth=1
	v_bfe_u32 v23, v25, 16, 1
	v_add3_u32 v23, v25, v23, s30
	v_accvgpr_write_b32 a21, v23
                                        ; implicit-def: $vgpr25
; %bb.651:                              ;   in Loop: Header=BB356_530 Depth=1
	s_andn2_saveexec_b64 s[24:25], s[4:5]
; %bb.652:                              ;   in Loop: Header=BB356_530 Depth=1
	v_or_b32_e32 v23, 0x10000, v25
	v_cmp_eq_u32_sdwa s[4:5], v25, v11 src0_sel:WORD_0 src1_sel:DWORD
	v_cndmask_b32_e64 v23, v23, v25, s[4:5]
	v_accvgpr_write_b32 a21, v23
; %bb.653:                              ;   in Loop: Header=BB356_530 Depth=1
	s_or_b64 exec, exec, s[24:25]
	v_and_b32_e32 v47, 0xffff0000, v24
	v_lshlrev_b32_e32 v23, 16, v30
	v_mul_f32_e32 v24, v47, v23
	v_and_b32_e32 v23, 0x7f800000, v24
	v_cmp_ne_u32_e64 s[4:5], s15, v23
                                        ; implicit-def: $agpr24
	s_and_saveexec_b64 s[24:25], s[4:5]
	s_xor_b64 s[4:5], exec, s[24:25]
; %bb.654:                              ;   in Loop: Header=BB356_530 Depth=1
	v_bfe_u32 v23, v24, 16, 1
	v_add3_u32 v23, v24, v23, s30
	v_accvgpr_write_b32 a24, v23
                                        ; implicit-def: $vgpr24
; %bb.655:                              ;   in Loop: Header=BB356_530 Depth=1
	s_andn2_saveexec_b64 s[24:25], s[4:5]
; %bb.656:                              ;   in Loop: Header=BB356_530 Depth=1
	v_or_b32_e32 v23, 0x10000, v24
	v_cmp_eq_u32_sdwa s[4:5], v24, v11 src0_sel:WORD_0 src1_sel:DWORD
	v_cndmask_b32_e64 v23, v23, v24, s[4:5]
	v_accvgpr_write_b32 a24, v23
; %bb.657:                              ;   in Loop: Header=BB356_530 Depth=1
	s_or_b64 exec, exec, s[24:25]
	v_and_b32_e32 v56, 0xffff0000, v22
	v_lshlrev_b32_e32 v10, 16, v10
	v_mul_f32_e32 v10, v56, v10
	v_and_b32_e32 v22, 0x7f800000, v10
	v_cmp_ne_u32_e64 s[4:5], s15, v22
                                        ; implicit-def: $agpr25
	s_and_saveexec_b64 s[24:25], s[4:5]
	s_xor_b64 s[4:5], exec, s[24:25]
; %bb.658:                              ;   in Loop: Header=BB356_530 Depth=1
	v_bfe_u32 v22, v10, 16, 1
	v_add3_u32 v10, v10, v22, s30
	v_accvgpr_write_b32 a25, v10
                                        ; implicit-def: $vgpr10
; %bb.659:                              ;   in Loop: Header=BB356_530 Depth=1
	s_andn2_saveexec_b64 s[24:25], s[4:5]
; %bb.660:                              ;   in Loop: Header=BB356_530 Depth=1
	v_or_b32_e32 v22, 0x10000, v10
	v_cmp_eq_u32_sdwa s[4:5], v10, v11 src0_sel:WORD_0 src1_sel:DWORD
	v_cndmask_b32_e64 v10, v22, v10, s[4:5]
	v_accvgpr_write_b32 a25, v10
; %bb.661:                              ;   in Loop: Header=BB356_530 Depth=1
	s_or_b64 exec, exec, s[24:25]
	v_and_b32_e32 v57, 0xffff0000, v21
	v_lshlrev_b32_e32 v6, 16, v6
	v_mul_f32_e32 v6, v57, v6
	v_and_b32_e32 v10, 0x7f800000, v6
	v_cmp_ne_u32_e64 s[4:5], s15, v10
                                        ; implicit-def: $agpr26
	s_and_saveexec_b64 s[24:25], s[4:5]
	s_xor_b64 s[4:5], exec, s[24:25]
; %bb.662:                              ;   in Loop: Header=BB356_530 Depth=1
	v_bfe_u32 v10, v6, 16, 1
	v_add3_u32 v6, v6, v10, s30
	v_accvgpr_write_b32 a26, v6
                                        ; implicit-def: $vgpr6
; %bb.663:                              ;   in Loop: Header=BB356_530 Depth=1
	s_andn2_saveexec_b64 s[24:25], s[4:5]
; %bb.664:                              ;   in Loop: Header=BB356_530 Depth=1
	v_or_b32_e32 v10, 0x10000, v6
	v_cmp_eq_u32_sdwa s[4:5], v6, v11 src0_sel:WORD_0 src1_sel:DWORD
	v_cndmask_b32_e64 v6, v10, v6, s[4:5]
	v_accvgpr_write_b32 a26, v6
; %bb.665:                              ;   in Loop: Header=BB356_530 Depth=1
	s_or_b64 exec, exec, s[24:25]
	v_and_b32_e32 v58, 0xffff0000, v20
	v_lshlrev_b32_e32 v5, 16, v5
	v_mul_f32_e32 v5, v58, v5
	v_and_b32_e32 v6, 0x7f800000, v5
	v_cmp_ne_u32_e64 s[4:5], s15, v6
                                        ; implicit-def: $agpr27
	s_and_saveexec_b64 s[24:25], s[4:5]
	s_xor_b64 s[4:5], exec, s[24:25]
; %bb.666:                              ;   in Loop: Header=BB356_530 Depth=1
	v_bfe_u32 v6, v5, 16, 1
	v_add3_u32 v5, v5, v6, s30
	v_accvgpr_write_b32 a27, v5
                                        ; implicit-def: $vgpr5
; %bb.667:                              ;   in Loop: Header=BB356_530 Depth=1
	s_andn2_saveexec_b64 s[24:25], s[4:5]
; %bb.668:                              ;   in Loop: Header=BB356_530 Depth=1
	v_or_b32_e32 v6, 0x10000, v5
	v_cmp_eq_u32_sdwa s[4:5], v5, v11 src0_sel:WORD_0 src1_sel:DWORD
	v_cndmask_b32_e64 v5, v6, v5, s[4:5]
	v_accvgpr_write_b32 a27, v5
; %bb.669:                              ;   in Loop: Header=BB356_530 Depth=1
	s_or_b64 exec, exec, s[24:25]
	v_and_b32_e32 v60, 0xffff0000, v9
	v_lshlrev_b32_e32 v3, 16, v3
	v_mul_f32_e32 v3, v60, v3
	v_and_b32_e32 v5, 0x7f800000, v3
	v_cmp_ne_u32_e64 s[4:5], s15, v5
                                        ; implicit-def: $agpr28
	s_and_saveexec_b64 s[24:25], s[4:5]
	s_xor_b64 s[4:5], exec, s[24:25]
; %bb.670:                              ;   in Loop: Header=BB356_530 Depth=1
	v_bfe_u32 v5, v3, 16, 1
	v_add3_u32 v3, v3, v5, s30
	v_accvgpr_write_b32 a28, v3
                                        ; implicit-def: $vgpr3
; %bb.671:                              ;   in Loop: Header=BB356_530 Depth=1
	s_andn2_saveexec_b64 s[24:25], s[4:5]
; %bb.672:                              ;   in Loop: Header=BB356_530 Depth=1
	v_or_b32_e32 v5, 0x10000, v3
	v_cmp_eq_u32_sdwa s[4:5], v3, v11 src0_sel:WORD_0 src1_sel:DWORD
	v_cndmask_b32_e64 v3, v5, v3, s[4:5]
	v_accvgpr_write_b32 a28, v3
; %bb.673:                              ;   in Loop: Header=BB356_530 Depth=1
	s_or_b64 exec, exec, s[24:25]
	v_and_b32_e32 v33, 0xffff0000, v8
	v_lshlrev_b32_e32 v2, 16, v2
	v_mul_f32_e32 v2, v33, v2
	v_and_b32_e32 v3, 0x7f800000, v2
	v_cmp_ne_u32_e64 s[4:5], s15, v3
                                        ; implicit-def: $agpr29
	s_and_saveexec_b64 s[24:25], s[4:5]
	s_xor_b64 s[4:5], exec, s[24:25]
; %bb.674:                              ;   in Loop: Header=BB356_530 Depth=1
	v_bfe_u32 v3, v2, 16, 1
	v_add3_u32 v2, v2, v3, s30
	v_accvgpr_write_b32 a29, v2
                                        ; implicit-def: $vgpr2
; %bb.675:                              ;   in Loop: Header=BB356_530 Depth=1
	s_andn2_saveexec_b64 s[24:25], s[4:5]
; %bb.676:                              ;   in Loop: Header=BB356_530 Depth=1
	v_or_b32_e32 v3, 0x10000, v2
	v_cmp_eq_u32_sdwa s[4:5], v2, v11 src0_sel:WORD_0 src1_sel:DWORD
	v_cndmask_b32_e64 v2, v3, v2, s[4:5]
	v_accvgpr_write_b32 a29, v2
; %bb.677:                              ;   in Loop: Header=BB356_530 Depth=1
	s_or_b64 exec, exec, s[24:25]
	flat_load_dwordx2 v[2:3], v[0:1] offset:512
	v_mov_b32_e32 v5, 0
	s_waitcnt vmcnt(0) lgkmcnt(0)
	v_cmp_ne_u16_sdwa s[4:5], v2, v11 src0_sel:BYTE_0 src1_sel:DWORD
	s_and_saveexec_b64 s[24:25], s[4:5]
	s_cbranch_execz .LBB356_683
; %bb.678:                              ;   in Loop: Header=BB356_530 Depth=1
	v_cmp_ne_u16_sdwa s[4:5], v2, s31 src0_sel:BYTE_0 src1_sel:DWORD
	v_bfrev_b32_e32 v5, 1
	s_and_saveexec_b64 s[26:27], s[4:5]
	s_cbranch_execz .LBB356_682
; %bb.679:                              ;   in Loop: Header=BB356_530 Depth=1
	v_and_b32_e32 v6, 0x7f, v2
	v_cmp_ne_u32_e64 s[4:5], s34, v6
	v_mov_b32_e32 v5, 0x7f800001
	s_and_saveexec_b64 s[28:29], s[4:5]
	s_cbranch_execz .LBB356_681
; %bb.680:                              ;   in Loop: Header=BB356_530 Depth=1
	v_and_b32_e32 v5, 7, v2
	v_ffbh_u32_e32 v5, v5
	v_min_u32_e32 v5, 32, v5
	v_subrev_u32_e32 v9, 28, v5
	v_cmp_gt_u32_e64 s[4:5], 8, v6
	v_lshrrev_b32_e32 v8, 3, v6
	v_sub_u32_e32 v5, 29, v5
	v_cndmask_b32_e64 v6, 0, v9, s[4:5]
	v_cndmask_b32_e64 v5, v8, v5, s[4:5]
	v_lshlrev_b64 v[8:9], v6, v[2:3]
	v_lshlrev_b32_e32 v6, 20, v8
	v_lshlrev_b32_e32 v8, 24, v2
	v_and_b32_e32 v6, 0x700000, v6
	v_and_b32_e32 v8, 0x80000000, v8
	v_lshl_add_u32 v5, v5, 23, v28
	v_or3_b32 v5, v8, v5, v6
.LBB356_681:                            ;   in Loop: Header=BB356_530 Depth=1
	s_or_b64 exec, exec, s[28:29]
.LBB356_682:                            ;   in Loop: Header=BB356_530 Depth=1
	s_or_b64 exec, exec, s[26:27]
.LBB356_683:                            ;   in Loop: Header=BB356_530 Depth=1
	s_or_b64 exec, exec, s[24:25]
	v_mul_f32_e32 v5, v7, v5
	v_and_b32_e32 v6, 0x7f800000, v5
	v_cmp_ne_u32_e64 s[4:5], s15, v6
                                        ; implicit-def: $vgpr8
	s_and_saveexec_b64 s[24:25], s[4:5]
	s_xor_b64 s[4:5], exec, s[24:25]
; %bb.684:                              ;   in Loop: Header=BB356_530 Depth=1
	v_bfe_u32 v6, v5, 16, 1
	v_add3_u32 v8, v5, v6, s30
                                        ; implicit-def: $vgpr5
; %bb.685:                              ;   in Loop: Header=BB356_530 Depth=1
	s_andn2_saveexec_b64 s[24:25], s[4:5]
; %bb.686:                              ;   in Loop: Header=BB356_530 Depth=1
	v_or_b32_e32 v6, 0x10000, v5
	v_cmp_eq_u32_sdwa s[4:5], v5, v11 src0_sel:WORD_0 src1_sel:DWORD
	v_cndmask_b32_e64 v8, v6, v5, s[4:5]
; %bb.687:                              ;   in Loop: Header=BB356_530 Depth=1
	s_or_b64 exec, exec, s[24:25]
	v_lshrrev_b16_e32 v6, 8, v2
	v_cmp_ne_u16_e64 s[4:5], 0, v6
	v_mov_b32_e32 v5, 0
	s_and_saveexec_b64 s[24:25], s[4:5]
	s_cbranch_execz .LBB356_693
; %bb.688:                              ;   in Loop: Header=BB356_530 Depth=1
	v_cmp_ne_u16_e64 s[4:5], s31, v6
	v_bfrev_b32_e32 v5, 1
	s_and_saveexec_b64 s[26:27], s[4:5]
	s_cbranch_execz .LBB356_692
; %bb.689:                              ;   in Loop: Header=BB356_530 Depth=1
	v_and_b32_e32 v9, 0x7f, v6
	v_cmp_ne_u32_e64 s[4:5], s34, v9
	v_mov_b32_e32 v5, 0x7f800001
	s_and_saveexec_b64 s[28:29], s[4:5]
	s_cbranch_execz .LBB356_691
; %bb.690:                              ;   in Loop: Header=BB356_530 Depth=1
	v_and_b32_e32 v5, 7, v6
	v_ffbh_u32_e32 v20, v5
	v_min_u32_e32 v22, 32, v20
	v_subrev_u32_e32 v20, 28, v22
	v_lshlrev_b64 v[20:21], v20, v[6:7]
	v_lshrrev_b32_e32 v10, 3, v9
	v_sub_u32_e32 v6, 29, v22
	v_and_b32_e32 v20, 7, v20
	v_cmp_gt_u32_e64 s[4:5], 8, v9
	v_cndmask_b32_e64 v6, v10, v6, s[4:5]
	v_cndmask_b32_e64 v5, v5, v20, s[4:5]
	v_lshlrev_b32_e32 v9, 16, v2
	v_lshlrev_b32_e32 v5, 20, v5
	v_and_b32_e32 v9, 0x80000000, v9
	v_lshl_add_u32 v6, v6, 23, v28
	v_or3_b32 v5, v9, v6, v5
.LBB356_691:                            ;   in Loop: Header=BB356_530 Depth=1
	s_or_b64 exec, exec, s[28:29]
.LBB356_692:                            ;   in Loop: Header=BB356_530 Depth=1
	s_or_b64 exec, exec, s[26:27]
.LBB356_693:                            ;   in Loop: Header=BB356_530 Depth=1
	s_or_b64 exec, exec, s[24:25]
	v_mul_f32_e32 v5, v7, v5
	v_and_b32_e32 v6, 0x7f800000, v5
	v_cmp_ne_u32_e64 s[4:5], s15, v6
                                        ; implicit-def: $vgpr9
	s_and_saveexec_b64 s[24:25], s[4:5]
	s_xor_b64 s[4:5], exec, s[24:25]
; %bb.694:                              ;   in Loop: Header=BB356_530 Depth=1
	v_bfe_u32 v6, v5, 16, 1
	v_add3_u32 v9, v5, v6, s30
                                        ; implicit-def: $vgpr5
; %bb.695:                              ;   in Loop: Header=BB356_530 Depth=1
	s_andn2_saveexec_b64 s[24:25], s[4:5]
; %bb.696:                              ;   in Loop: Header=BB356_530 Depth=1
	v_or_b32_e32 v6, 0x10000, v5
	v_cmp_eq_u32_sdwa s[4:5], v5, v11 src0_sel:WORD_0 src1_sel:DWORD
	v_cndmask_b32_e64 v9, v6, v5, s[4:5]
; %bb.697:                              ;   in Loop: Header=BB356_530 Depth=1
	s_or_b64 exec, exec, s[24:25]
	v_lshrrev_b32_e32 v6, 16, v2
	v_cmp_ne_u16_sdwa s[4:5], v6, v11 src0_sel:BYTE_0 src1_sel:DWORD
	v_mov_b32_e32 v5, 0
	s_and_saveexec_b64 s[24:25], s[4:5]
	s_cbranch_execz .LBB356_703
; %bb.698:                              ;   in Loop: Header=BB356_530 Depth=1
	v_cmp_ne_u16_sdwa s[4:5], v6, s31 src0_sel:BYTE_0 src1_sel:DWORD
	v_bfrev_b32_e32 v5, 1
	s_and_saveexec_b64 s[26:27], s[4:5]
	s_cbranch_execz .LBB356_702
; %bb.699:                              ;   in Loop: Header=BB356_530 Depth=1
	v_bfe_u32 v10, v2, 16, 7
	v_cmp_ne_u32_e64 s[4:5], s34, v10
	v_mov_b32_e32 v5, 0x7f800001
	s_and_saveexec_b64 s[28:29], s[4:5]
	s_cbranch_execz .LBB356_701
; %bb.700:                              ;   in Loop: Header=BB356_530 Depth=1
	v_and_b32_e32 v5, 7, v6
	v_ffbh_u32_e32 v20, v5
	v_min_u32_e32 v23, 32, v20
	v_subrev_u32_e32 v20, 28, v23
	v_lshlrev_b64 v[20:21], v20, v[6:7]
	v_lshrrev_b32_e32 v22, 3, v10
	v_sub_u32_e32 v21, 29, v23
	v_and_b32_e32 v20, 7, v20
	v_cmp_gt_u32_e64 s[4:5], 8, v10
	v_cndmask_b32_e64 v10, v22, v21, s[4:5]
	v_cndmask_b32_e64 v5, v5, v20, s[4:5]
	v_lshlrev_b32_e32 v6, 24, v6
	v_lshlrev_b32_e32 v5, 20, v5
	v_and_b32_e32 v6, 0x80000000, v6
	v_lshl_add_u32 v10, v10, 23, v28
	v_or3_b32 v5, v6, v10, v5
.LBB356_701:                            ;   in Loop: Header=BB356_530 Depth=1
	s_or_b64 exec, exec, s[28:29]
.LBB356_702:                            ;   in Loop: Header=BB356_530 Depth=1
	s_or_b64 exec, exec, s[26:27]
.LBB356_703:                            ;   in Loop: Header=BB356_530 Depth=1
	s_or_b64 exec, exec, s[24:25]
	v_mul_f32_e32 v5, v7, v5
	v_and_b32_e32 v6, 0x7f800000, v5
	v_cmp_ne_u32_e64 s[4:5], s15, v6
                                        ; implicit-def: $vgpr20
	s_and_saveexec_b64 s[24:25], s[4:5]
	s_xor_b64 s[4:5], exec, s[24:25]
; %bb.704:                              ;   in Loop: Header=BB356_530 Depth=1
	v_bfe_u32 v6, v5, 16, 1
	v_add3_u32 v20, v5, v6, s30
                                        ; implicit-def: $vgpr5
; %bb.705:                              ;   in Loop: Header=BB356_530 Depth=1
	s_andn2_saveexec_b64 s[24:25], s[4:5]
; %bb.706:                              ;   in Loop: Header=BB356_530 Depth=1
	v_or_b32_e32 v6, 0x10000, v5
	v_cmp_eq_u32_sdwa s[4:5], v5, v11 src0_sel:WORD_0 src1_sel:DWORD
	v_cndmask_b32_e64 v20, v6, v5, s[4:5]
; %bb.707:                              ;   in Loop: Header=BB356_530 Depth=1
	s_or_b64 exec, exec, s[24:25]
	v_cmp_lt_u32_e64 s[4:5], s11, v2
	v_mov_b32_e32 v5, 0
	s_and_saveexec_b64 s[24:25], s[4:5]
	s_cbranch_execz .LBB356_713
; %bb.708:                              ;   in Loop: Header=BB356_530 Depth=1
	v_lshrrev_b32_e32 v6, 24, v2
	v_cmp_ne_u32_e64 s[4:5], s31, v6
	v_bfrev_b32_e32 v5, 1
	s_and_saveexec_b64 s[26:27], s[4:5]
	s_cbranch_execz .LBB356_712
; %bb.709:                              ;   in Loop: Header=BB356_530 Depth=1
	v_bfe_u32 v10, v2, 24, 7
	v_cmp_ne_u32_e64 s[4:5], s34, v10
	v_mov_b32_e32 v5, 0x7f800001
	s_and_saveexec_b64 s[28:29], s[4:5]
	s_cbranch_execz .LBB356_711
; %bb.710:                              ;   in Loop: Header=BB356_530 Depth=1
	v_and_b32_e32 v5, 7, v6
	v_ffbh_u32_e32 v22, v5
	v_min_u32_e32 v22, 32, v22
	v_subrev_u32_e32 v23, 28, v22
	v_lshlrev_b64 v[24:25], v23, v[6:7]
	v_lshrrev_b32_e32 v21, 3, v10
	v_sub_u32_e32 v22, 29, v22
	v_and_b32_e32 v23, 7, v24
	v_cmp_gt_u32_e64 s[4:5], 8, v10
	v_cndmask_b32_e64 v10, v21, v22, s[4:5]
	v_cndmask_b32_e64 v5, v5, v23, s[4:5]
	v_lshlrev_b32_e32 v6, 24, v6
	v_lshlrev_b32_e32 v5, 20, v5
	v_and_b32_e32 v6, 0x80000000, v6
	v_lshl_add_u32 v10, v10, 23, v28
	v_or3_b32 v5, v6, v10, v5
.LBB356_711:                            ;   in Loop: Header=BB356_530 Depth=1
	s_or_b64 exec, exec, s[28:29]
.LBB356_712:                            ;   in Loop: Header=BB356_530 Depth=1
	s_or_b64 exec, exec, s[26:27]
.LBB356_713:                            ;   in Loop: Header=BB356_530 Depth=1
	s_or_b64 exec, exec, s[24:25]
	v_mul_f32_e32 v5, v7, v5
	v_and_b32_e32 v6, 0x7f800000, v5
	v_cmp_ne_u32_e64 s[4:5], s15, v6
                                        ; implicit-def: $vgpr21
	s_and_saveexec_b64 s[24:25], s[4:5]
	s_xor_b64 s[4:5], exec, s[24:25]
; %bb.714:                              ;   in Loop: Header=BB356_530 Depth=1
	v_bfe_u32 v6, v5, 16, 1
	v_add3_u32 v21, v5, v6, s30
                                        ; implicit-def: $vgpr5
; %bb.715:                              ;   in Loop: Header=BB356_530 Depth=1
	s_andn2_saveexec_b64 s[24:25], s[4:5]
; %bb.716:                              ;   in Loop: Header=BB356_530 Depth=1
	v_or_b32_e32 v6, 0x10000, v5
	v_cmp_eq_u32_sdwa s[4:5], v5, v11 src0_sel:WORD_0 src1_sel:DWORD
	v_cndmask_b32_e64 v21, v6, v5, s[4:5]
; %bb.717:                              ;   in Loop: Header=BB356_530 Depth=1
	s_or_b64 exec, exec, s[24:25]
	v_mov_b32_e32 v10, v3
	v_cmp_ne_u16_sdwa s[4:5], v3, v11 src0_sel:BYTE_0 src1_sel:DWORD
	v_mov_b32_e32 v5, 0
	s_and_saveexec_b64 s[24:25], s[4:5]
	s_cbranch_execz .LBB356_723
; %bb.718:                              ;   in Loop: Header=BB356_530 Depth=1
	v_cmp_ne_u16_sdwa s[4:5], v3, s31 src0_sel:BYTE_0 src1_sel:DWORD
	v_bfrev_b32_e32 v5, 1
	s_and_saveexec_b64 s[26:27], s[4:5]
	s_cbranch_execz .LBB356_722
; %bb.719:                              ;   in Loop: Header=BB356_530 Depth=1
	v_and_b32_e32 v6, 0x7f, v3
	v_cmp_ne_u32_e64 s[4:5], s34, v6
	v_mov_b32_e32 v5, 0x7f800001
	s_and_saveexec_b64 s[28:29], s[4:5]
	s_cbranch_execz .LBB356_721
; %bb.720:                              ;   in Loop: Header=BB356_530 Depth=1
	v_and_b32_e32 v5, 7, v3
	v_ffbh_u32_e32 v5, v5
	v_min_u32_e32 v5, 32, v5
	v_subrev_u32_e32 v23, 28, v5
	v_cmp_gt_u32_e64 s[4:5], 8, v6
	v_lshrrev_b32_e32 v22, 3, v6
	v_cndmask_b32_e64 v6, 0, v23, s[4:5]
	v_sub_u32_e32 v5, 29, v5
	v_lshlrev_b64 v[24:25], v6, v[10:11]
	v_cndmask_b32_e64 v5, v22, v5, s[4:5]
	v_lshlrev_b32_e32 v6, 20, v24
	v_lshlrev_b32_e32 v22, 24, v10
	v_and_b32_e32 v6, 0x700000, v6
	v_and_b32_e32 v22, 0x80000000, v22
	v_lshl_add_u32 v5, v5, 23, v28
	v_or3_b32 v5, v22, v5, v6
.LBB356_721:                            ;   in Loop: Header=BB356_530 Depth=1
	s_or_b64 exec, exec, s[28:29]
.LBB356_722:                            ;   in Loop: Header=BB356_530 Depth=1
	s_or_b64 exec, exec, s[26:27]
.LBB356_723:                            ;   in Loop: Header=BB356_530 Depth=1
	s_or_b64 exec, exec, s[24:25]
	v_mul_f32_e32 v5, v7, v5
	v_and_b32_e32 v6, 0x7f800000, v5
	v_cmp_ne_u32_e64 s[4:5], s15, v6
                                        ; implicit-def: $vgpr22
	s_and_saveexec_b64 s[24:25], s[4:5]
	s_xor_b64 s[4:5], exec, s[24:25]
; %bb.724:                              ;   in Loop: Header=BB356_530 Depth=1
	v_bfe_u32 v6, v5, 16, 1
	v_add3_u32 v22, v5, v6, s30
                                        ; implicit-def: $vgpr5
; %bb.725:                              ;   in Loop: Header=BB356_530 Depth=1
	s_andn2_saveexec_b64 s[24:25], s[4:5]
; %bb.726:                              ;   in Loop: Header=BB356_530 Depth=1
	v_or_b32_e32 v6, 0x10000, v5
	v_cmp_eq_u32_sdwa s[4:5], v5, v11 src0_sel:WORD_0 src1_sel:DWORD
	v_cndmask_b32_e64 v22, v6, v5, s[4:5]
; %bb.727:                              ;   in Loop: Header=BB356_530 Depth=1
	s_or_b64 exec, exec, s[24:25]
	v_lshrrev_b16_e32 v6, 8, v10
	v_cmp_ne_u16_e64 s[4:5], 0, v6
	v_mov_b32_e32 v5, 0
	s_and_saveexec_b64 s[24:25], s[4:5]
	s_cbranch_execz .LBB356_733
; %bb.728:                              ;   in Loop: Header=BB356_530 Depth=1
	v_cmp_ne_u16_e64 s[4:5], s31, v6
	v_bfrev_b32_e32 v5, 1
	s_and_saveexec_b64 s[26:27], s[4:5]
	s_cbranch_execz .LBB356_732
; %bb.729:                              ;   in Loop: Header=BB356_530 Depth=1
	v_and_b32_e32 v24, 0x7f, v6
	v_cmp_ne_u32_e64 s[4:5], s34, v24
	v_mov_b32_e32 v5, 0x7f800001
	s_and_saveexec_b64 s[28:29], s[4:5]
	s_cbranch_execz .LBB356_731
; %bb.730:                              ;   in Loop: Header=BB356_530 Depth=1
	v_and_b32_e32 v5, 7, v6
	v_ffbh_u32_e32 v25, v5
	v_min_u32_e32 v25, 32, v25
	v_subrev_u32_e32 v26, 28, v25
	v_lshlrev_b64 v[26:27], v26, v[6:7]
	v_lshrrev_b32_e32 v23, 3, v24
	v_sub_u32_e32 v6, 29, v25
	v_and_b32_e32 v25, 7, v26
	v_cmp_gt_u32_e64 s[4:5], 8, v24
	v_cndmask_b32_e64 v6, v23, v6, s[4:5]
	v_cndmask_b32_e64 v5, v5, v25, s[4:5]
	v_lshlrev_b32_e32 v10, 16, v10
	v_lshlrev_b32_e32 v5, 20, v5
	v_and_b32_e32 v10, 0x80000000, v10
	v_lshl_add_u32 v6, v6, 23, v28
	v_or3_b32 v5, v10, v6, v5
.LBB356_731:                            ;   in Loop: Header=BB356_530 Depth=1
	s_or_b64 exec, exec, s[28:29]
.LBB356_732:                            ;   in Loop: Header=BB356_530 Depth=1
	s_or_b64 exec, exec, s[26:27]
.LBB356_733:                            ;   in Loop: Header=BB356_530 Depth=1
	s_or_b64 exec, exec, s[24:25]
	v_mul_f32_e32 v6, v7, v5
	v_and_b32_e32 v5, 0x7f800000, v6
	v_cmp_ne_u32_e64 s[4:5], s15, v5
                                        ; implicit-def: $vgpr5
	s_and_saveexec_b64 s[24:25], s[4:5]
	s_xor_b64 s[4:5], exec, s[24:25]
; %bb.734:                              ;   in Loop: Header=BB356_530 Depth=1
	v_bfe_u32 v5, v6, 16, 1
	v_add3_u32 v5, v6, v5, s30
                                        ; implicit-def: $vgpr6
; %bb.735:                              ;   in Loop: Header=BB356_530 Depth=1
	s_andn2_saveexec_b64 s[24:25], s[4:5]
; %bb.736:                              ;   in Loop: Header=BB356_530 Depth=1
	v_or_b32_e32 v5, 0x10000, v6
	v_cmp_eq_u32_sdwa s[4:5], v6, v11 src0_sel:WORD_0 src1_sel:DWORD
	v_cndmask_b32_e64 v5, v5, v6, s[4:5]
; %bb.737:                              ;   in Loop: Header=BB356_530 Depth=1
	s_or_b64 exec, exec, s[24:25]
	v_lshrrev_b32_e32 v6, 16, v3
	v_cmp_ne_u16_sdwa s[4:5], v6, v11 src0_sel:BYTE_0 src1_sel:DWORD
	v_mov_b32_e32 v10, 0
	s_and_saveexec_b64 s[24:25], s[4:5]
	s_cbranch_execz .LBB356_743
; %bb.738:                              ;   in Loop: Header=BB356_530 Depth=1
	v_cmp_ne_u16_sdwa s[4:5], v6, s31 src0_sel:BYTE_0 src1_sel:DWORD
	v_bfrev_b32_e32 v10, 1
	s_and_saveexec_b64 s[26:27], s[4:5]
	s_cbranch_execz .LBB356_742
; %bb.739:                              ;   in Loop: Header=BB356_530 Depth=1
	v_bfe_u32 v24, v3, 16, 7
	v_cmp_ne_u32_e64 s[4:5], s34, v24
	v_mov_b32_e32 v10, 0x7f800001
	s_and_saveexec_b64 s[28:29], s[4:5]
	s_cbranch_execz .LBB356_741
; %bb.740:                              ;   in Loop: Header=BB356_530 Depth=1
	v_and_b32_e32 v10, 7, v6
	v_ffbh_u32_e32 v25, v10
	v_min_u32_e32 v25, 32, v25
	v_subrev_u32_e32 v26, 28, v25
	v_lshlrev_b64 v[26:27], v26, v[6:7]
	v_lshrrev_b32_e32 v23, 3, v24
	v_sub_u32_e32 v25, 29, v25
	v_and_b32_e32 v26, 7, v26
	v_cmp_gt_u32_e64 s[4:5], 8, v24
	v_cndmask_b32_e64 v23, v23, v25, s[4:5]
	v_cndmask_b32_e64 v10, v10, v26, s[4:5]
	v_lshlrev_b32_e32 v6, 24, v6
	v_lshlrev_b32_e32 v10, 20, v10
	v_and_b32_e32 v6, 0x80000000, v6
	v_lshl_add_u32 v23, v23, 23, v28
	v_or3_b32 v10, v6, v23, v10
.LBB356_741:                            ;   in Loop: Header=BB356_530 Depth=1
	s_or_b64 exec, exec, s[28:29]
.LBB356_742:                            ;   in Loop: Header=BB356_530 Depth=1
	s_or_b64 exec, exec, s[26:27]
.LBB356_743:                            ;   in Loop: Header=BB356_530 Depth=1
	s_or_b64 exec, exec, s[24:25]
	v_mul_f32_e32 v6, v7, v10
	v_and_b32_e32 v10, 0x7f800000, v6
	v_cmp_ne_u32_e64 s[4:5], s15, v10
                                        ; implicit-def: $vgpr24
	s_and_saveexec_b64 s[24:25], s[4:5]
	s_xor_b64 s[4:5], exec, s[24:25]
; %bb.744:                              ;   in Loop: Header=BB356_530 Depth=1
	v_bfe_u32 v10, v6, 16, 1
	v_add3_u32 v24, v6, v10, s30
                                        ; implicit-def: $vgpr6
; %bb.745:                              ;   in Loop: Header=BB356_530 Depth=1
	s_andn2_saveexec_b64 s[24:25], s[4:5]
; %bb.746:                              ;   in Loop: Header=BB356_530 Depth=1
	v_or_b32_e32 v10, 0x10000, v6
	v_cmp_eq_u32_sdwa s[4:5], v6, v11 src0_sel:WORD_0 src1_sel:DWORD
	v_cndmask_b32_e64 v24, v10, v6, s[4:5]
; %bb.747:                              ;   in Loop: Header=BB356_530 Depth=1
	s_or_b64 exec, exec, s[24:25]
	v_cmp_lt_u64_e64 s[4:5], s[10:11], v[2:3]
	v_mov_b32_e32 v6, 0
	s_and_saveexec_b64 s[24:25], s[4:5]
	s_cbranch_execz .LBB356_753
; %bb.748:                              ;   in Loop: Header=BB356_530 Depth=1
	v_lshrrev_b32_e32 v2, 24, v3
	v_cmp_ne_u32_e64 s[4:5], s31, v2
	v_bfrev_b32_e32 v6, 1
	s_and_saveexec_b64 s[26:27], s[4:5]
	s_cbranch_execz .LBB356_752
; %bb.749:                              ;   in Loop: Header=BB356_530 Depth=1
	v_bfe_u32 v3, v3, 24, 7
	v_cmp_ne_u32_e64 s[4:5], s34, v3
	v_mov_b32_e32 v6, 0x7f800001
	s_and_saveexec_b64 s[28:29], s[4:5]
	s_cbranch_execz .LBB356_751
; %bb.750:                              ;   in Loop: Header=BB356_530 Depth=1
	v_and_b32_e32 v6, 7, v2
	v_ffbh_u32_e32 v23, v6
	v_min_u32_e32 v23, 32, v23
	v_subrev_u32_e32 v25, 28, v23
	v_lshlrev_b64 v[26:27], v25, v[2:3]
	v_lshrrev_b32_e32 v10, 3, v3
	v_sub_u32_e32 v23, 29, v23
	v_and_b32_e32 v25, 7, v26
	v_cmp_gt_u32_e64 s[4:5], 8, v3
	v_cndmask_b32_e64 v3, v10, v23, s[4:5]
	v_cndmask_b32_e64 v6, v6, v25, s[4:5]
	v_lshlrev_b32_e32 v2, 24, v2
	v_lshlrev_b32_e32 v6, 20, v6
	v_and_b32_e32 v2, 0x80000000, v2
	v_lshl_add_u32 v3, v3, 23, v28
	v_or3_b32 v6, v2, v3, v6
.LBB356_751:                            ;   in Loop: Header=BB356_530 Depth=1
	s_or_b64 exec, exec, s[28:29]
.LBB356_752:                            ;   in Loop: Header=BB356_530 Depth=1
	s_or_b64 exec, exec, s[26:27]
.LBB356_753:                            ;   in Loop: Header=BB356_530 Depth=1
	s_or_b64 exec, exec, s[24:25]
	v_mul_f32_e32 v3, v7, v6
	v_and_b32_e32 v2, 0x7f800000, v3
	v_cmp_ne_u32_e64 s[4:5], s15, v2
                                        ; implicit-def: $vgpr2
	s_and_saveexec_b64 s[24:25], s[4:5]
	s_xor_b64 s[4:5], exec, s[24:25]
; %bb.754:                              ;   in Loop: Header=BB356_530 Depth=1
	v_bfe_u32 v2, v3, 16, 1
	v_add3_u32 v2, v3, v2, s30
                                        ; implicit-def: $vgpr3
; %bb.755:                              ;   in Loop: Header=BB356_530 Depth=1
	s_andn2_saveexec_b64 s[24:25], s[4:5]
; %bb.756:                              ;   in Loop: Header=BB356_530 Depth=1
	v_or_b32_e32 v2, 0x10000, v3
	v_cmp_eq_u32_sdwa s[4:5], v3, v11 src0_sel:WORD_0 src1_sel:DWORD
	v_cndmask_b32_e64 v2, v2, v3, s[4:5]
; %bb.757:                              ;   in Loop: Header=BB356_530 Depth=1
	s_or_b64 exec, exec, s[24:25]
	v_lshrrev_b32_e32 v5, 16, v5
	v_lshrrev_b32_e32 v6, 16, v22
	;; [unrolled: 1-line block ×8, first 2 shown]
	s_and_saveexec_b64 s[24:25], vcc
	s_cbranch_execz .LBB356_759
; %bb.758:                              ;   in Loop: Header=BB356_530 Depth=1
	v_accvgpr_read_b32 v21, a3
	v_cmp_lt_i32_e64 s[4:5], v50, v21
	v_accvgpr_read_b32 v22, a36
	v_cndmask_b32_e64 v8, 0, v8, s[4:5]
	v_cmp_lt_i32_e64 s[4:5], v22, v21
	v_accvgpr_read_b32 v22, a35
	v_cndmask_b32_e64 v9, 0, v9, s[4:5]
	;; [unrolled: 3-line block ×7, first 2 shown]
	v_cmp_lt_i32_e64 s[4:5], v22, v21
	v_cndmask_b32_e64 v2, 0, v2, s[4:5]
.LBB356_759:                            ;   in Loop: Header=BB356_530 Depth=1
	s_or_b64 exec, exec, s[24:25]
	v_lshlrev_b32_e32 v8, 16, v8
	v_mul_f32_e32 v8, v44, v8
	v_and_b32_e32 v21, 0x7f800000, v8
	v_cmp_ne_u32_e64 s[4:5], s15, v21
                                        ; implicit-def: $agpr37
	s_and_saveexec_b64 s[24:25], s[4:5]
	s_xor_b64 s[4:5], exec, s[24:25]
; %bb.760:                              ;   in Loop: Header=BB356_530 Depth=1
	v_bfe_u32 v21, v8, 16, 1
	v_add3_u32 v8, v8, v21, s30
	v_accvgpr_write_b32 a37, v8
                                        ; implicit-def: $vgpr8
; %bb.761:                              ;   in Loop: Header=BB356_530 Depth=1
	s_andn2_saveexec_b64 s[24:25], s[4:5]
; %bb.762:                              ;   in Loop: Header=BB356_530 Depth=1
	v_or_b32_e32 v21, 0x10000, v8
	v_cmp_eq_u32_sdwa s[4:5], v8, v11 src0_sel:WORD_0 src1_sel:DWORD
	v_cndmask_b32_e64 v8, v21, v8, s[4:5]
	v_accvgpr_write_b32 a37, v8
; %bb.763:                              ;   in Loop: Header=BB356_530 Depth=1
	s_or_b64 exec, exec, s[24:25]
	v_lshlrev_b32_e32 v8, 16, v9
	v_mul_f32_e32 v8, v46, v8
	v_and_b32_e32 v9, 0x7f800000, v8
	v_cmp_ne_u32_e64 s[4:5], s15, v9
                                        ; implicit-def: $agpr38
	s_and_saveexec_b64 s[24:25], s[4:5]
	s_xor_b64 s[4:5], exec, s[24:25]
; %bb.764:                              ;   in Loop: Header=BB356_530 Depth=1
	v_bfe_u32 v9, v8, 16, 1
	v_add3_u32 v8, v8, v9, s30
	v_accvgpr_write_b32 a38, v8
                                        ; implicit-def: $vgpr8
; %bb.765:                              ;   in Loop: Header=BB356_530 Depth=1
	s_andn2_saveexec_b64 s[24:25], s[4:5]
; %bb.766:                              ;   in Loop: Header=BB356_530 Depth=1
	v_or_b32_e32 v9, 0x10000, v8
	v_cmp_eq_u32_sdwa s[4:5], v8, v11 src0_sel:WORD_0 src1_sel:DWORD
	v_cndmask_b32_e64 v8, v9, v8, s[4:5]
	v_accvgpr_write_b32 a38, v8
; %bb.767:                              ;   in Loop: Header=BB356_530 Depth=1
	s_or_b64 exec, exec, s[24:25]
	v_lshlrev_b32_e32 v8, 16, v20
	v_mul_f32_e32 v8, v47, v8
	v_and_b32_e32 v9, 0x7f800000, v8
	v_cmp_ne_u32_e64 s[4:5], s15, v9
                                        ; implicit-def: $agpr39
	s_and_saveexec_b64 s[24:25], s[4:5]
	s_xor_b64 s[4:5], exec, s[24:25]
; %bb.768:                              ;   in Loop: Header=BB356_530 Depth=1
	v_bfe_u32 v9, v8, 16, 1
	v_add3_u32 v8, v8, v9, s30
	v_accvgpr_write_b32 a39, v8
                                        ; implicit-def: $vgpr8
; %bb.769:                              ;   in Loop: Header=BB356_530 Depth=1
	s_andn2_saveexec_b64 s[24:25], s[4:5]
; %bb.770:                              ;   in Loop: Header=BB356_530 Depth=1
	v_or_b32_e32 v9, 0x10000, v8
	v_cmp_eq_u32_sdwa s[4:5], v8, v11 src0_sel:WORD_0 src1_sel:DWORD
	v_cndmask_b32_e64 v8, v9, v8, s[4:5]
	v_accvgpr_write_b32 a39, v8
; %bb.771:                              ;   in Loop: Header=BB356_530 Depth=1
	s_or_b64 exec, exec, s[24:25]
	v_lshlrev_b32_e32 v8, 16, v10
	v_mul_f32_e32 v8, v56, v8
	v_and_b32_e32 v9, 0x7f800000, v8
	v_cmp_ne_u32_e64 s[4:5], s15, v9
                                        ; implicit-def: $agpr40
	s_and_saveexec_b64 s[24:25], s[4:5]
	s_xor_b64 s[4:5], exec, s[24:25]
; %bb.772:                              ;   in Loop: Header=BB356_530 Depth=1
	v_bfe_u32 v9, v8, 16, 1
	v_add3_u32 v8, v8, v9, s30
	v_accvgpr_write_b32 a40, v8
                                        ; implicit-def: $vgpr8
; %bb.773:                              ;   in Loop: Header=BB356_530 Depth=1
	s_andn2_saveexec_b64 s[24:25], s[4:5]
; %bb.774:                              ;   in Loop: Header=BB356_530 Depth=1
	v_or_b32_e32 v9, 0x10000, v8
	v_cmp_eq_u32_sdwa s[4:5], v8, v11 src0_sel:WORD_0 src1_sel:DWORD
	v_cndmask_b32_e64 v8, v9, v8, s[4:5]
	v_accvgpr_write_b32 a40, v8
; %bb.775:                              ;   in Loop: Header=BB356_530 Depth=1
	s_or_b64 exec, exec, s[24:25]
	v_lshlrev_b32_e32 v6, 16, v6
	v_mul_f32_e32 v6, v57, v6
	v_and_b32_e32 v8, 0x7f800000, v6
	v_cmp_ne_u32_e64 s[4:5], s15, v8
                                        ; implicit-def: $agpr41
	s_and_saveexec_b64 s[24:25], s[4:5]
	s_xor_b64 s[4:5], exec, s[24:25]
; %bb.776:                              ;   in Loop: Header=BB356_530 Depth=1
	v_bfe_u32 v8, v6, 16, 1
	v_add3_u32 v6, v6, v8, s30
	v_accvgpr_write_b32 a41, v6
                                        ; implicit-def: $vgpr6
; %bb.777:                              ;   in Loop: Header=BB356_530 Depth=1
	s_andn2_saveexec_b64 s[24:25], s[4:5]
; %bb.778:                              ;   in Loop: Header=BB356_530 Depth=1
	v_or_b32_e32 v8, 0x10000, v6
	v_cmp_eq_u32_sdwa s[4:5], v6, v11 src0_sel:WORD_0 src1_sel:DWORD
	v_cndmask_b32_e64 v6, v8, v6, s[4:5]
	v_accvgpr_write_b32 a41, v6
; %bb.779:                              ;   in Loop: Header=BB356_530 Depth=1
	s_or_b64 exec, exec, s[24:25]
	v_lshlrev_b32_e32 v5, 16, v5
	v_mul_f32_e32 v5, v58, v5
	v_and_b32_e32 v6, 0x7f800000, v5
	v_cmp_ne_u32_e64 s[4:5], s15, v6
                                        ; implicit-def: $agpr42
	s_and_saveexec_b64 s[24:25], s[4:5]
	s_xor_b64 s[4:5], exec, s[24:25]
; %bb.780:                              ;   in Loop: Header=BB356_530 Depth=1
	v_bfe_u32 v6, v5, 16, 1
	v_add3_u32 v5, v5, v6, s30
	v_accvgpr_write_b32 a42, v5
                                        ; implicit-def: $vgpr5
; %bb.781:                              ;   in Loop: Header=BB356_530 Depth=1
	s_andn2_saveexec_b64 s[24:25], s[4:5]
; %bb.782:                              ;   in Loop: Header=BB356_530 Depth=1
	v_or_b32_e32 v6, 0x10000, v5
	v_cmp_eq_u32_sdwa s[4:5], v5, v11 src0_sel:WORD_0 src1_sel:DWORD
	v_cndmask_b32_e64 v5, v6, v5, s[4:5]
	v_accvgpr_write_b32 a42, v5
; %bb.783:                              ;   in Loop: Header=BB356_530 Depth=1
	s_or_b64 exec, exec, s[24:25]
	v_lshlrev_b32_e32 v3, 16, v3
	v_mul_f32_e32 v3, v60, v3
	v_and_b32_e32 v5, 0x7f800000, v3
	v_cmp_ne_u32_e64 s[4:5], s15, v5
                                        ; implicit-def: $agpr43
	s_and_saveexec_b64 s[24:25], s[4:5]
	s_xor_b64 s[4:5], exec, s[24:25]
; %bb.784:                              ;   in Loop: Header=BB356_530 Depth=1
	v_bfe_u32 v5, v3, 16, 1
	v_add3_u32 v3, v3, v5, s30
	v_accvgpr_write_b32 a43, v3
                                        ; implicit-def: $vgpr3
; %bb.785:                              ;   in Loop: Header=BB356_530 Depth=1
	s_andn2_saveexec_b64 s[24:25], s[4:5]
; %bb.786:                              ;   in Loop: Header=BB356_530 Depth=1
	v_or_b32_e32 v5, 0x10000, v3
	v_cmp_eq_u32_sdwa s[4:5], v3, v11 src0_sel:WORD_0 src1_sel:DWORD
	v_cndmask_b32_e64 v3, v5, v3, s[4:5]
	v_accvgpr_write_b32 a43, v3
; %bb.787:                              ;   in Loop: Header=BB356_530 Depth=1
	s_or_b64 exec, exec, s[24:25]
	v_lshlrev_b32_e32 v2, 16, v2
	v_mul_f32_e32 v2, v33, v2
	v_and_b32_e32 v3, 0x7f800000, v2
	v_cmp_ne_u32_e64 s[4:5], s15, v3
                                        ; implicit-def: $agpr44
	s_and_saveexec_b64 s[24:25], s[4:5]
	s_xor_b64 s[4:5], exec, s[24:25]
; %bb.788:                              ;   in Loop: Header=BB356_530 Depth=1
	v_bfe_u32 v3, v2, 16, 1
	v_add3_u32 v2, v2, v3, s30
	v_accvgpr_write_b32 a44, v2
                                        ; implicit-def: $vgpr2
; %bb.789:                              ;   in Loop: Header=BB356_530 Depth=1
	s_andn2_saveexec_b64 s[24:25], s[4:5]
; %bb.790:                              ;   in Loop: Header=BB356_530 Depth=1
	v_or_b32_e32 v3, 0x10000, v2
	v_cmp_eq_u32_sdwa s[4:5], v2, v11 src0_sel:WORD_0 src1_sel:DWORD
	v_cndmask_b32_e64 v2, v3, v2, s[4:5]
	v_accvgpr_write_b32 a44, v2
; %bb.791:                              ;   in Loop: Header=BB356_530 Depth=1
	s_or_b64 exec, exec, s[24:25]
	flat_load_dwordx2 v[2:3], v[0:1] offset:1024
	v_mov_b32_e32 v5, 0
	s_waitcnt vmcnt(0) lgkmcnt(0)
	v_cmp_ne_u16_sdwa s[4:5], v2, v11 src0_sel:BYTE_0 src1_sel:DWORD
	s_and_saveexec_b64 s[24:25], s[4:5]
	s_cbranch_execz .LBB356_797
; %bb.792:                              ;   in Loop: Header=BB356_530 Depth=1
	v_cmp_ne_u16_sdwa s[4:5], v2, s31 src0_sel:BYTE_0 src1_sel:DWORD
	v_bfrev_b32_e32 v5, 1
	s_and_saveexec_b64 s[26:27], s[4:5]
	s_cbranch_execz .LBB356_796
; %bb.793:                              ;   in Loop: Header=BB356_530 Depth=1
	v_and_b32_e32 v6, 0x7f, v2
	v_cmp_ne_u32_e64 s[4:5], s34, v6
	v_mov_b32_e32 v5, 0x7f800001
	s_and_saveexec_b64 s[28:29], s[4:5]
	s_cbranch_execz .LBB356_795
; %bb.794:                              ;   in Loop: Header=BB356_530 Depth=1
	v_and_b32_e32 v5, 7, v2
	v_ffbh_u32_e32 v5, v5
	v_min_u32_e32 v5, 32, v5
	v_subrev_u32_e32 v9, 28, v5
	v_cmp_gt_u32_e64 s[4:5], 8, v6
	v_lshrrev_b32_e32 v8, 3, v6
	v_sub_u32_e32 v5, 29, v5
	v_cndmask_b32_e64 v6, 0, v9, s[4:5]
	v_cndmask_b32_e64 v5, v8, v5, s[4:5]
	v_lshlrev_b64 v[8:9], v6, v[2:3]
	v_lshlrev_b32_e32 v6, 20, v8
	v_lshlrev_b32_e32 v8, 24, v2
	v_and_b32_e32 v6, 0x700000, v6
	v_and_b32_e32 v8, 0x80000000, v8
	v_lshl_add_u32 v5, v5, 23, v28
	v_or3_b32 v5, v8, v5, v6
.LBB356_795:                            ;   in Loop: Header=BB356_530 Depth=1
	s_or_b64 exec, exec, s[28:29]
.LBB356_796:                            ;   in Loop: Header=BB356_530 Depth=1
	s_or_b64 exec, exec, s[26:27]
.LBB356_797:                            ;   in Loop: Header=BB356_530 Depth=1
	s_or_b64 exec, exec, s[24:25]
	v_mul_f32_e32 v5, v7, v5
	v_and_b32_e32 v6, 0x7f800000, v5
	v_cmp_ne_u32_e64 s[4:5], s15, v6
                                        ; implicit-def: $vgpr8
	s_and_saveexec_b64 s[24:25], s[4:5]
	s_xor_b64 s[4:5], exec, s[24:25]
; %bb.798:                              ;   in Loop: Header=BB356_530 Depth=1
	v_bfe_u32 v6, v5, 16, 1
	v_add3_u32 v8, v5, v6, s30
                                        ; implicit-def: $vgpr5
; %bb.799:                              ;   in Loop: Header=BB356_530 Depth=1
	s_andn2_saveexec_b64 s[24:25], s[4:5]
; %bb.800:                              ;   in Loop: Header=BB356_530 Depth=1
	v_or_b32_e32 v6, 0x10000, v5
	v_cmp_eq_u32_sdwa s[4:5], v5, v11 src0_sel:WORD_0 src1_sel:DWORD
	v_cndmask_b32_e64 v8, v6, v5, s[4:5]
; %bb.801:                              ;   in Loop: Header=BB356_530 Depth=1
	s_or_b64 exec, exec, s[24:25]
	v_lshrrev_b16_e32 v6, 8, v2
	v_cmp_ne_u16_e64 s[4:5], 0, v6
	v_mov_b32_e32 v5, 0
	s_and_saveexec_b64 s[24:25], s[4:5]
	s_cbranch_execz .LBB356_807
; %bb.802:                              ;   in Loop: Header=BB356_530 Depth=1
	v_cmp_ne_u16_e64 s[4:5], s31, v6
	v_bfrev_b32_e32 v5, 1
	s_and_saveexec_b64 s[26:27], s[4:5]
	s_cbranch_execz .LBB356_806
; %bb.803:                              ;   in Loop: Header=BB356_530 Depth=1
	v_and_b32_e32 v9, 0x7f, v6
	v_cmp_ne_u32_e64 s[4:5], s34, v9
	v_mov_b32_e32 v5, 0x7f800001
	s_and_saveexec_b64 s[28:29], s[4:5]
	s_cbranch_execz .LBB356_805
; %bb.804:                              ;   in Loop: Header=BB356_530 Depth=1
	v_and_b32_e32 v5, 7, v6
	v_ffbh_u32_e32 v20, v5
	v_min_u32_e32 v22, 32, v20
	v_subrev_u32_e32 v20, 28, v22
	v_lshlrev_b64 v[20:21], v20, v[6:7]
	v_lshrrev_b32_e32 v10, 3, v9
	v_sub_u32_e32 v6, 29, v22
	v_and_b32_e32 v20, 7, v20
	v_cmp_gt_u32_e64 s[4:5], 8, v9
	v_cndmask_b32_e64 v6, v10, v6, s[4:5]
	v_cndmask_b32_e64 v5, v5, v20, s[4:5]
	v_lshlrev_b32_e32 v9, 16, v2
	v_lshlrev_b32_e32 v5, 20, v5
	v_and_b32_e32 v9, 0x80000000, v9
	v_lshl_add_u32 v6, v6, 23, v28
	v_or3_b32 v5, v9, v6, v5
.LBB356_805:                            ;   in Loop: Header=BB356_530 Depth=1
	s_or_b64 exec, exec, s[28:29]
.LBB356_806:                            ;   in Loop: Header=BB356_530 Depth=1
	s_or_b64 exec, exec, s[26:27]
.LBB356_807:                            ;   in Loop: Header=BB356_530 Depth=1
	s_or_b64 exec, exec, s[24:25]
	v_mul_f32_e32 v5, v7, v5
	v_and_b32_e32 v6, 0x7f800000, v5
	v_cmp_ne_u32_e64 s[4:5], s15, v6
                                        ; implicit-def: $vgpr9
	s_and_saveexec_b64 s[24:25], s[4:5]
	s_xor_b64 s[4:5], exec, s[24:25]
; %bb.808:                              ;   in Loop: Header=BB356_530 Depth=1
	v_bfe_u32 v6, v5, 16, 1
	v_add3_u32 v9, v5, v6, s30
                                        ; implicit-def: $vgpr5
; %bb.809:                              ;   in Loop: Header=BB356_530 Depth=1
	s_andn2_saveexec_b64 s[24:25], s[4:5]
; %bb.810:                              ;   in Loop: Header=BB356_530 Depth=1
	v_or_b32_e32 v6, 0x10000, v5
	v_cmp_eq_u32_sdwa s[4:5], v5, v11 src0_sel:WORD_0 src1_sel:DWORD
	v_cndmask_b32_e64 v9, v6, v5, s[4:5]
; %bb.811:                              ;   in Loop: Header=BB356_530 Depth=1
	s_or_b64 exec, exec, s[24:25]
	v_lshrrev_b32_e32 v6, 16, v2
	v_cmp_ne_u16_sdwa s[4:5], v6, v11 src0_sel:BYTE_0 src1_sel:DWORD
	v_mov_b32_e32 v5, 0
	s_and_saveexec_b64 s[24:25], s[4:5]
	s_cbranch_execz .LBB356_817
; %bb.812:                              ;   in Loop: Header=BB356_530 Depth=1
	v_cmp_ne_u16_sdwa s[4:5], v6, s31 src0_sel:BYTE_0 src1_sel:DWORD
	v_bfrev_b32_e32 v5, 1
	s_and_saveexec_b64 s[26:27], s[4:5]
	s_cbranch_execz .LBB356_816
; %bb.813:                              ;   in Loop: Header=BB356_530 Depth=1
	v_bfe_u32 v10, v2, 16, 7
	v_cmp_ne_u32_e64 s[4:5], s34, v10
	v_mov_b32_e32 v5, 0x7f800001
	s_and_saveexec_b64 s[28:29], s[4:5]
	s_cbranch_execz .LBB356_815
; %bb.814:                              ;   in Loop: Header=BB356_530 Depth=1
	v_and_b32_e32 v5, 7, v6
	v_ffbh_u32_e32 v20, v5
	v_min_u32_e32 v23, 32, v20
	v_subrev_u32_e32 v20, 28, v23
	v_lshlrev_b64 v[20:21], v20, v[6:7]
	v_lshrrev_b32_e32 v22, 3, v10
	v_sub_u32_e32 v21, 29, v23
	v_and_b32_e32 v20, 7, v20
	v_cmp_gt_u32_e64 s[4:5], 8, v10
	v_cndmask_b32_e64 v10, v22, v21, s[4:5]
	v_cndmask_b32_e64 v5, v5, v20, s[4:5]
	v_lshlrev_b32_e32 v6, 24, v6
	v_lshlrev_b32_e32 v5, 20, v5
	v_and_b32_e32 v6, 0x80000000, v6
	v_lshl_add_u32 v10, v10, 23, v28
	v_or3_b32 v5, v6, v10, v5
.LBB356_815:                            ;   in Loop: Header=BB356_530 Depth=1
	s_or_b64 exec, exec, s[28:29]
.LBB356_816:                            ;   in Loop: Header=BB356_530 Depth=1
	s_or_b64 exec, exec, s[26:27]
.LBB356_817:                            ;   in Loop: Header=BB356_530 Depth=1
	s_or_b64 exec, exec, s[24:25]
	v_mul_f32_e32 v5, v7, v5
	v_and_b32_e32 v6, 0x7f800000, v5
	v_cmp_ne_u32_e64 s[4:5], s15, v6
                                        ; implicit-def: $vgpr20
	s_and_saveexec_b64 s[24:25], s[4:5]
	s_xor_b64 s[4:5], exec, s[24:25]
; %bb.818:                              ;   in Loop: Header=BB356_530 Depth=1
	v_bfe_u32 v6, v5, 16, 1
	v_add3_u32 v20, v5, v6, s30
                                        ; implicit-def: $vgpr5
; %bb.819:                              ;   in Loop: Header=BB356_530 Depth=1
	s_andn2_saveexec_b64 s[24:25], s[4:5]
; %bb.820:                              ;   in Loop: Header=BB356_530 Depth=1
	v_or_b32_e32 v6, 0x10000, v5
	v_cmp_eq_u32_sdwa s[4:5], v5, v11 src0_sel:WORD_0 src1_sel:DWORD
	v_cndmask_b32_e64 v20, v6, v5, s[4:5]
; %bb.821:                              ;   in Loop: Header=BB356_530 Depth=1
	s_or_b64 exec, exec, s[24:25]
	v_cmp_lt_u32_e64 s[4:5], s11, v2
	v_mov_b32_e32 v5, 0
	s_and_saveexec_b64 s[24:25], s[4:5]
	s_cbranch_execz .LBB356_827
; %bb.822:                              ;   in Loop: Header=BB356_530 Depth=1
	v_lshrrev_b32_e32 v6, 24, v2
	v_cmp_ne_u32_e64 s[4:5], s31, v6
	v_bfrev_b32_e32 v5, 1
	s_and_saveexec_b64 s[26:27], s[4:5]
	s_cbranch_execz .LBB356_826
; %bb.823:                              ;   in Loop: Header=BB356_530 Depth=1
	v_bfe_u32 v10, v2, 24, 7
	v_cmp_ne_u32_e64 s[4:5], s34, v10
	v_mov_b32_e32 v5, 0x7f800001
	s_and_saveexec_b64 s[28:29], s[4:5]
	s_cbranch_execz .LBB356_825
; %bb.824:                              ;   in Loop: Header=BB356_530 Depth=1
	v_and_b32_e32 v5, 7, v6
	v_ffbh_u32_e32 v22, v5
	v_min_u32_e32 v22, 32, v22
	v_subrev_u32_e32 v23, 28, v22
	v_lshlrev_b64 v[30:31], v23, v[6:7]
	v_lshrrev_b32_e32 v21, 3, v10
	v_sub_u32_e32 v22, 29, v22
	v_and_b32_e32 v23, 7, v30
	v_cmp_gt_u32_e64 s[4:5], 8, v10
	v_cndmask_b32_e64 v10, v21, v22, s[4:5]
	v_cndmask_b32_e64 v5, v5, v23, s[4:5]
	v_lshlrev_b32_e32 v6, 24, v6
	v_lshlrev_b32_e32 v5, 20, v5
	v_and_b32_e32 v6, 0x80000000, v6
	v_lshl_add_u32 v10, v10, 23, v28
	v_or3_b32 v5, v6, v10, v5
.LBB356_825:                            ;   in Loop: Header=BB356_530 Depth=1
	s_or_b64 exec, exec, s[28:29]
.LBB356_826:                            ;   in Loop: Header=BB356_530 Depth=1
	s_or_b64 exec, exec, s[26:27]
.LBB356_827:                            ;   in Loop: Header=BB356_530 Depth=1
	s_or_b64 exec, exec, s[24:25]
	v_mul_f32_e32 v5, v7, v5
	v_and_b32_e32 v6, 0x7f800000, v5
	v_cmp_ne_u32_e64 s[4:5], s15, v6
                                        ; implicit-def: $vgpr21
	s_and_saveexec_b64 s[24:25], s[4:5]
	s_xor_b64 s[4:5], exec, s[24:25]
; %bb.828:                              ;   in Loop: Header=BB356_530 Depth=1
	v_bfe_u32 v6, v5, 16, 1
	v_add3_u32 v21, v5, v6, s30
                                        ; implicit-def: $vgpr5
; %bb.829:                              ;   in Loop: Header=BB356_530 Depth=1
	s_andn2_saveexec_b64 s[24:25], s[4:5]
; %bb.830:                              ;   in Loop: Header=BB356_530 Depth=1
	v_or_b32_e32 v6, 0x10000, v5
	v_cmp_eq_u32_sdwa s[4:5], v5, v11 src0_sel:WORD_0 src1_sel:DWORD
	v_cndmask_b32_e64 v21, v6, v5, s[4:5]
; %bb.831:                              ;   in Loop: Header=BB356_530 Depth=1
	s_or_b64 exec, exec, s[24:25]
	v_mov_b32_e32 v10, v3
	v_cmp_ne_u16_sdwa s[4:5], v3, v11 src0_sel:BYTE_0 src1_sel:DWORD
	v_mov_b32_e32 v5, 0
	s_and_saveexec_b64 s[24:25], s[4:5]
	s_cbranch_execz .LBB356_837
; %bb.832:                              ;   in Loop: Header=BB356_530 Depth=1
	v_cmp_ne_u16_sdwa s[4:5], v3, s31 src0_sel:BYTE_0 src1_sel:DWORD
	v_bfrev_b32_e32 v5, 1
	s_and_saveexec_b64 s[26:27], s[4:5]
	s_cbranch_execz .LBB356_836
; %bb.833:                              ;   in Loop: Header=BB356_530 Depth=1
	v_and_b32_e32 v6, 0x7f, v3
	v_cmp_ne_u32_e64 s[4:5], s34, v6
	v_mov_b32_e32 v5, 0x7f800001
	s_and_saveexec_b64 s[28:29], s[4:5]
	s_cbranch_execz .LBB356_835
; %bb.834:                              ;   in Loop: Header=BB356_530 Depth=1
	v_and_b32_e32 v5, 7, v3
	v_ffbh_u32_e32 v5, v5
	v_min_u32_e32 v5, 32, v5
	v_subrev_u32_e32 v23, 28, v5
	v_cmp_gt_u32_e64 s[4:5], 8, v6
	v_lshrrev_b32_e32 v22, 3, v6
	v_cndmask_b32_e64 v6, 0, v23, s[4:5]
	v_sub_u32_e32 v5, 29, v5
	v_lshlrev_b64 v[30:31], v6, v[10:11]
	v_cndmask_b32_e64 v5, v22, v5, s[4:5]
	v_lshlrev_b32_e32 v6, 20, v30
	v_lshlrev_b32_e32 v22, 24, v10
	v_and_b32_e32 v6, 0x700000, v6
	v_and_b32_e32 v22, 0x80000000, v22
	v_lshl_add_u32 v5, v5, 23, v28
	v_or3_b32 v5, v22, v5, v6
.LBB356_835:                            ;   in Loop: Header=BB356_530 Depth=1
	s_or_b64 exec, exec, s[28:29]
.LBB356_836:                            ;   in Loop: Header=BB356_530 Depth=1
	s_or_b64 exec, exec, s[26:27]
.LBB356_837:                            ;   in Loop: Header=BB356_530 Depth=1
	s_or_b64 exec, exec, s[24:25]
	v_mul_f32_e32 v5, v7, v5
	v_and_b32_e32 v6, 0x7f800000, v5
	v_cmp_ne_u32_e64 s[4:5], s15, v6
                                        ; implicit-def: $vgpr22
	s_and_saveexec_b64 s[24:25], s[4:5]
	s_xor_b64 s[4:5], exec, s[24:25]
; %bb.838:                              ;   in Loop: Header=BB356_530 Depth=1
	v_bfe_u32 v6, v5, 16, 1
	v_add3_u32 v22, v5, v6, s30
                                        ; implicit-def: $vgpr5
; %bb.839:                              ;   in Loop: Header=BB356_530 Depth=1
	s_andn2_saveexec_b64 s[24:25], s[4:5]
; %bb.840:                              ;   in Loop: Header=BB356_530 Depth=1
	v_or_b32_e32 v6, 0x10000, v5
	v_cmp_eq_u32_sdwa s[4:5], v5, v11 src0_sel:WORD_0 src1_sel:DWORD
	v_cndmask_b32_e64 v22, v6, v5, s[4:5]
; %bb.841:                              ;   in Loop: Header=BB356_530 Depth=1
	s_or_b64 exec, exec, s[24:25]
	v_lshrrev_b16_e32 v6, 8, v10
	v_cmp_ne_u16_e64 s[4:5], 0, v6
	v_mov_b32_e32 v5, 0
	s_and_saveexec_b64 s[24:25], s[4:5]
	s_cbranch_execz .LBB356_847
; %bb.842:                              ;   in Loop: Header=BB356_530 Depth=1
	v_cmp_ne_u16_e64 s[4:5], s31, v6
	v_bfrev_b32_e32 v5, 1
	s_and_saveexec_b64 s[26:27], s[4:5]
	s_cbranch_execz .LBB356_846
; %bb.843:                              ;   in Loop: Header=BB356_530 Depth=1
	v_and_b32_e32 v25, 0x7f, v6
	v_cmp_ne_u32_e64 s[4:5], s34, v25
	v_mov_b32_e32 v5, 0x7f800001
	s_and_saveexec_b64 s[28:29], s[4:5]
	s_cbranch_execz .LBB356_845
; %bb.844:                              ;   in Loop: Header=BB356_530 Depth=1
	v_and_b32_e32 v5, 7, v6
	v_ffbh_u32_e32 v24, v5
	v_min_u32_e32 v24, 32, v24
	v_subrev_u32_e32 v26, 28, v24
	v_lshlrev_b64 v[30:31], v26, v[6:7]
	v_lshrrev_b32_e32 v23, 3, v25
	v_sub_u32_e32 v6, 29, v24
	v_and_b32_e32 v24, 7, v30
	v_cmp_gt_u32_e64 s[4:5], 8, v25
	v_cndmask_b32_e64 v6, v23, v6, s[4:5]
	v_cndmask_b32_e64 v5, v5, v24, s[4:5]
	v_lshlrev_b32_e32 v10, 16, v10
	v_lshlrev_b32_e32 v5, 20, v5
	v_and_b32_e32 v10, 0x80000000, v10
	v_lshl_add_u32 v6, v6, 23, v28
	v_or3_b32 v5, v10, v6, v5
.LBB356_845:                            ;   in Loop: Header=BB356_530 Depth=1
	s_or_b64 exec, exec, s[28:29]
.LBB356_846:                            ;   in Loop: Header=BB356_530 Depth=1
	s_or_b64 exec, exec, s[26:27]
.LBB356_847:                            ;   in Loop: Header=BB356_530 Depth=1
	s_or_b64 exec, exec, s[24:25]
	v_mul_f32_e32 v6, v7, v5
	v_and_b32_e32 v5, 0x7f800000, v6
	v_cmp_ne_u32_e64 s[4:5], s15, v5
                                        ; implicit-def: $vgpr5
	s_and_saveexec_b64 s[24:25], s[4:5]
	s_xor_b64 s[4:5], exec, s[24:25]
; %bb.848:                              ;   in Loop: Header=BB356_530 Depth=1
	v_bfe_u32 v5, v6, 16, 1
	v_add3_u32 v5, v6, v5, s30
                                        ; implicit-def: $vgpr6
; %bb.849:                              ;   in Loop: Header=BB356_530 Depth=1
	s_andn2_saveexec_b64 s[24:25], s[4:5]
; %bb.850:                              ;   in Loop: Header=BB356_530 Depth=1
	v_or_b32_e32 v5, 0x10000, v6
	v_cmp_eq_u32_sdwa s[4:5], v6, v11 src0_sel:WORD_0 src1_sel:DWORD
	v_cndmask_b32_e64 v5, v5, v6, s[4:5]
; %bb.851:                              ;   in Loop: Header=BB356_530 Depth=1
	s_or_b64 exec, exec, s[24:25]
	v_lshrrev_b32_e32 v6, 16, v3
	v_cmp_ne_u16_sdwa s[4:5], v6, v11 src0_sel:BYTE_0 src1_sel:DWORD
	v_mov_b32_e32 v10, 0
	s_and_saveexec_b64 s[24:25], s[4:5]
	s_cbranch_execz .LBB356_857
; %bb.852:                              ;   in Loop: Header=BB356_530 Depth=1
	v_cmp_ne_u16_sdwa s[4:5], v6, s31 src0_sel:BYTE_0 src1_sel:DWORD
	v_bfrev_b32_e32 v10, 1
	s_and_saveexec_b64 s[26:27], s[4:5]
	s_cbranch_execz .LBB356_856
; %bb.853:                              ;   in Loop: Header=BB356_530 Depth=1
	v_bfe_u32 v25, v3, 16, 7
	v_cmp_ne_u32_e64 s[4:5], s34, v25
	v_mov_b32_e32 v10, 0x7f800001
	s_and_saveexec_b64 s[28:29], s[4:5]
	s_cbranch_execz .LBB356_855
; %bb.854:                              ;   in Loop: Header=BB356_530 Depth=1
	v_and_b32_e32 v10, 7, v6
	v_ffbh_u32_e32 v24, v10
	v_min_u32_e32 v24, 32, v24
	v_subrev_u32_e32 v26, 28, v24
	v_lshlrev_b64 v[30:31], v26, v[6:7]
	v_lshrrev_b32_e32 v23, 3, v25
	v_sub_u32_e32 v24, 29, v24
	v_and_b32_e32 v26, 7, v30
	v_cmp_gt_u32_e64 s[4:5], 8, v25
	v_cndmask_b32_e64 v23, v23, v24, s[4:5]
	v_cndmask_b32_e64 v10, v10, v26, s[4:5]
	v_lshlrev_b32_e32 v6, 24, v6
	v_lshlrev_b32_e32 v10, 20, v10
	v_and_b32_e32 v6, 0x80000000, v6
	v_lshl_add_u32 v23, v23, 23, v28
	v_or3_b32 v10, v6, v23, v10
.LBB356_855:                            ;   in Loop: Header=BB356_530 Depth=1
	s_or_b64 exec, exec, s[28:29]
.LBB356_856:                            ;   in Loop: Header=BB356_530 Depth=1
	s_or_b64 exec, exec, s[26:27]
.LBB356_857:                            ;   in Loop: Header=BB356_530 Depth=1
	s_or_b64 exec, exec, s[24:25]
	v_mul_f32_e32 v6, v7, v10
	v_and_b32_e32 v10, 0x7f800000, v6
	v_cmp_ne_u32_e64 s[4:5], s15, v10
                                        ; implicit-def: $vgpr25
	s_and_saveexec_b64 s[24:25], s[4:5]
	s_xor_b64 s[4:5], exec, s[24:25]
; %bb.858:                              ;   in Loop: Header=BB356_530 Depth=1
	v_bfe_u32 v10, v6, 16, 1
	v_add3_u32 v25, v6, v10, s30
                                        ; implicit-def: $vgpr6
; %bb.859:                              ;   in Loop: Header=BB356_530 Depth=1
	s_andn2_saveexec_b64 s[24:25], s[4:5]
; %bb.860:                              ;   in Loop: Header=BB356_530 Depth=1
	v_or_b32_e32 v10, 0x10000, v6
	v_cmp_eq_u32_sdwa s[4:5], v6, v11 src0_sel:WORD_0 src1_sel:DWORD
	v_cndmask_b32_e64 v25, v10, v6, s[4:5]
; %bb.861:                              ;   in Loop: Header=BB356_530 Depth=1
	s_or_b64 exec, exec, s[24:25]
	v_cmp_lt_u64_e64 s[4:5], s[10:11], v[2:3]
	v_mov_b32_e32 v6, 0
	s_and_saveexec_b64 s[24:25], s[4:5]
	s_cbranch_execz .LBB356_867
; %bb.862:                              ;   in Loop: Header=BB356_530 Depth=1
	v_lshrrev_b32_e32 v2, 24, v3
	v_cmp_ne_u32_e64 s[4:5], s31, v2
	v_bfrev_b32_e32 v6, 1
	s_and_saveexec_b64 s[26:27], s[4:5]
	s_cbranch_execz .LBB356_866
; %bb.863:                              ;   in Loop: Header=BB356_530 Depth=1
	v_bfe_u32 v3, v3, 24, 7
	v_cmp_ne_u32_e64 s[4:5], s34, v3
	v_mov_b32_e32 v6, 0x7f800001
	s_and_saveexec_b64 s[28:29], s[4:5]
	s_cbranch_execz .LBB356_865
; %bb.864:                              ;   in Loop: Header=BB356_530 Depth=1
	v_and_b32_e32 v6, 7, v2
	v_ffbh_u32_e32 v23, v6
	v_min_u32_e32 v23, 32, v23
	v_subrev_u32_e32 v24, 28, v23
	v_lshlrev_b64 v[30:31], v24, v[2:3]
	v_lshrrev_b32_e32 v10, 3, v3
	v_sub_u32_e32 v23, 29, v23
	v_and_b32_e32 v24, 7, v30
	v_cmp_gt_u32_e64 s[4:5], 8, v3
	v_cndmask_b32_e64 v3, v10, v23, s[4:5]
	v_cndmask_b32_e64 v6, v6, v24, s[4:5]
	v_lshlrev_b32_e32 v2, 24, v2
	v_lshlrev_b32_e32 v6, 20, v6
	v_and_b32_e32 v2, 0x80000000, v2
	v_lshl_add_u32 v3, v3, 23, v28
	v_or3_b32 v6, v2, v3, v6
.LBB356_865:                            ;   in Loop: Header=BB356_530 Depth=1
	s_or_b64 exec, exec, s[28:29]
.LBB356_866:                            ;   in Loop: Header=BB356_530 Depth=1
	s_or_b64 exec, exec, s[26:27]
.LBB356_867:                            ;   in Loop: Header=BB356_530 Depth=1
	s_or_b64 exec, exec, s[24:25]
	v_mul_f32_e32 v3, v7, v6
	v_and_b32_e32 v2, 0x7f800000, v3
	v_cmp_ne_u32_e64 s[4:5], s15, v2
                                        ; implicit-def: $vgpr2
	s_and_saveexec_b64 s[24:25], s[4:5]
	s_xor_b64 s[4:5], exec, s[24:25]
; %bb.868:                              ;   in Loop: Header=BB356_530 Depth=1
	v_bfe_u32 v2, v3, 16, 1
	v_add3_u32 v2, v3, v2, s30
                                        ; implicit-def: $vgpr3
; %bb.869:                              ;   in Loop: Header=BB356_530 Depth=1
	s_andn2_saveexec_b64 s[24:25], s[4:5]
; %bb.870:                              ;   in Loop: Header=BB356_530 Depth=1
	v_or_b32_e32 v2, 0x10000, v3
	v_cmp_eq_u32_sdwa s[4:5], v3, v11 src0_sel:WORD_0 src1_sel:DWORD
	v_cndmask_b32_e64 v2, v2, v3, s[4:5]
; %bb.871:                              ;   in Loop: Header=BB356_530 Depth=1
	s_or_b64 exec, exec, s[24:25]
	v_lshrrev_b32_e32 v5, 16, v5
	v_lshrrev_b32_e32 v6, 16, v22
	;; [unrolled: 1-line block ×8, first 2 shown]
	s_and_saveexec_b64 s[24:25], vcc
	s_cbranch_execz .LBB356_873
; %bb.872:                              ;   in Loop: Header=BB356_530 Depth=1
	v_accvgpr_read_b32 v21, a3
	v_cmp_lt_i32_e64 s[4:5], v50, v21
	v_accvgpr_read_b32 v22, a36
	v_cndmask_b32_e64 v8, 0, v8, s[4:5]
	v_cmp_lt_i32_e64 s[4:5], v22, v21
	v_accvgpr_read_b32 v22, a35
	v_cndmask_b32_e64 v9, 0, v9, s[4:5]
	;; [unrolled: 3-line block ×7, first 2 shown]
	v_cmp_lt_i32_e64 s[4:5], v22, v21
	v_cndmask_b32_e64 v2, 0, v2, s[4:5]
.LBB356_873:                            ;   in Loop: Header=BB356_530 Depth=1
	s_or_b64 exec, exec, s[24:25]
	v_lshlrev_b32_e32 v8, 16, v8
	v_mul_f32_e32 v8, v44, v8
	v_and_b32_e32 v21, 0x7f800000, v8
	v_cmp_ne_u32_e64 s[4:5], s15, v21
                                        ; implicit-def: $vgpr21
	s_and_saveexec_b64 s[24:25], s[4:5]
	s_xor_b64 s[4:5], exec, s[24:25]
; %bb.874:                              ;   in Loop: Header=BB356_530 Depth=1
	v_bfe_u32 v21, v8, 16, 1
	v_add3_u32 v21, v8, v21, s30
                                        ; implicit-def: $vgpr8
; %bb.875:                              ;   in Loop: Header=BB356_530 Depth=1
	s_andn2_saveexec_b64 s[24:25], s[4:5]
; %bb.876:                              ;   in Loop: Header=BB356_530 Depth=1
	v_or_b32_e32 v21, 0x10000, v8
	v_cmp_eq_u32_sdwa s[4:5], v8, v11 src0_sel:WORD_0 src1_sel:DWORD
	v_cndmask_b32_e64 v21, v21, v8, s[4:5]
; %bb.877:                              ;   in Loop: Header=BB356_530 Depth=1
	s_or_b64 exec, exec, s[24:25]
	v_lshlrev_b32_e32 v8, 16, v9
	v_mul_f32_e32 v8, v46, v8
	v_and_b32_e32 v9, 0x7f800000, v8
	v_cmp_ne_u32_e64 s[4:5], s15, v9
                                        ; implicit-def: $vgpr40
	s_and_saveexec_b64 s[24:25], s[4:5]
	s_xor_b64 s[4:5], exec, s[24:25]
; %bb.878:                              ;   in Loop: Header=BB356_530 Depth=1
	v_bfe_u32 v9, v8, 16, 1
	v_add3_u32 v40, v8, v9, s30
                                        ; implicit-def: $vgpr8
; %bb.879:                              ;   in Loop: Header=BB356_530 Depth=1
	s_andn2_saveexec_b64 s[24:25], s[4:5]
; %bb.880:                              ;   in Loop: Header=BB356_530 Depth=1
	v_or_b32_e32 v9, 0x10000, v8
	v_cmp_eq_u32_sdwa s[4:5], v8, v11 src0_sel:WORD_0 src1_sel:DWORD
	v_cndmask_b32_e64 v40, v9, v8, s[4:5]
; %bb.881:                              ;   in Loop: Header=BB356_530 Depth=1
	s_or_b64 exec, exec, s[24:25]
	v_lshlrev_b32_e32 v8, 16, v20
	v_mul_f32_e32 v8, v47, v8
	v_and_b32_e32 v9, 0x7f800000, v8
	v_cmp_ne_u32_e64 s[4:5], s15, v9
                                        ; implicit-def: $vgpr41
	s_and_saveexec_b64 s[24:25], s[4:5]
	s_xor_b64 s[4:5], exec, s[24:25]
; %bb.882:                              ;   in Loop: Header=BB356_530 Depth=1
	v_bfe_u32 v9, v8, 16, 1
	v_add3_u32 v41, v8, v9, s30
                                        ; implicit-def: $vgpr8
; %bb.883:                              ;   in Loop: Header=BB356_530 Depth=1
	s_andn2_saveexec_b64 s[24:25], s[4:5]
; %bb.884:                              ;   in Loop: Header=BB356_530 Depth=1
	v_or_b32_e32 v9, 0x10000, v8
	v_cmp_eq_u32_sdwa s[4:5], v8, v11 src0_sel:WORD_0 src1_sel:DWORD
	v_cndmask_b32_e64 v41, v9, v8, s[4:5]
; %bb.885:                              ;   in Loop: Header=BB356_530 Depth=1
	s_or_b64 exec, exec, s[24:25]
	v_lshlrev_b32_e32 v8, 16, v10
	v_mul_f32_e32 v8, v56, v8
	v_and_b32_e32 v9, 0x7f800000, v8
	v_cmp_ne_u32_e64 s[4:5], s15, v9
                                        ; implicit-def: $vgpr62
	s_and_saveexec_b64 s[24:25], s[4:5]
	s_xor_b64 s[4:5], exec, s[24:25]
; %bb.886:                              ;   in Loop: Header=BB356_530 Depth=1
	v_bfe_u32 v9, v8, 16, 1
	v_add3_u32 v62, v8, v9, s30
                                        ; implicit-def: $vgpr8
; %bb.887:                              ;   in Loop: Header=BB356_530 Depth=1
	s_andn2_saveexec_b64 s[24:25], s[4:5]
; %bb.888:                              ;   in Loop: Header=BB356_530 Depth=1
	v_or_b32_e32 v9, 0x10000, v8
	v_cmp_eq_u32_sdwa s[4:5], v8, v11 src0_sel:WORD_0 src1_sel:DWORD
	v_cndmask_b32_e64 v62, v9, v8, s[4:5]
; %bb.889:                              ;   in Loop: Header=BB356_530 Depth=1
	s_or_b64 exec, exec, s[24:25]
	v_lshlrev_b32_e32 v6, 16, v6
	v_mul_f32_e32 v6, v57, v6
	v_and_b32_e32 v8, 0x7f800000, v6
	v_cmp_ne_u32_e64 s[4:5], s15, v8
                                        ; implicit-def: $vgpr30
	s_and_saveexec_b64 s[24:25], s[4:5]
	s_xor_b64 s[4:5], exec, s[24:25]
; %bb.890:                              ;   in Loop: Header=BB356_530 Depth=1
	v_bfe_u32 v8, v6, 16, 1
	v_add3_u32 v30, v6, v8, s30
                                        ; implicit-def: $vgpr6
; %bb.891:                              ;   in Loop: Header=BB356_530 Depth=1
	s_andn2_saveexec_b64 s[24:25], s[4:5]
; %bb.892:                              ;   in Loop: Header=BB356_530 Depth=1
	v_or_b32_e32 v8, 0x10000, v6
	v_cmp_eq_u32_sdwa s[4:5], v6, v11 src0_sel:WORD_0 src1_sel:DWORD
	v_cndmask_b32_e64 v30, v8, v6, s[4:5]
; %bb.893:                              ;   in Loop: Header=BB356_530 Depth=1
	s_or_b64 exec, exec, s[24:25]
	v_lshlrev_b32_e32 v5, 16, v5
	v_mul_f32_e32 v5, v58, v5
	v_and_b32_e32 v6, 0x7f800000, v5
	v_cmp_ne_u32_e64 s[4:5], s15, v6
                                        ; implicit-def: $vgpr31
	s_and_saveexec_b64 s[24:25], s[4:5]
	s_xor_b64 s[4:5], exec, s[24:25]
; %bb.894:                              ;   in Loop: Header=BB356_530 Depth=1
	v_bfe_u32 v6, v5, 16, 1
	v_add3_u32 v31, v5, v6, s30
                                        ; implicit-def: $vgpr5
; %bb.895:                              ;   in Loop: Header=BB356_530 Depth=1
	s_andn2_saveexec_b64 s[24:25], s[4:5]
; %bb.896:                              ;   in Loop: Header=BB356_530 Depth=1
	v_or_b32_e32 v6, 0x10000, v5
	v_cmp_eq_u32_sdwa s[4:5], v5, v11 src0_sel:WORD_0 src1_sel:DWORD
	v_cndmask_b32_e64 v31, v6, v5, s[4:5]
; %bb.897:                              ;   in Loop: Header=BB356_530 Depth=1
	s_or_b64 exec, exec, s[24:25]
	v_lshlrev_b32_e32 v3, 16, v3
	v_mul_f32_e32 v3, v60, v3
	v_and_b32_e32 v5, 0x7f800000, v3
	v_cmp_ne_u32_e64 s[4:5], s15, v5
                                        ; implicit-def: $vgpr20
	s_and_saveexec_b64 s[24:25], s[4:5]
	s_xor_b64 s[4:5], exec, s[24:25]
; %bb.898:                              ;   in Loop: Header=BB356_530 Depth=1
	v_bfe_u32 v5, v3, 16, 1
	v_add3_u32 v20, v3, v5, s30
                                        ; implicit-def: $vgpr3
; %bb.899:                              ;   in Loop: Header=BB356_530 Depth=1
	s_andn2_saveexec_b64 s[24:25], s[4:5]
; %bb.900:                              ;   in Loop: Header=BB356_530 Depth=1
	v_or_b32_e32 v5, 0x10000, v3
	v_cmp_eq_u32_sdwa s[4:5], v3, v11 src0_sel:WORD_0 src1_sel:DWORD
	v_cndmask_b32_e64 v20, v5, v3, s[4:5]
; %bb.901:                              ;   in Loop: Header=BB356_530 Depth=1
	s_or_b64 exec, exec, s[24:25]
	v_lshlrev_b32_e32 v2, 16, v2
	v_mul_f32_e32 v2, v33, v2
	v_and_b32_e32 v3, 0x7f800000, v2
	v_cmp_ne_u32_e64 s[4:5], s15, v3
                                        ; implicit-def: $vgpr8
	s_and_saveexec_b64 s[24:25], s[4:5]
	s_xor_b64 s[4:5], exec, s[24:25]
; %bb.902:                              ;   in Loop: Header=BB356_530 Depth=1
	v_bfe_u32 v3, v2, 16, 1
	v_add3_u32 v8, v2, v3, s30
                                        ; implicit-def: $vgpr2
; %bb.903:                              ;   in Loop: Header=BB356_530 Depth=1
	s_andn2_saveexec_b64 s[24:25], s[4:5]
; %bb.904:                              ;   in Loop: Header=BB356_530 Depth=1
	v_or_b32_e32 v3, 0x10000, v2
	v_cmp_eq_u32_sdwa s[4:5], v2, v11 src0_sel:WORD_0 src1_sel:DWORD
	v_cndmask_b32_e64 v8, v3, v2, s[4:5]
; %bb.905:                              ;   in Loop: Header=BB356_530 Depth=1
	s_or_b64 exec, exec, s[24:25]
	flat_load_dwordx2 v[2:3], v[0:1] offset:1536
	v_mov_b32_e32 v5, 0
	s_waitcnt vmcnt(0) lgkmcnt(0)
	v_cmp_ne_u16_sdwa s[4:5], v2, v11 src0_sel:BYTE_0 src1_sel:DWORD
	s_and_saveexec_b64 s[24:25], s[4:5]
	s_cbranch_execz .LBB356_911
; %bb.906:                              ;   in Loop: Header=BB356_530 Depth=1
	v_cmp_ne_u16_sdwa s[4:5], v2, s31 src0_sel:BYTE_0 src1_sel:DWORD
	v_bfrev_b32_e32 v5, 1
	s_and_saveexec_b64 s[26:27], s[4:5]
	s_cbranch_execz .LBB356_910
; %bb.907:                              ;   in Loop: Header=BB356_530 Depth=1
	v_and_b32_e32 v6, 0x7f, v2
	v_cmp_ne_u32_e64 s[4:5], s34, v6
	v_mov_b32_e32 v5, 0x7f800001
	s_and_saveexec_b64 s[28:29], s[4:5]
	s_cbranch_execz .LBB356_909
; %bb.908:                              ;   in Loop: Header=BB356_530 Depth=1
	v_and_b32_e32 v5, 7, v2
	v_ffbh_u32_e32 v5, v5
	v_min_u32_e32 v5, 32, v5
	v_subrev_u32_e32 v10, 28, v5
	v_cmp_gt_u32_e64 s[4:5], 8, v6
	v_lshrrev_b32_e32 v9, 3, v6
	v_cndmask_b32_e64 v6, 0, v10, s[4:5]
	v_sub_u32_e32 v5, 29, v5
	v_lshlrev_b64 v[36:37], v6, v[2:3]
	v_cndmask_b32_e64 v5, v9, v5, s[4:5]
	v_lshlrev_b32_e32 v6, 20, v36
	v_lshlrev_b32_e32 v9, 24, v2
	v_and_b32_e32 v6, 0x700000, v6
	v_and_b32_e32 v9, 0x80000000, v9
	v_lshl_add_u32 v5, v5, 23, v28
	v_or3_b32 v5, v9, v5, v6
.LBB356_909:                            ;   in Loop: Header=BB356_530 Depth=1
	s_or_b64 exec, exec, s[28:29]
.LBB356_910:                            ;   in Loop: Header=BB356_530 Depth=1
	s_or_b64 exec, exec, s[26:27]
.LBB356_911:                            ;   in Loop: Header=BB356_530 Depth=1
	s_or_b64 exec, exec, s[24:25]
	v_mul_f32_e32 v5, v7, v5
	v_and_b32_e32 v6, 0x7f800000, v5
	v_cmp_ne_u32_e64 s[4:5], s15, v6
                                        ; implicit-def: $vgpr9
	s_and_saveexec_b64 s[24:25], s[4:5]
	s_xor_b64 s[4:5], exec, s[24:25]
; %bb.912:                              ;   in Loop: Header=BB356_530 Depth=1
	v_bfe_u32 v6, v5, 16, 1
	v_add3_u32 v9, v5, v6, s30
                                        ; implicit-def: $vgpr5
; %bb.913:                              ;   in Loop: Header=BB356_530 Depth=1
	s_andn2_saveexec_b64 s[24:25], s[4:5]
; %bb.914:                              ;   in Loop: Header=BB356_530 Depth=1
	v_or_b32_e32 v6, 0x10000, v5
	v_cmp_eq_u32_sdwa s[4:5], v5, v11 src0_sel:WORD_0 src1_sel:DWORD
	v_cndmask_b32_e64 v9, v6, v5, s[4:5]
; %bb.915:                              ;   in Loop: Header=BB356_530 Depth=1
	s_or_b64 exec, exec, s[24:25]
	v_lshrrev_b16_e32 v6, 8, v2
	v_cmp_ne_u16_e64 s[4:5], 0, v6
	v_mov_b32_e32 v5, 0
	s_and_saveexec_b64 s[24:25], s[4:5]
	s_cbranch_execz .LBB356_921
; %bb.916:                              ;   in Loop: Header=BB356_530 Depth=1
	v_cmp_ne_u16_e64 s[4:5], s31, v6
	v_bfrev_b32_e32 v5, 1
	s_and_saveexec_b64 s[26:27], s[4:5]
	s_cbranch_execz .LBB356_920
; %bb.917:                              ;   in Loop: Header=BB356_530 Depth=1
	v_and_b32_e32 v10, 0x7f, v6
	v_cmp_ne_u32_e64 s[4:5], s34, v10
	v_mov_b32_e32 v5, 0x7f800001
	s_and_saveexec_b64 s[28:29], s[4:5]
	s_cbranch_execz .LBB356_919
; %bb.918:                              ;   in Loop: Header=BB356_530 Depth=1
	v_and_b32_e32 v5, 7, v6
	v_ffbh_u32_e32 v23, v5
	v_min_u32_e32 v23, 32, v23
	v_subrev_u32_e32 v24, 28, v23
	v_lshlrev_b64 v[36:37], v24, v[6:7]
	v_lshrrev_b32_e32 v22, 3, v10
	v_sub_u32_e32 v6, 29, v23
	v_and_b32_e32 v23, 7, v36
	v_cmp_gt_u32_e64 s[4:5], 8, v10
	v_cndmask_b32_e64 v6, v22, v6, s[4:5]
	v_cndmask_b32_e64 v5, v5, v23, s[4:5]
	v_lshlrev_b32_e32 v10, 16, v2
	v_lshlrev_b32_e32 v5, 20, v5
	v_and_b32_e32 v10, 0x80000000, v10
	v_lshl_add_u32 v6, v6, 23, v28
	v_or3_b32 v5, v10, v6, v5
.LBB356_919:                            ;   in Loop: Header=BB356_530 Depth=1
	s_or_b64 exec, exec, s[28:29]
.LBB356_920:                            ;   in Loop: Header=BB356_530 Depth=1
	s_or_b64 exec, exec, s[26:27]
.LBB356_921:                            ;   in Loop: Header=BB356_530 Depth=1
	s_or_b64 exec, exec, s[24:25]
	v_mul_f32_e32 v5, v7, v5
	v_and_b32_e32 v6, 0x7f800000, v5
	v_cmp_ne_u32_e64 s[4:5], s15, v6
                                        ; implicit-def: $vgpr22
	s_and_saveexec_b64 s[24:25], s[4:5]
	s_xor_b64 s[4:5], exec, s[24:25]
; %bb.922:                              ;   in Loop: Header=BB356_530 Depth=1
	v_bfe_u32 v6, v5, 16, 1
	v_add3_u32 v22, v5, v6, s30
                                        ; implicit-def: $vgpr5
; %bb.923:                              ;   in Loop: Header=BB356_530 Depth=1
	s_andn2_saveexec_b64 s[24:25], s[4:5]
; %bb.924:                              ;   in Loop: Header=BB356_530 Depth=1
	v_or_b32_e32 v6, 0x10000, v5
	v_cmp_eq_u32_sdwa s[4:5], v5, v11 src0_sel:WORD_0 src1_sel:DWORD
	v_cndmask_b32_e64 v22, v6, v5, s[4:5]
; %bb.925:                              ;   in Loop: Header=BB356_530 Depth=1
	s_or_b64 exec, exec, s[24:25]
	v_lshrrev_b32_e32 v6, 16, v2
	v_cmp_ne_u16_sdwa s[4:5], v6, v11 src0_sel:BYTE_0 src1_sel:DWORD
	v_mov_b32_e32 v5, 0
	s_and_saveexec_b64 s[24:25], s[4:5]
	s_cbranch_execz .LBB356_931
; %bb.926:                              ;   in Loop: Header=BB356_530 Depth=1
	v_cmp_ne_u16_sdwa s[4:5], v6, s31 src0_sel:BYTE_0 src1_sel:DWORD
	v_bfrev_b32_e32 v5, 1
	s_and_saveexec_b64 s[26:27], s[4:5]
	s_cbranch_execz .LBB356_930
; %bb.927:                              ;   in Loop: Header=BB356_530 Depth=1
	v_bfe_u32 v10, v2, 16, 7
	v_cmp_ne_u32_e64 s[4:5], s34, v10
	v_mov_b32_e32 v5, 0x7f800001
	s_and_saveexec_b64 s[28:29], s[4:5]
	s_cbranch_execz .LBB356_929
; %bb.928:                              ;   in Loop: Header=BB356_530 Depth=1
	v_and_b32_e32 v5, 7, v6
	v_ffbh_u32_e32 v24, v5
	v_min_u32_e32 v24, 32, v24
	v_subrev_u32_e32 v25, 28, v24
	v_lshlrev_b64 v[36:37], v25, v[6:7]
	v_lshrrev_b32_e32 v23, 3, v10
	v_sub_u32_e32 v24, 29, v24
	v_and_b32_e32 v25, 7, v36
	v_cmp_gt_u32_e64 s[4:5], 8, v10
	v_cndmask_b32_e64 v10, v23, v24, s[4:5]
	v_cndmask_b32_e64 v5, v5, v25, s[4:5]
	v_lshlrev_b32_e32 v6, 24, v6
	v_lshlrev_b32_e32 v5, 20, v5
	v_and_b32_e32 v6, 0x80000000, v6
	v_lshl_add_u32 v10, v10, 23, v28
	v_or3_b32 v5, v6, v10, v5
.LBB356_929:                            ;   in Loop: Header=BB356_530 Depth=1
	s_or_b64 exec, exec, s[28:29]
.LBB356_930:                            ;   in Loop: Header=BB356_530 Depth=1
	s_or_b64 exec, exec, s[26:27]
.LBB356_931:                            ;   in Loop: Header=BB356_530 Depth=1
	s_or_b64 exec, exec, s[24:25]
	v_mul_f32_e32 v5, v7, v5
	v_and_b32_e32 v6, 0x7f800000, v5
	v_cmp_ne_u32_e64 s[4:5], s15, v6
                                        ; implicit-def: $vgpr29
	s_and_saveexec_b64 s[24:25], s[4:5]
	s_xor_b64 s[4:5], exec, s[24:25]
; %bb.932:                              ;   in Loop: Header=BB356_530 Depth=1
	v_bfe_u32 v6, v5, 16, 1
	v_add3_u32 v29, v5, v6, s30
                                        ; implicit-def: $vgpr5
; %bb.933:                              ;   in Loop: Header=BB356_530 Depth=1
	s_andn2_saveexec_b64 s[24:25], s[4:5]
; %bb.934:                              ;   in Loop: Header=BB356_530 Depth=1
	v_or_b32_e32 v6, 0x10000, v5
	v_cmp_eq_u32_sdwa s[4:5], v5, v11 src0_sel:WORD_0 src1_sel:DWORD
	v_cndmask_b32_e64 v29, v6, v5, s[4:5]
; %bb.935:                              ;   in Loop: Header=BB356_530 Depth=1
	s_or_b64 exec, exec, s[24:25]
	v_cmp_lt_u32_e64 s[4:5], s11, v2
	v_mov_b32_e32 v5, 0
	s_and_saveexec_b64 s[24:25], s[4:5]
	s_cbranch_execz .LBB356_941
; %bb.936:                              ;   in Loop: Header=BB356_530 Depth=1
	v_lshrrev_b32_e32 v6, 24, v2
	v_cmp_ne_u32_e64 s[4:5], s31, v6
	v_bfrev_b32_e32 v5, 1
	s_and_saveexec_b64 s[26:27], s[4:5]
	s_cbranch_execz .LBB356_940
; %bb.937:                              ;   in Loop: Header=BB356_530 Depth=1
	v_bfe_u32 v10, v2, 24, 7
	v_cmp_ne_u32_e64 s[4:5], s34, v10
	v_mov_b32_e32 v5, 0x7f800001
	s_and_saveexec_b64 s[28:29], s[4:5]
	s_cbranch_execz .LBB356_939
; %bb.938:                              ;   in Loop: Header=BB356_530 Depth=1
	v_and_b32_e32 v5, 7, v6
	v_ffbh_u32_e32 v24, v5
	v_min_u32_e32 v24, 32, v24
	v_subrev_u32_e32 v25, 28, v24
	v_lshlrev_b64 v[36:37], v25, v[6:7]
	v_lshrrev_b32_e32 v23, 3, v10
	v_sub_u32_e32 v24, 29, v24
	v_and_b32_e32 v25, 7, v36
	v_cmp_gt_u32_e64 s[4:5], 8, v10
	v_cndmask_b32_e64 v10, v23, v24, s[4:5]
	v_cndmask_b32_e64 v5, v5, v25, s[4:5]
	v_lshlrev_b32_e32 v6, 24, v6
	v_lshlrev_b32_e32 v5, 20, v5
	v_and_b32_e32 v6, 0x80000000, v6
	v_lshl_add_u32 v10, v10, 23, v28
	v_or3_b32 v5, v6, v10, v5
.LBB356_939:                            ;   in Loop: Header=BB356_530 Depth=1
	s_or_b64 exec, exec, s[28:29]
.LBB356_940:                            ;   in Loop: Header=BB356_530 Depth=1
	s_or_b64 exec, exec, s[26:27]
.LBB356_941:                            ;   in Loop: Header=BB356_530 Depth=1
	s_or_b64 exec, exec, s[24:25]
	v_mul_f32_e32 v5, v7, v5
	v_and_b32_e32 v6, 0x7f800000, v5
	v_cmp_ne_u32_e64 s[4:5], s15, v6
                                        ; implicit-def: $vgpr37
	s_and_saveexec_b64 s[24:25], s[4:5]
	s_xor_b64 s[4:5], exec, s[24:25]
; %bb.942:                              ;   in Loop: Header=BB356_530 Depth=1
	v_bfe_u32 v6, v5, 16, 1
	v_add3_u32 v37, v5, v6, s30
                                        ; implicit-def: $vgpr5
; %bb.943:                              ;   in Loop: Header=BB356_530 Depth=1
	s_andn2_saveexec_b64 s[24:25], s[4:5]
; %bb.944:                              ;   in Loop: Header=BB356_530 Depth=1
	v_or_b32_e32 v6, 0x10000, v5
	v_cmp_eq_u32_sdwa s[4:5], v5, v11 src0_sel:WORD_0 src1_sel:DWORD
	v_cndmask_b32_e64 v37, v6, v5, s[4:5]
; %bb.945:                              ;   in Loop: Header=BB356_530 Depth=1
	s_or_b64 exec, exec, s[24:25]
	v_mov_b32_e32 v10, v3
	v_cmp_ne_u16_sdwa s[4:5], v3, v11 src0_sel:BYTE_0 src1_sel:DWORD
	v_mov_b32_e32 v5, 0
	s_and_saveexec_b64 s[24:25], s[4:5]
	s_cbranch_execz .LBB356_951
; %bb.946:                              ;   in Loop: Header=BB356_530 Depth=1
	v_cmp_ne_u16_sdwa s[4:5], v3, s31 src0_sel:BYTE_0 src1_sel:DWORD
	v_bfrev_b32_e32 v5, 1
	s_and_saveexec_b64 s[26:27], s[4:5]
	s_cbranch_execz .LBB356_950
; %bb.947:                              ;   in Loop: Header=BB356_530 Depth=1
	v_and_b32_e32 v6, 0x7f, v3
	v_cmp_ne_u32_e64 s[4:5], s34, v6
	v_mov_b32_e32 v5, 0x7f800001
	s_and_saveexec_b64 s[28:29], s[4:5]
	s_cbranch_execz .LBB356_949
; %bb.948:                              ;   in Loop: Header=BB356_530 Depth=1
	v_and_b32_e32 v5, 7, v3
	v_ffbh_u32_e32 v5, v5
	v_min_u32_e32 v5, 32, v5
	v_subrev_u32_e32 v24, 28, v5
	v_cmp_gt_u32_e64 s[4:5], 8, v6
	v_lshrrev_b32_e32 v23, 3, v6
	v_cndmask_b32_e64 v6, 0, v24, s[4:5]
	v_sub_u32_e32 v5, 29, v5
	v_lshlrev_b64 v[38:39], v6, v[10:11]
	v_cndmask_b32_e64 v5, v23, v5, s[4:5]
	v_lshlrev_b32_e32 v6, 20, v38
	v_lshlrev_b32_e32 v23, 24, v10
	v_and_b32_e32 v6, 0x700000, v6
	v_and_b32_e32 v23, 0x80000000, v23
	v_lshl_add_u32 v5, v5, 23, v28
	v_or3_b32 v5, v23, v5, v6
.LBB356_949:                            ;   in Loop: Header=BB356_530 Depth=1
	s_or_b64 exec, exec, s[28:29]
.LBB356_950:                            ;   in Loop: Header=BB356_530 Depth=1
	s_or_b64 exec, exec, s[26:27]
.LBB356_951:                            ;   in Loop: Header=BB356_530 Depth=1
	s_or_b64 exec, exec, s[24:25]
	v_mul_f32_e32 v5, v7, v5
	v_and_b32_e32 v6, 0x7f800000, v5
	v_cmp_ne_u32_e64 s[4:5], s15, v6
                                        ; implicit-def: $vgpr25
	s_and_saveexec_b64 s[24:25], s[4:5]
	s_xor_b64 s[4:5], exec, s[24:25]
; %bb.952:                              ;   in Loop: Header=BB356_530 Depth=1
	v_bfe_u32 v6, v5, 16, 1
	v_add3_u32 v25, v5, v6, s30
                                        ; implicit-def: $vgpr5
; %bb.953:                              ;   in Loop: Header=BB356_530 Depth=1
	s_andn2_saveexec_b64 s[24:25], s[4:5]
; %bb.954:                              ;   in Loop: Header=BB356_530 Depth=1
	v_or_b32_e32 v6, 0x10000, v5
	v_cmp_eq_u32_sdwa s[4:5], v5, v11 src0_sel:WORD_0 src1_sel:DWORD
	v_cndmask_b32_e64 v25, v6, v5, s[4:5]
; %bb.955:                              ;   in Loop: Header=BB356_530 Depth=1
	s_or_b64 exec, exec, s[24:25]
	v_lshrrev_b16_e32 v6, 8, v10
	v_cmp_ne_u16_e64 s[4:5], 0, v6
	v_mov_b32_e32 v5, 0
	s_and_saveexec_b64 s[24:25], s[4:5]
	s_cbranch_execz .LBB356_961
; %bb.956:                              ;   in Loop: Header=BB356_530 Depth=1
	v_cmp_ne_u16_e64 s[4:5], s31, v6
	v_bfrev_b32_e32 v5, 1
	s_and_saveexec_b64 s[26:27], s[4:5]
	s_cbranch_execz .LBB356_960
; %bb.957:                              ;   in Loop: Header=BB356_530 Depth=1
	v_and_b32_e32 v32, 0x7f, v6
	v_cmp_ne_u32_e64 s[4:5], s34, v32
	v_mov_b32_e32 v5, 0x7f800001
	s_and_saveexec_b64 s[28:29], s[4:5]
	s_cbranch_execz .LBB356_959
; %bb.958:                              ;   in Loop: Header=BB356_530 Depth=1
	v_and_b32_e32 v5, 7, v6
	v_ffbh_u32_e32 v24, v5
	v_min_u32_e32 v24, 32, v24
	v_subrev_u32_e32 v26, 28, v24
	v_lshlrev_b64 v[38:39], v26, v[6:7]
	v_lshrrev_b32_e32 v23, 3, v32
	v_sub_u32_e32 v6, 29, v24
	v_and_b32_e32 v24, 7, v38
	v_cmp_gt_u32_e64 s[4:5], 8, v32
	v_cndmask_b32_e64 v6, v23, v6, s[4:5]
	v_cndmask_b32_e64 v5, v5, v24, s[4:5]
	v_lshlrev_b32_e32 v10, 16, v10
	v_lshlrev_b32_e32 v5, 20, v5
	v_and_b32_e32 v10, 0x80000000, v10
	v_lshl_add_u32 v6, v6, 23, v28
	v_or3_b32 v5, v10, v6, v5
.LBB356_959:                            ;   in Loop: Header=BB356_530 Depth=1
	s_or_b64 exec, exec, s[28:29]
.LBB356_960:                            ;   in Loop: Header=BB356_530 Depth=1
	s_or_b64 exec, exec, s[26:27]
.LBB356_961:                            ;   in Loop: Header=BB356_530 Depth=1
	s_or_b64 exec, exec, s[24:25]
	v_mul_f32_e32 v6, v7, v5
	v_and_b32_e32 v5, 0x7f800000, v6
	v_cmp_ne_u32_e64 s[4:5], s15, v5
                                        ; implicit-def: $vgpr5
	s_and_saveexec_b64 s[24:25], s[4:5]
	s_xor_b64 s[4:5], exec, s[24:25]
; %bb.962:                              ;   in Loop: Header=BB356_530 Depth=1
	v_bfe_u32 v5, v6, 16, 1
	v_add3_u32 v5, v6, v5, s30
                                        ; implicit-def: $vgpr6
; %bb.963:                              ;   in Loop: Header=BB356_530 Depth=1
	s_andn2_saveexec_b64 s[24:25], s[4:5]
; %bb.964:                              ;   in Loop: Header=BB356_530 Depth=1
	v_or_b32_e32 v5, 0x10000, v6
	v_cmp_eq_u32_sdwa s[4:5], v6, v11 src0_sel:WORD_0 src1_sel:DWORD
	v_cndmask_b32_e64 v5, v5, v6, s[4:5]
; %bb.965:                              ;   in Loop: Header=BB356_530 Depth=1
	s_or_b64 exec, exec, s[24:25]
	v_lshrrev_b32_e32 v6, 16, v3
	v_cmp_ne_u16_sdwa s[4:5], v6, v11 src0_sel:BYTE_0 src1_sel:DWORD
	v_mov_b32_e32 v10, 0
	s_and_saveexec_b64 s[24:25], s[4:5]
	s_cbranch_execz .LBB356_971
; %bb.966:                              ;   in Loop: Header=BB356_530 Depth=1
	v_cmp_ne_u16_sdwa s[4:5], v6, s31 src0_sel:BYTE_0 src1_sel:DWORD
	v_bfrev_b32_e32 v10, 1
	s_and_saveexec_b64 s[26:27], s[4:5]
	s_cbranch_execz .LBB356_970
; %bb.967:                              ;   in Loop: Header=BB356_530 Depth=1
	v_bfe_u32 v32, v3, 16, 7
	v_cmp_ne_u32_e64 s[4:5], s34, v32
	v_mov_b32_e32 v10, 0x7f800001
	s_and_saveexec_b64 s[28:29], s[4:5]
	s_cbranch_execz .LBB356_969
; %bb.968:                              ;   in Loop: Header=BB356_530 Depth=1
	v_and_b32_e32 v10, 7, v6
	v_ffbh_u32_e32 v24, v10
	v_min_u32_e32 v24, 32, v24
	v_subrev_u32_e32 v26, 28, v24
	v_lshlrev_b64 v[38:39], v26, v[6:7]
	v_lshrrev_b32_e32 v23, 3, v32
	v_sub_u32_e32 v24, 29, v24
	v_and_b32_e32 v26, 7, v38
	v_cmp_gt_u32_e64 s[4:5], 8, v32
	v_cndmask_b32_e64 v23, v23, v24, s[4:5]
	v_cndmask_b32_e64 v10, v10, v26, s[4:5]
	v_lshlrev_b32_e32 v6, 24, v6
	v_lshlrev_b32_e32 v10, 20, v10
	v_and_b32_e32 v6, 0x80000000, v6
	v_lshl_add_u32 v23, v23, 23, v28
	v_or3_b32 v10, v6, v23, v10
.LBB356_969:                            ;   in Loop: Header=BB356_530 Depth=1
	s_or_b64 exec, exec, s[28:29]
.LBB356_970:                            ;   in Loop: Header=BB356_530 Depth=1
	s_or_b64 exec, exec, s[26:27]
.LBB356_971:                            ;   in Loop: Header=BB356_530 Depth=1
	s_or_b64 exec, exec, s[24:25]
	v_mul_f32_e32 v6, v7, v10
	v_and_b32_e32 v10, 0x7f800000, v6
	v_cmp_ne_u32_e64 s[4:5], s15, v10
                                        ; implicit-def: $vgpr34
	s_and_saveexec_b64 s[24:25], s[4:5]
	s_xor_b64 s[4:5], exec, s[24:25]
; %bb.972:                              ;   in Loop: Header=BB356_530 Depth=1
	v_bfe_u32 v10, v6, 16, 1
	v_add3_u32 v34, v6, v10, s30
                                        ; implicit-def: $vgpr6
; %bb.973:                              ;   in Loop: Header=BB356_530 Depth=1
	s_andn2_saveexec_b64 s[24:25], s[4:5]
; %bb.974:                              ;   in Loop: Header=BB356_530 Depth=1
	v_or_b32_e32 v10, 0x10000, v6
	v_cmp_eq_u32_sdwa s[4:5], v6, v11 src0_sel:WORD_0 src1_sel:DWORD
	v_cndmask_b32_e64 v34, v10, v6, s[4:5]
; %bb.975:                              ;   in Loop: Header=BB356_530 Depth=1
	s_or_b64 exec, exec, s[24:25]
	v_cmp_lt_u64_e64 s[4:5], s[10:11], v[2:3]
	v_mov_b32_e32 v6, 0
	s_and_saveexec_b64 s[24:25], s[4:5]
	s_cbranch_execz .LBB356_981
; %bb.976:                              ;   in Loop: Header=BB356_530 Depth=1
	v_lshrrev_b32_e32 v2, 24, v3
	v_cmp_ne_u32_e64 s[4:5], s31, v2
	v_bfrev_b32_e32 v6, 1
	s_and_saveexec_b64 s[26:27], s[4:5]
	s_cbranch_execz .LBB356_980
; %bb.977:                              ;   in Loop: Header=BB356_530 Depth=1
	v_bfe_u32 v3, v3, 24, 7
	v_cmp_ne_u32_e64 s[4:5], s34, v3
	v_mov_b32_e32 v6, 0x7f800001
	s_and_saveexec_b64 s[28:29], s[4:5]
	s_cbranch_execz .LBB356_979
; %bb.978:                              ;   in Loop: Header=BB356_530 Depth=1
	v_and_b32_e32 v6, 7, v2
	v_ffbh_u32_e32 v23, v6
	v_min_u32_e32 v23, 32, v23
	v_subrev_u32_e32 v24, 28, v23
	v_lshlrev_b64 v[38:39], v24, v[2:3]
	v_lshrrev_b32_e32 v10, 3, v3
	v_sub_u32_e32 v23, 29, v23
	v_and_b32_e32 v24, 7, v38
	v_cmp_gt_u32_e64 s[4:5], 8, v3
	v_cndmask_b32_e64 v3, v10, v23, s[4:5]
	v_cndmask_b32_e64 v6, v6, v24, s[4:5]
	v_lshlrev_b32_e32 v2, 24, v2
	v_lshlrev_b32_e32 v6, 20, v6
	v_and_b32_e32 v2, 0x80000000, v2
	v_lshl_add_u32 v3, v3, 23, v28
	v_or3_b32 v6, v2, v3, v6
.LBB356_979:                            ;   in Loop: Header=BB356_530 Depth=1
	s_or_b64 exec, exec, s[28:29]
.LBB356_980:                            ;   in Loop: Header=BB356_530 Depth=1
	s_or_b64 exec, exec, s[26:27]
.LBB356_981:                            ;   in Loop: Header=BB356_530 Depth=1
	s_or_b64 exec, exec, s[24:25]
	v_mul_f32_e32 v3, v7, v6
	v_and_b32_e32 v2, 0x7f800000, v3
	v_cmp_ne_u32_e64 s[4:5], s15, v2
                                        ; implicit-def: $vgpr2
	s_and_saveexec_b64 s[24:25], s[4:5]
	s_xor_b64 s[4:5], exec, s[24:25]
; %bb.982:                              ;   in Loop: Header=BB356_530 Depth=1
	v_bfe_u32 v2, v3, 16, 1
	v_add3_u32 v2, v3, v2, s30
                                        ; implicit-def: $vgpr3
; %bb.983:                              ;   in Loop: Header=BB356_530 Depth=1
	s_andn2_saveexec_b64 s[24:25], s[4:5]
; %bb.984:                              ;   in Loop: Header=BB356_530 Depth=1
	v_or_b32_e32 v2, 0x10000, v3
	v_cmp_eq_u32_sdwa s[4:5], v3, v11 src0_sel:WORD_0 src1_sel:DWORD
	v_cndmask_b32_e64 v2, v2, v3, s[4:5]
; %bb.985:                              ;   in Loop: Header=BB356_530 Depth=1
	s_or_b64 exec, exec, s[24:25]
	v_lshrrev_b32_e32 v5, 16, v5
	v_lshrrev_b32_e32 v6, 16, v25
	;; [unrolled: 1-line block ×8, first 2 shown]
	s_and_saveexec_b64 s[24:25], vcc
	s_cbranch_execz .LBB356_987
; %bb.986:                              ;   in Loop: Header=BB356_530 Depth=1
	v_accvgpr_read_b32 v22, a3
	v_cmp_lt_i32_e64 s[4:5], v50, v22
	v_accvgpr_read_b32 v23, a36
	v_cndmask_b32_e64 v9, 0, v9, s[4:5]
	v_cmp_lt_i32_e64 s[4:5], v23, v22
	v_accvgpr_read_b32 v23, a35
	v_cndmask_b32_e64 v29, 0, v29, s[4:5]
	;; [unrolled: 3-line block ×7, first 2 shown]
	v_cmp_lt_i32_e64 s[4:5], v23, v22
	v_cndmask_b32_e64 v2, 0, v2, s[4:5]
.LBB356_987:                            ;   in Loop: Header=BB356_530 Depth=1
	s_or_b64 exec, exec, s[24:25]
	v_lshlrev_b32_e32 v9, 16, v9
	v_mul_f32_e32 v9, v44, v9
	v_and_b32_e32 v22, 0x7f800000, v9
	v_cmp_ne_u32_e64 s[4:5], s15, v22
                                        ; implicit-def: $vgpr22
	s_and_saveexec_b64 s[24:25], s[4:5]
	s_xor_b64 s[4:5], exec, s[24:25]
; %bb.988:                              ;   in Loop: Header=BB356_530 Depth=1
	v_bfe_u32 v22, v9, 16, 1
	v_add3_u32 v22, v9, v22, s30
                                        ; implicit-def: $vgpr9
; %bb.989:                              ;   in Loop: Header=BB356_530 Depth=1
	s_andn2_saveexec_b64 s[24:25], s[4:5]
; %bb.990:                              ;   in Loop: Header=BB356_530 Depth=1
	v_or_b32_e32 v22, 0x10000, v9
	v_cmp_eq_u32_sdwa s[4:5], v9, v11 src0_sel:WORD_0 src1_sel:DWORD
	v_cndmask_b32_e64 v22, v22, v9, s[4:5]
; %bb.991:                              ;   in Loop: Header=BB356_530 Depth=1
	s_or_b64 exec, exec, s[24:25]
	v_lshlrev_b32_e32 v9, 16, v29
	v_mul_f32_e32 v29, v46, v9
	v_and_b32_e32 v9, 0x7f800000, v29
	v_cmp_ne_u32_e64 s[4:5], s15, v9
                                        ; implicit-def: $vgpr9
	s_and_saveexec_b64 s[24:25], s[4:5]
	s_xor_b64 s[4:5], exec, s[24:25]
; %bb.992:                              ;   in Loop: Header=BB356_530 Depth=1
	v_bfe_u32 v9, v29, 16, 1
	v_add3_u32 v9, v29, v9, s30
                                        ; implicit-def: $vgpr29
; %bb.993:                              ;   in Loop: Header=BB356_530 Depth=1
	s_andn2_saveexec_b64 s[24:25], s[4:5]
; %bb.994:                              ;   in Loop: Header=BB356_530 Depth=1
	v_or_b32_e32 v9, 0x10000, v29
	v_cmp_eq_u32_sdwa s[4:5], v29, v11 src0_sel:WORD_0 src1_sel:DWORD
	v_cndmask_b32_e64 v9, v9, v29, s[4:5]
; %bb.995:                              ;   in Loop: Header=BB356_530 Depth=1
	s_or_b64 exec, exec, s[24:25]
	v_lshlrev_b32_e32 v23, 16, v25
	v_mul_f32_e32 v25, v47, v23
	v_and_b32_e32 v23, 0x7f800000, v25
	v_cmp_ne_u32_e64 s[4:5], s15, v23
                                        ; implicit-def: $vgpr29
	s_and_saveexec_b64 s[24:25], s[4:5]
	s_xor_b64 s[4:5], exec, s[24:25]
; %bb.996:                              ;   in Loop: Header=BB356_530 Depth=1
	v_bfe_u32 v23, v25, 16, 1
	v_add3_u32 v29, v25, v23, s30
                                        ; implicit-def: $vgpr25
; %bb.997:                              ;   in Loop: Header=BB356_530 Depth=1
	s_andn2_saveexec_b64 s[24:25], s[4:5]
; %bb.998:                              ;   in Loop: Header=BB356_530 Depth=1
	v_or_b32_e32 v23, 0x10000, v25
	v_cmp_eq_u32_sdwa s[4:5], v25, v11 src0_sel:WORD_0 src1_sel:DWORD
	v_cndmask_b32_e64 v29, v23, v25, s[4:5]
; %bb.999:                              ;   in Loop: Header=BB356_530 Depth=1
	s_or_b64 exec, exec, s[24:25]
	v_lshlrev_b32_e32 v10, 16, v10
	v_mul_f32_e32 v10, v56, v10
	v_and_b32_e32 v23, 0x7f800000, v10
	v_cmp_ne_u32_e64 s[4:5], s15, v23
                                        ; implicit-def: $vgpr37
	s_and_saveexec_b64 s[24:25], s[4:5]
	s_xor_b64 s[4:5], exec, s[24:25]
; %bb.1000:                             ;   in Loop: Header=BB356_530 Depth=1
	v_bfe_u32 v23, v10, 16, 1
	v_add3_u32 v37, v10, v23, s30
                                        ; implicit-def: $vgpr10
; %bb.1001:                             ;   in Loop: Header=BB356_530 Depth=1
	s_andn2_saveexec_b64 s[24:25], s[4:5]
; %bb.1002:                             ;   in Loop: Header=BB356_530 Depth=1
	v_or_b32_e32 v23, 0x10000, v10
	v_cmp_eq_u32_sdwa s[4:5], v10, v11 src0_sel:WORD_0 src1_sel:DWORD
	v_cndmask_b32_e64 v37, v23, v10, s[4:5]
; %bb.1003:                             ;   in Loop: Header=BB356_530 Depth=1
	s_or_b64 exec, exec, s[24:25]
	v_lshlrev_b32_e32 v6, 16, v6
	v_mul_f32_e32 v6, v57, v6
	v_and_b32_e32 v10, 0x7f800000, v6
	v_cmp_ne_u32_e64 s[4:5], s15, v10
                                        ; implicit-def: $vgpr38
	s_and_saveexec_b64 s[24:25], s[4:5]
	s_xor_b64 s[4:5], exec, s[24:25]
; %bb.1004:                             ;   in Loop: Header=BB356_530 Depth=1
	v_bfe_u32 v10, v6, 16, 1
	v_add3_u32 v38, v6, v10, s30
                                        ; implicit-def: $vgpr6
; %bb.1005:                             ;   in Loop: Header=BB356_530 Depth=1
	s_andn2_saveexec_b64 s[24:25], s[4:5]
; %bb.1006:                             ;   in Loop: Header=BB356_530 Depth=1
	v_or_b32_e32 v10, 0x10000, v6
	v_cmp_eq_u32_sdwa s[4:5], v6, v11 src0_sel:WORD_0 src1_sel:DWORD
	v_cndmask_b32_e64 v38, v10, v6, s[4:5]
; %bb.1007:                             ;   in Loop: Header=BB356_530 Depth=1
	s_or_b64 exec, exec, s[24:25]
	v_lshlrev_b32_e32 v5, 16, v5
	v_mul_f32_e32 v5, v58, v5
	v_and_b32_e32 v6, 0x7f800000, v5
	v_cmp_ne_u32_e64 s[4:5], s15, v6
                                        ; implicit-def: $vgpr39
	s_and_saveexec_b64 s[24:25], s[4:5]
	s_xor_b64 s[4:5], exec, s[24:25]
; %bb.1008:                             ;   in Loop: Header=BB356_530 Depth=1
	v_bfe_u32 v6, v5, 16, 1
	v_add3_u32 v39, v5, v6, s30
                                        ; implicit-def: $vgpr5
; %bb.1009:                             ;   in Loop: Header=BB356_530 Depth=1
	s_andn2_saveexec_b64 s[24:25], s[4:5]
; %bb.1010:                             ;   in Loop: Header=BB356_530 Depth=1
	v_or_b32_e32 v6, 0x10000, v5
	v_cmp_eq_u32_sdwa s[4:5], v5, v11 src0_sel:WORD_0 src1_sel:DWORD
	v_cndmask_b32_e64 v39, v6, v5, s[4:5]
; %bb.1011:                             ;   in Loop: Header=BB356_530 Depth=1
	s_or_b64 exec, exec, s[24:25]
	v_lshlrev_b32_e32 v3, 16, v3
	v_mul_f32_e32 v3, v60, v3
	v_and_b32_e32 v5, 0x7f800000, v3
	v_cmp_ne_u32_e64 s[4:5], s15, v5
                                        ; implicit-def: $vgpr48
	s_and_saveexec_b64 s[24:25], s[4:5]
	s_xor_b64 s[4:5], exec, s[24:25]
; %bb.1012:                             ;   in Loop: Header=BB356_530 Depth=1
	v_bfe_u32 v5, v3, 16, 1
	v_add3_u32 v48, v3, v5, s30
                                        ; implicit-def: $vgpr3
; %bb.1013:                             ;   in Loop: Header=BB356_530 Depth=1
	s_andn2_saveexec_b64 s[24:25], s[4:5]
; %bb.1014:                             ;   in Loop: Header=BB356_530 Depth=1
	v_or_b32_e32 v5, 0x10000, v3
	v_cmp_eq_u32_sdwa s[4:5], v3, v11 src0_sel:WORD_0 src1_sel:DWORD
	v_cndmask_b32_e64 v48, v5, v3, s[4:5]
; %bb.1015:                             ;   in Loop: Header=BB356_530 Depth=1
	s_or_b64 exec, exec, s[24:25]
	v_lshlrev_b32_e32 v2, 16, v2
	v_mul_f32_e32 v2, v33, v2
	v_and_b32_e32 v3, 0x7f800000, v2
	v_cmp_ne_u32_e64 s[4:5], s15, v3
                                        ; implicit-def: $vgpr49
	s_and_saveexec_b64 s[24:25], s[4:5]
	s_xor_b64 s[4:5], exec, s[24:25]
; %bb.1016:                             ;   in Loop: Header=BB356_530 Depth=1
	v_bfe_u32 v3, v2, 16, 1
	v_add3_u32 v49, v2, v3, s30
                                        ; implicit-def: $vgpr2
; %bb.1017:                             ;   in Loop: Header=BB356_530 Depth=1
	s_andn2_saveexec_b64 s[24:25], s[4:5]
; %bb.1018:                             ;   in Loop: Header=BB356_530 Depth=1
	v_or_b32_e32 v3, 0x10000, v2
	v_cmp_eq_u32_sdwa s[4:5], v2, v11 src0_sel:WORD_0 src1_sel:DWORD
	v_cndmask_b32_e64 v49, v3, v2, s[4:5]
; %bb.1019:                             ;   in Loop: Header=BB356_530 Depth=1
	s_or_b64 exec, exec, s[24:25]
	flat_load_dwordx2 v[2:3], v[0:1] offset:2048
	v_mov_b32_e32 v5, 0
	s_waitcnt vmcnt(0) lgkmcnt(0)
	v_cmp_ne_u16_sdwa s[4:5], v2, v11 src0_sel:BYTE_0 src1_sel:DWORD
	s_and_saveexec_b64 s[24:25], s[4:5]
	s_cbranch_execz .LBB356_1025
; %bb.1020:                             ;   in Loop: Header=BB356_530 Depth=1
	v_cmp_ne_u16_sdwa s[4:5], v2, s31 src0_sel:BYTE_0 src1_sel:DWORD
	v_bfrev_b32_e32 v5, 1
	s_and_saveexec_b64 s[26:27], s[4:5]
	s_cbranch_execz .LBB356_1024
; %bb.1021:                             ;   in Loop: Header=BB356_530 Depth=1
	v_and_b32_e32 v6, 0x7f, v2
	v_cmp_ne_u32_e64 s[4:5], s34, v6
	v_mov_b32_e32 v5, 0x7f800001
	s_and_saveexec_b64 s[28:29], s[4:5]
	s_cbranch_execz .LBB356_1023
; %bb.1022:                             ;   in Loop: Header=BB356_530 Depth=1
	v_and_b32_e32 v5, 7, v2
	v_ffbh_u32_e32 v5, v5
	v_min_u32_e32 v5, 32, v5
	v_subrev_u32_e32 v23, 28, v5
	v_cmp_gt_u32_e64 s[4:5], 8, v6
	v_lshrrev_b32_e32 v10, 3, v6
	v_cndmask_b32_e64 v6, 0, v23, s[4:5]
	v_sub_u32_e32 v5, 29, v5
	v_lshlrev_b64 v[52:53], v6, v[2:3]
	v_cndmask_b32_e64 v5, v10, v5, s[4:5]
	v_lshlrev_b32_e32 v6, 20, v52
	v_lshlrev_b32_e32 v10, 24, v2
	v_and_b32_e32 v6, 0x700000, v6
	v_and_b32_e32 v10, 0x80000000, v10
	v_lshl_add_u32 v5, v5, 23, v28
	v_or3_b32 v5, v10, v5, v6
.LBB356_1023:                           ;   in Loop: Header=BB356_530 Depth=1
	s_or_b64 exec, exec, s[28:29]
.LBB356_1024:                           ;   in Loop: Header=BB356_530 Depth=1
	s_or_b64 exec, exec, s[26:27]
.LBB356_1025:                           ;   in Loop: Header=BB356_530 Depth=1
	s_or_b64 exec, exec, s[24:25]
	v_mul_f32_e32 v5, v7, v5
	v_and_b32_e32 v6, 0x7f800000, v5
	v_cmp_ne_u32_e64 s[4:5], s15, v6
                                        ; implicit-def: $vgpr51
	s_and_saveexec_b64 s[24:25], s[4:5]
	s_xor_b64 s[4:5], exec, s[24:25]
; %bb.1026:                             ;   in Loop: Header=BB356_530 Depth=1
	v_bfe_u32 v6, v5, 16, 1
	v_add3_u32 v51, v5, v6, s30
                                        ; implicit-def: $vgpr5
; %bb.1027:                             ;   in Loop: Header=BB356_530 Depth=1
	s_andn2_saveexec_b64 s[24:25], s[4:5]
; %bb.1028:                             ;   in Loop: Header=BB356_530 Depth=1
	v_or_b32_e32 v6, 0x10000, v5
	v_cmp_eq_u32_sdwa s[4:5], v5, v11 src0_sel:WORD_0 src1_sel:DWORD
	v_cndmask_b32_e64 v51, v6, v5, s[4:5]
; %bb.1029:                             ;   in Loop: Header=BB356_530 Depth=1
	s_or_b64 exec, exec, s[24:25]
	v_lshrrev_b16_e32 v6, 8, v2
	v_cmp_ne_u16_e64 s[4:5], 0, v6
	v_mov_b32_e32 v5, 0
	s_and_saveexec_b64 s[24:25], s[4:5]
	s_cbranch_execz .LBB356_1035
; %bb.1030:                             ;   in Loop: Header=BB356_530 Depth=1
	v_cmp_ne_u16_e64 s[4:5], s31, v6
	v_bfrev_b32_e32 v5, 1
	s_and_saveexec_b64 s[26:27], s[4:5]
	s_cbranch_execz .LBB356_1034
; %bb.1031:                             ;   in Loop: Header=BB356_530 Depth=1
	v_and_b32_e32 v10, 0x7f, v6
	v_cmp_ne_u32_e64 s[4:5], s34, v10
	v_mov_b32_e32 v5, 0x7f800001
	s_and_saveexec_b64 s[28:29], s[4:5]
	s_cbranch_execz .LBB356_1033
; %bb.1032:                             ;   in Loop: Header=BB356_530 Depth=1
	v_and_b32_e32 v5, 7, v6
	v_ffbh_u32_e32 v24, v5
	v_min_u32_e32 v24, 32, v24
	v_subrev_u32_e32 v25, 28, v24
	v_lshlrev_b64 v[52:53], v25, v[6:7]
	v_lshrrev_b32_e32 v23, 3, v10
	v_sub_u32_e32 v6, 29, v24
	v_and_b32_e32 v24, 7, v52
	v_cmp_gt_u32_e64 s[4:5], 8, v10
	v_cndmask_b32_e64 v6, v23, v6, s[4:5]
	v_cndmask_b32_e64 v5, v5, v24, s[4:5]
	v_lshlrev_b32_e32 v10, 16, v2
	v_lshlrev_b32_e32 v5, 20, v5
	v_and_b32_e32 v10, 0x80000000, v10
	v_lshl_add_u32 v6, v6, 23, v28
	v_or3_b32 v5, v10, v6, v5
.LBB356_1033:                           ;   in Loop: Header=BB356_530 Depth=1
	s_or_b64 exec, exec, s[28:29]
.LBB356_1034:                           ;   in Loop: Header=BB356_530 Depth=1
	s_or_b64 exec, exec, s[26:27]
.LBB356_1035:                           ;   in Loop: Header=BB356_530 Depth=1
	s_or_b64 exec, exec, s[24:25]
	v_mul_f32_e32 v5, v7, v5
	v_and_b32_e32 v6, 0x7f800000, v5
	v_cmp_ne_u32_e64 s[4:5], s15, v6
                                        ; implicit-def: $vgpr52
	s_and_saveexec_b64 s[24:25], s[4:5]
	s_xor_b64 s[4:5], exec, s[24:25]
; %bb.1036:                             ;   in Loop: Header=BB356_530 Depth=1
	v_bfe_u32 v6, v5, 16, 1
	v_add3_u32 v52, v5, v6, s30
                                        ; implicit-def: $vgpr5
; %bb.1037:                             ;   in Loop: Header=BB356_530 Depth=1
	s_andn2_saveexec_b64 s[24:25], s[4:5]
; %bb.1038:                             ;   in Loop: Header=BB356_530 Depth=1
	v_or_b32_e32 v6, 0x10000, v5
	v_cmp_eq_u32_sdwa s[4:5], v5, v11 src0_sel:WORD_0 src1_sel:DWORD
	v_cndmask_b32_e64 v52, v6, v5, s[4:5]
; %bb.1039:                             ;   in Loop: Header=BB356_530 Depth=1
	s_or_b64 exec, exec, s[24:25]
	v_lshrrev_b32_e32 v6, 16, v2
	v_cmp_ne_u16_sdwa s[4:5], v6, v11 src0_sel:BYTE_0 src1_sel:DWORD
	v_mov_b32_e32 v5, 0
	s_and_saveexec_b64 s[24:25], s[4:5]
	s_cbranch_execz .LBB356_1045
; %bb.1040:                             ;   in Loop: Header=BB356_530 Depth=1
	v_cmp_ne_u16_sdwa s[4:5], v6, s31 src0_sel:BYTE_0 src1_sel:DWORD
	v_bfrev_b32_e32 v5, 1
	s_and_saveexec_b64 s[26:27], s[4:5]
	s_cbranch_execz .LBB356_1044
; %bb.1041:                             ;   in Loop: Header=BB356_530 Depth=1
	v_bfe_u32 v10, v2, 16, 7
	v_cmp_ne_u32_e64 s[4:5], s34, v10
	v_mov_b32_e32 v5, 0x7f800001
	s_and_saveexec_b64 s[28:29], s[4:5]
	s_cbranch_execz .LBB356_1043
; %bb.1042:                             ;   in Loop: Header=BB356_530 Depth=1
	v_and_b32_e32 v5, 7, v6
	v_ffbh_u32_e32 v24, v5
	v_min_u32_e32 v24, 32, v24
	v_subrev_u32_e32 v25, 28, v24
	v_lshlrev_b64 v[54:55], v25, v[6:7]
	v_lshrrev_b32_e32 v23, 3, v10
	v_sub_u32_e32 v24, 29, v24
	v_and_b32_e32 v25, 7, v54
	v_cmp_gt_u32_e64 s[4:5], 8, v10
	v_cndmask_b32_e64 v10, v23, v24, s[4:5]
	v_cndmask_b32_e64 v5, v5, v25, s[4:5]
	v_lshlrev_b32_e32 v6, 24, v6
	v_lshlrev_b32_e32 v5, 20, v5
	v_and_b32_e32 v6, 0x80000000, v6
	v_lshl_add_u32 v10, v10, 23, v28
	v_or3_b32 v5, v6, v10, v5
.LBB356_1043:                           ;   in Loop: Header=BB356_530 Depth=1
	s_or_b64 exec, exec, s[28:29]
.LBB356_1044:                           ;   in Loop: Header=BB356_530 Depth=1
	s_or_b64 exec, exec, s[26:27]
.LBB356_1045:                           ;   in Loop: Header=BB356_530 Depth=1
	s_or_b64 exec, exec, s[24:25]
	v_mul_f32_e32 v5, v7, v5
	v_and_b32_e32 v6, 0x7f800000, v5
	v_cmp_ne_u32_e64 s[4:5], s15, v6
                                        ; implicit-def: $vgpr53
	s_and_saveexec_b64 s[24:25], s[4:5]
	s_xor_b64 s[4:5], exec, s[24:25]
; %bb.1046:                             ;   in Loop: Header=BB356_530 Depth=1
	v_bfe_u32 v6, v5, 16, 1
	v_add3_u32 v53, v5, v6, s30
                                        ; implicit-def: $vgpr5
; %bb.1047:                             ;   in Loop: Header=BB356_530 Depth=1
	s_andn2_saveexec_b64 s[24:25], s[4:5]
; %bb.1048:                             ;   in Loop: Header=BB356_530 Depth=1
	v_or_b32_e32 v6, 0x10000, v5
	v_cmp_eq_u32_sdwa s[4:5], v5, v11 src0_sel:WORD_0 src1_sel:DWORD
	v_cndmask_b32_e64 v53, v6, v5, s[4:5]
; %bb.1049:                             ;   in Loop: Header=BB356_530 Depth=1
	s_or_b64 exec, exec, s[24:25]
	v_cmp_lt_u32_e64 s[4:5], s11, v2
	v_mov_b32_e32 v5, 0
	s_and_saveexec_b64 s[24:25], s[4:5]
	s_cbranch_execz .LBB356_1055
; %bb.1050:                             ;   in Loop: Header=BB356_530 Depth=1
	v_lshrrev_b32_e32 v6, 24, v2
	v_cmp_ne_u32_e64 s[4:5], s31, v6
	v_bfrev_b32_e32 v5, 1
	s_and_saveexec_b64 s[26:27], s[4:5]
	s_cbranch_execz .LBB356_1054
; %bb.1051:                             ;   in Loop: Header=BB356_530 Depth=1
	v_bfe_u32 v10, v2, 24, 7
	v_cmp_ne_u32_e64 s[4:5], s34, v10
	v_mov_b32_e32 v5, 0x7f800001
	s_and_saveexec_b64 s[28:29], s[4:5]
	s_cbranch_execz .LBB356_1053
; %bb.1052:                             ;   in Loop: Header=BB356_530 Depth=1
	v_and_b32_e32 v5, 7, v6
	v_ffbh_u32_e32 v24, v5
	v_min_u32_e32 v24, 32, v24
	v_subrev_u32_e32 v25, 28, v24
	v_lshlrev_b64 v[54:55], v25, v[6:7]
	v_lshrrev_b32_e32 v23, 3, v10
	v_sub_u32_e32 v24, 29, v24
	v_and_b32_e32 v25, 7, v54
	v_cmp_gt_u32_e64 s[4:5], 8, v10
	v_cndmask_b32_e64 v10, v23, v24, s[4:5]
	v_cndmask_b32_e64 v5, v5, v25, s[4:5]
	v_lshlrev_b32_e32 v6, 24, v6
	v_lshlrev_b32_e32 v5, 20, v5
	v_and_b32_e32 v6, 0x80000000, v6
	v_lshl_add_u32 v10, v10, 23, v28
	v_or3_b32 v5, v6, v10, v5
.LBB356_1053:                           ;   in Loop: Header=BB356_530 Depth=1
	s_or_b64 exec, exec, s[28:29]
.LBB356_1054:                           ;   in Loop: Header=BB356_530 Depth=1
	s_or_b64 exec, exec, s[26:27]
.LBB356_1055:                           ;   in Loop: Header=BB356_530 Depth=1
	s_or_b64 exec, exec, s[24:25]
	v_mul_f32_e32 v5, v7, v5
	v_and_b32_e32 v6, 0x7f800000, v5
	v_cmp_ne_u32_e64 s[4:5], s15, v6
                                        ; implicit-def: $vgpr54
	s_and_saveexec_b64 s[24:25], s[4:5]
	s_xor_b64 s[4:5], exec, s[24:25]
; %bb.1056:                             ;   in Loop: Header=BB356_530 Depth=1
	v_bfe_u32 v6, v5, 16, 1
	v_add3_u32 v54, v5, v6, s30
                                        ; implicit-def: $vgpr5
; %bb.1057:                             ;   in Loop: Header=BB356_530 Depth=1
	s_andn2_saveexec_b64 s[24:25], s[4:5]
; %bb.1058:                             ;   in Loop: Header=BB356_530 Depth=1
	v_or_b32_e32 v6, 0x10000, v5
	v_cmp_eq_u32_sdwa s[4:5], v5, v11 src0_sel:WORD_0 src1_sel:DWORD
	v_cndmask_b32_e64 v54, v6, v5, s[4:5]
; %bb.1059:                             ;   in Loop: Header=BB356_530 Depth=1
	s_or_b64 exec, exec, s[24:25]
	v_mov_b32_e32 v10, v3
	v_cmp_ne_u16_sdwa s[4:5], v3, v11 src0_sel:BYTE_0 src1_sel:DWORD
	v_mov_b32_e32 v5, 0
	s_and_saveexec_b64 s[24:25], s[4:5]
	s_cbranch_execz .LBB356_1065
; %bb.1060:                             ;   in Loop: Header=BB356_530 Depth=1
	v_cmp_ne_u16_sdwa s[4:5], v3, s31 src0_sel:BYTE_0 src1_sel:DWORD
	v_bfrev_b32_e32 v5, 1
	s_and_saveexec_b64 s[26:27], s[4:5]
	s_cbranch_execz .LBB356_1064
; %bb.1061:                             ;   in Loop: Header=BB356_530 Depth=1
	v_and_b32_e32 v6, 0x7f, v3
	v_cmp_ne_u32_e64 s[4:5], s34, v6
	v_mov_b32_e32 v5, 0x7f800001
	s_and_saveexec_b64 s[28:29], s[4:5]
	s_cbranch_execz .LBB356_1063
; %bb.1062:                             ;   in Loop: Header=BB356_530 Depth=1
	v_and_b32_e32 v5, 7, v3
	v_ffbh_u32_e32 v5, v5
	v_min_u32_e32 v5, 32, v5
	v_subrev_u32_e32 v24, 28, v5
	v_cmp_gt_u32_e64 s[4:5], 8, v6
	v_lshrrev_b32_e32 v23, 3, v6
	v_cndmask_b32_e64 v6, 0, v24, s[4:5]
	v_sub_u32_e32 v5, 29, v5
	v_lshlrev_b64 v[42:43], v6, v[10:11]
	v_cndmask_b32_e64 v5, v23, v5, s[4:5]
	v_lshlrev_b32_e32 v6, 20, v42
	v_lshlrev_b32_e32 v23, 24, v10
	v_and_b32_e32 v6, 0x700000, v6
	v_and_b32_e32 v23, 0x80000000, v23
	v_lshl_add_u32 v5, v5, 23, v28
	v_or3_b32 v5, v23, v5, v6
.LBB356_1063:                           ;   in Loop: Header=BB356_530 Depth=1
	s_or_b64 exec, exec, s[28:29]
.LBB356_1064:                           ;   in Loop: Header=BB356_530 Depth=1
	s_or_b64 exec, exec, s[26:27]
.LBB356_1065:                           ;   in Loop: Header=BB356_530 Depth=1
	s_or_b64 exec, exec, s[24:25]
	v_mul_f32_e32 v5, v7, v5
	v_and_b32_e32 v6, 0x7f800000, v5
	v_cmp_ne_u32_e64 s[4:5], s15, v6
                                        ; implicit-def: $vgpr25
	s_and_saveexec_b64 s[24:25], s[4:5]
	s_xor_b64 s[4:5], exec, s[24:25]
; %bb.1066:                             ;   in Loop: Header=BB356_530 Depth=1
	v_bfe_u32 v6, v5, 16, 1
	v_add3_u32 v25, v5, v6, s30
                                        ; implicit-def: $vgpr5
; %bb.1067:                             ;   in Loop: Header=BB356_530 Depth=1
	s_andn2_saveexec_b64 s[24:25], s[4:5]
; %bb.1068:                             ;   in Loop: Header=BB356_530 Depth=1
	v_or_b32_e32 v6, 0x10000, v5
	v_cmp_eq_u32_sdwa s[4:5], v5, v11 src0_sel:WORD_0 src1_sel:DWORD
	v_cndmask_b32_e64 v25, v6, v5, s[4:5]
; %bb.1069:                             ;   in Loop: Header=BB356_530 Depth=1
	s_or_b64 exec, exec, s[24:25]
	v_lshrrev_b16_e32 v6, 8, v10
	v_cmp_ne_u16_e64 s[4:5], 0, v6
	v_mov_b32_e32 v5, 0
	s_and_saveexec_b64 s[24:25], s[4:5]
	s_cbranch_execz .LBB356_1075
; %bb.1070:                             ;   in Loop: Header=BB356_530 Depth=1
	v_cmp_ne_u16_e64 s[4:5], s31, v6
	v_bfrev_b32_e32 v5, 1
	s_and_saveexec_b64 s[26:27], s[4:5]
	s_cbranch_execz .LBB356_1074
; %bb.1071:                             ;   in Loop: Header=BB356_530 Depth=1
	v_and_b32_e32 v32, 0x7f, v6
	v_cmp_ne_u32_e64 s[4:5], s34, v32
	v_mov_b32_e32 v5, 0x7f800001
	s_and_saveexec_b64 s[28:29], s[4:5]
	s_cbranch_execz .LBB356_1073
; %bb.1072:                             ;   in Loop: Header=BB356_530 Depth=1
	v_and_b32_e32 v5, 7, v6
	v_ffbh_u32_e32 v24, v5
	v_min_u32_e32 v24, 32, v24
	v_subrev_u32_e32 v26, 28, v24
	v_lshlrev_b64 v[42:43], v26, v[6:7]
	v_lshrrev_b32_e32 v23, 3, v32
	v_sub_u32_e32 v6, 29, v24
	v_and_b32_e32 v24, 7, v42
	v_cmp_gt_u32_e64 s[4:5], 8, v32
	v_cndmask_b32_e64 v6, v23, v6, s[4:5]
	v_cndmask_b32_e64 v5, v5, v24, s[4:5]
	v_lshlrev_b32_e32 v10, 16, v10
	v_lshlrev_b32_e32 v5, 20, v5
	v_and_b32_e32 v10, 0x80000000, v10
	v_lshl_add_u32 v6, v6, 23, v28
	v_or3_b32 v5, v10, v6, v5
.LBB356_1073:                           ;   in Loop: Header=BB356_530 Depth=1
	s_or_b64 exec, exec, s[28:29]
.LBB356_1074:                           ;   in Loop: Header=BB356_530 Depth=1
	s_or_b64 exec, exec, s[26:27]
.LBB356_1075:                           ;   in Loop: Header=BB356_530 Depth=1
	s_or_b64 exec, exec, s[24:25]
	v_mul_f32_e32 v6, v7, v5
	v_and_b32_e32 v5, 0x7f800000, v6
	v_cmp_ne_u32_e64 s[4:5], s15, v5
                                        ; implicit-def: $vgpr5
	s_and_saveexec_b64 s[24:25], s[4:5]
	s_xor_b64 s[4:5], exec, s[24:25]
; %bb.1076:                             ;   in Loop: Header=BB356_530 Depth=1
	v_bfe_u32 v5, v6, 16, 1
	v_add3_u32 v5, v6, v5, s30
                                        ; implicit-def: $vgpr6
; %bb.1077:                             ;   in Loop: Header=BB356_530 Depth=1
	s_andn2_saveexec_b64 s[24:25], s[4:5]
; %bb.1078:                             ;   in Loop: Header=BB356_530 Depth=1
	v_or_b32_e32 v5, 0x10000, v6
	v_cmp_eq_u32_sdwa s[4:5], v6, v11 src0_sel:WORD_0 src1_sel:DWORD
	v_cndmask_b32_e64 v5, v5, v6, s[4:5]
; %bb.1079:                             ;   in Loop: Header=BB356_530 Depth=1
	s_or_b64 exec, exec, s[24:25]
	v_lshrrev_b32_e32 v6, 16, v3
	v_cmp_ne_u16_sdwa s[4:5], v6, v11 src0_sel:BYTE_0 src1_sel:DWORD
	v_mov_b32_e32 v10, 0
	s_and_saveexec_b64 s[24:25], s[4:5]
	s_cbranch_execz .LBB356_1085
; %bb.1080:                             ;   in Loop: Header=BB356_530 Depth=1
	v_cmp_ne_u16_sdwa s[4:5], v6, s31 src0_sel:BYTE_0 src1_sel:DWORD
	v_bfrev_b32_e32 v10, 1
	s_and_saveexec_b64 s[26:27], s[4:5]
	s_cbranch_execz .LBB356_1084
; %bb.1081:                             ;   in Loop: Header=BB356_530 Depth=1
	v_bfe_u32 v32, v3, 16, 7
	v_cmp_ne_u32_e64 s[4:5], s34, v32
	v_mov_b32_e32 v10, 0x7f800001
	s_and_saveexec_b64 s[28:29], s[4:5]
	s_cbranch_execz .LBB356_1083
; %bb.1082:                             ;   in Loop: Header=BB356_530 Depth=1
	v_and_b32_e32 v10, 7, v6
	v_ffbh_u32_e32 v24, v10
	v_min_u32_e32 v24, 32, v24
	v_subrev_u32_e32 v26, 28, v24
	v_lshlrev_b64 v[42:43], v26, v[6:7]
	v_lshrrev_b32_e32 v23, 3, v32
	v_sub_u32_e32 v24, 29, v24
	v_and_b32_e32 v26, 7, v42
	v_cmp_gt_u32_e64 s[4:5], 8, v32
	v_cndmask_b32_e64 v23, v23, v24, s[4:5]
	v_cndmask_b32_e64 v10, v10, v26, s[4:5]
	v_lshlrev_b32_e32 v6, 24, v6
	v_lshlrev_b32_e32 v10, 20, v10
	v_and_b32_e32 v6, 0x80000000, v6
	v_lshl_add_u32 v23, v23, 23, v28
	v_or3_b32 v10, v6, v23, v10
.LBB356_1083:                           ;   in Loop: Header=BB356_530 Depth=1
	s_or_b64 exec, exec, s[28:29]
.LBB356_1084:                           ;   in Loop: Header=BB356_530 Depth=1
	s_or_b64 exec, exec, s[26:27]
.LBB356_1085:                           ;   in Loop: Header=BB356_530 Depth=1
	s_or_b64 exec, exec, s[24:25]
	v_mul_f32_e32 v10, v7, v10
	v_and_b32_e32 v6, 0x7f800000, v10
	v_cmp_ne_u32_e64 s[4:5], s15, v6
                                        ; implicit-def: $vgpr6
	s_and_saveexec_b64 s[24:25], s[4:5]
	s_xor_b64 s[4:5], exec, s[24:25]
; %bb.1086:                             ;   in Loop: Header=BB356_530 Depth=1
	v_bfe_u32 v6, v10, 16, 1
	v_add3_u32 v6, v10, v6, s30
                                        ; implicit-def: $vgpr10
; %bb.1087:                             ;   in Loop: Header=BB356_530 Depth=1
	s_andn2_saveexec_b64 s[24:25], s[4:5]
; %bb.1088:                             ;   in Loop: Header=BB356_530 Depth=1
	v_or_b32_e32 v6, 0x10000, v10
	v_cmp_eq_u32_sdwa s[4:5], v10, v11 src0_sel:WORD_0 src1_sel:DWORD
	v_cndmask_b32_e64 v6, v6, v10, s[4:5]
; %bb.1089:                             ;   in Loop: Header=BB356_530 Depth=1
	s_or_b64 exec, exec, s[24:25]
	v_cmp_lt_u64_e64 s[4:5], s[10:11], v[2:3]
	v_mov_b32_e32 v10, 0
	s_and_saveexec_b64 s[24:25], s[4:5]
	s_cbranch_execz .LBB356_1095
; %bb.1090:                             ;   in Loop: Header=BB356_530 Depth=1
	v_lshrrev_b32_e32 v2, 24, v3
	v_cmp_ne_u32_e64 s[4:5], s31, v2
	v_bfrev_b32_e32 v10, 1
	s_and_saveexec_b64 s[26:27], s[4:5]
	s_cbranch_execz .LBB356_1094
; %bb.1091:                             ;   in Loop: Header=BB356_530 Depth=1
	v_bfe_u32 v3, v3, 24, 7
	v_cmp_ne_u32_e64 s[4:5], s34, v3
	v_mov_b32_e32 v10, 0x7f800001
	s_and_saveexec_b64 s[28:29], s[4:5]
	s_cbranch_execz .LBB356_1093
; %bb.1092:                             ;   in Loop: Header=BB356_530 Depth=1
	v_and_b32_e32 v10, 7, v2
	v_ffbh_u32_e32 v24, v10
	v_min_u32_e32 v24, 32, v24
	v_subrev_u32_e32 v26, 28, v24
	v_lshlrev_b64 v[42:43], v26, v[2:3]
	v_lshrrev_b32_e32 v23, 3, v3
	v_sub_u32_e32 v24, 29, v24
	v_and_b32_e32 v26, 7, v42
	v_cmp_gt_u32_e64 s[4:5], 8, v3
	v_cndmask_b32_e64 v3, v23, v24, s[4:5]
	v_cndmask_b32_e64 v10, v10, v26, s[4:5]
	v_lshlrev_b32_e32 v2, 24, v2
	v_lshlrev_b32_e32 v10, 20, v10
	v_and_b32_e32 v2, 0x80000000, v2
	v_lshl_add_u32 v3, v3, 23, v28
	v_or3_b32 v10, v2, v3, v10
.LBB356_1093:                           ;   in Loop: Header=BB356_530 Depth=1
	s_or_b64 exec, exec, s[28:29]
.LBB356_1094:                           ;   in Loop: Header=BB356_530 Depth=1
	s_or_b64 exec, exec, s[26:27]
.LBB356_1095:                           ;   in Loop: Header=BB356_530 Depth=1
	s_or_b64 exec, exec, s[24:25]
	v_mul_f32_e32 v3, v7, v10
	v_and_b32_e32 v2, 0x7f800000, v3
	v_cmp_ne_u32_e64 s[4:5], s15, v2
                                        ; implicit-def: $vgpr2
	s_and_saveexec_b64 s[24:25], s[4:5]
	s_xor_b64 s[4:5], exec, s[24:25]
; %bb.1096:                             ;   in Loop: Header=BB356_530 Depth=1
	v_bfe_u32 v2, v3, 16, 1
	v_add3_u32 v2, v3, v2, s30
                                        ; implicit-def: $vgpr3
; %bb.1097:                             ;   in Loop: Header=BB356_530 Depth=1
	s_andn2_saveexec_b64 s[24:25], s[4:5]
; %bb.1098:                             ;   in Loop: Header=BB356_530 Depth=1
	v_or_b32_e32 v2, 0x10000, v3
	v_cmp_eq_u32_sdwa s[4:5], v3, v11 src0_sel:WORD_0 src1_sel:DWORD
	v_cndmask_b32_e64 v2, v2, v3, s[4:5]
; %bb.1099:                             ;   in Loop: Header=BB356_530 Depth=1
	s_or_b64 exec, exec, s[24:25]
	v_lshrrev_b32_e32 v10, 16, v5
	v_lshrrev_b32_e32 v25, 16, v25
	;; [unrolled: 1-line block ×8, first 2 shown]
	s_and_saveexec_b64 s[24:25], vcc
	s_cbranch_execz .LBB356_1101
; %bb.1100:                             ;   in Loop: Header=BB356_530 Depth=1
	v_accvgpr_read_b32 v6, a3
	v_cmp_lt_i32_e64 s[4:5], v50, v6
	v_accvgpr_read_b32 v23, a36
	v_cndmask_b32_e64 v3, 0, v3, s[4:5]
	v_cmp_lt_i32_e64 s[4:5], v23, v6
	v_accvgpr_read_b32 v23, a35
	v_cndmask_b32_e64 v52, 0, v52, s[4:5]
	;; [unrolled: 3-line block ×7, first 2 shown]
	v_cmp_lt_i32_e64 s[4:5], v23, v6
	v_cndmask_b32_e64 v2, 0, v2, s[4:5]
.LBB356_1101:                           ;   in Loop: Header=BB356_530 Depth=1
	s_or_b64 exec, exec, s[24:25]
	v_lshlrev_b32_e32 v3, 16, v3
	v_mul_f32_e32 v6, v44, v3
	v_and_b32_e32 v3, 0x7f800000, v6
	v_cmp_ne_u32_e64 s[4:5], s15, v3
                                        ; implicit-def: $vgpr3
	s_and_saveexec_b64 s[24:25], s[4:5]
	s_xor_b64 s[4:5], exec, s[24:25]
; %bb.1102:                             ;   in Loop: Header=BB356_530 Depth=1
	v_bfe_u32 v3, v6, 16, 1
	v_add3_u32 v3, v6, v3, s30
                                        ; implicit-def: $vgpr6
; %bb.1103:                             ;   in Loop: Header=BB356_530 Depth=1
	s_andn2_saveexec_b64 s[24:25], s[4:5]
; %bb.1104:                             ;   in Loop: Header=BB356_530 Depth=1
	v_or_b32_e32 v3, 0x10000, v6
	v_cmp_eq_u32_sdwa s[4:5], v6, v11 src0_sel:WORD_0 src1_sel:DWORD
	v_cndmask_b32_e64 v3, v3, v6, s[4:5]
; %bb.1105:                             ;   in Loop: Header=BB356_530 Depth=1
	s_or_b64 exec, exec, s[24:25]
	v_lshlrev_b32_e32 v6, 16, v52
	v_mul_f32_e32 v32, v46, v6
	v_and_b32_e32 v6, 0x7f800000, v32
	v_cmp_ne_u32_e64 s[4:5], s15, v6
                                        ; implicit-def: $vgpr6
	s_and_saveexec_b64 s[24:25], s[4:5]
	s_xor_b64 s[4:5], exec, s[24:25]
; %bb.1106:                             ;   in Loop: Header=BB356_530 Depth=1
	v_bfe_u32 v6, v32, 16, 1
	v_add3_u32 v6, v32, v6, s30
                                        ; implicit-def: $vgpr32
; %bb.1107:                             ;   in Loop: Header=BB356_530 Depth=1
	s_andn2_saveexec_b64 s[24:25], s[4:5]
; %bb.1108:                             ;   in Loop: Header=BB356_530 Depth=1
	v_or_b32_e32 v6, 0x10000, v32
	v_cmp_eq_u32_sdwa s[4:5], v32, v11 src0_sel:WORD_0 src1_sel:DWORD
	v_cndmask_b32_e64 v6, v6, v32, s[4:5]
; %bb.1109:                             ;   in Loop: Header=BB356_530 Depth=1
	s_or_b64 exec, exec, s[24:25]
	v_lshlrev_b32_e32 v23, 16, v36
	v_mul_f32_e32 v32, v47, v23
	v_and_b32_e32 v23, 0x7f800000, v32
	v_cmp_ne_u32_e64 s[4:5], s15, v23
                                        ; implicit-def: $vgpr51
	s_and_saveexec_b64 s[24:25], s[4:5]
	s_xor_b64 s[4:5], exec, s[24:25]
; %bb.1110:                             ;   in Loop: Header=BB356_530 Depth=1
	v_bfe_u32 v23, v32, 16, 1
	v_add3_u32 v51, v32, v23, s30
                                        ; implicit-def: $vgpr32
; %bb.1111:                             ;   in Loop: Header=BB356_530 Depth=1
	s_andn2_saveexec_b64 s[24:25], s[4:5]
; %bb.1112:                             ;   in Loop: Header=BB356_530 Depth=1
	v_or_b32_e32 v23, 0x10000, v32
	v_cmp_eq_u32_sdwa s[4:5], v32, v11 src0_sel:WORD_0 src1_sel:DWORD
	v_cndmask_b32_e64 v51, v23, v32, s[4:5]
; %bb.1113:                             ;   in Loop: Header=BB356_530 Depth=1
	s_or_b64 exec, exec, s[24:25]
	v_lshlrev_b32_e32 v23, 16, v34
	v_mul_f32_e32 v32, v56, v23
	v_and_b32_e32 v23, 0x7f800000, v32
	v_cmp_ne_u32_e64 s[4:5], s15, v23
                                        ; implicit-def: $vgpr52
	s_and_saveexec_b64 s[24:25], s[4:5]
	s_xor_b64 s[4:5], exec, s[24:25]
; %bb.1114:                             ;   in Loop: Header=BB356_530 Depth=1
	v_bfe_u32 v23, v32, 16, 1
	v_add3_u32 v52, v32, v23, s30
                                        ; implicit-def: $vgpr32
; %bb.1115:                             ;   in Loop: Header=BB356_530 Depth=1
	s_andn2_saveexec_b64 s[24:25], s[4:5]
; %bb.1116:                             ;   in Loop: Header=BB356_530 Depth=1
	v_or_b32_e32 v23, 0x10000, v32
	v_cmp_eq_u32_sdwa s[4:5], v32, v11 src0_sel:WORD_0 src1_sel:DWORD
	v_cndmask_b32_e64 v52, v23, v32, s[4:5]
; %bb.1117:                             ;   in Loop: Header=BB356_530 Depth=1
	s_or_b64 exec, exec, s[24:25]
	v_lshlrev_b32_e32 v23, 16, v25
	v_mul_f32_e32 v25, v57, v23
	v_and_b32_e32 v23, 0x7f800000, v25
	v_cmp_ne_u32_e64 s[4:5], s15, v23
                                        ; implicit-def: $vgpr53
	s_and_saveexec_b64 s[24:25], s[4:5]
	s_xor_b64 s[4:5], exec, s[24:25]
; %bb.1118:                             ;   in Loop: Header=BB356_530 Depth=1
	v_bfe_u32 v23, v25, 16, 1
	v_add3_u32 v53, v25, v23, s30
                                        ; implicit-def: $vgpr25
; %bb.1119:                             ;   in Loop: Header=BB356_530 Depth=1
	s_andn2_saveexec_b64 s[24:25], s[4:5]
; %bb.1120:                             ;   in Loop: Header=BB356_530 Depth=1
	v_or_b32_e32 v23, 0x10000, v25
	v_cmp_eq_u32_sdwa s[4:5], v25, v11 src0_sel:WORD_0 src1_sel:DWORD
	v_cndmask_b32_e64 v53, v23, v25, s[4:5]
; %bb.1121:                             ;   in Loop: Header=BB356_530 Depth=1
	s_or_b64 exec, exec, s[24:25]
	v_lshlrev_b32_e32 v10, 16, v10
	v_mul_f32_e32 v10, v58, v10
	v_and_b32_e32 v23, 0x7f800000, v10
	v_cmp_ne_u32_e64 s[4:5], s15, v23
                                        ; implicit-def: $vgpr54
	s_and_saveexec_b64 s[24:25], s[4:5]
	s_xor_b64 s[4:5], exec, s[24:25]
; %bb.1122:                             ;   in Loop: Header=BB356_530 Depth=1
	v_bfe_u32 v23, v10, 16, 1
	v_add3_u32 v54, v10, v23, s30
                                        ; implicit-def: $vgpr10
; %bb.1123:                             ;   in Loop: Header=BB356_530 Depth=1
	s_andn2_saveexec_b64 s[24:25], s[4:5]
; %bb.1124:                             ;   in Loop: Header=BB356_530 Depth=1
	v_or_b32_e32 v23, 0x10000, v10
	v_cmp_eq_u32_sdwa s[4:5], v10, v11 src0_sel:WORD_0 src1_sel:DWORD
	v_cndmask_b32_e64 v54, v23, v10, s[4:5]
; %bb.1125:                             ;   in Loop: Header=BB356_530 Depth=1
	s_or_b64 exec, exec, s[24:25]
	v_lshlrev_b32_e32 v5, 16, v5
	v_mul_f32_e32 v5, v60, v5
	v_and_b32_e32 v10, 0x7f800000, v5
	v_cmp_ne_u32_e64 s[4:5], s15, v10
                                        ; implicit-def: $vgpr55
	s_and_saveexec_b64 s[24:25], s[4:5]
	s_xor_b64 s[4:5], exec, s[24:25]
; %bb.1126:                             ;   in Loop: Header=BB356_530 Depth=1
	v_bfe_u32 v10, v5, 16, 1
	v_add3_u32 v55, v5, v10, s30
                                        ; implicit-def: $vgpr5
; %bb.1127:                             ;   in Loop: Header=BB356_530 Depth=1
	s_andn2_saveexec_b64 s[24:25], s[4:5]
; %bb.1128:                             ;   in Loop: Header=BB356_530 Depth=1
	v_or_b32_e32 v10, 0x10000, v5
	v_cmp_eq_u32_sdwa s[4:5], v5, v11 src0_sel:WORD_0 src1_sel:DWORD
	v_cndmask_b32_e64 v55, v10, v5, s[4:5]
; %bb.1129:                             ;   in Loop: Header=BB356_530 Depth=1
	s_or_b64 exec, exec, s[24:25]
	v_lshlrev_b32_e32 v2, 16, v2
	v_mul_f32_e32 v2, v33, v2
	v_and_b32_e32 v5, 0x7f800000, v2
	v_cmp_ne_u32_e64 s[4:5], s15, v5
                                        ; implicit-def: $vgpr42
	s_and_saveexec_b64 s[24:25], s[4:5]
	s_xor_b64 s[4:5], exec, s[24:25]
; %bb.1130:                             ;   in Loop: Header=BB356_530 Depth=1
	v_bfe_u32 v5, v2, 16, 1
	v_add3_u32 v42, v2, v5, s30
                                        ; implicit-def: $vgpr2
; %bb.1131:                             ;   in Loop: Header=BB356_530 Depth=1
	s_andn2_saveexec_b64 s[24:25], s[4:5]
; %bb.1132:                             ;   in Loop: Header=BB356_530 Depth=1
	v_or_b32_e32 v5, 0x10000, v2
	v_cmp_eq_u32_sdwa s[4:5], v2, v11 src0_sel:WORD_0 src1_sel:DWORD
	v_cndmask_b32_e64 v42, v5, v2, s[4:5]
; %bb.1133:                             ;   in Loop: Header=BB356_530 Depth=1
	s_or_b64 exec, exec, s[24:25]
	flat_load_dwordx2 v[0:1], v[0:1] offset:2560
	v_mov_b32_e32 v2, 0
	s_waitcnt vmcnt(0) lgkmcnt(0)
	v_cmp_ne_u16_sdwa s[4:5], v0, v11 src0_sel:BYTE_0 src1_sel:DWORD
	s_and_saveexec_b64 s[24:25], s[4:5]
	s_cbranch_execz .LBB356_1139
; %bb.1134:                             ;   in Loop: Header=BB356_530 Depth=1
	v_cmp_ne_u16_sdwa s[4:5], v0, s31 src0_sel:BYTE_0 src1_sel:DWORD
	v_bfrev_b32_e32 v2, 1
	s_and_saveexec_b64 s[26:27], s[4:5]
	s_cbranch_execz .LBB356_1138
; %bb.1135:                             ;   in Loop: Header=BB356_530 Depth=1
	v_and_b32_e32 v5, 0x7f, v0
	v_cmp_ne_u32_e64 s[4:5], s34, v5
	v_mov_b32_e32 v2, 0x7f800001
	s_and_saveexec_b64 s[28:29], s[4:5]
	s_cbranch_execz .LBB356_1137
; %bb.1136:                             ;   in Loop: Header=BB356_530 Depth=1
	v_and_b32_e32 v2, 7, v0
	v_ffbh_u32_e32 v2, v2
	v_min_u32_e32 v2, 32, v2
	v_subrev_u32_e32 v23, 28, v2
	v_cmp_gt_u32_e64 s[4:5], 8, v5
	v_lshrrev_b32_e32 v10, 3, v5
	v_cndmask_b32_e64 v5, 0, v23, s[4:5]
	v_sub_u32_e32 v2, 29, v2
	v_lshlrev_b64 v[24:25], v5, v[0:1]
	v_cndmask_b32_e64 v2, v10, v2, s[4:5]
	v_lshlrev_b32_e32 v5, 20, v24
	v_lshlrev_b32_e32 v10, 24, v0
	v_and_b32_e32 v5, 0x700000, v5
	v_and_b32_e32 v10, 0x80000000, v10
	v_lshl_add_u32 v2, v2, 23, v28
	v_or3_b32 v2, v10, v2, v5
.LBB356_1137:                           ;   in Loop: Header=BB356_530 Depth=1
	s_or_b64 exec, exec, s[28:29]
.LBB356_1138:                           ;   in Loop: Header=BB356_530 Depth=1
	s_or_b64 exec, exec, s[26:27]
.LBB356_1139:                           ;   in Loop: Header=BB356_530 Depth=1
	s_or_b64 exec, exec, s[24:25]
	v_mul_f32_e32 v2, v7, v2
	v_and_b32_e32 v5, 0x7f800000, v2
	v_cmp_ne_u32_e64 s[4:5], s15, v5
                                        ; implicit-def: $vgpr61
	s_and_saveexec_b64 s[24:25], s[4:5]
	s_xor_b64 s[4:5], exec, s[24:25]
; %bb.1140:                             ;   in Loop: Header=BB356_530 Depth=1
	v_bfe_u32 v5, v2, 16, 1
	v_add3_u32 v61, v2, v5, s30
                                        ; implicit-def: $vgpr2
; %bb.1141:                             ;   in Loop: Header=BB356_530 Depth=1
	s_andn2_saveexec_b64 s[24:25], s[4:5]
; %bb.1142:                             ;   in Loop: Header=BB356_530 Depth=1
	v_or_b32_e32 v5, 0x10000, v2
	v_cmp_eq_u32_sdwa s[4:5], v2, v11 src0_sel:WORD_0 src1_sel:DWORD
	v_cndmask_b32_e64 v61, v5, v2, s[4:5]
; %bb.1143:                             ;   in Loop: Header=BB356_530 Depth=1
	s_or_b64 exec, exec, s[24:25]
	v_lshrrev_b16_e32 v2, 8, v0
	v_cmp_ne_u16_e64 s[4:5], 0, v2
	v_mov_b32_e32 v5, 0
	s_and_saveexec_b64 s[24:25], s[4:5]
	s_cbranch_execz .LBB356_1149
; %bb.1144:                             ;   in Loop: Header=BB356_530 Depth=1
	v_cmp_ne_u16_e64 s[4:5], s31, v2
	v_bfrev_b32_e32 v5, 1
	s_and_saveexec_b64 s[26:27], s[4:5]
	s_cbranch_execz .LBB356_1148
; %bb.1145:                             ;   in Loop: Header=BB356_530 Depth=1
	v_and_b32_e32 v10, 0x7f, v2
	v_cmp_ne_u32_e64 s[4:5], s34, v10
	v_mov_b32_e32 v5, 0x7f800001
	s_and_saveexec_b64 s[28:29], s[4:5]
	s_cbranch_execz .LBB356_1147
; %bb.1146:                             ;   in Loop: Header=BB356_530 Depth=1
	v_and_b32_e32 v5, 7, v2
	v_ffbh_u32_e32 v24, v5
	v_min_u32_e32 v26, 32, v24
	v_subrev_u32_e32 v24, 28, v26
	v_lshlrev_b64 v[24:25], v24, v[2:3]
	v_lshrrev_b32_e32 v23, 3, v10
	v_sub_u32_e32 v2, 29, v26
	v_and_b32_e32 v24, 7, v24
	v_cmp_gt_u32_e64 s[4:5], 8, v10
	v_cndmask_b32_e64 v2, v23, v2, s[4:5]
	v_cndmask_b32_e64 v5, v5, v24, s[4:5]
	v_lshlrev_b32_e32 v10, 16, v0
	v_lshlrev_b32_e32 v5, 20, v5
	v_and_b32_e32 v10, 0x80000000, v10
	v_lshl_add_u32 v2, v2, 23, v28
	v_or3_b32 v5, v10, v2, v5
.LBB356_1147:                           ;   in Loop: Header=BB356_530 Depth=1
	s_or_b64 exec, exec, s[28:29]
.LBB356_1148:                           ;   in Loop: Header=BB356_530 Depth=1
	s_or_b64 exec, exec, s[26:27]
.LBB356_1149:                           ;   in Loop: Header=BB356_530 Depth=1
	s_or_b64 exec, exec, s[24:25]
	v_mul_f32_e32 v2, v7, v5
	v_and_b32_e32 v5, 0x7f800000, v2
	v_cmp_ne_u32_e64 s[4:5], s15, v5
                                        ; implicit-def: $vgpr43
	s_and_saveexec_b64 s[24:25], s[4:5]
	s_xor_b64 s[4:5], exec, s[24:25]
; %bb.1150:                             ;   in Loop: Header=BB356_530 Depth=1
	v_bfe_u32 v5, v2, 16, 1
	v_add3_u32 v43, v2, v5, s30
                                        ; implicit-def: $vgpr2
; %bb.1151:                             ;   in Loop: Header=BB356_530 Depth=1
	s_andn2_saveexec_b64 s[24:25], s[4:5]
; %bb.1152:                             ;   in Loop: Header=BB356_530 Depth=1
	v_or_b32_e32 v5, 0x10000, v2
	v_cmp_eq_u32_sdwa s[4:5], v2, v11 src0_sel:WORD_0 src1_sel:DWORD
	v_cndmask_b32_e64 v43, v5, v2, s[4:5]
; %bb.1153:                             ;   in Loop: Header=BB356_530 Depth=1
	s_or_b64 exec, exec, s[24:25]
	v_lshrrev_b32_e32 v2, 16, v0
	v_cmp_ne_u16_sdwa s[4:5], v2, v11 src0_sel:BYTE_0 src1_sel:DWORD
	v_mov_b32_e32 v5, 0
	s_and_saveexec_b64 s[24:25], s[4:5]
	s_cbranch_execz .LBB356_1159
; %bb.1154:                             ;   in Loop: Header=BB356_530 Depth=1
	v_cmp_ne_u16_sdwa s[4:5], v2, s31 src0_sel:BYTE_0 src1_sel:DWORD
	v_bfrev_b32_e32 v5, 1
	s_and_saveexec_b64 s[26:27], s[4:5]
	s_cbranch_execz .LBB356_1158
; %bb.1155:                             ;   in Loop: Header=BB356_530 Depth=1
	v_bfe_u32 v10, v0, 16, 7
	v_cmp_ne_u32_e64 s[4:5], s34, v10
	v_mov_b32_e32 v5, 0x7f800001
	s_and_saveexec_b64 s[28:29], s[4:5]
	s_cbranch_execz .LBB356_1157
; %bb.1156:                             ;   in Loop: Header=BB356_530 Depth=1
	v_and_b32_e32 v5, 7, v2
	v_ffbh_u32_e32 v24, v5
	v_min_u32_e32 v26, 32, v24
	v_subrev_u32_e32 v24, 28, v26
	v_lshlrev_b64 v[24:25], v24, v[2:3]
	v_lshrrev_b32_e32 v23, 3, v10
	v_sub_u32_e32 v25, 29, v26
	v_and_b32_e32 v24, 7, v24
	v_cmp_gt_u32_e64 s[4:5], 8, v10
	v_cndmask_b32_e64 v10, v23, v25, s[4:5]
	v_cndmask_b32_e64 v5, v5, v24, s[4:5]
	v_lshlrev_b32_e32 v2, 24, v2
	v_lshlrev_b32_e32 v5, 20, v5
	v_and_b32_e32 v2, 0x80000000, v2
	v_lshl_add_u32 v10, v10, 23, v28
	v_or3_b32 v5, v2, v10, v5
.LBB356_1157:                           ;   in Loop: Header=BB356_530 Depth=1
	s_or_b64 exec, exec, s[28:29]
.LBB356_1158:                           ;   in Loop: Header=BB356_530 Depth=1
	s_or_b64 exec, exec, s[26:27]
.LBB356_1159:                           ;   in Loop: Header=BB356_530 Depth=1
	s_or_b64 exec, exec, s[24:25]
	v_mul_f32_e32 v2, v7, v5
	v_and_b32_e32 v5, 0x7f800000, v2
	v_cmp_ne_u32_e64 s[4:5], s15, v5
                                        ; implicit-def: $vgpr45
	s_and_saveexec_b64 s[24:25], s[4:5]
	s_xor_b64 s[4:5], exec, s[24:25]
; %bb.1160:                             ;   in Loop: Header=BB356_530 Depth=1
	v_bfe_u32 v5, v2, 16, 1
	v_add3_u32 v45, v2, v5, s30
                                        ; implicit-def: $vgpr2
; %bb.1161:                             ;   in Loop: Header=BB356_530 Depth=1
	s_andn2_saveexec_b64 s[24:25], s[4:5]
; %bb.1162:                             ;   in Loop: Header=BB356_530 Depth=1
	v_or_b32_e32 v5, 0x10000, v2
	v_cmp_eq_u32_sdwa s[4:5], v2, v11 src0_sel:WORD_0 src1_sel:DWORD
	v_cndmask_b32_e64 v45, v5, v2, s[4:5]
; %bb.1163:                             ;   in Loop: Header=BB356_530 Depth=1
	s_or_b64 exec, exec, s[24:25]
	v_cmp_lt_u32_e64 s[4:5], s11, v0
	v_mov_b32_e32 v5, 0
	s_and_saveexec_b64 s[24:25], s[4:5]
	s_cbranch_execz .LBB356_1169
; %bb.1164:                             ;   in Loop: Header=BB356_530 Depth=1
	v_lshrrev_b32_e32 v2, 24, v0
	v_cmp_ne_u32_e64 s[4:5], s31, v2
	v_bfrev_b32_e32 v5, 1
	s_and_saveexec_b64 s[26:27], s[4:5]
	s_cbranch_execz .LBB356_1168
; %bb.1165:                             ;   in Loop: Header=BB356_530 Depth=1
	v_bfe_u32 v10, v0, 24, 7
	v_cmp_ne_u32_e64 s[4:5], s34, v10
	v_mov_b32_e32 v5, 0x7f800001
	s_and_saveexec_b64 s[28:29], s[4:5]
	s_cbranch_execz .LBB356_1167
; %bb.1166:                             ;   in Loop: Header=BB356_530 Depth=1
	v_and_b32_e32 v5, 7, v2
	v_ffbh_u32_e32 v24, v5
	v_min_u32_e32 v26, 32, v24
	v_subrev_u32_e32 v24, 28, v26
	v_lshlrev_b64 v[24:25], v24, v[2:3]
	v_lshrrev_b32_e32 v23, 3, v10
	v_sub_u32_e32 v25, 29, v26
	v_and_b32_e32 v24, 7, v24
	v_cmp_gt_u32_e64 s[4:5], 8, v10
	v_cndmask_b32_e64 v10, v23, v25, s[4:5]
	v_cndmask_b32_e64 v5, v5, v24, s[4:5]
	v_lshlrev_b32_e32 v2, 24, v2
	v_lshlrev_b32_e32 v5, 20, v5
	v_and_b32_e32 v2, 0x80000000, v2
	v_lshl_add_u32 v10, v10, 23, v28
	v_or3_b32 v5, v2, v10, v5
.LBB356_1167:                           ;   in Loop: Header=BB356_530 Depth=1
	s_or_b64 exec, exec, s[28:29]
.LBB356_1168:                           ;   in Loop: Header=BB356_530 Depth=1
	s_or_b64 exec, exec, s[26:27]
.LBB356_1169:                           ;   in Loop: Header=BB356_530 Depth=1
	s_or_b64 exec, exec, s[24:25]
	v_mul_f32_e32 v2, v7, v5
	v_and_b32_e32 v5, 0x7f800000, v2
	v_cmp_ne_u32_e64 s[4:5], s15, v5
                                        ; implicit-def: $vgpr25
	s_and_saveexec_b64 s[24:25], s[4:5]
	s_xor_b64 s[4:5], exec, s[24:25]
; %bb.1170:                             ;   in Loop: Header=BB356_530 Depth=1
	v_bfe_u32 v5, v2, 16, 1
	v_add3_u32 v25, v2, v5, s30
                                        ; implicit-def: $vgpr2
; %bb.1171:                             ;   in Loop: Header=BB356_530 Depth=1
	s_andn2_saveexec_b64 s[24:25], s[4:5]
; %bb.1172:                             ;   in Loop: Header=BB356_530 Depth=1
	v_or_b32_e32 v5, 0x10000, v2
	v_cmp_eq_u32_sdwa s[4:5], v2, v11 src0_sel:WORD_0 src1_sel:DWORD
	v_cndmask_b32_e64 v25, v5, v2, s[4:5]
; %bb.1173:                             ;   in Loop: Header=BB356_530 Depth=1
	s_or_b64 exec, exec, s[24:25]
	v_mov_b32_e32 v10, v1
	v_cmp_ne_u16_sdwa s[4:5], v1, v11 src0_sel:BYTE_0 src1_sel:DWORD
	v_mov_b32_e32 v2, 0
	s_and_saveexec_b64 s[24:25], s[4:5]
	s_cbranch_execz .LBB356_1179
; %bb.1174:                             ;   in Loop: Header=BB356_530 Depth=1
	v_cmp_ne_u16_sdwa s[4:5], v1, s31 src0_sel:BYTE_0 src1_sel:DWORD
	v_bfrev_b32_e32 v2, 1
	s_and_saveexec_b64 s[26:27], s[4:5]
	s_cbranch_execz .LBB356_1178
; %bb.1175:                             ;   in Loop: Header=BB356_530 Depth=1
	v_and_b32_e32 v5, 0x7f, v1
	v_cmp_ne_u32_e64 s[4:5], s34, v5
	v_mov_b32_e32 v2, 0x7f800001
	s_and_saveexec_b64 s[28:29], s[4:5]
	s_cbranch_execz .LBB356_1177
; %bb.1176:                             ;   in Loop: Header=BB356_530 Depth=1
	v_and_b32_e32 v2, 7, v1
	v_ffbh_u32_e32 v2, v2
	v_min_u32_e32 v2, 32, v2
	v_subrev_u32_e32 v24, 28, v2
	v_cmp_gt_u32_e64 s[4:5], 8, v5
	v_lshrrev_b32_e32 v23, 3, v5
	v_cndmask_b32_e64 v5, 0, v24, s[4:5]
	v_sub_u32_e32 v2, 29, v2
	v_lshlrev_b64 v[26:27], v5, v[10:11]
	v_cndmask_b32_e64 v2, v23, v2, s[4:5]
	v_lshlrev_b32_e32 v5, 20, v26
	v_lshlrev_b32_e32 v23, 24, v10
	v_and_b32_e32 v5, 0x700000, v5
	v_and_b32_e32 v23, 0x80000000, v23
	v_lshl_add_u32 v2, v2, 23, v28
	v_or3_b32 v2, v23, v2, v5
.LBB356_1177:                           ;   in Loop: Header=BB356_530 Depth=1
	s_or_b64 exec, exec, s[28:29]
.LBB356_1178:                           ;   in Loop: Header=BB356_530 Depth=1
	s_or_b64 exec, exec, s[26:27]
.LBB356_1179:                           ;   in Loop: Header=BB356_530 Depth=1
	s_or_b64 exec, exec, s[24:25]
	v_mul_f32_e32 v2, v7, v2
	v_and_b32_e32 v5, 0x7f800000, v2
	v_cmp_ne_u32_e64 s[4:5], s15, v5
                                        ; implicit-def: $vgpr5
	s_and_saveexec_b64 s[24:25], s[4:5]
	s_xor_b64 s[4:5], exec, s[24:25]
; %bb.1180:                             ;   in Loop: Header=BB356_530 Depth=1
	v_bfe_u32 v5, v2, 16, 1
	v_add3_u32 v5, v2, v5, s30
                                        ; implicit-def: $vgpr2
; %bb.1181:                             ;   in Loop: Header=BB356_530 Depth=1
	s_andn2_saveexec_b64 s[24:25], s[4:5]
; %bb.1182:                             ;   in Loop: Header=BB356_530 Depth=1
	v_or_b32_e32 v5, 0x10000, v2
	v_cmp_eq_u32_sdwa s[4:5], v2, v11 src0_sel:WORD_0 src1_sel:DWORD
	v_cndmask_b32_e64 v5, v5, v2, s[4:5]
; %bb.1183:                             ;   in Loop: Header=BB356_530 Depth=1
	s_or_b64 exec, exec, s[24:25]
	v_lshrrev_b16_e32 v2, 8, v10
	v_cmp_ne_u16_e64 s[4:5], 0, v2
	v_mov_b32_e32 v34, 0
	s_and_saveexec_b64 s[24:25], s[4:5]
	s_cbranch_execz .LBB356_1189
; %bb.1184:                             ;   in Loop: Header=BB356_530 Depth=1
	v_cmp_ne_u16_e64 s[4:5], s31, v2
	v_bfrev_b32_e32 v34, 1
	s_and_saveexec_b64 s[26:27], s[4:5]
	s_cbranch_execz .LBB356_1188
; %bb.1185:                             ;   in Loop: Header=BB356_530 Depth=1
	v_and_b32_e32 v32, 0x7f, v2
	v_cmp_ne_u32_e64 s[4:5], s34, v32
	v_mov_b32_e32 v34, 0x7f800001
	s_and_saveexec_b64 s[28:29], s[4:5]
	s_cbranch_execz .LBB356_1187
; %bb.1186:                             ;   in Loop: Header=BB356_530 Depth=1
	v_and_b32_e32 v23, 7, v2
	v_ffbh_u32_e32 v26, v23
	v_min_u32_e32 v28, 32, v26
	v_subrev_u32_e32 v26, 28, v28
	v_lshlrev_b64 v[26:27], v26, v[2:3]
	v_lshrrev_b32_e32 v24, 3, v32
	v_sub_u32_e32 v2, 29, v28
	v_and_b32_e32 v26, 7, v26
	v_cmp_gt_u32_e64 s[4:5], 8, v32
	v_bfrev_b32_e32 v28, 60
	v_cndmask_b32_e64 v2, v24, v2, s[4:5]
	v_cndmask_b32_e64 v23, v23, v26, s[4:5]
	v_lshlrev_b32_e32 v10, 16, v10
	v_lshlrev_b32_e32 v23, 20, v23
	v_and_b32_e32 v10, 0x80000000, v10
	v_lshl_add_u32 v2, v2, 23, v28
	v_or3_b32 v34, v10, v2, v23
.LBB356_1187:                           ;   in Loop: Header=BB356_530 Depth=1
	s_or_b64 exec, exec, s[28:29]
.LBB356_1188:                           ;   in Loop: Header=BB356_530 Depth=1
	s_or_b64 exec, exec, s[26:27]
.LBB356_1189:                           ;   in Loop: Header=BB356_530 Depth=1
	s_or_b64 exec, exec, s[24:25]
	v_mul_f32_e32 v2, v7, v34
	v_and_b32_e32 v10, 0x7f800000, v2
	v_cmp_ne_u32_e64 s[4:5], s15, v10
                                        ; implicit-def: $vgpr10
	s_and_saveexec_b64 s[24:25], s[4:5]
	s_xor_b64 s[4:5], exec, s[24:25]
; %bb.1190:                             ;   in Loop: Header=BB356_530 Depth=1
	v_bfe_u32 v10, v2, 16, 1
	v_add3_u32 v10, v2, v10, s30
                                        ; implicit-def: $vgpr2
; %bb.1191:                             ;   in Loop: Header=BB356_530 Depth=1
	s_andn2_saveexec_b64 s[24:25], s[4:5]
; %bb.1192:                             ;   in Loop: Header=BB356_530 Depth=1
	v_or_b32_e32 v10, 0x10000, v2
	v_cmp_eq_u32_sdwa s[4:5], v2, v11 src0_sel:WORD_0 src1_sel:DWORD
	v_cndmask_b32_e64 v10, v10, v2, s[4:5]
; %bb.1193:                             ;   in Loop: Header=BB356_530 Depth=1
	s_or_b64 exec, exec, s[24:25]
	v_lshrrev_b32_e32 v2, 16, v1
	v_cmp_ne_u16_sdwa s[4:5], v2, v11 src0_sel:BYTE_0 src1_sel:DWORD
	v_mov_b32_e32 v34, 0
	s_and_saveexec_b64 s[24:25], s[4:5]
	s_cbranch_execz .LBB356_1199
; %bb.1194:                             ;   in Loop: Header=BB356_530 Depth=1
	v_cmp_ne_u16_sdwa s[4:5], v2, s31 src0_sel:BYTE_0 src1_sel:DWORD
	v_bfrev_b32_e32 v34, 1
	s_and_saveexec_b64 s[26:27], s[4:5]
	s_cbranch_execz .LBB356_1198
; %bb.1195:                             ;   in Loop: Header=BB356_530 Depth=1
	v_bfe_u32 v32, v1, 16, 7
	v_cmp_ne_u32_e64 s[4:5], s34, v32
	v_mov_b32_e32 v34, 0x7f800001
	s_and_saveexec_b64 s[28:29], s[4:5]
	s_cbranch_execz .LBB356_1197
; %bb.1196:                             ;   in Loop: Header=BB356_530 Depth=1
	v_and_b32_e32 v23, 7, v2
	v_ffbh_u32_e32 v26, v23
	v_min_u32_e32 v28, 32, v26
	v_subrev_u32_e32 v26, 28, v28
	v_lshlrev_b64 v[26:27], v26, v[2:3]
	v_lshrrev_b32_e32 v24, 3, v32
	v_sub_u32_e32 v27, 29, v28
	v_and_b32_e32 v26, 7, v26
	v_cmp_gt_u32_e64 s[4:5], 8, v32
	v_bfrev_b32_e32 v28, 60
	v_cndmask_b32_e64 v24, v24, v27, s[4:5]
	v_cndmask_b32_e64 v23, v23, v26, s[4:5]
	v_lshlrev_b32_e32 v2, 24, v2
	v_lshlrev_b32_e32 v23, 20, v23
	v_and_b32_e32 v2, 0x80000000, v2
	v_lshl_add_u32 v24, v24, 23, v28
	v_or3_b32 v34, v2, v24, v23
.LBB356_1197:                           ;   in Loop: Header=BB356_530 Depth=1
	s_or_b64 exec, exec, s[28:29]
.LBB356_1198:                           ;   in Loop: Header=BB356_530 Depth=1
	s_or_b64 exec, exec, s[26:27]
.LBB356_1199:                           ;   in Loop: Header=BB356_530 Depth=1
	s_or_b64 exec, exec, s[24:25]
	v_mul_f32_e32 v32, v7, v34
	v_and_b32_e32 v2, 0x7f800000, v32
	v_cmp_ne_u32_e64 s[4:5], s15, v2
                                        ; implicit-def: $vgpr2
	s_and_saveexec_b64 s[24:25], s[4:5]
	s_xor_b64 s[4:5], exec, s[24:25]
; %bb.1200:                             ;   in Loop: Header=BB356_530 Depth=1
	v_bfe_u32 v2, v32, 16, 1
	v_add3_u32 v2, v32, v2, s30
                                        ; implicit-def: $vgpr32
; %bb.1201:                             ;   in Loop: Header=BB356_530 Depth=1
	s_andn2_saveexec_b64 s[24:25], s[4:5]
; %bb.1202:                             ;   in Loop: Header=BB356_530 Depth=1
	v_or_b32_e32 v2, 0x10000, v32
	v_cmp_eq_u32_sdwa s[4:5], v32, v11 src0_sel:WORD_0 src1_sel:DWORD
	v_cndmask_b32_e64 v2, v2, v32, s[4:5]
; %bb.1203:                             ;   in Loop: Header=BB356_530 Depth=1
	s_or_b64 exec, exec, s[24:25]
	v_cmp_lt_u64_e64 s[4:5], s[10:11], v[0:1]
	v_mov_b32_e32 v34, 0
	s_and_saveexec_b64 s[24:25], s[4:5]
	s_cbranch_execz .LBB356_1209
; %bb.1204:                             ;   in Loop: Header=BB356_530 Depth=1
	v_lshrrev_b32_e32 v0, 24, v1
	v_cmp_ne_u32_e64 s[4:5], s31, v0
	v_bfrev_b32_e32 v34, 1
	s_and_saveexec_b64 s[26:27], s[4:5]
	s_cbranch_execz .LBB356_1208
; %bb.1205:                             ;   in Loop: Header=BB356_530 Depth=1
	v_bfe_u32 v1, v1, 24, 7
	v_cmp_ne_u32_e64 s[4:5], s34, v1
	v_mov_b32_e32 v34, 0x7f800001
	s_and_saveexec_b64 s[28:29], s[4:5]
	s_cbranch_execz .LBB356_1207
; %bb.1206:                             ;   in Loop: Header=BB356_530 Depth=1
	v_and_b32_e32 v23, 7, v0
	v_ffbh_u32_e32 v26, v23
	v_min_u32_e32 v28, 32, v26
	v_subrev_u32_e32 v26, 28, v28
	v_lshlrev_b64 v[26:27], v26, v[0:1]
	v_lshrrev_b32_e32 v24, 3, v1
	v_sub_u32_e32 v27, 29, v28
	v_and_b32_e32 v26, 7, v26
	v_cmp_gt_u32_e64 s[4:5], 8, v1
	v_bfrev_b32_e32 v28, 60
	v_cndmask_b32_e64 v1, v24, v27, s[4:5]
	v_cndmask_b32_e64 v23, v23, v26, s[4:5]
	v_lshlrev_b32_e32 v0, 24, v0
	v_lshlrev_b32_e32 v23, 20, v23
	v_and_b32_e32 v0, 0x80000000, v0
	v_lshl_add_u32 v1, v1, 23, v28
	v_or3_b32 v34, v0, v1, v23
.LBB356_1207:                           ;   in Loop: Header=BB356_530 Depth=1
	s_or_b64 exec, exec, s[28:29]
.LBB356_1208:                           ;   in Loop: Header=BB356_530 Depth=1
	s_or_b64 exec, exec, s[26:27]
.LBB356_1209:                           ;   in Loop: Header=BB356_530 Depth=1
	s_or_b64 exec, exec, s[24:25]
	v_mul_f32_e32 v0, v7, v34
	v_and_b32_e32 v1, 0x7f800000, v0
	v_cmp_ne_u32_e64 s[4:5], s15, v1
                                        ; implicit-def: $vgpr32
	s_and_saveexec_b64 s[24:25], s[4:5]
	s_xor_b64 s[4:5], exec, s[24:25]
; %bb.1210:                             ;   in Loop: Header=BB356_530 Depth=1
	v_bfe_u32 v1, v0, 16, 1
	v_add3_u32 v32, v0, v1, s30
                                        ; implicit-def: $vgpr0
; %bb.1211:                             ;   in Loop: Header=BB356_530 Depth=1
	s_andn2_saveexec_b64 s[24:25], s[4:5]
; %bb.1212:                             ;   in Loop: Header=BB356_530 Depth=1
	v_or_b32_e32 v1, 0x10000, v0
	v_cmp_eq_u32_sdwa s[4:5], v0, v11 src0_sel:WORD_0 src1_sel:DWORD
	v_cndmask_b32_e64 v32, v1, v0, s[4:5]
; %bb.1213:                             ;   in Loop: Header=BB356_530 Depth=1
	s_or_b64 exec, exec, s[24:25]
	v_lshrrev_b32_e32 v34, 16, v10
	v_lshrrev_b32_e32 v36, 16, v5
	;; [unrolled: 1-line block ×8, first 2 shown]
	s_and_saveexec_b64 s[4:5], vcc
	s_cbranch_execz .LBB356_1215
; %bb.1214:                             ;   in Loop: Header=BB356_530 Depth=1
	v_accvgpr_read_b32 v2, a3
	v_cmp_lt_i32_e32 vcc, v50, v2
	v_accvgpr_read_b32 v23, a36
	v_cndmask_b32_e32 v0, 0, v0, vcc
	v_cmp_lt_i32_e32 vcc, v23, v2
	v_accvgpr_read_b32 v23, a35
	v_cndmask_b32_e32 v1, 0, v1, vcc
	;; [unrolled: 3-line block ×7, first 2 shown]
	v_cmp_lt_i32_e32 vcc, v23, v2
	v_cndmask_b32_e32 v5, 0, v5, vcc
.LBB356_1215:                           ;   in Loop: Header=BB356_530 Depth=1
	s_or_b64 exec, exec, s[4:5]
	v_lshlrev_b32_e32 v0, 16, v0
	v_mul_f32_e32 v2, v44, v0
	v_and_b32_e32 v0, 0x7f800000, v2
	v_cmp_ne_u32_e32 vcc, s15, v0
                                        ; implicit-def: $vgpr0
	s_and_saveexec_b64 s[4:5], vcc
	s_xor_b64 s[4:5], exec, s[4:5]
; %bb.1216:                             ;   in Loop: Header=BB356_530 Depth=1
	v_bfe_u32 v0, v2, 16, 1
	v_add3_u32 v0, v2, v0, s30
                                        ; implicit-def: $vgpr2
; %bb.1217:                             ;   in Loop: Header=BB356_530 Depth=1
	s_andn2_saveexec_b64 s[4:5], s[4:5]
; %bb.1218:                             ;   in Loop: Header=BB356_530 Depth=1
	v_or_b32_e32 v0, 0x10000, v2
	v_cmp_eq_u32_sdwa vcc, v2, v11 src0_sel:WORD_0 src1_sel:DWORD
	v_cndmask_b32_e32 v0, v0, v2, vcc
; %bb.1219:                             ;   in Loop: Header=BB356_530 Depth=1
	s_or_b64 exec, exec, s[4:5]
	v_lshlrev_b32_e32 v1, 16, v1
	v_mul_f32_e32 v2, v46, v1
	v_and_b32_e32 v1, 0x7f800000, v2
	v_cmp_ne_u32_e32 vcc, s15, v1
                                        ; implicit-def: $vgpr1
	s_and_saveexec_b64 s[4:5], vcc
	s_xor_b64 s[4:5], exec, s[4:5]
; %bb.1220:                             ;   in Loop: Header=BB356_530 Depth=1
	v_bfe_u32 v1, v2, 16, 1
	v_add3_u32 v1, v2, v1, s30
                                        ; implicit-def: $vgpr2
; %bb.1221:                             ;   in Loop: Header=BB356_530 Depth=1
	s_andn2_saveexec_b64 s[4:5], s[4:5]
; %bb.1222:                             ;   in Loop: Header=BB356_530 Depth=1
	v_or_b32_e32 v1, 0x10000, v2
	v_cmp_eq_u32_sdwa vcc, v2, v11 src0_sel:WORD_0 src1_sel:DWORD
	v_cndmask_b32_e32 v1, v1, v2, vcc
; %bb.1223:                             ;   in Loop: Header=BB356_530 Depth=1
	s_or_b64 exec, exec, s[4:5]
	v_lshlrev_b32_e32 v2, 16, v25
	v_mul_f32_e32 v25, v47, v2
	v_and_b32_e32 v2, 0x7f800000, v25
	v_cmp_ne_u32_e32 vcc, s15, v2
                                        ; implicit-def: $vgpr2
	s_and_saveexec_b64 s[4:5], vcc
	s_xor_b64 s[4:5], exec, s[4:5]
; %bb.1224:                             ;   in Loop: Header=BB356_530 Depth=1
	v_bfe_u32 v2, v25, 16, 1
	v_add3_u32 v2, v25, v2, s30
                                        ; implicit-def: $vgpr25
; %bb.1225:                             ;   in Loop: Header=BB356_530 Depth=1
	s_andn2_saveexec_b64 s[4:5], s[4:5]
; %bb.1226:                             ;   in Loop: Header=BB356_530 Depth=1
	v_or_b32_e32 v2, 0x10000, v25
	v_cmp_eq_u32_sdwa vcc, v25, v11 src0_sel:WORD_0 src1_sel:DWORD
	v_cndmask_b32_e32 v2, v2, v25, vcc
; %bb.1227:                             ;   in Loop: Header=BB356_530 Depth=1
	s_or_b64 exec, exec, s[4:5]
	v_lshlrev_b32_e32 v7, 16, v7
	v_mul_f32_e32 v25, v56, v7
	v_and_b32_e32 v7, 0x7f800000, v25
	v_cmp_ne_u32_e32 vcc, s15, v7
                                        ; implicit-def: $vgpr7
	s_and_saveexec_b64 s[4:5], vcc
	s_xor_b64 s[4:5], exec, s[4:5]
; %bb.1228:                             ;   in Loop: Header=BB356_530 Depth=1
	v_bfe_u32 v7, v25, 16, 1
	v_add3_u32 v7, v25, v7, s30
                                        ; implicit-def: $vgpr25
; %bb.1229:                             ;   in Loop: Header=BB356_530 Depth=1
	s_andn2_saveexec_b64 s[4:5], s[4:5]
; %bb.1230:                             ;   in Loop: Header=BB356_530 Depth=1
	v_or_b32_e32 v7, 0x10000, v25
	v_cmp_eq_u32_sdwa vcc, v25, v11 src0_sel:WORD_0 src1_sel:DWORD
	v_cndmask_b32_e32 v7, v7, v25, vcc
; %bb.1231:                             ;   in Loop: Header=BB356_530 Depth=1
	s_or_b64 exec, exec, s[4:5]
	v_lshlrev_b32_e32 v23, 16, v36
	v_mul_f32_e32 v32, v57, v23
	v_and_b32_e32 v23, 0x7f800000, v32
	v_cmp_ne_u32_e32 vcc, s15, v23
                                        ; implicit-def: $vgpr25
	s_and_saveexec_b64 s[4:5], vcc
	s_xor_b64 s[4:5], exec, s[4:5]
; %bb.1232:                             ;   in Loop: Header=BB356_530 Depth=1
	v_bfe_u32 v23, v32, 16, 1
	v_add3_u32 v25, v32, v23, s30
                                        ; implicit-def: $vgpr32
; %bb.1233:                             ;   in Loop: Header=BB356_530 Depth=1
	s_andn2_saveexec_b64 s[4:5], s[4:5]
; %bb.1234:                             ;   in Loop: Header=BB356_530 Depth=1
	v_or_b32_e32 v23, 0x10000, v32
	v_cmp_eq_u32_sdwa vcc, v32, v11 src0_sel:WORD_0 src1_sel:DWORD
	v_cndmask_b32_e32 v25, v23, v32, vcc
; %bb.1235:                             ;   in Loop: Header=BB356_530 Depth=1
	s_or_b64 exec, exec, s[4:5]
	v_lshlrev_b32_e32 v23, 16, v34
	v_mul_f32_e32 v32, v58, v23
	v_and_b32_e32 v23, 0x7f800000, v32
	v_cmp_ne_u32_e32 vcc, s15, v23
                                        ; implicit-def: $vgpr34
	s_and_saveexec_b64 s[4:5], vcc
	s_xor_b64 s[4:5], exec, s[4:5]
; %bb.1236:                             ;   in Loop: Header=BB356_530 Depth=1
	v_bfe_u32 v23, v32, 16, 1
	v_add3_u32 v34, v32, v23, s30
                                        ; implicit-def: $vgpr32
; %bb.1237:                             ;   in Loop: Header=BB356_530 Depth=1
	s_andn2_saveexec_b64 s[4:5], s[4:5]
; %bb.1238:                             ;   in Loop: Header=BB356_530 Depth=1
	v_or_b32_e32 v23, 0x10000, v32
	v_cmp_eq_u32_sdwa vcc, v32, v11 src0_sel:WORD_0 src1_sel:DWORD
	v_cndmask_b32_e32 v34, v23, v32, vcc
; %bb.1239:                             ;   in Loop: Header=BB356_530 Depth=1
	s_or_b64 exec, exec, s[4:5]
	v_lshlrev_b32_e32 v10, 16, v10
	v_mul_f32_e32 v32, v60, v10
	v_and_b32_e32 v10, 0x7f800000, v32
	v_cmp_ne_u32_e32 vcc, s15, v10
                                        ; implicit-def: $vgpr10
	s_and_saveexec_b64 s[4:5], vcc
	s_xor_b64 s[4:5], exec, s[4:5]
; %bb.1240:                             ;   in Loop: Header=BB356_530 Depth=1
	v_bfe_u32 v10, v32, 16, 1
	v_add3_u32 v10, v32, v10, s30
                                        ; implicit-def: $vgpr32
; %bb.1241:                             ;   in Loop: Header=BB356_530 Depth=1
	s_andn2_saveexec_b64 s[4:5], s[4:5]
; %bb.1242:                             ;   in Loop: Header=BB356_530 Depth=1
	v_or_b32_e32 v10, 0x10000, v32
	v_cmp_eq_u32_sdwa vcc, v32, v11 src0_sel:WORD_0 src1_sel:DWORD
	v_cndmask_b32_e32 v10, v10, v32, vcc
; %bb.1243:                             ;   in Loop: Header=BB356_530 Depth=1
	s_or_b64 exec, exec, s[4:5]
	v_lshlrev_b32_e32 v5, 16, v5
	v_mul_f32_e32 v32, v33, v5
	v_and_b32_e32 v5, 0x7f800000, v32
	v_cmp_ne_u32_e32 vcc, s15, v5
                                        ; implicit-def: $vgpr5
	s_and_saveexec_b64 s[4:5], vcc
	s_xor_b64 s[4:5], exec, s[4:5]
; %bb.1244:                             ;   in Loop: Header=BB356_530 Depth=1
	v_bfe_u32 v5, v32, 16, 1
	v_add3_u32 v5, v32, v5, s30
                                        ; implicit-def: $vgpr32
; %bb.1245:                             ;   in Loop: Header=BB356_530 Depth=1
	s_andn2_saveexec_b64 s[4:5], s[4:5]
	s_cbranch_execz .LBB356_528
; %bb.1246:                             ;   in Loop: Header=BB356_530 Depth=1
	v_or_b32_e32 v5, 0x10000, v32
	v_cmp_eq_u32_sdwa vcc, v32, v11 src0_sel:WORD_0 src1_sel:DWORD
	v_cndmask_b32_e32 v5, v5, v32, vcc
	s_branch .LBB356_528
.LBB356_1247:
	s_or_b64 exec, exec, s[12:13]
	v_accvgpr_read_b32 v20, a16
	v_accvgpr_read_b32 v8, a17
.LBB356_1248:
	s_or_b64 exec, exec, s[8:9]
	ds_bpermute_b32 v0, v20, v18
	ds_bpermute_b32 v1, v20, v19
	;; [unrolled: 1-line block ×4, first 2 shown]
	s_waitcnt lgkmcnt(0)
	s_barrier
	v_pk_add_f32 v[2:3], v[18:19], v[0:1]
	v_pk_add_f32 v[0:1], v[16:17], v[4:5]
	buffer_load_dword v4, off, s[0:3], s32 offset:196 ; 4-byte Folded Reload
	ds_bpermute_b32 v6, v20, v12
	ds_bpermute_b32 v7, v20, v13
	s_waitcnt lgkmcnt(0)
	v_pk_add_f32 v[6:7], v[12:13], v[6:7]
	s_waitcnt vmcnt(0)
	v_and_b32_e32 v4, 0x3c1, v4
	v_cmp_eq_u32_e32 vcc, 64, v4
	s_and_saveexec_b64 s[4:5], vcc
	s_cbranch_execz .LBB356_1250
; %bb.1249:
	s_load_dword s8, s[6:7], 0x0
	s_waitcnt lgkmcnt(0)
	v_lshl_add_u32 v4, v59, 1, s8
	ds_write2_b32 v4, v2, v3 offset1:32
	ds_write2_b32 v4, v0, v1 offset0:64 offset1:96
	ds_write2_b32 v4, v6, v7 offset0:128 offset1:160
.LBB356_1250:
	s_or_b64 exec, exec, s[4:5]
	s_waitcnt lgkmcnt(0)
	s_barrier
	buffer_load_dword v4, off, s[0:3], s32 offset:196 ; 4-byte Folded Reload
	s_waitcnt vmcnt(0)
	v_cmp_gt_u32_e32 vcc, 64, v4
	s_and_saveexec_b64 s[8:9], vcc
	s_cbranch_execz .LBB356_1259
; %bb.1251:
	buffer_load_dword v4, off, s[0:3], s32 offset:196 ; 4-byte Folded Reload
	v_cmp_eq_u32_e64 s[4:5], 0, v8
	s_waitcnt vmcnt(0)
	v_lshrrev_b32_e32 v4, 1, v4
	s_and_saveexec_b64 s[10:11], s[4:5]
	s_cbranch_execnz .LBB356_1287
; %bb.1252:
	s_or_b64 exec, exec, s[10:11]
	s_and_saveexec_b64 s[10:11], s[4:5]
	s_cbranch_execnz .LBB356_1288
.LBB356_1253:
	s_or_b64 exec, exec, s[10:11]
	s_and_saveexec_b64 s[10:11], s[4:5]
	s_cbranch_execnz .LBB356_1289
.LBB356_1254:
	s_or_b64 exec, exec, s[10:11]
	s_and_saveexec_b64 s[10:11], s[4:5]
	s_cbranch_execnz .LBB356_1290
.LBB356_1255:
	s_or_b64 exec, exec, s[10:11]
	s_and_saveexec_b64 s[10:11], s[4:5]
	s_cbranch_execnz .LBB356_1291
.LBB356_1256:
	s_or_b64 exec, exec, s[10:11]
	s_and_saveexec_b64 s[10:11], s[4:5]
	s_cbranch_execz .LBB356_1258
.LBB356_1257:
	s_load_dword s4, s[6:7], 0x0
	s_waitcnt lgkmcnt(0)
	v_lshl_add_u32 v4, v4, 2, s4
	ds_read_b32 v4, v4 offset:640
	s_waitcnt lgkmcnt(0)
	v_add_f32_e32 v7, v7, v4
.LBB356_1258:
	s_or_b64 exec, exec, s[10:11]
.LBB356_1259:
	s_or_b64 exec, exec, s[8:9]
	s_barrier
	s_and_b64 exec, exec, vcc
	s_cbranch_execz .LBB356_1286
; %bb.1260:
	v_cmp_eq_u32_e32 vcc, 0, v8
	s_and_b64 exec, exec, vcc
	s_cbranch_execz .LBB356_1286
; %bb.1261:
	s_mov_b32 s4, 0x7f800000
	v_and_b32_e32 v4, 0x7f800000, v2
	v_cmp_ne_u32_e32 vcc, s4, v4
                                        ; implicit-def: $vgpr4
	s_and_saveexec_b64 s[4:5], vcc
	s_xor_b64 s[4:5], exec, s[4:5]
; %bb.1262:
	v_bfe_u32 v4, v2, 16, 1
	s_movk_i32 s6, 0x7fff
	v_add3_u32 v4, v2, v4, s6
; %bb.1263:
	s_andn2_saveexec_b64 s[4:5], s[4:5]
; %bb.1264:
	v_mov_b32_e32 v4, 0
	v_or_b32_e32 v5, 0x10000, v2
	v_cmp_eq_u32_sdwa vcc, v2, v4 src0_sel:WORD_0 src1_sel:DWORD
	v_cndmask_b32_e32 v4, v5, v2, vcc
; %bb.1265:
	s_or_b64 exec, exec, s[4:5]
	buffer_load_dword v5, off, s[0:3], s32 offset:220 ; 4-byte Folded Reload
	buffer_load_dword v8, off, s[0:3], s32 offset:216 ; 4-byte Folded Reload
	s_mul_i32 s4, s21, s18
	s_mul_i32 s4, s4, s19
	s_mulk_i32 s4, 0xc0
	s_mul_i32 s6, s20, s21
	s_mul_i32 s8, s14, 0xc0
	s_ashr_i32 s5, s4, 31
	s_ashr_i32 s7, s6, 31
	;; [unrolled: 1-line block ×3, first 2 shown]
	s_lshl_b64 s[4:5], s[4:5], 1
	s_lshl_b64 s[6:7], s[6:7], 1
	;; [unrolled: 1-line block ×3, first 2 shown]
	s_add_u32 s6, s8, s6
	s_addc_u32 s7, s9, s7
	s_add_u32 s4, s6, s4
	s_addc_u32 s5, s7, s5
	v_mov_b32_e32 v2, s5
	s_waitcnt vmcnt(1)
	v_add_co_u32_e32 v5, vcc, s4, v5
	s_waitcnt vmcnt(0)
	v_addc_co_u32_e32 v2, vcc, v2, v8, vcc
	buffer_load_dword v8, off, s[0:3], s32 offset:196 ; 4-byte Folded Reload
	s_mov_b32 s4, 0x7f800000
	s_waitcnt vmcnt(0)
	v_and_b32_e32 v8, 0x3fe, v8
	v_add_co_u32_e32 v8, vcc, v5, v8
	v_addc_co_u32_e32 v9, vcc, 0, v2, vcc
	v_and_b32_e32 v2, 0x7f800000, v3
	v_cmp_ne_u32_e32 vcc, s4, v2
	flat_store_short_d16_hi v[8:9], v4
                                        ; implicit-def: $vgpr2
	s_and_saveexec_b64 s[4:5], vcc
	s_xor_b64 s[4:5], exec, s[4:5]
; %bb.1266:
	v_bfe_u32 v2, v3, 16, 1
	s_movk_i32 s6, 0x7fff
	v_add3_u32 v2, v3, v2, s6
; %bb.1267:
	s_andn2_saveexec_b64 s[4:5], s[4:5]
; %bb.1268:
	v_mov_b32_e32 v2, 0
	v_or_b32_e32 v4, 0x10000, v3
	v_cmp_eq_u32_sdwa vcc, v3, v2 src0_sel:WORD_0 src1_sel:DWORD
	v_cndmask_b32_e32 v2, v4, v3, vcc
; %bb.1269:
	s_or_b64 exec, exec, s[4:5]
	flat_store_short_d16_hi v[8:9], v2 offset:64
	s_mov_b32 s4, 0x7f800000
	v_and_b32_e32 v2, 0x7f800000, v0
	v_cmp_ne_u32_e32 vcc, s4, v2
                                        ; implicit-def: $vgpr2
	s_and_saveexec_b64 s[4:5], vcc
	s_xor_b64 s[4:5], exec, s[4:5]
; %bb.1270:
	v_bfe_u32 v2, v0, 16, 1
	s_movk_i32 s6, 0x7fff
	v_add3_u32 v2, v0, v2, s6
; %bb.1271:
	s_andn2_saveexec_b64 s[4:5], s[4:5]
; %bb.1272:
	v_mov_b32_e32 v2, 0
	v_or_b32_e32 v3, 0x10000, v0
	v_cmp_eq_u32_sdwa vcc, v0, v2 src0_sel:WORD_0 src1_sel:DWORD
	v_cndmask_b32_e32 v2, v3, v0, vcc
; %bb.1273:
	s_or_b64 exec, exec, s[4:5]
	s_mov_b32 s4, 0x7f800000
	v_and_b32_e32 v0, 0x7f800000, v1
	v_cmp_ne_u32_e32 vcc, s4, v0
	flat_store_short_d16_hi v[8:9], v2 offset:128
                                        ; implicit-def: $vgpr0
	s_and_saveexec_b64 s[4:5], vcc
	s_xor_b64 s[4:5], exec, s[4:5]
; %bb.1274:
	v_bfe_u32 v0, v1, 16, 1
	s_movk_i32 s6, 0x7fff
	v_add3_u32 v0, v1, v0, s6
; %bb.1275:
	s_andn2_saveexec_b64 s[4:5], s[4:5]
; %bb.1276:
	v_mov_b32_e32 v0, 0
	v_or_b32_e32 v2, 0x10000, v1
	v_cmp_eq_u32_sdwa vcc, v1, v0 src0_sel:WORD_0 src1_sel:DWORD
	v_cndmask_b32_e32 v0, v2, v1, vcc
; %bb.1277:
	s_or_b64 exec, exec, s[4:5]
	flat_store_short_d16_hi v[8:9], v0 offset:192
	s_mov_b32 s4, 0x7f800000
	v_and_b32_e32 v0, 0x7f800000, v6
	v_cmp_ne_u32_e32 vcc, s4, v0
                                        ; implicit-def: $vgpr0
	s_and_saveexec_b64 s[4:5], vcc
	s_xor_b64 s[4:5], exec, s[4:5]
; %bb.1278:
	v_bfe_u32 v0, v6, 16, 1
	s_movk_i32 s6, 0x7fff
	v_add3_u32 v0, v6, v0, s6
; %bb.1279:
	s_andn2_saveexec_b64 s[4:5], s[4:5]
; %bb.1280:
	v_mov_b32_e32 v0, 0
	v_or_b32_e32 v1, 0x10000, v6
	v_cmp_eq_u32_sdwa vcc, v6, v0 src0_sel:WORD_0 src1_sel:DWORD
	v_cndmask_b32_e32 v0, v1, v6, vcc
; %bb.1281:
	s_or_b64 exec, exec, s[4:5]
	flat_store_short_d16_hi v[8:9], v0 offset:256
	s_mov_b32 s4, 0x7f800000
	v_and_b32_e32 v0, 0x7f800000, v7
	v_cmp_ne_u32_e32 vcc, s4, v0
                                        ; implicit-def: $vgpr0
	s_and_saveexec_b64 s[4:5], vcc
	s_xor_b64 s[4:5], exec, s[4:5]
; %bb.1282:
	v_bfe_u32 v0, v7, 16, 1
	s_movk_i32 s6, 0x7fff
	v_add3_u32 v0, v7, v0, s6
                                        ; implicit-def: $vgpr2_vgpr3_vgpr4_vgpr5_vgpr6_vgpr7
; %bb.1283:
	s_andn2_saveexec_b64 s[4:5], s[4:5]
; %bb.1284:
	v_mov_b32_e32 v0, 0
	v_or_b32_e32 v1, 0x10000, v7
	v_cmp_eq_u32_sdwa vcc, v7, v0 src0_sel:WORD_0 src1_sel:DWORD
	v_cndmask_b32_e32 v0, v1, v7, vcc
; %bb.1285:
	s_or_b64 exec, exec, s[4:5]
	flat_store_short_d16_hi v[8:9], v0 offset:320
.LBB356_1286:
	s_or_b64 exec, exec, s[16:17]
	buffer_load_dword a63, off, s[0:3], s32 offset:8 ; 4-byte Folded Reload
	buffer_load_dword a62, off, s[0:3], s32 offset:12 ; 4-byte Folded Reload
	;; [unrolled: 1-line block ×47, first 2 shown]
	v_readlane_b32 s30, v63, 9
	v_readlane_b32 s31, v63, 10
	;; [unrolled: 1-line block ×11, first 2 shown]
	s_or_saveexec_b64 s[4:5], -1
	buffer_load_dword v63, off, s[0:3], s32 offset:292 ; 4-byte Folded Reload
	s_mov_b64 exec, s[4:5]
	s_waitcnt vmcnt(0) lgkmcnt(0)
	s_setpc_b64 s[30:31]
.LBB356_1287:
	s_load_dword s12, s[6:7], 0x0
	s_waitcnt lgkmcnt(0)
	v_lshl_add_u32 v5, v4, 2, s12
	ds_read_b32 v5, v5
	s_waitcnt lgkmcnt(0)
	v_add_f32_e32 v2, v2, v5
	s_or_b64 exec, exec, s[10:11]
	s_and_saveexec_b64 s[10:11], s[4:5]
	s_cbranch_execz .LBB356_1253
.LBB356_1288:
	s_load_dword s12, s[6:7], 0x0
	s_waitcnt lgkmcnt(0)
	v_lshl_add_u32 v5, v4, 2, s12
	ds_read_b32 v5, v5 offset:128
	s_waitcnt lgkmcnt(0)
	v_add_f32_e32 v3, v3, v5
	s_or_b64 exec, exec, s[10:11]
	s_and_saveexec_b64 s[10:11], s[4:5]
	s_cbranch_execz .LBB356_1254
.LBB356_1289:
	s_load_dword s12, s[6:7], 0x0
	s_waitcnt lgkmcnt(0)
	v_lshl_add_u32 v5, v4, 2, s12
	ds_read_b32 v5, v5 offset:256
	s_waitcnt lgkmcnt(0)
	v_add_f32_e32 v0, v0, v5
	s_or_b64 exec, exec, s[10:11]
	s_and_saveexec_b64 s[10:11], s[4:5]
	s_cbranch_execz .LBB356_1255
.LBB356_1290:
	s_load_dword s12, s[6:7], 0x0
	s_waitcnt lgkmcnt(0)
	v_lshl_add_u32 v5, v4, 2, s12
	ds_read_b32 v5, v5 offset:384
	s_waitcnt lgkmcnt(0)
	v_add_f32_e32 v1, v1, v5
	s_or_b64 exec, exec, s[10:11]
	s_and_saveexec_b64 s[10:11], s[4:5]
	s_cbranch_execz .LBB356_1256
.LBB356_1291:
	s_load_dword s12, s[6:7], 0x0
	s_waitcnt lgkmcnt(0)
	v_lshl_add_u32 v5, v4, 2, s12
	ds_read_b32 v5, v5 offset:512
	s_waitcnt lgkmcnt(0)
	v_add_f32_e32 v6, v6, v5
	s_or_b64 exec, exec, s[10:11]
	s_and_saveexec_b64 s[10:11], s[4:5]
	s_cbranch_execnz .LBB356_1257
	s_branch .LBB356_1258
.Lfunc_end356:
	.size	_ZN4vllm22paged_attention_kernelI14__hip_bfloat16hLi192ELi16ELi128ELNS_18Fp8KVCacheDataTypeE1ELb1ELi512EEEvPfS3_PT_PKS4_PKT0_SA_ifPKiSC_iPKfiiiSE_SE_iiiii, .Lfunc_end356-_ZN4vllm22paged_attention_kernelI14__hip_bfloat16hLi192ELi16ELi128ELNS_18Fp8KVCacheDataTypeE1ELb1ELi512EEEvPfS3_PT_PKS4_PKT0_SA_ifPKiSC_iPKfiiiSE_SE_iiiii
                                        ; -- End function
	.section	.AMDGPU.csdata,"",@progbits
; Function info:
; codeLenInByte = 41212
; NumSgprs: 47
; NumVgprs: 64
; NumAgprs: 64
; TotalNumVgprs: 128
; ScratchSize: 300
; MemoryBound: 0
	.section	.text._ZN4vllm25paged_attention_v2_kernelI14__hip_bfloat16hLi192ELi16ELi128ELNS_18Fp8KVCacheDataTypeE1ELb1ELi512EEEvPfS3_PT_PKS4_PKT0_SA_ifPKiSC_iPKfiiiSE_SE_iiiii,"axG",@progbits,_ZN4vllm25paged_attention_v2_kernelI14__hip_bfloat16hLi192ELi16ELi128ELNS_18Fp8KVCacheDataTypeE1ELb1ELi512EEEvPfS3_PT_PKS4_PKT0_SA_ifPKiSC_iPKfiiiSE_SE_iiiii,comdat
	.protected	_ZN4vllm25paged_attention_v2_kernelI14__hip_bfloat16hLi192ELi16ELi128ELNS_18Fp8KVCacheDataTypeE1ELb1ELi512EEEvPfS3_PT_PKS4_PKT0_SA_ifPKiSC_iPKfiiiSE_SE_iiiii ; -- Begin function _ZN4vllm25paged_attention_v2_kernelI14__hip_bfloat16hLi192ELi16ELi128ELNS_18Fp8KVCacheDataTypeE1ELb1ELi512EEEvPfS3_PT_PKS4_PKT0_SA_ifPKiSC_iPKfiiiSE_SE_iiiii
	.globl	_ZN4vllm25paged_attention_v2_kernelI14__hip_bfloat16hLi192ELi16ELi128ELNS_18Fp8KVCacheDataTypeE1ELb1ELi512EEEvPfS3_PT_PKS4_PKT0_SA_ifPKiSC_iPKfiiiSE_SE_iiiii
	.p2align	8
	.type	_ZN4vllm25paged_attention_v2_kernelI14__hip_bfloat16hLi192ELi16ELi128ELNS_18Fp8KVCacheDataTypeE1ELb1ELi512EEEvPfS3_PT_PKS4_PKT0_SA_ifPKiSC_iPKfiiiSE_SE_iiiii,@function
_ZN4vllm25paged_attention_v2_kernelI14__hip_bfloat16hLi192ELi16ELi128ELNS_18Fp8KVCacheDataTypeE1ELb1ELi512EEEvPfS3_PT_PKS4_PKT0_SA_ifPKiSC_iPKfiiiSE_SE_iiiii: ; @_ZN4vllm25paged_attention_v2_kernelI14__hip_bfloat16hLi192ELi16ELi128ELNS_18Fp8KVCacheDataTypeE1ELb1ELi512EEEvPfS3_PT_PKS4_PKT0_SA_ifPKiSC_iPKfiiiSE_SE_iiiii
; %bb.0:
	s_add_u32 flat_scratch_lo, s6, s11
	s_addc_u32 flat_scratch_hi, s7, 0
	s_add_u32 s0, s0, s11
	s_mov_b32 s12, s8
	s_load_dwordx8 s[24:31], s[4:5], 0x0
	s_load_dwordx8 s[16:23], s[4:5], 0x20
	s_load_dwordx2 s[6:7], s[4:5], 0x40
	s_load_dwordx4 s[44:47], s[4:5], 0x78
	s_load_dwordx2 s[34:35], s[4:5], 0x50
	s_load_dword s11, s[4:5], 0x48
	s_load_dword s8, s[4:5], 0x88
	s_load_dwordx8 s[36:43], s[4:5], 0x58
	s_mov_b32 s32, 0
	s_addc_u32 s1, s1, 0
	s_waitcnt lgkmcnt(0)
	v_mov_b32_e32 v1, s47
	buffer_store_dword v1, off, s[0:3], s32
	v_mov_b32_e32 v1, s8
	s_add_u32 s8, s4, 0x90
	s_mov_b32 s13, s9
	buffer_store_dword v1, off, s[0:3], s32 offset:4
	s_addc_u32 s9, s5, 0
	s_mov_b32 s14, s10
	s_mov_b32 s15, 13
	v_mov_b32_e32 v31, v0
	v_mov_b32_e32 v0, s24
	;; [unrolled: 1-line block ×32, first 2 shown]
	s_getpc_b64 s[4:5]
	s_add_u32 s4, s4, _ZN4vllm22paged_attention_kernelI14__hip_bfloat16hLi192ELi16ELi128ELNS_18Fp8KVCacheDataTypeE1ELb1ELi512EEEvPfS3_PT_PKS4_PKT0_SA_ifPKiSC_iPKfiiiSE_SE_iiiii@rel32@lo+4
	s_addc_u32 s5, s5, _ZN4vllm22paged_attention_kernelI14__hip_bfloat16hLi192ELi16ELi128ELNS_18Fp8KVCacheDataTypeE1ELb1ELi512EEEvPfS3_PT_PKS4_PKT0_SA_ifPKiSC_iPKfiiiSE_SE_iiiii@rel32@hi+12
	s_swappc_b64 s[30:31], s[4:5]
	s_endpgm
	.section	.rodata,"a",@progbits
	.p2align	6, 0x0
	.amdhsa_kernel _ZN4vllm25paged_attention_v2_kernelI14__hip_bfloat16hLi192ELi16ELi128ELNS_18Fp8KVCacheDataTypeE1ELb1ELi512EEEvPfS3_PT_PKS4_PKT0_SA_ifPKiSC_iPKfiiiSE_SE_iiiii
		.amdhsa_group_segment_fixed_size 400
		.amdhsa_private_segment_fixed_size 300
		.amdhsa_kernarg_size 400
		.amdhsa_user_sgpr_count 8
		.amdhsa_user_sgpr_private_segment_buffer 1
		.amdhsa_user_sgpr_dispatch_ptr 0
		.amdhsa_user_sgpr_queue_ptr 0
		.amdhsa_user_sgpr_kernarg_segment_ptr 1
		.amdhsa_user_sgpr_dispatch_id 0
		.amdhsa_user_sgpr_flat_scratch_init 1
		.amdhsa_user_sgpr_kernarg_preload_length 0
		.amdhsa_user_sgpr_kernarg_preload_offset 0
		.amdhsa_user_sgpr_private_segment_size 0
		.amdhsa_uses_dynamic_stack 0
		.amdhsa_system_sgpr_private_segment_wavefront_offset 1
		.amdhsa_system_sgpr_workgroup_id_x 1
		.amdhsa_system_sgpr_workgroup_id_y 1
		.amdhsa_system_sgpr_workgroup_id_z 1
		.amdhsa_system_sgpr_workgroup_info 0
		.amdhsa_system_vgpr_workitem_id 0
		.amdhsa_next_free_vgpr 128
		.amdhsa_next_free_sgpr 48
		.amdhsa_accum_offset 64
		.amdhsa_reserve_vcc 1
		.amdhsa_reserve_flat_scratch 1
		.amdhsa_float_round_mode_32 0
		.amdhsa_float_round_mode_16_64 0
		.amdhsa_float_denorm_mode_32 3
		.amdhsa_float_denorm_mode_16_64 3
		.amdhsa_dx10_clamp 1
		.amdhsa_ieee_mode 1
		.amdhsa_fp16_overflow 0
		.amdhsa_tg_split 0
		.amdhsa_exception_fp_ieee_invalid_op 0
		.amdhsa_exception_fp_denorm_src 0
		.amdhsa_exception_fp_ieee_div_zero 0
		.amdhsa_exception_fp_ieee_overflow 0
		.amdhsa_exception_fp_ieee_underflow 0
		.amdhsa_exception_fp_ieee_inexact 0
		.amdhsa_exception_int_div_zero 0
	.end_amdhsa_kernel
	.section	.text._ZN4vllm25paged_attention_v2_kernelI14__hip_bfloat16hLi192ELi16ELi128ELNS_18Fp8KVCacheDataTypeE1ELb1ELi512EEEvPfS3_PT_PKS4_PKT0_SA_ifPKiSC_iPKfiiiSE_SE_iiiii,"axG",@progbits,_ZN4vllm25paged_attention_v2_kernelI14__hip_bfloat16hLi192ELi16ELi128ELNS_18Fp8KVCacheDataTypeE1ELb1ELi512EEEvPfS3_PT_PKS4_PKT0_SA_ifPKiSC_iPKfiiiSE_SE_iiiii,comdat
.Lfunc_end357:
	.size	_ZN4vllm25paged_attention_v2_kernelI14__hip_bfloat16hLi192ELi16ELi128ELNS_18Fp8KVCacheDataTypeE1ELb1ELi512EEEvPfS3_PT_PKS4_PKT0_SA_ifPKiSC_iPKfiiiSE_SE_iiiii, .Lfunc_end357-_ZN4vllm25paged_attention_v2_kernelI14__hip_bfloat16hLi192ELi16ELi128ELNS_18Fp8KVCacheDataTypeE1ELb1ELi512EEEvPfS3_PT_PKS4_PKT0_SA_ifPKiSC_iPKfiiiSE_SE_iiiii
                                        ; -- End function
	.section	.AMDGPU.csdata,"",@progbits
; Kernel info:
; codeLenInByte = 296
; NumSgprs: 54
; NumVgprs: 64
; NumAgprs: 64
; TotalNumVgprs: 128
; ScratchSize: 300
; MemoryBound: 0
; FloatMode: 240
; IeeeMode: 1
; LDSByteSize: 400 bytes/workgroup (compile time only)
; SGPRBlocks: 6
; VGPRBlocks: 15
; NumSGPRsForWavesPerEU: 54
; NumVGPRsForWavesPerEU: 128
; AccumOffset: 64
; Occupancy: 4
; WaveLimiterHint : 1
; COMPUTE_PGM_RSRC2:SCRATCH_EN: 1
; COMPUTE_PGM_RSRC2:USER_SGPR: 8
; COMPUTE_PGM_RSRC2:TRAP_HANDLER: 0
; COMPUTE_PGM_RSRC2:TGID_X_EN: 1
; COMPUTE_PGM_RSRC2:TGID_Y_EN: 1
; COMPUTE_PGM_RSRC2:TGID_Z_EN: 1
; COMPUTE_PGM_RSRC2:TIDIG_COMP_CNT: 0
; COMPUTE_PGM_RSRC3_GFX90A:ACCUM_OFFSET: 15
; COMPUTE_PGM_RSRC3_GFX90A:TG_SPLIT: 0
	.text
	.p2align	2                               ; -- Begin function _ZN4vllm22paged_attention_kernelI14__hip_bfloat16hLi256ELi16ELi128ELNS_18Fp8KVCacheDataTypeE1ELb1ELi512EEEvPfS3_PT_PKS4_PKT0_SA_ifPKiSC_iPKfiiiSE_SE_iiiii
	.type	_ZN4vllm22paged_attention_kernelI14__hip_bfloat16hLi256ELi16ELi128ELNS_18Fp8KVCacheDataTypeE1ELb1ELi512EEEvPfS3_PT_PKS4_PKT0_SA_ifPKiSC_iPKfiiiSE_SE_iiiii,@function
_ZN4vllm22paged_attention_kernelI14__hip_bfloat16hLi256ELi16ELi128ELNS_18Fp8KVCacheDataTypeE1ELb1ELi512EEEvPfS3_PT_PKS4_PKT0_SA_ifPKiSC_iPKfiiiSE_SE_iiiii: ; @_ZN4vllm22paged_attention_kernelI14__hip_bfloat16hLi256ELi16ELi128ELNS_18Fp8KVCacheDataTypeE1ELb1ELi512EEEvPfS3_PT_PKS4_PKT0_SA_ifPKiSC_iPKfiiiSE_SE_iiiii
; %bb.0:
	s_waitcnt vmcnt(0) expcnt(0) lgkmcnt(0)
	s_or_saveexec_b64 s[4:5], -1
	buffer_store_dword v63, off, s[0:3], s32 offset:404 ; 4-byte Folded Spill
	s_mov_b64 exec, s[4:5]
	buffer_store_dword v40, off, s[0:3], s32 offset:192 ; 4-byte Folded Spill
	buffer_store_dword v41, off, s[0:3], s32 offset:188 ; 4-byte Folded Spill
	;; [unrolled: 1-line block ×47, first 2 shown]
	v_writelane_b32 v63, s34, 0
	v_writelane_b32 v63, s35, 1
	;; [unrolled: 1-line block ×11, first 2 shown]
	s_mov_b32 s18, s13
	s_ashr_i32 s19, s13, 31
	buffer_store_dword v26, off, s[0:3], s32 offset:272 ; 4-byte Folded Spill
	s_nop 0
	buffer_store_dword v27, off, s[0:3], s32 offset:276 ; 4-byte Folded Spill
	buffer_store_dword v24, off, s[0:3], s32 offset:280 ; 4-byte Folded Spill
	s_nop 0
	buffer_store_dword v25, off, s[0:3], s32 offset:284 ; 4-byte Folded Spill
	;; [unrolled: 3-line block ×3, first 2 shown]
	s_lshl_b64 s[4:5], s[18:19], 2
	v_mov_b32_e32 v24, v1
	v_mov_b32_e32 v25, v0
	;; [unrolled: 1-line block ×3, first 2 shown]
	v_add_co_u32_e32 v0, vcc, s4, v16
	buffer_store_dword v13, off, s[0:3], s32 offset:316 ; 4-byte Folded Spill
	buffer_store_dword v5, off, s[0:3], s32 offset:328 ; 4-byte Folded Spill
	;; [unrolled: 1-line block ×3, first 2 shown]
	v_addc_co_u32_e32 v1, vcc, v17, v1, vcc
	v_mov_b32_e32 v34, v2
	flat_load_dword v2, v[0:1]
	s_nop 0
	buffer_load_dword v0, off, s[0:3], s32 offset:4
	buffer_load_dword v1, off, s[0:3], s32
	s_mov_b32 s22, s15
	s_lshl_b32 s15, s14, 9
	v_mov_b32_e32 v33, v20
	v_mov_b32_e32 v32, v19
	;; [unrolled: 1-line block ×5, first 2 shown]
	s_waitcnt vmcnt(0) lgkmcnt(0)
	v_cmp_lt_i32_e32 vcc, s15, v2
	buffer_store_dword v2, off, s[0:3], s32 offset:196 ; 4-byte Folded Spill
	s_and_saveexec_b64 s[16:17], vcc
	s_cbranch_execz .LBB358_1684
; %bb.1:
	v_sub_u32_e32 v2, 0, v12
	v_max_i32_e32 v2, v12, v2
	v_cvt_f32_u32_e32 v3, v2
	s_load_dword s4, s[8:9], 0x10
	s_load_dword s6, s[8:9], 0x0
	v_sub_u32_e32 v5, 0, v2
	v_rcp_iflag_f32_e32 v3, v3
	s_waitcnt lgkmcnt(0)
	s_lshr_b32 s4, s4, 16
	s_cmp_lg_u32 s4, 0
	s_cselect_b64 s[4:5], -1, 0
	v_mul_f32_e32 v3, 0x4f7ffffe, v3
	v_cvt_u32_f32_e32 v3, v3
	s_cmp_lg_u64 s[4:5], 0
	s_addc_u32 s19, s6, 0
	s_abs_i32 s4, s19
	v_mul_lo_u32 v5, v5, v3
	v_mul_hi_u32 v5, v3, v5
	v_add_u32_e32 v3, v3, v5
	v_mul_hi_u32 v3, s4, v3
	v_mul_lo_u32 v5, v3, v2
	v_sub_u32_e32 v5, s4, v5
	v_add_u32_e32 v10, 1, v3
	v_cmp_ge_u32_e32 vcc, v5, v2
	v_cndmask_b32_e32 v3, v3, v10, vcc
	v_sub_u32_e32 v10, v5, v2
	v_cndmask_b32_e32 v5, v5, v10, vcc
	v_xor_b32_e32 v4, s19, v12
	v_add_u32_e32 v10, 1, v3
	v_cmp_ge_u32_e32 vcc, v5, v2
	v_ashrrev_i32_e32 v4, 31, v4
	v_cndmask_b32_e32 v2, v3, v10, vcc
	v_xor_b32_e32 v2, v2, v4
	v_sub_u32_e32 v2, v2, v4
	v_sub_u32_e32 v3, 0, v2
	v_max_i32_e32 v3, v2, v3
	v_cvt_f32_u32_e32 v4, v3
	v_sub_u32_e32 v5, 0, v3
	s_abs_i32 s6, s12
	v_cmp_ne_u64_e32 vcc, 0, v[32:33]
	v_rcp_iflag_f32_e32 v4, v4
	v_mul_f32_e32 v4, 0x4f7ffffe, v4
	v_cvt_u32_f32_e32 v4, v4
	v_mul_lo_u32 v5, v5, v4
	v_mul_hi_u32 v5, v4, v5
	v_add_u32_e32 v4, v4, v5
	v_mad_u64_u32 v[16:17], s[4:5], s6, v4, 0
	v_mov_b32_e32 v4, 0
	buffer_store_dword v4, off, s[0:3], s32 offset:312 ; 4-byte Folded Spill
	s_and_saveexec_b64 s[4:5], vcc
	s_cbranch_execz .LBB358_3
; %bb.2:
	s_ashr_i32 s13, s12, 31
	s_lshl_b64 s[10:11], s[12:13], 2
	v_mov_b32_e32 v5, s11
	v_add_co_u32_e32 v4, vcc, s10, v32
	v_addc_co_u32_e32 v5, vcc, v33, v5, vcc
	flat_load_dword v4, v[4:5]
	s_waitcnt vmcnt(0) lgkmcnt(0)
	buffer_store_dword v4, off, s[0:3], s32 offset:312 ; 4-byte Folded Spill
.LBB358_3:
	s_or_b64 exec, exec, s[4:5]
	v_and_b32_e32 v5, 0x3ff, v31
	s_movk_i32 s4, 0x80
	s_ashr_i32 s7, s12, 31
	v_ashrrev_i32_e32 v4, 31, v2
	v_and_b32_e32 v2, 3, v5
	s_lshl_b32 s20, s12, 8
	v_cmp_gt_u32_e32 vcc, s4, v5
	buffer_store_dword v5, off, s[0:3], s32 offset:268 ; 4-byte Folded Spill
	s_and_saveexec_b64 s[4:5], vcc
	s_cbranch_execz .LBB358_5
; %bb.4:
	v_mul_lo_u32 v10, s18, v21
	v_ashrrev_i32_e32 v11, 31, v10
	v_lshlrev_b64 v[10:11], 1, v[10:11]
	v_add_co_u32_e32 v5, vcc, v6, v10
	buffer_load_dword v10, off, s[0:3], s32 offset:268 ; 4-byte Folded Reload
	s_ashr_i32 s21, s20, 31
	v_addc_co_u32_e32 v6, vcc, v7, v11, vcc
	s_lshl_b64 s[10:11], s[20:21], 1
	v_mov_b32_e32 v7, s11
	v_add_co_u32_e32 v5, vcc, s10, v5
	v_addc_co_u32_e32 v7, vcc, v6, v7, vcc
	s_waitcnt vmcnt(0)
	v_lshlrev_b32_e32 v6, 2, v10
	v_add_co_u32_e32 v6, vcc, v5, v6
	v_addc_co_u32_e32 v7, vcc, 0, v7, vcc
	flat_load_dword v5, v[6:7]
	v_and_b32_e32 v6, 0x3fc, v10
	v_lshl_add_u32 v6, v2, 7, v6
	s_waitcnt vmcnt(0) lgkmcnt(0)
	ds_write_b32 v6, v5
.LBB358_5:
	s_or_b64 exec, exec, s[4:5]
	v_mul_lo_u32 v5, v17, v3
	v_sub_u32_e32 v5, s6, v5
	v_add_u32_e32 v6, 1, v17
	v_cmp_ge_u32_e32 vcc, v5, v3
	v_sub_u32_e32 v7, v5, v3
	v_cndmask_b32_e32 v6, v17, v6, vcc
	v_cndmask_b32_e32 v5, v5, v7, vcc
	v_add_u32_e32 v7, 1, v6
	v_cmp_ge_u32_e32 vcc, v5, v3
	v_xor_b32_e32 v4, s7, v4
	v_cndmask_b32_e32 v3, v6, v7, vcc
	v_xor_b32_e32 v3, v3, v4
	v_sub_u32_e32 v6, v3, v4
	s_waitcnt lgkmcnt(0)
	s_barrier
	buffer_load_dword v4, off, s[0:3], s32 offset:196 ; 4-byte Folded Reload
	v_sub_u32_e32 v5, 0, v1
	v_max_i32_e32 v7, v1, v5
	v_cvt_f32_u32_e32 v5, v7
	buffer_store_dword v7, off, s[0:3], s32 offset:200 ; 4-byte Folded Spill
	v_sub_u32_e32 v7, 0, v7
	v_cmp_gt_i32_e32 vcc, 0, v0
	v_rcp_iflag_f32_e32 v3, v5
                                        ; implicit-def: $vgpr10
	v_mul_f32_e32 v3, 0x4f7ffffe, v3
	v_cvt_u32_f32_e32 v5, v3
	v_mul_lo_u32 v7, v7, v5
	v_mul_hi_u32 v7, v5, v7
	v_add_u32_e32 v5, v5, v7
	buffer_store_dword v5, off, s[0:3], s32 offset:220 ; 4-byte Folded Spill
	buffer_store_dword v10, off, s[0:3], s32 offset:212 ; 4-byte Folded Spill
	s_nop 0
	buffer_store_dword v11, off, s[0:3], s32 offset:216 ; 4-byte Folded Spill
	s_waitcnt vmcnt(4)
	v_add_u32_e32 v4, -1, v4
	v_sub_u32_e32 v3, 0, v4
	v_max_i32_e32 v3, v4, v3
	v_mad_u64_u32 v[16:17], s[4:5], v3, v5, 0
	s_and_saveexec_b64 s[4:5], vcc
	s_xor_b64 s[4:5], exec, s[4:5]
	s_cbranch_execz .LBB358_7
; %bb.6:
	v_mad_u64_u32 v[10:11], s[6:7], v28, v12, v[6:7]
	v_mul_lo_u32 v0, v10, v0
	v_sub_u32_e32 v0, 1, v0
	buffer_store_dword v0, off, s[0:3], s32 offset:212 ; 4-byte Folded Spill
	s_nop 0
	buffer_store_dword v1, off, s[0:3], s32 offset:216 ; 4-byte Folded Spill
                                        ; implicit-def: $vgpr28
                                        ; implicit-def: $vgpr0
.LBB358_7:
	s_or_saveexec_b64 s[4:5], s[4:5]
	v_ashrrev_i32_e32 v4, 31, v4
	v_ashrrev_i32_e32 v1, 31, v1
	buffer_store_dword v1, off, s[0:3], s32 offset:204 ; 4-byte Folded Spill
	s_xor_b64 exec, exec, s[4:5]
	s_cbranch_execz .LBB358_9
; %bb.8:
	v_mul_lo_u32 v1, s19, v28
	v_add_u32_e32 v1, s12, v1
	v_mad_u64_u32 v[0:1], s[6:7], v1, v0, 1
	buffer_store_dword v0, off, s[0:3], s32 offset:212 ; 4-byte Folded Spill
	s_nop 0
	buffer_store_dword v1, off, s[0:3], s32 offset:216 ; 4-byte Folded Spill
.LBB358_9:
	s_or_b64 exec, exec, s[4:5]
	s_load_dword s38, s[8:9], 0x14
	s_load_dword s13, s[8:9], 0x8
	buffer_load_dword v5, off, s[0:3], s32 offset:204 ; 4-byte Folded Reload
	buffer_load_dword v10, off, s[0:3], s32 offset:200 ; 4-byte Folded Reload
	s_lshl_b32 s21, s14, 5
	s_add_i32 s4, s21, 32
	v_mul_lo_u32 v0, s18, v18
	v_ashrrev_i32_e32 v1, 31, v0
	v_mul_lo_u32 v23, v6, v23
	v_sub_u32_e32 v35, 0, v30
	v_lshlrev_b64 v[32:33], 2, v[0:1]
	s_waitcnt vmcnt(1)
	v_xor_b32_e32 v4, v4, v5
	s_waitcnt vmcnt(0)
	v_mul_lo_u32 v5, v17, v10
	v_sub_u32_e32 v3, v3, v5
	v_add_u32_e32 v5, 1, v17
	v_cmp_ge_u32_e32 vcc, v3, v10
	v_sub_u32_e32 v7, v3, v10
	v_cndmask_b32_e32 v5, v17, v5, vcc
	v_cndmask_b32_e32 v3, v3, v7, vcc
	v_add_u32_e32 v7, 1, v5
	v_cmp_ge_u32_e32 vcc, v3, v10
	v_cndmask_b32_e32 v3, v5, v7, vcc
	v_xor_b32_e32 v3, v3, v4
	v_sub_u32_e32 v3, v3, v4
	buffer_load_dword v4, off, s[0:3], s32 offset:196 ; 4-byte Folded Reload
	v_mov_b32_e32 v7, 0xff7fffff
	v_sub_u32_e32 v3, v3, v29
	v_ashrrev_i32_e32 v29, 31, v23
	buffer_store_dword v3, off, s[0:3], s32 offset:224 ; 4-byte Folded Spill
	s_waitcnt vmcnt(1)
	v_add_u32_e32 v4, 15, v4
	v_ashrrev_i32_e32 v5, 31, v4
	v_lshrrev_b32_e32 v5, 28, v5
	v_add_u32_e32 v4, v4, v5
	v_ashrrev_i32_e32 v31, 4, v4
	buffer_load_dword v4, off, s[0:3], s32 offset:268 ; 4-byte Folded Reload
	v_min_i32_e32 v5, s4, v31
	buffer_store_dword v5, off, s[0:3], s32 offset:208 ; 4-byte Folded Spill
	s_waitcnt vmcnt(1)
	v_lshrrev_b32_e32 v21, 6, v4
	v_or_b32_e32 v4, s21, v21
	v_cmp_lt_i32_e64 s[4:5], v4, v5
	v_ashrrev_i32_e32 v5, 31, v4
	v_accvgpr_write_b32 a13, v5
	v_accvgpr_write_b32 a12, v4
	v_lshl_add_u32 v0, v21, 4, s15
	v_mbcnt_lo_u32_b32 v4, -1, 0
	buffer_store_dword v0, off, s[0:3], s32 offset:336 ; 4-byte Folded Spill
	s_and_saveexec_b64 s[24:25], s[4:5]
	s_cbranch_execz .LBB358_659
; %bb.10:
	buffer_store_dword v31, off, s[0:3], s32 offset:340 ; 4-byte Folded Spill
	buffer_store_dword v34, off, s[0:3], s32 offset:372 ; 4-byte Folded Spill
	;; [unrolled: 1-line block ×7, first 2 shown]
	buffer_load_dword v0, off, s[0:3], s32 offset:268 ; 4-byte Folded Reload
	s_ashr_i32 s23, s22, 31
	buffer_store_dword v23, off, s[0:3], s32 offset:344 ; 4-byte Folded Spill
	buffer_store_dword v29, off, s[0:3], s32 offset:348 ; 4-byte Folded Spill
	s_lshl_b64 s[8:9], s[22:23], 2
	s_getpc_b64 s[10:11]
	s_add_u32 s10, s10, llvm.amdgcn.dynlds.offset.table@rel32@lo+4
	s_addc_u32 s11, s11, llvm.amdgcn.dynlds.offset.table@rel32@hi+12
	s_add_u32 s26, s8, s10
	v_cmp_eq_u32_e32 vcc, 0, v2
	v_lshlrev_b32_e32 v20, 7, v2
	s_addc_u32 s27, s9, s11
	v_mov_b32_e32 v41, 0
	s_mov_b64 s[28:29], 0
	s_movk_i32 s39, 0x80
	s_movk_i32 s40, 0x7f
	s_mov_b32 s41, 0x7f800000
	s_movk_i32 s42, 0x7fff
	s_waitcnt vmcnt(2)
	v_bfe_u32 v5, v0, 2, 4
	v_add_co_u32_e64 v0, s[6:7], v8, v23
	v_addc_co_u32_e64 v1, s[6:7], v9, v29, s[6:7]
	v_lshlrev_b32_e32 v3, 4, v5
	v_add_co_u32_e64 v0, s[6:7], v0, v3
	v_addc_co_u32_e64 v1, s[6:7], 0, v1, s[6:7]
	buffer_store_dword v0, off, s[0:3], s32 offset:296 ; 4-byte Folded Spill
	s_nop 0
	buffer_store_dword v1, off, s[0:3], s32 offset:300 ; 4-byte Folded Spill
	v_lshlrev_b32_e32 v0, 1, v2
	v_max_i32_e32 v3, v30, v35
	buffer_store_dword v0, off, s[0:3], s32 offset:304 ; 4-byte Folded Spill
	s_nop 0
	buffer_store_dword v1, off, s[0:3], s32 offset:308 ; 4-byte Folded Spill
	buffer_store_dword v30, off, s[0:3], s32 offset:392 ; 4-byte Folded Spill
	buffer_store_dword v35, off, s[0:3], s32 offset:352 ; 4-byte Folded Spill
	buffer_load_dword v1, off, s[0:3], s32 offset:312 ; 4-byte Folded Reload
	v_cvt_f32_u32_e32 v0, v3
	buffer_store_dword v3, off, s[0:3], s32 offset:236 ; 4-byte Folded Spill
	s_load_dword s23, s[26:27], 0x0
	v_rcp_iflag_f32_e32 v0, v0
	v_mul_f32_e32 v0, 0x4f7ffffe, v0
	v_cvt_u32_f32_e32 v0, v0
	s_waitcnt vmcnt(1)
	v_cmp_neq_f32_e64 s[6:7], 0, v1
	v_sub_u32_e32 v1, 0, v3
	v_mul_lo_u32 v1, v1, v0
	v_mul_hi_u32 v1, v0, v1
	v_add_u32_e32 v0, v0, v1
	v_accvgpr_read_b32 v2, a12
	buffer_store_dword v0, off, s[0:3], s32 offset:240 ; 4-byte Folded Spill
	s_nop 0
	buffer_store_dword v1, off, s[0:3], s32 offset:244 ; 4-byte Folded Spill
	v_accvgpr_read_b32 v3, a13
	v_lshlrev_b64 v[0:1], 2, v[2:3]
	v_add_co_u32_e64 v0, s[8:9], v32, v0
	buffer_store_dword v32, off, s[0:3], s32 offset:356 ; 4-byte Folded Spill
	s_nop 0
	buffer_store_dword v33, off, s[0:3], s32 offset:360 ; 4-byte Folded Spill
	v_mov_b32_e32 v3, v14
	buffer_store_dword v14, off, s[0:3], s32 offset:396 ; 4-byte Folded Spill
	buffer_store_dword v15, off, s[0:3], s32 offset:400 ; 4-byte Folded Spill
	;; [unrolled: 1-line block ×4, first 2 shown]
	v_addc_co_u32_e64 v1, s[8:9], v33, v1, s[8:9]
	v_add_co_u32_e64 v46, s[8:9], v3, v0
	v_lshlrev_b32_e32 v0, 2, v5
	v_lshl_or_b32 v0, v21, 6, v0
	v_accvgpr_write_b32 a43, v0
	buffer_load_dword v0, off, s[0:3], s32 offset:196 ; 4-byte Folded Reload
	v_addc_co_u32_e64 v47, s[8:9], v15, v1, s[8:9]
	v_lshl_add_u32 v1, v21, 4, s15
	s_waitcnt vmcnt(0)
	v_sub_u32_e32 v0, v5, v0
	v_add_u32_e32 v0, 1, v0
	buffer_store_dword v0, off, s[0:3], s32 offset:324 ; 4-byte Folded Spill
	v_mbcnt_hi_u32_b32 v0, -1, v4
	buffer_store_dword v0, off, s[0:3], s32 offset:292 ; 4-byte Folded Spill
	v_mov_b32_e32 v0, 0xff7fffff
	buffer_store_dword v0, off, s[0:3], s32 offset:288 ; 4-byte Folded Spill
	s_branch .LBB358_13
.LBB358_11:                             ;   in Loop: Header=BB358_13 Depth=1
	s_or_b64 exec, exec, s[30:31]
.LBB358_12:                             ;   in Loop: Header=BB358_13 Depth=1
	s_or_b64 exec, exec, s[10:11]
	buffer_load_dword v0, off, s[0:3], s32 offset:208 ; 4-byte Folded Reload
	v_accvgpr_read_b32 v2, a47
	v_add_co_u32_e64 v46, s[8:9], 8, v46
	v_add_u32_e32 v2, 2, v2
	v_addc_co_u32_e64 v47, s[8:9], 0, v47, s[8:9]
	s_waitcnt lgkmcnt(0)
	v_accvgpr_read_b32 v1, a46
	v_add_u32_e32 v1, 32, v1
	s_waitcnt vmcnt(0)
	v_cmp_ge_i32_e64 s[8:9], v2, v0
	v_accvgpr_read_b32 v0, a43
	v_add_u32_e32 v0, 0x80, v0
	s_or_b64 s[28:29], s[8:9], s[28:29]
	v_accvgpr_write_b32 a43, v0
	s_andn2_b64 exec, exec, s[28:29]
	s_cbranch_execz .LBB358_658
.LBB358_13:                             ; =>This Inner Loop Header: Depth=1
	v_accvgpr_write_b32 a47, v2
	v_ashrrev_i32_e32 v0, 31, v1
	v_mov_b32_e32 v2, v1
	buffer_load_dword v1, off, s[0:3], s32 offset:204 ; 4-byte Folded Reload
	v_accvgpr_write_b32 a46, v2
	s_waitcnt vmcnt(0)
	v_xor_b32_e32 v0, v0, v1
	v_sub_u32_e32 v1, 0, v2
	v_max_i32_e32 v1, v2, v1
	buffer_load_dword v2, off, s[0:3], s32 offset:220 ; 4-byte Folded Reload
	s_waitcnt vmcnt(0)
	v_mul_hi_u32 v3, v1, v2
	buffer_load_dword v2, off, s[0:3], s32 offset:200 ; 4-byte Folded Reload
	s_waitcnt vmcnt(0)
	v_mul_lo_u32 v4, v3, v2
	v_sub_u32_e32 v1, v1, v4
	v_add_u32_e32 v4, 1, v3
	v_cmp_ge_u32_e64 s[8:9], v1, v2
	v_cndmask_b32_e64 v3, v3, v4, s[8:9]
	v_sub_u32_e32 v4, v1, v2
	v_cndmask_b32_e64 v1, v1, v4, s[8:9]
	v_add_u32_e32 v4, 1, v3
	v_cmp_ge_u32_e64 s[8:9], v1, v2
	v_cndmask_b32_e64 v1, v3, v4, s[8:9]
	buffer_load_dword v2, off, s[0:3], s32 offset:212 ; 4-byte Folded Reload
	buffer_load_dword v3, off, s[0:3], s32 offset:216 ; 4-byte Folded Reload
	v_xor_b32_e32 v1, v1, v0
	v_sub_u32_e32 v0, v1, v0
	s_waitcnt vmcnt(1)
	v_add_u32_e32 v1, v0, v2
	v_sub_u32_e32 v4, 0, v1
	s_waitcnt vmcnt(0)
	v_ashrrev_i32_e32 v3, 31, v1
	v_max_i32_e32 v1, v1, v4
	buffer_load_dword v4, off, s[0:3], s32 offset:240 ; 4-byte Folded Reload
	buffer_load_dword v5, off, s[0:3], s32 offset:244 ; 4-byte Folded Reload
	;; [unrolled: 1-line block ×3, first 2 shown]
	s_waitcnt vmcnt(2)
	v_mul_hi_u32 v4, v1, v4
	s_waitcnt vmcnt(0)
	v_mul_lo_u32 v4, v4, v2
	v_sub_u32_e32 v1, v1, v4
	v_sub_u32_e32 v4, v1, v2
	v_cmp_ge_u32_e64 s[8:9], v1, v2
	v_cndmask_b32_e64 v1, v1, v4, s[8:9]
	v_sub_u32_e32 v4, v1, v2
	v_cmp_ge_u32_e64 s[8:9], v1, v2
	v_cndmask_b32_e64 v1, v1, v4, s[8:9]
	v_xor_b32_e32 v1, v1, v3
	v_sub_u32_e32 v1, v1, v3
	v_cmp_ne_u32_e64 s[8:9], 0, v1
	buffer_load_dword v1, off, s[0:3], s32 offset:224 ; 4-byte Folded Reload
	s_waitcnt vmcnt(0)
	v_cmp_le_i32_e64 s[10:11], v0, v1
	s_and_b64 s[8:9], s[8:9], s[10:11]
	s_and_b64 s[30:31], vcc, s[8:9]
	s_and_saveexec_b64 s[10:11], s[30:31]
	s_cbranch_execz .LBB358_15
; %bb.14:                               ;   in Loop: Header=BB358_13 Depth=1
	v_accvgpr_read_b32 v0, a43
	s_waitcnt lgkmcnt(0)
	v_add_u32_e32 v0, s23, v0
	v_mov_b32_e32 v1, 0xff7fffff
	ds_write_b32 v0, v1
.LBB358_15:                             ;   in Loop: Header=BB358_13 Depth=1
	s_or_b64 exec, exec, s[10:11]
	s_xor_b64 s[8:9], s[8:9], -1
	s_and_saveexec_b64 s[10:11], s[8:9]
	s_cbranch_execz .LBB358_12
; %bb.16:                               ;   in Loop: Header=BB358_13 Depth=1
	flat_load_dword v0, v[46:47]
	buffer_load_dword v2, off, s[0:3], s32 offset:228 ; 4-byte Folded Reload
	buffer_load_dword v3, off, s[0:3], s32 offset:232 ; 4-byte Folded Reload
	;; [unrolled: 1-line block ×4, first 2 shown]
	s_waitcnt vmcnt(0) lgkmcnt(0)
	v_mad_i64_i32 v[0:1], s[8:9], v0, v2, v[4:5]
	buffer_load_dword v2, off, s[0:3], s32 offset:304 ; 4-byte Folded Reload
	buffer_load_dword v3, off, s[0:3], s32 offset:308 ; 4-byte Folded Reload
	s_waitcnt vmcnt(1)
	v_add_co_u32_e64 v56, s[8:9], v0, v2
	v_addc_co_u32_e64 v57, s[8:9], 0, v1, s[8:9]
	flat_load_ushort v0, v[56:57]
	buffer_load_dword v2, off, s[0:3], s32 offset:280 ; 4-byte Folded Reload
	buffer_load_dword v3, off, s[0:3], s32 offset:284 ; 4-byte Folded Reload
	s_waitcnt vmcnt(0) lgkmcnt(0)
	v_and_b32_e32 v58, 0xffff, v0
	flat_load_dword v5, v[2:3]
	ds_read_b128 v[52:55], v20
	ds_read_b128 v[48:51], v20 offset:16
	ds_read_b128 v[36:39], v20 offset:32
	;; [unrolled: 1-line block ×5, first 2 shown]
	s_waitcnt lgkmcnt(0)
	buffer_store_dword v6, off, s[0:3], s32 offset:252 ; 4-byte Folded Spill
	s_nop 0
	buffer_store_dword v7, off, s[0:3], s32 offset:256 ; 4-byte Folded Spill
	buffer_store_dword v8, off, s[0:3], s32 offset:260 ; 4-byte Folded Spill
	;; [unrolled: 1-line block ×3, first 2 shown]
	ds_read_b32 v1, v20 offset:96
	v_cmp_ne_u16_sdwa s[8:9], v0, v41 src0_sel:BYTE_0 src1_sel:DWORD
	v_mov_b32_e32 v0, 0
	s_waitcnt lgkmcnt(0)
	buffer_store_dword v1, off, s[0:3], s32 offset:248 ; 4-byte Folded Spill
	s_and_saveexec_b64 s[30:31], s[8:9]
	s_cbranch_execz .LBB358_22
; %bb.17:                               ;   in Loop: Header=BB358_13 Depth=1
	v_cmp_ne_u16_sdwa s[8:9], v58, s39 src0_sel:BYTE_0 src1_sel:DWORD
	v_bfrev_b32_e32 v0, 1
	s_and_saveexec_b64 s[34:35], s[8:9]
	s_cbranch_execz .LBB358_21
; %bb.18:                               ;   in Loop: Header=BB358_13 Depth=1
	v_and_b32_e32 v1, 0x7f, v58
	v_cmp_ne_u32_e64 s[8:9], s40, v1
	v_mov_b32_e32 v0, 0x7f800001
	s_and_saveexec_b64 s[36:37], s[8:9]
	s_cbranch_execz .LBB358_20
; %bb.19:                               ;   in Loop: Header=BB358_13 Depth=1
	v_and_b32_e32 v0, 7, v58
	v_ffbh_u32_e32 v4, v0
	v_min_u32_e32 v4, 32, v4
	v_subrev_u32_e32 v12, 28, v4
	v_lshlrev_b64 v[12:13], v12, v[58:59]
	v_lshrrev_b32_e32 v3, 3, v1
	v_sub_u32_e32 v4, 29, v4
	v_and_b32_e32 v12, 7, v12
	v_cmp_gt_u32_e64 s[8:9], 8, v1
	v_cndmask_b32_e64 v1, v3, v4, s[8:9]
	v_cndmask_b32_e64 v0, v0, v12, s[8:9]
	v_lshlrev_b32_e32 v3, 24, v58
	v_bfrev_b32_e32 v2, 60
	v_lshlrev_b32_e32 v0, 20, v0
	v_and_b32_e32 v3, 0x80000000, v3
	v_lshl_add_u32 v1, v1, 23, v2
	v_or3_b32 v0, v3, v1, v0
.LBB358_20:                             ;   in Loop: Header=BB358_13 Depth=1
	s_or_b64 exec, exec, s[36:37]
.LBB358_21:                             ;   in Loop: Header=BB358_13 Depth=1
	s_or_b64 exec, exec, s[34:35]
.LBB358_22:                             ;   in Loop: Header=BB358_13 Depth=1
	s_or_b64 exec, exec, s[30:31]
	s_waitcnt vmcnt(0)
	v_mul_f32_e32 v0, v5, v0
	v_and_b32_e32 v1, 0x7f800000, v0
	v_cmp_ne_u32_e64 s[8:9], s41, v1
                                        ; implicit-def: $vgpr7
	s_and_saveexec_b64 s[30:31], s[8:9]
	s_xor_b64 s[8:9], exec, s[30:31]
; %bb.23:                               ;   in Loop: Header=BB358_13 Depth=1
	v_bfe_u32 v1, v0, 16, 1
	v_add3_u32 v7, v0, v1, s42
                                        ; implicit-def: $vgpr0
; %bb.24:                               ;   in Loop: Header=BB358_13 Depth=1
	s_andn2_saveexec_b64 s[30:31], s[8:9]
; %bb.25:                               ;   in Loop: Header=BB358_13 Depth=1
	v_or_b32_e32 v1, 0x10000, v0
	v_cmp_eq_u32_sdwa s[8:9], v0, v41 src0_sel:WORD_0 src1_sel:DWORD
	v_cndmask_b32_e64 v7, v1, v0, s[8:9]
; %bb.26:                               ;   in Loop: Header=BB358_13 Depth=1
	s_or_b64 exec, exec, s[30:31]
	v_lshrrev_b16_e32 v60, 8, v58
	v_cmp_ne_u16_e64 s[8:9], 0, v60
	v_mov_b32_e32 v0, 0
	s_and_saveexec_b64 s[30:31], s[8:9]
	s_cbranch_execz .LBB358_32
; %bb.27:                               ;   in Loop: Header=BB358_13 Depth=1
	v_cmp_ne_u16_e64 s[8:9], s39, v60
	v_bfrev_b32_e32 v0, 1
	s_and_saveexec_b64 s[34:35], s[8:9]
	s_cbranch_execz .LBB358_31
; %bb.28:                               ;   in Loop: Header=BB358_13 Depth=1
	v_and_b32_e32 v1, 0x7f, v60
	v_cmp_ne_u32_e64 s[8:9], s40, v1
	v_mov_b32_e32 v0, 0x7f800001
	s_and_saveexec_b64 s[36:37], s[8:9]
	s_cbranch_execz .LBB358_30
; %bb.29:                               ;   in Loop: Header=BB358_13 Depth=1
	v_and_b32_e32 v0, 7, v60
	v_ffbh_u32_e32 v4, v0
	v_min_u32_e32 v4, 32, v4
	v_subrev_u32_e32 v12, 28, v4
	v_lshlrev_b64 v[12:13], v12, v[60:61]
	v_lshrrev_b32_e32 v3, 3, v1
	v_sub_u32_e32 v4, 29, v4
	v_and_b32_e32 v12, 7, v12
	v_cmp_gt_u32_e64 s[8:9], 8, v1
	v_cndmask_b32_e64 v1, v3, v4, s[8:9]
	v_cndmask_b32_e64 v0, v0, v12, s[8:9]
	v_lshlrev_b32_e32 v3, 16, v58
	v_bfrev_b32_e32 v2, 60
	v_lshlrev_b32_e32 v0, 20, v0
	v_and_b32_e32 v3, 0x80000000, v3
	v_lshl_add_u32 v1, v1, 23, v2
	v_or3_b32 v0, v3, v1, v0
.LBB358_30:                             ;   in Loop: Header=BB358_13 Depth=1
	s_or_b64 exec, exec, s[36:37]
.LBB358_31:                             ;   in Loop: Header=BB358_13 Depth=1
	s_or_b64 exec, exec, s[34:35]
.LBB358_32:                             ;   in Loop: Header=BB358_13 Depth=1
	s_or_b64 exec, exec, s[30:31]
	v_mul_f32_e32 v0, v5, v0
	v_and_b32_e32 v1, 0x7f800000, v0
	v_cmp_ne_u32_e64 s[8:9], s41, v1
                                        ; implicit-def: $agpr48
	s_and_saveexec_b64 s[30:31], s[8:9]
	s_xor_b64 s[8:9], exec, s[30:31]
; %bb.33:                               ;   in Loop: Header=BB358_13 Depth=1
	v_bfe_u32 v1, v0, 16, 1
	v_add3_u32 v0, v0, v1, s42
	v_accvgpr_write_b32 a48, v0
                                        ; implicit-def: $vgpr0
; %bb.34:                               ;   in Loop: Header=BB358_13 Depth=1
	s_andn2_saveexec_b64 s[30:31], s[8:9]
; %bb.35:                               ;   in Loop: Header=BB358_13 Depth=1
	v_or_b32_e32 v1, 0x10000, v0
	v_cmp_eq_u32_sdwa s[8:9], v0, v41 src0_sel:WORD_0 src1_sel:DWORD
	v_cndmask_b32_e64 v0, v1, v0, s[8:9]
	v_accvgpr_write_b32 a48, v0
; %bb.36:                               ;   in Loop: Header=BB358_13 Depth=1
	s_or_b64 exec, exec, s[30:31]
	flat_load_ushort v0, v[56:57] offset:8
	s_waitcnt vmcnt(0) lgkmcnt(0)
	v_and_b32_e32 v58, 0xffff, v0
	v_cmp_ne_u16_sdwa s[8:9], v0, v41 src0_sel:BYTE_0 src1_sel:DWORD
	v_mov_b32_e32 v0, 0
	s_and_saveexec_b64 s[30:31], s[8:9]
	s_cbranch_execz .LBB358_42
; %bb.37:                               ;   in Loop: Header=BB358_13 Depth=1
	v_cmp_ne_u16_sdwa s[8:9], v58, s39 src0_sel:BYTE_0 src1_sel:DWORD
	v_bfrev_b32_e32 v0, 1
	s_and_saveexec_b64 s[34:35], s[8:9]
	s_cbranch_execz .LBB358_41
; %bb.38:                               ;   in Loop: Header=BB358_13 Depth=1
	v_and_b32_e32 v1, 0x7f, v58
	v_cmp_ne_u32_e64 s[8:9], s40, v1
	v_mov_b32_e32 v0, 0x7f800001
	s_and_saveexec_b64 s[36:37], s[8:9]
	s_cbranch_execz .LBB358_40
; %bb.39:                               ;   in Loop: Header=BB358_13 Depth=1
	v_and_b32_e32 v0, 7, v58
	v_ffbh_u32_e32 v4, v0
	v_min_u32_e32 v4, 32, v4
	v_subrev_u32_e32 v12, 28, v4
	v_lshlrev_b64 v[12:13], v12, v[58:59]
	v_lshrrev_b32_e32 v3, 3, v1
	v_sub_u32_e32 v4, 29, v4
	v_and_b32_e32 v12, 7, v12
	v_cmp_gt_u32_e64 s[8:9], 8, v1
	v_cndmask_b32_e64 v1, v3, v4, s[8:9]
	v_cndmask_b32_e64 v0, v0, v12, s[8:9]
	v_lshlrev_b32_e32 v3, 24, v58
	v_bfrev_b32_e32 v2, 60
	v_lshlrev_b32_e32 v0, 20, v0
	v_and_b32_e32 v3, 0x80000000, v3
	v_lshl_add_u32 v1, v1, 23, v2
	v_or3_b32 v0, v3, v1, v0
.LBB358_40:                             ;   in Loop: Header=BB358_13 Depth=1
	s_or_b64 exec, exec, s[36:37]
.LBB358_41:                             ;   in Loop: Header=BB358_13 Depth=1
	s_or_b64 exec, exec, s[34:35]
.LBB358_42:                             ;   in Loop: Header=BB358_13 Depth=1
	s_or_b64 exec, exec, s[30:31]
	v_mul_f32_e32 v0, v5, v0
	v_and_b32_e32 v1, 0x7f800000, v0
	v_cmp_ne_u32_e64 s[8:9], s41, v1
                                        ; implicit-def: $vgpr6
	s_and_saveexec_b64 s[30:31], s[8:9]
	s_xor_b64 s[8:9], exec, s[30:31]
; %bb.43:                               ;   in Loop: Header=BB358_13 Depth=1
	v_bfe_u32 v1, v0, 16, 1
	v_add3_u32 v6, v0, v1, s42
                                        ; implicit-def: $vgpr0
; %bb.44:                               ;   in Loop: Header=BB358_13 Depth=1
	s_andn2_saveexec_b64 s[30:31], s[8:9]
; %bb.45:                               ;   in Loop: Header=BB358_13 Depth=1
	v_or_b32_e32 v1, 0x10000, v0
	v_cmp_eq_u32_sdwa s[8:9], v0, v41 src0_sel:WORD_0 src1_sel:DWORD
	v_cndmask_b32_e64 v6, v1, v0, s[8:9]
; %bb.46:                               ;   in Loop: Header=BB358_13 Depth=1
	s_or_b64 exec, exec, s[30:31]
	v_lshrrev_b16_e32 v60, 8, v58
	v_cmp_ne_u16_e64 s[8:9], 0, v60
	v_mov_b32_e32 v0, 0
	s_and_saveexec_b64 s[30:31], s[8:9]
	s_cbranch_execz .LBB358_52
; %bb.47:                               ;   in Loop: Header=BB358_13 Depth=1
	v_cmp_ne_u16_e64 s[8:9], s39, v60
	v_bfrev_b32_e32 v0, 1
	s_and_saveexec_b64 s[34:35], s[8:9]
	s_cbranch_execz .LBB358_51
; %bb.48:                               ;   in Loop: Header=BB358_13 Depth=1
	v_and_b32_e32 v1, 0x7f, v60
	v_cmp_ne_u32_e64 s[8:9], s40, v1
	v_mov_b32_e32 v0, 0x7f800001
	s_and_saveexec_b64 s[36:37], s[8:9]
	s_cbranch_execz .LBB358_50
; %bb.49:                               ;   in Loop: Header=BB358_13 Depth=1
	v_and_b32_e32 v0, 7, v60
	v_ffbh_u32_e32 v4, v0
	v_min_u32_e32 v4, 32, v4
	v_subrev_u32_e32 v12, 28, v4
	v_lshlrev_b64 v[12:13], v12, v[60:61]
	v_lshrrev_b32_e32 v3, 3, v1
	v_sub_u32_e32 v4, 29, v4
	v_and_b32_e32 v12, 7, v12
	v_cmp_gt_u32_e64 s[8:9], 8, v1
	v_cndmask_b32_e64 v1, v3, v4, s[8:9]
	v_cndmask_b32_e64 v0, v0, v12, s[8:9]
	v_lshlrev_b32_e32 v3, 16, v58
	v_bfrev_b32_e32 v2, 60
	v_lshlrev_b32_e32 v0, 20, v0
	v_and_b32_e32 v3, 0x80000000, v3
	v_lshl_add_u32 v1, v1, 23, v2
	v_or3_b32 v0, v3, v1, v0
.LBB358_50:                             ;   in Loop: Header=BB358_13 Depth=1
	s_or_b64 exec, exec, s[36:37]
.LBB358_51:                             ;   in Loop: Header=BB358_13 Depth=1
	s_or_b64 exec, exec, s[34:35]
.LBB358_52:                             ;   in Loop: Header=BB358_13 Depth=1
	s_or_b64 exec, exec, s[30:31]
	v_mul_f32_e32 v0, v5, v0
	v_and_b32_e32 v1, 0x7f800000, v0
	v_cmp_ne_u32_e64 s[8:9], s41, v1
                                        ; implicit-def: $agpr54
	s_and_saveexec_b64 s[30:31], s[8:9]
	s_xor_b64 s[8:9], exec, s[30:31]
; %bb.53:                               ;   in Loop: Header=BB358_13 Depth=1
	v_bfe_u32 v1, v0, 16, 1
	v_add3_u32 v0, v0, v1, s42
	v_accvgpr_write_b32 a54, v0
                                        ; implicit-def: $vgpr0
; %bb.54:                               ;   in Loop: Header=BB358_13 Depth=1
	s_andn2_saveexec_b64 s[30:31], s[8:9]
; %bb.55:                               ;   in Loop: Header=BB358_13 Depth=1
	v_or_b32_e32 v1, 0x10000, v0
	v_cmp_eq_u32_sdwa s[8:9], v0, v41 src0_sel:WORD_0 src1_sel:DWORD
	v_cndmask_b32_e64 v0, v1, v0, s[8:9]
	v_accvgpr_write_b32 a54, v0
; %bb.56:                               ;   in Loop: Header=BB358_13 Depth=1
	s_or_b64 exec, exec, s[30:31]
	flat_load_ushort v0, v[56:57] offset:256
	s_waitcnt vmcnt(0) lgkmcnt(0)
	v_and_b32_e32 v58, 0xffff, v0
	v_cmp_ne_u16_sdwa s[8:9], v0, v41 src0_sel:BYTE_0 src1_sel:DWORD
	v_mov_b32_e32 v0, 0
	s_and_saveexec_b64 s[30:31], s[8:9]
	s_cbranch_execz .LBB358_62
; %bb.57:                               ;   in Loop: Header=BB358_13 Depth=1
	v_cmp_ne_u16_sdwa s[8:9], v58, s39 src0_sel:BYTE_0 src1_sel:DWORD
	v_bfrev_b32_e32 v0, 1
	s_and_saveexec_b64 s[34:35], s[8:9]
	s_cbranch_execz .LBB358_61
; %bb.58:                               ;   in Loop: Header=BB358_13 Depth=1
	v_and_b32_e32 v1, 0x7f, v58
	v_cmp_ne_u32_e64 s[8:9], s40, v1
	v_mov_b32_e32 v0, 0x7f800001
	s_and_saveexec_b64 s[36:37], s[8:9]
	s_cbranch_execz .LBB358_60
; %bb.59:                               ;   in Loop: Header=BB358_13 Depth=1
	v_and_b32_e32 v0, 7, v58
	v_ffbh_u32_e32 v4, v0
	v_min_u32_e32 v4, 32, v4
	v_subrev_u32_e32 v12, 28, v4
	v_lshlrev_b64 v[12:13], v12, v[58:59]
	v_lshrrev_b32_e32 v3, 3, v1
	v_sub_u32_e32 v4, 29, v4
	v_and_b32_e32 v12, 7, v12
	v_cmp_gt_u32_e64 s[8:9], 8, v1
	v_cndmask_b32_e64 v1, v3, v4, s[8:9]
	v_cndmask_b32_e64 v0, v0, v12, s[8:9]
	v_lshlrev_b32_e32 v3, 24, v58
	v_bfrev_b32_e32 v2, 60
	v_lshlrev_b32_e32 v0, 20, v0
	v_and_b32_e32 v3, 0x80000000, v3
	v_lshl_add_u32 v1, v1, 23, v2
	v_or3_b32 v0, v3, v1, v0
.LBB358_60:                             ;   in Loop: Header=BB358_13 Depth=1
	s_or_b64 exec, exec, s[36:37]
.LBB358_61:                             ;   in Loop: Header=BB358_13 Depth=1
	s_or_b64 exec, exec, s[34:35]
.LBB358_62:                             ;   in Loop: Header=BB358_13 Depth=1
	s_or_b64 exec, exec, s[30:31]
	v_mul_f32_e32 v0, v5, v0
	v_and_b32_e32 v1, 0x7f800000, v0
	v_cmp_ne_u32_e64 s[8:9], s41, v1
                                        ; implicit-def: $agpr55
	s_and_saveexec_b64 s[30:31], s[8:9]
	s_xor_b64 s[8:9], exec, s[30:31]
; %bb.63:                               ;   in Loop: Header=BB358_13 Depth=1
	v_bfe_u32 v1, v0, 16, 1
	v_add3_u32 v0, v0, v1, s42
	v_accvgpr_write_b32 a55, v0
                                        ; implicit-def: $vgpr0
; %bb.64:                               ;   in Loop: Header=BB358_13 Depth=1
	s_andn2_saveexec_b64 s[30:31], s[8:9]
; %bb.65:                               ;   in Loop: Header=BB358_13 Depth=1
	v_or_b32_e32 v1, 0x10000, v0
	v_cmp_eq_u32_sdwa s[8:9], v0, v41 src0_sel:WORD_0 src1_sel:DWORD
	v_cndmask_b32_e64 v0, v1, v0, s[8:9]
	v_accvgpr_write_b32 a55, v0
; %bb.66:                               ;   in Loop: Header=BB358_13 Depth=1
	s_or_b64 exec, exec, s[30:31]
	v_lshrrev_b16_e32 v60, 8, v58
	v_cmp_ne_u16_e64 s[8:9], 0, v60
	v_mov_b32_e32 v0, 0
	s_and_saveexec_b64 s[30:31], s[8:9]
	s_cbranch_execz .LBB358_72
; %bb.67:                               ;   in Loop: Header=BB358_13 Depth=1
	v_cmp_ne_u16_e64 s[8:9], s39, v60
	v_bfrev_b32_e32 v0, 1
	s_and_saveexec_b64 s[34:35], s[8:9]
	s_cbranch_execz .LBB358_71
; %bb.68:                               ;   in Loop: Header=BB358_13 Depth=1
	v_and_b32_e32 v1, 0x7f, v60
	v_cmp_ne_u32_e64 s[8:9], s40, v1
	v_mov_b32_e32 v0, 0x7f800001
	s_and_saveexec_b64 s[36:37], s[8:9]
	s_cbranch_execz .LBB358_70
; %bb.69:                               ;   in Loop: Header=BB358_13 Depth=1
	v_and_b32_e32 v3, 7, v60
	v_ffbh_u32_e32 v0, v3
	v_min_u32_e32 v12, 32, v0
	v_subrev_u32_e32 v0, 28, v12
	v_lshrrev_b32_e32 v4, 3, v1
	v_cmp_gt_u32_e64 s[8:9], 8, v1
	v_lshlrev_b64 v[0:1], v0, v[60:61]
	v_sub_u32_e32 v1, 29, v12
	v_and_b32_e32 v0, 7, v0
	v_cndmask_b32_e64 v1, v4, v1, s[8:9]
	v_cndmask_b32_e64 v0, v3, v0, s[8:9]
	v_lshlrev_b32_e32 v3, 16, v58
	v_bfrev_b32_e32 v2, 60
	v_lshlrev_b32_e32 v0, 20, v0
	v_and_b32_e32 v3, 0x80000000, v3
	v_lshl_add_u32 v1, v1, 23, v2
	v_or3_b32 v0, v3, v1, v0
.LBB358_70:                             ;   in Loop: Header=BB358_13 Depth=1
	s_or_b64 exec, exec, s[36:37]
.LBB358_71:                             ;   in Loop: Header=BB358_13 Depth=1
	s_or_b64 exec, exec, s[34:35]
.LBB358_72:                             ;   in Loop: Header=BB358_13 Depth=1
	s_or_b64 exec, exec, s[30:31]
	v_mul_f32_e32 v0, v5, v0
	v_and_b32_e32 v1, 0x7f800000, v0
	v_cmp_ne_u32_e64 s[8:9], s41, v1
                                        ; implicit-def: $agpr56
	s_and_saveexec_b64 s[30:31], s[8:9]
	s_xor_b64 s[8:9], exec, s[30:31]
; %bb.73:                               ;   in Loop: Header=BB358_13 Depth=1
	v_bfe_u32 v1, v0, 16, 1
	v_add3_u32 v0, v0, v1, s42
	v_accvgpr_write_b32 a56, v0
                                        ; implicit-def: $vgpr0
; %bb.74:                               ;   in Loop: Header=BB358_13 Depth=1
	s_andn2_saveexec_b64 s[30:31], s[8:9]
; %bb.75:                               ;   in Loop: Header=BB358_13 Depth=1
	v_or_b32_e32 v1, 0x10000, v0
	v_cmp_eq_u32_sdwa s[8:9], v0, v41 src0_sel:WORD_0 src1_sel:DWORD
	v_cndmask_b32_e64 v0, v1, v0, s[8:9]
	v_accvgpr_write_b32 a56, v0
; %bb.76:                               ;   in Loop: Header=BB358_13 Depth=1
	s_or_b64 exec, exec, s[30:31]
	flat_load_ushort v0, v[56:57] offset:264
	s_waitcnt vmcnt(0) lgkmcnt(0)
	v_and_b32_e32 v58, 0xffff, v0
	v_cmp_ne_u16_sdwa s[8:9], v0, v41 src0_sel:BYTE_0 src1_sel:DWORD
	v_mov_b32_e32 v0, 0
	s_and_saveexec_b64 s[30:31], s[8:9]
	s_cbranch_execz .LBB358_82
; %bb.77:                               ;   in Loop: Header=BB358_13 Depth=1
	v_cmp_ne_u16_sdwa s[8:9], v58, s39 src0_sel:BYTE_0 src1_sel:DWORD
	v_bfrev_b32_e32 v0, 1
	s_and_saveexec_b64 s[34:35], s[8:9]
	s_cbranch_execz .LBB358_81
; %bb.78:                               ;   in Loop: Header=BB358_13 Depth=1
	v_and_b32_e32 v1, 0x7f, v58
	v_cmp_ne_u32_e64 s[8:9], s40, v1
	v_mov_b32_e32 v0, 0x7f800001
	s_and_saveexec_b64 s[36:37], s[8:9]
	s_cbranch_execz .LBB358_80
; %bb.79:                               ;   in Loop: Header=BB358_13 Depth=1
	v_and_b32_e32 v3, 7, v58
	v_ffbh_u32_e32 v0, v3
	v_min_u32_e32 v12, 32, v0
	v_subrev_u32_e32 v0, 28, v12
	v_lshrrev_b32_e32 v4, 3, v1
	v_cmp_gt_u32_e64 s[8:9], 8, v1
	v_lshlrev_b64 v[0:1], v0, v[58:59]
	v_sub_u32_e32 v1, 29, v12
	v_and_b32_e32 v0, 7, v0
	v_cndmask_b32_e64 v1, v4, v1, s[8:9]
	v_cndmask_b32_e64 v0, v3, v0, s[8:9]
	v_lshlrev_b32_e32 v3, 24, v58
	v_bfrev_b32_e32 v2, 60
	v_lshlrev_b32_e32 v0, 20, v0
	v_and_b32_e32 v3, 0x80000000, v3
	v_lshl_add_u32 v1, v1, 23, v2
	v_or3_b32 v0, v3, v1, v0
.LBB358_80:                             ;   in Loop: Header=BB358_13 Depth=1
	s_or_b64 exec, exec, s[36:37]
.LBB358_81:                             ;   in Loop: Header=BB358_13 Depth=1
	s_or_b64 exec, exec, s[34:35]
.LBB358_82:                             ;   in Loop: Header=BB358_13 Depth=1
	s_or_b64 exec, exec, s[30:31]
	v_mul_f32_e32 v0, v5, v0
	v_and_b32_e32 v1, 0x7f800000, v0
	v_cmp_ne_u32_e64 s[8:9], s41, v1
                                        ; implicit-def: $agpr57
	s_and_saveexec_b64 s[30:31], s[8:9]
	s_xor_b64 s[8:9], exec, s[30:31]
; %bb.83:                               ;   in Loop: Header=BB358_13 Depth=1
	v_bfe_u32 v1, v0, 16, 1
	v_add3_u32 v0, v0, v1, s42
	v_accvgpr_write_b32 a57, v0
                                        ; implicit-def: $vgpr0
; %bb.84:                               ;   in Loop: Header=BB358_13 Depth=1
	s_andn2_saveexec_b64 s[30:31], s[8:9]
; %bb.85:                               ;   in Loop: Header=BB358_13 Depth=1
	v_or_b32_e32 v1, 0x10000, v0
	v_cmp_eq_u32_sdwa s[8:9], v0, v41 src0_sel:WORD_0 src1_sel:DWORD
	v_cndmask_b32_e64 v0, v1, v0, s[8:9]
	v_accvgpr_write_b32 a57, v0
; %bb.86:                               ;   in Loop: Header=BB358_13 Depth=1
	s_or_b64 exec, exec, s[30:31]
	v_lshrrev_b16_e32 v60, 8, v58
	v_cmp_ne_u16_e64 s[8:9], 0, v60
	v_mov_b32_e32 v0, 0
	s_and_saveexec_b64 s[30:31], s[8:9]
	s_cbranch_execz .LBB358_92
; %bb.87:                               ;   in Loop: Header=BB358_13 Depth=1
	v_cmp_ne_u16_e64 s[8:9], s39, v60
	v_bfrev_b32_e32 v0, 1
	s_and_saveexec_b64 s[34:35], s[8:9]
	s_cbranch_execz .LBB358_91
; %bb.88:                               ;   in Loop: Header=BB358_13 Depth=1
	v_and_b32_e32 v1, 0x7f, v60
	v_cmp_ne_u32_e64 s[8:9], s40, v1
	v_mov_b32_e32 v0, 0x7f800001
	s_and_saveexec_b64 s[36:37], s[8:9]
	s_cbranch_execz .LBB358_90
; %bb.89:                               ;   in Loop: Header=BB358_13 Depth=1
	v_and_b32_e32 v0, 7, v60
	v_ffbh_u32_e32 v4, v0
	v_min_u32_e32 v4, 32, v4
	v_subrev_u32_e32 v12, 28, v4
	v_lshlrev_b64 v[12:13], v12, v[60:61]
	v_lshrrev_b32_e32 v3, 3, v1
	v_sub_u32_e32 v4, 29, v4
	v_and_b32_e32 v12, 7, v12
	v_cmp_gt_u32_e64 s[8:9], 8, v1
	v_cndmask_b32_e64 v1, v3, v4, s[8:9]
	v_cndmask_b32_e64 v0, v0, v12, s[8:9]
	v_lshlrev_b32_e32 v3, 16, v58
	v_bfrev_b32_e32 v2, 60
	v_lshlrev_b32_e32 v0, 20, v0
	v_and_b32_e32 v3, 0x80000000, v3
	v_lshl_add_u32 v1, v1, 23, v2
	v_or3_b32 v0, v3, v1, v0
.LBB358_90:                             ;   in Loop: Header=BB358_13 Depth=1
	s_or_b64 exec, exec, s[36:37]
.LBB358_91:                             ;   in Loop: Header=BB358_13 Depth=1
	s_or_b64 exec, exec, s[34:35]
.LBB358_92:                             ;   in Loop: Header=BB358_13 Depth=1
	s_or_b64 exec, exec, s[30:31]
	v_mul_f32_e32 v0, v5, v0
	v_and_b32_e32 v1, 0x7f800000, v0
	v_cmp_ne_u32_e64 s[8:9], s41, v1
                                        ; implicit-def: $agpr58
	s_and_saveexec_b64 s[30:31], s[8:9]
	s_xor_b64 s[8:9], exec, s[30:31]
; %bb.93:                               ;   in Loop: Header=BB358_13 Depth=1
	v_bfe_u32 v1, v0, 16, 1
	v_add3_u32 v0, v0, v1, s42
	v_accvgpr_write_b32 a58, v0
                                        ; implicit-def: $vgpr0
; %bb.94:                               ;   in Loop: Header=BB358_13 Depth=1
	s_andn2_saveexec_b64 s[30:31], s[8:9]
; %bb.95:                               ;   in Loop: Header=BB358_13 Depth=1
	v_or_b32_e32 v1, 0x10000, v0
	v_cmp_eq_u32_sdwa s[8:9], v0, v41 src0_sel:WORD_0 src1_sel:DWORD
	v_cndmask_b32_e64 v0, v1, v0, s[8:9]
	v_accvgpr_write_b32 a58, v0
; %bb.96:                               ;   in Loop: Header=BB358_13 Depth=1
	s_or_b64 exec, exec, s[30:31]
	flat_load_ushort v0, v[56:57] offset:512
	s_waitcnt vmcnt(0) lgkmcnt(0)
	v_and_b32_e32 v58, 0xffff, v0
	v_cmp_ne_u16_sdwa s[8:9], v0, v41 src0_sel:BYTE_0 src1_sel:DWORD
	v_mov_b32_e32 v0, 0
	s_and_saveexec_b64 s[30:31], s[8:9]
	s_cbranch_execz .LBB358_102
; %bb.97:                               ;   in Loop: Header=BB358_13 Depth=1
	v_cmp_ne_u16_sdwa s[8:9], v58, s39 src0_sel:BYTE_0 src1_sel:DWORD
	v_bfrev_b32_e32 v0, 1
	s_and_saveexec_b64 s[34:35], s[8:9]
	s_cbranch_execz .LBB358_101
; %bb.98:                               ;   in Loop: Header=BB358_13 Depth=1
	v_and_b32_e32 v1, 0x7f, v58
	v_cmp_ne_u32_e64 s[8:9], s40, v1
	v_mov_b32_e32 v0, 0x7f800001
	s_and_saveexec_b64 s[36:37], s[8:9]
	s_cbranch_execz .LBB358_100
; %bb.99:                               ;   in Loop: Header=BB358_13 Depth=1
	v_and_b32_e32 v0, 7, v58
	v_ffbh_u32_e32 v4, v0
	v_min_u32_e32 v4, 32, v4
	v_subrev_u32_e32 v12, 28, v4
	v_lshlrev_b64 v[12:13], v12, v[58:59]
	v_lshrrev_b32_e32 v3, 3, v1
	v_sub_u32_e32 v4, 29, v4
	v_and_b32_e32 v12, 7, v12
	v_cmp_gt_u32_e64 s[8:9], 8, v1
	v_cndmask_b32_e64 v1, v3, v4, s[8:9]
	v_cndmask_b32_e64 v0, v0, v12, s[8:9]
	v_lshlrev_b32_e32 v3, 24, v58
	v_bfrev_b32_e32 v2, 60
	v_lshlrev_b32_e32 v0, 20, v0
	v_and_b32_e32 v3, 0x80000000, v3
	v_lshl_add_u32 v1, v1, 23, v2
	v_or3_b32 v0, v3, v1, v0
.LBB358_100:                            ;   in Loop: Header=BB358_13 Depth=1
	s_or_b64 exec, exec, s[36:37]
.LBB358_101:                            ;   in Loop: Header=BB358_13 Depth=1
	s_or_b64 exec, exec, s[34:35]
.LBB358_102:                            ;   in Loop: Header=BB358_13 Depth=1
	s_or_b64 exec, exec, s[30:31]
	v_mul_f32_e32 v0, v5, v0
	v_and_b32_e32 v1, 0x7f800000, v0
	v_cmp_ne_u32_e64 s[8:9], s41, v1
                                        ; implicit-def: $agpr59
	s_and_saveexec_b64 s[30:31], s[8:9]
	s_xor_b64 s[8:9], exec, s[30:31]
; %bb.103:                              ;   in Loop: Header=BB358_13 Depth=1
	v_bfe_u32 v1, v0, 16, 1
	v_add3_u32 v0, v0, v1, s42
	v_accvgpr_write_b32 a59, v0
                                        ; implicit-def: $vgpr0
; %bb.104:                              ;   in Loop: Header=BB358_13 Depth=1
	s_andn2_saveexec_b64 s[30:31], s[8:9]
; %bb.105:                              ;   in Loop: Header=BB358_13 Depth=1
	v_or_b32_e32 v1, 0x10000, v0
	v_cmp_eq_u32_sdwa s[8:9], v0, v41 src0_sel:WORD_0 src1_sel:DWORD
	v_cndmask_b32_e64 v0, v1, v0, s[8:9]
	v_accvgpr_write_b32 a59, v0
; %bb.106:                              ;   in Loop: Header=BB358_13 Depth=1
	s_or_b64 exec, exec, s[30:31]
	v_lshrrev_b16_e32 v60, 8, v58
	v_cmp_ne_u16_e64 s[8:9], 0, v60
	v_mov_b32_e32 v0, 0
	s_and_saveexec_b64 s[30:31], s[8:9]
	s_cbranch_execz .LBB358_112
; %bb.107:                              ;   in Loop: Header=BB358_13 Depth=1
	v_cmp_ne_u16_e64 s[8:9], s39, v60
	v_bfrev_b32_e32 v0, 1
	s_and_saveexec_b64 s[34:35], s[8:9]
	s_cbranch_execz .LBB358_111
; %bb.108:                              ;   in Loop: Header=BB358_13 Depth=1
	v_and_b32_e32 v1, 0x7f, v60
	v_cmp_ne_u32_e64 s[8:9], s40, v1
	v_mov_b32_e32 v0, 0x7f800001
	s_and_saveexec_b64 s[36:37], s[8:9]
	s_cbranch_execz .LBB358_110
; %bb.109:                              ;   in Loop: Header=BB358_13 Depth=1
	v_and_b32_e32 v0, 7, v60
	v_ffbh_u32_e32 v4, v0
	v_min_u32_e32 v4, 32, v4
	v_subrev_u32_e32 v12, 28, v4
	v_lshlrev_b64 v[12:13], v12, v[60:61]
	v_lshrrev_b32_e32 v3, 3, v1
	v_sub_u32_e32 v4, 29, v4
	v_and_b32_e32 v12, 7, v12
	v_cmp_gt_u32_e64 s[8:9], 8, v1
	v_cndmask_b32_e64 v1, v3, v4, s[8:9]
	v_cndmask_b32_e64 v0, v0, v12, s[8:9]
	v_lshlrev_b32_e32 v3, 16, v58
	v_bfrev_b32_e32 v2, 60
	v_lshlrev_b32_e32 v0, 20, v0
	v_and_b32_e32 v3, 0x80000000, v3
	v_lshl_add_u32 v1, v1, 23, v2
	v_or3_b32 v0, v3, v1, v0
.LBB358_110:                            ;   in Loop: Header=BB358_13 Depth=1
	s_or_b64 exec, exec, s[36:37]
.LBB358_111:                            ;   in Loop: Header=BB358_13 Depth=1
	s_or_b64 exec, exec, s[34:35]
.LBB358_112:                            ;   in Loop: Header=BB358_13 Depth=1
	s_or_b64 exec, exec, s[30:31]
	v_mul_f32_e32 v0, v5, v0
	v_and_b32_e32 v1, 0x7f800000, v0
	v_cmp_ne_u32_e64 s[8:9], s41, v1
                                        ; implicit-def: $agpr60
	s_and_saveexec_b64 s[30:31], s[8:9]
	s_xor_b64 s[8:9], exec, s[30:31]
; %bb.113:                              ;   in Loop: Header=BB358_13 Depth=1
	v_bfe_u32 v1, v0, 16, 1
	v_add3_u32 v0, v0, v1, s42
	v_accvgpr_write_b32 a60, v0
                                        ; implicit-def: $vgpr0
; %bb.114:                              ;   in Loop: Header=BB358_13 Depth=1
	s_andn2_saveexec_b64 s[30:31], s[8:9]
; %bb.115:                              ;   in Loop: Header=BB358_13 Depth=1
	v_or_b32_e32 v1, 0x10000, v0
	v_cmp_eq_u32_sdwa s[8:9], v0, v41 src0_sel:WORD_0 src1_sel:DWORD
	v_cndmask_b32_e64 v0, v1, v0, s[8:9]
	v_accvgpr_write_b32 a60, v0
; %bb.116:                              ;   in Loop: Header=BB358_13 Depth=1
	s_or_b64 exec, exec, s[30:31]
	flat_load_ushort v0, v[56:57] offset:520
	s_waitcnt vmcnt(0) lgkmcnt(0)
	v_and_b32_e32 v58, 0xffff, v0
	v_cmp_ne_u16_sdwa s[8:9], v0, v41 src0_sel:BYTE_0 src1_sel:DWORD
	v_mov_b32_e32 v0, 0
	s_and_saveexec_b64 s[30:31], s[8:9]
	s_cbranch_execz .LBB358_122
; %bb.117:                              ;   in Loop: Header=BB358_13 Depth=1
	v_cmp_ne_u16_sdwa s[8:9], v58, s39 src0_sel:BYTE_0 src1_sel:DWORD
	v_bfrev_b32_e32 v0, 1
	s_and_saveexec_b64 s[34:35], s[8:9]
	s_cbranch_execz .LBB358_121
; %bb.118:                              ;   in Loop: Header=BB358_13 Depth=1
	v_and_b32_e32 v1, 0x7f, v58
	v_cmp_ne_u32_e64 s[8:9], s40, v1
	v_mov_b32_e32 v0, 0x7f800001
	s_and_saveexec_b64 s[36:37], s[8:9]
	s_cbranch_execz .LBB358_120
; %bb.119:                              ;   in Loop: Header=BB358_13 Depth=1
	v_and_b32_e32 v0, 7, v58
	v_ffbh_u32_e32 v4, v0
	v_min_u32_e32 v4, 32, v4
	v_subrev_u32_e32 v12, 28, v4
	v_lshlrev_b64 v[12:13], v12, v[58:59]
	v_lshrrev_b32_e32 v3, 3, v1
	v_sub_u32_e32 v4, 29, v4
	v_and_b32_e32 v12, 7, v12
	v_cmp_gt_u32_e64 s[8:9], 8, v1
	v_cndmask_b32_e64 v1, v3, v4, s[8:9]
	v_cndmask_b32_e64 v0, v0, v12, s[8:9]
	v_lshlrev_b32_e32 v3, 24, v58
	v_bfrev_b32_e32 v2, 60
	v_lshlrev_b32_e32 v0, 20, v0
	v_and_b32_e32 v3, 0x80000000, v3
	v_lshl_add_u32 v1, v1, 23, v2
	v_or3_b32 v0, v3, v1, v0
.LBB358_120:                            ;   in Loop: Header=BB358_13 Depth=1
	s_or_b64 exec, exec, s[36:37]
.LBB358_121:                            ;   in Loop: Header=BB358_13 Depth=1
	s_or_b64 exec, exec, s[34:35]
.LBB358_122:                            ;   in Loop: Header=BB358_13 Depth=1
	s_or_b64 exec, exec, s[30:31]
	v_mul_f32_e32 v0, v5, v0
	v_and_b32_e32 v1, 0x7f800000, v0
	v_cmp_ne_u32_e64 s[8:9], s41, v1
                                        ; implicit-def: $agpr61
	s_and_saveexec_b64 s[30:31], s[8:9]
	s_xor_b64 s[8:9], exec, s[30:31]
; %bb.123:                              ;   in Loop: Header=BB358_13 Depth=1
	v_bfe_u32 v1, v0, 16, 1
	v_add3_u32 v0, v0, v1, s42
	v_accvgpr_write_b32 a61, v0
                                        ; implicit-def: $vgpr0
; %bb.124:                              ;   in Loop: Header=BB358_13 Depth=1
	s_andn2_saveexec_b64 s[30:31], s[8:9]
; %bb.125:                              ;   in Loop: Header=BB358_13 Depth=1
	v_or_b32_e32 v1, 0x10000, v0
	v_cmp_eq_u32_sdwa s[8:9], v0, v41 src0_sel:WORD_0 src1_sel:DWORD
	v_cndmask_b32_e64 v0, v1, v0, s[8:9]
	v_accvgpr_write_b32 a61, v0
; %bb.126:                              ;   in Loop: Header=BB358_13 Depth=1
	s_or_b64 exec, exec, s[30:31]
	v_lshrrev_b16_e32 v60, 8, v58
	v_cmp_ne_u16_e64 s[8:9], 0, v60
	v_mov_b32_e32 v0, 0
	s_and_saveexec_b64 s[30:31], s[8:9]
	s_cbranch_execz .LBB358_132
; %bb.127:                              ;   in Loop: Header=BB358_13 Depth=1
	v_cmp_ne_u16_e64 s[8:9], s39, v60
	v_bfrev_b32_e32 v0, 1
	s_and_saveexec_b64 s[34:35], s[8:9]
	s_cbranch_execz .LBB358_131
; %bb.128:                              ;   in Loop: Header=BB358_13 Depth=1
	v_and_b32_e32 v1, 0x7f, v60
	v_cmp_ne_u32_e64 s[8:9], s40, v1
	v_mov_b32_e32 v0, 0x7f800001
	s_and_saveexec_b64 s[36:37], s[8:9]
	s_cbranch_execz .LBB358_130
; %bb.129:                              ;   in Loop: Header=BB358_13 Depth=1
	v_and_b32_e32 v0, 7, v60
	v_ffbh_u32_e32 v4, v0
	v_min_u32_e32 v4, 32, v4
	v_subrev_u32_e32 v12, 28, v4
	v_lshlrev_b64 v[12:13], v12, v[60:61]
	v_lshrrev_b32_e32 v3, 3, v1
	v_sub_u32_e32 v4, 29, v4
	v_and_b32_e32 v12, 7, v12
	v_cmp_gt_u32_e64 s[8:9], 8, v1
	v_cndmask_b32_e64 v1, v3, v4, s[8:9]
	v_cndmask_b32_e64 v0, v0, v12, s[8:9]
	v_lshlrev_b32_e32 v3, 16, v58
	v_bfrev_b32_e32 v2, 60
	v_lshlrev_b32_e32 v0, 20, v0
	v_and_b32_e32 v3, 0x80000000, v3
	v_lshl_add_u32 v1, v1, 23, v2
	v_or3_b32 v0, v3, v1, v0
.LBB358_130:                            ;   in Loop: Header=BB358_13 Depth=1
	s_or_b64 exec, exec, s[36:37]
.LBB358_131:                            ;   in Loop: Header=BB358_13 Depth=1
	s_or_b64 exec, exec, s[34:35]
.LBB358_132:                            ;   in Loop: Header=BB358_13 Depth=1
	s_or_b64 exec, exec, s[30:31]
	v_mul_f32_e32 v0, v5, v0
	v_and_b32_e32 v1, 0x7f800000, v0
	v_cmp_ne_u32_e64 s[8:9], s41, v1
                                        ; implicit-def: $agpr62
	s_and_saveexec_b64 s[30:31], s[8:9]
	s_xor_b64 s[8:9], exec, s[30:31]
; %bb.133:                              ;   in Loop: Header=BB358_13 Depth=1
	v_bfe_u32 v1, v0, 16, 1
	v_add3_u32 v0, v0, v1, s42
	v_accvgpr_write_b32 a62, v0
                                        ; implicit-def: $vgpr0
; %bb.134:                              ;   in Loop: Header=BB358_13 Depth=1
	s_andn2_saveexec_b64 s[30:31], s[8:9]
; %bb.135:                              ;   in Loop: Header=BB358_13 Depth=1
	v_or_b32_e32 v1, 0x10000, v0
	v_cmp_eq_u32_sdwa s[8:9], v0, v41 src0_sel:WORD_0 src1_sel:DWORD
	v_cndmask_b32_e64 v0, v1, v0, s[8:9]
	v_accvgpr_write_b32 a62, v0
; %bb.136:                              ;   in Loop: Header=BB358_13 Depth=1
	s_or_b64 exec, exec, s[30:31]
	flat_load_ushort v0, v[56:57] offset:768
	s_waitcnt vmcnt(0) lgkmcnt(0)
	v_and_b32_e32 v58, 0xffff, v0
	v_cmp_ne_u16_sdwa s[8:9], v0, v41 src0_sel:BYTE_0 src1_sel:DWORD
	v_mov_b32_e32 v0, 0
	s_and_saveexec_b64 s[30:31], s[8:9]
	s_cbranch_execz .LBB358_142
; %bb.137:                              ;   in Loop: Header=BB358_13 Depth=1
	v_cmp_ne_u16_sdwa s[8:9], v58, s39 src0_sel:BYTE_0 src1_sel:DWORD
	v_bfrev_b32_e32 v0, 1
	s_and_saveexec_b64 s[34:35], s[8:9]
	s_cbranch_execz .LBB358_141
; %bb.138:                              ;   in Loop: Header=BB358_13 Depth=1
	v_and_b32_e32 v1, 0x7f, v58
	v_cmp_ne_u32_e64 s[8:9], s40, v1
	v_mov_b32_e32 v0, 0x7f800001
	s_and_saveexec_b64 s[36:37], s[8:9]
	s_cbranch_execz .LBB358_140
; %bb.139:                              ;   in Loop: Header=BB358_13 Depth=1
	v_and_b32_e32 v0, 7, v58
	v_ffbh_u32_e32 v4, v0
	v_min_u32_e32 v4, 32, v4
	v_subrev_u32_e32 v12, 28, v4
	v_lshlrev_b64 v[12:13], v12, v[58:59]
	v_lshrrev_b32_e32 v3, 3, v1
	v_sub_u32_e32 v4, 29, v4
	v_and_b32_e32 v12, 7, v12
	v_cmp_gt_u32_e64 s[8:9], 8, v1
	v_cndmask_b32_e64 v1, v3, v4, s[8:9]
	v_cndmask_b32_e64 v0, v0, v12, s[8:9]
	v_lshlrev_b32_e32 v3, 24, v58
	v_bfrev_b32_e32 v2, 60
	v_lshlrev_b32_e32 v0, 20, v0
	v_and_b32_e32 v3, 0x80000000, v3
	v_lshl_add_u32 v1, v1, 23, v2
	v_or3_b32 v0, v3, v1, v0
.LBB358_140:                            ;   in Loop: Header=BB358_13 Depth=1
	s_or_b64 exec, exec, s[36:37]
.LBB358_141:                            ;   in Loop: Header=BB358_13 Depth=1
	s_or_b64 exec, exec, s[34:35]
.LBB358_142:                            ;   in Loop: Header=BB358_13 Depth=1
	s_or_b64 exec, exec, s[30:31]
	v_mul_f32_e32 v0, v5, v0
	v_and_b32_e32 v1, 0x7f800000, v0
	v_cmp_ne_u32_e64 s[8:9], s41, v1
                                        ; implicit-def: $agpr63
	s_and_saveexec_b64 s[30:31], s[8:9]
	s_xor_b64 s[8:9], exec, s[30:31]
; %bb.143:                              ;   in Loop: Header=BB358_13 Depth=1
	v_bfe_u32 v1, v0, 16, 1
	v_add3_u32 v0, v0, v1, s42
	v_accvgpr_write_b32 a63, v0
                                        ; implicit-def: $vgpr0
; %bb.144:                              ;   in Loop: Header=BB358_13 Depth=1
	s_andn2_saveexec_b64 s[30:31], s[8:9]
; %bb.145:                              ;   in Loop: Header=BB358_13 Depth=1
	v_or_b32_e32 v1, 0x10000, v0
	v_cmp_eq_u32_sdwa s[8:9], v0, v41 src0_sel:WORD_0 src1_sel:DWORD
	v_cndmask_b32_e64 v0, v1, v0, s[8:9]
	v_accvgpr_write_b32 a63, v0
; %bb.146:                              ;   in Loop: Header=BB358_13 Depth=1
	s_or_b64 exec, exec, s[30:31]
	v_lshrrev_b16_e32 v60, 8, v58
	v_cmp_ne_u16_e64 s[8:9], 0, v60
	v_mov_b32_e32 v0, 0
	s_and_saveexec_b64 s[30:31], s[8:9]
	s_cbranch_execz .LBB358_152
; %bb.147:                              ;   in Loop: Header=BB358_13 Depth=1
	v_cmp_ne_u16_e64 s[8:9], s39, v60
	v_bfrev_b32_e32 v0, 1
	s_and_saveexec_b64 s[34:35], s[8:9]
	s_cbranch_execz .LBB358_151
; %bb.148:                              ;   in Loop: Header=BB358_13 Depth=1
	v_and_b32_e32 v1, 0x7f, v60
	v_cmp_ne_u32_e64 s[8:9], s40, v1
	v_mov_b32_e32 v0, 0x7f800001
	s_and_saveexec_b64 s[36:37], s[8:9]
	s_cbranch_execz .LBB358_150
; %bb.149:                              ;   in Loop: Header=BB358_13 Depth=1
	v_and_b32_e32 v0, 7, v60
	v_ffbh_u32_e32 v4, v0
	v_min_u32_e32 v4, 32, v4
	v_subrev_u32_e32 v12, 28, v4
	v_lshlrev_b64 v[12:13], v12, v[60:61]
	v_lshrrev_b32_e32 v3, 3, v1
	v_sub_u32_e32 v4, 29, v4
	v_and_b32_e32 v12, 7, v12
	v_cmp_gt_u32_e64 s[8:9], 8, v1
	v_cndmask_b32_e64 v1, v3, v4, s[8:9]
	v_cndmask_b32_e64 v0, v0, v12, s[8:9]
	v_lshlrev_b32_e32 v3, 16, v58
	v_bfrev_b32_e32 v2, 60
	v_lshlrev_b32_e32 v0, 20, v0
	v_and_b32_e32 v3, 0x80000000, v3
	v_lshl_add_u32 v1, v1, 23, v2
	v_or3_b32 v0, v3, v1, v0
.LBB358_150:                            ;   in Loop: Header=BB358_13 Depth=1
	s_or_b64 exec, exec, s[36:37]
.LBB358_151:                            ;   in Loop: Header=BB358_13 Depth=1
	s_or_b64 exec, exec, s[34:35]
.LBB358_152:                            ;   in Loop: Header=BB358_13 Depth=1
	s_or_b64 exec, exec, s[30:31]
	v_mul_f32_e32 v0, v5, v0
	v_and_b32_e32 v1, 0x7f800000, v0
	v_cmp_ne_u32_e64 s[8:9], s41, v1
                                        ; implicit-def: $agpr28
	s_and_saveexec_b64 s[30:31], s[8:9]
	s_xor_b64 s[8:9], exec, s[30:31]
; %bb.153:                              ;   in Loop: Header=BB358_13 Depth=1
	v_bfe_u32 v1, v0, 16, 1
	v_add3_u32 v0, v0, v1, s42
	v_accvgpr_write_b32 a28, v0
                                        ; implicit-def: $vgpr0
; %bb.154:                              ;   in Loop: Header=BB358_13 Depth=1
	s_andn2_saveexec_b64 s[30:31], s[8:9]
; %bb.155:                              ;   in Loop: Header=BB358_13 Depth=1
	v_or_b32_e32 v1, 0x10000, v0
	v_cmp_eq_u32_sdwa s[8:9], v0, v41 src0_sel:WORD_0 src1_sel:DWORD
	v_cndmask_b32_e64 v0, v1, v0, s[8:9]
	v_accvgpr_write_b32 a28, v0
; %bb.156:                              ;   in Loop: Header=BB358_13 Depth=1
	s_or_b64 exec, exec, s[30:31]
	flat_load_ushort v0, v[56:57] offset:776
	s_waitcnt vmcnt(0) lgkmcnt(0)
	v_and_b32_e32 v58, 0xffff, v0
	v_cmp_ne_u16_sdwa s[8:9], v0, v41 src0_sel:BYTE_0 src1_sel:DWORD
	v_mov_b32_e32 v0, 0
	s_and_saveexec_b64 s[30:31], s[8:9]
	s_cbranch_execz .LBB358_162
; %bb.157:                              ;   in Loop: Header=BB358_13 Depth=1
	v_cmp_ne_u16_sdwa s[8:9], v58, s39 src0_sel:BYTE_0 src1_sel:DWORD
	v_bfrev_b32_e32 v0, 1
	s_and_saveexec_b64 s[34:35], s[8:9]
	s_cbranch_execz .LBB358_161
; %bb.158:                              ;   in Loop: Header=BB358_13 Depth=1
	v_and_b32_e32 v1, 0x7f, v58
	v_cmp_ne_u32_e64 s[8:9], s40, v1
	v_mov_b32_e32 v0, 0x7f800001
	s_and_saveexec_b64 s[36:37], s[8:9]
	s_cbranch_execz .LBB358_160
; %bb.159:                              ;   in Loop: Header=BB358_13 Depth=1
	v_and_b32_e32 v0, 7, v58
	v_ffbh_u32_e32 v4, v0
	v_min_u32_e32 v4, 32, v4
	v_subrev_u32_e32 v12, 28, v4
	v_lshlrev_b64 v[12:13], v12, v[58:59]
	v_lshrrev_b32_e32 v3, 3, v1
	v_sub_u32_e32 v4, 29, v4
	v_and_b32_e32 v12, 7, v12
	v_cmp_gt_u32_e64 s[8:9], 8, v1
	v_cndmask_b32_e64 v1, v3, v4, s[8:9]
	v_cndmask_b32_e64 v0, v0, v12, s[8:9]
	v_lshlrev_b32_e32 v3, 24, v58
	v_bfrev_b32_e32 v2, 60
	v_lshlrev_b32_e32 v0, 20, v0
	v_and_b32_e32 v3, 0x80000000, v3
	v_lshl_add_u32 v1, v1, 23, v2
	v_or3_b32 v0, v3, v1, v0
.LBB358_160:                            ;   in Loop: Header=BB358_13 Depth=1
	s_or_b64 exec, exec, s[36:37]
.LBB358_161:                            ;   in Loop: Header=BB358_13 Depth=1
	s_or_b64 exec, exec, s[34:35]
.LBB358_162:                            ;   in Loop: Header=BB358_13 Depth=1
	s_or_b64 exec, exec, s[30:31]
	v_mul_f32_e32 v0, v5, v0
	v_and_b32_e32 v1, 0x7f800000, v0
	v_cmp_ne_u32_e64 s[8:9], s41, v1
                                        ; implicit-def: $agpr29
	s_and_saveexec_b64 s[30:31], s[8:9]
	s_xor_b64 s[8:9], exec, s[30:31]
; %bb.163:                              ;   in Loop: Header=BB358_13 Depth=1
	v_bfe_u32 v1, v0, 16, 1
	v_add3_u32 v0, v0, v1, s42
	v_accvgpr_write_b32 a29, v0
                                        ; implicit-def: $vgpr0
; %bb.164:                              ;   in Loop: Header=BB358_13 Depth=1
	s_andn2_saveexec_b64 s[30:31], s[8:9]
; %bb.165:                              ;   in Loop: Header=BB358_13 Depth=1
	v_or_b32_e32 v1, 0x10000, v0
	v_cmp_eq_u32_sdwa s[8:9], v0, v41 src0_sel:WORD_0 src1_sel:DWORD
	v_cndmask_b32_e64 v0, v1, v0, s[8:9]
	v_accvgpr_write_b32 a29, v0
; %bb.166:                              ;   in Loop: Header=BB358_13 Depth=1
	s_or_b64 exec, exec, s[30:31]
	v_lshrrev_b16_e32 v60, 8, v58
	v_cmp_ne_u16_e64 s[8:9], 0, v60
	v_mov_b32_e32 v0, 0
	s_and_saveexec_b64 s[30:31], s[8:9]
	s_cbranch_execz .LBB358_172
; %bb.167:                              ;   in Loop: Header=BB358_13 Depth=1
	v_cmp_ne_u16_e64 s[8:9], s39, v60
	v_bfrev_b32_e32 v0, 1
	s_and_saveexec_b64 s[34:35], s[8:9]
	s_cbranch_execz .LBB358_171
; %bb.168:                              ;   in Loop: Header=BB358_13 Depth=1
	v_and_b32_e32 v1, 0x7f, v60
	v_cmp_ne_u32_e64 s[8:9], s40, v1
	v_mov_b32_e32 v0, 0x7f800001
	s_and_saveexec_b64 s[36:37], s[8:9]
	s_cbranch_execz .LBB358_170
; %bb.169:                              ;   in Loop: Header=BB358_13 Depth=1
	v_and_b32_e32 v0, 7, v60
	v_ffbh_u32_e32 v4, v0
	v_min_u32_e32 v4, 32, v4
	v_subrev_u32_e32 v12, 28, v4
	v_lshlrev_b64 v[12:13], v12, v[60:61]
	v_lshrrev_b32_e32 v3, 3, v1
	v_sub_u32_e32 v4, 29, v4
	v_and_b32_e32 v12, 7, v12
	v_cmp_gt_u32_e64 s[8:9], 8, v1
	v_cndmask_b32_e64 v1, v3, v4, s[8:9]
	v_cndmask_b32_e64 v0, v0, v12, s[8:9]
	v_lshlrev_b32_e32 v3, 16, v58
	v_bfrev_b32_e32 v2, 60
	v_lshlrev_b32_e32 v0, 20, v0
	v_and_b32_e32 v3, 0x80000000, v3
	v_lshl_add_u32 v1, v1, 23, v2
	v_or3_b32 v0, v3, v1, v0
.LBB358_170:                            ;   in Loop: Header=BB358_13 Depth=1
	s_or_b64 exec, exec, s[36:37]
.LBB358_171:                            ;   in Loop: Header=BB358_13 Depth=1
	s_or_b64 exec, exec, s[34:35]
.LBB358_172:                            ;   in Loop: Header=BB358_13 Depth=1
	s_or_b64 exec, exec, s[30:31]
	v_mul_f32_e32 v0, v5, v0
	v_and_b32_e32 v1, 0x7f800000, v0
	v_cmp_ne_u32_e64 s[8:9], s41, v1
                                        ; implicit-def: $agpr30
	s_and_saveexec_b64 s[30:31], s[8:9]
	s_xor_b64 s[8:9], exec, s[30:31]
; %bb.173:                              ;   in Loop: Header=BB358_13 Depth=1
	v_bfe_u32 v1, v0, 16, 1
	v_add3_u32 v0, v0, v1, s42
	v_accvgpr_write_b32 a30, v0
                                        ; implicit-def: $vgpr0
; %bb.174:                              ;   in Loop: Header=BB358_13 Depth=1
	s_andn2_saveexec_b64 s[30:31], s[8:9]
; %bb.175:                              ;   in Loop: Header=BB358_13 Depth=1
	v_or_b32_e32 v1, 0x10000, v0
	v_cmp_eq_u32_sdwa s[8:9], v0, v41 src0_sel:WORD_0 src1_sel:DWORD
	v_cndmask_b32_e64 v0, v1, v0, s[8:9]
	v_accvgpr_write_b32 a30, v0
; %bb.176:                              ;   in Loop: Header=BB358_13 Depth=1
	s_or_b64 exec, exec, s[30:31]
	flat_load_ushort v0, v[56:57] offset:1024
	s_waitcnt vmcnt(0) lgkmcnt(0)
	v_and_b32_e32 v58, 0xffff, v0
	v_cmp_ne_u16_sdwa s[8:9], v0, v41 src0_sel:BYTE_0 src1_sel:DWORD
	v_mov_b32_e32 v0, 0
	s_and_saveexec_b64 s[30:31], s[8:9]
	s_cbranch_execz .LBB358_182
; %bb.177:                              ;   in Loop: Header=BB358_13 Depth=1
	v_cmp_ne_u16_sdwa s[8:9], v58, s39 src0_sel:BYTE_0 src1_sel:DWORD
	v_bfrev_b32_e32 v0, 1
	s_and_saveexec_b64 s[34:35], s[8:9]
	s_cbranch_execz .LBB358_181
; %bb.178:                              ;   in Loop: Header=BB358_13 Depth=1
	v_and_b32_e32 v1, 0x7f, v58
	v_cmp_ne_u32_e64 s[8:9], s40, v1
	v_mov_b32_e32 v0, 0x7f800001
	s_and_saveexec_b64 s[36:37], s[8:9]
	s_cbranch_execz .LBB358_180
; %bb.179:                              ;   in Loop: Header=BB358_13 Depth=1
	v_and_b32_e32 v0, 7, v58
	v_ffbh_u32_e32 v4, v0
	v_min_u32_e32 v4, 32, v4
	v_subrev_u32_e32 v12, 28, v4
	v_lshlrev_b64 v[12:13], v12, v[58:59]
	v_lshrrev_b32_e32 v3, 3, v1
	v_sub_u32_e32 v4, 29, v4
	v_and_b32_e32 v12, 7, v12
	v_cmp_gt_u32_e64 s[8:9], 8, v1
	v_cndmask_b32_e64 v1, v3, v4, s[8:9]
	v_cndmask_b32_e64 v0, v0, v12, s[8:9]
	v_lshlrev_b32_e32 v3, 24, v58
	v_bfrev_b32_e32 v2, 60
	v_lshlrev_b32_e32 v0, 20, v0
	v_and_b32_e32 v3, 0x80000000, v3
	v_lshl_add_u32 v1, v1, 23, v2
	v_or3_b32 v0, v3, v1, v0
.LBB358_180:                            ;   in Loop: Header=BB358_13 Depth=1
	s_or_b64 exec, exec, s[36:37]
.LBB358_181:                            ;   in Loop: Header=BB358_13 Depth=1
	s_or_b64 exec, exec, s[34:35]
.LBB358_182:                            ;   in Loop: Header=BB358_13 Depth=1
	s_or_b64 exec, exec, s[30:31]
	v_mul_f32_e32 v0, v5, v0
	v_and_b32_e32 v1, 0x7f800000, v0
	v_cmp_ne_u32_e64 s[8:9], s41, v1
                                        ; implicit-def: $agpr31
	s_and_saveexec_b64 s[30:31], s[8:9]
	s_xor_b64 s[8:9], exec, s[30:31]
; %bb.183:                              ;   in Loop: Header=BB358_13 Depth=1
	v_bfe_u32 v1, v0, 16, 1
	v_add3_u32 v0, v0, v1, s42
	v_accvgpr_write_b32 a31, v0
                                        ; implicit-def: $vgpr0
; %bb.184:                              ;   in Loop: Header=BB358_13 Depth=1
	s_andn2_saveexec_b64 s[30:31], s[8:9]
; %bb.185:                              ;   in Loop: Header=BB358_13 Depth=1
	v_or_b32_e32 v1, 0x10000, v0
	v_cmp_eq_u32_sdwa s[8:9], v0, v41 src0_sel:WORD_0 src1_sel:DWORD
	v_cndmask_b32_e64 v0, v1, v0, s[8:9]
	v_accvgpr_write_b32 a31, v0
; %bb.186:                              ;   in Loop: Header=BB358_13 Depth=1
	s_or_b64 exec, exec, s[30:31]
	v_lshrrev_b16_e32 v60, 8, v58
	v_cmp_ne_u16_e64 s[8:9], 0, v60
	v_mov_b32_e32 v0, 0
	s_and_saveexec_b64 s[30:31], s[8:9]
	s_cbranch_execz .LBB358_192
; %bb.187:                              ;   in Loop: Header=BB358_13 Depth=1
	v_cmp_ne_u16_e64 s[8:9], s39, v60
	v_bfrev_b32_e32 v0, 1
	s_and_saveexec_b64 s[34:35], s[8:9]
	s_cbranch_execz .LBB358_191
; %bb.188:                              ;   in Loop: Header=BB358_13 Depth=1
	v_and_b32_e32 v1, 0x7f, v60
	v_cmp_ne_u32_e64 s[8:9], s40, v1
	v_mov_b32_e32 v0, 0x7f800001
	s_and_saveexec_b64 s[36:37], s[8:9]
	s_cbranch_execz .LBB358_190
; %bb.189:                              ;   in Loop: Header=BB358_13 Depth=1
	v_and_b32_e32 v0, 7, v60
	v_ffbh_u32_e32 v4, v0
	v_min_u32_e32 v4, 32, v4
	v_subrev_u32_e32 v12, 28, v4
	v_lshlrev_b64 v[12:13], v12, v[60:61]
	v_lshrrev_b32_e32 v3, 3, v1
	v_sub_u32_e32 v4, 29, v4
	v_and_b32_e32 v12, 7, v12
	v_cmp_gt_u32_e64 s[8:9], 8, v1
	v_cndmask_b32_e64 v1, v3, v4, s[8:9]
	v_cndmask_b32_e64 v0, v0, v12, s[8:9]
	v_lshlrev_b32_e32 v3, 16, v58
	v_bfrev_b32_e32 v2, 60
	v_lshlrev_b32_e32 v0, 20, v0
	v_and_b32_e32 v3, 0x80000000, v3
	v_lshl_add_u32 v1, v1, 23, v2
	v_or3_b32 v0, v3, v1, v0
.LBB358_190:                            ;   in Loop: Header=BB358_13 Depth=1
	s_or_b64 exec, exec, s[36:37]
.LBB358_191:                            ;   in Loop: Header=BB358_13 Depth=1
	s_or_b64 exec, exec, s[34:35]
.LBB358_192:                            ;   in Loop: Header=BB358_13 Depth=1
	s_or_b64 exec, exec, s[30:31]
	v_mul_f32_e32 v0, v5, v0
	v_and_b32_e32 v1, 0x7f800000, v0
	v_cmp_ne_u32_e64 s[8:9], s41, v1
                                        ; implicit-def: $agpr26
	s_and_saveexec_b64 s[30:31], s[8:9]
	s_xor_b64 s[8:9], exec, s[30:31]
; %bb.193:                              ;   in Loop: Header=BB358_13 Depth=1
	v_bfe_u32 v1, v0, 16, 1
	v_add3_u32 v0, v0, v1, s42
	v_accvgpr_write_b32 a26, v0
                                        ; implicit-def: $vgpr0
; %bb.194:                              ;   in Loop: Header=BB358_13 Depth=1
	s_andn2_saveexec_b64 s[30:31], s[8:9]
; %bb.195:                              ;   in Loop: Header=BB358_13 Depth=1
	v_or_b32_e32 v1, 0x10000, v0
	v_cmp_eq_u32_sdwa s[8:9], v0, v41 src0_sel:WORD_0 src1_sel:DWORD
	v_cndmask_b32_e64 v0, v1, v0, s[8:9]
	v_accvgpr_write_b32 a26, v0
; %bb.196:                              ;   in Loop: Header=BB358_13 Depth=1
	s_or_b64 exec, exec, s[30:31]
	flat_load_ushort v0, v[56:57] offset:1032
	s_waitcnt vmcnt(0) lgkmcnt(0)
	v_and_b32_e32 v58, 0xffff, v0
	v_cmp_ne_u16_sdwa s[8:9], v0, v41 src0_sel:BYTE_0 src1_sel:DWORD
	v_mov_b32_e32 v0, 0
	s_and_saveexec_b64 s[30:31], s[8:9]
	s_cbranch_execz .LBB358_202
; %bb.197:                              ;   in Loop: Header=BB358_13 Depth=1
	v_cmp_ne_u16_sdwa s[8:9], v58, s39 src0_sel:BYTE_0 src1_sel:DWORD
	v_bfrev_b32_e32 v0, 1
	s_and_saveexec_b64 s[34:35], s[8:9]
	s_cbranch_execz .LBB358_201
; %bb.198:                              ;   in Loop: Header=BB358_13 Depth=1
	v_and_b32_e32 v1, 0x7f, v58
	v_cmp_ne_u32_e64 s[8:9], s40, v1
	v_mov_b32_e32 v0, 0x7f800001
	s_and_saveexec_b64 s[36:37], s[8:9]
	s_cbranch_execz .LBB358_200
; %bb.199:                              ;   in Loop: Header=BB358_13 Depth=1
	v_and_b32_e32 v0, 7, v58
	v_ffbh_u32_e32 v4, v0
	v_min_u32_e32 v4, 32, v4
	v_subrev_u32_e32 v12, 28, v4
	v_lshlrev_b64 v[12:13], v12, v[58:59]
	v_lshrrev_b32_e32 v3, 3, v1
	v_sub_u32_e32 v4, 29, v4
	v_and_b32_e32 v12, 7, v12
	v_cmp_gt_u32_e64 s[8:9], 8, v1
	v_cndmask_b32_e64 v1, v3, v4, s[8:9]
	v_cndmask_b32_e64 v0, v0, v12, s[8:9]
	v_lshlrev_b32_e32 v3, 24, v58
	v_bfrev_b32_e32 v2, 60
	v_lshlrev_b32_e32 v0, 20, v0
	v_and_b32_e32 v3, 0x80000000, v3
	v_lshl_add_u32 v1, v1, 23, v2
	v_or3_b32 v0, v3, v1, v0
.LBB358_200:                            ;   in Loop: Header=BB358_13 Depth=1
	s_or_b64 exec, exec, s[36:37]
.LBB358_201:                            ;   in Loop: Header=BB358_13 Depth=1
	s_or_b64 exec, exec, s[34:35]
.LBB358_202:                            ;   in Loop: Header=BB358_13 Depth=1
	s_or_b64 exec, exec, s[30:31]
	v_mul_f32_e32 v0, v5, v0
	v_and_b32_e32 v1, 0x7f800000, v0
	v_cmp_ne_u32_e64 s[8:9], s41, v1
                                        ; implicit-def: $agpr27
	s_and_saveexec_b64 s[30:31], s[8:9]
	s_xor_b64 s[8:9], exec, s[30:31]
; %bb.203:                              ;   in Loop: Header=BB358_13 Depth=1
	v_bfe_u32 v1, v0, 16, 1
	v_add3_u32 v0, v0, v1, s42
	v_accvgpr_write_b32 a27, v0
                                        ; implicit-def: $vgpr0
; %bb.204:                              ;   in Loop: Header=BB358_13 Depth=1
	s_andn2_saveexec_b64 s[30:31], s[8:9]
; %bb.205:                              ;   in Loop: Header=BB358_13 Depth=1
	v_or_b32_e32 v1, 0x10000, v0
	v_cmp_eq_u32_sdwa s[8:9], v0, v41 src0_sel:WORD_0 src1_sel:DWORD
	v_cndmask_b32_e64 v0, v1, v0, s[8:9]
	v_accvgpr_write_b32 a27, v0
; %bb.206:                              ;   in Loop: Header=BB358_13 Depth=1
	s_or_b64 exec, exec, s[30:31]
	v_lshrrev_b16_e32 v60, 8, v58
	v_cmp_ne_u16_e64 s[8:9], 0, v60
	v_mov_b32_e32 v0, 0
	s_and_saveexec_b64 s[30:31], s[8:9]
	s_cbranch_execz .LBB358_212
; %bb.207:                              ;   in Loop: Header=BB358_13 Depth=1
	v_cmp_ne_u16_e64 s[8:9], s39, v60
	v_bfrev_b32_e32 v0, 1
	s_and_saveexec_b64 s[34:35], s[8:9]
	s_cbranch_execz .LBB358_211
; %bb.208:                              ;   in Loop: Header=BB358_13 Depth=1
	v_and_b32_e32 v1, 0x7f, v60
	v_cmp_ne_u32_e64 s[8:9], s40, v1
	v_mov_b32_e32 v0, 0x7f800001
	s_and_saveexec_b64 s[36:37], s[8:9]
	s_cbranch_execz .LBB358_210
; %bb.209:                              ;   in Loop: Header=BB358_13 Depth=1
	v_and_b32_e32 v0, 7, v60
	v_ffbh_u32_e32 v4, v0
	v_min_u32_e32 v4, 32, v4
	v_subrev_u32_e32 v12, 28, v4
	v_lshlrev_b64 v[12:13], v12, v[60:61]
	v_lshrrev_b32_e32 v3, 3, v1
	v_sub_u32_e32 v4, 29, v4
	v_and_b32_e32 v12, 7, v12
	v_cmp_gt_u32_e64 s[8:9], 8, v1
	v_cndmask_b32_e64 v1, v3, v4, s[8:9]
	v_cndmask_b32_e64 v0, v0, v12, s[8:9]
	v_lshlrev_b32_e32 v3, 16, v58
	v_bfrev_b32_e32 v2, 60
	v_lshlrev_b32_e32 v0, 20, v0
	v_and_b32_e32 v3, 0x80000000, v3
	v_lshl_add_u32 v1, v1, 23, v2
	v_or3_b32 v0, v3, v1, v0
.LBB358_210:                            ;   in Loop: Header=BB358_13 Depth=1
	s_or_b64 exec, exec, s[36:37]
.LBB358_211:                            ;   in Loop: Header=BB358_13 Depth=1
	s_or_b64 exec, exec, s[34:35]
.LBB358_212:                            ;   in Loop: Header=BB358_13 Depth=1
	s_or_b64 exec, exec, s[30:31]
	v_mul_f32_e32 v0, v5, v0
	v_and_b32_e32 v1, 0x7f800000, v0
	v_cmp_ne_u32_e64 s[8:9], s41, v1
                                        ; implicit-def: $agpr25
	s_and_saveexec_b64 s[30:31], s[8:9]
	s_xor_b64 s[8:9], exec, s[30:31]
; %bb.213:                              ;   in Loop: Header=BB358_13 Depth=1
	v_bfe_u32 v1, v0, 16, 1
	v_add3_u32 v0, v0, v1, s42
	v_accvgpr_write_b32 a25, v0
                                        ; implicit-def: $vgpr0
; %bb.214:                              ;   in Loop: Header=BB358_13 Depth=1
	s_andn2_saveexec_b64 s[30:31], s[8:9]
; %bb.215:                              ;   in Loop: Header=BB358_13 Depth=1
	v_or_b32_e32 v1, 0x10000, v0
	v_cmp_eq_u32_sdwa s[8:9], v0, v41 src0_sel:WORD_0 src1_sel:DWORD
	v_cndmask_b32_e64 v0, v1, v0, s[8:9]
	v_accvgpr_write_b32 a25, v0
; %bb.216:                              ;   in Loop: Header=BB358_13 Depth=1
	s_or_b64 exec, exec, s[30:31]
	flat_load_ushort v0, v[56:57] offset:1280
	s_waitcnt vmcnt(0) lgkmcnt(0)
	v_and_b32_e32 v58, 0xffff, v0
	v_cmp_ne_u16_sdwa s[8:9], v0, v41 src0_sel:BYTE_0 src1_sel:DWORD
	v_mov_b32_e32 v0, 0
	s_and_saveexec_b64 s[30:31], s[8:9]
	s_cbranch_execz .LBB358_222
; %bb.217:                              ;   in Loop: Header=BB358_13 Depth=1
	v_cmp_ne_u16_sdwa s[8:9], v58, s39 src0_sel:BYTE_0 src1_sel:DWORD
	v_bfrev_b32_e32 v0, 1
	s_and_saveexec_b64 s[34:35], s[8:9]
	s_cbranch_execz .LBB358_221
; %bb.218:                              ;   in Loop: Header=BB358_13 Depth=1
	v_and_b32_e32 v1, 0x7f, v58
	v_cmp_ne_u32_e64 s[8:9], s40, v1
	v_mov_b32_e32 v0, 0x7f800001
	s_and_saveexec_b64 s[36:37], s[8:9]
	s_cbranch_execz .LBB358_220
; %bb.219:                              ;   in Loop: Header=BB358_13 Depth=1
	v_and_b32_e32 v0, 7, v58
	v_ffbh_u32_e32 v4, v0
	v_min_u32_e32 v4, 32, v4
	v_subrev_u32_e32 v12, 28, v4
	v_lshlrev_b64 v[12:13], v12, v[58:59]
	v_lshrrev_b32_e32 v3, 3, v1
	v_sub_u32_e32 v4, 29, v4
	v_and_b32_e32 v12, 7, v12
	v_cmp_gt_u32_e64 s[8:9], 8, v1
	v_cndmask_b32_e64 v1, v3, v4, s[8:9]
	v_cndmask_b32_e64 v0, v0, v12, s[8:9]
	v_lshlrev_b32_e32 v3, 24, v58
	v_bfrev_b32_e32 v2, 60
	v_lshlrev_b32_e32 v0, 20, v0
	v_and_b32_e32 v3, 0x80000000, v3
	v_lshl_add_u32 v1, v1, 23, v2
	v_or3_b32 v0, v3, v1, v0
.LBB358_220:                            ;   in Loop: Header=BB358_13 Depth=1
	s_or_b64 exec, exec, s[36:37]
.LBB358_221:                            ;   in Loop: Header=BB358_13 Depth=1
	s_or_b64 exec, exec, s[34:35]
.LBB358_222:                            ;   in Loop: Header=BB358_13 Depth=1
	s_or_b64 exec, exec, s[30:31]
	v_mul_f32_e32 v0, v5, v0
	v_and_b32_e32 v1, 0x7f800000, v0
	v_cmp_ne_u32_e64 s[8:9], s41, v1
                                        ; implicit-def: $agpr35
	s_and_saveexec_b64 s[30:31], s[8:9]
	s_xor_b64 s[8:9], exec, s[30:31]
; %bb.223:                              ;   in Loop: Header=BB358_13 Depth=1
	v_bfe_u32 v1, v0, 16, 1
	v_add3_u32 v0, v0, v1, s42
	v_accvgpr_write_b32 a35, v0
                                        ; implicit-def: $vgpr0
; %bb.224:                              ;   in Loop: Header=BB358_13 Depth=1
	s_andn2_saveexec_b64 s[30:31], s[8:9]
; %bb.225:                              ;   in Loop: Header=BB358_13 Depth=1
	v_or_b32_e32 v1, 0x10000, v0
	v_cmp_eq_u32_sdwa s[8:9], v0, v41 src0_sel:WORD_0 src1_sel:DWORD
	v_cndmask_b32_e64 v0, v1, v0, s[8:9]
	v_accvgpr_write_b32 a35, v0
; %bb.226:                              ;   in Loop: Header=BB358_13 Depth=1
	s_or_b64 exec, exec, s[30:31]
	v_lshrrev_b16_e32 v60, 8, v58
	v_cmp_ne_u16_e64 s[8:9], 0, v60
	v_mov_b32_e32 v0, 0
	s_and_saveexec_b64 s[30:31], s[8:9]
	s_cbranch_execz .LBB358_232
; %bb.227:                              ;   in Loop: Header=BB358_13 Depth=1
	v_cmp_ne_u16_e64 s[8:9], s39, v60
	v_bfrev_b32_e32 v0, 1
	s_and_saveexec_b64 s[34:35], s[8:9]
	s_cbranch_execz .LBB358_231
; %bb.228:                              ;   in Loop: Header=BB358_13 Depth=1
	v_and_b32_e32 v1, 0x7f, v60
	v_cmp_ne_u32_e64 s[8:9], s40, v1
	v_mov_b32_e32 v0, 0x7f800001
	s_and_saveexec_b64 s[36:37], s[8:9]
	s_cbranch_execz .LBB358_230
; %bb.229:                              ;   in Loop: Header=BB358_13 Depth=1
	v_and_b32_e32 v0, 7, v60
	v_ffbh_u32_e32 v4, v0
	v_min_u32_e32 v4, 32, v4
	v_subrev_u32_e32 v12, 28, v4
	v_lshlrev_b64 v[12:13], v12, v[60:61]
	v_lshrrev_b32_e32 v3, 3, v1
	v_sub_u32_e32 v4, 29, v4
	v_and_b32_e32 v12, 7, v12
	v_cmp_gt_u32_e64 s[8:9], 8, v1
	v_cndmask_b32_e64 v1, v3, v4, s[8:9]
	v_cndmask_b32_e64 v0, v0, v12, s[8:9]
	v_lshlrev_b32_e32 v3, 16, v58
	v_bfrev_b32_e32 v2, 60
	v_lshlrev_b32_e32 v0, 20, v0
	v_and_b32_e32 v3, 0x80000000, v3
	v_lshl_add_u32 v1, v1, 23, v2
	v_or3_b32 v0, v3, v1, v0
.LBB358_230:                            ;   in Loop: Header=BB358_13 Depth=1
	s_or_b64 exec, exec, s[36:37]
.LBB358_231:                            ;   in Loop: Header=BB358_13 Depth=1
	s_or_b64 exec, exec, s[34:35]
.LBB358_232:                            ;   in Loop: Header=BB358_13 Depth=1
	s_or_b64 exec, exec, s[30:31]
	v_mul_f32_e32 v0, v5, v0
	v_and_b32_e32 v1, 0x7f800000, v0
	v_cmp_ne_u32_e64 s[8:9], s41, v1
                                        ; implicit-def: $agpr15
	s_and_saveexec_b64 s[30:31], s[8:9]
	s_xor_b64 s[8:9], exec, s[30:31]
; %bb.233:                              ;   in Loop: Header=BB358_13 Depth=1
	v_bfe_u32 v1, v0, 16, 1
	v_add3_u32 v0, v0, v1, s42
	v_accvgpr_write_b32 a15, v0
                                        ; implicit-def: $vgpr0
; %bb.234:                              ;   in Loop: Header=BB358_13 Depth=1
	s_andn2_saveexec_b64 s[30:31], s[8:9]
; %bb.235:                              ;   in Loop: Header=BB358_13 Depth=1
	v_or_b32_e32 v1, 0x10000, v0
	v_cmp_eq_u32_sdwa s[8:9], v0, v41 src0_sel:WORD_0 src1_sel:DWORD
	v_cndmask_b32_e64 v0, v1, v0, s[8:9]
	v_accvgpr_write_b32 a15, v0
; %bb.236:                              ;   in Loop: Header=BB358_13 Depth=1
	s_or_b64 exec, exec, s[30:31]
	flat_load_ushort v0, v[56:57] offset:1288
	s_waitcnt vmcnt(0) lgkmcnt(0)
	v_and_b32_e32 v58, 0xffff, v0
	v_cmp_ne_u16_sdwa s[8:9], v0, v41 src0_sel:BYTE_0 src1_sel:DWORD
	v_mov_b32_e32 v0, 0
	s_and_saveexec_b64 s[30:31], s[8:9]
	s_cbranch_execz .LBB358_242
; %bb.237:                              ;   in Loop: Header=BB358_13 Depth=1
	v_cmp_ne_u16_sdwa s[8:9], v58, s39 src0_sel:BYTE_0 src1_sel:DWORD
	v_bfrev_b32_e32 v0, 1
	s_and_saveexec_b64 s[34:35], s[8:9]
	s_cbranch_execz .LBB358_241
; %bb.238:                              ;   in Loop: Header=BB358_13 Depth=1
	v_and_b32_e32 v1, 0x7f, v58
	v_cmp_ne_u32_e64 s[8:9], s40, v1
	v_mov_b32_e32 v0, 0x7f800001
	s_and_saveexec_b64 s[36:37], s[8:9]
	s_cbranch_execz .LBB358_240
; %bb.239:                              ;   in Loop: Header=BB358_13 Depth=1
	v_and_b32_e32 v0, 7, v58
	v_ffbh_u32_e32 v4, v0
	v_min_u32_e32 v4, 32, v4
	v_subrev_u32_e32 v12, 28, v4
	v_lshlrev_b64 v[12:13], v12, v[58:59]
	v_lshrrev_b32_e32 v3, 3, v1
	v_sub_u32_e32 v4, 29, v4
	v_and_b32_e32 v12, 7, v12
	v_cmp_gt_u32_e64 s[8:9], 8, v1
	v_cndmask_b32_e64 v1, v3, v4, s[8:9]
	v_cndmask_b32_e64 v0, v0, v12, s[8:9]
	v_lshlrev_b32_e32 v3, 24, v58
	v_bfrev_b32_e32 v2, 60
	v_lshlrev_b32_e32 v0, 20, v0
	v_and_b32_e32 v3, 0x80000000, v3
	v_lshl_add_u32 v1, v1, 23, v2
	v_or3_b32 v0, v3, v1, v0
.LBB358_240:                            ;   in Loop: Header=BB358_13 Depth=1
	s_or_b64 exec, exec, s[36:37]
.LBB358_241:                            ;   in Loop: Header=BB358_13 Depth=1
	s_or_b64 exec, exec, s[34:35]
.LBB358_242:                            ;   in Loop: Header=BB358_13 Depth=1
	s_or_b64 exec, exec, s[30:31]
	v_mul_f32_e32 v0, v5, v0
	v_and_b32_e32 v1, 0x7f800000, v0
	v_cmp_ne_u32_e64 s[8:9], s41, v1
                                        ; implicit-def: $agpr0
	s_and_saveexec_b64 s[30:31], s[8:9]
	s_xor_b64 s[8:9], exec, s[30:31]
; %bb.243:                              ;   in Loop: Header=BB358_13 Depth=1
	v_bfe_u32 v1, v0, 16, 1
	v_add3_u32 v0, v0, v1, s42
	v_accvgpr_write_b32 a0, v0
                                        ; implicit-def: $vgpr0
; %bb.244:                              ;   in Loop: Header=BB358_13 Depth=1
	s_andn2_saveexec_b64 s[30:31], s[8:9]
; %bb.245:                              ;   in Loop: Header=BB358_13 Depth=1
	v_or_b32_e32 v1, 0x10000, v0
	v_cmp_eq_u32_sdwa s[8:9], v0, v41 src0_sel:WORD_0 src1_sel:DWORD
	v_cndmask_b32_e64 v0, v1, v0, s[8:9]
	v_accvgpr_write_b32 a0, v0
; %bb.246:                              ;   in Loop: Header=BB358_13 Depth=1
	s_or_b64 exec, exec, s[30:31]
	v_lshrrev_b16_e32 v60, 8, v58
	v_cmp_ne_u16_e64 s[8:9], 0, v60
	v_mov_b32_e32 v0, 0
	s_and_saveexec_b64 s[30:31], s[8:9]
	s_cbranch_execz .LBB358_252
; %bb.247:                              ;   in Loop: Header=BB358_13 Depth=1
	v_cmp_ne_u16_e64 s[8:9], s39, v60
	v_bfrev_b32_e32 v0, 1
	s_and_saveexec_b64 s[34:35], s[8:9]
	s_cbranch_execz .LBB358_251
; %bb.248:                              ;   in Loop: Header=BB358_13 Depth=1
	v_and_b32_e32 v1, 0x7f, v60
	v_cmp_ne_u32_e64 s[8:9], s40, v1
	v_mov_b32_e32 v0, 0x7f800001
	s_and_saveexec_b64 s[36:37], s[8:9]
	s_cbranch_execz .LBB358_250
; %bb.249:                              ;   in Loop: Header=BB358_13 Depth=1
	v_and_b32_e32 v0, 7, v60
	v_ffbh_u32_e32 v4, v0
	v_min_u32_e32 v4, 32, v4
	v_subrev_u32_e32 v12, 28, v4
	v_lshlrev_b64 v[12:13], v12, v[60:61]
	v_lshrrev_b32_e32 v3, 3, v1
	v_sub_u32_e32 v4, 29, v4
	v_and_b32_e32 v12, 7, v12
	v_cmp_gt_u32_e64 s[8:9], 8, v1
	v_cndmask_b32_e64 v1, v3, v4, s[8:9]
	v_cndmask_b32_e64 v0, v0, v12, s[8:9]
	v_lshlrev_b32_e32 v3, 16, v58
	v_bfrev_b32_e32 v2, 60
	v_lshlrev_b32_e32 v0, 20, v0
	v_and_b32_e32 v3, 0x80000000, v3
	v_lshl_add_u32 v1, v1, 23, v2
	v_or3_b32 v0, v3, v1, v0
.LBB358_250:                            ;   in Loop: Header=BB358_13 Depth=1
	s_or_b64 exec, exec, s[36:37]
.LBB358_251:                            ;   in Loop: Header=BB358_13 Depth=1
	s_or_b64 exec, exec, s[34:35]
.LBB358_252:                            ;   in Loop: Header=BB358_13 Depth=1
	s_or_b64 exec, exec, s[30:31]
	v_mul_f32_e32 v0, v5, v0
	v_and_b32_e32 v1, 0x7f800000, v0
	v_cmp_ne_u32_e64 s[8:9], s41, v1
                                        ; implicit-def: $agpr1
	s_and_saveexec_b64 s[30:31], s[8:9]
	s_xor_b64 s[8:9], exec, s[30:31]
; %bb.253:                              ;   in Loop: Header=BB358_13 Depth=1
	v_bfe_u32 v1, v0, 16, 1
	v_add3_u32 v0, v0, v1, s42
	v_accvgpr_write_b32 a1, v0
                                        ; implicit-def: $vgpr0
; %bb.254:                              ;   in Loop: Header=BB358_13 Depth=1
	s_andn2_saveexec_b64 s[30:31], s[8:9]
; %bb.255:                              ;   in Loop: Header=BB358_13 Depth=1
	v_or_b32_e32 v1, 0x10000, v0
	v_cmp_eq_u32_sdwa s[8:9], v0, v41 src0_sel:WORD_0 src1_sel:DWORD
	v_cndmask_b32_e64 v0, v1, v0, s[8:9]
	v_accvgpr_write_b32 a1, v0
; %bb.256:                              ;   in Loop: Header=BB358_13 Depth=1
	s_or_b64 exec, exec, s[30:31]
	flat_load_ushort v0, v[56:57] offset:1536
	s_waitcnt vmcnt(0) lgkmcnt(0)
	v_and_b32_e32 v58, 0xffff, v0
	v_cmp_ne_u16_sdwa s[8:9], v0, v41 src0_sel:BYTE_0 src1_sel:DWORD
	v_mov_b32_e32 v0, 0
	s_and_saveexec_b64 s[30:31], s[8:9]
	s_cbranch_execz .LBB358_262
; %bb.257:                              ;   in Loop: Header=BB358_13 Depth=1
	v_cmp_ne_u16_sdwa s[8:9], v58, s39 src0_sel:BYTE_0 src1_sel:DWORD
	v_bfrev_b32_e32 v0, 1
	s_and_saveexec_b64 s[34:35], s[8:9]
	s_cbranch_execz .LBB358_261
; %bb.258:                              ;   in Loop: Header=BB358_13 Depth=1
	v_and_b32_e32 v1, 0x7f, v58
	v_cmp_ne_u32_e64 s[8:9], s40, v1
	v_mov_b32_e32 v0, 0x7f800001
	s_and_saveexec_b64 s[36:37], s[8:9]
	s_cbranch_execz .LBB358_260
; %bb.259:                              ;   in Loop: Header=BB358_13 Depth=1
	v_and_b32_e32 v0, 7, v58
	v_ffbh_u32_e32 v4, v0
	v_min_u32_e32 v4, 32, v4
	v_subrev_u32_e32 v12, 28, v4
	v_lshlrev_b64 v[12:13], v12, v[58:59]
	v_lshrrev_b32_e32 v3, 3, v1
	v_sub_u32_e32 v4, 29, v4
	v_and_b32_e32 v12, 7, v12
	v_cmp_gt_u32_e64 s[8:9], 8, v1
	v_cndmask_b32_e64 v1, v3, v4, s[8:9]
	v_cndmask_b32_e64 v0, v0, v12, s[8:9]
	v_lshlrev_b32_e32 v3, 24, v58
	v_bfrev_b32_e32 v2, 60
	v_lshlrev_b32_e32 v0, 20, v0
	v_and_b32_e32 v3, 0x80000000, v3
	v_lshl_add_u32 v1, v1, 23, v2
	v_or3_b32 v0, v3, v1, v0
.LBB358_260:                            ;   in Loop: Header=BB358_13 Depth=1
	s_or_b64 exec, exec, s[36:37]
.LBB358_261:                            ;   in Loop: Header=BB358_13 Depth=1
	s_or_b64 exec, exec, s[34:35]
.LBB358_262:                            ;   in Loop: Header=BB358_13 Depth=1
	s_or_b64 exec, exec, s[30:31]
	v_mul_f32_e32 v0, v5, v0
	v_and_b32_e32 v1, 0x7f800000, v0
	v_cmp_ne_u32_e64 s[8:9], s41, v1
                                        ; implicit-def: $agpr23
	s_and_saveexec_b64 s[30:31], s[8:9]
	s_xor_b64 s[8:9], exec, s[30:31]
; %bb.263:                              ;   in Loop: Header=BB358_13 Depth=1
	v_bfe_u32 v1, v0, 16, 1
	v_add3_u32 v0, v0, v1, s42
	v_accvgpr_write_b32 a23, v0
                                        ; implicit-def: $vgpr0
; %bb.264:                              ;   in Loop: Header=BB358_13 Depth=1
	s_andn2_saveexec_b64 s[30:31], s[8:9]
; %bb.265:                              ;   in Loop: Header=BB358_13 Depth=1
	v_or_b32_e32 v1, 0x10000, v0
	v_cmp_eq_u32_sdwa s[8:9], v0, v41 src0_sel:WORD_0 src1_sel:DWORD
	v_cndmask_b32_e64 v0, v1, v0, s[8:9]
	v_accvgpr_write_b32 a23, v0
; %bb.266:                              ;   in Loop: Header=BB358_13 Depth=1
	s_or_b64 exec, exec, s[30:31]
	v_lshrrev_b16_e32 v60, 8, v58
	v_cmp_ne_u16_e64 s[8:9], 0, v60
	v_mov_b32_e32 v0, 0
	s_and_saveexec_b64 s[30:31], s[8:9]
	s_cbranch_execz .LBB358_272
; %bb.267:                              ;   in Loop: Header=BB358_13 Depth=1
	v_cmp_ne_u16_e64 s[8:9], s39, v60
	v_bfrev_b32_e32 v0, 1
	s_and_saveexec_b64 s[34:35], s[8:9]
	s_cbranch_execz .LBB358_271
; %bb.268:                              ;   in Loop: Header=BB358_13 Depth=1
	v_and_b32_e32 v1, 0x7f, v60
	v_cmp_ne_u32_e64 s[8:9], s40, v1
	v_mov_b32_e32 v0, 0x7f800001
	s_and_saveexec_b64 s[36:37], s[8:9]
	s_cbranch_execz .LBB358_270
; %bb.269:                              ;   in Loop: Header=BB358_13 Depth=1
	v_and_b32_e32 v0, 7, v60
	v_ffbh_u32_e32 v4, v0
	v_min_u32_e32 v4, 32, v4
	v_subrev_u32_e32 v12, 28, v4
	v_lshlrev_b64 v[12:13], v12, v[60:61]
	v_lshrrev_b32_e32 v3, 3, v1
	v_sub_u32_e32 v4, 29, v4
	v_and_b32_e32 v12, 7, v12
	v_cmp_gt_u32_e64 s[8:9], 8, v1
	v_cndmask_b32_e64 v1, v3, v4, s[8:9]
	v_cndmask_b32_e64 v0, v0, v12, s[8:9]
	v_lshlrev_b32_e32 v3, 16, v58
	v_bfrev_b32_e32 v2, 60
	v_lshlrev_b32_e32 v0, 20, v0
	v_and_b32_e32 v3, 0x80000000, v3
	v_lshl_add_u32 v1, v1, 23, v2
	v_or3_b32 v0, v3, v1, v0
.LBB358_270:                            ;   in Loop: Header=BB358_13 Depth=1
	s_or_b64 exec, exec, s[36:37]
.LBB358_271:                            ;   in Loop: Header=BB358_13 Depth=1
	s_or_b64 exec, exec, s[34:35]
.LBB358_272:                            ;   in Loop: Header=BB358_13 Depth=1
	s_or_b64 exec, exec, s[30:31]
	v_mul_f32_e32 v0, v5, v0
	v_and_b32_e32 v1, 0x7f800000, v0
	v_cmp_ne_u32_e64 s[8:9], s41, v1
                                        ; implicit-def: $agpr24
	s_and_saveexec_b64 s[30:31], s[8:9]
	s_xor_b64 s[8:9], exec, s[30:31]
; %bb.273:                              ;   in Loop: Header=BB358_13 Depth=1
	v_bfe_u32 v1, v0, 16, 1
	v_add3_u32 v0, v0, v1, s42
	v_accvgpr_write_b32 a24, v0
                                        ; implicit-def: $vgpr0
; %bb.274:                              ;   in Loop: Header=BB358_13 Depth=1
	s_andn2_saveexec_b64 s[30:31], s[8:9]
; %bb.275:                              ;   in Loop: Header=BB358_13 Depth=1
	v_or_b32_e32 v1, 0x10000, v0
	v_cmp_eq_u32_sdwa s[8:9], v0, v41 src0_sel:WORD_0 src1_sel:DWORD
	v_cndmask_b32_e64 v0, v1, v0, s[8:9]
	v_accvgpr_write_b32 a24, v0
; %bb.276:                              ;   in Loop: Header=BB358_13 Depth=1
	s_or_b64 exec, exec, s[30:31]
	flat_load_ushort v0, v[56:57] offset:1544
	s_waitcnt vmcnt(0) lgkmcnt(0)
	v_and_b32_e32 v58, 0xffff, v0
	v_cmp_ne_u16_sdwa s[8:9], v0, v41 src0_sel:BYTE_0 src1_sel:DWORD
	v_mov_b32_e32 v0, 0
	s_and_saveexec_b64 s[30:31], s[8:9]
	s_cbranch_execz .LBB358_282
; %bb.277:                              ;   in Loop: Header=BB358_13 Depth=1
	v_cmp_ne_u16_sdwa s[8:9], v58, s39 src0_sel:BYTE_0 src1_sel:DWORD
	v_bfrev_b32_e32 v0, 1
	s_and_saveexec_b64 s[34:35], s[8:9]
	s_cbranch_execz .LBB358_281
; %bb.278:                              ;   in Loop: Header=BB358_13 Depth=1
	v_and_b32_e32 v1, 0x7f, v58
	v_cmp_ne_u32_e64 s[8:9], s40, v1
	v_mov_b32_e32 v0, 0x7f800001
	s_and_saveexec_b64 s[36:37], s[8:9]
	s_cbranch_execz .LBB358_280
; %bb.279:                              ;   in Loop: Header=BB358_13 Depth=1
	v_and_b32_e32 v0, 7, v58
	v_ffbh_u32_e32 v4, v0
	v_min_u32_e32 v4, 32, v4
	v_subrev_u32_e32 v12, 28, v4
	v_lshlrev_b64 v[12:13], v12, v[58:59]
	v_lshrrev_b32_e32 v3, 3, v1
	v_sub_u32_e32 v4, 29, v4
	v_and_b32_e32 v12, 7, v12
	v_cmp_gt_u32_e64 s[8:9], 8, v1
	v_cndmask_b32_e64 v1, v3, v4, s[8:9]
	v_cndmask_b32_e64 v0, v0, v12, s[8:9]
	v_lshlrev_b32_e32 v3, 24, v58
	v_bfrev_b32_e32 v2, 60
	v_lshlrev_b32_e32 v0, 20, v0
	v_and_b32_e32 v3, 0x80000000, v3
	v_lshl_add_u32 v1, v1, 23, v2
	v_or3_b32 v0, v3, v1, v0
.LBB358_280:                            ;   in Loop: Header=BB358_13 Depth=1
	s_or_b64 exec, exec, s[36:37]
.LBB358_281:                            ;   in Loop: Header=BB358_13 Depth=1
	s_or_b64 exec, exec, s[34:35]
.LBB358_282:                            ;   in Loop: Header=BB358_13 Depth=1
	s_or_b64 exec, exec, s[30:31]
	v_mul_f32_e32 v0, v5, v0
	v_and_b32_e32 v1, 0x7f800000, v0
	v_cmp_ne_u32_e64 s[8:9], s41, v1
                                        ; implicit-def: $agpr21
	s_and_saveexec_b64 s[30:31], s[8:9]
	s_xor_b64 s[8:9], exec, s[30:31]
; %bb.283:                              ;   in Loop: Header=BB358_13 Depth=1
	v_bfe_u32 v1, v0, 16, 1
	v_add3_u32 v0, v0, v1, s42
	v_accvgpr_write_b32 a21, v0
                                        ; implicit-def: $vgpr0
; %bb.284:                              ;   in Loop: Header=BB358_13 Depth=1
	s_andn2_saveexec_b64 s[30:31], s[8:9]
; %bb.285:                              ;   in Loop: Header=BB358_13 Depth=1
	v_or_b32_e32 v1, 0x10000, v0
	v_cmp_eq_u32_sdwa s[8:9], v0, v41 src0_sel:WORD_0 src1_sel:DWORD
	v_cndmask_b32_e64 v0, v1, v0, s[8:9]
	v_accvgpr_write_b32 a21, v0
; %bb.286:                              ;   in Loop: Header=BB358_13 Depth=1
	s_or_b64 exec, exec, s[30:31]
	v_lshrrev_b16_e32 v60, 8, v58
	v_cmp_ne_u16_e64 s[8:9], 0, v60
	v_mov_b32_e32 v0, 0
	s_and_saveexec_b64 s[30:31], s[8:9]
	s_cbranch_execz .LBB358_292
; %bb.287:                              ;   in Loop: Header=BB358_13 Depth=1
	v_cmp_ne_u16_e64 s[8:9], s39, v60
	v_bfrev_b32_e32 v0, 1
	s_and_saveexec_b64 s[34:35], s[8:9]
	s_cbranch_execz .LBB358_291
; %bb.288:                              ;   in Loop: Header=BB358_13 Depth=1
	v_and_b32_e32 v1, 0x7f, v60
	v_cmp_ne_u32_e64 s[8:9], s40, v1
	v_mov_b32_e32 v0, 0x7f800001
	s_and_saveexec_b64 s[36:37], s[8:9]
	s_cbranch_execz .LBB358_290
; %bb.289:                              ;   in Loop: Header=BB358_13 Depth=1
	v_and_b32_e32 v0, 7, v60
	v_ffbh_u32_e32 v4, v0
	v_min_u32_e32 v4, 32, v4
	v_subrev_u32_e32 v12, 28, v4
	v_lshlrev_b64 v[12:13], v12, v[60:61]
	v_lshrrev_b32_e32 v3, 3, v1
	v_sub_u32_e32 v4, 29, v4
	v_and_b32_e32 v12, 7, v12
	v_cmp_gt_u32_e64 s[8:9], 8, v1
	v_cndmask_b32_e64 v1, v3, v4, s[8:9]
	v_cndmask_b32_e64 v0, v0, v12, s[8:9]
	v_lshlrev_b32_e32 v3, 16, v58
	v_bfrev_b32_e32 v2, 60
	v_lshlrev_b32_e32 v0, 20, v0
	v_and_b32_e32 v3, 0x80000000, v3
	v_lshl_add_u32 v1, v1, 23, v2
	v_or3_b32 v0, v3, v1, v0
.LBB358_290:                            ;   in Loop: Header=BB358_13 Depth=1
	s_or_b64 exec, exec, s[36:37]
.LBB358_291:                            ;   in Loop: Header=BB358_13 Depth=1
	s_or_b64 exec, exec, s[34:35]
.LBB358_292:                            ;   in Loop: Header=BB358_13 Depth=1
	s_or_b64 exec, exec, s[30:31]
	v_mul_f32_e32 v0, v5, v0
	v_and_b32_e32 v1, 0x7f800000, v0
	v_cmp_ne_u32_e64 s[8:9], s41, v1
                                        ; implicit-def: $agpr22
	s_and_saveexec_b64 s[30:31], s[8:9]
	s_xor_b64 s[8:9], exec, s[30:31]
; %bb.293:                              ;   in Loop: Header=BB358_13 Depth=1
	v_bfe_u32 v1, v0, 16, 1
	v_add3_u32 v0, v0, v1, s42
	v_accvgpr_write_b32 a22, v0
                                        ; implicit-def: $vgpr0
; %bb.294:                              ;   in Loop: Header=BB358_13 Depth=1
	s_andn2_saveexec_b64 s[30:31], s[8:9]
; %bb.295:                              ;   in Loop: Header=BB358_13 Depth=1
	v_or_b32_e32 v1, 0x10000, v0
	v_cmp_eq_u32_sdwa s[8:9], v0, v41 src0_sel:WORD_0 src1_sel:DWORD
	v_cndmask_b32_e64 v0, v1, v0, s[8:9]
	v_accvgpr_write_b32 a22, v0
; %bb.296:                              ;   in Loop: Header=BB358_13 Depth=1
	s_or_b64 exec, exec, s[30:31]
	flat_load_ushort v0, v[56:57] offset:1792
	s_waitcnt vmcnt(0) lgkmcnt(0)
	v_and_b32_e32 v58, 0xffff, v0
	v_cmp_ne_u16_sdwa s[8:9], v0, v41 src0_sel:BYTE_0 src1_sel:DWORD
	v_mov_b32_e32 v0, 0
	s_and_saveexec_b64 s[30:31], s[8:9]
	s_cbranch_execz .LBB358_302
; %bb.297:                              ;   in Loop: Header=BB358_13 Depth=1
	v_cmp_ne_u16_sdwa s[8:9], v58, s39 src0_sel:BYTE_0 src1_sel:DWORD
	v_bfrev_b32_e32 v0, 1
	s_and_saveexec_b64 s[34:35], s[8:9]
	s_cbranch_execz .LBB358_301
; %bb.298:                              ;   in Loop: Header=BB358_13 Depth=1
	v_and_b32_e32 v1, 0x7f, v58
	v_cmp_ne_u32_e64 s[8:9], s40, v1
	v_mov_b32_e32 v0, 0x7f800001
	s_and_saveexec_b64 s[36:37], s[8:9]
	s_cbranch_execz .LBB358_300
; %bb.299:                              ;   in Loop: Header=BB358_13 Depth=1
	v_and_b32_e32 v0, 7, v58
	v_ffbh_u32_e32 v4, v0
	v_min_u32_e32 v4, 32, v4
	v_subrev_u32_e32 v12, 28, v4
	v_lshlrev_b64 v[12:13], v12, v[58:59]
	v_lshrrev_b32_e32 v3, 3, v1
	v_sub_u32_e32 v4, 29, v4
	v_and_b32_e32 v12, 7, v12
	v_cmp_gt_u32_e64 s[8:9], 8, v1
	v_cndmask_b32_e64 v1, v3, v4, s[8:9]
	v_cndmask_b32_e64 v0, v0, v12, s[8:9]
	v_lshlrev_b32_e32 v3, 24, v58
	v_bfrev_b32_e32 v2, 60
	v_lshlrev_b32_e32 v0, 20, v0
	v_and_b32_e32 v3, 0x80000000, v3
	v_lshl_add_u32 v1, v1, 23, v2
	v_or3_b32 v0, v3, v1, v0
.LBB358_300:                            ;   in Loop: Header=BB358_13 Depth=1
	s_or_b64 exec, exec, s[36:37]
.LBB358_301:                            ;   in Loop: Header=BB358_13 Depth=1
	s_or_b64 exec, exec, s[34:35]
.LBB358_302:                            ;   in Loop: Header=BB358_13 Depth=1
	s_or_b64 exec, exec, s[30:31]
	v_mul_f32_e32 v0, v5, v0
	v_and_b32_e32 v1, 0x7f800000, v0
	v_cmp_ne_u32_e64 s[8:9], s41, v1
                                        ; implicit-def: $agpr19
	s_and_saveexec_b64 s[30:31], s[8:9]
	s_xor_b64 s[8:9], exec, s[30:31]
; %bb.303:                              ;   in Loop: Header=BB358_13 Depth=1
	v_bfe_u32 v1, v0, 16, 1
	v_add3_u32 v0, v0, v1, s42
	v_accvgpr_write_b32 a19, v0
                                        ; implicit-def: $vgpr0
; %bb.304:                              ;   in Loop: Header=BB358_13 Depth=1
	s_andn2_saveexec_b64 s[30:31], s[8:9]
; %bb.305:                              ;   in Loop: Header=BB358_13 Depth=1
	v_or_b32_e32 v1, 0x10000, v0
	v_cmp_eq_u32_sdwa s[8:9], v0, v41 src0_sel:WORD_0 src1_sel:DWORD
	v_cndmask_b32_e64 v0, v1, v0, s[8:9]
	v_accvgpr_write_b32 a19, v0
; %bb.306:                              ;   in Loop: Header=BB358_13 Depth=1
	s_or_b64 exec, exec, s[30:31]
	v_lshrrev_b16_e32 v60, 8, v58
	v_cmp_ne_u16_e64 s[8:9], 0, v60
	v_mov_b32_e32 v0, 0
	s_and_saveexec_b64 s[30:31], s[8:9]
	s_cbranch_execz .LBB358_312
; %bb.307:                              ;   in Loop: Header=BB358_13 Depth=1
	v_cmp_ne_u16_e64 s[8:9], s39, v60
	v_bfrev_b32_e32 v0, 1
	s_and_saveexec_b64 s[34:35], s[8:9]
	s_cbranch_execz .LBB358_311
; %bb.308:                              ;   in Loop: Header=BB358_13 Depth=1
	v_and_b32_e32 v1, 0x7f, v60
	v_cmp_ne_u32_e64 s[8:9], s40, v1
	v_mov_b32_e32 v0, 0x7f800001
	s_and_saveexec_b64 s[36:37], s[8:9]
	s_cbranch_execz .LBB358_310
; %bb.309:                              ;   in Loop: Header=BB358_13 Depth=1
	v_and_b32_e32 v0, 7, v60
	v_ffbh_u32_e32 v4, v0
	v_min_u32_e32 v4, 32, v4
	v_subrev_u32_e32 v12, 28, v4
	v_lshlrev_b64 v[12:13], v12, v[60:61]
	v_lshrrev_b32_e32 v3, 3, v1
	v_sub_u32_e32 v4, 29, v4
	v_and_b32_e32 v12, 7, v12
	v_cmp_gt_u32_e64 s[8:9], 8, v1
	v_cndmask_b32_e64 v1, v3, v4, s[8:9]
	v_cndmask_b32_e64 v0, v0, v12, s[8:9]
	v_lshlrev_b32_e32 v3, 16, v58
	v_bfrev_b32_e32 v2, 60
	v_lshlrev_b32_e32 v0, 20, v0
	v_and_b32_e32 v3, 0x80000000, v3
	v_lshl_add_u32 v1, v1, 23, v2
	v_or3_b32 v0, v3, v1, v0
.LBB358_310:                            ;   in Loop: Header=BB358_13 Depth=1
	s_or_b64 exec, exec, s[36:37]
.LBB358_311:                            ;   in Loop: Header=BB358_13 Depth=1
	s_or_b64 exec, exec, s[34:35]
.LBB358_312:                            ;   in Loop: Header=BB358_13 Depth=1
	s_or_b64 exec, exec, s[30:31]
	v_mul_f32_e32 v0, v5, v0
	v_and_b32_e32 v1, 0x7f800000, v0
	v_cmp_ne_u32_e64 s[8:9], s41, v1
                                        ; implicit-def: $agpr20
	s_and_saveexec_b64 s[30:31], s[8:9]
	s_xor_b64 s[8:9], exec, s[30:31]
; %bb.313:                              ;   in Loop: Header=BB358_13 Depth=1
	v_bfe_u32 v1, v0, 16, 1
	v_add3_u32 v0, v0, v1, s42
	v_accvgpr_write_b32 a20, v0
                                        ; implicit-def: $vgpr0
; %bb.314:                              ;   in Loop: Header=BB358_13 Depth=1
	s_andn2_saveexec_b64 s[30:31], s[8:9]
; %bb.315:                              ;   in Loop: Header=BB358_13 Depth=1
	v_or_b32_e32 v1, 0x10000, v0
	v_cmp_eq_u32_sdwa s[8:9], v0, v41 src0_sel:WORD_0 src1_sel:DWORD
	v_cndmask_b32_e64 v0, v1, v0, s[8:9]
	v_accvgpr_write_b32 a20, v0
; %bb.316:                              ;   in Loop: Header=BB358_13 Depth=1
	s_or_b64 exec, exec, s[30:31]
	flat_load_ushort v0, v[56:57] offset:1800
	s_waitcnt vmcnt(0) lgkmcnt(0)
	v_and_b32_e32 v58, 0xffff, v0
	v_cmp_ne_u16_sdwa s[8:9], v0, v41 src0_sel:BYTE_0 src1_sel:DWORD
	v_mov_b32_e32 v0, 0
	s_and_saveexec_b64 s[30:31], s[8:9]
	s_cbranch_execz .LBB358_322
; %bb.317:                              ;   in Loop: Header=BB358_13 Depth=1
	v_cmp_ne_u16_sdwa s[8:9], v58, s39 src0_sel:BYTE_0 src1_sel:DWORD
	v_bfrev_b32_e32 v0, 1
	s_and_saveexec_b64 s[34:35], s[8:9]
	s_cbranch_execz .LBB358_321
; %bb.318:                              ;   in Loop: Header=BB358_13 Depth=1
	v_and_b32_e32 v1, 0x7f, v58
	v_cmp_ne_u32_e64 s[8:9], s40, v1
	v_mov_b32_e32 v0, 0x7f800001
	s_and_saveexec_b64 s[36:37], s[8:9]
	s_cbranch_execz .LBB358_320
; %bb.319:                              ;   in Loop: Header=BB358_13 Depth=1
	v_and_b32_e32 v0, 7, v58
	v_ffbh_u32_e32 v4, v0
	v_min_u32_e32 v4, 32, v4
	v_subrev_u32_e32 v12, 28, v4
	v_lshlrev_b64 v[12:13], v12, v[58:59]
	v_lshrrev_b32_e32 v3, 3, v1
	v_sub_u32_e32 v4, 29, v4
	v_and_b32_e32 v12, 7, v12
	v_cmp_gt_u32_e64 s[8:9], 8, v1
	v_cndmask_b32_e64 v1, v3, v4, s[8:9]
	v_cndmask_b32_e64 v0, v0, v12, s[8:9]
	v_lshlrev_b32_e32 v3, 24, v58
	v_bfrev_b32_e32 v2, 60
	v_lshlrev_b32_e32 v0, 20, v0
	v_and_b32_e32 v3, 0x80000000, v3
	v_lshl_add_u32 v1, v1, 23, v2
	v_or3_b32 v0, v3, v1, v0
.LBB358_320:                            ;   in Loop: Header=BB358_13 Depth=1
	s_or_b64 exec, exec, s[36:37]
.LBB358_321:                            ;   in Loop: Header=BB358_13 Depth=1
	s_or_b64 exec, exec, s[34:35]
.LBB358_322:                            ;   in Loop: Header=BB358_13 Depth=1
	s_or_b64 exec, exec, s[30:31]
	v_mul_f32_e32 v0, v5, v0
	v_and_b32_e32 v1, 0x7f800000, v0
	v_cmp_ne_u32_e64 s[8:9], s41, v1
                                        ; implicit-def: $agpr18
	s_and_saveexec_b64 s[30:31], s[8:9]
	s_xor_b64 s[8:9], exec, s[30:31]
; %bb.323:                              ;   in Loop: Header=BB358_13 Depth=1
	v_bfe_u32 v1, v0, 16, 1
	v_add3_u32 v0, v0, v1, s42
	v_accvgpr_write_b32 a18, v0
                                        ; implicit-def: $vgpr0
; %bb.324:                              ;   in Loop: Header=BB358_13 Depth=1
	s_andn2_saveexec_b64 s[30:31], s[8:9]
; %bb.325:                              ;   in Loop: Header=BB358_13 Depth=1
	v_or_b32_e32 v1, 0x10000, v0
	v_cmp_eq_u32_sdwa s[8:9], v0, v41 src0_sel:WORD_0 src1_sel:DWORD
	v_cndmask_b32_e64 v0, v1, v0, s[8:9]
	v_accvgpr_write_b32 a18, v0
; %bb.326:                              ;   in Loop: Header=BB358_13 Depth=1
	s_or_b64 exec, exec, s[30:31]
	v_lshrrev_b16_e32 v60, 8, v58
	v_cmp_ne_u16_e64 s[8:9], 0, v60
	v_mov_b32_e32 v0, 0
	s_and_saveexec_b64 s[30:31], s[8:9]
	s_cbranch_execz .LBB358_332
; %bb.327:                              ;   in Loop: Header=BB358_13 Depth=1
	v_cmp_ne_u16_e64 s[8:9], s39, v60
	v_bfrev_b32_e32 v0, 1
	s_and_saveexec_b64 s[34:35], s[8:9]
	s_cbranch_execz .LBB358_331
; %bb.328:                              ;   in Loop: Header=BB358_13 Depth=1
	v_and_b32_e32 v1, 0x7f, v60
	v_cmp_ne_u32_e64 s[8:9], s40, v1
	v_mov_b32_e32 v0, 0x7f800001
	s_and_saveexec_b64 s[36:37], s[8:9]
	s_cbranch_execz .LBB358_330
; %bb.329:                              ;   in Loop: Header=BB358_13 Depth=1
	v_and_b32_e32 v0, 7, v60
	v_ffbh_u32_e32 v4, v0
	v_min_u32_e32 v4, 32, v4
	v_subrev_u32_e32 v12, 28, v4
	v_lshlrev_b64 v[12:13], v12, v[60:61]
	v_lshrrev_b32_e32 v3, 3, v1
	v_sub_u32_e32 v4, 29, v4
	v_and_b32_e32 v12, 7, v12
	v_cmp_gt_u32_e64 s[8:9], 8, v1
	v_cndmask_b32_e64 v1, v3, v4, s[8:9]
	v_cndmask_b32_e64 v0, v0, v12, s[8:9]
	v_lshlrev_b32_e32 v3, 16, v58
	v_bfrev_b32_e32 v2, 60
	v_lshlrev_b32_e32 v0, 20, v0
	v_and_b32_e32 v3, 0x80000000, v3
	v_lshl_add_u32 v1, v1, 23, v2
	v_or3_b32 v0, v3, v1, v0
.LBB358_330:                            ;   in Loop: Header=BB358_13 Depth=1
	s_or_b64 exec, exec, s[36:37]
.LBB358_331:                            ;   in Loop: Header=BB358_13 Depth=1
	s_or_b64 exec, exec, s[34:35]
.LBB358_332:                            ;   in Loop: Header=BB358_13 Depth=1
	s_or_b64 exec, exec, s[30:31]
	v_mul_f32_e32 v0, v5, v0
	v_and_b32_e32 v1, 0x7f800000, v0
	v_cmp_ne_u32_e64 s[8:9], s41, v1
                                        ; implicit-def: $agpr17
	s_and_saveexec_b64 s[30:31], s[8:9]
	s_xor_b64 s[8:9], exec, s[30:31]
; %bb.333:                              ;   in Loop: Header=BB358_13 Depth=1
	v_bfe_u32 v1, v0, 16, 1
	v_add3_u32 v0, v0, v1, s42
	v_accvgpr_write_b32 a17, v0
                                        ; implicit-def: $vgpr0
; %bb.334:                              ;   in Loop: Header=BB358_13 Depth=1
	s_andn2_saveexec_b64 s[30:31], s[8:9]
; %bb.335:                              ;   in Loop: Header=BB358_13 Depth=1
	v_or_b32_e32 v1, 0x10000, v0
	v_cmp_eq_u32_sdwa s[8:9], v0, v41 src0_sel:WORD_0 src1_sel:DWORD
	v_cndmask_b32_e64 v0, v1, v0, s[8:9]
	v_accvgpr_write_b32 a17, v0
; %bb.336:                              ;   in Loop: Header=BB358_13 Depth=1
	s_or_b64 exec, exec, s[30:31]
	flat_load_ushort v0, v[56:57] offset:2048
	s_waitcnt vmcnt(0) lgkmcnt(0)
	v_and_b32_e32 v58, 0xffff, v0
	v_cmp_ne_u16_sdwa s[8:9], v0, v41 src0_sel:BYTE_0 src1_sel:DWORD
	v_mov_b32_e32 v0, 0
	s_and_saveexec_b64 s[30:31], s[8:9]
	s_cbranch_execz .LBB358_342
; %bb.337:                              ;   in Loop: Header=BB358_13 Depth=1
	v_cmp_ne_u16_sdwa s[8:9], v58, s39 src0_sel:BYTE_0 src1_sel:DWORD
	v_bfrev_b32_e32 v0, 1
	s_and_saveexec_b64 s[34:35], s[8:9]
	s_cbranch_execz .LBB358_341
; %bb.338:                              ;   in Loop: Header=BB358_13 Depth=1
	v_and_b32_e32 v1, 0x7f, v58
	v_cmp_ne_u32_e64 s[8:9], s40, v1
	v_mov_b32_e32 v0, 0x7f800001
	s_and_saveexec_b64 s[36:37], s[8:9]
	s_cbranch_execz .LBB358_340
; %bb.339:                              ;   in Loop: Header=BB358_13 Depth=1
	v_and_b32_e32 v0, 7, v58
	v_ffbh_u32_e32 v4, v0
	v_min_u32_e32 v4, 32, v4
	v_subrev_u32_e32 v12, 28, v4
	v_lshlrev_b64 v[12:13], v12, v[58:59]
	v_lshrrev_b32_e32 v3, 3, v1
	v_sub_u32_e32 v4, 29, v4
	v_and_b32_e32 v12, 7, v12
	v_cmp_gt_u32_e64 s[8:9], 8, v1
	v_cndmask_b32_e64 v1, v3, v4, s[8:9]
	v_cndmask_b32_e64 v0, v0, v12, s[8:9]
	v_lshlrev_b32_e32 v3, 24, v58
	v_bfrev_b32_e32 v2, 60
	v_lshlrev_b32_e32 v0, 20, v0
	v_and_b32_e32 v3, 0x80000000, v3
	v_lshl_add_u32 v1, v1, 23, v2
	v_or3_b32 v0, v3, v1, v0
.LBB358_340:                            ;   in Loop: Header=BB358_13 Depth=1
	s_or_b64 exec, exec, s[36:37]
.LBB358_341:                            ;   in Loop: Header=BB358_13 Depth=1
	s_or_b64 exec, exec, s[34:35]
.LBB358_342:                            ;   in Loop: Header=BB358_13 Depth=1
	s_or_b64 exec, exec, s[30:31]
	v_mul_f32_e32 v0, v5, v0
	v_and_b32_e32 v1, 0x7f800000, v0
	v_cmp_ne_u32_e64 s[8:9], s41, v1
                                        ; implicit-def: $agpr16
	s_and_saveexec_b64 s[30:31], s[8:9]
	s_xor_b64 s[8:9], exec, s[30:31]
; %bb.343:                              ;   in Loop: Header=BB358_13 Depth=1
	v_bfe_u32 v1, v0, 16, 1
	v_add3_u32 v0, v0, v1, s42
	v_accvgpr_write_b32 a16, v0
                                        ; implicit-def: $vgpr0
; %bb.344:                              ;   in Loop: Header=BB358_13 Depth=1
	s_andn2_saveexec_b64 s[30:31], s[8:9]
; %bb.345:                              ;   in Loop: Header=BB358_13 Depth=1
	v_or_b32_e32 v1, 0x10000, v0
	v_cmp_eq_u32_sdwa s[8:9], v0, v41 src0_sel:WORD_0 src1_sel:DWORD
	v_cndmask_b32_e64 v0, v1, v0, s[8:9]
	v_accvgpr_write_b32 a16, v0
; %bb.346:                              ;   in Loop: Header=BB358_13 Depth=1
	s_or_b64 exec, exec, s[30:31]
	v_lshrrev_b16_e32 v60, 8, v58
	v_cmp_ne_u16_e64 s[8:9], 0, v60
	v_mov_b32_e32 v0, 0
	s_and_saveexec_b64 s[30:31], s[8:9]
	s_cbranch_execz .LBB358_352
; %bb.347:                              ;   in Loop: Header=BB358_13 Depth=1
	v_cmp_ne_u16_e64 s[8:9], s39, v60
	v_bfrev_b32_e32 v0, 1
	s_and_saveexec_b64 s[34:35], s[8:9]
	s_cbranch_execz .LBB358_351
; %bb.348:                              ;   in Loop: Header=BB358_13 Depth=1
	v_and_b32_e32 v1, 0x7f, v60
	v_cmp_ne_u32_e64 s[8:9], s40, v1
	v_mov_b32_e32 v0, 0x7f800001
	s_and_saveexec_b64 s[36:37], s[8:9]
	s_cbranch_execz .LBB358_350
; %bb.349:                              ;   in Loop: Header=BB358_13 Depth=1
	v_and_b32_e32 v0, 7, v60
	v_ffbh_u32_e32 v4, v0
	v_min_u32_e32 v4, 32, v4
	v_subrev_u32_e32 v12, 28, v4
	v_lshlrev_b64 v[12:13], v12, v[60:61]
	v_lshrrev_b32_e32 v3, 3, v1
	v_sub_u32_e32 v4, 29, v4
	v_and_b32_e32 v12, 7, v12
	v_cmp_gt_u32_e64 s[8:9], 8, v1
	v_cndmask_b32_e64 v1, v3, v4, s[8:9]
	v_cndmask_b32_e64 v0, v0, v12, s[8:9]
	v_lshlrev_b32_e32 v3, 16, v58
	v_bfrev_b32_e32 v2, 60
	v_lshlrev_b32_e32 v0, 20, v0
	v_and_b32_e32 v3, 0x80000000, v3
	v_lshl_add_u32 v1, v1, 23, v2
	v_or3_b32 v0, v3, v1, v0
.LBB358_350:                            ;   in Loop: Header=BB358_13 Depth=1
	s_or_b64 exec, exec, s[36:37]
.LBB358_351:                            ;   in Loop: Header=BB358_13 Depth=1
	s_or_b64 exec, exec, s[34:35]
.LBB358_352:                            ;   in Loop: Header=BB358_13 Depth=1
	s_or_b64 exec, exec, s[30:31]
	v_mul_f32_e32 v0, v5, v0
	v_and_b32_e32 v1, 0x7f800000, v0
	v_cmp_ne_u32_e64 s[8:9], s41, v1
                                        ; implicit-def: $agpr36
	s_and_saveexec_b64 s[30:31], s[8:9]
	s_xor_b64 s[8:9], exec, s[30:31]
; %bb.353:                              ;   in Loop: Header=BB358_13 Depth=1
	v_bfe_u32 v1, v0, 16, 1
	v_add3_u32 v0, v0, v1, s42
	v_accvgpr_write_b32 a36, v0
                                        ; implicit-def: $vgpr0
; %bb.354:                              ;   in Loop: Header=BB358_13 Depth=1
	s_andn2_saveexec_b64 s[30:31], s[8:9]
; %bb.355:                              ;   in Loop: Header=BB358_13 Depth=1
	v_or_b32_e32 v1, 0x10000, v0
	v_cmp_eq_u32_sdwa s[8:9], v0, v41 src0_sel:WORD_0 src1_sel:DWORD
	v_cndmask_b32_e64 v0, v1, v0, s[8:9]
	v_accvgpr_write_b32 a36, v0
; %bb.356:                              ;   in Loop: Header=BB358_13 Depth=1
	s_or_b64 exec, exec, s[30:31]
	flat_load_ushort v0, v[56:57] offset:2056
	s_waitcnt vmcnt(0) lgkmcnt(0)
	v_and_b32_e32 v58, 0xffff, v0
	v_cmp_ne_u16_sdwa s[8:9], v0, v41 src0_sel:BYTE_0 src1_sel:DWORD
	v_mov_b32_e32 v0, 0
	s_and_saveexec_b64 s[30:31], s[8:9]
	s_cbranch_execz .LBB358_362
; %bb.357:                              ;   in Loop: Header=BB358_13 Depth=1
	v_cmp_ne_u16_sdwa s[8:9], v58, s39 src0_sel:BYTE_0 src1_sel:DWORD
	v_bfrev_b32_e32 v0, 1
	s_and_saveexec_b64 s[34:35], s[8:9]
	s_cbranch_execz .LBB358_361
; %bb.358:                              ;   in Loop: Header=BB358_13 Depth=1
	v_and_b32_e32 v1, 0x7f, v58
	v_cmp_ne_u32_e64 s[8:9], s40, v1
	v_mov_b32_e32 v0, 0x7f800001
	s_and_saveexec_b64 s[36:37], s[8:9]
	s_cbranch_execz .LBB358_360
; %bb.359:                              ;   in Loop: Header=BB358_13 Depth=1
	v_and_b32_e32 v0, 7, v58
	v_ffbh_u32_e32 v4, v0
	v_min_u32_e32 v4, 32, v4
	v_subrev_u32_e32 v12, 28, v4
	v_lshlrev_b64 v[12:13], v12, v[58:59]
	v_lshrrev_b32_e32 v3, 3, v1
	v_sub_u32_e32 v4, 29, v4
	v_and_b32_e32 v12, 7, v12
	v_cmp_gt_u32_e64 s[8:9], 8, v1
	v_cndmask_b32_e64 v1, v3, v4, s[8:9]
	v_cndmask_b32_e64 v0, v0, v12, s[8:9]
	v_lshlrev_b32_e32 v3, 24, v58
	v_bfrev_b32_e32 v2, 60
	v_lshlrev_b32_e32 v0, 20, v0
	v_and_b32_e32 v3, 0x80000000, v3
	v_lshl_add_u32 v1, v1, 23, v2
	v_or3_b32 v0, v3, v1, v0
.LBB358_360:                            ;   in Loop: Header=BB358_13 Depth=1
	s_or_b64 exec, exec, s[36:37]
.LBB358_361:                            ;   in Loop: Header=BB358_13 Depth=1
	s_or_b64 exec, exec, s[34:35]
.LBB358_362:                            ;   in Loop: Header=BB358_13 Depth=1
	s_or_b64 exec, exec, s[30:31]
	v_mul_f32_e32 v0, v5, v0
	v_and_b32_e32 v1, 0x7f800000, v0
	v_cmp_ne_u32_e64 s[8:9], s41, v1
                                        ; implicit-def: $agpr44
	s_and_saveexec_b64 s[30:31], s[8:9]
	s_xor_b64 s[8:9], exec, s[30:31]
; %bb.363:                              ;   in Loop: Header=BB358_13 Depth=1
	v_bfe_u32 v1, v0, 16, 1
	v_add3_u32 v0, v0, v1, s42
	v_accvgpr_write_b32 a44, v0
                                        ; implicit-def: $vgpr0
; %bb.364:                              ;   in Loop: Header=BB358_13 Depth=1
	s_andn2_saveexec_b64 s[30:31], s[8:9]
; %bb.365:                              ;   in Loop: Header=BB358_13 Depth=1
	v_or_b32_e32 v1, 0x10000, v0
	v_cmp_eq_u32_sdwa s[8:9], v0, v41 src0_sel:WORD_0 src1_sel:DWORD
	v_cndmask_b32_e64 v0, v1, v0, s[8:9]
	v_accvgpr_write_b32 a44, v0
; %bb.366:                              ;   in Loop: Header=BB358_13 Depth=1
	s_or_b64 exec, exec, s[30:31]
	v_lshrrev_b16_e32 v60, 8, v58
	v_cmp_ne_u16_e64 s[8:9], 0, v60
	v_mov_b32_e32 v0, 0
	s_and_saveexec_b64 s[30:31], s[8:9]
	s_cbranch_execz .LBB358_372
; %bb.367:                              ;   in Loop: Header=BB358_13 Depth=1
	v_cmp_ne_u16_e64 s[8:9], s39, v60
	v_bfrev_b32_e32 v0, 1
	s_and_saveexec_b64 s[34:35], s[8:9]
	s_cbranch_execz .LBB358_371
; %bb.368:                              ;   in Loop: Header=BB358_13 Depth=1
	v_and_b32_e32 v1, 0x7f, v60
	v_cmp_ne_u32_e64 s[8:9], s40, v1
	v_mov_b32_e32 v0, 0x7f800001
	s_and_saveexec_b64 s[36:37], s[8:9]
	s_cbranch_execz .LBB358_370
; %bb.369:                              ;   in Loop: Header=BB358_13 Depth=1
	v_and_b32_e32 v0, 7, v60
	v_ffbh_u32_e32 v4, v0
	v_min_u32_e32 v4, 32, v4
	v_subrev_u32_e32 v12, 28, v4
	v_lshlrev_b64 v[12:13], v12, v[60:61]
	v_lshrrev_b32_e32 v3, 3, v1
	v_sub_u32_e32 v4, 29, v4
	v_and_b32_e32 v12, 7, v12
	v_cmp_gt_u32_e64 s[8:9], 8, v1
	v_cndmask_b32_e64 v1, v3, v4, s[8:9]
	v_cndmask_b32_e64 v0, v0, v12, s[8:9]
	v_lshlrev_b32_e32 v3, 16, v58
	v_bfrev_b32_e32 v2, 60
	v_lshlrev_b32_e32 v0, 20, v0
	v_and_b32_e32 v3, 0x80000000, v3
	v_lshl_add_u32 v1, v1, 23, v2
	v_or3_b32 v0, v3, v1, v0
.LBB358_370:                            ;   in Loop: Header=BB358_13 Depth=1
	s_or_b64 exec, exec, s[36:37]
.LBB358_371:                            ;   in Loop: Header=BB358_13 Depth=1
	s_or_b64 exec, exec, s[34:35]
.LBB358_372:                            ;   in Loop: Header=BB358_13 Depth=1
	s_or_b64 exec, exec, s[30:31]
	v_mul_f32_e32 v0, v5, v0
	v_and_b32_e32 v1, 0x7f800000, v0
	v_cmp_ne_u32_e64 s[8:9], s41, v1
                                        ; implicit-def: $agpr2
	s_and_saveexec_b64 s[30:31], s[8:9]
	s_xor_b64 s[8:9], exec, s[30:31]
; %bb.373:                              ;   in Loop: Header=BB358_13 Depth=1
	v_bfe_u32 v1, v0, 16, 1
	v_add3_u32 v0, v0, v1, s42
	v_accvgpr_write_b32 a2, v0
                                        ; implicit-def: $vgpr0
; %bb.374:                              ;   in Loop: Header=BB358_13 Depth=1
	s_andn2_saveexec_b64 s[30:31], s[8:9]
; %bb.375:                              ;   in Loop: Header=BB358_13 Depth=1
	v_or_b32_e32 v1, 0x10000, v0
	v_cmp_eq_u32_sdwa s[8:9], v0, v41 src0_sel:WORD_0 src1_sel:DWORD
	v_cndmask_b32_e64 v0, v1, v0, s[8:9]
	v_accvgpr_write_b32 a2, v0
; %bb.376:                              ;   in Loop: Header=BB358_13 Depth=1
	s_or_b64 exec, exec, s[30:31]
	flat_load_ushort v0, v[56:57] offset:2304
	s_waitcnt vmcnt(0) lgkmcnt(0)
	v_and_b32_e32 v58, 0xffff, v0
	v_cmp_ne_u16_sdwa s[8:9], v0, v41 src0_sel:BYTE_0 src1_sel:DWORD
	v_mov_b32_e32 v0, 0
	s_and_saveexec_b64 s[30:31], s[8:9]
	s_cbranch_execz .LBB358_382
; %bb.377:                              ;   in Loop: Header=BB358_13 Depth=1
	v_cmp_ne_u16_sdwa s[8:9], v58, s39 src0_sel:BYTE_0 src1_sel:DWORD
	v_bfrev_b32_e32 v0, 1
	s_and_saveexec_b64 s[34:35], s[8:9]
	s_cbranch_execz .LBB358_381
; %bb.378:                              ;   in Loop: Header=BB358_13 Depth=1
	v_and_b32_e32 v1, 0x7f, v58
	v_cmp_ne_u32_e64 s[8:9], s40, v1
	v_mov_b32_e32 v0, 0x7f800001
	s_and_saveexec_b64 s[36:37], s[8:9]
	s_cbranch_execz .LBB358_380
; %bb.379:                              ;   in Loop: Header=BB358_13 Depth=1
	v_and_b32_e32 v0, 7, v58
	v_ffbh_u32_e32 v4, v0
	v_min_u32_e32 v4, 32, v4
	v_subrev_u32_e32 v12, 28, v4
	v_lshlrev_b64 v[12:13], v12, v[58:59]
	v_lshrrev_b32_e32 v3, 3, v1
	v_sub_u32_e32 v4, 29, v4
	v_and_b32_e32 v12, 7, v12
	v_cmp_gt_u32_e64 s[8:9], 8, v1
	v_cndmask_b32_e64 v1, v3, v4, s[8:9]
	v_cndmask_b32_e64 v0, v0, v12, s[8:9]
	v_lshlrev_b32_e32 v3, 24, v58
	v_bfrev_b32_e32 v2, 60
	v_lshlrev_b32_e32 v0, 20, v0
	v_and_b32_e32 v3, 0x80000000, v3
	v_lshl_add_u32 v1, v1, 23, v2
	v_or3_b32 v0, v3, v1, v0
.LBB358_380:                            ;   in Loop: Header=BB358_13 Depth=1
	s_or_b64 exec, exec, s[36:37]
.LBB358_381:                            ;   in Loop: Header=BB358_13 Depth=1
	s_or_b64 exec, exec, s[34:35]
.LBB358_382:                            ;   in Loop: Header=BB358_13 Depth=1
	s_or_b64 exec, exec, s[30:31]
	v_mul_f32_e32 v0, v5, v0
	v_and_b32_e32 v1, 0x7f800000, v0
	v_cmp_ne_u32_e64 s[8:9], s41, v1
                                        ; implicit-def: $agpr4
	s_and_saveexec_b64 s[30:31], s[8:9]
	s_xor_b64 s[8:9], exec, s[30:31]
; %bb.383:                              ;   in Loop: Header=BB358_13 Depth=1
	v_bfe_u32 v1, v0, 16, 1
	v_add3_u32 v0, v0, v1, s42
	v_accvgpr_write_b32 a4, v0
                                        ; implicit-def: $vgpr0
; %bb.384:                              ;   in Loop: Header=BB358_13 Depth=1
	s_andn2_saveexec_b64 s[30:31], s[8:9]
; %bb.385:                              ;   in Loop: Header=BB358_13 Depth=1
	v_or_b32_e32 v1, 0x10000, v0
	v_cmp_eq_u32_sdwa s[8:9], v0, v41 src0_sel:WORD_0 src1_sel:DWORD
	v_cndmask_b32_e64 v0, v1, v0, s[8:9]
	v_accvgpr_write_b32 a4, v0
; %bb.386:                              ;   in Loop: Header=BB358_13 Depth=1
	s_or_b64 exec, exec, s[30:31]
	v_lshrrev_b16_e32 v60, 8, v58
	v_cmp_ne_u16_e64 s[8:9], 0, v60
	v_mov_b32_e32 v0, 0
	s_and_saveexec_b64 s[30:31], s[8:9]
	s_cbranch_execz .LBB358_392
; %bb.387:                              ;   in Loop: Header=BB358_13 Depth=1
	v_cmp_ne_u16_e64 s[8:9], s39, v60
	v_bfrev_b32_e32 v0, 1
	s_and_saveexec_b64 s[34:35], s[8:9]
	s_cbranch_execz .LBB358_391
; %bb.388:                              ;   in Loop: Header=BB358_13 Depth=1
	v_and_b32_e32 v1, 0x7f, v60
	v_cmp_ne_u32_e64 s[8:9], s40, v1
	v_mov_b32_e32 v0, 0x7f800001
	s_and_saveexec_b64 s[36:37], s[8:9]
	s_cbranch_execz .LBB358_390
; %bb.389:                              ;   in Loop: Header=BB358_13 Depth=1
	v_and_b32_e32 v3, 7, v60
	v_ffbh_u32_e32 v0, v3
	v_min_u32_e32 v12, 32, v0
	v_subrev_u32_e32 v0, 28, v12
	v_lshrrev_b32_e32 v4, 3, v1
	v_cmp_gt_u32_e64 s[8:9], 8, v1
	v_lshlrev_b64 v[0:1], v0, v[60:61]
	v_sub_u32_e32 v1, 29, v12
	v_and_b32_e32 v0, 7, v0
	v_cndmask_b32_e64 v1, v4, v1, s[8:9]
	v_cndmask_b32_e64 v0, v3, v0, s[8:9]
	v_lshlrev_b32_e32 v3, 16, v58
	v_bfrev_b32_e32 v2, 60
	v_lshlrev_b32_e32 v0, 20, v0
	v_and_b32_e32 v3, 0x80000000, v3
	v_lshl_add_u32 v1, v1, 23, v2
	v_or3_b32 v0, v3, v1, v0
.LBB358_390:                            ;   in Loop: Header=BB358_13 Depth=1
	s_or_b64 exec, exec, s[36:37]
.LBB358_391:                            ;   in Loop: Header=BB358_13 Depth=1
	s_or_b64 exec, exec, s[34:35]
.LBB358_392:                            ;   in Loop: Header=BB358_13 Depth=1
	s_or_b64 exec, exec, s[30:31]
	v_mul_f32_e32 v0, v5, v0
	v_and_b32_e32 v1, 0x7f800000, v0
	v_cmp_ne_u32_e64 s[8:9], s41, v1
                                        ; implicit-def: $agpr5
	s_and_saveexec_b64 s[30:31], s[8:9]
	s_xor_b64 s[8:9], exec, s[30:31]
; %bb.393:                              ;   in Loop: Header=BB358_13 Depth=1
	v_bfe_u32 v1, v0, 16, 1
	v_add3_u32 v0, v0, v1, s42
	v_accvgpr_write_b32 a5, v0
                                        ; implicit-def: $vgpr0
; %bb.394:                              ;   in Loop: Header=BB358_13 Depth=1
	s_andn2_saveexec_b64 s[30:31], s[8:9]
; %bb.395:                              ;   in Loop: Header=BB358_13 Depth=1
	v_or_b32_e32 v1, 0x10000, v0
	v_cmp_eq_u32_sdwa s[8:9], v0, v41 src0_sel:WORD_0 src1_sel:DWORD
	v_cndmask_b32_e64 v0, v1, v0, s[8:9]
	v_accvgpr_write_b32 a5, v0
; %bb.396:                              ;   in Loop: Header=BB358_13 Depth=1
	s_or_b64 exec, exec, s[30:31]
	flat_load_ushort v0, v[56:57] offset:2312
	s_waitcnt vmcnt(0) lgkmcnt(0)
	v_and_b32_e32 v58, 0xffff, v0
	v_cmp_ne_u16_sdwa s[8:9], v0, v41 src0_sel:BYTE_0 src1_sel:DWORD
	v_mov_b32_e32 v0, 0
	s_and_saveexec_b64 s[30:31], s[8:9]
	s_cbranch_execz .LBB358_402
; %bb.397:                              ;   in Loop: Header=BB358_13 Depth=1
	v_cmp_ne_u16_sdwa s[8:9], v58, s39 src0_sel:BYTE_0 src1_sel:DWORD
	v_bfrev_b32_e32 v0, 1
	s_and_saveexec_b64 s[34:35], s[8:9]
	s_cbranch_execz .LBB358_401
; %bb.398:                              ;   in Loop: Header=BB358_13 Depth=1
	v_and_b32_e32 v1, 0x7f, v58
	v_cmp_ne_u32_e64 s[8:9], s40, v1
	v_mov_b32_e32 v0, 0x7f800001
	s_and_saveexec_b64 s[36:37], s[8:9]
	s_cbranch_execz .LBB358_400
; %bb.399:                              ;   in Loop: Header=BB358_13 Depth=1
	v_and_b32_e32 v3, 7, v58
	v_ffbh_u32_e32 v0, v3
	v_min_u32_e32 v12, 32, v0
	v_subrev_u32_e32 v0, 28, v12
	v_lshrrev_b32_e32 v4, 3, v1
	v_cmp_gt_u32_e64 s[8:9], 8, v1
	v_lshlrev_b64 v[0:1], v0, v[58:59]
	v_sub_u32_e32 v1, 29, v12
	v_and_b32_e32 v0, 7, v0
	v_cndmask_b32_e64 v1, v4, v1, s[8:9]
	v_cndmask_b32_e64 v0, v3, v0, s[8:9]
	v_lshlrev_b32_e32 v3, 24, v58
	v_bfrev_b32_e32 v2, 60
	v_lshlrev_b32_e32 v0, 20, v0
	v_and_b32_e32 v3, 0x80000000, v3
	v_lshl_add_u32 v1, v1, 23, v2
	v_or3_b32 v0, v3, v1, v0
.LBB358_400:                            ;   in Loop: Header=BB358_13 Depth=1
	s_or_b64 exec, exec, s[36:37]
.LBB358_401:                            ;   in Loop: Header=BB358_13 Depth=1
	s_or_b64 exec, exec, s[34:35]
.LBB358_402:                            ;   in Loop: Header=BB358_13 Depth=1
	s_or_b64 exec, exec, s[30:31]
	v_mul_f32_e32 v0, v5, v0
	v_and_b32_e32 v1, 0x7f800000, v0
	v_cmp_ne_u32_e64 s[8:9], s41, v1
                                        ; implicit-def: $agpr45
	s_and_saveexec_b64 s[30:31], s[8:9]
	s_xor_b64 s[8:9], exec, s[30:31]
; %bb.403:                              ;   in Loop: Header=BB358_13 Depth=1
	v_bfe_u32 v1, v0, 16, 1
	v_add3_u32 v0, v0, v1, s42
	v_accvgpr_write_b32 a45, v0
                                        ; implicit-def: $vgpr0
; %bb.404:                              ;   in Loop: Header=BB358_13 Depth=1
	s_andn2_saveexec_b64 s[30:31], s[8:9]
; %bb.405:                              ;   in Loop: Header=BB358_13 Depth=1
	v_or_b32_e32 v1, 0x10000, v0
	v_cmp_eq_u32_sdwa s[8:9], v0, v41 src0_sel:WORD_0 src1_sel:DWORD
	v_cndmask_b32_e64 v0, v1, v0, s[8:9]
	v_accvgpr_write_b32 a45, v0
; %bb.406:                              ;   in Loop: Header=BB358_13 Depth=1
	s_or_b64 exec, exec, s[30:31]
	v_lshrrev_b16_e32 v60, 8, v58
	v_cmp_ne_u16_e64 s[8:9], 0, v60
	v_mov_b32_e32 v0, 0
	s_and_saveexec_b64 s[30:31], s[8:9]
	s_cbranch_execz .LBB358_412
; %bb.407:                              ;   in Loop: Header=BB358_13 Depth=1
	v_cmp_ne_u16_e64 s[8:9], s39, v60
	v_bfrev_b32_e32 v0, 1
	s_and_saveexec_b64 s[34:35], s[8:9]
	s_cbranch_execz .LBB358_411
; %bb.408:                              ;   in Loop: Header=BB358_13 Depth=1
	v_and_b32_e32 v1, 0x7f, v60
	v_cmp_ne_u32_e64 s[8:9], s40, v1
	v_mov_b32_e32 v0, 0x7f800001
	s_and_saveexec_b64 s[36:37], s[8:9]
	s_cbranch_execz .LBB358_410
; %bb.409:                              ;   in Loop: Header=BB358_13 Depth=1
	v_and_b32_e32 v3, 7, v60
	v_ffbh_u32_e32 v0, v3
	v_min_u32_e32 v12, 32, v0
	v_subrev_u32_e32 v0, 28, v12
	v_lshrrev_b32_e32 v4, 3, v1
	v_cmp_gt_u32_e64 s[8:9], 8, v1
	v_lshlrev_b64 v[0:1], v0, v[60:61]
	v_sub_u32_e32 v1, 29, v12
	v_and_b32_e32 v0, 7, v0
	v_cndmask_b32_e64 v1, v4, v1, s[8:9]
	v_cndmask_b32_e64 v0, v3, v0, s[8:9]
	v_lshlrev_b32_e32 v3, 16, v58
	v_bfrev_b32_e32 v2, 60
	v_lshlrev_b32_e32 v0, 20, v0
	v_and_b32_e32 v3, 0x80000000, v3
	v_lshl_add_u32 v1, v1, 23, v2
	v_or3_b32 v0, v3, v1, v0
.LBB358_410:                            ;   in Loop: Header=BB358_13 Depth=1
	s_or_b64 exec, exec, s[36:37]
.LBB358_411:                            ;   in Loop: Header=BB358_13 Depth=1
	s_or_b64 exec, exec, s[34:35]
.LBB358_412:                            ;   in Loop: Header=BB358_13 Depth=1
	s_or_b64 exec, exec, s[30:31]
	v_mul_f32_e32 v0, v5, v0
	v_and_b32_e32 v1, 0x7f800000, v0
	v_cmp_ne_u32_e64 s[8:9], s41, v1
                                        ; implicit-def: $agpr34
	s_and_saveexec_b64 s[30:31], s[8:9]
	s_xor_b64 s[8:9], exec, s[30:31]
; %bb.413:                              ;   in Loop: Header=BB358_13 Depth=1
	v_bfe_u32 v1, v0, 16, 1
	v_add3_u32 v0, v0, v1, s42
	v_accvgpr_write_b32 a34, v0
                                        ; implicit-def: $vgpr0
; %bb.414:                              ;   in Loop: Header=BB358_13 Depth=1
	s_andn2_saveexec_b64 s[30:31], s[8:9]
; %bb.415:                              ;   in Loop: Header=BB358_13 Depth=1
	v_or_b32_e32 v1, 0x10000, v0
	v_cmp_eq_u32_sdwa s[8:9], v0, v41 src0_sel:WORD_0 src1_sel:DWORD
	v_cndmask_b32_e64 v0, v1, v0, s[8:9]
	v_accvgpr_write_b32 a34, v0
; %bb.416:                              ;   in Loop: Header=BB358_13 Depth=1
	s_or_b64 exec, exec, s[30:31]
	flat_load_ushort v0, v[56:57] offset:2560
	s_waitcnt vmcnt(0) lgkmcnt(0)
	v_and_b32_e32 v58, 0xffff, v0
	v_cmp_ne_u16_sdwa s[8:9], v0, v41 src0_sel:BYTE_0 src1_sel:DWORD
	v_mov_b32_e32 v0, 0
	s_and_saveexec_b64 s[30:31], s[8:9]
	s_cbranch_execz .LBB358_422
; %bb.417:                              ;   in Loop: Header=BB358_13 Depth=1
	v_cmp_ne_u16_sdwa s[8:9], v58, s39 src0_sel:BYTE_0 src1_sel:DWORD
	v_bfrev_b32_e32 v0, 1
	s_and_saveexec_b64 s[34:35], s[8:9]
	s_cbranch_execz .LBB358_421
; %bb.418:                              ;   in Loop: Header=BB358_13 Depth=1
	v_and_b32_e32 v1, 0x7f, v58
	v_cmp_ne_u32_e64 s[8:9], s40, v1
	v_mov_b32_e32 v0, 0x7f800001
	s_and_saveexec_b64 s[36:37], s[8:9]
	s_cbranch_execz .LBB358_420
; %bb.419:                              ;   in Loop: Header=BB358_13 Depth=1
	v_and_b32_e32 v3, 7, v58
	v_ffbh_u32_e32 v0, v3
	v_min_u32_e32 v12, 32, v0
	v_subrev_u32_e32 v0, 28, v12
	v_lshrrev_b32_e32 v4, 3, v1
	v_cmp_gt_u32_e64 s[8:9], 8, v1
	v_lshlrev_b64 v[0:1], v0, v[58:59]
	v_sub_u32_e32 v1, 29, v12
	v_and_b32_e32 v0, 7, v0
	v_cndmask_b32_e64 v1, v4, v1, s[8:9]
	v_cndmask_b32_e64 v0, v3, v0, s[8:9]
	v_lshlrev_b32_e32 v3, 24, v58
	v_bfrev_b32_e32 v2, 60
	v_lshlrev_b32_e32 v0, 20, v0
	v_and_b32_e32 v3, 0x80000000, v3
	v_lshl_add_u32 v1, v1, 23, v2
	v_or3_b32 v0, v3, v1, v0
.LBB358_420:                            ;   in Loop: Header=BB358_13 Depth=1
	s_or_b64 exec, exec, s[36:37]
.LBB358_421:                            ;   in Loop: Header=BB358_13 Depth=1
	s_or_b64 exec, exec, s[34:35]
.LBB358_422:                            ;   in Loop: Header=BB358_13 Depth=1
	s_or_b64 exec, exec, s[30:31]
	v_mul_f32_e32 v0, v5, v0
	v_and_b32_e32 v1, 0x7f800000, v0
	v_cmp_ne_u32_e64 s[8:9], s41, v1
                                        ; implicit-def: $agpr8
	s_and_saveexec_b64 s[30:31], s[8:9]
	s_xor_b64 s[8:9], exec, s[30:31]
; %bb.423:                              ;   in Loop: Header=BB358_13 Depth=1
	v_bfe_u32 v1, v0, 16, 1
	v_add3_u32 v0, v0, v1, s42
	v_accvgpr_write_b32 a8, v0
                                        ; implicit-def: $vgpr0
; %bb.424:                              ;   in Loop: Header=BB358_13 Depth=1
	s_andn2_saveexec_b64 s[30:31], s[8:9]
; %bb.425:                              ;   in Loop: Header=BB358_13 Depth=1
	v_or_b32_e32 v1, 0x10000, v0
	v_cmp_eq_u32_sdwa s[8:9], v0, v41 src0_sel:WORD_0 src1_sel:DWORD
	v_cndmask_b32_e64 v0, v1, v0, s[8:9]
	v_accvgpr_write_b32 a8, v0
; %bb.426:                              ;   in Loop: Header=BB358_13 Depth=1
	s_or_b64 exec, exec, s[30:31]
	v_lshrrev_b16_e32 v60, 8, v58
	v_cmp_ne_u16_e64 s[8:9], 0, v60
	v_mov_b32_e32 v0, 0
	s_and_saveexec_b64 s[30:31], s[8:9]
	s_cbranch_execz .LBB358_432
; %bb.427:                              ;   in Loop: Header=BB358_13 Depth=1
	v_cmp_ne_u16_e64 s[8:9], s39, v60
	v_bfrev_b32_e32 v0, 1
	s_and_saveexec_b64 s[34:35], s[8:9]
	s_cbranch_execz .LBB358_431
; %bb.428:                              ;   in Loop: Header=BB358_13 Depth=1
	v_and_b32_e32 v1, 0x7f, v60
	v_cmp_ne_u32_e64 s[8:9], s40, v1
	v_mov_b32_e32 v0, 0x7f800001
	s_and_saveexec_b64 s[36:37], s[8:9]
	s_cbranch_execz .LBB358_430
; %bb.429:                              ;   in Loop: Header=BB358_13 Depth=1
	v_and_b32_e32 v3, 7, v60
	v_ffbh_u32_e32 v0, v3
	v_min_u32_e32 v12, 32, v0
	v_subrev_u32_e32 v0, 28, v12
	v_lshrrev_b32_e32 v4, 3, v1
	v_cmp_gt_u32_e64 s[8:9], 8, v1
	v_lshlrev_b64 v[0:1], v0, v[60:61]
	v_sub_u32_e32 v1, 29, v12
	v_and_b32_e32 v0, 7, v0
	v_cndmask_b32_e64 v1, v4, v1, s[8:9]
	v_cndmask_b32_e64 v0, v3, v0, s[8:9]
	v_lshlrev_b32_e32 v3, 16, v58
	v_bfrev_b32_e32 v2, 60
	v_lshlrev_b32_e32 v0, 20, v0
	v_and_b32_e32 v3, 0x80000000, v3
	v_lshl_add_u32 v1, v1, 23, v2
	v_or3_b32 v0, v3, v1, v0
.LBB358_430:                            ;   in Loop: Header=BB358_13 Depth=1
	s_or_b64 exec, exec, s[36:37]
.LBB358_431:                            ;   in Loop: Header=BB358_13 Depth=1
	s_or_b64 exec, exec, s[34:35]
.LBB358_432:                            ;   in Loop: Header=BB358_13 Depth=1
	s_or_b64 exec, exec, s[30:31]
	v_mul_f32_e32 v0, v5, v0
	v_and_b32_e32 v1, 0x7f800000, v0
	v_cmp_ne_u32_e64 s[8:9], s41, v1
                                        ; implicit-def: $agpr14
	s_and_saveexec_b64 s[30:31], s[8:9]
	s_xor_b64 s[8:9], exec, s[30:31]
; %bb.433:                              ;   in Loop: Header=BB358_13 Depth=1
	v_bfe_u32 v1, v0, 16, 1
	v_add3_u32 v0, v0, v1, s42
	v_accvgpr_write_b32 a14, v0
                                        ; implicit-def: $vgpr0
; %bb.434:                              ;   in Loop: Header=BB358_13 Depth=1
	s_andn2_saveexec_b64 s[30:31], s[8:9]
; %bb.435:                              ;   in Loop: Header=BB358_13 Depth=1
	v_or_b32_e32 v1, 0x10000, v0
	v_cmp_eq_u32_sdwa s[8:9], v0, v41 src0_sel:WORD_0 src1_sel:DWORD
	v_cndmask_b32_e64 v0, v1, v0, s[8:9]
	v_accvgpr_write_b32 a14, v0
; %bb.436:                              ;   in Loop: Header=BB358_13 Depth=1
	s_or_b64 exec, exec, s[30:31]
	flat_load_ushort v0, v[56:57] offset:2568
	s_waitcnt vmcnt(0) lgkmcnt(0)
	v_and_b32_e32 v58, 0xffff, v0
	v_cmp_ne_u16_sdwa s[8:9], v0, v41 src0_sel:BYTE_0 src1_sel:DWORD
	v_mov_b32_e32 v0, 0
	s_and_saveexec_b64 s[30:31], s[8:9]
	s_cbranch_execz .LBB358_442
; %bb.437:                              ;   in Loop: Header=BB358_13 Depth=1
	v_cmp_ne_u16_sdwa s[8:9], v58, s39 src0_sel:BYTE_0 src1_sel:DWORD
	v_bfrev_b32_e32 v0, 1
	s_and_saveexec_b64 s[34:35], s[8:9]
	s_cbranch_execz .LBB358_441
; %bb.438:                              ;   in Loop: Header=BB358_13 Depth=1
	v_and_b32_e32 v1, 0x7f, v58
	v_cmp_ne_u32_e64 s[8:9], s40, v1
	v_mov_b32_e32 v0, 0x7f800001
	s_and_saveexec_b64 s[36:37], s[8:9]
	s_cbranch_execz .LBB358_440
; %bb.439:                              ;   in Loop: Header=BB358_13 Depth=1
	v_and_b32_e32 v3, 7, v58
	v_ffbh_u32_e32 v0, v3
	v_min_u32_e32 v12, 32, v0
	v_subrev_u32_e32 v0, 28, v12
	v_lshrrev_b32_e32 v4, 3, v1
	v_cmp_gt_u32_e64 s[8:9], 8, v1
	v_lshlrev_b64 v[0:1], v0, v[58:59]
	v_sub_u32_e32 v1, 29, v12
	v_and_b32_e32 v0, 7, v0
	v_cndmask_b32_e64 v1, v4, v1, s[8:9]
	v_cndmask_b32_e64 v0, v3, v0, s[8:9]
	v_lshlrev_b32_e32 v3, 24, v58
	v_bfrev_b32_e32 v2, 60
	v_lshlrev_b32_e32 v0, 20, v0
	v_and_b32_e32 v3, 0x80000000, v3
	v_lshl_add_u32 v1, v1, 23, v2
	v_or3_b32 v0, v3, v1, v0
.LBB358_440:                            ;   in Loop: Header=BB358_13 Depth=1
	s_or_b64 exec, exec, s[36:37]
.LBB358_441:                            ;   in Loop: Header=BB358_13 Depth=1
	s_or_b64 exec, exec, s[34:35]
.LBB358_442:                            ;   in Loop: Header=BB358_13 Depth=1
	s_or_b64 exec, exec, s[30:31]
	v_mul_f32_e32 v0, v5, v0
	v_and_b32_e32 v1, 0x7f800000, v0
	v_cmp_ne_u32_e64 s[8:9], s41, v1
                                        ; implicit-def: $agpr7
	s_and_saveexec_b64 s[30:31], s[8:9]
	s_xor_b64 s[8:9], exec, s[30:31]
; %bb.443:                              ;   in Loop: Header=BB358_13 Depth=1
	v_bfe_u32 v1, v0, 16, 1
	v_add3_u32 v0, v0, v1, s42
	v_accvgpr_write_b32 a7, v0
                                        ; implicit-def: $vgpr0
; %bb.444:                              ;   in Loop: Header=BB358_13 Depth=1
	s_andn2_saveexec_b64 s[30:31], s[8:9]
; %bb.445:                              ;   in Loop: Header=BB358_13 Depth=1
	v_or_b32_e32 v1, 0x10000, v0
	v_cmp_eq_u32_sdwa s[8:9], v0, v41 src0_sel:WORD_0 src1_sel:DWORD
	v_cndmask_b32_e64 v0, v1, v0, s[8:9]
	v_accvgpr_write_b32 a7, v0
; %bb.446:                              ;   in Loop: Header=BB358_13 Depth=1
	s_or_b64 exec, exec, s[30:31]
	v_lshrrev_b16_e32 v60, 8, v58
	v_cmp_ne_u16_e64 s[8:9], 0, v60
	v_mov_b32_e32 v0, 0
	s_and_saveexec_b64 s[30:31], s[8:9]
	s_cbranch_execz .LBB358_452
; %bb.447:                              ;   in Loop: Header=BB358_13 Depth=1
	v_cmp_ne_u16_e64 s[8:9], s39, v60
	v_bfrev_b32_e32 v0, 1
	s_and_saveexec_b64 s[34:35], s[8:9]
	s_cbranch_execz .LBB358_451
; %bb.448:                              ;   in Loop: Header=BB358_13 Depth=1
	v_and_b32_e32 v1, 0x7f, v60
	v_cmp_ne_u32_e64 s[8:9], s40, v1
	v_mov_b32_e32 v0, 0x7f800001
	s_and_saveexec_b64 s[36:37], s[8:9]
	s_cbranch_execz .LBB358_450
; %bb.449:                              ;   in Loop: Header=BB358_13 Depth=1
	v_and_b32_e32 v3, 7, v60
	v_ffbh_u32_e32 v0, v3
	v_min_u32_e32 v13, 32, v0
	v_subrev_u32_e32 v0, 28, v13
	v_lshrrev_b32_e32 v4, 3, v1
	v_cmp_gt_u32_e64 s[8:9], 8, v1
	v_lshlrev_b64 v[0:1], v0, v[60:61]
	v_sub_u32_e32 v1, 29, v13
	v_and_b32_e32 v0, 7, v0
	v_cndmask_b32_e64 v1, v4, v1, s[8:9]
	v_cndmask_b32_e64 v0, v3, v0, s[8:9]
	v_lshlrev_b32_e32 v3, 16, v58
	v_bfrev_b32_e32 v2, 60
	v_lshlrev_b32_e32 v0, 20, v0
	v_and_b32_e32 v3, 0x80000000, v3
	v_lshl_add_u32 v1, v1, 23, v2
	v_or3_b32 v0, v3, v1, v0
.LBB358_450:                            ;   in Loop: Header=BB358_13 Depth=1
	s_or_b64 exec, exec, s[36:37]
.LBB358_451:                            ;   in Loop: Header=BB358_13 Depth=1
	s_or_b64 exec, exec, s[34:35]
.LBB358_452:                            ;   in Loop: Header=BB358_13 Depth=1
	s_or_b64 exec, exec, s[30:31]
	v_mul_f32_e32 v0, v5, v0
	v_and_b32_e32 v1, 0x7f800000, v0
	v_cmp_ne_u32_e64 s[8:9], s41, v1
                                        ; implicit-def: $agpr9
	s_and_saveexec_b64 s[30:31], s[8:9]
	s_xor_b64 s[8:9], exec, s[30:31]
; %bb.453:                              ;   in Loop: Header=BB358_13 Depth=1
	v_bfe_u32 v1, v0, 16, 1
	v_add3_u32 v0, v0, v1, s42
	v_accvgpr_write_b32 a9, v0
                                        ; implicit-def: $vgpr0
; %bb.454:                              ;   in Loop: Header=BB358_13 Depth=1
	s_andn2_saveexec_b64 s[30:31], s[8:9]
; %bb.455:                              ;   in Loop: Header=BB358_13 Depth=1
	v_or_b32_e32 v1, 0x10000, v0
	v_cmp_eq_u32_sdwa s[8:9], v0, v41 src0_sel:WORD_0 src1_sel:DWORD
	v_cndmask_b32_e64 v0, v1, v0, s[8:9]
	v_accvgpr_write_b32 a9, v0
; %bb.456:                              ;   in Loop: Header=BB358_13 Depth=1
	s_or_b64 exec, exec, s[30:31]
	flat_load_ushort v0, v[56:57] offset:2816
	s_waitcnt vmcnt(0) lgkmcnt(0)
	v_and_b32_e32 v58, 0xffff, v0
	v_cmp_ne_u16_sdwa s[8:9], v0, v41 src0_sel:BYTE_0 src1_sel:DWORD
	v_mov_b32_e32 v0, 0
	s_and_saveexec_b64 s[30:31], s[8:9]
	s_cbranch_execz .LBB358_462
; %bb.457:                              ;   in Loop: Header=BB358_13 Depth=1
	v_cmp_ne_u16_sdwa s[8:9], v58, s39 src0_sel:BYTE_0 src1_sel:DWORD
	v_bfrev_b32_e32 v0, 1
	s_and_saveexec_b64 s[34:35], s[8:9]
	s_cbranch_execz .LBB358_461
; %bb.458:                              ;   in Loop: Header=BB358_13 Depth=1
	v_and_b32_e32 v1, 0x7f, v58
	v_cmp_ne_u32_e64 s[8:9], s40, v1
	v_mov_b32_e32 v0, 0x7f800001
	s_and_saveexec_b64 s[36:37], s[8:9]
	s_cbranch_execz .LBB358_460
; %bb.459:                              ;   in Loop: Header=BB358_13 Depth=1
	v_and_b32_e32 v3, 7, v58
	v_ffbh_u32_e32 v0, v3
	v_min_u32_e32 v13, 32, v0
	v_subrev_u32_e32 v0, 28, v13
	v_lshrrev_b32_e32 v4, 3, v1
	v_cmp_gt_u32_e64 s[8:9], 8, v1
	v_lshlrev_b64 v[0:1], v0, v[58:59]
	v_sub_u32_e32 v1, 29, v13
	v_and_b32_e32 v0, 7, v0
	v_cndmask_b32_e64 v1, v4, v1, s[8:9]
	v_cndmask_b32_e64 v0, v3, v0, s[8:9]
	v_lshlrev_b32_e32 v3, 24, v58
	v_bfrev_b32_e32 v2, 60
	v_lshlrev_b32_e32 v0, 20, v0
	v_and_b32_e32 v3, 0x80000000, v3
	v_lshl_add_u32 v1, v1, 23, v2
	v_or3_b32 v0, v3, v1, v0
.LBB358_460:                            ;   in Loop: Header=BB358_13 Depth=1
	s_or_b64 exec, exec, s[36:37]
.LBB358_461:                            ;   in Loop: Header=BB358_13 Depth=1
	s_or_b64 exec, exec, s[34:35]
.LBB358_462:                            ;   in Loop: Header=BB358_13 Depth=1
	s_or_b64 exec, exec, s[30:31]
	v_mul_f32_e32 v0, v5, v0
	v_and_b32_e32 v1, 0x7f800000, v0
	v_cmp_ne_u32_e64 s[8:9], s41, v1
                                        ; implicit-def: $agpr11
	s_and_saveexec_b64 s[30:31], s[8:9]
	s_xor_b64 s[8:9], exec, s[30:31]
; %bb.463:                              ;   in Loop: Header=BB358_13 Depth=1
	v_bfe_u32 v1, v0, 16, 1
	v_add3_u32 v0, v0, v1, s42
	v_accvgpr_write_b32 a11, v0
                                        ; implicit-def: $vgpr0
; %bb.464:                              ;   in Loop: Header=BB358_13 Depth=1
	s_andn2_saveexec_b64 s[30:31], s[8:9]
; %bb.465:                              ;   in Loop: Header=BB358_13 Depth=1
	v_or_b32_e32 v1, 0x10000, v0
	v_cmp_eq_u32_sdwa s[8:9], v0, v41 src0_sel:WORD_0 src1_sel:DWORD
	v_cndmask_b32_e64 v0, v1, v0, s[8:9]
	v_accvgpr_write_b32 a11, v0
; %bb.466:                              ;   in Loop: Header=BB358_13 Depth=1
	s_or_b64 exec, exec, s[30:31]
	v_lshrrev_b16_e32 v60, 8, v58
	v_cmp_ne_u16_e64 s[8:9], 0, v60
	v_mov_b32_e32 v0, 0
	s_and_saveexec_b64 s[30:31], s[8:9]
	s_cbranch_execz .LBB358_472
; %bb.467:                              ;   in Loop: Header=BB358_13 Depth=1
	v_cmp_ne_u16_e64 s[8:9], s39, v60
	v_bfrev_b32_e32 v0, 1
	s_and_saveexec_b64 s[34:35], s[8:9]
	s_cbranch_execz .LBB358_471
; %bb.468:                              ;   in Loop: Header=BB358_13 Depth=1
	v_and_b32_e32 v1, 0x7f, v60
	v_cmp_ne_u32_e64 s[8:9], s40, v1
	v_mov_b32_e32 v0, 0x7f800001
	s_and_saveexec_b64 s[36:37], s[8:9]
	s_cbranch_execz .LBB358_470
; %bb.469:                              ;   in Loop: Header=BB358_13 Depth=1
	v_and_b32_e32 v3, 7, v60
	v_ffbh_u32_e32 v0, v3
	v_min_u32_e32 v13, 32, v0
	v_subrev_u32_e32 v0, 28, v13
	v_lshrrev_b32_e32 v4, 3, v1
	v_cmp_gt_u32_e64 s[8:9], 8, v1
	v_lshlrev_b64 v[0:1], v0, v[60:61]
	v_sub_u32_e32 v1, 29, v13
	v_and_b32_e32 v0, 7, v0
	v_cndmask_b32_e64 v1, v4, v1, s[8:9]
	v_cndmask_b32_e64 v0, v3, v0, s[8:9]
	v_lshlrev_b32_e32 v3, 16, v58
	v_bfrev_b32_e32 v2, 60
	v_lshlrev_b32_e32 v0, 20, v0
	v_and_b32_e32 v3, 0x80000000, v3
	v_lshl_add_u32 v1, v1, 23, v2
	v_or3_b32 v0, v3, v1, v0
.LBB358_470:                            ;   in Loop: Header=BB358_13 Depth=1
	s_or_b64 exec, exec, s[36:37]
.LBB358_471:                            ;   in Loop: Header=BB358_13 Depth=1
	s_or_b64 exec, exec, s[34:35]
.LBB358_472:                            ;   in Loop: Header=BB358_13 Depth=1
	s_or_b64 exec, exec, s[30:31]
	v_mul_f32_e32 v0, v5, v0
	v_and_b32_e32 v1, 0x7f800000, v0
	v_cmp_ne_u32_e64 s[8:9], s41, v1
                                        ; implicit-def: $agpr6
	s_and_saveexec_b64 s[30:31], s[8:9]
	s_xor_b64 s[8:9], exec, s[30:31]
; %bb.473:                              ;   in Loop: Header=BB358_13 Depth=1
	v_bfe_u32 v1, v0, 16, 1
	v_add3_u32 v0, v0, v1, s42
	v_accvgpr_write_b32 a6, v0
                                        ; implicit-def: $vgpr0
; %bb.474:                              ;   in Loop: Header=BB358_13 Depth=1
	s_andn2_saveexec_b64 s[30:31], s[8:9]
; %bb.475:                              ;   in Loop: Header=BB358_13 Depth=1
	v_or_b32_e32 v1, 0x10000, v0
	v_cmp_eq_u32_sdwa s[8:9], v0, v41 src0_sel:WORD_0 src1_sel:DWORD
	v_cndmask_b32_e64 v0, v1, v0, s[8:9]
	v_accvgpr_write_b32 a6, v0
; %bb.476:                              ;   in Loop: Header=BB358_13 Depth=1
	s_or_b64 exec, exec, s[30:31]
	flat_load_ushort v0, v[56:57] offset:2824
	s_waitcnt vmcnt(0) lgkmcnt(0)
	v_and_b32_e32 v58, 0xffff, v0
	v_cmp_ne_u16_sdwa s[8:9], v0, v41 src0_sel:BYTE_0 src1_sel:DWORD
	v_mov_b32_e32 v0, 0
	s_and_saveexec_b64 s[30:31], s[8:9]
	s_cbranch_execz .LBB358_482
; %bb.477:                              ;   in Loop: Header=BB358_13 Depth=1
	v_cmp_ne_u16_sdwa s[8:9], v58, s39 src0_sel:BYTE_0 src1_sel:DWORD
	v_bfrev_b32_e32 v0, 1
	s_and_saveexec_b64 s[34:35], s[8:9]
	s_cbranch_execz .LBB358_481
; %bb.478:                              ;   in Loop: Header=BB358_13 Depth=1
	v_and_b32_e32 v1, 0x7f, v58
	v_cmp_ne_u32_e64 s[8:9], s40, v1
	v_mov_b32_e32 v0, 0x7f800001
	s_and_saveexec_b64 s[36:37], s[8:9]
	s_cbranch_execz .LBB358_480
; %bb.479:                              ;   in Loop: Header=BB358_13 Depth=1
	v_and_b32_e32 v3, 7, v58
	v_ffbh_u32_e32 v0, v3
	v_min_u32_e32 v13, 32, v0
	v_subrev_u32_e32 v0, 28, v13
	v_lshrrev_b32_e32 v4, 3, v1
	v_cmp_gt_u32_e64 s[8:9], 8, v1
	v_lshlrev_b64 v[0:1], v0, v[58:59]
	v_sub_u32_e32 v1, 29, v13
	v_and_b32_e32 v0, 7, v0
	v_cndmask_b32_e64 v1, v4, v1, s[8:9]
	v_cndmask_b32_e64 v0, v3, v0, s[8:9]
	v_lshlrev_b32_e32 v3, 24, v58
	v_bfrev_b32_e32 v2, 60
	v_lshlrev_b32_e32 v0, 20, v0
	v_and_b32_e32 v3, 0x80000000, v3
	v_lshl_add_u32 v1, v1, 23, v2
	v_or3_b32 v0, v3, v1, v0
.LBB358_480:                            ;   in Loop: Header=BB358_13 Depth=1
	s_or_b64 exec, exec, s[36:37]
.LBB358_481:                            ;   in Loop: Header=BB358_13 Depth=1
	s_or_b64 exec, exec, s[34:35]
.LBB358_482:                            ;   in Loop: Header=BB358_13 Depth=1
	s_or_b64 exec, exec, s[30:31]
	v_mul_f32_e32 v0, v5, v0
	v_and_b32_e32 v1, 0x7f800000, v0
	v_cmp_ne_u32_e64 s[8:9], s41, v1
                                        ; implicit-def: $agpr37
	s_and_saveexec_b64 s[30:31], s[8:9]
	s_xor_b64 s[8:9], exec, s[30:31]
; %bb.483:                              ;   in Loop: Header=BB358_13 Depth=1
	v_bfe_u32 v1, v0, 16, 1
	v_add3_u32 v0, v0, v1, s42
	v_accvgpr_write_b32 a37, v0
                                        ; implicit-def: $vgpr0
; %bb.484:                              ;   in Loop: Header=BB358_13 Depth=1
	s_andn2_saveexec_b64 s[30:31], s[8:9]
; %bb.485:                              ;   in Loop: Header=BB358_13 Depth=1
	v_or_b32_e32 v1, 0x10000, v0
	v_cmp_eq_u32_sdwa s[8:9], v0, v41 src0_sel:WORD_0 src1_sel:DWORD
	v_cndmask_b32_e64 v0, v1, v0, s[8:9]
	v_accvgpr_write_b32 a37, v0
; %bb.486:                              ;   in Loop: Header=BB358_13 Depth=1
	s_or_b64 exec, exec, s[30:31]
	v_lshrrev_b16_e32 v60, 8, v58
	v_cmp_ne_u16_e64 s[8:9], 0, v60
	v_mov_b32_e32 v0, 0
	s_and_saveexec_b64 s[30:31], s[8:9]
	s_cbranch_execz .LBB358_492
; %bb.487:                              ;   in Loop: Header=BB358_13 Depth=1
	v_cmp_ne_u16_e64 s[8:9], s39, v60
	v_bfrev_b32_e32 v0, 1
	s_and_saveexec_b64 s[34:35], s[8:9]
	s_cbranch_execz .LBB358_491
; %bb.488:                              ;   in Loop: Header=BB358_13 Depth=1
	v_and_b32_e32 v1, 0x7f, v60
	v_cmp_ne_u32_e64 s[8:9], s40, v1
	v_mov_b32_e32 v0, 0x7f800001
	s_and_saveexec_b64 s[36:37], s[8:9]
	s_cbranch_execz .LBB358_490
; %bb.489:                              ;   in Loop: Header=BB358_13 Depth=1
	v_and_b32_e32 v3, 7, v60
	v_ffbh_u32_e32 v0, v3
	v_min_u32_e32 v13, 32, v0
	v_subrev_u32_e32 v0, 28, v13
	v_lshrrev_b32_e32 v4, 3, v1
	v_cmp_gt_u32_e64 s[8:9], 8, v1
	v_lshlrev_b64 v[0:1], v0, v[60:61]
	v_sub_u32_e32 v1, 29, v13
	v_and_b32_e32 v0, 7, v0
	v_cndmask_b32_e64 v1, v4, v1, s[8:9]
	v_cndmask_b32_e64 v0, v3, v0, s[8:9]
	v_lshlrev_b32_e32 v3, 16, v58
	v_bfrev_b32_e32 v2, 60
	v_lshlrev_b32_e32 v0, 20, v0
	v_and_b32_e32 v3, 0x80000000, v3
	v_lshl_add_u32 v1, v1, 23, v2
	v_or3_b32 v0, v3, v1, v0
.LBB358_490:                            ;   in Loop: Header=BB358_13 Depth=1
	s_or_b64 exec, exec, s[36:37]
.LBB358_491:                            ;   in Loop: Header=BB358_13 Depth=1
	s_or_b64 exec, exec, s[34:35]
.LBB358_492:                            ;   in Loop: Header=BB358_13 Depth=1
	s_or_b64 exec, exec, s[30:31]
	v_mul_f32_e32 v0, v5, v0
	v_and_b32_e32 v1, 0x7f800000, v0
	v_cmp_ne_u32_e64 s[8:9], s41, v1
                                        ; implicit-def: $agpr38
	s_and_saveexec_b64 s[30:31], s[8:9]
	s_xor_b64 s[8:9], exec, s[30:31]
; %bb.493:                              ;   in Loop: Header=BB358_13 Depth=1
	v_bfe_u32 v1, v0, 16, 1
	v_add3_u32 v0, v0, v1, s42
	v_accvgpr_write_b32 a38, v0
                                        ; implicit-def: $vgpr0
; %bb.494:                              ;   in Loop: Header=BB358_13 Depth=1
	s_andn2_saveexec_b64 s[30:31], s[8:9]
; %bb.495:                              ;   in Loop: Header=BB358_13 Depth=1
	v_or_b32_e32 v1, 0x10000, v0
	v_cmp_eq_u32_sdwa s[8:9], v0, v41 src0_sel:WORD_0 src1_sel:DWORD
	v_cndmask_b32_e64 v0, v1, v0, s[8:9]
	v_accvgpr_write_b32 a38, v0
; %bb.496:                              ;   in Loop: Header=BB358_13 Depth=1
	s_or_b64 exec, exec, s[30:31]
	flat_load_ushort v0, v[56:57] offset:3072
	s_waitcnt vmcnt(0) lgkmcnt(0)
	v_and_b32_e32 v58, 0xffff, v0
	v_cmp_ne_u16_sdwa s[8:9], v0, v41 src0_sel:BYTE_0 src1_sel:DWORD
	v_mov_b32_e32 v0, 0
	s_and_saveexec_b64 s[30:31], s[8:9]
	s_cbranch_execz .LBB358_502
; %bb.497:                              ;   in Loop: Header=BB358_13 Depth=1
	v_cmp_ne_u16_sdwa s[8:9], v58, s39 src0_sel:BYTE_0 src1_sel:DWORD
	v_bfrev_b32_e32 v0, 1
	s_and_saveexec_b64 s[34:35], s[8:9]
	s_cbranch_execz .LBB358_501
; %bb.498:                              ;   in Loop: Header=BB358_13 Depth=1
	v_and_b32_e32 v1, 0x7f, v58
	v_cmp_ne_u32_e64 s[8:9], s40, v1
	v_mov_b32_e32 v0, 0x7f800001
	s_and_saveexec_b64 s[36:37], s[8:9]
	s_cbranch_execz .LBB358_500
; %bb.499:                              ;   in Loop: Header=BB358_13 Depth=1
	v_and_b32_e32 v3, 7, v58
	v_ffbh_u32_e32 v0, v3
	v_min_u32_e32 v13, 32, v0
	v_subrev_u32_e32 v0, 28, v13
	v_lshrrev_b32_e32 v4, 3, v1
	v_cmp_gt_u32_e64 s[8:9], 8, v1
	v_lshlrev_b64 v[0:1], v0, v[58:59]
	v_sub_u32_e32 v1, 29, v13
	v_and_b32_e32 v0, 7, v0
	v_cndmask_b32_e64 v1, v4, v1, s[8:9]
	v_cndmask_b32_e64 v0, v3, v0, s[8:9]
	v_lshlrev_b32_e32 v3, 24, v58
	v_bfrev_b32_e32 v2, 60
	v_lshlrev_b32_e32 v0, 20, v0
	v_and_b32_e32 v3, 0x80000000, v3
	v_lshl_add_u32 v1, v1, 23, v2
	v_or3_b32 v0, v3, v1, v0
.LBB358_500:                            ;   in Loop: Header=BB358_13 Depth=1
	s_or_b64 exec, exec, s[36:37]
.LBB358_501:                            ;   in Loop: Header=BB358_13 Depth=1
	s_or_b64 exec, exec, s[34:35]
.LBB358_502:                            ;   in Loop: Header=BB358_13 Depth=1
	s_or_b64 exec, exec, s[30:31]
	v_mul_f32_e32 v0, v5, v0
	v_and_b32_e32 v1, 0x7f800000, v0
	v_cmp_ne_u32_e64 s[8:9], s41, v1
                                        ; implicit-def: $agpr39
	s_and_saveexec_b64 s[30:31], s[8:9]
	s_xor_b64 s[8:9], exec, s[30:31]
; %bb.503:                              ;   in Loop: Header=BB358_13 Depth=1
	v_bfe_u32 v1, v0, 16, 1
	v_add3_u32 v0, v0, v1, s42
	v_accvgpr_write_b32 a39, v0
                                        ; implicit-def: $vgpr0
; %bb.504:                              ;   in Loop: Header=BB358_13 Depth=1
	s_andn2_saveexec_b64 s[30:31], s[8:9]
; %bb.505:                              ;   in Loop: Header=BB358_13 Depth=1
	v_or_b32_e32 v1, 0x10000, v0
	v_cmp_eq_u32_sdwa s[8:9], v0, v41 src0_sel:WORD_0 src1_sel:DWORD
	v_cndmask_b32_e64 v0, v1, v0, s[8:9]
	v_accvgpr_write_b32 a39, v0
; %bb.506:                              ;   in Loop: Header=BB358_13 Depth=1
	s_or_b64 exec, exec, s[30:31]
	v_lshrrev_b16_e32 v60, 8, v58
	v_cmp_ne_u16_e64 s[8:9], 0, v60
	v_mov_b32_e32 v0, 0
	s_and_saveexec_b64 s[30:31], s[8:9]
	s_cbranch_execz .LBB358_512
; %bb.507:                              ;   in Loop: Header=BB358_13 Depth=1
	v_cmp_ne_u16_e64 s[8:9], s39, v60
	v_bfrev_b32_e32 v0, 1
	s_and_saveexec_b64 s[34:35], s[8:9]
	s_cbranch_execz .LBB358_511
; %bb.508:                              ;   in Loop: Header=BB358_13 Depth=1
	v_and_b32_e32 v1, 0x7f, v60
	v_cmp_ne_u32_e64 s[8:9], s40, v1
	v_mov_b32_e32 v0, 0x7f800001
	s_and_saveexec_b64 s[36:37], s[8:9]
	s_cbranch_execz .LBB358_510
; %bb.509:                              ;   in Loop: Header=BB358_13 Depth=1
	v_and_b32_e32 v3, 7, v60
	v_ffbh_u32_e32 v0, v3
	v_min_u32_e32 v15, 32, v0
	v_subrev_u32_e32 v0, 28, v15
	v_lshrrev_b32_e32 v13, 3, v1
	v_cmp_gt_u32_e64 s[8:9], 8, v1
	v_lshlrev_b64 v[0:1], v0, v[60:61]
	v_sub_u32_e32 v1, 29, v15
	v_and_b32_e32 v0, 7, v0
	v_cndmask_b32_e64 v1, v13, v1, s[8:9]
	v_cndmask_b32_e64 v0, v3, v0, s[8:9]
	v_lshlrev_b32_e32 v3, 16, v58
	v_bfrev_b32_e32 v2, 60
	v_lshlrev_b32_e32 v0, 20, v0
	v_and_b32_e32 v3, 0x80000000, v3
	v_lshl_add_u32 v1, v1, 23, v2
	v_or3_b32 v0, v3, v1, v0
.LBB358_510:                            ;   in Loop: Header=BB358_13 Depth=1
	s_or_b64 exec, exec, s[36:37]
.LBB358_511:                            ;   in Loop: Header=BB358_13 Depth=1
	s_or_b64 exec, exec, s[34:35]
.LBB358_512:                            ;   in Loop: Header=BB358_13 Depth=1
	s_or_b64 exec, exec, s[30:31]
	v_mul_f32_e32 v0, v5, v0
	v_and_b32_e32 v1, 0x7f800000, v0
	v_cmp_ne_u32_e64 s[8:9], s41, v1
                                        ; implicit-def: $agpr40
	s_and_saveexec_b64 s[30:31], s[8:9]
	s_xor_b64 s[8:9], exec, s[30:31]
; %bb.513:                              ;   in Loop: Header=BB358_13 Depth=1
	v_bfe_u32 v1, v0, 16, 1
	v_add3_u32 v0, v0, v1, s42
	v_accvgpr_write_b32 a40, v0
                                        ; implicit-def: $vgpr0
; %bb.514:                              ;   in Loop: Header=BB358_13 Depth=1
	s_andn2_saveexec_b64 s[30:31], s[8:9]
; %bb.515:                              ;   in Loop: Header=BB358_13 Depth=1
	v_or_b32_e32 v1, 0x10000, v0
	v_cmp_eq_u32_sdwa s[8:9], v0, v41 src0_sel:WORD_0 src1_sel:DWORD
	v_cndmask_b32_e64 v0, v1, v0, s[8:9]
	v_accvgpr_write_b32 a40, v0
; %bb.516:                              ;   in Loop: Header=BB358_13 Depth=1
	s_or_b64 exec, exec, s[30:31]
	flat_load_ushort v0, v[56:57] offset:3080
	s_waitcnt vmcnt(0) lgkmcnt(0)
	v_and_b32_e32 v58, 0xffff, v0
	v_cmp_ne_u16_sdwa s[8:9], v0, v41 src0_sel:BYTE_0 src1_sel:DWORD
	v_mov_b32_e32 v0, 0
	s_and_saveexec_b64 s[30:31], s[8:9]
	s_cbranch_execz .LBB358_522
; %bb.517:                              ;   in Loop: Header=BB358_13 Depth=1
	v_cmp_ne_u16_sdwa s[8:9], v58, s39 src0_sel:BYTE_0 src1_sel:DWORD
	v_bfrev_b32_e32 v0, 1
	s_and_saveexec_b64 s[34:35], s[8:9]
	s_cbranch_execz .LBB358_521
; %bb.518:                              ;   in Loop: Header=BB358_13 Depth=1
	v_and_b32_e32 v1, 0x7f, v58
	v_cmp_ne_u32_e64 s[8:9], s40, v1
	v_mov_b32_e32 v0, 0x7f800001
	s_and_saveexec_b64 s[36:37], s[8:9]
	s_cbranch_execz .LBB358_520
; %bb.519:                              ;   in Loop: Header=BB358_13 Depth=1
	v_and_b32_e32 v13, 7, v58
	v_ffbh_u32_e32 v0, v13
	v_min_u32_e32 v24, 32, v0
	v_subrev_u32_e32 v0, 28, v24
	v_lshrrev_b32_e32 v15, 3, v1
	v_cmp_gt_u32_e64 s[8:9], 8, v1
	v_lshlrev_b64 v[0:1], v0, v[58:59]
	v_sub_u32_e32 v1, 29, v24
	v_and_b32_e32 v0, 7, v0
	v_cndmask_b32_e64 v1, v15, v1, s[8:9]
	v_cndmask_b32_e64 v0, v13, v0, s[8:9]
	v_lshlrev_b32_e32 v13, 24, v58
	v_bfrev_b32_e32 v2, 60
	v_lshlrev_b32_e32 v0, 20, v0
	v_and_b32_e32 v13, 0x80000000, v13
	v_lshl_add_u32 v1, v1, 23, v2
	v_or3_b32 v0, v13, v1, v0
.LBB358_520:                            ;   in Loop: Header=BB358_13 Depth=1
	s_or_b64 exec, exec, s[36:37]
.LBB358_521:                            ;   in Loop: Header=BB358_13 Depth=1
	s_or_b64 exec, exec, s[34:35]
.LBB358_522:                            ;   in Loop: Header=BB358_13 Depth=1
	s_or_b64 exec, exec, s[30:31]
	v_mul_f32_e32 v0, v5, v0
	v_and_b32_e32 v1, 0x7f800000, v0
	v_cmp_ne_u32_e64 s[8:9], s41, v1
                                        ; implicit-def: $agpr32
	s_and_saveexec_b64 s[30:31], s[8:9]
	s_xor_b64 s[8:9], exec, s[30:31]
; %bb.523:                              ;   in Loop: Header=BB358_13 Depth=1
	v_bfe_u32 v1, v0, 16, 1
	v_add3_u32 v0, v0, v1, s42
	v_accvgpr_write_b32 a32, v0
                                        ; implicit-def: $vgpr0
; %bb.524:                              ;   in Loop: Header=BB358_13 Depth=1
	s_andn2_saveexec_b64 s[30:31], s[8:9]
; %bb.525:                              ;   in Loop: Header=BB358_13 Depth=1
	v_or_b32_e32 v1, 0x10000, v0
	v_cmp_eq_u32_sdwa s[8:9], v0, v41 src0_sel:WORD_0 src1_sel:DWORD
	v_cndmask_b32_e64 v0, v1, v0, s[8:9]
	v_accvgpr_write_b32 a32, v0
; %bb.526:                              ;   in Loop: Header=BB358_13 Depth=1
	s_or_b64 exec, exec, s[30:31]
	v_lshrrev_b16_e32 v60, 8, v58
	v_cmp_ne_u16_e64 s[8:9], 0, v60
	v_mov_b32_e32 v0, 0
	s_and_saveexec_b64 s[30:31], s[8:9]
	s_cbranch_execz .LBB358_532
; %bb.527:                              ;   in Loop: Header=BB358_13 Depth=1
	v_cmp_ne_u16_e64 s[8:9], s39, v60
	v_bfrev_b32_e32 v0, 1
	s_and_saveexec_b64 s[34:35], s[8:9]
	s_cbranch_execz .LBB358_531
; %bb.528:                              ;   in Loop: Header=BB358_13 Depth=1
	v_and_b32_e32 v1, 0x7f, v60
	v_cmp_ne_u32_e64 s[8:9], s40, v1
	v_mov_b32_e32 v0, 0x7f800001
	s_and_saveexec_b64 s[36:37], s[8:9]
	s_cbranch_execz .LBB358_530
; %bb.529:                              ;   in Loop: Header=BB358_13 Depth=1
	v_and_b32_e32 v13, 7, v60
	v_ffbh_u32_e32 v0, v13
	v_min_u32_e32 v24, 32, v0
	v_subrev_u32_e32 v0, 28, v24
	v_lshrrev_b32_e32 v15, 3, v1
	v_cmp_gt_u32_e64 s[8:9], 8, v1
	v_lshlrev_b64 v[0:1], v0, v[60:61]
	v_sub_u32_e32 v1, 29, v24
	v_and_b32_e32 v0, 7, v0
	v_cndmask_b32_e64 v1, v15, v1, s[8:9]
	v_cndmask_b32_e64 v0, v13, v0, s[8:9]
	v_lshlrev_b32_e32 v13, 16, v58
	v_bfrev_b32_e32 v2, 60
	v_lshlrev_b32_e32 v0, 20, v0
	v_and_b32_e32 v13, 0x80000000, v13
	v_lshl_add_u32 v1, v1, 23, v2
	v_or3_b32 v0, v13, v1, v0
.LBB358_530:                            ;   in Loop: Header=BB358_13 Depth=1
	s_or_b64 exec, exec, s[36:37]
.LBB358_531:                            ;   in Loop: Header=BB358_13 Depth=1
	s_or_b64 exec, exec, s[34:35]
.LBB358_532:                            ;   in Loop: Header=BB358_13 Depth=1
	s_or_b64 exec, exec, s[30:31]
	v_mul_f32_e32 v0, v5, v0
	v_and_b32_e32 v1, 0x7f800000, v0
	v_cmp_ne_u32_e64 s[8:9], s41, v1
                                        ; implicit-def: $agpr33
	s_and_saveexec_b64 s[30:31], s[8:9]
	s_xor_b64 s[8:9], exec, s[30:31]
; %bb.533:                              ;   in Loop: Header=BB358_13 Depth=1
	v_bfe_u32 v1, v0, 16, 1
	v_add3_u32 v0, v0, v1, s42
	v_accvgpr_write_b32 a33, v0
                                        ; implicit-def: $vgpr0
; %bb.534:                              ;   in Loop: Header=BB358_13 Depth=1
	s_andn2_saveexec_b64 s[30:31], s[8:9]
; %bb.535:                              ;   in Loop: Header=BB358_13 Depth=1
	v_or_b32_e32 v1, 0x10000, v0
	v_cmp_eq_u32_sdwa s[8:9], v0, v41 src0_sel:WORD_0 src1_sel:DWORD
	v_cndmask_b32_e64 v0, v1, v0, s[8:9]
	v_accvgpr_write_b32 a33, v0
; %bb.536:                              ;   in Loop: Header=BB358_13 Depth=1
	s_or_b64 exec, exec, s[30:31]
	flat_load_ushort v0, v[56:57] offset:3328
	s_waitcnt vmcnt(0) lgkmcnt(0)
	v_and_b32_e32 v58, 0xffff, v0
	v_cmp_ne_u16_sdwa s[8:9], v0, v41 src0_sel:BYTE_0 src1_sel:DWORD
	v_mov_b32_e32 v0, 0
	s_and_saveexec_b64 s[30:31], s[8:9]
	s_cbranch_execz .LBB358_542
; %bb.537:                              ;   in Loop: Header=BB358_13 Depth=1
	v_cmp_ne_u16_sdwa s[8:9], v58, s39 src0_sel:BYTE_0 src1_sel:DWORD
	v_bfrev_b32_e32 v0, 1
	s_and_saveexec_b64 s[34:35], s[8:9]
	s_cbranch_execz .LBB358_541
; %bb.538:                              ;   in Loop: Header=BB358_13 Depth=1
	v_and_b32_e32 v1, 0x7f, v58
	v_cmp_ne_u32_e64 s[8:9], s40, v1
	v_mov_b32_e32 v0, 0x7f800001
	s_and_saveexec_b64 s[36:37], s[8:9]
	s_cbranch_execz .LBB358_540
; %bb.539:                              ;   in Loop: Header=BB358_13 Depth=1
	v_and_b32_e32 v15, 7, v58
	v_ffbh_u32_e32 v0, v15
	v_min_u32_e32 v25, 32, v0
	v_subrev_u32_e32 v0, 28, v25
	v_lshrrev_b32_e32 v24, 3, v1
	v_cmp_gt_u32_e64 s[8:9], 8, v1
	v_lshlrev_b64 v[0:1], v0, v[58:59]
	v_sub_u32_e32 v1, 29, v25
	v_and_b32_e32 v0, 7, v0
	v_cndmask_b32_e64 v1, v24, v1, s[8:9]
	v_cndmask_b32_e64 v0, v15, v0, s[8:9]
	v_lshlrev_b32_e32 v15, 24, v58
	v_bfrev_b32_e32 v2, 60
	v_lshlrev_b32_e32 v0, 20, v0
	v_and_b32_e32 v15, 0x80000000, v15
	v_lshl_add_u32 v1, v1, 23, v2
	v_or3_b32 v0, v15, v1, v0
.LBB358_540:                            ;   in Loop: Header=BB358_13 Depth=1
	s_or_b64 exec, exec, s[36:37]
.LBB358_541:                            ;   in Loop: Header=BB358_13 Depth=1
	s_or_b64 exec, exec, s[34:35]
.LBB358_542:                            ;   in Loop: Header=BB358_13 Depth=1
	s_or_b64 exec, exec, s[30:31]
	v_mul_f32_e32 v0, v5, v0
	v_and_b32_e32 v1, 0x7f800000, v0
	v_cmp_ne_u32_e64 s[8:9], s41, v1
                                        ; implicit-def: $agpr10
	s_and_saveexec_b64 s[30:31], s[8:9]
	s_xor_b64 s[8:9], exec, s[30:31]
; %bb.543:                              ;   in Loop: Header=BB358_13 Depth=1
	v_bfe_u32 v1, v0, 16, 1
	v_add3_u32 v0, v0, v1, s42
	v_accvgpr_write_b32 a10, v0
                                        ; implicit-def: $vgpr0
; %bb.544:                              ;   in Loop: Header=BB358_13 Depth=1
	s_andn2_saveexec_b64 s[30:31], s[8:9]
; %bb.545:                              ;   in Loop: Header=BB358_13 Depth=1
	v_or_b32_e32 v1, 0x10000, v0
	v_cmp_eq_u32_sdwa s[8:9], v0, v41 src0_sel:WORD_0 src1_sel:DWORD
	v_cndmask_b32_e64 v0, v1, v0, s[8:9]
	v_accvgpr_write_b32 a10, v0
; %bb.546:                              ;   in Loop: Header=BB358_13 Depth=1
	s_or_b64 exec, exec, s[30:31]
	v_lshrrev_b16_e32 v60, 8, v58
	v_cmp_ne_u16_e64 s[8:9], 0, v60
	v_mov_b32_e32 v0, 0
	s_and_saveexec_b64 s[30:31], s[8:9]
	s_cbranch_execz .LBB358_552
; %bb.547:                              ;   in Loop: Header=BB358_13 Depth=1
	v_cmp_ne_u16_e64 s[8:9], s39, v60
	v_bfrev_b32_e32 v0, 1
	s_and_saveexec_b64 s[34:35], s[8:9]
	s_cbranch_execz .LBB358_551
; %bb.548:                              ;   in Loop: Header=BB358_13 Depth=1
	v_and_b32_e32 v1, 0x7f, v60
	v_cmp_ne_u32_e64 s[8:9], s40, v1
	v_mov_b32_e32 v0, 0x7f800001
	s_and_saveexec_b64 s[36:37], s[8:9]
	s_cbranch_execz .LBB358_550
; %bb.549:                              ;   in Loop: Header=BB358_13 Depth=1
	v_and_b32_e32 v15, 7, v60
	v_ffbh_u32_e32 v0, v15
	v_min_u32_e32 v25, 32, v0
	v_subrev_u32_e32 v0, 28, v25
	v_lshrrev_b32_e32 v24, 3, v1
	v_cmp_gt_u32_e64 s[8:9], 8, v1
	v_lshlrev_b64 v[0:1], v0, v[60:61]
	v_sub_u32_e32 v1, 29, v25
	v_and_b32_e32 v0, 7, v0
	v_cndmask_b32_e64 v1, v24, v1, s[8:9]
	v_cndmask_b32_e64 v0, v15, v0, s[8:9]
	v_lshlrev_b32_e32 v15, 16, v58
	v_bfrev_b32_e32 v2, 60
	v_lshlrev_b32_e32 v0, 20, v0
	v_and_b32_e32 v15, 0x80000000, v15
	v_lshl_add_u32 v1, v1, 23, v2
	v_or3_b32 v0, v15, v1, v0
.LBB358_550:                            ;   in Loop: Header=BB358_13 Depth=1
	s_or_b64 exec, exec, s[36:37]
.LBB358_551:                            ;   in Loop: Header=BB358_13 Depth=1
	s_or_b64 exec, exec, s[34:35]
.LBB358_552:                            ;   in Loop: Header=BB358_13 Depth=1
	s_or_b64 exec, exec, s[30:31]
	v_mul_f32_e32 v1, v5, v0
	v_and_b32_e32 v0, 0x7f800000, v1
	v_cmp_ne_u32_e64 s[8:9], s41, v0
                                        ; implicit-def: $agpr42
	s_and_saveexec_b64 s[30:31], s[8:9]
	s_xor_b64 s[8:9], exec, s[30:31]
; %bb.553:                              ;   in Loop: Header=BB358_13 Depth=1
	v_bfe_u32 v0, v1, 16, 1
	v_add3_u32 v0, v1, v0, s42
	v_accvgpr_write_b32 a42, v0
                                        ; implicit-def: $vgpr1
; %bb.554:                              ;   in Loop: Header=BB358_13 Depth=1
	s_andn2_saveexec_b64 s[30:31], s[8:9]
; %bb.555:                              ;   in Loop: Header=BB358_13 Depth=1
	v_or_b32_e32 v0, 0x10000, v1
	v_cmp_eq_u32_sdwa s[8:9], v1, v41 src0_sel:WORD_0 src1_sel:DWORD
	v_cndmask_b32_e64 v0, v0, v1, s[8:9]
	v_accvgpr_write_b32 a42, v0
; %bb.556:                              ;   in Loop: Header=BB358_13 Depth=1
	s_or_b64 exec, exec, s[30:31]
	flat_load_ushort v1, v[56:57] offset:3336
	s_waitcnt vmcnt(0) lgkmcnt(0)
	v_and_b32_e32 v58, 0xffff, v1
	v_cmp_ne_u16_sdwa s[8:9], v1, v41 src0_sel:BYTE_0 src1_sel:DWORD
	v_mov_b32_e32 v1, 0
	s_and_saveexec_b64 s[30:31], s[8:9]
	s_cbranch_execz .LBB358_562
; %bb.557:                              ;   in Loop: Header=BB358_13 Depth=1
	v_cmp_ne_u16_sdwa s[8:9], v58, s39 src0_sel:BYTE_0 src1_sel:DWORD
	v_bfrev_b32_e32 v1, 1
	s_and_saveexec_b64 s[34:35], s[8:9]
	s_cbranch_execz .LBB358_561
; %bb.558:                              ;   in Loop: Header=BB358_13 Depth=1
	v_and_b32_e32 v24, 0x7f, v58
	v_cmp_ne_u32_e64 s[8:9], s40, v24
	v_mov_b32_e32 v1, 0x7f800001
	s_and_saveexec_b64 s[36:37], s[8:9]
	s_cbranch_execz .LBB358_560
; %bb.559:                              ;   in Loop: Header=BB358_13 Depth=1
	v_and_b32_e32 v1, 7, v58
	v_lshrrev_b32_e32 v15, 3, v24
	v_cmp_gt_u32_e64 s[8:9], 8, v24
	v_ffbh_u32_e32 v24, v1
	v_min_u32_e32 v26, 32, v24
	v_subrev_u32_e32 v24, 28, v26
	v_lshlrev_b64 v[24:25], v24, v[58:59]
	v_sub_u32_e32 v25, 29, v26
	v_and_b32_e32 v24, 7, v24
	v_cndmask_b32_e64 v15, v15, v25, s[8:9]
	v_cndmask_b32_e64 v1, v1, v24, s[8:9]
	v_lshlrev_b32_e32 v24, 24, v58
	v_bfrev_b32_e32 v0, 60
	v_lshlrev_b32_e32 v1, 20, v1
	v_and_b32_e32 v24, 0x80000000, v24
	v_lshl_add_u32 v15, v15, 23, v0
	v_or3_b32 v1, v24, v15, v1
.LBB358_560:                            ;   in Loop: Header=BB358_13 Depth=1
	s_or_b64 exec, exec, s[36:37]
.LBB358_561:                            ;   in Loop: Header=BB358_13 Depth=1
	s_or_b64 exec, exec, s[34:35]
.LBB358_562:                            ;   in Loop: Header=BB358_13 Depth=1
	s_or_b64 exec, exec, s[30:31]
	v_mul_f32_e32 v1, v5, v1
	v_and_b32_e32 v15, 0x7f800000, v1
	v_cmp_ne_u32_e64 s[8:9], s41, v15
                                        ; implicit-def: $agpr3
	s_and_saveexec_b64 s[30:31], s[8:9]
	s_xor_b64 s[8:9], exec, s[30:31]
; %bb.563:                              ;   in Loop: Header=BB358_13 Depth=1
	v_bfe_u32 v15, v1, 16, 1
	v_add3_u32 v0, v1, v15, s42
	v_accvgpr_write_b32 a3, v0
                                        ; implicit-def: $vgpr1
; %bb.564:                              ;   in Loop: Header=BB358_13 Depth=1
	s_andn2_saveexec_b64 s[30:31], s[8:9]
; %bb.565:                              ;   in Loop: Header=BB358_13 Depth=1
	v_or_b32_e32 v15, 0x10000, v1
	v_cmp_eq_u32_sdwa s[8:9], v1, v41 src0_sel:WORD_0 src1_sel:DWORD
	v_cndmask_b32_e64 v0, v15, v1, s[8:9]
	v_accvgpr_write_b32 a3, v0
; %bb.566:                              ;   in Loop: Header=BB358_13 Depth=1
	s_or_b64 exec, exec, s[30:31]
	v_lshrrev_b16_e32 v60, 8, v58
	v_cmp_ne_u16_e64 s[8:9], 0, v60
	v_mov_b32_e32 v1, 0
	s_and_saveexec_b64 s[30:31], s[8:9]
	s_cbranch_execz .LBB358_572
; %bb.567:                              ;   in Loop: Header=BB358_13 Depth=1
	v_cmp_ne_u16_e64 s[8:9], s39, v60
	v_bfrev_b32_e32 v1, 1
	s_and_saveexec_b64 s[34:35], s[8:9]
	s_cbranch_execz .LBB358_571
; %bb.568:                              ;   in Loop: Header=BB358_13 Depth=1
	v_and_b32_e32 v24, 0x7f, v60
	v_cmp_ne_u32_e64 s[8:9], s40, v24
	v_mov_b32_e32 v1, 0x7f800001
	s_and_saveexec_b64 s[36:37], s[8:9]
	s_cbranch_execz .LBB358_570
; %bb.569:                              ;   in Loop: Header=BB358_13 Depth=1
	v_and_b32_e32 v1, 7, v60
	v_lshrrev_b32_e32 v15, 3, v24
	v_cmp_gt_u32_e64 s[8:9], 8, v24
	v_ffbh_u32_e32 v24, v1
	v_min_u32_e32 v26, 32, v24
	v_subrev_u32_e32 v24, 28, v26
	v_lshlrev_b64 v[24:25], v24, v[60:61]
	v_sub_u32_e32 v25, 29, v26
	v_and_b32_e32 v24, 7, v24
	v_cndmask_b32_e64 v15, v15, v25, s[8:9]
	v_cndmask_b32_e64 v1, v1, v24, s[8:9]
	v_lshlrev_b32_e32 v24, 16, v58
	v_bfrev_b32_e32 v0, 60
	v_lshlrev_b32_e32 v1, 20, v1
	v_and_b32_e32 v24, 0x80000000, v24
	v_lshl_add_u32 v15, v15, 23, v0
	v_or3_b32 v1, v24, v15, v1
.LBB358_570:                            ;   in Loop: Header=BB358_13 Depth=1
	s_or_b64 exec, exec, s[36:37]
.LBB358_571:                            ;   in Loop: Header=BB358_13 Depth=1
	s_or_b64 exec, exec, s[34:35]
.LBB358_572:                            ;   in Loop: Header=BB358_13 Depth=1
	s_or_b64 exec, exec, s[30:31]
	v_mul_f32_e32 v1, v5, v1
	v_and_b32_e32 v15, 0x7f800000, v1
	v_cmp_ne_u32_e64 s[8:9], s41, v15
                                        ; implicit-def: $agpr53
	s_and_saveexec_b64 s[30:31], s[8:9]
	s_xor_b64 s[8:9], exec, s[30:31]
; %bb.573:                              ;   in Loop: Header=BB358_13 Depth=1
	v_bfe_u32 v15, v1, 16, 1
	v_add3_u32 v0, v1, v15, s42
	v_accvgpr_write_b32 a53, v0
                                        ; implicit-def: $vgpr1
; %bb.574:                              ;   in Loop: Header=BB358_13 Depth=1
	s_andn2_saveexec_b64 s[30:31], s[8:9]
; %bb.575:                              ;   in Loop: Header=BB358_13 Depth=1
	v_or_b32_e32 v15, 0x10000, v1
	v_cmp_eq_u32_sdwa s[8:9], v1, v41 src0_sel:WORD_0 src1_sel:DWORD
	v_cndmask_b32_e64 v0, v15, v1, s[8:9]
	v_accvgpr_write_b32 a53, v0
; %bb.576:                              ;   in Loop: Header=BB358_13 Depth=1
	s_or_b64 exec, exec, s[30:31]
	flat_load_ushort v1, v[56:57] offset:3584
	s_waitcnt vmcnt(0) lgkmcnt(0)
	v_and_b32_e32 v58, 0xffff, v1
	v_cmp_ne_u16_sdwa s[8:9], v1, v41 src0_sel:BYTE_0 src1_sel:DWORD
	v_mov_b32_e32 v1, 0
	s_and_saveexec_b64 s[30:31], s[8:9]
	s_cbranch_execz .LBB358_582
; %bb.577:                              ;   in Loop: Header=BB358_13 Depth=1
	v_cmp_ne_u16_sdwa s[8:9], v58, s39 src0_sel:BYTE_0 src1_sel:DWORD
	v_bfrev_b32_e32 v1, 1
	s_and_saveexec_b64 s[34:35], s[8:9]
	s_cbranch_execz .LBB358_581
; %bb.578:                              ;   in Loop: Header=BB358_13 Depth=1
	v_and_b32_e32 v24, 0x7f, v58
	v_cmp_ne_u32_e64 s[8:9], s40, v24
	v_mov_b32_e32 v1, 0x7f800001
	s_and_saveexec_b64 s[36:37], s[8:9]
	s_cbranch_execz .LBB358_580
; %bb.579:                              ;   in Loop: Header=BB358_13 Depth=1
	v_and_b32_e32 v1, 7, v58
	v_lshrrev_b32_e32 v15, 3, v24
	v_cmp_gt_u32_e64 s[8:9], 8, v24
	v_ffbh_u32_e32 v24, v1
	v_min_u32_e32 v26, 32, v24
	v_subrev_u32_e32 v24, 28, v26
	v_lshlrev_b64 v[24:25], v24, v[58:59]
	v_sub_u32_e32 v25, 29, v26
	v_and_b32_e32 v24, 7, v24
	v_cndmask_b32_e64 v15, v15, v25, s[8:9]
	v_cndmask_b32_e64 v1, v1, v24, s[8:9]
	v_lshlrev_b32_e32 v24, 24, v58
	v_bfrev_b32_e32 v0, 60
	v_lshlrev_b32_e32 v1, 20, v1
	v_and_b32_e32 v24, 0x80000000, v24
	v_lshl_add_u32 v15, v15, 23, v0
	v_or3_b32 v1, v24, v15, v1
.LBB358_580:                            ;   in Loop: Header=BB358_13 Depth=1
	s_or_b64 exec, exec, s[36:37]
.LBB358_581:                            ;   in Loop: Header=BB358_13 Depth=1
	s_or_b64 exec, exec, s[34:35]
.LBB358_582:                            ;   in Loop: Header=BB358_13 Depth=1
	s_or_b64 exec, exec, s[30:31]
	v_mul_f32_e32 v1, v5, v1
	v_and_b32_e32 v15, 0x7f800000, v1
	v_cmp_ne_u32_e64 s[8:9], s41, v15
                                        ; implicit-def: $agpr52
	s_and_saveexec_b64 s[30:31], s[8:9]
	s_xor_b64 s[8:9], exec, s[30:31]
; %bb.583:                              ;   in Loop: Header=BB358_13 Depth=1
	v_bfe_u32 v15, v1, 16, 1
	v_add3_u32 v0, v1, v15, s42
	v_accvgpr_write_b32 a52, v0
                                        ; implicit-def: $vgpr1
; %bb.584:                              ;   in Loop: Header=BB358_13 Depth=1
	s_andn2_saveexec_b64 s[30:31], s[8:9]
; %bb.585:                              ;   in Loop: Header=BB358_13 Depth=1
	v_or_b32_e32 v15, 0x10000, v1
	v_cmp_eq_u32_sdwa s[8:9], v1, v41 src0_sel:WORD_0 src1_sel:DWORD
	v_cndmask_b32_e64 v0, v15, v1, s[8:9]
	v_accvgpr_write_b32 a52, v0
; %bb.586:                              ;   in Loop: Header=BB358_13 Depth=1
	s_or_b64 exec, exec, s[30:31]
	v_lshrrev_b16_e32 v60, 8, v58
	v_cmp_ne_u16_e64 s[8:9], 0, v60
	v_mov_b32_e32 v1, 0
	s_and_saveexec_b64 s[30:31], s[8:9]
	s_cbranch_execz .LBB358_592
; %bb.587:                              ;   in Loop: Header=BB358_13 Depth=1
	v_cmp_ne_u16_e64 s[8:9], s39, v60
	v_bfrev_b32_e32 v1, 1
	s_and_saveexec_b64 s[34:35], s[8:9]
	s_cbranch_execz .LBB358_591
; %bb.588:                              ;   in Loop: Header=BB358_13 Depth=1
	v_and_b32_e32 v24, 0x7f, v60
	v_cmp_ne_u32_e64 s[8:9], s40, v24
	v_mov_b32_e32 v1, 0x7f800001
	s_and_saveexec_b64 s[36:37], s[8:9]
	s_cbranch_execz .LBB358_590
; %bb.589:                              ;   in Loop: Header=BB358_13 Depth=1
	v_and_b32_e32 v1, 7, v60
	v_lshrrev_b32_e32 v15, 3, v24
	v_cmp_gt_u32_e64 s[8:9], 8, v24
	v_ffbh_u32_e32 v24, v1
	v_min_u32_e32 v26, 32, v24
	v_subrev_u32_e32 v24, 28, v26
	v_lshlrev_b64 v[24:25], v24, v[60:61]
	v_sub_u32_e32 v25, 29, v26
	v_and_b32_e32 v24, 7, v24
	v_cndmask_b32_e64 v15, v15, v25, s[8:9]
	v_cndmask_b32_e64 v1, v1, v24, s[8:9]
	v_lshlrev_b32_e32 v24, 16, v58
	v_bfrev_b32_e32 v0, 60
	v_lshlrev_b32_e32 v1, 20, v1
	v_and_b32_e32 v24, 0x80000000, v24
	v_lshl_add_u32 v15, v15, 23, v0
	v_or3_b32 v1, v24, v15, v1
.LBB358_590:                            ;   in Loop: Header=BB358_13 Depth=1
	s_or_b64 exec, exec, s[36:37]
.LBB358_591:                            ;   in Loop: Header=BB358_13 Depth=1
	s_or_b64 exec, exec, s[34:35]
.LBB358_592:                            ;   in Loop: Header=BB358_13 Depth=1
	s_or_b64 exec, exec, s[30:31]
	v_mul_f32_e32 v1, v5, v1
	v_and_b32_e32 v15, 0x7f800000, v1
	v_cmp_ne_u32_e64 s[8:9], s41, v15
                                        ; implicit-def: $agpr49
	s_and_saveexec_b64 s[30:31], s[8:9]
	s_xor_b64 s[8:9], exec, s[30:31]
; %bb.593:                              ;   in Loop: Header=BB358_13 Depth=1
	v_bfe_u32 v15, v1, 16, 1
	v_add3_u32 v0, v1, v15, s42
	v_accvgpr_write_b32 a49, v0
                                        ; implicit-def: $vgpr1
; %bb.594:                              ;   in Loop: Header=BB358_13 Depth=1
	s_andn2_saveexec_b64 s[30:31], s[8:9]
; %bb.595:                              ;   in Loop: Header=BB358_13 Depth=1
	v_or_b32_e32 v15, 0x10000, v1
	v_cmp_eq_u32_sdwa s[8:9], v1, v41 src0_sel:WORD_0 src1_sel:DWORD
	v_cndmask_b32_e64 v0, v15, v1, s[8:9]
	v_accvgpr_write_b32 a49, v0
; %bb.596:                              ;   in Loop: Header=BB358_13 Depth=1
	s_or_b64 exec, exec, s[30:31]
	flat_load_ushort v1, v[56:57] offset:3592
	s_waitcnt vmcnt(0) lgkmcnt(0)
	v_and_b32_e32 v58, 0xffff, v1
	v_cmp_ne_u16_sdwa s[8:9], v1, v41 src0_sel:BYTE_0 src1_sel:DWORD
	v_mov_b32_e32 v1, 0
	s_and_saveexec_b64 s[30:31], s[8:9]
	s_cbranch_execz .LBB358_602
; %bb.597:                              ;   in Loop: Header=BB358_13 Depth=1
	v_cmp_ne_u16_sdwa s[8:9], v58, s39 src0_sel:BYTE_0 src1_sel:DWORD
	v_bfrev_b32_e32 v1, 1
	s_and_saveexec_b64 s[34:35], s[8:9]
	s_cbranch_execz .LBB358_601
; %bb.598:                              ;   in Loop: Header=BB358_13 Depth=1
	v_and_b32_e32 v24, 0x7f, v58
	v_cmp_ne_u32_e64 s[8:9], s40, v24
	v_mov_b32_e32 v1, 0x7f800001
	s_and_saveexec_b64 s[36:37], s[8:9]
	s_cbranch_execz .LBB358_600
; %bb.599:                              ;   in Loop: Header=BB358_13 Depth=1
	v_and_b32_e32 v1, 7, v58
	v_lshrrev_b32_e32 v15, 3, v24
	v_cmp_gt_u32_e64 s[8:9], 8, v24
	v_ffbh_u32_e32 v24, v1
	v_min_u32_e32 v24, 32, v24
	v_subrev_u32_e32 v26, 28, v24
	v_lshlrev_b64 v[60:61], v26, v[58:59]
	v_sub_u32_e32 v24, 29, v24
	v_and_b32_e32 v26, 7, v60
	v_cndmask_b32_e64 v15, v15, v24, s[8:9]
	v_cndmask_b32_e64 v1, v1, v26, s[8:9]
	v_lshlrev_b32_e32 v24, 24, v58
	v_bfrev_b32_e32 v0, 60
	v_lshlrev_b32_e32 v1, 20, v1
	v_and_b32_e32 v24, 0x80000000, v24
	v_lshl_add_u32 v15, v15, 23, v0
	v_or3_b32 v1, v24, v15, v1
.LBB358_600:                            ;   in Loop: Header=BB358_13 Depth=1
	s_or_b64 exec, exec, s[36:37]
.LBB358_601:                            ;   in Loop: Header=BB358_13 Depth=1
	s_or_b64 exec, exec, s[34:35]
.LBB358_602:                            ;   in Loop: Header=BB358_13 Depth=1
	s_or_b64 exec, exec, s[30:31]
	v_mul_f32_e32 v1, v5, v1
	v_and_b32_e32 v15, 0x7f800000, v1
	v_cmp_ne_u32_e64 s[8:9], s41, v15
                                        ; implicit-def: $vgpr24
	s_and_saveexec_b64 s[30:31], s[8:9]
	s_xor_b64 s[8:9], exec, s[30:31]
; %bb.603:                              ;   in Loop: Header=BB358_13 Depth=1
	v_bfe_u32 v15, v1, 16, 1
	v_add3_u32 v24, v1, v15, s42
                                        ; implicit-def: $vgpr1
; %bb.604:                              ;   in Loop: Header=BB358_13 Depth=1
	s_andn2_saveexec_b64 s[30:31], s[8:9]
; %bb.605:                              ;   in Loop: Header=BB358_13 Depth=1
	v_or_b32_e32 v15, 0x10000, v1
	v_cmp_eq_u32_sdwa s[8:9], v1, v41 src0_sel:WORD_0 src1_sel:DWORD
	v_cndmask_b32_e64 v24, v15, v1, s[8:9]
; %bb.606:                              ;   in Loop: Header=BB358_13 Depth=1
	s_or_b64 exec, exec, s[30:31]
	v_lshrrev_b16_e32 v60, 8, v58
	v_cmp_ne_u16_e64 s[8:9], 0, v60
	v_mov_b32_e32 v1, 0
	s_and_saveexec_b64 s[30:31], s[8:9]
	s_cbranch_execz .LBB358_612
; %bb.607:                              ;   in Loop: Header=BB358_13 Depth=1
	v_cmp_ne_u16_e64 s[8:9], s39, v60
	v_bfrev_b32_e32 v1, 1
	s_and_saveexec_b64 s[34:35], s[8:9]
	s_cbranch_execz .LBB358_611
; %bb.608:                              ;   in Loop: Header=BB358_13 Depth=1
	v_and_b32_e32 v26, 0x7f, v60
	v_cmp_ne_u32_e64 s[8:9], s40, v26
	v_mov_b32_e32 v1, 0x7f800001
	s_and_saveexec_b64 s[36:37], s[8:9]
	s_cbranch_execz .LBB358_610
; %bb.609:                              ;   in Loop: Header=BB358_13 Depth=1
	v_and_b32_e32 v1, 7, v60
	v_lshrrev_b32_e32 v15, 3, v26
	v_cmp_gt_u32_e64 s[8:9], 8, v26
	v_ffbh_u32_e32 v26, v1
	v_min_u32_e32 v26, 32, v26
	v_subrev_u32_e32 v27, 28, v26
	v_lshlrev_b64 v[60:61], v27, v[60:61]
	v_sub_u32_e32 v26, 29, v26
	v_and_b32_e32 v27, 7, v60
	v_cndmask_b32_e64 v15, v15, v26, s[8:9]
	v_cndmask_b32_e64 v1, v1, v27, s[8:9]
	v_lshlrev_b32_e32 v26, 16, v58
	v_bfrev_b32_e32 v0, 60
	v_lshlrev_b32_e32 v1, 20, v1
	v_and_b32_e32 v26, 0x80000000, v26
	v_lshl_add_u32 v15, v15, 23, v0
	v_or3_b32 v1, v26, v15, v1
.LBB358_610:                            ;   in Loop: Header=BB358_13 Depth=1
	s_or_b64 exec, exec, s[36:37]
.LBB358_611:                            ;   in Loop: Header=BB358_13 Depth=1
	s_or_b64 exec, exec, s[34:35]
.LBB358_612:                            ;   in Loop: Header=BB358_13 Depth=1
	s_or_b64 exec, exec, s[30:31]
	v_mul_f32_e32 v1, v5, v1
	v_and_b32_e32 v15, 0x7f800000, v1
	v_cmp_ne_u32_e64 s[8:9], s41, v15
                                        ; implicit-def: $vgpr61
	s_and_saveexec_b64 s[30:31], s[8:9]
	s_xor_b64 s[8:9], exec, s[30:31]
; %bb.613:                              ;   in Loop: Header=BB358_13 Depth=1
	v_bfe_u32 v15, v1, 16, 1
	v_add3_u32 v61, v1, v15, s42
                                        ; implicit-def: $vgpr1
; %bb.614:                              ;   in Loop: Header=BB358_13 Depth=1
	s_andn2_saveexec_b64 s[30:31], s[8:9]
; %bb.615:                              ;   in Loop: Header=BB358_13 Depth=1
	v_or_b32_e32 v15, 0x10000, v1
	v_cmp_eq_u32_sdwa s[8:9], v1, v41 src0_sel:WORD_0 src1_sel:DWORD
	v_cndmask_b32_e64 v61, v15, v1, s[8:9]
; %bb.616:                              ;   in Loop: Header=BB358_13 Depth=1
	s_or_b64 exec, exec, s[30:31]
	flat_load_ushort v1, v[56:57] offset:3840
	s_waitcnt vmcnt(0) lgkmcnt(0)
	v_and_b32_e32 v58, 0xffff, v1
	v_cmp_ne_u16_sdwa s[8:9], v1, v41 src0_sel:BYTE_0 src1_sel:DWORD
	v_mov_b32_e32 v1, 0
	s_and_saveexec_b64 s[30:31], s[8:9]
	s_cbranch_execz .LBB358_622
; %bb.617:                              ;   in Loop: Header=BB358_13 Depth=1
	v_cmp_ne_u16_sdwa s[8:9], v58, s39 src0_sel:BYTE_0 src1_sel:DWORD
	v_bfrev_b32_e32 v1, 1
	s_and_saveexec_b64 s[34:35], s[8:9]
	s_cbranch_execz .LBB358_621
; %bb.618:                              ;   in Loop: Header=BB358_13 Depth=1
	v_and_b32_e32 v26, 0x7f, v58
	v_cmp_ne_u32_e64 s[8:9], s40, v26
	v_mov_b32_e32 v1, 0x7f800001
	s_and_saveexec_b64 s[36:37], s[8:9]
	s_cbranch_execz .LBB358_620
; %bb.619:                              ;   in Loop: Header=BB358_13 Depth=1
	v_and_b32_e32 v1, 7, v58
	v_lshrrev_b32_e32 v15, 3, v26
	v_cmp_gt_u32_e64 s[8:9], 8, v26
	v_ffbh_u32_e32 v26, v1
	v_min_u32_e32 v60, 32, v26
	v_subrev_u32_e32 v26, 28, v60
	v_lshlrev_b64 v[26:27], v26, v[58:59]
	v_sub_u32_e32 v27, 29, v60
	v_and_b32_e32 v26, 7, v26
	v_cndmask_b32_e64 v15, v15, v27, s[8:9]
	v_cndmask_b32_e64 v1, v1, v26, s[8:9]
	v_lshlrev_b32_e32 v26, 24, v58
	v_bfrev_b32_e32 v0, 60
	v_lshlrev_b32_e32 v1, 20, v1
	v_and_b32_e32 v26, 0x80000000, v26
	v_lshl_add_u32 v15, v15, 23, v0
	v_or3_b32 v1, v26, v15, v1
.LBB358_620:                            ;   in Loop: Header=BB358_13 Depth=1
	s_or_b64 exec, exec, s[36:37]
.LBB358_621:                            ;   in Loop: Header=BB358_13 Depth=1
	s_or_b64 exec, exec, s[34:35]
.LBB358_622:                            ;   in Loop: Header=BB358_13 Depth=1
	s_or_b64 exec, exec, s[30:31]
	v_mul_f32_e32 v26, v5, v1
	v_and_b32_e32 v1, 0x7f800000, v26
	v_cmp_ne_u32_e64 s[8:9], s41, v1
                                        ; implicit-def: $vgpr11
	s_and_saveexec_b64 s[30:31], s[8:9]
	s_xor_b64 s[8:9], exec, s[30:31]
; %bb.623:                              ;   in Loop: Header=BB358_13 Depth=1
	v_bfe_u32 v1, v26, 16, 1
	v_add3_u32 v11, v26, v1, s42
                                        ; implicit-def: $vgpr26
; %bb.624:                              ;   in Loop: Header=BB358_13 Depth=1
	s_andn2_saveexec_b64 s[30:31], s[8:9]
; %bb.625:                              ;   in Loop: Header=BB358_13 Depth=1
	v_or_b32_e32 v1, 0x10000, v26
	v_cmp_eq_u32_sdwa s[8:9], v26, v41 src0_sel:WORD_0 src1_sel:DWORD
	v_cndmask_b32_e64 v11, v1, v26, s[8:9]
; %bb.626:                              ;   in Loop: Header=BB358_13 Depth=1
	s_or_b64 exec, exec, s[30:31]
	v_lshrrev_b16_e32 v60, 8, v58
	v_cmp_ne_u16_e64 s[8:9], 0, v60
	v_mov_b32_e32 v26, 0
	s_and_saveexec_b64 s[30:31], s[8:9]
	s_cbranch_execz .LBB358_632
; %bb.627:                              ;   in Loop: Header=BB358_13 Depth=1
	v_cmp_ne_u16_e64 s[8:9], s39, v60
	v_bfrev_b32_e32 v26, 1
	s_and_saveexec_b64 s[34:35], s[8:9]
	s_cbranch_execz .LBB358_631
; %bb.628:                              ;   in Loop: Header=BB358_13 Depth=1
	v_and_b32_e32 v15, 0x7f, v60
	v_cmp_ne_u32_e64 s[8:9], s40, v15
	v_mov_b32_e32 v26, 0x7f800001
	s_and_saveexec_b64 s[36:37], s[8:9]
	s_cbranch_execz .LBB358_630
; %bb.629:                              ;   in Loop: Header=BB358_13 Depth=1
	v_and_b32_e32 v40, 7, v60
	v_lshrrev_b32_e32 v14, 3, v15
	v_cmp_gt_u32_e64 s[8:9], 8, v15
	v_ffbh_u32_e32 v15, v40
	v_min_u32_e32 v15, 32, v15
	v_subrev_u32_e32 v26, 28, v15
	v_lshlrev_b64 v[26:27], v26, v[60:61]
	v_sub_u32_e32 v15, 29, v15
	v_and_b32_e32 v26, 7, v26
	v_cndmask_b32_e64 v14, v14, v15, s[8:9]
	v_cndmask_b32_e64 v15, v40, v26, s[8:9]
	v_lshlrev_b32_e32 v26, 16, v58
	v_bfrev_b32_e32 v0, 60
	v_lshlrev_b32_e32 v15, 20, v15
	v_and_b32_e32 v26, 0x80000000, v26
	v_lshl_add_u32 v14, v14, 23, v0
	v_or3_b32 v26, v26, v14, v15
.LBB358_630:                            ;   in Loop: Header=BB358_13 Depth=1
	s_or_b64 exec, exec, s[36:37]
.LBB358_631:                            ;   in Loop: Header=BB358_13 Depth=1
	s_or_b64 exec, exec, s[34:35]
.LBB358_632:                            ;   in Loop: Header=BB358_13 Depth=1
	s_or_b64 exec, exec, s[30:31]
	v_mul_f32_e32 v26, v5, v26
	v_and_b32_e32 v14, 0x7f800000, v26
	v_cmp_ne_u32_e64 s[8:9], s41, v14
                                        ; implicit-def: $vgpr60
	s_and_saveexec_b64 s[30:31], s[8:9]
	s_xor_b64 s[8:9], exec, s[30:31]
; %bb.633:                              ;   in Loop: Header=BB358_13 Depth=1
	v_bfe_u32 v14, v26, 16, 1
	v_add3_u32 v60, v26, v14, s42
                                        ; implicit-def: $vgpr26
; %bb.634:                              ;   in Loop: Header=BB358_13 Depth=1
	s_andn2_saveexec_b64 s[30:31], s[8:9]
; %bb.635:                              ;   in Loop: Header=BB358_13 Depth=1
	v_or_b32_e32 v14, 0x10000, v26
	v_cmp_eq_u32_sdwa s[8:9], v26, v41 src0_sel:WORD_0 src1_sel:DWORD
	v_cndmask_b32_e64 v60, v14, v26, s[8:9]
; %bb.636:                              ;   in Loop: Header=BB358_13 Depth=1
	s_or_b64 exec, exec, s[30:31]
	flat_load_ushort v14, v[56:57] offset:3848
	v_mov_b32_e32 v26, 0
	s_waitcnt vmcnt(0) lgkmcnt(0)
	v_and_b32_e32 v56, 0xffff, v14
	v_cmp_ne_u16_sdwa s[8:9], v14, v41 src0_sel:BYTE_0 src1_sel:DWORD
	s_and_saveexec_b64 s[30:31], s[8:9]
	s_cbranch_execz .LBB358_642
; %bb.637:                              ;   in Loop: Header=BB358_13 Depth=1
	v_cmp_ne_u16_sdwa s[8:9], v56, s39 src0_sel:BYTE_0 src1_sel:DWORD
	v_bfrev_b32_e32 v26, 1
	s_and_saveexec_b64 s[34:35], s[8:9]
	s_cbranch_execz .LBB358_641
; %bb.638:                              ;   in Loop: Header=BB358_13 Depth=1
	v_and_b32_e32 v15, 0x7f, v56
	v_cmp_ne_u32_e64 s[8:9], s40, v15
	v_mov_b32_e32 v26, 0x7f800001
	s_and_saveexec_b64 s[36:37], s[8:9]
	s_cbranch_execz .LBB358_640
; %bb.639:                              ;   in Loop: Header=BB358_13 Depth=1
	v_and_b32_e32 v14, 7, v56
	v_lshrrev_b32_e32 v40, 3, v15
	v_cmp_gt_u32_e64 s[8:9], 8, v15
	v_ffbh_u32_e32 v15, v14
	v_min_u32_e32 v15, 32, v15
	v_subrev_u32_e32 v26, 28, v15
	v_lshlrev_b64 v[26:27], v26, v[56:57]
	v_sub_u32_e32 v15, 29, v15
	v_and_b32_e32 v26, 7, v26
	v_cndmask_b32_e64 v15, v40, v15, s[8:9]
	v_cndmask_b32_e64 v14, v14, v26, s[8:9]
	v_lshlrev_b32_e32 v26, 24, v56
	v_bfrev_b32_e32 v0, 60
	v_lshlrev_b32_e32 v14, 20, v14
	v_and_b32_e32 v26, 0x80000000, v26
	v_lshl_add_u32 v15, v15, 23, v0
	v_or3_b32 v26, v26, v15, v14
.LBB358_640:                            ;   in Loop: Header=BB358_13 Depth=1
	s_or_b64 exec, exec, s[36:37]
.LBB358_641:                            ;   in Loop: Header=BB358_13 Depth=1
	s_or_b64 exec, exec, s[34:35]
.LBB358_642:                            ;   in Loop: Header=BB358_13 Depth=1
	s_or_b64 exec, exec, s[30:31]
	v_mul_f32_e32 v26, v5, v26
	v_and_b32_e32 v14, 0x7f800000, v26
	v_cmp_ne_u32_e64 s[8:9], s41, v14
                                        ; implicit-def: $vgpr57
	s_and_saveexec_b64 s[30:31], s[8:9]
	s_xor_b64 s[8:9], exec, s[30:31]
; %bb.643:                              ;   in Loop: Header=BB358_13 Depth=1
	v_bfe_u32 v14, v26, 16, 1
	v_add3_u32 v57, v26, v14, s42
                                        ; implicit-def: $vgpr26
; %bb.644:                              ;   in Loop: Header=BB358_13 Depth=1
	s_andn2_saveexec_b64 s[30:31], s[8:9]
; %bb.645:                              ;   in Loop: Header=BB358_13 Depth=1
	v_or_b32_e32 v14, 0x10000, v26
	v_cmp_eq_u32_sdwa s[8:9], v26, v41 src0_sel:WORD_0 src1_sel:DWORD
	v_cndmask_b32_e64 v57, v14, v26, s[8:9]
; %bb.646:                              ;   in Loop: Header=BB358_13 Depth=1
	s_or_b64 exec, exec, s[30:31]
	v_lshrrev_b16_e32 v58, 8, v56
	v_cmp_ne_u16_e64 s[8:9], 0, v58
	v_mov_b32_e32 v26, 0
	s_and_saveexec_b64 s[30:31], s[8:9]
	s_cbranch_execz .LBB358_652
; %bb.647:                              ;   in Loop: Header=BB358_13 Depth=1
	v_cmp_ne_u16_e64 s[8:9], s39, v58
	v_bfrev_b32_e32 v26, 1
	s_and_saveexec_b64 s[34:35], s[8:9]
	s_cbranch_execz .LBB358_651
; %bb.648:                              ;   in Loop: Header=BB358_13 Depth=1
	v_and_b32_e32 v15, 0x7f, v58
	v_cmp_ne_u32_e64 s[8:9], s40, v15
	v_mov_b32_e32 v26, 0x7f800001
	s_and_saveexec_b64 s[36:37], s[8:9]
	s_cbranch_execz .LBB358_650
; %bb.649:                              ;   in Loop: Header=BB358_13 Depth=1
	v_and_b32_e32 v14, 7, v58
	v_lshrrev_b32_e32 v40, 3, v15
	v_cmp_gt_u32_e64 s[8:9], 8, v15
	v_ffbh_u32_e32 v15, v14
	v_min_u32_e32 v15, 32, v15
	v_subrev_u32_e32 v26, 28, v15
	v_lshlrev_b64 v[26:27], v26, v[58:59]
	v_sub_u32_e32 v15, 29, v15
	v_and_b32_e32 v26, 7, v26
	v_cndmask_b32_e64 v15, v40, v15, s[8:9]
	v_cndmask_b32_e64 v14, v14, v26, s[8:9]
	v_lshlrev_b32_e32 v26, 16, v56
	v_bfrev_b32_e32 v0, 60
	v_lshlrev_b32_e32 v14, 20, v14
	v_and_b32_e32 v26, 0x80000000, v26
	v_lshl_add_u32 v15, v15, 23, v0
	v_or3_b32 v26, v26, v15, v14
.LBB358_650:                            ;   in Loop: Header=BB358_13 Depth=1
	s_or_b64 exec, exec, s[36:37]
.LBB358_651:                            ;   in Loop: Header=BB358_13 Depth=1
	s_or_b64 exec, exec, s[34:35]
.LBB358_652:                            ;   in Loop: Header=BB358_13 Depth=1
	s_or_b64 exec, exec, s[30:31]
	v_mul_f32_e32 v26, v5, v26
	v_and_b32_e32 v5, 0x7f800000, v26
	v_cmp_ne_u32_e64 s[8:9], s41, v5
                                        ; implicit-def: $vgpr5
	s_and_saveexec_b64 s[30:31], s[8:9]
	s_xor_b64 s[8:9], exec, s[30:31]
; %bb.653:                              ;   in Loop: Header=BB358_13 Depth=1
	v_bfe_u32 v5, v26, 16, 1
	v_add3_u32 v5, v26, v5, s42
                                        ; implicit-def: $vgpr26
; %bb.654:                              ;   in Loop: Header=BB358_13 Depth=1
	s_or_saveexec_b64 s[30:31], s[8:9]
	v_accvgpr_write_b32 a41, v20
	s_xor_b64 exec, exec, s[30:31]
; %bb.655:                              ;   in Loop: Header=BB358_13 Depth=1
	v_or_b32_e32 v5, 0x10000, v26
	v_cmp_eq_u32_sdwa s[8:9], v26, v41 src0_sel:WORD_0 src1_sel:DWORD
	v_cndmask_b32_e64 v5, v5, v26, s[8:9]
; %bb.656:                              ;   in Loop: Header=BB358_13 Depth=1
	s_or_b64 exec, exec, s[30:31]
	buffer_load_dword v0, off, s[0:3], s32 offset:252 ; 4-byte Folded Reload
	buffer_load_dword v1, off, s[0:3], s32 offset:256 ; 4-byte Folded Reload
	;; [unrolled: 1-line block ×4, first 2 shown]
	v_lshlrev_b32_e32 v15, 16, v53
	v_and_b32_e32 v6, 0xffff0000, v6
	v_lshlrev_b32_e32 v14, 16, v52
	v_lshlrev_b32_e32 v4, 16, v37
	v_and_b32_e32 v13, 0xffff0000, v37
	v_lshlrev_b32_e32 v43, 16, v34
	v_and_b32_e32 v26, 0xffff0000, v34
	v_mul_f32_e32 v6, v15, v6
	v_and_b32_e32 v7, 0xffff0000, v7
	v_and_b32_e32 v53, 0xffff0000, v53
	v_fmac_f32_e32 v6, v14, v7
	v_and_b32_e32 v52, 0xffff0000, v52
	v_lshlrev_b32_e32 v27, 16, v54
	v_and_b32_e32 v54, 0xffff0000, v54
	v_lshlrev_b32_e32 v40, 16, v55
	;; [unrolled: 2-line block ×8, first 2 shown]
	v_and_b32_e32 v9, 0xffff0000, v38
	v_and_b32_e32 v44, 0xffff0000, v39
	v_lshlrev_b32_e32 v51, 16, v16
	v_and_b32_e32 v50, 0xffff0000, v16
	v_lshlrev_b32_e32 v31, 16, v39
	;; [unrolled: 2-line block ×3, first 2 shown]
	v_lshlrev_b32_e32 v42, 16, v33
	v_lshlrev_b32_e32 v39, 16, v17
	;; [unrolled: 1-line block ×3, first 2 shown]
	v_and_b32_e32 v48, 0xffff0000, v17
	v_and_b32_e32 v38, 0xffff0000, v18
	;; [unrolled: 1-line block ×3, first 2 shown]
	v_lshlrev_b32_e32 v56, 16, v35
	v_and_b32_e32 v58, 0xffff0000, v35
	v_lshlrev_b32_e32 v32, 16, v19
	v_and_b32_e32 v35, 0xffff0000, v19
	v_and_b32_e32 v24, 0xffff0000, v24
	s_waitcnt vmcnt(3)
	v_lshlrev_b32_e32 v34, 16, v0
	v_and_b32_e32 v37, 0xffff0000, v0
	v_accvgpr_read_b32 v0, a54
	v_and_b32_e32 v7, 0xffff0000, v0
	v_accvgpr_read_b32 v0, a48
	v_mul_f32_e32 v7, v53, v7
	v_and_b32_e32 v14, 0xffff0000, v0
	v_accvgpr_read_b32 v0, a55
	v_fmac_f32_e32 v7, v52, v14
	v_and_b32_e32 v14, 0xffff0000, v0
	v_accvgpr_read_b32 v0, a56
	v_fmac_f32_e32 v6, v27, v14
	v_and_b32_e32 v14, 0xffff0000, v0
	v_accvgpr_read_b32 v0, a57
	v_fmac_f32_e32 v7, v54, v14
	v_and_b32_e32 v14, 0xffff0000, v0
	v_accvgpr_read_b32 v0, a58
	v_fmac_f32_e32 v6, v40, v14
	v_and_b32_e32 v14, 0xffff0000, v0
	v_accvgpr_read_b32 v0, a59
	v_fmac_f32_e32 v7, v55, v14
	v_and_b32_e32 v14, 0xffff0000, v0
	v_accvgpr_read_b32 v0, a60
	v_fmac_f32_e32 v6, v12, v14
	v_and_b32_e32 v12, 0xffff0000, v0
	v_accvgpr_read_b32 v0, a61
	v_fmac_f32_e32 v7, v29, v12
	v_and_b32_e32 v12, 0xffff0000, v0
	v_accvgpr_read_b32 v0, a62
	v_fmac_f32_e32 v6, v62, v12
	v_and_b32_e32 v12, 0xffff0000, v0
	v_accvgpr_read_b32 v0, a63
	v_fmac_f32_e32 v7, v49, v12
	v_and_b32_e32 v12, 0xffff0000, v0
	v_accvgpr_read_b32 v0, a28
	v_fmac_f32_e32 v6, v20, v12
	v_and_b32_e32 v12, 0xffff0000, v0
	v_accvgpr_read_b32 v0, a29
	v_fmac_f32_e32 v7, v59, v12
	v_and_b32_e32 v12, 0xffff0000, v0
	v_accvgpr_read_b32 v0, a30
	v_fmac_f32_e32 v6, v28, v12
	v_and_b32_e32 v12, 0xffff0000, v0
	v_accvgpr_read_b32 v0, a31
	v_fmac_f32_e32 v7, v21, v12
	v_and_b32_e32 v12, 0xffff0000, v0
	v_accvgpr_read_b32 v0, a26
	v_fmac_f32_e32 v6, v22, v12
	v_and_b32_e32 v12, 0xffff0000, v0
	v_accvgpr_read_b32 v0, a27
	v_fmac_f32_e32 v7, v30, v12
	v_and_b32_e32 v12, 0xffff0000, v0
	v_accvgpr_read_b32 v0, a25
	v_fmac_f32_e32 v6, v4, v12
	v_and_b32_e32 v4, 0xffff0000, v0
	v_accvgpr_read_b32 v0, a35
	v_fmac_f32_e32 v7, v13, v4
	v_and_b32_e32 v4, 0xffff0000, v0
	v_accvgpr_read_b32 v0, a15
	v_fmac_f32_e32 v6, v23, v4
	v_and_b32_e32 v4, 0xffff0000, v0
	v_accvgpr_read_b32 v0, a0
	v_fmac_f32_e32 v7, v9, v4
	v_and_b32_e32 v4, 0xffff0000, v0
	v_accvgpr_read_b32 v0, a1
	s_waitcnt vmcnt(0)
	v_lshlrev_b32_e32 v16, 16, v3
	v_and_b32_e32 v8, 0xffff0000, v3
	v_and_b32_e32 v3, 0xffff0000, v0
	v_accvgpr_read_b32 v0, a23
	v_fmac_f32_e32 v7, v44, v3
	v_and_b32_e32 v3, 0xffff0000, v0
	v_accvgpr_read_b32 v0, a24
	v_and_b32_e32 v0, 0xffff0000, v0
	v_fmac_f32_e32 v6, v31, v4
	v_fmac_f32_e32 v7, v45, v0
	v_accvgpr_read_b32 v0, a21
	v_lshlrev_b32_e32 v17, 16, v2
	v_and_b32_e32 v18, 0xffff0000, v2
	v_fmac_f32_e32 v6, v25, v3
	v_and_b32_e32 v0, 0xffff0000, v0
	v_accvgpr_read_b32 v2, a10
	v_fmac_f32_e32 v6, v42, v0
	v_accvgpr_read_b32 v0, a22
	v_and_b32_e32 v55, 0xffff0000, v2
	v_accvgpr_read_b32 v2, a33
	v_and_b32_e32 v0, 0xffff0000, v0
	v_and_b32_e32 v13, 0xffff0000, v2
	v_accvgpr_read_b32 v2, a32
	v_fmac_f32_e32 v7, v10, v0
	v_accvgpr_read_b32 v0, a19
	v_and_b32_e32 v30, 0xffff0000, v2
	v_accvgpr_read_b32 v2, a40
	v_and_b32_e32 v0, 0xffff0000, v0
	v_and_b32_e32 v42, 0xffff0000, v2
	v_accvgpr_read_b32 v2, a39
	v_fmac_f32_e32 v6, v43, v0
	v_and_b32_e32 v43, 0xffff0000, v2
	v_accvgpr_read_b32 v2, a38
	v_and_b32_e32 v22, 0xffff0000, v2
	v_accvgpr_read_b32 v2, a37
	;; [unrolled: 2-line block ×5, first 2 shown]
	v_and_b32_e32 v9, 0xffff0000, v57
	v_and_b32_e32 v57, 0xffff0000, v2
	v_accvgpr_read_b32 v2, a7
	v_and_b32_e32 v12, 0xffff0000, v2
	v_accvgpr_read_b32 v2, a14
	;; [unrolled: 2-line block ×12, first 2 shown]
	v_and_b32_e32 v49, 0xffff0000, v60
	v_and_b32_e32 v60, 0xffff0000, v2
	v_accvgpr_read_b32 v2, a18
	v_and_b32_e32 v52, 0xffff0000, v61
	v_and_b32_e32 v61, 0xffff0000, v2
	v_accvgpr_read_b32 v2, a20
	v_and_b32_e32 v3, 0xffff0000, v2
	buffer_load_dword v2, off, s[0:3], s32 offset:248 ; 4-byte Folded Reload
	v_lshlrev_b32_e32 v19, 16, v1
	v_and_b32_e32 v33, 0xffff0000, v1
	v_and_b32_e32 v1, 0xffff0000, v11
	buffer_load_dword v11, off, s[0:3], s32 offset:292 ; 4-byte Folded Reload
	v_fmac_f32_e32 v6, v56, v61
	v_fmac_f32_e32 v6, v51, v59
	;; [unrolled: 1-line block ×14, first 2 shown]
	v_accvgpr_read_b32 v20, a41
	v_fmac_f32_e32 v7, v37, v14
	ds_read2_b32 v[14:15], v20 offset0:25 offset1:26
	v_accvgpr_read_b32 v0, a49
	v_fmac_f32_e32 v7, v33, v57
	v_and_b32_e32 v25, 0xffff0000, v0
	v_accvgpr_read_b32 v0, a52
	v_fmac_f32_e32 v7, v18, v44
	v_and_b32_e32 v31, 0xffff0000, v0
	;; [unrolled: 3-line block ×4, first 2 shown]
	v_accvgpr_read_b32 v0, a42
	s_waitcnt lgkmcnt(0)
	v_lshlrev_b32_e32 v8, 16, v14
	v_and_b32_e32 v10, 0xffff0000, v14
	v_and_b32_e32 v0, 0xffff0000, v0
	s_waitcnt vmcnt(1)
	v_lshlrev_b32_e32 v62, 16, v2
	v_and_b32_e32 v2, 0xffff0000, v2
	v_fmac_f32_e32 v7, v2, v42
	ds_read2_b32 v[16:17], v20 offset0:27 offset1:28
	ds_read2_b32 v[18:19], v20 offset0:29 offset1:30
	ds_read_b32 v2, v20 offset:124
	v_fmac_f32_e32 v6, v62, v43
	v_fmac_f32_e32 v6, v8, v30
	;; [unrolled: 1-line block ×3, first 2 shown]
	v_lshlrev_b32_e32 v8, 16, v15
	v_and_b32_e32 v10, 0xffff0000, v15
	v_fmac_f32_e32 v6, v8, v55
	v_fmac_f32_e32 v7, v10, v0
	s_waitcnt lgkmcnt(2)
	v_lshlrev_b32_e32 v0, 16, v16
	v_and_b32_e32 v8, 0xffff0000, v16
	s_waitcnt vmcnt(0)
	v_and_b32_e32 v3, 64, v11
	v_fmac_f32_e32 v6, v0, v54
	v_fmac_f32_e32 v7, v8, v53
	v_lshlrev_b32_e32 v0, 16, v17
	v_and_b32_e32 v8, 0xffff0000, v17
	v_add_u32_e32 v3, 64, v3
	v_xor_b32_e32 v4, 2, v11
	v_fmac_f32_e32 v6, v0, v31
	v_fmac_f32_e32 v7, v8, v25
	s_waitcnt lgkmcnt(1)
	v_lshlrev_b32_e32 v0, 16, v18
	v_and_b32_e32 v8, 0xffff0000, v18
	v_cmp_lt_i32_e64 s[8:9], v4, v3
	v_fmac_f32_e32 v6, v0, v24
	v_fmac_f32_e32 v7, v8, v52
	v_lshlrev_b32_e32 v0, 16, v19
	v_and_b32_e32 v8, 0xffff0000, v19
	v_cndmask_b32_e64 v26, v11, v4, s[8:9]
	v_and_b32_e32 v4, 0xffff0000, v5
	v_fmac_f32_e32 v6, v0, v1
	v_fmac_f32_e32 v7, v8, v49
	s_waitcnt lgkmcnt(0)
	v_lshlrev_b32_e32 v0, 16, v2
	v_and_b32_e32 v1, 0xffff0000, v2
	v_fmac_f32_e32 v6, v0, v9
	v_fmac_f32_e32 v7, v1, v4
	v_lshlrev_b32_e32 v5, 2, v26
	v_add_f32_e32 v0, v6, v7
	ds_bpermute_b32 v1, v5, v0
	v_xor_b32_e32 v2, 1, v11
	v_cmp_lt_i32_e64 s[8:9], v2, v3
	v_cndmask_b32_e64 v2, v11, v2, s[8:9]
	v_lshlrev_b32_e32 v2, 2, v2
	s_waitcnt lgkmcnt(0)
	v_add_f32_e32 v0, v0, v1
	ds_bpermute_b32 v1, v2, v0
	s_and_saveexec_b64 s[30:31], vcc
	s_cbranch_execz .LBB358_11
; %bb.657:                              ;   in Loop: Header=BB358_13 Depth=1
	buffer_load_dword v2, off, s[0:3], s32 offset:324 ; 4-byte Folded Reload
	buffer_load_dword v3, off, s[0:3], s32 offset:320 ; 4-byte Folded Reload
	v_accvgpr_read_b32 v4, a46
	s_waitcnt lgkmcnt(0)
	v_add_f32_e32 v0, v0, v1
	s_load_dword s8, s[26:27], 0x0
	buffer_load_dword v1, off, s[0:3], s32 offset:316 ; 4-byte Folded Reload
	s_waitcnt vmcnt(2)
	v_add_u32_e32 v2, v2, v4
	s_waitcnt vmcnt(1)
	v_add_u32_e32 v3, v3, v4
	buffer_load_dword v4, off, s[0:3], s32 offset:312 ; 4-byte Folded Reload
	v_cvt_f32_i32_e32 v2, v2
	s_waitcnt vmcnt(0)
	v_mul_f32_e32 v2, v4, v2
	v_cndmask_b32_e64 v2, 0, v2, s[6:7]
	v_fmac_f32_e32 v2, v0, v1
	buffer_load_dword v0, off, s[0:3], s32 offset:196 ; 4-byte Folded Reload
	buffer_load_dword v1, off, s[0:3], s32 offset:288 ; 4-byte Folded Reload
	v_accvgpr_read_b32 v4, a43
	s_waitcnt lgkmcnt(0)
	v_add_u32_e32 v4, s8, v4
	s_waitcnt vmcnt(1)
	v_cmp_lt_i32_e64 s[8:9], v3, v0
	v_cndmask_b32_e64 v0, 0, v2, s[8:9]
	ds_write_b32 v4, v0
	s_waitcnt vmcnt(0)
	v_max_f32_e32 v0, v1, v1
	v_max_f32_e32 v0, v0, v2
	v_cndmask_b32_e64 v1, v1, v0, s[8:9]
	buffer_store_dword v1, off, s[0:3], s32 offset:288 ; 4-byte Folded Spill
	s_branch .LBB358_11
.LBB358_658:
	s_or_b64 exec, exec, s[28:29]
	buffer_load_dword v15, off, s[0:3], s32 offset:400 ; 4-byte Folded Reload
	buffer_load_dword v14, off, s[0:3], s32 offset:396 ; 4-byte Folded Reload
	;; [unrolled: 1-line block ×17, first 2 shown]
	v_mbcnt_lo_u32_b32 v4, -1, 0
.LBB358_659:
	s_or_b64 exec, exec, s[24:25]
	v_mbcnt_hi_u32_b32 v2, -1, v4
	v_and_b32_e32 v0, 64, v2
	v_add_u32_e32 v3, 64, v0
	v_xor_b32_e32 v0, 32, v2
	v_cmp_lt_i32_e32 vcc, v0, v3
	v_cndmask_b32_e32 v0, v2, v0, vcc
	v_lshlrev_b32_e32 v4, 2, v0
	s_waitcnt vmcnt(0)
	ds_bpermute_b32 v0, v4, v7
	v_xor_b32_e32 v5, 16, v2
	v_max_f32_e32 v1, v7, v7
	v_cmp_lt_i32_e32 vcc, v5, v3
	v_xor_b32_e32 v6, 8, v2
	s_waitcnt lgkmcnt(0)
	v_max_f32_e32 v0, v0, v0
	v_max_f32_e32 v0, v1, v0
	v_cndmask_b32_e32 v1, v2, v5, vcc
	v_lshlrev_b32_e32 v5, 2, v1
	ds_bpermute_b32 v1, v5, v0
	v_cmp_lt_i32_e32 vcc, v6, v3
	s_lshr_b32 s28, s38, 16
	s_waitcnt lgkmcnt(0)
	v_max_f32_e32 v1, v1, v1
	v_max_f32_e32 v0, v0, v1
	v_cndmask_b32_e32 v1, v2, v6, vcc
	v_lshlrev_b32_e32 v8, 2, v1
	ds_bpermute_b32 v1, v8, v0
	v_xor_b32_e32 v6, 4, v2
	v_cmp_lt_i32_e32 vcc, v6, v3
	s_waitcnt lgkmcnt(0)
	v_max_f32_e32 v1, v1, v1
	v_max_f32_e32 v0, v0, v1
	v_cndmask_b32_e32 v1, v2, v6, vcc
	buffer_load_dword v6, off, s[0:3], s32 offset:268 ; 4-byte Folded Reload
	v_lshlrev_b32_e32 v10, 2, v1
	ds_bpermute_b32 v1, v10, v0
	s_waitcnt vmcnt(0)
	v_and_b32_e32 v45, 63, v6
	v_cmp_eq_u32_e32 vcc, 0, v45
	v_lshlrev_b32_e32 v6, 2, v21
	s_and_saveexec_b64 s[6:7], vcc
	s_cbranch_execz .LBB358_661
; %bb.660:
	s_waitcnt lgkmcnt(0)
	v_max_f32_e32 v1, v1, v1
	v_max_f32_e32 v0, v0, v0
	;; [unrolled: 1-line block ×3, first 2 shown]
	ds_write_b32 v6, v0 offset:512
.LBB358_661:
	s_or_b64 exec, exec, s[6:7]
	v_cmp_gt_u32_e64 s[6:7], 2, v45
	v_mov_b32_e32 v0, 0xff7fffff
	v_lshlrev_b32_e32 v7, 2, v45
	s_waitcnt lgkmcnt(0)
	s_barrier
	s_and_saveexec_b64 s[8:9], s[6:7]
	s_cbranch_execz .LBB358_663
; %bb.662:
	ds_read_b32 v0, v7 offset:512
.LBB358_663:
	s_or_b64 exec, exec, s[8:9]
	v_xor_b32_e32 v1, 1, v2
	v_cmp_lt_i32_e64 s[8:9], v1, v3
	v_cndmask_b32_e64 v1, v2, v1, s[8:9]
	v_lshlrev_b32_e32 v20, 2, v1
	s_waitcnt lgkmcnt(0)
	ds_bpermute_b32 v1, v20, v0
	buffer_load_dword v9, off, s[0:3], s32 offset:208 ; 4-byte Folded Reload
	buffer_load_dword v12, off, s[0:3], s32 offset:268 ; 4-byte Folded Reload
	v_max_f32_e32 v0, v0, v0
	s_waitcnt lgkmcnt(0)
	v_max_f32_e32 v1, v1, v1
	v_max_f32_e32 v0, v0, v1
	v_lshlrev_b32_e32 v1, 2, v2
	v_and_b32_e32 v11, 0x100, v1
	buffer_load_dword v1, off, s[0:3], s32 offset:196 ; 4-byte Folded Reload
	ds_bpermute_b32 v0, v11, v0
	s_waitcnt vmcnt(2)
	v_subrev_u32_e32 v9, s21, v9
	v_lshl_add_u32 v9, v9, 4, s15
	s_waitcnt vmcnt(0)
	v_min_i32_e32 v9, v9, v1
	v_subrev_u32_e32 v1, s15, v9
	v_cmp_lt_i32_e64 s[8:9], v12, v1
	v_mov_b32_e32 v12, 0
	s_and_saveexec_b64 s[24:25], s[8:9]
	s_cbranch_execz .LBB358_667
; %bb.664:
	v_mov_b32_e32 v17, v14
	buffer_load_dword v14, off, s[0:3], s32 offset:268 ; 4-byte Folded Reload
	s_ashr_i32 s23, s22, 31
	s_lshl_b64 s[10:11], s[22:23], 2
	s_getpc_b64 s[26:27]
	s_add_u32 s26, s26, llvm.amdgcn.dynlds.offset.table@rel32@lo+4
	s_addc_u32 s27, s27, llvm.amdgcn.dynlds.offset.table@rel32@hi+12
	s_add_u32 s10, s10, s26
	s_addc_u32 s11, s11, s27
	s_load_dword s10, s[10:11], 0x0
	s_mov_b64 s[26:27], 0
	v_mov_b32_e32 v12, 0
	s_waitcnt vmcnt(0) lgkmcnt(0)
	v_lshl_add_u32 v13, v14, 2, s10
.LBB358_665:                            ; =>This Inner Loop Header: Depth=1
	ds_read_b32 v16, v13
	v_add_u32_e32 v14, 0x80, v14
	v_cmp_ge_i32_e64 s[10:11], v14, v1
	s_or_b64 s[26:27], s[10:11], s[26:27]
	s_waitcnt lgkmcnt(0)
	v_sub_f32_e32 v16, v16, v0
	v_mul_f32_e32 v16, 0x3fb8aa3b, v16
	v_exp_f32_e32 v16, v16
	ds_write_b32 v13, v16
	v_add_f32_e32 v12, v12, v16
	v_add_u32_e32 v13, 0x200, v13
	s_andn2_b64 exec, exec, s[26:27]
	s_cbranch_execnz .LBB358_665
; %bb.666:
	s_or_b64 exec, exec, s[26:27]
	v_mov_b32_e32 v14, v17
.LBB358_667:
	s_or_b64 exec, exec, s[24:25]
	ds_bpermute_b32 v4, v4, v12
	s_waitcnt lgkmcnt(0)
	v_add_f32_e32 v4, v12, v4
	ds_bpermute_b32 v5, v5, v4
	s_waitcnt lgkmcnt(0)
	v_add_f32_e32 v4, v4, v5
	ds_bpermute_b32 v5, v8, v4
	v_xor_b32_e32 v8, 2, v2
	v_cmp_lt_i32_e64 s[10:11], v8, v3
	v_cndmask_b32_e64 v2, v2, v8, s[10:11]
	v_lshlrev_b32_e32 v2, 2, v2
	s_waitcnt lgkmcnt(0)
	v_add_f32_e32 v4, v4, v5
	ds_bpermute_b32 v5, v10, v4
	s_waitcnt lgkmcnt(0)
	v_add_f32_e32 v3, v4, v5
	ds_bpermute_b32 v2, v2, v3
	;; [unrolled: 3-line block ×3, first 2 shown]
	s_waitcnt lgkmcnt(0)
	v_add_f32_e32 v2, v2, v3
	s_and_saveexec_b64 s[10:11], vcc
	s_cbranch_execz .LBB358_669
; %bb.668:
	ds_write_b32 v6, v2 offset:520
.LBB358_669:
	s_or_b64 exec, exec, s[10:11]
	s_waitcnt lgkmcnt(0)
	s_barrier
	s_and_saveexec_b64 s[10:11], s[6:7]
	s_cbranch_execz .LBB358_671
; %bb.670:
	ds_read_b32 v2, v7 offset:520
.LBB358_671:
	s_or_b64 exec, exec, s[10:11]
	s_waitcnt lgkmcnt(0)
	ds_bpermute_b32 v3, v20, v2
	s_waitcnt lgkmcnt(0)
	v_add_f32_e32 v2, v2, v3
	ds_bpermute_b32 v2, v11, v2
	s_and_saveexec_b64 s[6:7], s[8:9]
	s_cbranch_execz .LBB358_684
; %bb.672:
	s_waitcnt lgkmcnt(0)
	v_add_f32_e32 v3, 0x358637bd, v2
	v_div_scale_f32 v4, s[8:9], v3, v3, 1.0
	v_rcp_f32_e32 v5, v4
	v_div_scale_f32 v6, vcc, 1.0, v3, 1.0
	s_movk_i32 s8, 0x7f
	v_fma_f32 v7, -v4, v5, 1.0
	v_fmac_f32_e32 v5, v7, v5
	v_mul_f32_e32 v7, v6, v5
	v_fma_f32 v8, -v4, v7, v6
	v_fmac_f32_e32 v7, v8, v5
	v_fma_f32 v4, -v4, v7, v6
	v_div_fmas_f32 v4, v4, v5, v7
	buffer_load_dword v5, off, s[0:3], s32 offset:268 ; 4-byte Folded Reload
	v_div_fixup_f32 v6, v4, v3, 1.0
	s_mov_b64 s[10:11], -1
	s_waitcnt vmcnt(0)
	v_xad_u32 v3, v5, -1, v9
	v_subrev_u32_e32 v4, s15, v3
	v_cmp_lt_u32_e32 vcc, s8, v4
	v_mov_b32_e32 v3, v5
	s_and_saveexec_b64 s[8:9], vcc
	s_cbranch_execz .LBB358_681
; %bb.673:
	v_lshrrev_b32_e32 v3, 7, v4
	v_add_u32_e32 v5, -1, v3
	v_lshrrev_b32_e32 v4, 1, v5
	v_mov_b32_e32 v7, v6
	v_add_u32_e32 v4, 1, v4
	v_cmp_lt_u32_e32 vcc, 13, v5
	v_mov_b32_e32 v9, 0
	s_and_saveexec_b64 s[10:11], vcc
	s_cbranch_execz .LBB358_677
; %bb.674:
	buffer_load_dword v8, off, s[0:3], s32 offset:268 ; 4-byte Folded Reload
	s_ashr_i32 s23, s22, 31
	s_lshl_b64 s[24:25], s[22:23], 2
	s_getpc_b64 s[26:27]
	s_add_u32 s26, s26, llvm.amdgcn.dynlds.offset.table@rel32@lo+4
	s_addc_u32 s27, s27, llvm.amdgcn.dynlds.offset.table@rel32@hi+12
	s_add_u32 s24, s24, s26
	s_addc_u32 s25, s25, s27
	s_load_dword s21, s[24:25], 0x0
	v_and_b32_e32 v5, -8, v4
	s_mov_b32 s15, 0
	s_mov_b64 s[24:25], 0
	s_waitcnt vmcnt(0) lgkmcnt(0)
	v_lshl_add_u32 v8, v8, 2, s21
.LBB358_675:                            ; =>This Inner Loop Header: Depth=1
	ds_read2st64_b32 v[10:11], v8 offset1:2
	ds_read2st64_b32 v[12:13], v8 offset0:4 offset1:6
	ds_read2st64_b32 v[18:19], v8 offset0:8 offset1:10
	;; [unrolled: 1-line block ×3, first 2 shown]
	v_add_u32_e32 v5, -8, v5
	s_waitcnt lgkmcnt(3)
	v_pk_mul_f32 v[10:11], v[6:7], v[10:11]
	s_waitcnt lgkmcnt(2)
	v_pk_mul_f32 v[12:13], v[6:7], v[12:13]
	ds_write2st64_b32 v8, v10, v11 offset1:2
	ds_write2st64_b32 v8, v12, v13 offset0:4 offset1:6
	ds_read2st64_b32 v[12:13], v8 offset0:16 offset1:18
	s_waitcnt lgkmcnt(4)
	v_pk_mul_f32 v[10:11], v[6:7], v[18:19]
	ds_write2st64_b32 v8, v10, v11 offset0:8 offset1:10
	s_waitcnt lgkmcnt(4)
	v_pk_mul_f32 v[10:11], v[6:7], v[16:17]
	ds_write2st64_b32 v8, v10, v11 offset0:12 offset1:14
	ds_read2st64_b32 v[10:11], v8 offset0:20 offset1:22
	s_waitcnt lgkmcnt(3)
	v_pk_mul_f32 v[12:13], v[6:7], v[12:13]
	ds_read2st64_b32 v[16:17], v8 offset0:24 offset1:26
	ds_write2st64_b32 v8, v12, v13 offset0:16 offset1:18
	ds_read2st64_b32 v[12:13], v8 offset0:28 offset1:30
	s_waitcnt lgkmcnt(3)
	v_pk_mul_f32 v[10:11], v[6:7], v[10:11]
	ds_write2st64_b32 v8, v10, v11 offset0:20 offset1:22
	s_waitcnt lgkmcnt(3)
	v_pk_mul_f32 v[10:11], v[6:7], v[16:17]
	ds_write2st64_b32 v8, v10, v11 offset0:24 offset1:26
	s_waitcnt lgkmcnt(2)
	v_pk_mul_f32 v[10:11], v[6:7], v[12:13]
	s_add_i32 s15, s15, 16
	v_cmp_eq_u32_e32 vcc, 0, v5
	ds_write2st64_b32 v8, v10, v11 offset0:28 offset1:30
	v_add_u32_e32 v8, 0x2000, v8
	s_or_b64 s[24:25], vcc, s[24:25]
	v_mov_b32_e32 v9, s15
	s_andn2_b64 exec, exec, s[24:25]
	s_cbranch_execnz .LBB358_675
; %bb.676:
	s_or_b64 exec, exec, s[24:25]
.LBB358_677:
	s_or_b64 exec, exec, s[10:11]
	v_and_b32_e32 v4, 7, v4
	v_cmp_ne_u32_e32 vcc, 0, v4
	s_and_saveexec_b64 s[10:11], vcc
	s_cbranch_execz .LBB358_680
; %bb.678:
	buffer_load_dword v8, off, s[0:3], s32 offset:268 ; 4-byte Folded Reload
	s_ashr_i32 s23, s22, 31
	s_lshl_b64 s[24:25], s[22:23], 2
	s_getpc_b64 s[26:27]
	s_add_u32 s26, s26, llvm.amdgcn.dynlds.offset.table@rel32@lo+4
	s_addc_u32 s27, s27, llvm.amdgcn.dynlds.offset.table@rel32@hi+12
	s_add_u32 s24, s24, s26
	s_addc_u32 s25, s25, s27
	s_load_dword s15, s[24:25], 0x0
	v_lshlrev_b32_e32 v5, 9, v9
	s_mov_b64 s[24:25], 0
	s_waitcnt vmcnt(0)
	v_lshlrev_b32_e32 v8, 2, v8
	s_waitcnt lgkmcnt(0)
	v_add3_u32 v5, v5, v8, s15
.LBB358_679:                            ; =>This Inner Loop Header: Depth=1
	ds_read2st64_b32 v[8:9], v5 offset1:2
	v_add_u32_e32 v4, -1, v4
	v_cmp_eq_u32_e32 vcc, 0, v4
	s_or_b64 s[24:25], vcc, s[24:25]
	s_waitcnt lgkmcnt(0)
	v_pk_mul_f32 v[8:9], v[6:7], v[8:9]
	ds_write2st64_b32 v5, v8, v9 offset1:2
	v_add_u32_e32 v5, 0x400, v5
	s_andn2_b64 exec, exec, s[24:25]
	s_cbranch_execnz .LBB358_679
.LBB358_680:
	s_or_b64 exec, exec, s[10:11]
	v_add_u32_e32 v4, 1, v3
	buffer_load_dword v3, off, s[0:3], s32 offset:268 ; 4-byte Folded Reload
	v_and_b32_e32 v5, 0x3fffffe, v4
	v_cmp_ne_u32_e32 vcc, v4, v5
	s_orn2_b64 s[10:11], vcc, exec
	s_waitcnt vmcnt(0)
	v_lshl_add_u32 v3, v5, 7, v3
.LBB358_681:
	s_or_b64 exec, exec, s[8:9]
	s_and_b64 exec, exec, s[10:11]
	s_cbranch_execz .LBB358_684
; %bb.682:
	s_ashr_i32 s23, s22, 31
	s_lshl_b64 s[8:9], s[22:23], 2
	s_getpc_b64 s[10:11]
	s_add_u32 s10, s10, llvm.amdgcn.dynlds.offset.table@rel32@lo+4
	s_addc_u32 s11, s11, llvm.amdgcn.dynlds.offset.table@rel32@hi+12
	s_add_u32 s8, s8, s10
	s_addc_u32 s9, s9, s11
	s_load_dword s8, s[8:9], 0x0
	s_waitcnt lgkmcnt(0)
	v_lshl_add_u32 v4, v3, 2, s8
	s_mov_b64 s[8:9], 0
.LBB358_683:                            ; =>This Inner Loop Header: Depth=1
	ds_read_b32 v5, v4
	v_add_u32_e32 v3, 0x80, v3
	v_cmp_ge_i32_e32 vcc, v3, v1
	s_or_b64 s[8:9], vcc, s[8:9]
	s_waitcnt lgkmcnt(0)
	v_mul_f32_e32 v5, v6, v5
	ds_write_b32 v4, v5
	v_add_u32_e32 v4, 0x200, v4
	s_andn2_b64 exec, exec, s[8:9]
	s_cbranch_execnz .LBB358_683
.LBB358_684:
	s_or_b64 exec, exec, s[6:7]
	s_waitcnt lgkmcnt(0)
	s_barrier
	buffer_load_dword v1, off, s[0:3], s32 offset:268 ; 4-byte Folded Reload
	v_cmp_ne_u16_e64 s[6:7], s28, 0
	s_cmp_lg_u64 s[6:7], 0
	s_addc_u32 s21, s13, 0
	s_waitcnt vmcnt(0)
	v_cmp_eq_u32_e32 vcc, 0, v1
	s_and_saveexec_b64 s[6:7], vcc
	s_cbranch_execz .LBB358_686
; %bb.685:
	s_mul_i32 s8, s21, s18
	s_mul_i32 s8, s8, s19
	s_mul_i32 s10, s21, s12
	s_ashr_i32 s9, s8, 31
	s_ashr_i32 s11, s10, 31
	;; [unrolled: 1-line block ×3, first 2 shown]
	s_lshl_b64 s[8:9], s[8:9], 2
	s_lshl_b64 s[10:11], s[10:11], 2
	;; [unrolled: 1-line block ×3, first 2 shown]
	s_add_u32 s10, s12, s10
	s_addc_u32 s11, s13, s11
	s_add_u32 s8, s10, s8
	s_addc_u32 s9, s11, s9
	v_mov_b32_e32 v1, s9
	v_add_co_u32_e32 v4, vcc, s8, v34
	v_addc_co_u32_e32 v5, vcc, v1, v27, vcc
	flat_store_dword v[4:5], v0
	v_add_co_u32_e32 v0, vcc, s8, v25
	v_addc_co_u32_e32 v1, vcc, v1, v24, vcc
	flat_store_dword v[0:1], v2
.LBB358_686:
	s_or_b64 exec, exec, s[6:7]
	buffer_load_dword v0, off, s[0:3], s32 offset:268 ; 4-byte Folded Reload
	s_ashr_i32 s23, s22, 31
	s_lshl_b64 s[6:7], s[22:23], 2
	s_getpc_b64 s[8:9]
	s_add_u32 s8, s8, llvm.amdgcn.dynlds.offset.table@rel32@lo+4
	s_addc_u32 s9, s9, llvm.amdgcn.dynlds.offset.table@rel32@hi+12
	s_add_u32 s6, s6, s8
	s_addc_u32 s7, s7, s9
	v_mov_b32_e32 v13, 0
	v_mov_b32_e32 v12, 0
	;; [unrolled: 1-line block ×8, first 2 shown]
	s_waitcnt vmcnt(0)
	v_and_b32_e32 v10, 1, v0
	s_and_saveexec_b64 s[8:9], s[4:5]
	s_cbranch_execz .LBB358_1636
; %bb.687:
	buffer_load_dword v0, off, s[0:3], s32 offset:268 ; 4-byte Folded Reload
	v_max_i32_e32 v38, v30, v35
	v_cvt_f32_u32_e32 v1, v38
	v_add_u32_e32 v4, -1, v31
	v_add_co_u32_e32 v2, vcc, v26, v23
	v_rcp_iflag_f32_e32 v1, v1
	v_accvgpr_write_b32 a20, v4
	v_sub_u32_e32 v4, 0, v38
	v_addc_co_u32_e32 v3, vcc, v22, v29, vcc
	v_mul_f32_e32 v1, 0x4f7ffffe, v1
	v_cvt_u32_f32_e32 v1, v1
	s_load_dword s4, s[6:7], 0x0
	s_mov_b32 s10, -1
	v_accvgpr_write_b32 a16, v20
	v_mul_lo_u32 v4, v4, v1
	v_mul_hi_u32 v4, v1, v4
	v_add_u32_e32 v4, v1, v4
	v_accvgpr_write_b32 a22, v4
	s_mov_b32 s11, 0xffffff
	v_mov_b32_e32 v11, 0
	v_accvgpr_write_b32 a17, v10
	s_mov_b64 s[12:13], 0
	s_mov_b32 s15, 0x7f800000
	s_movk_i32 s30, 0x7fff
	s_movk_i32 s31, 0x80
	;; [unrolled: 1-line block ×3, first 2 shown]
	v_mov_b32_e32 v24, 0
	v_mov_b32_e32 v25, 0
	;; [unrolled: 1-line block ×6, first 2 shown]
	s_waitcnt vmcnt(0)
	v_lshlrev_b32_e32 v0, 3, v0
	v_and_b32_e32 v28, 8, v0
	v_and_b32_e32 v0, 0x1f8, v0
	v_add_co_u32_e32 v0, vcc, v2, v0
	v_addc_co_u32_e32 v1, vcc, 0, v3, vcc
	v_accvgpr_write_b32 a25, v1
	v_accvgpr_write_b32 a24, v0
	v_accvgpr_read_b32 v0, a12
	v_accvgpr_read_b32 v1, a13
	v_lshlrev_b64 v[0:1], 2, v[0:1]
	v_add_co_u32_e32 v0, vcc, v32, v0
	v_addc_co_u32_e32 v1, vcc, v33, v1, vcc
	v_add_co_u32_e32 v14, vcc, v14, v0
	v_lshlrev_b32_e32 v0, 5, v10
	v_addc_co_u32_e32 v15, vcc, v15, v1, vcc
	v_lshl_or_b32 v0, v21, 6, v0
	v_mov_b32_e32 v1, 0
	s_waitcnt lgkmcnt(0)
	v_add_u32_e32 v4, s4, v0
	v_mov_b32_e32 v0, 0
	v_accvgpr_write_b32 a19, v1
	v_accvgpr_write_b32 a18, v0
	buffer_load_dword v1, off, s[0:3], s32 offset:336 ; 4-byte Folded Reload
	v_accvgpr_write_b32 a15, v28
	s_branch .LBB358_690
.LBB358_688:                            ;   in Loop: Header=BB358_690 Depth=1
	s_or_b64 exec, exec, s[4:5]
	v_and_b32_e32 v13, 0xffff0000, v21
	v_and_b32_e32 v12, 0xffff0000, v6
	;; [unrolled: 1-line block ×4, first 2 shown]
	v_pk_add_f32 v[12:13], v[48:49], v[12:13]
	v_and_b32_e32 v9, 0xffff0000, v9
	v_and_b32_e32 v8, 0xffff0000, v8
	;; [unrolled: 1-line block ×4, first 2 shown]
	v_pk_add_f32 v[8:9], v[20:21], v[8:9]
	v_add_f32_e32 v3, v12, v13
	v_add_f32_e32 v3, v3, v8
	;; [unrolled: 1-line block ×3, first 2 shown]
	v_and_b32_e32 v9, 0xffff0000, v46
	v_and_b32_e32 v8, 0xffff0000, v43
	;; [unrolled: 1-line block ×4, first 2 shown]
	v_accvgpr_read_b32 v23, a19
	v_pk_add_f32 v[8:9], v[12:13], v[8:9]
	v_and_b32_e32 v13, 0xffff0000, v33
	v_and_b32_e32 v12, 0xffff0000, v62
	;; [unrolled: 1-line block ×4, first 2 shown]
	v_accvgpr_read_b32 v22, a18
	v_pk_add_f32 v[12:13], v[20:21], v[12:13]
	v_add_f32_e32 v22, v22, v3
	v_add_f32_e32 v3, v8, v9
	;; [unrolled: 1-line block ×3, first 2 shown]
	v_and_b32_e32 v21, 0xffff0000, v26
	v_and_b32_e32 v20, 0xffff0000, v30
	v_and_b32_e32 v27, 0xffff0000, v27
	v_and_b32_e32 v26, 0xffff0000, v35
	v_add_f32_e32 v3, v3, v13
	v_and_b32_e32 v9, 0xffff0000, v55
	v_and_b32_e32 v8, 0xffff0000, v61
	;; [unrolled: 1-line block ×4, first 2 shown]
	v_pk_add_f32 v[20:21], v[26:27], v[20:21]
	v_add_f32_e32 v17, v17, v3
	v_pk_add_f32 v[8:9], v[12:13], v[8:9]
	v_add_f32_e32 v3, v20, v21
	v_add_f32_e32 v3, v3, v8
	;; [unrolled: 1-line block ×4, first 2 shown]
	v_accvgpr_read_b32 v3, a60
	v_and_b32_e32 v8, 0xffff0000, v3
	v_accvgpr_read_b32 v3, a59
	v_and_b32_e32 v12, 0xffff0000, v3
	;; [unrolled: 2-line block ×6, first 2 shown]
	v_and_b32_e32 v9, 0xffff0000, v39
	v_and_b32_e32 v13, 0xffff0000, v37
	v_pk_add_f32 v[20:21], v[26:27], v[20:21]
	v_pk_add_f32 v[8:9], v[12:13], v[8:9]
	v_add_f32_e32 v3, v20, v21
	v_add_f32_e32 v3, v3, v8
	v_add_f32_e32 v3, v3, v9
	v_add_f32_e32 v19, v19, v3
	v_accvgpr_read_b32 v3, a54
	v_and_b32_e32 v9, 0xffff0000, v3
	v_accvgpr_read_b32 v3, a52
	v_and_b32_e32 v8, 0xffff0000, v3
	v_accvgpr_read_b32 v3, a53
	v_and_b32_e32 v13, 0xffff0000, v3
	v_accvgpr_read_b32 v3, a51
	v_and_b32_e32 v12, 0xffff0000, v3
	v_accvgpr_read_b32 v3, a50
	v_and_b32_e32 v21, 0xffff0000, v3
	v_accvgpr_read_b32 v3, a48
	v_and_b32_e32 v20, 0xffff0000, v3
	v_accvgpr_read_b32 v3, a49
	v_and_b32_e32 v27, 0xffff0000, v3
	v_accvgpr_read_b32 v3, a47
	v_and_b32_e32 v26, 0xffff0000, v3
	v_pk_add_f32 v[20:21], v[26:27], v[20:21]
	v_pk_add_f32 v[8:9], v[12:13], v[8:9]
	v_add_f32_e32 v3, v20, v21
	v_add_f32_e32 v3, v3, v8
	v_add_f32_e32 v3, v3, v9
	v_add_f32_e32 v18, v18, v3
	v_accvgpr_read_b32 v3, a46
	v_and_b32_e32 v9, 0xffff0000, v3
	v_accvgpr_read_b32 v3, a44
	v_and_b32_e32 v8, 0xffff0000, v3
	v_accvgpr_read_b32 v3, a45
	v_and_b32_e32 v13, 0xffff0000, v3
	v_accvgpr_read_b32 v3, a43
	v_and_b32_e32 v12, 0xffff0000, v3
	v_accvgpr_read_b32 v3, a42
	v_and_b32_e32 v21, 0xffff0000, v3
	v_accvgpr_read_b32 v3, a40
	v_and_b32_e32 v20, 0xffff0000, v3
	v_accvgpr_read_b32 v3, a41
	v_and_b32_e32 v27, 0xffff0000, v3
	v_accvgpr_read_b32 v3, a39
	;; [unrolled: 22-line block ×3, first 2 shown]
	v_and_b32_e32 v26, 0xffff0000, v3
	v_pk_add_f32 v[20:21], v[26:27], v[20:21]
	v_pk_add_f32 v[8:9], v[12:13], v[8:9]
	v_add_f32_e32 v3, v20, v21
	v_add_f32_e32 v3, v3, v8
	v_and_b32_e32 v7, 0xffff0000, v7
	v_and_b32_e32 v6, 0xffff0000, v1
	;; [unrolled: 1-line block ×4, first 2 shown]
	v_add_f32_e32 v3, v3, v9
	v_and_b32_e32 v9, 0xffff0000, v10
	v_and_b32_e32 v8, 0xffff0000, v36
	;; [unrolled: 1-line block ×4, first 2 shown]
	v_pk_add_f32 v[0:1], v[0:1], v[6:7]
	v_add_f32_e32 v24, v24, v3
	v_pk_add_f32 v[2:3], v[12:13], v[8:9]
	v_add_f32_e32 v0, v0, v1
	v_add_f32_e32 v0, v0, v2
	;; [unrolled: 1-line block ×4, first 2 shown]
	v_accvgpr_write_b32 a18, v22
	v_accvgpr_write_b32 a19, v23
.LBB358_689:                            ;   in Loop: Header=BB358_690 Depth=1
	s_or_b64 exec, exec, s[22:23]
	buffer_load_dword v0, off, s[0:3], s32 offset:208 ; 4-byte Folded Reload
	v_accvgpr_read_b32 v2, a12
	v_add_co_u32_e32 v14, vcc, 8, v14
	v_add_u32_e32 v2, 2, v2
	v_addc_co_u32_e32 v15, vcc, 0, v15, vcc
	v_accvgpr_read_b32 v1, a13
	v_add_u32_e32 v1, 32, v1
	v_accvgpr_write_b32 a12, v2
	v_add_u32_e32 v4, 0x80, v4
	s_waitcnt vmcnt(0)
	v_cmp_ge_i32_e32 vcc, v2, v0
	s_or_b64 s[12:13], vcc, s[12:13]
	s_andn2_b64 exec, exec, s[12:13]
	s_cbranch_execz .LBB358_1635
.LBB358_690:                            ; =>This Inner Loop Header: Depth=1
	s_waitcnt vmcnt(0)
	v_ashrrev_i32_e32 v0, 31, v1
	v_mov_b32_e32 v2, v1
	buffer_load_dword v1, off, s[0:3], s32 offset:204 ; 4-byte Folded Reload
	buffer_load_dword v5, off, s[0:3], s32 offset:200 ; 4-byte Folded Reload
	v_accvgpr_write_b32 a13, v2
	v_accvgpr_read_b32 v6, a22
	s_waitcnt vmcnt(1)
	v_xor_b32_e32 v0, v0, v1
	v_sub_u32_e32 v1, 0, v2
	v_max_i32_e32 v1, v2, v1
	buffer_load_dword v2, off, s[0:3], s32 offset:220 ; 4-byte Folded Reload
	s_waitcnt vmcnt(0)
	v_mul_hi_u32 v2, v1, v2
	v_mul_lo_u32 v3, v2, v5
	v_sub_u32_e32 v1, v1, v3
	v_add_u32_e32 v3, 1, v2
	v_cmp_ge_u32_e32 vcc, v1, v5
	v_cndmask_b32_e32 v2, v2, v3, vcc
	v_sub_u32_e32 v3, v1, v5
	v_cndmask_b32_e32 v1, v1, v3, vcc
	v_add_u32_e32 v3, 1, v2
	v_cmp_ge_u32_e32 vcc, v1, v5
	v_cndmask_b32_e32 v1, v2, v3, vcc
	buffer_load_dword v2, off, s[0:3], s32 offset:212 ; 4-byte Folded Reload
	buffer_load_dword v3, off, s[0:3], s32 offset:216 ; 4-byte Folded Reload
	v_xor_b32_e32 v1, v1, v0
	v_sub_u32_e32 v0, v1, v0
	s_waitcnt vmcnt(1)
	v_add_u32_e32 v1, v0, v2
	s_waitcnt vmcnt(0)
	v_sub_u32_e32 v3, 0, v1
	v_ashrrev_i32_e32 v2, 31, v1
	v_max_i32_e32 v1, v1, v3
	v_mul_hi_u32 v3, v1, v6
	v_mul_lo_u32 v3, v3, v38
	v_sub_u32_e32 v1, v1, v3
	v_sub_u32_e32 v3, v1, v38
	v_cmp_ge_u32_e32 vcc, v1, v38
	v_cndmask_b32_e32 v1, v1, v3, vcc
	v_sub_u32_e32 v3, v1, v38
	v_cmp_ge_u32_e32 vcc, v1, v38
	v_cndmask_b32_e32 v1, v1, v3, vcc
	v_xor_b32_e32 v1, v1, v2
	v_sub_u32_e32 v1, v1, v2
	v_cmp_eq_u32_e32 vcc, 0, v1
	buffer_load_dword v1, off, s[0:3], s32 offset:224 ; 4-byte Folded Reload
	s_waitcnt vmcnt(0)
	v_cmp_gt_i32_e64 s[4:5], v0, v1
	s_or_b64 s[4:5], vcc, s[4:5]
	s_and_saveexec_b64 s[22:23], s[4:5]
	s_cbranch_execz .LBB358_689
; %bb.691:                              ;   in Loop: Header=BB358_690 Depth=1
	flat_load_dword v5, v[14:15]
	ds_read2_b64 v[6:9], v4 offset1:1
	ds_read2_b64 v[0:3], v4 offset0:2 offset1:3
                                        ; implicit-def: $vgpr29
	s_waitcnt lgkmcnt(0)
	v_and_b32_e32 v10, 0x7f800000, v6
	v_cmp_ne_u32_e32 vcc, s15, v10
	s_and_saveexec_b64 s[4:5], vcc
	s_xor_b64 s[4:5], exec, s[4:5]
; %bb.692:                              ;   in Loop: Header=BB358_690 Depth=1
	v_bfe_u32 v10, v6, 16, 1
	v_add3_u32 v29, v6, v10, s30
; %bb.693:                              ;   in Loop: Header=BB358_690 Depth=1
	s_andn2_saveexec_b64 s[4:5], s[4:5]
; %bb.694:                              ;   in Loop: Header=BB358_690 Depth=1
	v_or_b32_e32 v10, 0x10000, v6
	v_cmp_eq_u32_sdwa vcc, v6, v11 src0_sel:WORD_0 src1_sel:DWORD
	v_cndmask_b32_e32 v29, v10, v6, vcc
; %bb.695:                              ;   in Loop: Header=BB358_690 Depth=1
	s_or_b64 exec, exec, s[4:5]
	v_and_b32_e32 v6, 0x7f800000, v7
	v_cmp_ne_u32_e32 vcc, s15, v6
                                        ; implicit-def: $vgpr27
	s_and_saveexec_b64 s[4:5], vcc
	s_xor_b64 s[4:5], exec, s[4:5]
; %bb.696:                              ;   in Loop: Header=BB358_690 Depth=1
	v_bfe_u32 v6, v7, 16, 1
	v_add3_u32 v27, v7, v6, s30
; %bb.697:                              ;   in Loop: Header=BB358_690 Depth=1
	s_andn2_saveexec_b64 s[4:5], s[4:5]
; %bb.698:                              ;   in Loop: Header=BB358_690 Depth=1
	v_or_b32_e32 v6, 0x10000, v7
	v_cmp_eq_u32_sdwa vcc, v7, v11 src0_sel:WORD_0 src1_sel:DWORD
	v_cndmask_b32_e32 v27, v6, v7, vcc
; %bb.699:                              ;   in Loop: Header=BB358_690 Depth=1
	s_or_b64 exec, exec, s[4:5]
	v_and_b32_e32 v6, 0x7f800000, v8
	v_cmp_ne_u32_e32 vcc, s15, v6
                                        ; implicit-def: $vgpr26
	s_and_saveexec_b64 s[4:5], vcc
	s_xor_b64 s[4:5], exec, s[4:5]
; %bb.700:                              ;   in Loop: Header=BB358_690 Depth=1
	v_bfe_u32 v6, v8, 16, 1
	v_add3_u32 v26, v8, v6, s30
; %bb.701:                              ;   in Loop: Header=BB358_690 Depth=1
	s_andn2_saveexec_b64 s[4:5], s[4:5]
; %bb.702:                              ;   in Loop: Header=BB358_690 Depth=1
	v_or_b32_e32 v6, 0x10000, v8
	v_cmp_eq_u32_sdwa vcc, v8, v11 src0_sel:WORD_0 src1_sel:DWORD
	v_cndmask_b32_e32 v26, v6, v8, vcc
; %bb.703:                              ;   in Loop: Header=BB358_690 Depth=1
	s_or_b64 exec, exec, s[4:5]
	v_and_b32_e32 v6, 0x7f800000, v9
	v_cmp_ne_u32_e32 vcc, s15, v6
                                        ; implicit-def: $vgpr22
	s_and_saveexec_b64 s[4:5], vcc
	s_xor_b64 s[4:5], exec, s[4:5]
; %bb.704:                              ;   in Loop: Header=BB358_690 Depth=1
	v_bfe_u32 v6, v9, 16, 1
	v_add3_u32 v22, v9, v6, s30
                                        ; implicit-def: $vgpr6_vgpr7_vgpr8_vgpr9
; %bb.705:                              ;   in Loop: Header=BB358_690 Depth=1
	s_andn2_saveexec_b64 s[4:5], s[4:5]
; %bb.706:                              ;   in Loop: Header=BB358_690 Depth=1
	v_or_b32_e32 v6, 0x10000, v9
	v_cmp_eq_u32_sdwa vcc, v9, v11 src0_sel:WORD_0 src1_sel:DWORD
	v_cndmask_b32_e32 v22, v6, v9, vcc
; %bb.707:                              ;   in Loop: Header=BB358_690 Depth=1
	s_or_b64 exec, exec, s[4:5]
	v_and_b32_e32 v6, 0x7f800000, v0
	v_cmp_ne_u32_e32 vcc, s15, v6
                                        ; implicit-def: $vgpr21
	s_and_saveexec_b64 s[4:5], vcc
	s_xor_b64 s[4:5], exec, s[4:5]
; %bb.708:                              ;   in Loop: Header=BB358_690 Depth=1
	v_bfe_u32 v6, v0, 16, 1
	v_add3_u32 v21, v0, v6, s30
; %bb.709:                              ;   in Loop: Header=BB358_690 Depth=1
	s_andn2_saveexec_b64 s[4:5], s[4:5]
; %bb.710:                              ;   in Loop: Header=BB358_690 Depth=1
	v_or_b32_e32 v6, 0x10000, v0
	v_cmp_eq_u32_sdwa vcc, v0, v11 src0_sel:WORD_0 src1_sel:DWORD
	v_cndmask_b32_e32 v21, v6, v0, vcc
; %bb.711:                              ;   in Loop: Header=BB358_690 Depth=1
	s_or_b64 exec, exec, s[4:5]
	v_and_b32_e32 v0, 0x7f800000, v1
	v_cmp_ne_u32_e32 vcc, s15, v0
                                        ; implicit-def: $vgpr20
	s_and_saveexec_b64 s[4:5], vcc
	s_xor_b64 s[4:5], exec, s[4:5]
; %bb.712:                              ;   in Loop: Header=BB358_690 Depth=1
	v_bfe_u32 v0, v1, 16, 1
	v_add3_u32 v20, v1, v0, s30
; %bb.713:                              ;   in Loop: Header=BB358_690 Depth=1
	s_andn2_saveexec_b64 s[4:5], s[4:5]
; %bb.714:                              ;   in Loop: Header=BB358_690 Depth=1
	v_or_b32_e32 v0, 0x10000, v1
	v_cmp_eq_u32_sdwa vcc, v1, v11 src0_sel:WORD_0 src1_sel:DWORD
	v_cndmask_b32_e32 v20, v0, v1, vcc
; %bb.715:                              ;   in Loop: Header=BB358_690 Depth=1
	s_or_b64 exec, exec, s[4:5]
	v_and_b32_e32 v0, 0x7f800000, v2
	v_cmp_ne_u32_e32 vcc, s15, v0
                                        ; implicit-def: $vgpr9
	s_and_saveexec_b64 s[4:5], vcc
	s_xor_b64 s[4:5], exec, s[4:5]
; %bb.716:                              ;   in Loop: Header=BB358_690 Depth=1
	v_bfe_u32 v0, v2, 16, 1
	v_add3_u32 v9, v2, v0, s30
; %bb.717:                              ;   in Loop: Header=BB358_690 Depth=1
	s_andn2_saveexec_b64 s[4:5], s[4:5]
; %bb.718:                              ;   in Loop: Header=BB358_690 Depth=1
	v_or_b32_e32 v0, 0x10000, v2
	v_cmp_eq_u32_sdwa vcc, v2, v11 src0_sel:WORD_0 src1_sel:DWORD
	v_cndmask_b32_e32 v9, v0, v2, vcc
; %bb.719:                              ;   in Loop: Header=BB358_690 Depth=1
	s_or_b64 exec, exec, s[4:5]
	v_and_b32_e32 v0, 0x7f800000, v3
	v_cmp_ne_u32_e32 vcc, s15, v0
                                        ; implicit-def: $vgpr8
	s_and_saveexec_b64 s[4:5], vcc
	s_xor_b64 s[4:5], exec, s[4:5]
; %bb.720:                              ;   in Loop: Header=BB358_690 Depth=1
	v_bfe_u32 v0, v3, 16, 1
	v_add3_u32 v8, v3, v0, s30
                                        ; implicit-def: $vgpr0_vgpr1_vgpr2_vgpr3
; %bb.721:                              ;   in Loop: Header=BB358_690 Depth=1
	s_andn2_saveexec_b64 s[4:5], s[4:5]
; %bb.722:                              ;   in Loop: Header=BB358_690 Depth=1
	v_or_b32_e32 v0, 0x10000, v3
	v_cmp_eq_u32_sdwa vcc, v3, v11 src0_sel:WORD_0 src1_sel:DWORD
	v_cndmask_b32_e32 v8, v0, v3, vcc
; %bb.723:                              ;   in Loop: Header=BB358_690 Depth=1
	s_or_b64 exec, exec, s[4:5]
	buffer_load_dword v0, off, s[0:3], s32 offset:228 ; 4-byte Folded Reload
	buffer_load_dword v1, off, s[0:3], s32 offset:232 ; 4-byte Folded Reload
	v_accvgpr_read_b32 v2, a24
	v_accvgpr_read_b32 v3, a25
	s_waitcnt vmcnt(0)
	v_mad_i64_i32 v[0:1], s[4:5], v5, v0, v[2:3]
	flat_load_dwordx2 v[2:3], v[0:1]
	buffer_load_dword v6, off, s[0:3], s32 offset:272 ; 4-byte Folded Reload
	buffer_load_dword v7, off, s[0:3], s32 offset:276 ; 4-byte Folded Reload
	v_mov_b32_e32 v5, 0
	s_waitcnt vmcnt(0) lgkmcnt(0)
	v_cmp_ne_u16_sdwa s[24:25], v2, v11 src0_sel:BYTE_0 src1_sel:DWORD
	flat_load_dword v7, v[6:7]
	s_and_saveexec_b64 s[4:5], s[24:25]
	s_cbranch_execz .LBB358_729
; %bb.724:                              ;   in Loop: Header=BB358_690 Depth=1
	v_cmp_ne_u16_sdwa s[26:27], v2, s31 src0_sel:BYTE_0 src1_sel:DWORD
	v_bfrev_b32_e32 v5, 1
	s_and_saveexec_b64 s[24:25], s[26:27]
	s_cbranch_execz .LBB358_728
; %bb.725:                              ;   in Loop: Header=BB358_690 Depth=1
	v_and_b32_e32 v6, 0x7f, v2
	v_cmp_ne_u32_e32 vcc, s34, v6
	v_mov_b32_e32 v5, 0x7f800001
	s_and_saveexec_b64 s[26:27], vcc
	s_cbranch_execz .LBB358_727
; %bb.726:                              ;   in Loop: Header=BB358_690 Depth=1
	v_and_b32_e32 v5, 7, v2
	v_ffbh_u32_e32 v5, v5
	v_min_u32_e32 v5, 32, v5
	v_subrev_u32_e32 v12, 28, v5
	v_cmp_gt_u32_e32 vcc, 8, v6
	v_lshrrev_b32_e32 v10, 3, v6
	v_cndmask_b32_e32 v6, 0, v12, vcc
	v_sub_u32_e32 v5, 29, v5
	v_lshlrev_b64 v[30:31], v6, v[2:3]
	v_cndmask_b32_e32 v5, v10, v5, vcc
	v_lshlrev_b32_e32 v6, 20, v30
	v_lshlrev_b32_e32 v10, 24, v2
	v_bfrev_b32_e32 v12, 60
	v_and_b32_e32 v6, 0x700000, v6
	v_and_b32_e32 v10, 0x80000000, v10
	v_lshl_add_u32 v5, v5, 23, v12
	v_or3_b32 v5, v10, v5, v6
.LBB358_727:                            ;   in Loop: Header=BB358_690 Depth=1
	s_or_b64 exec, exec, s[26:27]
.LBB358_728:                            ;   in Loop: Header=BB358_690 Depth=1
	s_or_b64 exec, exec, s[24:25]
.LBB358_729:                            ;   in Loop: Header=BB358_690 Depth=1
	s_or_b64 exec, exec, s[4:5]
	s_waitcnt vmcnt(0) lgkmcnt(0)
	v_mul_f32_e32 v5, v7, v5
	v_and_b32_e32 v6, 0x7f800000, v5
	v_cmp_ne_u32_e32 vcc, s15, v6
                                        ; implicit-def: $vgpr30
	s_and_saveexec_b64 s[4:5], vcc
	s_xor_b64 s[4:5], exec, s[4:5]
; %bb.730:                              ;   in Loop: Header=BB358_690 Depth=1
	v_bfe_u32 v6, v5, 16, 1
	v_add3_u32 v30, v5, v6, s30
                                        ; implicit-def: $vgpr5
; %bb.731:                              ;   in Loop: Header=BB358_690 Depth=1
	s_andn2_saveexec_b64 s[4:5], s[4:5]
; %bb.732:                              ;   in Loop: Header=BB358_690 Depth=1
	v_or_b32_e32 v6, 0x10000, v5
	v_cmp_eq_u32_sdwa vcc, v5, v11 src0_sel:WORD_0 src1_sel:DWORD
	v_cndmask_b32_e32 v30, v6, v5, vcc
; %bb.733:                              ;   in Loop: Header=BB358_690 Depth=1
	s_or_b64 exec, exec, s[4:5]
	v_lshrrev_b16_e32 v6, 8, v2
	v_cmp_ne_u16_e32 vcc, 0, v6
	v_mov_b32_e32 v5, 0
	s_and_saveexec_b64 s[4:5], vcc
	s_cbranch_execz .LBB358_739
; %bb.734:                              ;   in Loop: Header=BB358_690 Depth=1
	v_cmp_ne_u16_e32 vcc, s31, v6
	v_bfrev_b32_e32 v5, 1
	s_and_saveexec_b64 s[24:25], vcc
	s_cbranch_execz .LBB358_738
; %bb.735:                              ;   in Loop: Header=BB358_690 Depth=1
	v_and_b32_e32 v10, 0x7f, v6
	v_cmp_ne_u32_e32 vcc, s34, v10
	v_mov_b32_e32 v5, 0x7f800001
	s_and_saveexec_b64 s[26:27], vcc
	s_cbranch_execz .LBB358_737
; %bb.736:                              ;   in Loop: Header=BB358_690 Depth=1
	v_and_b32_e32 v5, 7, v6
	v_ffbh_u32_e32 v13, v5
	v_min_u32_e32 v13, 32, v13
	v_subrev_u32_e32 v23, 28, v13
	v_lshlrev_b64 v[32:33], v23, v[6:7]
	v_lshrrev_b32_e32 v12, 3, v10
	v_sub_u32_e32 v6, 29, v13
	v_and_b32_e32 v13, 7, v32
	v_cmp_gt_u32_e32 vcc, 8, v10
	v_cndmask_b32_e32 v6, v12, v6, vcc
	v_cndmask_b32_e32 v5, v5, v13, vcc
	v_lshlrev_b32_e32 v10, 16, v2
	v_bfrev_b32_e32 v12, 60
	v_lshlrev_b32_e32 v5, 20, v5
	v_and_b32_e32 v10, 0x80000000, v10
	v_lshl_add_u32 v6, v6, 23, v12
	v_or3_b32 v5, v10, v6, v5
.LBB358_737:                            ;   in Loop: Header=BB358_690 Depth=1
	s_or_b64 exec, exec, s[26:27]
.LBB358_738:                            ;   in Loop: Header=BB358_690 Depth=1
	s_or_b64 exec, exec, s[24:25]
.LBB358_739:                            ;   in Loop: Header=BB358_690 Depth=1
	s_or_b64 exec, exec, s[4:5]
	v_mul_f32_e32 v5, v7, v5
	v_and_b32_e32 v6, 0x7f800000, v5
	v_cmp_ne_u32_e32 vcc, s15, v6
                                        ; implicit-def: $vgpr31
	s_and_saveexec_b64 s[4:5], vcc
	s_xor_b64 s[4:5], exec, s[4:5]
; %bb.740:                              ;   in Loop: Header=BB358_690 Depth=1
	v_bfe_u32 v6, v5, 16, 1
	v_add3_u32 v31, v5, v6, s30
                                        ; implicit-def: $vgpr5
; %bb.741:                              ;   in Loop: Header=BB358_690 Depth=1
	s_andn2_saveexec_b64 s[4:5], s[4:5]
; %bb.742:                              ;   in Loop: Header=BB358_690 Depth=1
	v_or_b32_e32 v6, 0x10000, v5
	v_cmp_eq_u32_sdwa vcc, v5, v11 src0_sel:WORD_0 src1_sel:DWORD
	v_cndmask_b32_e32 v31, v6, v5, vcc
; %bb.743:                              ;   in Loop: Header=BB358_690 Depth=1
	s_or_b64 exec, exec, s[4:5]
	v_lshrrev_b32_e32 v6, 16, v2
	v_cmp_ne_u16_sdwa s[24:25], v6, v11 src0_sel:BYTE_0 src1_sel:DWORD
	v_mov_b32_e32 v5, 0
	s_and_saveexec_b64 s[4:5], s[24:25]
	s_cbranch_execz .LBB358_749
; %bb.744:                              ;   in Loop: Header=BB358_690 Depth=1
	v_cmp_ne_u16_sdwa s[26:27], v6, s31 src0_sel:BYTE_0 src1_sel:DWORD
	v_bfrev_b32_e32 v5, 1
	s_and_saveexec_b64 s[24:25], s[26:27]
	s_cbranch_execz .LBB358_748
; %bb.745:                              ;   in Loop: Header=BB358_690 Depth=1
	v_bfe_u32 v10, v2, 16, 7
	v_cmp_ne_u32_e32 vcc, s34, v10
	v_mov_b32_e32 v5, 0x7f800001
	s_and_saveexec_b64 s[26:27], vcc
	s_cbranch_execz .LBB358_747
; %bb.746:                              ;   in Loop: Header=BB358_690 Depth=1
	v_and_b32_e32 v5, 7, v6
	v_ffbh_u32_e32 v13, v5
	v_min_u32_e32 v13, 32, v13
	v_subrev_u32_e32 v23, 28, v13
	v_lshlrev_b64 v[32:33], v23, v[6:7]
	v_lshrrev_b32_e32 v12, 3, v10
	v_sub_u32_e32 v13, 29, v13
	v_and_b32_e32 v23, 7, v32
	v_cmp_gt_u32_e32 vcc, 8, v10
	v_cndmask_b32_e32 v10, v12, v13, vcc
	v_cndmask_b32_e32 v5, v5, v23, vcc
	v_lshlrev_b32_e32 v6, 24, v6
	v_bfrev_b32_e32 v12, 60
	v_lshlrev_b32_e32 v5, 20, v5
	v_and_b32_e32 v6, 0x80000000, v6
	v_lshl_add_u32 v10, v10, 23, v12
	v_or3_b32 v5, v6, v10, v5
.LBB358_747:                            ;   in Loop: Header=BB358_690 Depth=1
	s_or_b64 exec, exec, s[26:27]
.LBB358_748:                            ;   in Loop: Header=BB358_690 Depth=1
	s_or_b64 exec, exec, s[24:25]
.LBB358_749:                            ;   in Loop: Header=BB358_690 Depth=1
	s_or_b64 exec, exec, s[4:5]
	v_mul_f32_e32 v5, v7, v5
	v_and_b32_e32 v6, 0x7f800000, v5
	v_cmp_ne_u32_e32 vcc, s15, v6
                                        ; implicit-def: $vgpr32
	s_and_saveexec_b64 s[4:5], vcc
	s_xor_b64 s[4:5], exec, s[4:5]
; %bb.750:                              ;   in Loop: Header=BB358_690 Depth=1
	v_bfe_u32 v6, v5, 16, 1
	v_add3_u32 v32, v5, v6, s30
                                        ; implicit-def: $vgpr5
; %bb.751:                              ;   in Loop: Header=BB358_690 Depth=1
	s_andn2_saveexec_b64 s[4:5], s[4:5]
; %bb.752:                              ;   in Loop: Header=BB358_690 Depth=1
	v_or_b32_e32 v6, 0x10000, v5
	v_cmp_eq_u32_sdwa vcc, v5, v11 src0_sel:WORD_0 src1_sel:DWORD
	v_cndmask_b32_e32 v32, v6, v5, vcc
; %bb.753:                              ;   in Loop: Header=BB358_690 Depth=1
	s_or_b64 exec, exec, s[4:5]
	v_cmp_lt_u32_e32 vcc, s11, v2
	v_mov_b32_e32 v5, 0
	s_and_saveexec_b64 s[4:5], vcc
	s_cbranch_execz .LBB358_759
; %bb.754:                              ;   in Loop: Header=BB358_690 Depth=1
	v_lshrrev_b32_e32 v6, 24, v2
	v_cmp_ne_u32_e32 vcc, s31, v6
	v_bfrev_b32_e32 v5, 1
	s_and_saveexec_b64 s[24:25], vcc
	s_cbranch_execz .LBB358_758
; %bb.755:                              ;   in Loop: Header=BB358_690 Depth=1
	v_bfe_u32 v10, v2, 24, 7
	v_cmp_ne_u32_e32 vcc, s34, v10
	v_mov_b32_e32 v5, 0x7f800001
	s_and_saveexec_b64 s[26:27], vcc
	s_cbranch_execz .LBB358_757
; %bb.756:                              ;   in Loop: Header=BB358_690 Depth=1
	v_and_b32_e32 v5, 7, v6
	v_ffbh_u32_e32 v13, v5
	v_min_u32_e32 v13, 32, v13
	v_subrev_u32_e32 v23, 28, v13
	v_lshlrev_b64 v[34:35], v23, v[6:7]
	v_lshrrev_b32_e32 v12, 3, v10
	v_sub_u32_e32 v13, 29, v13
	v_and_b32_e32 v23, 7, v34
	v_cmp_gt_u32_e32 vcc, 8, v10
	v_cndmask_b32_e32 v10, v12, v13, vcc
	v_cndmask_b32_e32 v5, v5, v23, vcc
	v_lshlrev_b32_e32 v6, 24, v6
	v_bfrev_b32_e32 v12, 60
	v_lshlrev_b32_e32 v5, 20, v5
	v_and_b32_e32 v6, 0x80000000, v6
	v_lshl_add_u32 v10, v10, 23, v12
	v_or3_b32 v5, v6, v10, v5
.LBB358_757:                            ;   in Loop: Header=BB358_690 Depth=1
	s_or_b64 exec, exec, s[26:27]
.LBB358_758:                            ;   in Loop: Header=BB358_690 Depth=1
	s_or_b64 exec, exec, s[24:25]
.LBB358_759:                            ;   in Loop: Header=BB358_690 Depth=1
	s_or_b64 exec, exec, s[4:5]
	v_mul_f32_e32 v5, v7, v5
	v_and_b32_e32 v6, 0x7f800000, v5
	v_cmp_ne_u32_e32 vcc, s15, v6
                                        ; implicit-def: $vgpr33
	s_and_saveexec_b64 s[4:5], vcc
	s_xor_b64 s[4:5], exec, s[4:5]
; %bb.760:                              ;   in Loop: Header=BB358_690 Depth=1
	v_bfe_u32 v6, v5, 16, 1
	v_add3_u32 v33, v5, v6, s30
                                        ; implicit-def: $vgpr5
; %bb.761:                              ;   in Loop: Header=BB358_690 Depth=1
	s_andn2_saveexec_b64 s[4:5], s[4:5]
; %bb.762:                              ;   in Loop: Header=BB358_690 Depth=1
	v_or_b32_e32 v6, 0x10000, v5
	v_cmp_eq_u32_sdwa vcc, v5, v11 src0_sel:WORD_0 src1_sel:DWORD
	v_cndmask_b32_e32 v33, v6, v5, vcc
; %bb.763:                              ;   in Loop: Header=BB358_690 Depth=1
	s_or_b64 exec, exec, s[4:5]
	v_mov_b32_e32 v10, v3
	v_cmp_ne_u16_sdwa s[24:25], v3, v11 src0_sel:BYTE_0 src1_sel:DWORD
	v_mov_b32_e32 v5, 0
	s_and_saveexec_b64 s[4:5], s[24:25]
	s_cbranch_execz .LBB358_769
; %bb.764:                              ;   in Loop: Header=BB358_690 Depth=1
	v_cmp_ne_u16_sdwa s[26:27], v3, s31 src0_sel:BYTE_0 src1_sel:DWORD
	v_bfrev_b32_e32 v5, 1
	s_and_saveexec_b64 s[24:25], s[26:27]
	s_cbranch_execz .LBB358_768
; %bb.765:                              ;   in Loop: Header=BB358_690 Depth=1
	v_and_b32_e32 v6, 0x7f, v3
	v_cmp_ne_u32_e32 vcc, s34, v6
	v_mov_b32_e32 v5, 0x7f800001
	s_and_saveexec_b64 s[26:27], vcc
	s_cbranch_execz .LBB358_767
; %bb.766:                              ;   in Loop: Header=BB358_690 Depth=1
	v_and_b32_e32 v5, 7, v3
	v_ffbh_u32_e32 v5, v5
	v_min_u32_e32 v5, 32, v5
	v_subrev_u32_e32 v13, 28, v5
	v_cmp_gt_u32_e32 vcc, 8, v6
	v_lshrrev_b32_e32 v12, 3, v6
	v_cndmask_b32_e32 v6, 0, v13, vcc
	v_sub_u32_e32 v5, 29, v5
	v_lshlrev_b64 v[34:35], v6, v[10:11]
	v_cndmask_b32_e32 v5, v12, v5, vcc
	v_lshlrev_b32_e32 v6, 20, v34
	v_lshlrev_b32_e32 v12, 24, v10
	v_bfrev_b32_e32 v13, 60
	v_and_b32_e32 v6, 0x700000, v6
	v_and_b32_e32 v12, 0x80000000, v12
	v_lshl_add_u32 v5, v5, 23, v13
	v_or3_b32 v5, v12, v5, v6
.LBB358_767:                            ;   in Loop: Header=BB358_690 Depth=1
	s_or_b64 exec, exec, s[26:27]
.LBB358_768:                            ;   in Loop: Header=BB358_690 Depth=1
	s_or_b64 exec, exec, s[24:25]
.LBB358_769:                            ;   in Loop: Header=BB358_690 Depth=1
	s_or_b64 exec, exec, s[4:5]
	v_mul_f32_e32 v5, v7, v5
	v_and_b32_e32 v6, 0x7f800000, v5
	v_cmp_ne_u32_e32 vcc, s15, v6
                                        ; implicit-def: $vgpr34
	s_and_saveexec_b64 s[4:5], vcc
	s_xor_b64 s[4:5], exec, s[4:5]
; %bb.770:                              ;   in Loop: Header=BB358_690 Depth=1
	v_bfe_u32 v6, v5, 16, 1
	v_add3_u32 v34, v5, v6, s30
                                        ; implicit-def: $vgpr5
; %bb.771:                              ;   in Loop: Header=BB358_690 Depth=1
	s_andn2_saveexec_b64 s[4:5], s[4:5]
; %bb.772:                              ;   in Loop: Header=BB358_690 Depth=1
	v_or_b32_e32 v6, 0x10000, v5
	v_cmp_eq_u32_sdwa vcc, v5, v11 src0_sel:WORD_0 src1_sel:DWORD
	v_cndmask_b32_e32 v34, v6, v5, vcc
; %bb.773:                              ;   in Loop: Header=BB358_690 Depth=1
	s_or_b64 exec, exec, s[4:5]
	v_lshrrev_b16_e32 v6, 8, v10
	v_cmp_ne_u16_e32 vcc, 0, v6
	v_mov_b32_e32 v5, 0
	s_and_saveexec_b64 s[4:5], vcc
	s_cbranch_execz .LBB358_779
; %bb.774:                              ;   in Loop: Header=BB358_690 Depth=1
	v_cmp_ne_u16_e32 vcc, s31, v6
	v_bfrev_b32_e32 v5, 1
	s_and_saveexec_b64 s[24:25], vcc
	s_cbranch_execz .LBB358_778
; %bb.775:                              ;   in Loop: Header=BB358_690 Depth=1
	v_and_b32_e32 v35, 0x7f, v6
	v_cmp_ne_u32_e32 vcc, s34, v35
	v_mov_b32_e32 v5, 0x7f800001
	s_and_saveexec_b64 s[26:27], vcc
	s_cbranch_execz .LBB358_777
; %bb.776:                              ;   in Loop: Header=BB358_690 Depth=1
	v_and_b32_e32 v5, 7, v6
	v_ffbh_u32_e32 v13, v5
	v_min_u32_e32 v13, 32, v13
	v_subrev_u32_e32 v23, 28, v13
	v_lshlrev_b64 v[36:37], v23, v[6:7]
	v_lshrrev_b32_e32 v12, 3, v35
	v_sub_u32_e32 v6, 29, v13
	v_and_b32_e32 v13, 7, v36
	v_cmp_gt_u32_e32 vcc, 8, v35
	v_cndmask_b32_e32 v6, v12, v6, vcc
	v_cndmask_b32_e32 v5, v5, v13, vcc
	v_lshlrev_b32_e32 v10, 16, v10
	v_bfrev_b32_e32 v12, 60
	v_lshlrev_b32_e32 v5, 20, v5
	v_and_b32_e32 v10, 0x80000000, v10
	v_lshl_add_u32 v6, v6, 23, v12
	v_or3_b32 v5, v10, v6, v5
.LBB358_777:                            ;   in Loop: Header=BB358_690 Depth=1
	s_or_b64 exec, exec, s[26:27]
.LBB358_778:                            ;   in Loop: Header=BB358_690 Depth=1
	s_or_b64 exec, exec, s[24:25]
.LBB358_779:                            ;   in Loop: Header=BB358_690 Depth=1
	s_or_b64 exec, exec, s[4:5]
	v_mul_f32_e32 v6, v7, v5
	v_and_b32_e32 v5, 0x7f800000, v6
	v_cmp_ne_u32_e32 vcc, s15, v5
                                        ; implicit-def: $vgpr5
	s_and_saveexec_b64 s[4:5], vcc
	s_xor_b64 s[4:5], exec, s[4:5]
; %bb.780:                              ;   in Loop: Header=BB358_690 Depth=1
	v_bfe_u32 v5, v6, 16, 1
	v_add3_u32 v5, v6, v5, s30
                                        ; implicit-def: $vgpr6
; %bb.781:                              ;   in Loop: Header=BB358_690 Depth=1
	s_andn2_saveexec_b64 s[4:5], s[4:5]
; %bb.782:                              ;   in Loop: Header=BB358_690 Depth=1
	v_or_b32_e32 v5, 0x10000, v6
	v_cmp_eq_u32_sdwa vcc, v6, v11 src0_sel:WORD_0 src1_sel:DWORD
	v_cndmask_b32_e32 v5, v5, v6, vcc
; %bb.783:                              ;   in Loop: Header=BB358_690 Depth=1
	s_or_b64 exec, exec, s[4:5]
	v_lshrrev_b32_e32 v6, 16, v3
	v_cmp_ne_u16_sdwa s[24:25], v6, v11 src0_sel:BYTE_0 src1_sel:DWORD
	v_mov_b32_e32 v10, 0
	s_and_saveexec_b64 s[4:5], s[24:25]
	s_cbranch_execz .LBB358_789
; %bb.784:                              ;   in Loop: Header=BB358_690 Depth=1
	v_cmp_ne_u16_sdwa s[26:27], v6, s31 src0_sel:BYTE_0 src1_sel:DWORD
	v_bfrev_b32_e32 v10, 1
	s_and_saveexec_b64 s[24:25], s[26:27]
	s_cbranch_execz .LBB358_788
; %bb.785:                              ;   in Loop: Header=BB358_690 Depth=1
	v_bfe_u32 v35, v3, 16, 7
	v_cmp_ne_u32_e32 vcc, s34, v35
	v_mov_b32_e32 v10, 0x7f800001
	s_and_saveexec_b64 s[26:27], vcc
	s_cbranch_execz .LBB358_787
; %bb.786:                              ;   in Loop: Header=BB358_690 Depth=1
	v_and_b32_e32 v10, 7, v6
	v_ffbh_u32_e32 v13, v10
	v_min_u32_e32 v13, 32, v13
	v_subrev_u32_e32 v23, 28, v13
	v_lshlrev_b64 v[36:37], v23, v[6:7]
	v_lshrrev_b32_e32 v12, 3, v35
	v_sub_u32_e32 v13, 29, v13
	v_and_b32_e32 v23, 7, v36
	v_cmp_gt_u32_e32 vcc, 8, v35
	v_cndmask_b32_e32 v12, v12, v13, vcc
	v_cndmask_b32_e32 v10, v10, v23, vcc
	v_lshlrev_b32_e32 v6, 24, v6
	v_bfrev_b32_e32 v13, 60
	v_lshlrev_b32_e32 v10, 20, v10
	v_and_b32_e32 v6, 0x80000000, v6
	v_lshl_add_u32 v12, v12, 23, v13
	v_or3_b32 v10, v6, v12, v10
.LBB358_787:                            ;   in Loop: Header=BB358_690 Depth=1
	s_or_b64 exec, exec, s[26:27]
.LBB358_788:                            ;   in Loop: Header=BB358_690 Depth=1
	s_or_b64 exec, exec, s[24:25]
.LBB358_789:                            ;   in Loop: Header=BB358_690 Depth=1
	s_or_b64 exec, exec, s[4:5]
	v_mul_f32_e32 v6, v7, v10
	v_and_b32_e32 v10, 0x7f800000, v6
	v_cmp_ne_u32_e32 vcc, s15, v10
                                        ; implicit-def: $vgpr35
	s_and_saveexec_b64 s[4:5], vcc
	s_xor_b64 s[4:5], exec, s[4:5]
; %bb.790:                              ;   in Loop: Header=BB358_690 Depth=1
	v_bfe_u32 v10, v6, 16, 1
	v_add3_u32 v35, v6, v10, s30
                                        ; implicit-def: $vgpr6
; %bb.791:                              ;   in Loop: Header=BB358_690 Depth=1
	s_andn2_saveexec_b64 s[4:5], s[4:5]
; %bb.792:                              ;   in Loop: Header=BB358_690 Depth=1
	v_or_b32_e32 v10, 0x10000, v6
	v_cmp_eq_u32_sdwa vcc, v6, v11 src0_sel:WORD_0 src1_sel:DWORD
	v_cndmask_b32_e32 v35, v10, v6, vcc
; %bb.793:                              ;   in Loop: Header=BB358_690 Depth=1
	s_or_b64 exec, exec, s[4:5]
	v_cmp_lt_u64_e32 vcc, s[10:11], v[2:3]
	v_mov_b32_e32 v6, 0
	s_and_saveexec_b64 s[4:5], vcc
	s_cbranch_execz .LBB358_799
; %bb.794:                              ;   in Loop: Header=BB358_690 Depth=1
	v_lshrrev_b32_e32 v2, 24, v3
	v_cmp_ne_u32_e32 vcc, s31, v2
	v_bfrev_b32_e32 v6, 1
	s_and_saveexec_b64 s[24:25], vcc
	s_cbranch_execz .LBB358_798
; %bb.795:                              ;   in Loop: Header=BB358_690 Depth=1
	v_bfe_u32 v3, v3, 24, 7
	v_cmp_ne_u32_e32 vcc, s34, v3
	v_mov_b32_e32 v6, 0x7f800001
	s_and_saveexec_b64 s[26:27], vcc
	s_cbranch_execz .LBB358_797
; %bb.796:                              ;   in Loop: Header=BB358_690 Depth=1
	v_and_b32_e32 v6, 7, v2
	v_ffbh_u32_e32 v12, v6
	v_min_u32_e32 v12, 32, v12
	v_subrev_u32_e32 v13, 28, v12
	v_lshlrev_b64 v[36:37], v13, v[2:3]
	v_lshrrev_b32_e32 v10, 3, v3
	v_sub_u32_e32 v12, 29, v12
	v_and_b32_e32 v13, 7, v36
	v_cmp_gt_u32_e32 vcc, 8, v3
	v_cndmask_b32_e32 v3, v10, v12, vcc
	v_cndmask_b32_e32 v6, v6, v13, vcc
	v_lshlrev_b32_e32 v2, 24, v2
	v_bfrev_b32_e32 v10, 60
	v_lshlrev_b32_e32 v6, 20, v6
	v_and_b32_e32 v2, 0x80000000, v2
	v_lshl_add_u32 v3, v3, 23, v10
	v_or3_b32 v6, v2, v3, v6
.LBB358_797:                            ;   in Loop: Header=BB358_690 Depth=1
	s_or_b64 exec, exec, s[26:27]
.LBB358_798:                            ;   in Loop: Header=BB358_690 Depth=1
	s_or_b64 exec, exec, s[24:25]
.LBB358_799:                            ;   in Loop: Header=BB358_690 Depth=1
	s_or_b64 exec, exec, s[4:5]
	v_mul_f32_e32 v3, v7, v6
	v_and_b32_e32 v2, 0x7f800000, v3
	v_cmp_ne_u32_e32 vcc, s15, v2
                                        ; implicit-def: $vgpr2
	s_and_saveexec_b64 s[4:5], vcc
	s_xor_b64 s[4:5], exec, s[4:5]
; %bb.800:                              ;   in Loop: Header=BB358_690 Depth=1
	v_bfe_u32 v2, v3, 16, 1
	v_add3_u32 v2, v3, v2, s30
                                        ; implicit-def: $vgpr3
; %bb.801:                              ;   in Loop: Header=BB358_690 Depth=1
	s_andn2_saveexec_b64 s[4:5], s[4:5]
; %bb.802:                              ;   in Loop: Header=BB358_690 Depth=1
	v_or_b32_e32 v2, 0x10000, v3
	v_cmp_eq_u32_sdwa vcc, v3, v11 src0_sel:WORD_0 src1_sel:DWORD
	v_cndmask_b32_e32 v2, v2, v3, vcc
; %bb.803:                              ;   in Loop: Header=BB358_690 Depth=1
	s_or_b64 exec, exec, s[4:5]
	v_accvgpr_read_b32 v6, a12
	v_accvgpr_read_b32 v3, a20
	v_cmp_eq_u32_e32 vcc, v3, v6
	v_accvgpr_read_b32 v3, a13
	v_add_u32_e32 v53, v28, v3
	v_add_u32_e32 v12, 1, v53
	v_accvgpr_write_b32 a38, v12
	v_add_u32_e32 v12, 2, v53
	v_accvgpr_write_b32 a37, v12
	;; [unrolled: 2-line block ×5, first 2 shown]
	v_add_u32_e32 v12, 6, v53
	v_lshrrev_b32_e32 v5, 16, v5
	v_lshrrev_b32_e32 v6, 16, v34
	;; [unrolled: 1-line block ×8, first 2 shown]
	v_accvgpr_write_b32 a33, v12
	v_add_u32_e32 v23, 7, v53
	s_and_saveexec_b64 s[24:25], vcc
	s_cbranch_execz .LBB358_805
; %bb.804:                              ;   in Loop: Header=BB358_690 Depth=1
	buffer_load_dword v12, off, s[0:3], s32 offset:196 ; 4-byte Folded Reload
	v_accvgpr_read_b32 v13, a38
	s_waitcnt vmcnt(0)
	v_cmp_lt_i32_e64 s[4:5], v53, v12
	v_cndmask_b32_e64 v30, 0, v30, s[4:5]
	v_cmp_lt_i32_e64 s[4:5], v13, v12
	v_accvgpr_read_b32 v13, a37
	v_cndmask_b32_e64 v31, 0, v31, s[4:5]
	v_cmp_lt_i32_e64 s[4:5], v13, v12
	v_accvgpr_read_b32 v13, a36
	;; [unrolled: 3-line block ×5, first 2 shown]
	v_cndmask_b32_e64 v5, 0, v5, s[4:5]
	v_cmp_lt_i32_e64 s[4:5], v13, v12
	v_cndmask_b32_e64 v3, 0, v3, s[4:5]
	v_cmp_lt_i32_e64 s[4:5], v23, v12
	v_cndmask_b32_e64 v2, 0, v2, s[4:5]
.LBB358_805:                            ;   in Loop: Header=BB358_690 Depth=1
	s_or_b64 exec, exec, s[24:25]
	v_and_b32_e32 v56, 0xffff0000, v29
	v_lshlrev_b32_e32 v12, 16, v30
	v_mul_f32_e32 v29, v56, v12
	v_and_b32_e32 v12, 0x7f800000, v29
	v_cmp_ne_u32_e64 s[4:5], s15, v12
                                        ; implicit-def: $agpr21
	s_and_saveexec_b64 s[24:25], s[4:5]
	s_xor_b64 s[4:5], exec, s[24:25]
; %bb.806:                              ;   in Loop: Header=BB358_690 Depth=1
	v_bfe_u32 v12, v29, 16, 1
	v_add3_u32 v12, v29, v12, s30
	v_accvgpr_write_b32 a21, v12
                                        ; implicit-def: $vgpr29
; %bb.807:                              ;   in Loop: Header=BB358_690 Depth=1
	s_andn2_saveexec_b64 s[24:25], s[4:5]
; %bb.808:                              ;   in Loop: Header=BB358_690 Depth=1
	v_or_b32_e32 v12, 0x10000, v29
	v_cmp_eq_u32_sdwa s[4:5], v29, v11 src0_sel:WORD_0 src1_sel:DWORD
	v_cndmask_b32_e64 v12, v12, v29, s[4:5]
	v_accvgpr_write_b32 a21, v12
; %bb.809:                              ;   in Loop: Header=BB358_690 Depth=1
	s_or_b64 exec, exec, s[24:25]
	v_and_b32_e32 v57, 0xffff0000, v27
	v_lshlrev_b32_e32 v12, 16, v31
	v_mul_f32_e32 v27, v57, v12
	v_and_b32_e32 v12, 0x7f800000, v27
	v_cmp_ne_u32_e64 s[4:5], s15, v12
                                        ; implicit-def: $agpr23
	s_and_saveexec_b64 s[24:25], s[4:5]
	s_xor_b64 s[4:5], exec, s[24:25]
; %bb.810:                              ;   in Loop: Header=BB358_690 Depth=1
	v_bfe_u32 v12, v27, 16, 1
	v_add3_u32 v12, v27, v12, s30
	v_accvgpr_write_b32 a23, v12
                                        ; implicit-def: $vgpr27
; %bb.811:                              ;   in Loop: Header=BB358_690 Depth=1
	s_andn2_saveexec_b64 s[24:25], s[4:5]
; %bb.812:                              ;   in Loop: Header=BB358_690 Depth=1
	v_or_b32_e32 v12, 0x10000, v27
	v_cmp_eq_u32_sdwa s[4:5], v27, v11 src0_sel:WORD_0 src1_sel:DWORD
	v_cndmask_b32_e64 v12, v12, v27, s[4:5]
	v_accvgpr_write_b32 a23, v12
; %bb.813:                              ;   in Loop: Header=BB358_690 Depth=1
	s_or_b64 exec, exec, s[24:25]
	v_and_b32_e32 v58, 0xffff0000, v26
	v_lshlrev_b32_e32 v12, 16, v32
	v_mul_f32_e32 v26, v58, v12
	v_and_b32_e32 v12, 0x7f800000, v26
	v_cmp_ne_u32_e64 s[4:5], s15, v12
                                        ; implicit-def: $agpr26
	s_and_saveexec_b64 s[24:25], s[4:5]
	s_xor_b64 s[4:5], exec, s[24:25]
; %bb.814:                              ;   in Loop: Header=BB358_690 Depth=1
	v_bfe_u32 v12, v26, 16, 1
	v_add3_u32 v12, v26, v12, s30
	v_accvgpr_write_b32 a26, v12
                                        ; implicit-def: $vgpr26
; %bb.815:                              ;   in Loop: Header=BB358_690 Depth=1
	s_andn2_saveexec_b64 s[24:25], s[4:5]
; %bb.816:                              ;   in Loop: Header=BB358_690 Depth=1
	v_or_b32_e32 v12, 0x10000, v26
	v_cmp_eq_u32_sdwa s[4:5], v26, v11 src0_sel:WORD_0 src1_sel:DWORD
	v_cndmask_b32_e64 v12, v12, v26, s[4:5]
	v_accvgpr_write_b32 a26, v12
; %bb.817:                              ;   in Loop: Header=BB358_690 Depth=1
	s_or_b64 exec, exec, s[24:25]
	v_and_b32_e32 v60, 0xffff0000, v22
	v_lshlrev_b32_e32 v10, 16, v10
	v_mul_f32_e32 v10, v60, v10
	v_and_b32_e32 v12, 0x7f800000, v10
	v_cmp_ne_u32_e64 s[4:5], s15, v12
                                        ; implicit-def: $agpr27
	s_and_saveexec_b64 s[24:25], s[4:5]
	s_xor_b64 s[4:5], exec, s[24:25]
; %bb.818:                              ;   in Loop: Header=BB358_690 Depth=1
	v_bfe_u32 v12, v10, 16, 1
	v_add3_u32 v10, v10, v12, s30
	v_accvgpr_write_b32 a27, v10
                                        ; implicit-def: $vgpr10
; %bb.819:                              ;   in Loop: Header=BB358_690 Depth=1
	s_andn2_saveexec_b64 s[24:25], s[4:5]
; %bb.820:                              ;   in Loop: Header=BB358_690 Depth=1
	v_or_b32_e32 v12, 0x10000, v10
	v_cmp_eq_u32_sdwa s[4:5], v10, v11 src0_sel:WORD_0 src1_sel:DWORD
	v_cndmask_b32_e64 v10, v12, v10, s[4:5]
	v_accvgpr_write_b32 a27, v10
; %bb.821:                              ;   in Loop: Header=BB358_690 Depth=1
	s_or_b64 exec, exec, s[24:25]
	v_and_b32_e32 v36, 0xffff0000, v21
	v_lshlrev_b32_e32 v6, 16, v6
	v_mul_f32_e32 v6, v36, v6
	v_and_b32_e32 v10, 0x7f800000, v6
	v_cmp_ne_u32_e64 s[4:5], s15, v10
                                        ; implicit-def: $agpr28
	s_and_saveexec_b64 s[24:25], s[4:5]
	s_xor_b64 s[4:5], exec, s[24:25]
; %bb.822:                              ;   in Loop: Header=BB358_690 Depth=1
	v_bfe_u32 v10, v6, 16, 1
	v_add3_u32 v6, v6, v10, s30
	v_accvgpr_write_b32 a28, v6
                                        ; implicit-def: $vgpr6
; %bb.823:                              ;   in Loop: Header=BB358_690 Depth=1
	s_andn2_saveexec_b64 s[24:25], s[4:5]
; %bb.824:                              ;   in Loop: Header=BB358_690 Depth=1
	v_or_b32_e32 v10, 0x10000, v6
	v_cmp_eq_u32_sdwa s[4:5], v6, v11 src0_sel:WORD_0 src1_sel:DWORD
	v_cndmask_b32_e64 v6, v10, v6, s[4:5]
	v_accvgpr_write_b32 a28, v6
; %bb.825:                              ;   in Loop: Header=BB358_690 Depth=1
	s_or_b64 exec, exec, s[24:25]
	v_and_b32_e32 v41, 0xffff0000, v20
	v_lshlrev_b32_e32 v5, 16, v5
	v_mul_f32_e32 v5, v41, v5
	v_and_b32_e32 v6, 0x7f800000, v5
	v_cmp_ne_u32_e64 s[4:5], s15, v6
                                        ; implicit-def: $agpr29
	s_and_saveexec_b64 s[24:25], s[4:5]
	s_xor_b64 s[4:5], exec, s[24:25]
; %bb.826:                              ;   in Loop: Header=BB358_690 Depth=1
	v_bfe_u32 v6, v5, 16, 1
	v_add3_u32 v5, v5, v6, s30
	v_accvgpr_write_b32 a29, v5
                                        ; implicit-def: $vgpr5
; %bb.827:                              ;   in Loop: Header=BB358_690 Depth=1
	s_andn2_saveexec_b64 s[24:25], s[4:5]
; %bb.828:                              ;   in Loop: Header=BB358_690 Depth=1
	v_or_b32_e32 v6, 0x10000, v5
	v_cmp_eq_u32_sdwa s[4:5], v5, v11 src0_sel:WORD_0 src1_sel:DWORD
	v_cndmask_b32_e64 v5, v6, v5, s[4:5]
	v_accvgpr_write_b32 a29, v5
; %bb.829:                              ;   in Loop: Header=BB358_690 Depth=1
	s_or_b64 exec, exec, s[24:25]
	v_and_b32_e32 v34, 0xffff0000, v9
	v_lshlrev_b32_e32 v3, 16, v3
	v_mul_f32_e32 v3, v34, v3
	v_and_b32_e32 v5, 0x7f800000, v3
	v_cmp_ne_u32_e64 s[4:5], s15, v5
                                        ; implicit-def: $agpr30
	s_and_saveexec_b64 s[24:25], s[4:5]
	s_xor_b64 s[4:5], exec, s[24:25]
; %bb.830:                              ;   in Loop: Header=BB358_690 Depth=1
	v_bfe_u32 v5, v3, 16, 1
	v_add3_u32 v3, v3, v5, s30
	v_accvgpr_write_b32 a30, v3
                                        ; implicit-def: $vgpr3
; %bb.831:                              ;   in Loop: Header=BB358_690 Depth=1
	s_andn2_saveexec_b64 s[24:25], s[4:5]
; %bb.832:                              ;   in Loop: Header=BB358_690 Depth=1
	v_or_b32_e32 v5, 0x10000, v3
	v_cmp_eq_u32_sdwa s[4:5], v3, v11 src0_sel:WORD_0 src1_sel:DWORD
	v_cndmask_b32_e64 v3, v5, v3, s[4:5]
	v_accvgpr_write_b32 a30, v3
; %bb.833:                              ;   in Loop: Header=BB358_690 Depth=1
	s_or_b64 exec, exec, s[24:25]
	v_and_b32_e32 v31, 0xffff0000, v8
	v_lshlrev_b32_e32 v2, 16, v2
	v_mul_f32_e32 v2, v31, v2
	v_and_b32_e32 v3, 0x7f800000, v2
	v_cmp_ne_u32_e64 s[4:5], s15, v3
                                        ; implicit-def: $agpr31
	s_and_saveexec_b64 s[24:25], s[4:5]
	s_xor_b64 s[4:5], exec, s[24:25]
; %bb.834:                              ;   in Loop: Header=BB358_690 Depth=1
	v_bfe_u32 v3, v2, 16, 1
	v_add3_u32 v2, v2, v3, s30
	v_accvgpr_write_b32 a31, v2
                                        ; implicit-def: $vgpr2
; %bb.835:                              ;   in Loop: Header=BB358_690 Depth=1
	s_andn2_saveexec_b64 s[24:25], s[4:5]
; %bb.836:                              ;   in Loop: Header=BB358_690 Depth=1
	v_or_b32_e32 v3, 0x10000, v2
	v_cmp_eq_u32_sdwa s[4:5], v2, v11 src0_sel:WORD_0 src1_sel:DWORD
	v_cndmask_b32_e64 v2, v3, v2, s[4:5]
	v_accvgpr_write_b32 a31, v2
; %bb.837:                              ;   in Loop: Header=BB358_690 Depth=1
	s_or_b64 exec, exec, s[24:25]
	flat_load_dwordx2 v[2:3], v[0:1] offset:512
	v_mov_b32_e32 v5, 0
	s_waitcnt vmcnt(0) lgkmcnt(0)
	v_cmp_ne_u16_sdwa s[4:5], v2, v11 src0_sel:BYTE_0 src1_sel:DWORD
	s_and_saveexec_b64 s[24:25], s[4:5]
	s_cbranch_execz .LBB358_843
; %bb.838:                              ;   in Loop: Header=BB358_690 Depth=1
	v_cmp_ne_u16_sdwa s[4:5], v2, s31 src0_sel:BYTE_0 src1_sel:DWORD
	v_bfrev_b32_e32 v5, 1
	s_and_saveexec_b64 s[26:27], s[4:5]
	s_cbranch_execz .LBB358_842
; %bb.839:                              ;   in Loop: Header=BB358_690 Depth=1
	v_and_b32_e32 v6, 0x7f, v2
	v_cmp_ne_u32_e64 s[4:5], s34, v6
	v_mov_b32_e32 v5, 0x7f800001
	s_and_saveexec_b64 s[28:29], s[4:5]
	s_cbranch_execz .LBB358_841
; %bb.840:                              ;   in Loop: Header=BB358_690 Depth=1
	v_and_b32_e32 v5, 7, v2
	v_ffbh_u32_e32 v5, v5
	v_min_u32_e32 v5, 32, v5
	v_subrev_u32_e32 v9, 28, v5
	v_cmp_gt_u32_e64 s[4:5], 8, v6
	v_lshrrev_b32_e32 v8, 3, v6
	v_sub_u32_e32 v5, 29, v5
	v_cndmask_b32_e64 v6, 0, v9, s[4:5]
	v_cndmask_b32_e64 v5, v8, v5, s[4:5]
	v_lshlrev_b64 v[8:9], v6, v[2:3]
	v_lshlrev_b32_e32 v6, 20, v8
	v_lshlrev_b32_e32 v8, 24, v2
	v_bfrev_b32_e32 v9, 60
	v_and_b32_e32 v6, 0x700000, v6
	v_and_b32_e32 v8, 0x80000000, v8
	v_lshl_add_u32 v5, v5, 23, v9
	v_or3_b32 v5, v8, v5, v6
.LBB358_841:                            ;   in Loop: Header=BB358_690 Depth=1
	s_or_b64 exec, exec, s[28:29]
.LBB358_842:                            ;   in Loop: Header=BB358_690 Depth=1
	s_or_b64 exec, exec, s[26:27]
.LBB358_843:                            ;   in Loop: Header=BB358_690 Depth=1
	s_or_b64 exec, exec, s[24:25]
	v_mul_f32_e32 v5, v7, v5
	v_and_b32_e32 v6, 0x7f800000, v5
	v_cmp_ne_u32_e64 s[4:5], s15, v6
                                        ; implicit-def: $vgpr8
	s_and_saveexec_b64 s[24:25], s[4:5]
	s_xor_b64 s[4:5], exec, s[24:25]
; %bb.844:                              ;   in Loop: Header=BB358_690 Depth=1
	v_bfe_u32 v6, v5, 16, 1
	v_add3_u32 v8, v5, v6, s30
                                        ; implicit-def: $vgpr5
; %bb.845:                              ;   in Loop: Header=BB358_690 Depth=1
	s_andn2_saveexec_b64 s[24:25], s[4:5]
; %bb.846:                              ;   in Loop: Header=BB358_690 Depth=1
	v_or_b32_e32 v6, 0x10000, v5
	v_cmp_eq_u32_sdwa s[4:5], v5, v11 src0_sel:WORD_0 src1_sel:DWORD
	v_cndmask_b32_e64 v8, v6, v5, s[4:5]
; %bb.847:                              ;   in Loop: Header=BB358_690 Depth=1
	s_or_b64 exec, exec, s[24:25]
	v_lshrrev_b16_e32 v6, 8, v2
	v_cmp_ne_u16_e64 s[4:5], 0, v6
	v_mov_b32_e32 v5, 0
	s_and_saveexec_b64 s[24:25], s[4:5]
	s_cbranch_execz .LBB358_853
; %bb.848:                              ;   in Loop: Header=BB358_690 Depth=1
	v_cmp_ne_u16_e64 s[4:5], s31, v6
	v_bfrev_b32_e32 v5, 1
	s_and_saveexec_b64 s[26:27], s[4:5]
	s_cbranch_execz .LBB358_852
; %bb.849:                              ;   in Loop: Header=BB358_690 Depth=1
	v_and_b32_e32 v9, 0x7f, v6
	v_cmp_ne_u32_e64 s[4:5], s34, v9
	v_mov_b32_e32 v5, 0x7f800001
	s_and_saveexec_b64 s[28:29], s[4:5]
	s_cbranch_execz .LBB358_851
; %bb.850:                              ;   in Loop: Header=BB358_690 Depth=1
	v_and_b32_e32 v5, 7, v6
	v_ffbh_u32_e32 v12, v5
	v_min_u32_e32 v12, 32, v12
	v_subrev_u32_e32 v13, 28, v12
	v_lshlrev_b64 v[20:21], v13, v[6:7]
	v_lshrrev_b32_e32 v10, 3, v9
	v_sub_u32_e32 v6, 29, v12
	v_and_b32_e32 v12, 7, v20
	v_cmp_gt_u32_e64 s[4:5], 8, v9
	v_cndmask_b32_e64 v6, v10, v6, s[4:5]
	v_cndmask_b32_e64 v5, v5, v12, s[4:5]
	v_lshlrev_b32_e32 v9, 16, v2
	v_bfrev_b32_e32 v10, 60
	v_lshlrev_b32_e32 v5, 20, v5
	v_and_b32_e32 v9, 0x80000000, v9
	v_lshl_add_u32 v6, v6, 23, v10
	v_or3_b32 v5, v9, v6, v5
.LBB358_851:                            ;   in Loop: Header=BB358_690 Depth=1
	s_or_b64 exec, exec, s[28:29]
.LBB358_852:                            ;   in Loop: Header=BB358_690 Depth=1
	s_or_b64 exec, exec, s[26:27]
.LBB358_853:                            ;   in Loop: Header=BB358_690 Depth=1
	s_or_b64 exec, exec, s[24:25]
	v_mul_f32_e32 v5, v7, v5
	v_and_b32_e32 v6, 0x7f800000, v5
	v_cmp_ne_u32_e64 s[4:5], s15, v6
                                        ; implicit-def: $vgpr9
	s_and_saveexec_b64 s[24:25], s[4:5]
	s_xor_b64 s[4:5], exec, s[24:25]
; %bb.854:                              ;   in Loop: Header=BB358_690 Depth=1
	v_bfe_u32 v6, v5, 16, 1
	v_add3_u32 v9, v5, v6, s30
                                        ; implicit-def: $vgpr5
; %bb.855:                              ;   in Loop: Header=BB358_690 Depth=1
	s_andn2_saveexec_b64 s[24:25], s[4:5]
; %bb.856:                              ;   in Loop: Header=BB358_690 Depth=1
	v_or_b32_e32 v6, 0x10000, v5
	v_cmp_eq_u32_sdwa s[4:5], v5, v11 src0_sel:WORD_0 src1_sel:DWORD
	v_cndmask_b32_e64 v9, v6, v5, s[4:5]
; %bb.857:                              ;   in Loop: Header=BB358_690 Depth=1
	s_or_b64 exec, exec, s[24:25]
	v_lshrrev_b32_e32 v6, 16, v2
	v_cmp_ne_u16_sdwa s[4:5], v6, v11 src0_sel:BYTE_0 src1_sel:DWORD
	v_mov_b32_e32 v5, 0
	s_and_saveexec_b64 s[24:25], s[4:5]
	s_cbranch_execz .LBB358_863
; %bb.858:                              ;   in Loop: Header=BB358_690 Depth=1
	v_cmp_ne_u16_sdwa s[4:5], v6, s31 src0_sel:BYTE_0 src1_sel:DWORD
	v_bfrev_b32_e32 v5, 1
	s_and_saveexec_b64 s[26:27], s[4:5]
	s_cbranch_execz .LBB358_862
; %bb.859:                              ;   in Loop: Header=BB358_690 Depth=1
	v_bfe_u32 v10, v2, 16, 7
	v_cmp_ne_u32_e64 s[4:5], s34, v10
	v_mov_b32_e32 v5, 0x7f800001
	s_and_saveexec_b64 s[28:29], s[4:5]
	s_cbranch_execz .LBB358_861
; %bb.860:                              ;   in Loop: Header=BB358_690 Depth=1
	v_and_b32_e32 v5, 7, v6
	v_ffbh_u32_e32 v13, v5
	v_min_u32_e32 v13, 32, v13
	v_subrev_u32_e32 v20, 28, v13
	v_lshlrev_b64 v[20:21], v20, v[6:7]
	v_lshrrev_b32_e32 v12, 3, v10
	v_sub_u32_e32 v13, 29, v13
	v_and_b32_e32 v20, 7, v20
	v_cmp_gt_u32_e64 s[4:5], 8, v10
	v_cndmask_b32_e64 v10, v12, v13, s[4:5]
	v_cndmask_b32_e64 v5, v5, v20, s[4:5]
	v_lshlrev_b32_e32 v6, 24, v6
	v_bfrev_b32_e32 v12, 60
	v_lshlrev_b32_e32 v5, 20, v5
	v_and_b32_e32 v6, 0x80000000, v6
	v_lshl_add_u32 v10, v10, 23, v12
	v_or3_b32 v5, v6, v10, v5
.LBB358_861:                            ;   in Loop: Header=BB358_690 Depth=1
	s_or_b64 exec, exec, s[28:29]
.LBB358_862:                            ;   in Loop: Header=BB358_690 Depth=1
	s_or_b64 exec, exec, s[26:27]
.LBB358_863:                            ;   in Loop: Header=BB358_690 Depth=1
	s_or_b64 exec, exec, s[24:25]
	v_mul_f32_e32 v5, v7, v5
	v_and_b32_e32 v6, 0x7f800000, v5
	v_cmp_ne_u32_e64 s[4:5], s15, v6
                                        ; implicit-def: $vgpr20
	s_and_saveexec_b64 s[24:25], s[4:5]
	s_xor_b64 s[4:5], exec, s[24:25]
; %bb.864:                              ;   in Loop: Header=BB358_690 Depth=1
	v_bfe_u32 v6, v5, 16, 1
	v_add3_u32 v20, v5, v6, s30
                                        ; implicit-def: $vgpr5
; %bb.865:                              ;   in Loop: Header=BB358_690 Depth=1
	s_andn2_saveexec_b64 s[24:25], s[4:5]
; %bb.866:                              ;   in Loop: Header=BB358_690 Depth=1
	v_or_b32_e32 v6, 0x10000, v5
	v_cmp_eq_u32_sdwa s[4:5], v5, v11 src0_sel:WORD_0 src1_sel:DWORD
	v_cndmask_b32_e64 v20, v6, v5, s[4:5]
; %bb.867:                              ;   in Loop: Header=BB358_690 Depth=1
	s_or_b64 exec, exec, s[24:25]
	v_cmp_lt_u32_e64 s[4:5], s11, v2
	v_mov_b32_e32 v5, 0
	s_and_saveexec_b64 s[24:25], s[4:5]
	s_cbranch_execz .LBB358_873
; %bb.868:                              ;   in Loop: Header=BB358_690 Depth=1
	v_lshrrev_b32_e32 v6, 24, v2
	v_cmp_ne_u32_e64 s[4:5], s31, v6
	v_bfrev_b32_e32 v5, 1
	s_and_saveexec_b64 s[26:27], s[4:5]
	s_cbranch_execz .LBB358_872
; %bb.869:                              ;   in Loop: Header=BB358_690 Depth=1
	v_bfe_u32 v10, v2, 24, 7
	v_cmp_ne_u32_e64 s[4:5], s34, v10
	v_mov_b32_e32 v5, 0x7f800001
	s_and_saveexec_b64 s[28:29], s[4:5]
	s_cbranch_execz .LBB358_871
; %bb.870:                              ;   in Loop: Header=BB358_690 Depth=1
	v_and_b32_e32 v5, 7, v6
	v_ffbh_u32_e32 v13, v5
	v_min_u32_e32 v13, 32, v13
	v_subrev_u32_e32 v21, 28, v13
	v_lshlrev_b64 v[26:27], v21, v[6:7]
	v_lshrrev_b32_e32 v12, 3, v10
	v_sub_u32_e32 v13, 29, v13
	v_and_b32_e32 v21, 7, v26
	v_cmp_gt_u32_e64 s[4:5], 8, v10
	v_cndmask_b32_e64 v10, v12, v13, s[4:5]
	v_cndmask_b32_e64 v5, v5, v21, s[4:5]
	v_lshlrev_b32_e32 v6, 24, v6
	v_bfrev_b32_e32 v12, 60
	v_lshlrev_b32_e32 v5, 20, v5
	v_and_b32_e32 v6, 0x80000000, v6
	v_lshl_add_u32 v10, v10, 23, v12
	v_or3_b32 v5, v6, v10, v5
.LBB358_871:                            ;   in Loop: Header=BB358_690 Depth=1
	s_or_b64 exec, exec, s[28:29]
.LBB358_872:                            ;   in Loop: Header=BB358_690 Depth=1
	s_or_b64 exec, exec, s[26:27]
.LBB358_873:                            ;   in Loop: Header=BB358_690 Depth=1
	s_or_b64 exec, exec, s[24:25]
	v_mul_f32_e32 v5, v7, v5
	v_and_b32_e32 v6, 0x7f800000, v5
	v_cmp_ne_u32_e64 s[4:5], s15, v6
                                        ; implicit-def: $vgpr21
	s_and_saveexec_b64 s[24:25], s[4:5]
	s_xor_b64 s[4:5], exec, s[24:25]
; %bb.874:                              ;   in Loop: Header=BB358_690 Depth=1
	v_bfe_u32 v6, v5, 16, 1
	v_add3_u32 v21, v5, v6, s30
                                        ; implicit-def: $vgpr5
; %bb.875:                              ;   in Loop: Header=BB358_690 Depth=1
	s_andn2_saveexec_b64 s[24:25], s[4:5]
; %bb.876:                              ;   in Loop: Header=BB358_690 Depth=1
	v_or_b32_e32 v6, 0x10000, v5
	v_cmp_eq_u32_sdwa s[4:5], v5, v11 src0_sel:WORD_0 src1_sel:DWORD
	v_cndmask_b32_e64 v21, v6, v5, s[4:5]
; %bb.877:                              ;   in Loop: Header=BB358_690 Depth=1
	s_or_b64 exec, exec, s[24:25]
	v_mov_b32_e32 v10, v3
	v_cmp_ne_u16_sdwa s[4:5], v3, v11 src0_sel:BYTE_0 src1_sel:DWORD
	v_mov_b32_e32 v5, 0
	s_and_saveexec_b64 s[24:25], s[4:5]
	s_cbranch_execz .LBB358_883
; %bb.878:                              ;   in Loop: Header=BB358_690 Depth=1
	v_cmp_ne_u16_sdwa s[4:5], v3, s31 src0_sel:BYTE_0 src1_sel:DWORD
	v_bfrev_b32_e32 v5, 1
	s_and_saveexec_b64 s[26:27], s[4:5]
	s_cbranch_execz .LBB358_882
; %bb.879:                              ;   in Loop: Header=BB358_690 Depth=1
	v_and_b32_e32 v6, 0x7f, v3
	v_cmp_ne_u32_e64 s[4:5], s34, v6
	v_mov_b32_e32 v5, 0x7f800001
	s_and_saveexec_b64 s[28:29], s[4:5]
	s_cbranch_execz .LBB358_881
; %bb.880:                              ;   in Loop: Header=BB358_690 Depth=1
	v_and_b32_e32 v5, 7, v3
	v_ffbh_u32_e32 v5, v5
	v_min_u32_e32 v5, 32, v5
	v_subrev_u32_e32 v13, 28, v5
	v_cmp_gt_u32_e64 s[4:5], 8, v6
	v_lshrrev_b32_e32 v12, 3, v6
	v_cndmask_b32_e64 v6, 0, v13, s[4:5]
	v_sub_u32_e32 v5, 29, v5
	v_lshlrev_b64 v[26:27], v6, v[10:11]
	v_cndmask_b32_e64 v5, v12, v5, s[4:5]
	v_lshlrev_b32_e32 v6, 20, v26
	v_lshlrev_b32_e32 v12, 24, v10
	v_bfrev_b32_e32 v13, 60
	v_and_b32_e32 v6, 0x700000, v6
	v_and_b32_e32 v12, 0x80000000, v12
	v_lshl_add_u32 v5, v5, 23, v13
	v_or3_b32 v5, v12, v5, v6
.LBB358_881:                            ;   in Loop: Header=BB358_690 Depth=1
	s_or_b64 exec, exec, s[28:29]
.LBB358_882:                            ;   in Loop: Header=BB358_690 Depth=1
	s_or_b64 exec, exec, s[26:27]
.LBB358_883:                            ;   in Loop: Header=BB358_690 Depth=1
	s_or_b64 exec, exec, s[24:25]
	v_mul_f32_e32 v5, v7, v5
	v_and_b32_e32 v6, 0x7f800000, v5
	v_cmp_ne_u32_e64 s[4:5], s15, v6
                                        ; implicit-def: $vgpr22
	s_and_saveexec_b64 s[24:25], s[4:5]
	s_xor_b64 s[4:5], exec, s[24:25]
; %bb.884:                              ;   in Loop: Header=BB358_690 Depth=1
	v_bfe_u32 v6, v5, 16, 1
	v_add3_u32 v22, v5, v6, s30
                                        ; implicit-def: $vgpr5
; %bb.885:                              ;   in Loop: Header=BB358_690 Depth=1
	s_andn2_saveexec_b64 s[24:25], s[4:5]
; %bb.886:                              ;   in Loop: Header=BB358_690 Depth=1
	v_or_b32_e32 v6, 0x10000, v5
	v_cmp_eq_u32_sdwa s[4:5], v5, v11 src0_sel:WORD_0 src1_sel:DWORD
	v_cndmask_b32_e64 v22, v6, v5, s[4:5]
; %bb.887:                              ;   in Loop: Header=BB358_690 Depth=1
	s_or_b64 exec, exec, s[24:25]
	v_lshrrev_b16_e32 v6, 8, v10
	v_mov_b32_e32 v5, 0
	v_cmp_ne_u16_e64 s[4:5], 0, v6
	s_mov_b64 s[24:25], exec
	s_and_b64 s[4:5], s[24:25], s[4:5]
	v_accvgpr_write_b32 a32, v23
	s_mov_b64 exec, s[4:5]
	s_cbranch_execz .LBB358_893
; %bb.888:                              ;   in Loop: Header=BB358_690 Depth=1
	v_cmp_ne_u16_e64 s[4:5], s31, v6
	v_bfrev_b32_e32 v5, 1
	s_and_saveexec_b64 s[26:27], s[4:5]
	s_cbranch_execz .LBB358_892
; %bb.889:                              ;   in Loop: Header=BB358_690 Depth=1
	v_and_b32_e32 v26, 0x7f, v6
	v_cmp_ne_u32_e64 s[4:5], s34, v26
	v_mov_b32_e32 v5, 0x7f800001
	s_and_saveexec_b64 s[28:29], s[4:5]
	s_cbranch_execz .LBB358_891
; %bb.890:                              ;   in Loop: Header=BB358_690 Depth=1
	v_and_b32_e32 v5, 7, v6
	v_ffbh_u32_e32 v13, v5
	v_min_u32_e32 v13, 32, v13
	v_subrev_u32_e32 v23, 28, v13
	v_lshlrev_b64 v[32:33], v23, v[6:7]
	v_lshrrev_b32_e32 v12, 3, v26
	v_sub_u32_e32 v6, 29, v13
	v_and_b32_e32 v13, 7, v32
	v_cmp_gt_u32_e64 s[4:5], 8, v26
	v_cndmask_b32_e64 v6, v12, v6, s[4:5]
	v_cndmask_b32_e64 v5, v5, v13, s[4:5]
	v_lshlrev_b32_e32 v10, 16, v10
	v_bfrev_b32_e32 v12, 60
	v_lshlrev_b32_e32 v5, 20, v5
	v_and_b32_e32 v10, 0x80000000, v10
	v_lshl_add_u32 v6, v6, 23, v12
	v_accvgpr_read_b32 v23, a32
	v_or3_b32 v5, v10, v6, v5
.LBB358_891:                            ;   in Loop: Header=BB358_690 Depth=1
	s_or_b64 exec, exec, s[28:29]
.LBB358_892:                            ;   in Loop: Header=BB358_690 Depth=1
	s_or_b64 exec, exec, s[26:27]
.LBB358_893:                            ;   in Loop: Header=BB358_690 Depth=1
	s_or_b64 exec, exec, s[24:25]
	v_mul_f32_e32 v6, v7, v5
	v_and_b32_e32 v5, 0x7f800000, v6
	v_cmp_ne_u32_e64 s[4:5], s15, v5
                                        ; implicit-def: $vgpr5
	s_and_saveexec_b64 s[24:25], s[4:5]
	s_xor_b64 s[4:5], exec, s[24:25]
; %bb.894:                              ;   in Loop: Header=BB358_690 Depth=1
	v_bfe_u32 v5, v6, 16, 1
	v_add3_u32 v5, v6, v5, s30
                                        ; implicit-def: $vgpr6
; %bb.895:                              ;   in Loop: Header=BB358_690 Depth=1
	s_andn2_saveexec_b64 s[24:25], s[4:5]
; %bb.896:                              ;   in Loop: Header=BB358_690 Depth=1
	v_or_b32_e32 v5, 0x10000, v6
	v_cmp_eq_u32_sdwa s[4:5], v6, v11 src0_sel:WORD_0 src1_sel:DWORD
	v_cndmask_b32_e64 v5, v5, v6, s[4:5]
; %bb.897:                              ;   in Loop: Header=BB358_690 Depth=1
	s_or_b64 exec, exec, s[24:25]
	v_lshrrev_b32_e32 v6, 16, v3
	v_cmp_ne_u16_sdwa s[4:5], v6, v11 src0_sel:BYTE_0 src1_sel:DWORD
	v_mov_b32_e32 v10, 0
	s_and_saveexec_b64 s[24:25], s[4:5]
	s_cbranch_execz .LBB358_903
; %bb.898:                              ;   in Loop: Header=BB358_690 Depth=1
	v_cmp_ne_u16_sdwa s[4:5], v6, s31 src0_sel:BYTE_0 src1_sel:DWORD
	v_bfrev_b32_e32 v10, 1
	s_and_saveexec_b64 s[26:27], s[4:5]
	s_cbranch_execz .LBB358_902
; %bb.899:                              ;   in Loop: Header=BB358_690 Depth=1
	v_bfe_u32 v26, v3, 16, 7
	v_cmp_ne_u32_e64 s[4:5], s34, v26
	v_mov_b32_e32 v10, 0x7f800001
	s_and_saveexec_b64 s[28:29], s[4:5]
	s_cbranch_execz .LBB358_901
; %bb.900:                              ;   in Loop: Header=BB358_690 Depth=1
	v_and_b32_e32 v10, 7, v6
	v_ffbh_u32_e32 v13, v10
	v_min_u32_e32 v13, 32, v13
	v_subrev_u32_e32 v23, 28, v13
	v_lshlrev_b64 v[32:33], v23, v[6:7]
	v_lshrrev_b32_e32 v12, 3, v26
	v_sub_u32_e32 v13, 29, v13
	v_and_b32_e32 v23, 7, v32
	v_cmp_gt_u32_e64 s[4:5], 8, v26
	v_cndmask_b32_e64 v12, v12, v13, s[4:5]
	v_cndmask_b32_e64 v10, v10, v23, s[4:5]
	v_lshlrev_b32_e32 v6, 24, v6
	v_bfrev_b32_e32 v13, 60
	v_lshlrev_b32_e32 v10, 20, v10
	v_and_b32_e32 v6, 0x80000000, v6
	v_lshl_add_u32 v12, v12, 23, v13
	v_accvgpr_read_b32 v23, a32
	v_or3_b32 v10, v6, v12, v10
.LBB358_901:                            ;   in Loop: Header=BB358_690 Depth=1
	s_or_b64 exec, exec, s[28:29]
.LBB358_902:                            ;   in Loop: Header=BB358_690 Depth=1
	s_or_b64 exec, exec, s[26:27]
.LBB358_903:                            ;   in Loop: Header=BB358_690 Depth=1
	s_or_b64 exec, exec, s[24:25]
	v_mul_f32_e32 v6, v7, v10
	v_and_b32_e32 v10, 0x7f800000, v6
	v_cmp_ne_u32_e64 s[4:5], s15, v10
                                        ; implicit-def: $vgpr26
	s_and_saveexec_b64 s[24:25], s[4:5]
	s_xor_b64 s[4:5], exec, s[24:25]
; %bb.904:                              ;   in Loop: Header=BB358_690 Depth=1
	v_bfe_u32 v10, v6, 16, 1
	v_add3_u32 v26, v6, v10, s30
                                        ; implicit-def: $vgpr6
; %bb.905:                              ;   in Loop: Header=BB358_690 Depth=1
	s_andn2_saveexec_b64 s[24:25], s[4:5]
; %bb.906:                              ;   in Loop: Header=BB358_690 Depth=1
	v_or_b32_e32 v10, 0x10000, v6
	v_cmp_eq_u32_sdwa s[4:5], v6, v11 src0_sel:WORD_0 src1_sel:DWORD
	v_cndmask_b32_e64 v26, v10, v6, s[4:5]
; %bb.907:                              ;   in Loop: Header=BB358_690 Depth=1
	s_or_b64 exec, exec, s[24:25]
	v_cmp_lt_u64_e64 s[4:5], s[10:11], v[2:3]
	v_mov_b32_e32 v6, 0
	s_and_saveexec_b64 s[24:25], s[4:5]
	s_cbranch_execz .LBB358_913
; %bb.908:                              ;   in Loop: Header=BB358_690 Depth=1
	v_lshrrev_b32_e32 v2, 24, v3
	v_cmp_ne_u32_e64 s[4:5], s31, v2
	v_bfrev_b32_e32 v6, 1
	s_and_saveexec_b64 s[26:27], s[4:5]
	s_cbranch_execz .LBB358_912
; %bb.909:                              ;   in Loop: Header=BB358_690 Depth=1
	v_bfe_u32 v3, v3, 24, 7
	v_cmp_ne_u32_e64 s[4:5], s34, v3
	v_mov_b32_e32 v6, 0x7f800001
	s_and_saveexec_b64 s[28:29], s[4:5]
	s_cbranch_execz .LBB358_911
; %bb.910:                              ;   in Loop: Header=BB358_690 Depth=1
	v_and_b32_e32 v6, 7, v2
	v_ffbh_u32_e32 v12, v6
	v_min_u32_e32 v12, 32, v12
	v_subrev_u32_e32 v13, 28, v12
	v_lshlrev_b64 v[32:33], v13, v[2:3]
	v_lshrrev_b32_e32 v10, 3, v3
	v_sub_u32_e32 v12, 29, v12
	v_and_b32_e32 v13, 7, v32
	v_cmp_gt_u32_e64 s[4:5], 8, v3
	v_cndmask_b32_e64 v3, v10, v12, s[4:5]
	v_cndmask_b32_e64 v6, v6, v13, s[4:5]
	v_lshlrev_b32_e32 v2, 24, v2
	v_bfrev_b32_e32 v10, 60
	v_lshlrev_b32_e32 v6, 20, v6
	v_and_b32_e32 v2, 0x80000000, v2
	v_lshl_add_u32 v3, v3, 23, v10
	v_or3_b32 v6, v2, v3, v6
.LBB358_911:                            ;   in Loop: Header=BB358_690 Depth=1
	s_or_b64 exec, exec, s[28:29]
.LBB358_912:                            ;   in Loop: Header=BB358_690 Depth=1
	s_or_b64 exec, exec, s[26:27]
.LBB358_913:                            ;   in Loop: Header=BB358_690 Depth=1
	s_or_b64 exec, exec, s[24:25]
	v_mul_f32_e32 v3, v7, v6
	v_and_b32_e32 v2, 0x7f800000, v3
	v_cmp_ne_u32_e64 s[4:5], s15, v2
                                        ; implicit-def: $vgpr2
	s_and_saveexec_b64 s[24:25], s[4:5]
	s_xor_b64 s[4:5], exec, s[24:25]
; %bb.914:                              ;   in Loop: Header=BB358_690 Depth=1
	v_bfe_u32 v2, v3, 16, 1
	v_add3_u32 v2, v3, v2, s30
                                        ; implicit-def: $vgpr3
; %bb.915:                              ;   in Loop: Header=BB358_690 Depth=1
	s_andn2_saveexec_b64 s[24:25], s[4:5]
; %bb.916:                              ;   in Loop: Header=BB358_690 Depth=1
	v_or_b32_e32 v2, 0x10000, v3
	v_cmp_eq_u32_sdwa s[4:5], v3, v11 src0_sel:WORD_0 src1_sel:DWORD
	v_cndmask_b32_e64 v2, v2, v3, s[4:5]
; %bb.917:                              ;   in Loop: Header=BB358_690 Depth=1
	s_or_b64 exec, exec, s[24:25]
	v_lshrrev_b32_e32 v5, 16, v5
	v_lshrrev_b32_e32 v6, 16, v22
	;; [unrolled: 1-line block ×8, first 2 shown]
	s_and_saveexec_b64 s[24:25], vcc
	s_cbranch_execz .LBB358_919
; %bb.918:                              ;   in Loop: Header=BB358_690 Depth=1
	buffer_load_dword v12, off, s[0:3], s32 offset:196 ; 4-byte Folded Reload
	v_accvgpr_read_b32 v13, a38
	s_waitcnt vmcnt(0)
	v_cmp_lt_i32_e64 s[4:5], v53, v12
	v_cndmask_b32_e64 v8, 0, v8, s[4:5]
	v_cmp_lt_i32_e64 s[4:5], v13, v12
	v_accvgpr_read_b32 v13, a37
	v_cndmask_b32_e64 v9, 0, v9, s[4:5]
	v_cmp_lt_i32_e64 s[4:5], v13, v12
	v_accvgpr_read_b32 v13, a36
	;; [unrolled: 3-line block ×5, first 2 shown]
	v_cndmask_b32_e64 v5, 0, v5, s[4:5]
	v_cmp_lt_i32_e64 s[4:5], v13, v12
	v_cndmask_b32_e64 v3, 0, v3, s[4:5]
	v_cmp_lt_i32_e64 s[4:5], v23, v12
	v_cndmask_b32_e64 v2, 0, v2, s[4:5]
.LBB358_919:                            ;   in Loop: Header=BB358_690 Depth=1
	s_or_b64 exec, exec, s[24:25]
	v_lshlrev_b32_e32 v8, 16, v8
	v_mul_f32_e32 v8, v56, v8
	v_and_b32_e32 v12, 0x7f800000, v8
	v_cmp_ne_u32_e64 s[4:5], s15, v12
                                        ; implicit-def: $agpr39
	s_and_saveexec_b64 s[24:25], s[4:5]
	s_xor_b64 s[4:5], exec, s[24:25]
; %bb.920:                              ;   in Loop: Header=BB358_690 Depth=1
	v_bfe_u32 v12, v8, 16, 1
	v_add3_u32 v8, v8, v12, s30
	v_accvgpr_write_b32 a39, v8
                                        ; implicit-def: $vgpr8
; %bb.921:                              ;   in Loop: Header=BB358_690 Depth=1
	s_andn2_saveexec_b64 s[24:25], s[4:5]
; %bb.922:                              ;   in Loop: Header=BB358_690 Depth=1
	v_or_b32_e32 v12, 0x10000, v8
	v_cmp_eq_u32_sdwa s[4:5], v8, v11 src0_sel:WORD_0 src1_sel:DWORD
	v_cndmask_b32_e64 v8, v12, v8, s[4:5]
	v_accvgpr_write_b32 a39, v8
; %bb.923:                              ;   in Loop: Header=BB358_690 Depth=1
	s_or_b64 exec, exec, s[24:25]
	v_lshlrev_b32_e32 v8, 16, v9
	v_mul_f32_e32 v8, v57, v8
	v_and_b32_e32 v9, 0x7f800000, v8
	v_cmp_ne_u32_e64 s[4:5], s15, v9
                                        ; implicit-def: $agpr40
	s_and_saveexec_b64 s[24:25], s[4:5]
	s_xor_b64 s[4:5], exec, s[24:25]
; %bb.924:                              ;   in Loop: Header=BB358_690 Depth=1
	v_bfe_u32 v9, v8, 16, 1
	v_add3_u32 v8, v8, v9, s30
	v_accvgpr_write_b32 a40, v8
                                        ; implicit-def: $vgpr8
; %bb.925:                              ;   in Loop: Header=BB358_690 Depth=1
	s_andn2_saveexec_b64 s[24:25], s[4:5]
; %bb.926:                              ;   in Loop: Header=BB358_690 Depth=1
	v_or_b32_e32 v9, 0x10000, v8
	v_cmp_eq_u32_sdwa s[4:5], v8, v11 src0_sel:WORD_0 src1_sel:DWORD
	v_cndmask_b32_e64 v8, v9, v8, s[4:5]
	v_accvgpr_write_b32 a40, v8
; %bb.927:                              ;   in Loop: Header=BB358_690 Depth=1
	s_or_b64 exec, exec, s[24:25]
	v_lshlrev_b32_e32 v8, 16, v20
	v_mul_f32_e32 v8, v58, v8
	v_and_b32_e32 v9, 0x7f800000, v8
	v_cmp_ne_u32_e64 s[4:5], s15, v9
                                        ; implicit-def: $agpr41
	s_and_saveexec_b64 s[24:25], s[4:5]
	s_xor_b64 s[4:5], exec, s[24:25]
; %bb.928:                              ;   in Loop: Header=BB358_690 Depth=1
	v_bfe_u32 v9, v8, 16, 1
	v_add3_u32 v8, v8, v9, s30
	v_accvgpr_write_b32 a41, v8
                                        ; implicit-def: $vgpr8
; %bb.929:                              ;   in Loop: Header=BB358_690 Depth=1
	s_andn2_saveexec_b64 s[24:25], s[4:5]
; %bb.930:                              ;   in Loop: Header=BB358_690 Depth=1
	v_or_b32_e32 v9, 0x10000, v8
	v_cmp_eq_u32_sdwa s[4:5], v8, v11 src0_sel:WORD_0 src1_sel:DWORD
	v_cndmask_b32_e64 v8, v9, v8, s[4:5]
	v_accvgpr_write_b32 a41, v8
; %bb.931:                              ;   in Loop: Header=BB358_690 Depth=1
	s_or_b64 exec, exec, s[24:25]
	v_lshlrev_b32_e32 v8, 16, v10
	v_mul_f32_e32 v8, v60, v8
	v_and_b32_e32 v9, 0x7f800000, v8
	v_cmp_ne_u32_e64 s[4:5], s15, v9
                                        ; implicit-def: $agpr42
	s_and_saveexec_b64 s[24:25], s[4:5]
	s_xor_b64 s[4:5], exec, s[24:25]
; %bb.932:                              ;   in Loop: Header=BB358_690 Depth=1
	v_bfe_u32 v9, v8, 16, 1
	v_add3_u32 v8, v8, v9, s30
	v_accvgpr_write_b32 a42, v8
                                        ; implicit-def: $vgpr8
; %bb.933:                              ;   in Loop: Header=BB358_690 Depth=1
	s_andn2_saveexec_b64 s[24:25], s[4:5]
; %bb.934:                              ;   in Loop: Header=BB358_690 Depth=1
	v_or_b32_e32 v9, 0x10000, v8
	v_cmp_eq_u32_sdwa s[4:5], v8, v11 src0_sel:WORD_0 src1_sel:DWORD
	v_cndmask_b32_e64 v8, v9, v8, s[4:5]
	v_accvgpr_write_b32 a42, v8
; %bb.935:                              ;   in Loop: Header=BB358_690 Depth=1
	s_or_b64 exec, exec, s[24:25]
	v_lshlrev_b32_e32 v6, 16, v6
	v_mul_f32_e32 v6, v36, v6
	v_and_b32_e32 v8, 0x7f800000, v6
	v_cmp_ne_u32_e64 s[4:5], s15, v8
                                        ; implicit-def: $agpr43
	s_and_saveexec_b64 s[24:25], s[4:5]
	s_xor_b64 s[4:5], exec, s[24:25]
; %bb.936:                              ;   in Loop: Header=BB358_690 Depth=1
	v_bfe_u32 v8, v6, 16, 1
	v_add3_u32 v6, v6, v8, s30
	v_accvgpr_write_b32 a43, v6
                                        ; implicit-def: $vgpr6
; %bb.937:                              ;   in Loop: Header=BB358_690 Depth=1
	s_andn2_saveexec_b64 s[24:25], s[4:5]
; %bb.938:                              ;   in Loop: Header=BB358_690 Depth=1
	v_or_b32_e32 v8, 0x10000, v6
	v_cmp_eq_u32_sdwa s[4:5], v6, v11 src0_sel:WORD_0 src1_sel:DWORD
	v_cndmask_b32_e64 v6, v8, v6, s[4:5]
	v_accvgpr_write_b32 a43, v6
; %bb.939:                              ;   in Loop: Header=BB358_690 Depth=1
	s_or_b64 exec, exec, s[24:25]
	v_lshlrev_b32_e32 v5, 16, v5
	v_mul_f32_e32 v5, v41, v5
	v_and_b32_e32 v6, 0x7f800000, v5
	v_cmp_ne_u32_e64 s[4:5], s15, v6
                                        ; implicit-def: $agpr44
	s_and_saveexec_b64 s[24:25], s[4:5]
	s_xor_b64 s[4:5], exec, s[24:25]
; %bb.940:                              ;   in Loop: Header=BB358_690 Depth=1
	v_bfe_u32 v6, v5, 16, 1
	v_add3_u32 v5, v5, v6, s30
	v_accvgpr_write_b32 a44, v5
                                        ; implicit-def: $vgpr5
; %bb.941:                              ;   in Loop: Header=BB358_690 Depth=1
	s_andn2_saveexec_b64 s[24:25], s[4:5]
; %bb.942:                              ;   in Loop: Header=BB358_690 Depth=1
	v_or_b32_e32 v6, 0x10000, v5
	v_cmp_eq_u32_sdwa s[4:5], v5, v11 src0_sel:WORD_0 src1_sel:DWORD
	v_cndmask_b32_e64 v5, v6, v5, s[4:5]
	v_accvgpr_write_b32 a44, v5
; %bb.943:                              ;   in Loop: Header=BB358_690 Depth=1
	s_or_b64 exec, exec, s[24:25]
	v_lshlrev_b32_e32 v3, 16, v3
	v_mul_f32_e32 v3, v34, v3
	v_and_b32_e32 v5, 0x7f800000, v3
	v_cmp_ne_u32_e64 s[4:5], s15, v5
                                        ; implicit-def: $agpr45
	s_and_saveexec_b64 s[24:25], s[4:5]
	s_xor_b64 s[4:5], exec, s[24:25]
; %bb.944:                              ;   in Loop: Header=BB358_690 Depth=1
	v_bfe_u32 v5, v3, 16, 1
	v_add3_u32 v3, v3, v5, s30
	v_accvgpr_write_b32 a45, v3
                                        ; implicit-def: $vgpr3
; %bb.945:                              ;   in Loop: Header=BB358_690 Depth=1
	s_andn2_saveexec_b64 s[24:25], s[4:5]
; %bb.946:                              ;   in Loop: Header=BB358_690 Depth=1
	v_or_b32_e32 v5, 0x10000, v3
	v_cmp_eq_u32_sdwa s[4:5], v3, v11 src0_sel:WORD_0 src1_sel:DWORD
	v_cndmask_b32_e64 v3, v5, v3, s[4:5]
	v_accvgpr_write_b32 a45, v3
; %bb.947:                              ;   in Loop: Header=BB358_690 Depth=1
	s_or_b64 exec, exec, s[24:25]
	v_lshlrev_b32_e32 v2, 16, v2
	v_mul_f32_e32 v2, v31, v2
	v_and_b32_e32 v3, 0x7f800000, v2
	v_cmp_ne_u32_e64 s[4:5], s15, v3
                                        ; implicit-def: $agpr46
	s_and_saveexec_b64 s[24:25], s[4:5]
	s_xor_b64 s[4:5], exec, s[24:25]
; %bb.948:                              ;   in Loop: Header=BB358_690 Depth=1
	v_bfe_u32 v3, v2, 16, 1
	v_add3_u32 v2, v2, v3, s30
	v_accvgpr_write_b32 a46, v2
                                        ; implicit-def: $vgpr2
; %bb.949:                              ;   in Loop: Header=BB358_690 Depth=1
	s_andn2_saveexec_b64 s[24:25], s[4:5]
; %bb.950:                              ;   in Loop: Header=BB358_690 Depth=1
	v_or_b32_e32 v3, 0x10000, v2
	v_cmp_eq_u32_sdwa s[4:5], v2, v11 src0_sel:WORD_0 src1_sel:DWORD
	v_cndmask_b32_e64 v2, v3, v2, s[4:5]
	v_accvgpr_write_b32 a46, v2
; %bb.951:                              ;   in Loop: Header=BB358_690 Depth=1
	s_or_b64 exec, exec, s[24:25]
	flat_load_dwordx2 v[2:3], v[0:1] offset:1024
	v_mov_b32_e32 v5, 0
	s_waitcnt vmcnt(0) lgkmcnt(0)
	v_cmp_ne_u16_sdwa s[4:5], v2, v11 src0_sel:BYTE_0 src1_sel:DWORD
	s_and_saveexec_b64 s[24:25], s[4:5]
	s_cbranch_execz .LBB358_957
; %bb.952:                              ;   in Loop: Header=BB358_690 Depth=1
	v_cmp_ne_u16_sdwa s[4:5], v2, s31 src0_sel:BYTE_0 src1_sel:DWORD
	v_bfrev_b32_e32 v5, 1
	s_and_saveexec_b64 s[26:27], s[4:5]
	s_cbranch_execz .LBB358_956
; %bb.953:                              ;   in Loop: Header=BB358_690 Depth=1
	v_and_b32_e32 v6, 0x7f, v2
	v_cmp_ne_u32_e64 s[4:5], s34, v6
	v_mov_b32_e32 v5, 0x7f800001
	s_and_saveexec_b64 s[28:29], s[4:5]
	s_cbranch_execz .LBB358_955
; %bb.954:                              ;   in Loop: Header=BB358_690 Depth=1
	v_and_b32_e32 v5, 7, v2
	v_ffbh_u32_e32 v5, v5
	v_min_u32_e32 v5, 32, v5
	v_subrev_u32_e32 v9, 28, v5
	v_cmp_gt_u32_e64 s[4:5], 8, v6
	v_lshrrev_b32_e32 v8, 3, v6
	v_sub_u32_e32 v5, 29, v5
	v_cndmask_b32_e64 v6, 0, v9, s[4:5]
	v_cndmask_b32_e64 v5, v8, v5, s[4:5]
	v_lshlrev_b64 v[8:9], v6, v[2:3]
	v_lshlrev_b32_e32 v6, 20, v8
	v_lshlrev_b32_e32 v8, 24, v2
	v_bfrev_b32_e32 v9, 60
	v_and_b32_e32 v6, 0x700000, v6
	v_and_b32_e32 v8, 0x80000000, v8
	v_lshl_add_u32 v5, v5, 23, v9
	v_or3_b32 v5, v8, v5, v6
.LBB358_955:                            ;   in Loop: Header=BB358_690 Depth=1
	s_or_b64 exec, exec, s[28:29]
.LBB358_956:                            ;   in Loop: Header=BB358_690 Depth=1
	s_or_b64 exec, exec, s[26:27]
.LBB358_957:                            ;   in Loop: Header=BB358_690 Depth=1
	s_or_b64 exec, exec, s[24:25]
	v_mul_f32_e32 v5, v7, v5
	v_and_b32_e32 v6, 0x7f800000, v5
	v_cmp_ne_u32_e64 s[4:5], s15, v6
                                        ; implicit-def: $vgpr8
	s_and_saveexec_b64 s[24:25], s[4:5]
	s_xor_b64 s[4:5], exec, s[24:25]
; %bb.958:                              ;   in Loop: Header=BB358_690 Depth=1
	v_bfe_u32 v6, v5, 16, 1
	v_add3_u32 v8, v5, v6, s30
                                        ; implicit-def: $vgpr5
; %bb.959:                              ;   in Loop: Header=BB358_690 Depth=1
	s_andn2_saveexec_b64 s[24:25], s[4:5]
; %bb.960:                              ;   in Loop: Header=BB358_690 Depth=1
	v_or_b32_e32 v6, 0x10000, v5
	v_cmp_eq_u32_sdwa s[4:5], v5, v11 src0_sel:WORD_0 src1_sel:DWORD
	v_cndmask_b32_e64 v8, v6, v5, s[4:5]
; %bb.961:                              ;   in Loop: Header=BB358_690 Depth=1
	s_or_b64 exec, exec, s[24:25]
	v_lshrrev_b16_e32 v6, 8, v2
	v_cmp_ne_u16_e64 s[4:5], 0, v6
	v_mov_b32_e32 v5, 0
	s_and_saveexec_b64 s[24:25], s[4:5]
	s_cbranch_execz .LBB358_967
; %bb.962:                              ;   in Loop: Header=BB358_690 Depth=1
	v_cmp_ne_u16_e64 s[4:5], s31, v6
	v_bfrev_b32_e32 v5, 1
	s_and_saveexec_b64 s[26:27], s[4:5]
	s_cbranch_execz .LBB358_966
; %bb.963:                              ;   in Loop: Header=BB358_690 Depth=1
	v_and_b32_e32 v9, 0x7f, v6
	v_cmp_ne_u32_e64 s[4:5], s34, v9
	v_mov_b32_e32 v5, 0x7f800001
	s_and_saveexec_b64 s[28:29], s[4:5]
	s_cbranch_execz .LBB358_965
; %bb.964:                              ;   in Loop: Header=BB358_690 Depth=1
	v_and_b32_e32 v5, 7, v6
	v_ffbh_u32_e32 v12, v5
	v_min_u32_e32 v12, 32, v12
	v_subrev_u32_e32 v13, 28, v12
	v_lshlrev_b64 v[20:21], v13, v[6:7]
	v_lshrrev_b32_e32 v10, 3, v9
	v_sub_u32_e32 v6, 29, v12
	v_and_b32_e32 v12, 7, v20
	v_cmp_gt_u32_e64 s[4:5], 8, v9
	v_cndmask_b32_e64 v6, v10, v6, s[4:5]
	v_cndmask_b32_e64 v5, v5, v12, s[4:5]
	v_lshlrev_b32_e32 v9, 16, v2
	v_bfrev_b32_e32 v10, 60
	v_lshlrev_b32_e32 v5, 20, v5
	v_and_b32_e32 v9, 0x80000000, v9
	v_lshl_add_u32 v6, v6, 23, v10
	v_or3_b32 v5, v9, v6, v5
.LBB358_965:                            ;   in Loop: Header=BB358_690 Depth=1
	s_or_b64 exec, exec, s[28:29]
.LBB358_966:                            ;   in Loop: Header=BB358_690 Depth=1
	s_or_b64 exec, exec, s[26:27]
.LBB358_967:                            ;   in Loop: Header=BB358_690 Depth=1
	s_or_b64 exec, exec, s[24:25]
	v_mul_f32_e32 v5, v7, v5
	v_and_b32_e32 v6, 0x7f800000, v5
	v_cmp_ne_u32_e64 s[4:5], s15, v6
                                        ; implicit-def: $vgpr9
	s_and_saveexec_b64 s[24:25], s[4:5]
	s_xor_b64 s[4:5], exec, s[24:25]
; %bb.968:                              ;   in Loop: Header=BB358_690 Depth=1
	v_bfe_u32 v6, v5, 16, 1
	v_add3_u32 v9, v5, v6, s30
                                        ; implicit-def: $vgpr5
; %bb.969:                              ;   in Loop: Header=BB358_690 Depth=1
	s_andn2_saveexec_b64 s[24:25], s[4:5]
; %bb.970:                              ;   in Loop: Header=BB358_690 Depth=1
	v_or_b32_e32 v6, 0x10000, v5
	v_cmp_eq_u32_sdwa s[4:5], v5, v11 src0_sel:WORD_0 src1_sel:DWORD
	v_cndmask_b32_e64 v9, v6, v5, s[4:5]
; %bb.971:                              ;   in Loop: Header=BB358_690 Depth=1
	s_or_b64 exec, exec, s[24:25]
	v_lshrrev_b32_e32 v6, 16, v2
	v_cmp_ne_u16_sdwa s[4:5], v6, v11 src0_sel:BYTE_0 src1_sel:DWORD
	v_mov_b32_e32 v5, 0
	s_and_saveexec_b64 s[24:25], s[4:5]
	s_cbranch_execz .LBB358_977
; %bb.972:                              ;   in Loop: Header=BB358_690 Depth=1
	v_cmp_ne_u16_sdwa s[4:5], v6, s31 src0_sel:BYTE_0 src1_sel:DWORD
	v_bfrev_b32_e32 v5, 1
	s_and_saveexec_b64 s[26:27], s[4:5]
	s_cbranch_execz .LBB358_976
; %bb.973:                              ;   in Loop: Header=BB358_690 Depth=1
	v_bfe_u32 v10, v2, 16, 7
	v_cmp_ne_u32_e64 s[4:5], s34, v10
	v_mov_b32_e32 v5, 0x7f800001
	s_and_saveexec_b64 s[28:29], s[4:5]
	s_cbranch_execz .LBB358_975
; %bb.974:                              ;   in Loop: Header=BB358_690 Depth=1
	v_and_b32_e32 v5, 7, v6
	v_ffbh_u32_e32 v13, v5
	v_min_u32_e32 v13, 32, v13
	v_subrev_u32_e32 v20, 28, v13
	v_lshlrev_b64 v[20:21], v20, v[6:7]
	v_lshrrev_b32_e32 v12, 3, v10
	v_sub_u32_e32 v13, 29, v13
	v_and_b32_e32 v20, 7, v20
	v_cmp_gt_u32_e64 s[4:5], 8, v10
	v_cndmask_b32_e64 v10, v12, v13, s[4:5]
	v_cndmask_b32_e64 v5, v5, v20, s[4:5]
	v_lshlrev_b32_e32 v6, 24, v6
	v_bfrev_b32_e32 v12, 60
	v_lshlrev_b32_e32 v5, 20, v5
	v_and_b32_e32 v6, 0x80000000, v6
	v_lshl_add_u32 v10, v10, 23, v12
	v_or3_b32 v5, v6, v10, v5
.LBB358_975:                            ;   in Loop: Header=BB358_690 Depth=1
	s_or_b64 exec, exec, s[28:29]
.LBB358_976:                            ;   in Loop: Header=BB358_690 Depth=1
	s_or_b64 exec, exec, s[26:27]
.LBB358_977:                            ;   in Loop: Header=BB358_690 Depth=1
	s_or_b64 exec, exec, s[24:25]
	v_mul_f32_e32 v5, v7, v5
	v_and_b32_e32 v6, 0x7f800000, v5
	v_cmp_ne_u32_e64 s[4:5], s15, v6
                                        ; implicit-def: $vgpr20
	s_and_saveexec_b64 s[24:25], s[4:5]
	s_xor_b64 s[4:5], exec, s[24:25]
; %bb.978:                              ;   in Loop: Header=BB358_690 Depth=1
	v_bfe_u32 v6, v5, 16, 1
	v_add3_u32 v20, v5, v6, s30
                                        ; implicit-def: $vgpr5
; %bb.979:                              ;   in Loop: Header=BB358_690 Depth=1
	s_andn2_saveexec_b64 s[24:25], s[4:5]
; %bb.980:                              ;   in Loop: Header=BB358_690 Depth=1
	v_or_b32_e32 v6, 0x10000, v5
	v_cmp_eq_u32_sdwa s[4:5], v5, v11 src0_sel:WORD_0 src1_sel:DWORD
	v_cndmask_b32_e64 v20, v6, v5, s[4:5]
; %bb.981:                              ;   in Loop: Header=BB358_690 Depth=1
	s_or_b64 exec, exec, s[24:25]
	v_cmp_lt_u32_e64 s[4:5], s11, v2
	v_mov_b32_e32 v5, 0
	s_and_saveexec_b64 s[24:25], s[4:5]
	s_cbranch_execz .LBB358_987
; %bb.982:                              ;   in Loop: Header=BB358_690 Depth=1
	v_lshrrev_b32_e32 v6, 24, v2
	v_cmp_ne_u32_e64 s[4:5], s31, v6
	v_bfrev_b32_e32 v5, 1
	s_and_saveexec_b64 s[26:27], s[4:5]
	s_cbranch_execz .LBB358_986
; %bb.983:                              ;   in Loop: Header=BB358_690 Depth=1
	v_bfe_u32 v10, v2, 24, 7
	v_cmp_ne_u32_e64 s[4:5], s34, v10
	v_mov_b32_e32 v5, 0x7f800001
	s_and_saveexec_b64 s[28:29], s[4:5]
	s_cbranch_execz .LBB358_985
; %bb.984:                              ;   in Loop: Header=BB358_690 Depth=1
	v_and_b32_e32 v5, 7, v6
	v_ffbh_u32_e32 v13, v5
	v_min_u32_e32 v13, 32, v13
	v_subrev_u32_e32 v21, 28, v13
	v_lshlrev_b64 v[26:27], v21, v[6:7]
	v_lshrrev_b32_e32 v12, 3, v10
	v_sub_u32_e32 v13, 29, v13
	v_and_b32_e32 v21, 7, v26
	v_cmp_gt_u32_e64 s[4:5], 8, v10
	v_cndmask_b32_e64 v10, v12, v13, s[4:5]
	v_cndmask_b32_e64 v5, v5, v21, s[4:5]
	v_lshlrev_b32_e32 v6, 24, v6
	v_bfrev_b32_e32 v12, 60
	v_lshlrev_b32_e32 v5, 20, v5
	v_and_b32_e32 v6, 0x80000000, v6
	v_lshl_add_u32 v10, v10, 23, v12
	v_or3_b32 v5, v6, v10, v5
.LBB358_985:                            ;   in Loop: Header=BB358_690 Depth=1
	s_or_b64 exec, exec, s[28:29]
.LBB358_986:                            ;   in Loop: Header=BB358_690 Depth=1
	s_or_b64 exec, exec, s[26:27]
.LBB358_987:                            ;   in Loop: Header=BB358_690 Depth=1
	s_or_b64 exec, exec, s[24:25]
	v_mul_f32_e32 v5, v7, v5
	v_and_b32_e32 v6, 0x7f800000, v5
	v_cmp_ne_u32_e64 s[4:5], s15, v6
                                        ; implicit-def: $vgpr21
	s_and_saveexec_b64 s[24:25], s[4:5]
	s_xor_b64 s[4:5], exec, s[24:25]
; %bb.988:                              ;   in Loop: Header=BB358_690 Depth=1
	v_bfe_u32 v6, v5, 16, 1
	v_add3_u32 v21, v5, v6, s30
                                        ; implicit-def: $vgpr5
; %bb.989:                              ;   in Loop: Header=BB358_690 Depth=1
	s_andn2_saveexec_b64 s[24:25], s[4:5]
; %bb.990:                              ;   in Loop: Header=BB358_690 Depth=1
	v_or_b32_e32 v6, 0x10000, v5
	v_cmp_eq_u32_sdwa s[4:5], v5, v11 src0_sel:WORD_0 src1_sel:DWORD
	v_cndmask_b32_e64 v21, v6, v5, s[4:5]
; %bb.991:                              ;   in Loop: Header=BB358_690 Depth=1
	s_or_b64 exec, exec, s[24:25]
	v_mov_b32_e32 v10, v3
	v_cmp_ne_u16_sdwa s[4:5], v3, v11 src0_sel:BYTE_0 src1_sel:DWORD
	v_mov_b32_e32 v5, 0
	s_and_saveexec_b64 s[24:25], s[4:5]
	s_cbranch_execz .LBB358_997
; %bb.992:                              ;   in Loop: Header=BB358_690 Depth=1
	v_cmp_ne_u16_sdwa s[4:5], v3, s31 src0_sel:BYTE_0 src1_sel:DWORD
	v_bfrev_b32_e32 v5, 1
	s_and_saveexec_b64 s[26:27], s[4:5]
	s_cbranch_execz .LBB358_996
; %bb.993:                              ;   in Loop: Header=BB358_690 Depth=1
	v_and_b32_e32 v6, 0x7f, v3
	v_cmp_ne_u32_e64 s[4:5], s34, v6
	v_mov_b32_e32 v5, 0x7f800001
	s_and_saveexec_b64 s[28:29], s[4:5]
	s_cbranch_execz .LBB358_995
; %bb.994:                              ;   in Loop: Header=BB358_690 Depth=1
	v_and_b32_e32 v5, 7, v3
	v_ffbh_u32_e32 v5, v5
	v_min_u32_e32 v5, 32, v5
	v_subrev_u32_e32 v13, 28, v5
	v_cmp_gt_u32_e64 s[4:5], 8, v6
	v_lshrrev_b32_e32 v12, 3, v6
	v_cndmask_b32_e64 v6, 0, v13, s[4:5]
	v_sub_u32_e32 v5, 29, v5
	v_lshlrev_b64 v[26:27], v6, v[10:11]
	v_cndmask_b32_e64 v5, v12, v5, s[4:5]
	v_lshlrev_b32_e32 v6, 20, v26
	v_lshlrev_b32_e32 v12, 24, v10
	v_bfrev_b32_e32 v13, 60
	v_and_b32_e32 v6, 0x700000, v6
	v_and_b32_e32 v12, 0x80000000, v12
	v_lshl_add_u32 v5, v5, 23, v13
	v_or3_b32 v5, v12, v5, v6
.LBB358_995:                            ;   in Loop: Header=BB358_690 Depth=1
	s_or_b64 exec, exec, s[28:29]
.LBB358_996:                            ;   in Loop: Header=BB358_690 Depth=1
	s_or_b64 exec, exec, s[26:27]
.LBB358_997:                            ;   in Loop: Header=BB358_690 Depth=1
	s_or_b64 exec, exec, s[24:25]
	v_mul_f32_e32 v5, v7, v5
	v_and_b32_e32 v6, 0x7f800000, v5
	v_cmp_ne_u32_e64 s[4:5], s15, v6
                                        ; implicit-def: $vgpr22
	s_and_saveexec_b64 s[24:25], s[4:5]
	s_xor_b64 s[4:5], exec, s[24:25]
; %bb.998:                              ;   in Loop: Header=BB358_690 Depth=1
	v_bfe_u32 v6, v5, 16, 1
	v_add3_u32 v22, v5, v6, s30
                                        ; implicit-def: $vgpr5
; %bb.999:                              ;   in Loop: Header=BB358_690 Depth=1
	s_andn2_saveexec_b64 s[24:25], s[4:5]
; %bb.1000:                             ;   in Loop: Header=BB358_690 Depth=1
	v_or_b32_e32 v6, 0x10000, v5
	v_cmp_eq_u32_sdwa s[4:5], v5, v11 src0_sel:WORD_0 src1_sel:DWORD
	v_cndmask_b32_e64 v22, v6, v5, s[4:5]
; %bb.1001:                             ;   in Loop: Header=BB358_690 Depth=1
	s_or_b64 exec, exec, s[24:25]
	v_lshrrev_b16_e32 v6, 8, v10
	v_cmp_ne_u16_e64 s[4:5], 0, v6
	v_mov_b32_e32 v5, 0
	s_and_saveexec_b64 s[24:25], s[4:5]
	s_cbranch_execz .LBB358_1007
; %bb.1002:                             ;   in Loop: Header=BB358_690 Depth=1
	v_cmp_ne_u16_e64 s[4:5], s31, v6
	v_bfrev_b32_e32 v5, 1
	s_and_saveexec_b64 s[26:27], s[4:5]
	s_cbranch_execz .LBB358_1006
; %bb.1003:                             ;   in Loop: Header=BB358_690 Depth=1
	v_and_b32_e32 v26, 0x7f, v6
	v_cmp_ne_u32_e64 s[4:5], s34, v26
	v_mov_b32_e32 v5, 0x7f800001
	s_and_saveexec_b64 s[28:29], s[4:5]
	s_cbranch_execz .LBB358_1005
; %bb.1004:                             ;   in Loop: Header=BB358_690 Depth=1
	v_and_b32_e32 v5, 7, v6
	v_ffbh_u32_e32 v13, v5
	v_min_u32_e32 v13, 32, v13
	v_subrev_u32_e32 v23, 28, v13
	v_lshlrev_b64 v[32:33], v23, v[6:7]
	v_lshrrev_b32_e32 v12, 3, v26
	v_sub_u32_e32 v6, 29, v13
	v_and_b32_e32 v13, 7, v32
	v_cmp_gt_u32_e64 s[4:5], 8, v26
	v_cndmask_b32_e64 v6, v12, v6, s[4:5]
	v_cndmask_b32_e64 v5, v5, v13, s[4:5]
	v_lshlrev_b32_e32 v10, 16, v10
	v_bfrev_b32_e32 v12, 60
	v_lshlrev_b32_e32 v5, 20, v5
	v_and_b32_e32 v10, 0x80000000, v10
	v_lshl_add_u32 v6, v6, 23, v12
	v_accvgpr_read_b32 v23, a32
	v_or3_b32 v5, v10, v6, v5
.LBB358_1005:                           ;   in Loop: Header=BB358_690 Depth=1
	s_or_b64 exec, exec, s[28:29]
.LBB358_1006:                           ;   in Loop: Header=BB358_690 Depth=1
	s_or_b64 exec, exec, s[26:27]
.LBB358_1007:                           ;   in Loop: Header=BB358_690 Depth=1
	s_or_b64 exec, exec, s[24:25]
	v_mul_f32_e32 v6, v7, v5
	v_and_b32_e32 v5, 0x7f800000, v6
	v_cmp_ne_u32_e64 s[4:5], s15, v5
                                        ; implicit-def: $vgpr5
	s_and_saveexec_b64 s[24:25], s[4:5]
	s_xor_b64 s[4:5], exec, s[24:25]
; %bb.1008:                             ;   in Loop: Header=BB358_690 Depth=1
	v_bfe_u32 v5, v6, 16, 1
	v_add3_u32 v5, v6, v5, s30
                                        ; implicit-def: $vgpr6
; %bb.1009:                             ;   in Loop: Header=BB358_690 Depth=1
	s_andn2_saveexec_b64 s[24:25], s[4:5]
; %bb.1010:                             ;   in Loop: Header=BB358_690 Depth=1
	v_or_b32_e32 v5, 0x10000, v6
	v_cmp_eq_u32_sdwa s[4:5], v6, v11 src0_sel:WORD_0 src1_sel:DWORD
	v_cndmask_b32_e64 v5, v5, v6, s[4:5]
; %bb.1011:                             ;   in Loop: Header=BB358_690 Depth=1
	s_or_b64 exec, exec, s[24:25]
	v_lshrrev_b32_e32 v6, 16, v3
	v_cmp_ne_u16_sdwa s[4:5], v6, v11 src0_sel:BYTE_0 src1_sel:DWORD
	v_mov_b32_e32 v10, 0
	s_and_saveexec_b64 s[24:25], s[4:5]
	s_cbranch_execz .LBB358_1017
; %bb.1012:                             ;   in Loop: Header=BB358_690 Depth=1
	v_cmp_ne_u16_sdwa s[4:5], v6, s31 src0_sel:BYTE_0 src1_sel:DWORD
	v_bfrev_b32_e32 v10, 1
	s_and_saveexec_b64 s[26:27], s[4:5]
	s_cbranch_execz .LBB358_1016
; %bb.1013:                             ;   in Loop: Header=BB358_690 Depth=1
	v_bfe_u32 v26, v3, 16, 7
	v_cmp_ne_u32_e64 s[4:5], s34, v26
	v_mov_b32_e32 v10, 0x7f800001
	s_and_saveexec_b64 s[28:29], s[4:5]
	s_cbranch_execz .LBB358_1015
; %bb.1014:                             ;   in Loop: Header=BB358_690 Depth=1
	v_and_b32_e32 v10, 7, v6
	v_ffbh_u32_e32 v13, v10
	v_min_u32_e32 v13, 32, v13
	v_subrev_u32_e32 v23, 28, v13
	v_lshlrev_b64 v[32:33], v23, v[6:7]
	v_lshrrev_b32_e32 v12, 3, v26
	v_sub_u32_e32 v13, 29, v13
	v_and_b32_e32 v23, 7, v32
	v_cmp_gt_u32_e64 s[4:5], 8, v26
	v_cndmask_b32_e64 v12, v12, v13, s[4:5]
	v_cndmask_b32_e64 v10, v10, v23, s[4:5]
	v_lshlrev_b32_e32 v6, 24, v6
	v_bfrev_b32_e32 v13, 60
	v_lshlrev_b32_e32 v10, 20, v10
	v_and_b32_e32 v6, 0x80000000, v6
	v_lshl_add_u32 v12, v12, 23, v13
	v_accvgpr_read_b32 v23, a32
	v_or3_b32 v10, v6, v12, v10
.LBB358_1015:                           ;   in Loop: Header=BB358_690 Depth=1
	s_or_b64 exec, exec, s[28:29]
.LBB358_1016:                           ;   in Loop: Header=BB358_690 Depth=1
	s_or_b64 exec, exec, s[26:27]
.LBB358_1017:                           ;   in Loop: Header=BB358_690 Depth=1
	s_or_b64 exec, exec, s[24:25]
	v_mul_f32_e32 v6, v7, v10
	v_and_b32_e32 v10, 0x7f800000, v6
	v_cmp_ne_u32_e64 s[4:5], s15, v10
                                        ; implicit-def: $vgpr26
	s_and_saveexec_b64 s[24:25], s[4:5]
	s_xor_b64 s[4:5], exec, s[24:25]
; %bb.1018:                             ;   in Loop: Header=BB358_690 Depth=1
	v_bfe_u32 v10, v6, 16, 1
	v_add3_u32 v26, v6, v10, s30
                                        ; implicit-def: $vgpr6
; %bb.1019:                             ;   in Loop: Header=BB358_690 Depth=1
	s_andn2_saveexec_b64 s[24:25], s[4:5]
; %bb.1020:                             ;   in Loop: Header=BB358_690 Depth=1
	v_or_b32_e32 v10, 0x10000, v6
	v_cmp_eq_u32_sdwa s[4:5], v6, v11 src0_sel:WORD_0 src1_sel:DWORD
	v_cndmask_b32_e64 v26, v10, v6, s[4:5]
; %bb.1021:                             ;   in Loop: Header=BB358_690 Depth=1
	s_or_b64 exec, exec, s[24:25]
	v_cmp_lt_u64_e64 s[4:5], s[10:11], v[2:3]
	v_mov_b32_e32 v6, 0
	s_and_saveexec_b64 s[24:25], s[4:5]
	s_cbranch_execz .LBB358_1027
; %bb.1022:                             ;   in Loop: Header=BB358_690 Depth=1
	v_lshrrev_b32_e32 v2, 24, v3
	v_cmp_ne_u32_e64 s[4:5], s31, v2
	v_bfrev_b32_e32 v6, 1
	s_and_saveexec_b64 s[26:27], s[4:5]
	s_cbranch_execz .LBB358_1026
; %bb.1023:                             ;   in Loop: Header=BB358_690 Depth=1
	v_bfe_u32 v3, v3, 24, 7
	v_cmp_ne_u32_e64 s[4:5], s34, v3
	v_mov_b32_e32 v6, 0x7f800001
	s_and_saveexec_b64 s[28:29], s[4:5]
	s_cbranch_execz .LBB358_1025
; %bb.1024:                             ;   in Loop: Header=BB358_690 Depth=1
	v_and_b32_e32 v6, 7, v2
	v_ffbh_u32_e32 v12, v6
	v_min_u32_e32 v12, 32, v12
	v_subrev_u32_e32 v13, 28, v12
	v_lshlrev_b64 v[32:33], v13, v[2:3]
	v_lshrrev_b32_e32 v10, 3, v3
	v_sub_u32_e32 v12, 29, v12
	v_and_b32_e32 v13, 7, v32
	v_cmp_gt_u32_e64 s[4:5], 8, v3
	v_cndmask_b32_e64 v3, v10, v12, s[4:5]
	v_cndmask_b32_e64 v6, v6, v13, s[4:5]
	v_lshlrev_b32_e32 v2, 24, v2
	v_bfrev_b32_e32 v10, 60
	v_lshlrev_b32_e32 v6, 20, v6
	v_and_b32_e32 v2, 0x80000000, v2
	v_lshl_add_u32 v3, v3, 23, v10
	v_or3_b32 v6, v2, v3, v6
.LBB358_1025:                           ;   in Loop: Header=BB358_690 Depth=1
	s_or_b64 exec, exec, s[28:29]
.LBB358_1026:                           ;   in Loop: Header=BB358_690 Depth=1
	s_or_b64 exec, exec, s[26:27]
.LBB358_1027:                           ;   in Loop: Header=BB358_690 Depth=1
	s_or_b64 exec, exec, s[24:25]
	v_mul_f32_e32 v3, v7, v6
	v_and_b32_e32 v2, 0x7f800000, v3
	v_cmp_ne_u32_e64 s[4:5], s15, v2
                                        ; implicit-def: $vgpr2
	s_and_saveexec_b64 s[24:25], s[4:5]
	s_xor_b64 s[4:5], exec, s[24:25]
; %bb.1028:                             ;   in Loop: Header=BB358_690 Depth=1
	v_bfe_u32 v2, v3, 16, 1
	v_add3_u32 v2, v3, v2, s30
                                        ; implicit-def: $vgpr3
; %bb.1029:                             ;   in Loop: Header=BB358_690 Depth=1
	s_andn2_saveexec_b64 s[24:25], s[4:5]
; %bb.1030:                             ;   in Loop: Header=BB358_690 Depth=1
	v_or_b32_e32 v2, 0x10000, v3
	v_cmp_eq_u32_sdwa s[4:5], v3, v11 src0_sel:WORD_0 src1_sel:DWORD
	v_cndmask_b32_e64 v2, v2, v3, s[4:5]
; %bb.1031:                             ;   in Loop: Header=BB358_690 Depth=1
	s_or_b64 exec, exec, s[24:25]
	v_lshrrev_b32_e32 v5, 16, v5
	v_lshrrev_b32_e32 v6, 16, v22
	;; [unrolled: 1-line block ×8, first 2 shown]
	s_and_saveexec_b64 s[24:25], vcc
	s_cbranch_execz .LBB358_1033
; %bb.1032:                             ;   in Loop: Header=BB358_690 Depth=1
	buffer_load_dword v12, off, s[0:3], s32 offset:196 ; 4-byte Folded Reload
	v_accvgpr_read_b32 v13, a38
	s_waitcnt vmcnt(0)
	v_cmp_lt_i32_e64 s[4:5], v53, v12
	v_cndmask_b32_e64 v8, 0, v8, s[4:5]
	v_cmp_lt_i32_e64 s[4:5], v13, v12
	v_accvgpr_read_b32 v13, a37
	v_cndmask_b32_e64 v9, 0, v9, s[4:5]
	v_cmp_lt_i32_e64 s[4:5], v13, v12
	v_accvgpr_read_b32 v13, a36
	;; [unrolled: 3-line block ×5, first 2 shown]
	v_cndmask_b32_e64 v5, 0, v5, s[4:5]
	v_cmp_lt_i32_e64 s[4:5], v13, v12
	v_cndmask_b32_e64 v3, 0, v3, s[4:5]
	v_cmp_lt_i32_e64 s[4:5], v23, v12
	v_cndmask_b32_e64 v2, 0, v2, s[4:5]
.LBB358_1033:                           ;   in Loop: Header=BB358_690 Depth=1
	s_or_b64 exec, exec, s[24:25]
	v_lshlrev_b32_e32 v8, 16, v8
	v_mul_f32_e32 v8, v56, v8
	v_and_b32_e32 v12, 0x7f800000, v8
	v_cmp_ne_u32_e64 s[4:5], s15, v12
                                        ; implicit-def: $agpr47
	s_and_saveexec_b64 s[24:25], s[4:5]
	s_xor_b64 s[4:5], exec, s[24:25]
; %bb.1034:                             ;   in Loop: Header=BB358_690 Depth=1
	v_bfe_u32 v12, v8, 16, 1
	v_add3_u32 v8, v8, v12, s30
	v_accvgpr_write_b32 a47, v8
                                        ; implicit-def: $vgpr8
; %bb.1035:                             ;   in Loop: Header=BB358_690 Depth=1
	s_andn2_saveexec_b64 s[24:25], s[4:5]
; %bb.1036:                             ;   in Loop: Header=BB358_690 Depth=1
	v_or_b32_e32 v12, 0x10000, v8
	v_cmp_eq_u32_sdwa s[4:5], v8, v11 src0_sel:WORD_0 src1_sel:DWORD
	v_cndmask_b32_e64 v8, v12, v8, s[4:5]
	v_accvgpr_write_b32 a47, v8
; %bb.1037:                             ;   in Loop: Header=BB358_690 Depth=1
	s_or_b64 exec, exec, s[24:25]
	v_lshlrev_b32_e32 v8, 16, v9
	v_mul_f32_e32 v8, v57, v8
	v_and_b32_e32 v9, 0x7f800000, v8
	v_cmp_ne_u32_e64 s[4:5], s15, v9
                                        ; implicit-def: $agpr48
	s_and_saveexec_b64 s[24:25], s[4:5]
	s_xor_b64 s[4:5], exec, s[24:25]
; %bb.1038:                             ;   in Loop: Header=BB358_690 Depth=1
	v_bfe_u32 v9, v8, 16, 1
	v_add3_u32 v8, v8, v9, s30
	v_accvgpr_write_b32 a48, v8
                                        ; implicit-def: $vgpr8
; %bb.1039:                             ;   in Loop: Header=BB358_690 Depth=1
	s_andn2_saveexec_b64 s[24:25], s[4:5]
; %bb.1040:                             ;   in Loop: Header=BB358_690 Depth=1
	v_or_b32_e32 v9, 0x10000, v8
	v_cmp_eq_u32_sdwa s[4:5], v8, v11 src0_sel:WORD_0 src1_sel:DWORD
	v_cndmask_b32_e64 v8, v9, v8, s[4:5]
	v_accvgpr_write_b32 a48, v8
; %bb.1041:                             ;   in Loop: Header=BB358_690 Depth=1
	s_or_b64 exec, exec, s[24:25]
	v_lshlrev_b32_e32 v8, 16, v20
	v_mul_f32_e32 v8, v58, v8
	v_and_b32_e32 v9, 0x7f800000, v8
	v_cmp_ne_u32_e64 s[4:5], s15, v9
                                        ; implicit-def: $agpr49
	s_and_saveexec_b64 s[24:25], s[4:5]
	s_xor_b64 s[4:5], exec, s[24:25]
; %bb.1042:                             ;   in Loop: Header=BB358_690 Depth=1
	v_bfe_u32 v9, v8, 16, 1
	v_add3_u32 v8, v8, v9, s30
	v_accvgpr_write_b32 a49, v8
                                        ; implicit-def: $vgpr8
; %bb.1043:                             ;   in Loop: Header=BB358_690 Depth=1
	s_andn2_saveexec_b64 s[24:25], s[4:5]
; %bb.1044:                             ;   in Loop: Header=BB358_690 Depth=1
	v_or_b32_e32 v9, 0x10000, v8
	v_cmp_eq_u32_sdwa s[4:5], v8, v11 src0_sel:WORD_0 src1_sel:DWORD
	v_cndmask_b32_e64 v8, v9, v8, s[4:5]
	v_accvgpr_write_b32 a49, v8
; %bb.1045:                             ;   in Loop: Header=BB358_690 Depth=1
	s_or_b64 exec, exec, s[24:25]
	v_lshlrev_b32_e32 v8, 16, v10
	v_mul_f32_e32 v8, v60, v8
	v_and_b32_e32 v9, 0x7f800000, v8
	v_cmp_ne_u32_e64 s[4:5], s15, v9
                                        ; implicit-def: $agpr50
	s_and_saveexec_b64 s[24:25], s[4:5]
	s_xor_b64 s[4:5], exec, s[24:25]
; %bb.1046:                             ;   in Loop: Header=BB358_690 Depth=1
	v_bfe_u32 v9, v8, 16, 1
	v_add3_u32 v8, v8, v9, s30
	v_accvgpr_write_b32 a50, v8
                                        ; implicit-def: $vgpr8
; %bb.1047:                             ;   in Loop: Header=BB358_690 Depth=1
	s_andn2_saveexec_b64 s[24:25], s[4:5]
; %bb.1048:                             ;   in Loop: Header=BB358_690 Depth=1
	v_or_b32_e32 v9, 0x10000, v8
	v_cmp_eq_u32_sdwa s[4:5], v8, v11 src0_sel:WORD_0 src1_sel:DWORD
	v_cndmask_b32_e64 v8, v9, v8, s[4:5]
	v_accvgpr_write_b32 a50, v8
; %bb.1049:                             ;   in Loop: Header=BB358_690 Depth=1
	s_or_b64 exec, exec, s[24:25]
	v_lshlrev_b32_e32 v6, 16, v6
	v_mul_f32_e32 v6, v36, v6
	v_and_b32_e32 v8, 0x7f800000, v6
	v_cmp_ne_u32_e64 s[4:5], s15, v8
                                        ; implicit-def: $agpr51
	s_and_saveexec_b64 s[24:25], s[4:5]
	s_xor_b64 s[4:5], exec, s[24:25]
; %bb.1050:                             ;   in Loop: Header=BB358_690 Depth=1
	v_bfe_u32 v8, v6, 16, 1
	v_add3_u32 v6, v6, v8, s30
	v_accvgpr_write_b32 a51, v6
                                        ; implicit-def: $vgpr6
; %bb.1051:                             ;   in Loop: Header=BB358_690 Depth=1
	s_andn2_saveexec_b64 s[24:25], s[4:5]
; %bb.1052:                             ;   in Loop: Header=BB358_690 Depth=1
	v_or_b32_e32 v8, 0x10000, v6
	v_cmp_eq_u32_sdwa s[4:5], v6, v11 src0_sel:WORD_0 src1_sel:DWORD
	v_cndmask_b32_e64 v6, v8, v6, s[4:5]
	v_accvgpr_write_b32 a51, v6
; %bb.1053:                             ;   in Loop: Header=BB358_690 Depth=1
	s_or_b64 exec, exec, s[24:25]
	v_lshlrev_b32_e32 v5, 16, v5
	v_mul_f32_e32 v5, v41, v5
	v_and_b32_e32 v6, 0x7f800000, v5
	v_cmp_ne_u32_e64 s[4:5], s15, v6
                                        ; implicit-def: $agpr52
	s_and_saveexec_b64 s[24:25], s[4:5]
	s_xor_b64 s[4:5], exec, s[24:25]
; %bb.1054:                             ;   in Loop: Header=BB358_690 Depth=1
	v_bfe_u32 v6, v5, 16, 1
	v_add3_u32 v5, v5, v6, s30
	v_accvgpr_write_b32 a52, v5
                                        ; implicit-def: $vgpr5
; %bb.1055:                             ;   in Loop: Header=BB358_690 Depth=1
	s_andn2_saveexec_b64 s[24:25], s[4:5]
; %bb.1056:                             ;   in Loop: Header=BB358_690 Depth=1
	v_or_b32_e32 v6, 0x10000, v5
	v_cmp_eq_u32_sdwa s[4:5], v5, v11 src0_sel:WORD_0 src1_sel:DWORD
	v_cndmask_b32_e64 v5, v6, v5, s[4:5]
	v_accvgpr_write_b32 a52, v5
; %bb.1057:                             ;   in Loop: Header=BB358_690 Depth=1
	s_or_b64 exec, exec, s[24:25]
	v_lshlrev_b32_e32 v3, 16, v3
	v_mul_f32_e32 v3, v34, v3
	v_and_b32_e32 v5, 0x7f800000, v3
	v_cmp_ne_u32_e64 s[4:5], s15, v5
                                        ; implicit-def: $agpr53
	s_and_saveexec_b64 s[24:25], s[4:5]
	s_xor_b64 s[4:5], exec, s[24:25]
; %bb.1058:                             ;   in Loop: Header=BB358_690 Depth=1
	v_bfe_u32 v5, v3, 16, 1
	v_add3_u32 v3, v3, v5, s30
	v_accvgpr_write_b32 a53, v3
                                        ; implicit-def: $vgpr3
; %bb.1059:                             ;   in Loop: Header=BB358_690 Depth=1
	s_andn2_saveexec_b64 s[24:25], s[4:5]
; %bb.1060:                             ;   in Loop: Header=BB358_690 Depth=1
	v_or_b32_e32 v5, 0x10000, v3
	v_cmp_eq_u32_sdwa s[4:5], v3, v11 src0_sel:WORD_0 src1_sel:DWORD
	v_cndmask_b32_e64 v3, v5, v3, s[4:5]
	v_accvgpr_write_b32 a53, v3
; %bb.1061:                             ;   in Loop: Header=BB358_690 Depth=1
	s_or_b64 exec, exec, s[24:25]
	v_lshlrev_b32_e32 v2, 16, v2
	v_mul_f32_e32 v2, v31, v2
	v_and_b32_e32 v3, 0x7f800000, v2
	v_cmp_ne_u32_e64 s[4:5], s15, v3
                                        ; implicit-def: $agpr54
	s_and_saveexec_b64 s[24:25], s[4:5]
	s_xor_b64 s[4:5], exec, s[24:25]
; %bb.1062:                             ;   in Loop: Header=BB358_690 Depth=1
	v_bfe_u32 v3, v2, 16, 1
	v_add3_u32 v2, v2, v3, s30
	v_accvgpr_write_b32 a54, v2
                                        ; implicit-def: $vgpr2
; %bb.1063:                             ;   in Loop: Header=BB358_690 Depth=1
	s_andn2_saveexec_b64 s[24:25], s[4:5]
; %bb.1064:                             ;   in Loop: Header=BB358_690 Depth=1
	v_or_b32_e32 v3, 0x10000, v2
	v_cmp_eq_u32_sdwa s[4:5], v2, v11 src0_sel:WORD_0 src1_sel:DWORD
	v_cndmask_b32_e64 v2, v3, v2, s[4:5]
	v_accvgpr_write_b32 a54, v2
; %bb.1065:                             ;   in Loop: Header=BB358_690 Depth=1
	s_or_b64 exec, exec, s[24:25]
	flat_load_dwordx2 v[2:3], v[0:1] offset:1536
	v_mov_b32_e32 v5, 0
	s_waitcnt vmcnt(0) lgkmcnt(0)
	v_cmp_ne_u16_sdwa s[4:5], v2, v11 src0_sel:BYTE_0 src1_sel:DWORD
	s_and_saveexec_b64 s[24:25], s[4:5]
	s_cbranch_execz .LBB358_1071
; %bb.1066:                             ;   in Loop: Header=BB358_690 Depth=1
	v_cmp_ne_u16_sdwa s[4:5], v2, s31 src0_sel:BYTE_0 src1_sel:DWORD
	v_bfrev_b32_e32 v5, 1
	s_and_saveexec_b64 s[26:27], s[4:5]
	s_cbranch_execz .LBB358_1070
; %bb.1067:                             ;   in Loop: Header=BB358_690 Depth=1
	v_and_b32_e32 v6, 0x7f, v2
	v_cmp_ne_u32_e64 s[4:5], s34, v6
	v_mov_b32_e32 v5, 0x7f800001
	s_and_saveexec_b64 s[28:29], s[4:5]
	s_cbranch_execz .LBB358_1069
; %bb.1068:                             ;   in Loop: Header=BB358_690 Depth=1
	v_and_b32_e32 v5, 7, v2
	v_ffbh_u32_e32 v5, v5
	v_min_u32_e32 v5, 32, v5
	v_subrev_u32_e32 v9, 28, v5
	v_cmp_gt_u32_e64 s[4:5], 8, v6
	v_lshrrev_b32_e32 v8, 3, v6
	v_sub_u32_e32 v5, 29, v5
	v_cndmask_b32_e64 v6, 0, v9, s[4:5]
	v_cndmask_b32_e64 v5, v8, v5, s[4:5]
	v_lshlrev_b64 v[8:9], v6, v[2:3]
	v_lshlrev_b32_e32 v6, 20, v8
	v_lshlrev_b32_e32 v8, 24, v2
	v_bfrev_b32_e32 v9, 60
	v_and_b32_e32 v6, 0x700000, v6
	v_and_b32_e32 v8, 0x80000000, v8
	v_lshl_add_u32 v5, v5, 23, v9
	v_or3_b32 v5, v8, v5, v6
.LBB358_1069:                           ;   in Loop: Header=BB358_690 Depth=1
	s_or_b64 exec, exec, s[28:29]
.LBB358_1070:                           ;   in Loop: Header=BB358_690 Depth=1
	s_or_b64 exec, exec, s[26:27]
.LBB358_1071:                           ;   in Loop: Header=BB358_690 Depth=1
	s_or_b64 exec, exec, s[24:25]
	v_mul_f32_e32 v5, v7, v5
	v_and_b32_e32 v6, 0x7f800000, v5
	v_cmp_ne_u32_e64 s[4:5], s15, v6
                                        ; implicit-def: $vgpr8
	s_and_saveexec_b64 s[24:25], s[4:5]
	s_xor_b64 s[4:5], exec, s[24:25]
; %bb.1072:                             ;   in Loop: Header=BB358_690 Depth=1
	v_bfe_u32 v6, v5, 16, 1
	v_add3_u32 v8, v5, v6, s30
                                        ; implicit-def: $vgpr5
; %bb.1073:                             ;   in Loop: Header=BB358_690 Depth=1
	s_andn2_saveexec_b64 s[24:25], s[4:5]
; %bb.1074:                             ;   in Loop: Header=BB358_690 Depth=1
	v_or_b32_e32 v6, 0x10000, v5
	v_cmp_eq_u32_sdwa s[4:5], v5, v11 src0_sel:WORD_0 src1_sel:DWORD
	v_cndmask_b32_e64 v8, v6, v5, s[4:5]
; %bb.1075:                             ;   in Loop: Header=BB358_690 Depth=1
	s_or_b64 exec, exec, s[24:25]
	v_lshrrev_b16_e32 v6, 8, v2
	v_cmp_ne_u16_e64 s[4:5], 0, v6
	v_mov_b32_e32 v5, 0
	s_and_saveexec_b64 s[24:25], s[4:5]
	s_cbranch_execz .LBB358_1081
; %bb.1076:                             ;   in Loop: Header=BB358_690 Depth=1
	v_cmp_ne_u16_e64 s[4:5], s31, v6
	v_bfrev_b32_e32 v5, 1
	s_and_saveexec_b64 s[26:27], s[4:5]
	s_cbranch_execz .LBB358_1080
; %bb.1077:                             ;   in Loop: Header=BB358_690 Depth=1
	v_and_b32_e32 v9, 0x7f, v6
	v_cmp_ne_u32_e64 s[4:5], s34, v9
	v_mov_b32_e32 v5, 0x7f800001
	s_and_saveexec_b64 s[28:29], s[4:5]
	s_cbranch_execz .LBB358_1079
; %bb.1078:                             ;   in Loop: Header=BB358_690 Depth=1
	v_and_b32_e32 v5, 7, v6
	v_ffbh_u32_e32 v12, v5
	v_min_u32_e32 v12, 32, v12
	v_subrev_u32_e32 v13, 28, v12
	v_lshlrev_b64 v[20:21], v13, v[6:7]
	v_lshrrev_b32_e32 v10, 3, v9
	v_sub_u32_e32 v6, 29, v12
	v_and_b32_e32 v12, 7, v20
	v_cmp_gt_u32_e64 s[4:5], 8, v9
	v_cndmask_b32_e64 v6, v10, v6, s[4:5]
	v_cndmask_b32_e64 v5, v5, v12, s[4:5]
	v_lshlrev_b32_e32 v9, 16, v2
	v_bfrev_b32_e32 v10, 60
	v_lshlrev_b32_e32 v5, 20, v5
	v_and_b32_e32 v9, 0x80000000, v9
	v_lshl_add_u32 v6, v6, 23, v10
	v_or3_b32 v5, v9, v6, v5
.LBB358_1079:                           ;   in Loop: Header=BB358_690 Depth=1
	s_or_b64 exec, exec, s[28:29]
.LBB358_1080:                           ;   in Loop: Header=BB358_690 Depth=1
	s_or_b64 exec, exec, s[26:27]
.LBB358_1081:                           ;   in Loop: Header=BB358_690 Depth=1
	s_or_b64 exec, exec, s[24:25]
	v_mul_f32_e32 v5, v7, v5
	v_and_b32_e32 v6, 0x7f800000, v5
	v_cmp_ne_u32_e64 s[4:5], s15, v6
                                        ; implicit-def: $vgpr9
	s_and_saveexec_b64 s[24:25], s[4:5]
	s_xor_b64 s[4:5], exec, s[24:25]
; %bb.1082:                             ;   in Loop: Header=BB358_690 Depth=1
	v_bfe_u32 v6, v5, 16, 1
	v_add3_u32 v9, v5, v6, s30
                                        ; implicit-def: $vgpr5
; %bb.1083:                             ;   in Loop: Header=BB358_690 Depth=1
	s_andn2_saveexec_b64 s[24:25], s[4:5]
; %bb.1084:                             ;   in Loop: Header=BB358_690 Depth=1
	v_or_b32_e32 v6, 0x10000, v5
	v_cmp_eq_u32_sdwa s[4:5], v5, v11 src0_sel:WORD_0 src1_sel:DWORD
	v_cndmask_b32_e64 v9, v6, v5, s[4:5]
; %bb.1085:                             ;   in Loop: Header=BB358_690 Depth=1
	s_or_b64 exec, exec, s[24:25]
	v_lshrrev_b32_e32 v6, 16, v2
	v_cmp_ne_u16_sdwa s[4:5], v6, v11 src0_sel:BYTE_0 src1_sel:DWORD
	v_mov_b32_e32 v5, 0
	s_and_saveexec_b64 s[24:25], s[4:5]
	s_cbranch_execz .LBB358_1091
; %bb.1086:                             ;   in Loop: Header=BB358_690 Depth=1
	v_cmp_ne_u16_sdwa s[4:5], v6, s31 src0_sel:BYTE_0 src1_sel:DWORD
	v_bfrev_b32_e32 v5, 1
	s_and_saveexec_b64 s[26:27], s[4:5]
	s_cbranch_execz .LBB358_1090
; %bb.1087:                             ;   in Loop: Header=BB358_690 Depth=1
	v_bfe_u32 v10, v2, 16, 7
	v_cmp_ne_u32_e64 s[4:5], s34, v10
	v_mov_b32_e32 v5, 0x7f800001
	s_and_saveexec_b64 s[28:29], s[4:5]
	s_cbranch_execz .LBB358_1089
; %bb.1088:                             ;   in Loop: Header=BB358_690 Depth=1
	v_and_b32_e32 v5, 7, v6
	v_ffbh_u32_e32 v13, v5
	v_min_u32_e32 v13, 32, v13
	v_subrev_u32_e32 v20, 28, v13
	v_lshlrev_b64 v[20:21], v20, v[6:7]
	v_lshrrev_b32_e32 v12, 3, v10
	v_sub_u32_e32 v13, 29, v13
	v_and_b32_e32 v20, 7, v20
	v_cmp_gt_u32_e64 s[4:5], 8, v10
	v_cndmask_b32_e64 v10, v12, v13, s[4:5]
	v_cndmask_b32_e64 v5, v5, v20, s[4:5]
	v_lshlrev_b32_e32 v6, 24, v6
	v_bfrev_b32_e32 v12, 60
	v_lshlrev_b32_e32 v5, 20, v5
	v_and_b32_e32 v6, 0x80000000, v6
	v_lshl_add_u32 v10, v10, 23, v12
	v_or3_b32 v5, v6, v10, v5
.LBB358_1089:                           ;   in Loop: Header=BB358_690 Depth=1
	s_or_b64 exec, exec, s[28:29]
.LBB358_1090:                           ;   in Loop: Header=BB358_690 Depth=1
	s_or_b64 exec, exec, s[26:27]
.LBB358_1091:                           ;   in Loop: Header=BB358_690 Depth=1
	s_or_b64 exec, exec, s[24:25]
	v_mul_f32_e32 v5, v7, v5
	v_and_b32_e32 v6, 0x7f800000, v5
	v_cmp_ne_u32_e64 s[4:5], s15, v6
                                        ; implicit-def: $vgpr20
	s_and_saveexec_b64 s[24:25], s[4:5]
	s_xor_b64 s[4:5], exec, s[24:25]
; %bb.1092:                             ;   in Loop: Header=BB358_690 Depth=1
	v_bfe_u32 v6, v5, 16, 1
	v_add3_u32 v20, v5, v6, s30
                                        ; implicit-def: $vgpr5
; %bb.1093:                             ;   in Loop: Header=BB358_690 Depth=1
	s_andn2_saveexec_b64 s[24:25], s[4:5]
; %bb.1094:                             ;   in Loop: Header=BB358_690 Depth=1
	v_or_b32_e32 v6, 0x10000, v5
	v_cmp_eq_u32_sdwa s[4:5], v5, v11 src0_sel:WORD_0 src1_sel:DWORD
	v_cndmask_b32_e64 v20, v6, v5, s[4:5]
; %bb.1095:                             ;   in Loop: Header=BB358_690 Depth=1
	s_or_b64 exec, exec, s[24:25]
	v_cmp_lt_u32_e64 s[4:5], s11, v2
	v_mov_b32_e32 v5, 0
	s_and_saveexec_b64 s[24:25], s[4:5]
	s_cbranch_execz .LBB358_1101
; %bb.1096:                             ;   in Loop: Header=BB358_690 Depth=1
	v_lshrrev_b32_e32 v6, 24, v2
	v_cmp_ne_u32_e64 s[4:5], s31, v6
	v_bfrev_b32_e32 v5, 1
	s_and_saveexec_b64 s[26:27], s[4:5]
	s_cbranch_execz .LBB358_1100
; %bb.1097:                             ;   in Loop: Header=BB358_690 Depth=1
	v_bfe_u32 v10, v2, 24, 7
	v_cmp_ne_u32_e64 s[4:5], s34, v10
	v_mov_b32_e32 v5, 0x7f800001
	s_and_saveexec_b64 s[28:29], s[4:5]
	s_cbranch_execz .LBB358_1099
; %bb.1098:                             ;   in Loop: Header=BB358_690 Depth=1
	v_and_b32_e32 v5, 7, v6
	v_ffbh_u32_e32 v13, v5
	v_min_u32_e32 v13, 32, v13
	v_subrev_u32_e32 v21, 28, v13
	v_lshlrev_b64 v[26:27], v21, v[6:7]
	v_lshrrev_b32_e32 v12, 3, v10
	v_sub_u32_e32 v13, 29, v13
	v_and_b32_e32 v21, 7, v26
	v_cmp_gt_u32_e64 s[4:5], 8, v10
	v_cndmask_b32_e64 v10, v12, v13, s[4:5]
	v_cndmask_b32_e64 v5, v5, v21, s[4:5]
	v_lshlrev_b32_e32 v6, 24, v6
	v_bfrev_b32_e32 v12, 60
	v_lshlrev_b32_e32 v5, 20, v5
	v_and_b32_e32 v6, 0x80000000, v6
	v_lshl_add_u32 v10, v10, 23, v12
	v_or3_b32 v5, v6, v10, v5
.LBB358_1099:                           ;   in Loop: Header=BB358_690 Depth=1
	s_or_b64 exec, exec, s[28:29]
.LBB358_1100:                           ;   in Loop: Header=BB358_690 Depth=1
	s_or_b64 exec, exec, s[26:27]
.LBB358_1101:                           ;   in Loop: Header=BB358_690 Depth=1
	s_or_b64 exec, exec, s[24:25]
	v_mul_f32_e32 v5, v7, v5
	v_and_b32_e32 v6, 0x7f800000, v5
	v_cmp_ne_u32_e64 s[4:5], s15, v6
                                        ; implicit-def: $vgpr21
	s_and_saveexec_b64 s[24:25], s[4:5]
	s_xor_b64 s[4:5], exec, s[24:25]
; %bb.1102:                             ;   in Loop: Header=BB358_690 Depth=1
	v_bfe_u32 v6, v5, 16, 1
	v_add3_u32 v21, v5, v6, s30
                                        ; implicit-def: $vgpr5
; %bb.1103:                             ;   in Loop: Header=BB358_690 Depth=1
	s_andn2_saveexec_b64 s[24:25], s[4:5]
; %bb.1104:                             ;   in Loop: Header=BB358_690 Depth=1
	v_or_b32_e32 v6, 0x10000, v5
	v_cmp_eq_u32_sdwa s[4:5], v5, v11 src0_sel:WORD_0 src1_sel:DWORD
	v_cndmask_b32_e64 v21, v6, v5, s[4:5]
; %bb.1105:                             ;   in Loop: Header=BB358_690 Depth=1
	s_or_b64 exec, exec, s[24:25]
	v_mov_b32_e32 v10, v3
	v_cmp_ne_u16_sdwa s[4:5], v3, v11 src0_sel:BYTE_0 src1_sel:DWORD
	v_mov_b32_e32 v5, 0
	s_and_saveexec_b64 s[24:25], s[4:5]
	s_cbranch_execz .LBB358_1111
; %bb.1106:                             ;   in Loop: Header=BB358_690 Depth=1
	v_cmp_ne_u16_sdwa s[4:5], v3, s31 src0_sel:BYTE_0 src1_sel:DWORD
	v_bfrev_b32_e32 v5, 1
	s_and_saveexec_b64 s[26:27], s[4:5]
	s_cbranch_execz .LBB358_1110
; %bb.1107:                             ;   in Loop: Header=BB358_690 Depth=1
	v_and_b32_e32 v6, 0x7f, v3
	v_cmp_ne_u32_e64 s[4:5], s34, v6
	v_mov_b32_e32 v5, 0x7f800001
	s_and_saveexec_b64 s[28:29], s[4:5]
	s_cbranch_execz .LBB358_1109
; %bb.1108:                             ;   in Loop: Header=BB358_690 Depth=1
	v_and_b32_e32 v5, 7, v3
	v_ffbh_u32_e32 v5, v5
	v_min_u32_e32 v5, 32, v5
	v_subrev_u32_e32 v13, 28, v5
	v_cmp_gt_u32_e64 s[4:5], 8, v6
	v_lshrrev_b32_e32 v12, 3, v6
	v_cndmask_b32_e64 v6, 0, v13, s[4:5]
	v_sub_u32_e32 v5, 29, v5
	v_lshlrev_b64 v[26:27], v6, v[10:11]
	v_cndmask_b32_e64 v5, v12, v5, s[4:5]
	v_lshlrev_b32_e32 v6, 20, v26
	v_lshlrev_b32_e32 v12, 24, v10
	v_bfrev_b32_e32 v13, 60
	v_and_b32_e32 v6, 0x700000, v6
	v_and_b32_e32 v12, 0x80000000, v12
	v_lshl_add_u32 v5, v5, 23, v13
	v_or3_b32 v5, v12, v5, v6
.LBB358_1109:                           ;   in Loop: Header=BB358_690 Depth=1
	s_or_b64 exec, exec, s[28:29]
.LBB358_1110:                           ;   in Loop: Header=BB358_690 Depth=1
	s_or_b64 exec, exec, s[26:27]
.LBB358_1111:                           ;   in Loop: Header=BB358_690 Depth=1
	s_or_b64 exec, exec, s[24:25]
	v_mul_f32_e32 v5, v7, v5
	v_and_b32_e32 v6, 0x7f800000, v5
	v_cmp_ne_u32_e64 s[4:5], s15, v6
                                        ; implicit-def: $vgpr22
	s_and_saveexec_b64 s[24:25], s[4:5]
	s_xor_b64 s[4:5], exec, s[24:25]
; %bb.1112:                             ;   in Loop: Header=BB358_690 Depth=1
	v_bfe_u32 v6, v5, 16, 1
	v_add3_u32 v22, v5, v6, s30
                                        ; implicit-def: $vgpr5
; %bb.1113:                             ;   in Loop: Header=BB358_690 Depth=1
	s_andn2_saveexec_b64 s[24:25], s[4:5]
; %bb.1114:                             ;   in Loop: Header=BB358_690 Depth=1
	v_or_b32_e32 v6, 0x10000, v5
	v_cmp_eq_u32_sdwa s[4:5], v5, v11 src0_sel:WORD_0 src1_sel:DWORD
	v_cndmask_b32_e64 v22, v6, v5, s[4:5]
; %bb.1115:                             ;   in Loop: Header=BB358_690 Depth=1
	s_or_b64 exec, exec, s[24:25]
	v_lshrrev_b16_e32 v6, 8, v10
	v_cmp_ne_u16_e64 s[4:5], 0, v6
	v_mov_b32_e32 v5, 0
	s_and_saveexec_b64 s[24:25], s[4:5]
	s_cbranch_execz .LBB358_1121
; %bb.1116:                             ;   in Loop: Header=BB358_690 Depth=1
	v_cmp_ne_u16_e64 s[4:5], s31, v6
	v_bfrev_b32_e32 v5, 1
	s_and_saveexec_b64 s[26:27], s[4:5]
	s_cbranch_execz .LBB358_1120
; %bb.1117:                             ;   in Loop: Header=BB358_690 Depth=1
	v_and_b32_e32 v26, 0x7f, v6
	v_cmp_ne_u32_e64 s[4:5], s34, v26
	v_mov_b32_e32 v5, 0x7f800001
	s_and_saveexec_b64 s[28:29], s[4:5]
	s_cbranch_execz .LBB358_1119
; %bb.1118:                             ;   in Loop: Header=BB358_690 Depth=1
	v_and_b32_e32 v5, 7, v6
	v_ffbh_u32_e32 v13, v5
	v_min_u32_e32 v13, 32, v13
	v_subrev_u32_e32 v23, 28, v13
	v_lshlrev_b64 v[32:33], v23, v[6:7]
	v_lshrrev_b32_e32 v12, 3, v26
	v_sub_u32_e32 v6, 29, v13
	v_and_b32_e32 v13, 7, v32
	v_cmp_gt_u32_e64 s[4:5], 8, v26
	v_cndmask_b32_e64 v6, v12, v6, s[4:5]
	v_cndmask_b32_e64 v5, v5, v13, s[4:5]
	v_lshlrev_b32_e32 v10, 16, v10
	v_bfrev_b32_e32 v12, 60
	v_lshlrev_b32_e32 v5, 20, v5
	v_and_b32_e32 v10, 0x80000000, v10
	v_lshl_add_u32 v6, v6, 23, v12
	v_accvgpr_read_b32 v23, a32
	v_or3_b32 v5, v10, v6, v5
.LBB358_1119:                           ;   in Loop: Header=BB358_690 Depth=1
	s_or_b64 exec, exec, s[28:29]
.LBB358_1120:                           ;   in Loop: Header=BB358_690 Depth=1
	s_or_b64 exec, exec, s[26:27]
.LBB358_1121:                           ;   in Loop: Header=BB358_690 Depth=1
	s_or_b64 exec, exec, s[24:25]
	v_mul_f32_e32 v6, v7, v5
	v_and_b32_e32 v5, 0x7f800000, v6
	v_cmp_ne_u32_e64 s[4:5], s15, v5
                                        ; implicit-def: $vgpr5
	s_and_saveexec_b64 s[24:25], s[4:5]
	s_xor_b64 s[4:5], exec, s[24:25]
; %bb.1122:                             ;   in Loop: Header=BB358_690 Depth=1
	v_bfe_u32 v5, v6, 16, 1
	v_add3_u32 v5, v6, v5, s30
                                        ; implicit-def: $vgpr6
; %bb.1123:                             ;   in Loop: Header=BB358_690 Depth=1
	s_andn2_saveexec_b64 s[24:25], s[4:5]
; %bb.1124:                             ;   in Loop: Header=BB358_690 Depth=1
	v_or_b32_e32 v5, 0x10000, v6
	v_cmp_eq_u32_sdwa s[4:5], v6, v11 src0_sel:WORD_0 src1_sel:DWORD
	v_cndmask_b32_e64 v5, v5, v6, s[4:5]
; %bb.1125:                             ;   in Loop: Header=BB358_690 Depth=1
	s_or_b64 exec, exec, s[24:25]
	v_lshrrev_b32_e32 v6, 16, v3
	v_cmp_ne_u16_sdwa s[4:5], v6, v11 src0_sel:BYTE_0 src1_sel:DWORD
	v_mov_b32_e32 v10, 0
	s_and_saveexec_b64 s[24:25], s[4:5]
	s_cbranch_execz .LBB358_1131
; %bb.1126:                             ;   in Loop: Header=BB358_690 Depth=1
	v_cmp_ne_u16_sdwa s[4:5], v6, s31 src0_sel:BYTE_0 src1_sel:DWORD
	v_bfrev_b32_e32 v10, 1
	s_and_saveexec_b64 s[26:27], s[4:5]
	s_cbranch_execz .LBB358_1130
; %bb.1127:                             ;   in Loop: Header=BB358_690 Depth=1
	v_bfe_u32 v26, v3, 16, 7
	v_cmp_ne_u32_e64 s[4:5], s34, v26
	v_mov_b32_e32 v10, 0x7f800001
	s_and_saveexec_b64 s[28:29], s[4:5]
	s_cbranch_execz .LBB358_1129
; %bb.1128:                             ;   in Loop: Header=BB358_690 Depth=1
	v_and_b32_e32 v10, 7, v6
	v_ffbh_u32_e32 v13, v10
	v_min_u32_e32 v13, 32, v13
	v_subrev_u32_e32 v23, 28, v13
	v_lshlrev_b64 v[32:33], v23, v[6:7]
	v_lshrrev_b32_e32 v12, 3, v26
	v_sub_u32_e32 v13, 29, v13
	v_and_b32_e32 v23, 7, v32
	v_cmp_gt_u32_e64 s[4:5], 8, v26
	v_cndmask_b32_e64 v12, v12, v13, s[4:5]
	v_cndmask_b32_e64 v10, v10, v23, s[4:5]
	v_lshlrev_b32_e32 v6, 24, v6
	v_bfrev_b32_e32 v13, 60
	v_lshlrev_b32_e32 v10, 20, v10
	v_and_b32_e32 v6, 0x80000000, v6
	v_lshl_add_u32 v12, v12, 23, v13
	v_accvgpr_read_b32 v23, a32
	v_or3_b32 v10, v6, v12, v10
.LBB358_1129:                           ;   in Loop: Header=BB358_690 Depth=1
	s_or_b64 exec, exec, s[28:29]
.LBB358_1130:                           ;   in Loop: Header=BB358_690 Depth=1
	s_or_b64 exec, exec, s[26:27]
.LBB358_1131:                           ;   in Loop: Header=BB358_690 Depth=1
	s_or_b64 exec, exec, s[24:25]
	v_mul_f32_e32 v6, v7, v10
	v_and_b32_e32 v10, 0x7f800000, v6
	v_cmp_ne_u32_e64 s[4:5], s15, v10
                                        ; implicit-def: $vgpr26
	s_and_saveexec_b64 s[24:25], s[4:5]
	s_xor_b64 s[4:5], exec, s[24:25]
; %bb.1132:                             ;   in Loop: Header=BB358_690 Depth=1
	v_bfe_u32 v10, v6, 16, 1
	v_add3_u32 v26, v6, v10, s30
                                        ; implicit-def: $vgpr6
; %bb.1133:                             ;   in Loop: Header=BB358_690 Depth=1
	s_andn2_saveexec_b64 s[24:25], s[4:5]
; %bb.1134:                             ;   in Loop: Header=BB358_690 Depth=1
	v_or_b32_e32 v10, 0x10000, v6
	v_cmp_eq_u32_sdwa s[4:5], v6, v11 src0_sel:WORD_0 src1_sel:DWORD
	v_cndmask_b32_e64 v26, v10, v6, s[4:5]
; %bb.1135:                             ;   in Loop: Header=BB358_690 Depth=1
	s_or_b64 exec, exec, s[24:25]
	v_cmp_lt_u64_e64 s[4:5], s[10:11], v[2:3]
	v_mov_b32_e32 v6, 0
	s_and_saveexec_b64 s[24:25], s[4:5]
	s_cbranch_execz .LBB358_1141
; %bb.1136:                             ;   in Loop: Header=BB358_690 Depth=1
	v_lshrrev_b32_e32 v2, 24, v3
	v_cmp_ne_u32_e64 s[4:5], s31, v2
	v_bfrev_b32_e32 v6, 1
	s_and_saveexec_b64 s[26:27], s[4:5]
	s_cbranch_execz .LBB358_1140
; %bb.1137:                             ;   in Loop: Header=BB358_690 Depth=1
	v_bfe_u32 v3, v3, 24, 7
	v_cmp_ne_u32_e64 s[4:5], s34, v3
	v_mov_b32_e32 v6, 0x7f800001
	s_and_saveexec_b64 s[28:29], s[4:5]
	s_cbranch_execz .LBB358_1139
; %bb.1138:                             ;   in Loop: Header=BB358_690 Depth=1
	v_and_b32_e32 v6, 7, v2
	v_ffbh_u32_e32 v12, v6
	v_min_u32_e32 v12, 32, v12
	v_subrev_u32_e32 v13, 28, v12
	v_lshlrev_b64 v[32:33], v13, v[2:3]
	v_lshrrev_b32_e32 v10, 3, v3
	v_sub_u32_e32 v12, 29, v12
	v_and_b32_e32 v13, 7, v32
	v_cmp_gt_u32_e64 s[4:5], 8, v3
	v_cndmask_b32_e64 v3, v10, v12, s[4:5]
	v_cndmask_b32_e64 v6, v6, v13, s[4:5]
	v_lshlrev_b32_e32 v2, 24, v2
	v_bfrev_b32_e32 v10, 60
	v_lshlrev_b32_e32 v6, 20, v6
	v_and_b32_e32 v2, 0x80000000, v2
	v_lshl_add_u32 v3, v3, 23, v10
	v_or3_b32 v6, v2, v3, v6
.LBB358_1139:                           ;   in Loop: Header=BB358_690 Depth=1
	s_or_b64 exec, exec, s[28:29]
.LBB358_1140:                           ;   in Loop: Header=BB358_690 Depth=1
	s_or_b64 exec, exec, s[26:27]
.LBB358_1141:                           ;   in Loop: Header=BB358_690 Depth=1
	s_or_b64 exec, exec, s[24:25]
	v_mul_f32_e32 v3, v7, v6
	v_and_b32_e32 v2, 0x7f800000, v3
	v_cmp_ne_u32_e64 s[4:5], s15, v2
                                        ; implicit-def: $vgpr2
	s_and_saveexec_b64 s[24:25], s[4:5]
	s_xor_b64 s[4:5], exec, s[24:25]
; %bb.1142:                             ;   in Loop: Header=BB358_690 Depth=1
	v_bfe_u32 v2, v3, 16, 1
	v_add3_u32 v2, v3, v2, s30
                                        ; implicit-def: $vgpr3
; %bb.1143:                             ;   in Loop: Header=BB358_690 Depth=1
	s_andn2_saveexec_b64 s[24:25], s[4:5]
; %bb.1144:                             ;   in Loop: Header=BB358_690 Depth=1
	v_or_b32_e32 v2, 0x10000, v3
	v_cmp_eq_u32_sdwa s[4:5], v3, v11 src0_sel:WORD_0 src1_sel:DWORD
	v_cndmask_b32_e64 v2, v2, v3, s[4:5]
; %bb.1145:                             ;   in Loop: Header=BB358_690 Depth=1
	s_or_b64 exec, exec, s[24:25]
	v_lshrrev_b32_e32 v5, 16, v5
	v_lshrrev_b32_e32 v6, 16, v22
	;; [unrolled: 1-line block ×8, first 2 shown]
	s_and_saveexec_b64 s[24:25], vcc
	s_cbranch_execz .LBB358_1147
; %bb.1146:                             ;   in Loop: Header=BB358_690 Depth=1
	buffer_load_dword v12, off, s[0:3], s32 offset:196 ; 4-byte Folded Reload
	v_accvgpr_read_b32 v13, a38
	s_waitcnt vmcnt(0)
	v_cmp_lt_i32_e64 s[4:5], v53, v12
	v_cndmask_b32_e64 v8, 0, v8, s[4:5]
	v_cmp_lt_i32_e64 s[4:5], v13, v12
	v_accvgpr_read_b32 v13, a37
	v_cndmask_b32_e64 v9, 0, v9, s[4:5]
	v_cmp_lt_i32_e64 s[4:5], v13, v12
	v_accvgpr_read_b32 v13, a36
	;; [unrolled: 3-line block ×5, first 2 shown]
	v_cndmask_b32_e64 v5, 0, v5, s[4:5]
	v_cmp_lt_i32_e64 s[4:5], v13, v12
	v_cndmask_b32_e64 v3, 0, v3, s[4:5]
	v_cmp_lt_i32_e64 s[4:5], v23, v12
	v_cndmask_b32_e64 v2, 0, v2, s[4:5]
.LBB358_1147:                           ;   in Loop: Header=BB358_690 Depth=1
	s_or_b64 exec, exec, s[24:25]
	v_lshlrev_b32_e32 v8, 16, v8
	v_mul_f32_e32 v8, v56, v8
	v_and_b32_e32 v12, 0x7f800000, v8
	v_cmp_ne_u32_e64 s[4:5], s15, v12
                                        ; implicit-def: $agpr55
	s_and_saveexec_b64 s[24:25], s[4:5]
	s_xor_b64 s[4:5], exec, s[24:25]
; %bb.1148:                             ;   in Loop: Header=BB358_690 Depth=1
	v_bfe_u32 v12, v8, 16, 1
	v_add3_u32 v8, v8, v12, s30
	v_accvgpr_write_b32 a55, v8
                                        ; implicit-def: $vgpr8
; %bb.1149:                             ;   in Loop: Header=BB358_690 Depth=1
	s_andn2_saveexec_b64 s[24:25], s[4:5]
; %bb.1150:                             ;   in Loop: Header=BB358_690 Depth=1
	v_or_b32_e32 v12, 0x10000, v8
	v_cmp_eq_u32_sdwa s[4:5], v8, v11 src0_sel:WORD_0 src1_sel:DWORD
	v_cndmask_b32_e64 v8, v12, v8, s[4:5]
	v_accvgpr_write_b32 a55, v8
; %bb.1151:                             ;   in Loop: Header=BB358_690 Depth=1
	s_or_b64 exec, exec, s[24:25]
	v_lshlrev_b32_e32 v8, 16, v9
	v_mul_f32_e32 v8, v57, v8
	v_and_b32_e32 v9, 0x7f800000, v8
	v_cmp_ne_u32_e64 s[4:5], s15, v9
                                        ; implicit-def: $agpr56
	s_and_saveexec_b64 s[24:25], s[4:5]
	s_xor_b64 s[4:5], exec, s[24:25]
; %bb.1152:                             ;   in Loop: Header=BB358_690 Depth=1
	v_bfe_u32 v9, v8, 16, 1
	v_add3_u32 v8, v8, v9, s30
	v_accvgpr_write_b32 a56, v8
                                        ; implicit-def: $vgpr8
; %bb.1153:                             ;   in Loop: Header=BB358_690 Depth=1
	s_andn2_saveexec_b64 s[24:25], s[4:5]
; %bb.1154:                             ;   in Loop: Header=BB358_690 Depth=1
	v_or_b32_e32 v9, 0x10000, v8
	v_cmp_eq_u32_sdwa s[4:5], v8, v11 src0_sel:WORD_0 src1_sel:DWORD
	v_cndmask_b32_e64 v8, v9, v8, s[4:5]
	v_accvgpr_write_b32 a56, v8
; %bb.1155:                             ;   in Loop: Header=BB358_690 Depth=1
	s_or_b64 exec, exec, s[24:25]
	v_lshlrev_b32_e32 v8, 16, v20
	v_mul_f32_e32 v8, v58, v8
	v_and_b32_e32 v9, 0x7f800000, v8
	v_cmp_ne_u32_e64 s[4:5], s15, v9
                                        ; implicit-def: $agpr57
	s_and_saveexec_b64 s[24:25], s[4:5]
	s_xor_b64 s[4:5], exec, s[24:25]
; %bb.1156:                             ;   in Loop: Header=BB358_690 Depth=1
	v_bfe_u32 v9, v8, 16, 1
	v_add3_u32 v8, v8, v9, s30
	v_accvgpr_write_b32 a57, v8
                                        ; implicit-def: $vgpr8
; %bb.1157:                             ;   in Loop: Header=BB358_690 Depth=1
	s_andn2_saveexec_b64 s[24:25], s[4:5]
; %bb.1158:                             ;   in Loop: Header=BB358_690 Depth=1
	v_or_b32_e32 v9, 0x10000, v8
	v_cmp_eq_u32_sdwa s[4:5], v8, v11 src0_sel:WORD_0 src1_sel:DWORD
	v_cndmask_b32_e64 v8, v9, v8, s[4:5]
	v_accvgpr_write_b32 a57, v8
; %bb.1159:                             ;   in Loop: Header=BB358_690 Depth=1
	s_or_b64 exec, exec, s[24:25]
	v_lshlrev_b32_e32 v8, 16, v10
	v_mul_f32_e32 v8, v60, v8
	v_and_b32_e32 v9, 0x7f800000, v8
	v_cmp_ne_u32_e64 s[4:5], s15, v9
                                        ; implicit-def: $agpr58
	s_and_saveexec_b64 s[24:25], s[4:5]
	s_xor_b64 s[4:5], exec, s[24:25]
; %bb.1160:                             ;   in Loop: Header=BB358_690 Depth=1
	v_bfe_u32 v9, v8, 16, 1
	v_add3_u32 v8, v8, v9, s30
	v_accvgpr_write_b32 a58, v8
                                        ; implicit-def: $vgpr8
; %bb.1161:                             ;   in Loop: Header=BB358_690 Depth=1
	s_andn2_saveexec_b64 s[24:25], s[4:5]
; %bb.1162:                             ;   in Loop: Header=BB358_690 Depth=1
	v_or_b32_e32 v9, 0x10000, v8
	v_cmp_eq_u32_sdwa s[4:5], v8, v11 src0_sel:WORD_0 src1_sel:DWORD
	v_cndmask_b32_e64 v8, v9, v8, s[4:5]
	v_accvgpr_write_b32 a58, v8
; %bb.1163:                             ;   in Loop: Header=BB358_690 Depth=1
	s_or_b64 exec, exec, s[24:25]
	v_lshlrev_b32_e32 v6, 16, v6
	v_mul_f32_e32 v6, v36, v6
	v_and_b32_e32 v8, 0x7f800000, v6
	v_cmp_ne_u32_e64 s[4:5], s15, v8
                                        ; implicit-def: $agpr59
	s_and_saveexec_b64 s[24:25], s[4:5]
	s_xor_b64 s[4:5], exec, s[24:25]
; %bb.1164:                             ;   in Loop: Header=BB358_690 Depth=1
	v_bfe_u32 v8, v6, 16, 1
	v_add3_u32 v6, v6, v8, s30
	v_accvgpr_write_b32 a59, v6
                                        ; implicit-def: $vgpr6
; %bb.1165:                             ;   in Loop: Header=BB358_690 Depth=1
	s_andn2_saveexec_b64 s[24:25], s[4:5]
; %bb.1166:                             ;   in Loop: Header=BB358_690 Depth=1
	v_or_b32_e32 v8, 0x10000, v6
	v_cmp_eq_u32_sdwa s[4:5], v6, v11 src0_sel:WORD_0 src1_sel:DWORD
	v_cndmask_b32_e64 v6, v8, v6, s[4:5]
	v_accvgpr_write_b32 a59, v6
; %bb.1167:                             ;   in Loop: Header=BB358_690 Depth=1
	s_or_b64 exec, exec, s[24:25]
	v_lshlrev_b32_e32 v5, 16, v5
	v_mul_f32_e32 v5, v41, v5
	v_and_b32_e32 v6, 0x7f800000, v5
	v_cmp_ne_u32_e64 s[4:5], s15, v6
                                        ; implicit-def: $agpr60
	s_and_saveexec_b64 s[24:25], s[4:5]
	s_xor_b64 s[4:5], exec, s[24:25]
; %bb.1168:                             ;   in Loop: Header=BB358_690 Depth=1
	v_bfe_u32 v6, v5, 16, 1
	v_add3_u32 v5, v5, v6, s30
	v_accvgpr_write_b32 a60, v5
                                        ; implicit-def: $vgpr5
; %bb.1169:                             ;   in Loop: Header=BB358_690 Depth=1
	s_andn2_saveexec_b64 s[24:25], s[4:5]
; %bb.1170:                             ;   in Loop: Header=BB358_690 Depth=1
	v_or_b32_e32 v6, 0x10000, v5
	v_cmp_eq_u32_sdwa s[4:5], v5, v11 src0_sel:WORD_0 src1_sel:DWORD
	v_cndmask_b32_e64 v5, v6, v5, s[4:5]
	v_accvgpr_write_b32 a60, v5
; %bb.1171:                             ;   in Loop: Header=BB358_690 Depth=1
	s_or_b64 exec, exec, s[24:25]
	v_lshlrev_b32_e32 v3, 16, v3
	v_mul_f32_e32 v3, v34, v3
	v_and_b32_e32 v5, 0x7f800000, v3
	v_cmp_ne_u32_e64 s[4:5], s15, v5
                                        ; implicit-def: $vgpr37
	s_and_saveexec_b64 s[24:25], s[4:5]
	s_xor_b64 s[4:5], exec, s[24:25]
; %bb.1172:                             ;   in Loop: Header=BB358_690 Depth=1
	v_bfe_u32 v5, v3, 16, 1
	v_add3_u32 v37, v3, v5, s30
                                        ; implicit-def: $vgpr3
; %bb.1173:                             ;   in Loop: Header=BB358_690 Depth=1
	s_andn2_saveexec_b64 s[24:25], s[4:5]
; %bb.1174:                             ;   in Loop: Header=BB358_690 Depth=1
	v_or_b32_e32 v5, 0x10000, v3
	v_cmp_eq_u32_sdwa s[4:5], v3, v11 src0_sel:WORD_0 src1_sel:DWORD
	v_cndmask_b32_e64 v37, v5, v3, s[4:5]
; %bb.1175:                             ;   in Loop: Header=BB358_690 Depth=1
	s_or_b64 exec, exec, s[24:25]
	v_lshlrev_b32_e32 v2, 16, v2
	v_mul_f32_e32 v2, v31, v2
	v_and_b32_e32 v3, 0x7f800000, v2
	v_cmp_ne_u32_e64 s[4:5], s15, v3
                                        ; implicit-def: $vgpr39
	s_and_saveexec_b64 s[24:25], s[4:5]
	s_xor_b64 s[4:5], exec, s[24:25]
; %bb.1176:                             ;   in Loop: Header=BB358_690 Depth=1
	v_bfe_u32 v3, v2, 16, 1
	v_add3_u32 v39, v2, v3, s30
                                        ; implicit-def: $vgpr2
; %bb.1177:                             ;   in Loop: Header=BB358_690 Depth=1
	s_andn2_saveexec_b64 s[24:25], s[4:5]
; %bb.1178:                             ;   in Loop: Header=BB358_690 Depth=1
	v_or_b32_e32 v3, 0x10000, v2
	v_cmp_eq_u32_sdwa s[4:5], v2, v11 src0_sel:WORD_0 src1_sel:DWORD
	v_cndmask_b32_e64 v39, v3, v2, s[4:5]
; %bb.1179:                             ;   in Loop: Header=BB358_690 Depth=1
	s_or_b64 exec, exec, s[24:25]
	flat_load_dwordx2 v[2:3], v[0:1] offset:2048
	v_mov_b32_e32 v5, 0
	s_waitcnt vmcnt(0) lgkmcnt(0)
	v_cmp_ne_u16_sdwa s[4:5], v2, v11 src0_sel:BYTE_0 src1_sel:DWORD
	s_and_saveexec_b64 s[24:25], s[4:5]
	s_cbranch_execz .LBB358_1185
; %bb.1180:                             ;   in Loop: Header=BB358_690 Depth=1
	v_cmp_ne_u16_sdwa s[4:5], v2, s31 src0_sel:BYTE_0 src1_sel:DWORD
	v_bfrev_b32_e32 v5, 1
	s_and_saveexec_b64 s[26:27], s[4:5]
	s_cbranch_execz .LBB358_1184
; %bb.1181:                             ;   in Loop: Header=BB358_690 Depth=1
	v_and_b32_e32 v6, 0x7f, v2
	v_cmp_ne_u32_e64 s[4:5], s34, v6
	v_mov_b32_e32 v5, 0x7f800001
	s_and_saveexec_b64 s[28:29], s[4:5]
	s_cbranch_execz .LBB358_1183
; %bb.1182:                             ;   in Loop: Header=BB358_690 Depth=1
	v_and_b32_e32 v5, 7, v2
	v_ffbh_u32_e32 v5, v5
	v_min_u32_e32 v5, 32, v5
	v_subrev_u32_e32 v9, 28, v5
	v_cmp_gt_u32_e64 s[4:5], 8, v6
	v_lshrrev_b32_e32 v8, 3, v6
	v_sub_u32_e32 v5, 29, v5
	v_cndmask_b32_e64 v6, 0, v9, s[4:5]
	v_cndmask_b32_e64 v5, v8, v5, s[4:5]
	v_lshlrev_b64 v[8:9], v6, v[2:3]
	v_lshlrev_b32_e32 v6, 20, v8
	v_lshlrev_b32_e32 v8, 24, v2
	v_bfrev_b32_e32 v9, 60
	v_and_b32_e32 v6, 0x700000, v6
	v_and_b32_e32 v8, 0x80000000, v8
	v_lshl_add_u32 v5, v5, 23, v9
	v_or3_b32 v5, v8, v5, v6
.LBB358_1183:                           ;   in Loop: Header=BB358_690 Depth=1
	s_or_b64 exec, exec, s[28:29]
.LBB358_1184:                           ;   in Loop: Header=BB358_690 Depth=1
	s_or_b64 exec, exec, s[26:27]
.LBB358_1185:                           ;   in Loop: Header=BB358_690 Depth=1
	s_or_b64 exec, exec, s[24:25]
	v_mul_f32_e32 v5, v7, v5
	v_and_b32_e32 v6, 0x7f800000, v5
	v_cmp_ne_u32_e64 s[4:5], s15, v6
                                        ; implicit-def: $vgpr8
	s_and_saveexec_b64 s[24:25], s[4:5]
	s_xor_b64 s[4:5], exec, s[24:25]
; %bb.1186:                             ;   in Loop: Header=BB358_690 Depth=1
	v_bfe_u32 v6, v5, 16, 1
	v_add3_u32 v8, v5, v6, s30
                                        ; implicit-def: $vgpr5
; %bb.1187:                             ;   in Loop: Header=BB358_690 Depth=1
	s_andn2_saveexec_b64 s[24:25], s[4:5]
; %bb.1188:                             ;   in Loop: Header=BB358_690 Depth=1
	v_or_b32_e32 v6, 0x10000, v5
	v_cmp_eq_u32_sdwa s[4:5], v5, v11 src0_sel:WORD_0 src1_sel:DWORD
	v_cndmask_b32_e64 v8, v6, v5, s[4:5]
; %bb.1189:                             ;   in Loop: Header=BB358_690 Depth=1
	s_or_b64 exec, exec, s[24:25]
	v_lshrrev_b16_e32 v6, 8, v2
	v_cmp_ne_u16_e64 s[4:5], 0, v6
	v_mov_b32_e32 v5, 0
	s_and_saveexec_b64 s[24:25], s[4:5]
	s_cbranch_execz .LBB358_1195
; %bb.1190:                             ;   in Loop: Header=BB358_690 Depth=1
	v_cmp_ne_u16_e64 s[4:5], s31, v6
	v_bfrev_b32_e32 v5, 1
	s_and_saveexec_b64 s[26:27], s[4:5]
	s_cbranch_execz .LBB358_1194
; %bb.1191:                             ;   in Loop: Header=BB358_690 Depth=1
	v_and_b32_e32 v9, 0x7f, v6
	v_cmp_ne_u32_e64 s[4:5], s34, v9
	v_mov_b32_e32 v5, 0x7f800001
	s_and_saveexec_b64 s[28:29], s[4:5]
	s_cbranch_execz .LBB358_1193
; %bb.1192:                             ;   in Loop: Header=BB358_690 Depth=1
	v_and_b32_e32 v5, 7, v6
	v_ffbh_u32_e32 v12, v5
	v_min_u32_e32 v12, 32, v12
	v_subrev_u32_e32 v13, 28, v12
	v_lshlrev_b64 v[20:21], v13, v[6:7]
	v_lshrrev_b32_e32 v10, 3, v9
	v_sub_u32_e32 v6, 29, v12
	v_and_b32_e32 v12, 7, v20
	v_cmp_gt_u32_e64 s[4:5], 8, v9
	v_cndmask_b32_e64 v6, v10, v6, s[4:5]
	v_cndmask_b32_e64 v5, v5, v12, s[4:5]
	v_lshlrev_b32_e32 v9, 16, v2
	v_bfrev_b32_e32 v10, 60
	v_lshlrev_b32_e32 v5, 20, v5
	v_and_b32_e32 v9, 0x80000000, v9
	v_lshl_add_u32 v6, v6, 23, v10
	v_or3_b32 v5, v9, v6, v5
.LBB358_1193:                           ;   in Loop: Header=BB358_690 Depth=1
	s_or_b64 exec, exec, s[28:29]
.LBB358_1194:                           ;   in Loop: Header=BB358_690 Depth=1
	s_or_b64 exec, exec, s[26:27]
.LBB358_1195:                           ;   in Loop: Header=BB358_690 Depth=1
	s_or_b64 exec, exec, s[24:25]
	v_mul_f32_e32 v5, v7, v5
	v_and_b32_e32 v6, 0x7f800000, v5
	v_cmp_ne_u32_e64 s[4:5], s15, v6
                                        ; implicit-def: $vgpr9
	s_and_saveexec_b64 s[24:25], s[4:5]
	s_xor_b64 s[4:5], exec, s[24:25]
; %bb.1196:                             ;   in Loop: Header=BB358_690 Depth=1
	v_bfe_u32 v6, v5, 16, 1
	v_add3_u32 v9, v5, v6, s30
                                        ; implicit-def: $vgpr5
; %bb.1197:                             ;   in Loop: Header=BB358_690 Depth=1
	s_andn2_saveexec_b64 s[24:25], s[4:5]
; %bb.1198:                             ;   in Loop: Header=BB358_690 Depth=1
	v_or_b32_e32 v6, 0x10000, v5
	v_cmp_eq_u32_sdwa s[4:5], v5, v11 src0_sel:WORD_0 src1_sel:DWORD
	v_cndmask_b32_e64 v9, v6, v5, s[4:5]
; %bb.1199:                             ;   in Loop: Header=BB358_690 Depth=1
	s_or_b64 exec, exec, s[24:25]
	v_lshrrev_b32_e32 v6, 16, v2
	v_cmp_ne_u16_sdwa s[4:5], v6, v11 src0_sel:BYTE_0 src1_sel:DWORD
	v_mov_b32_e32 v5, 0
	s_and_saveexec_b64 s[24:25], s[4:5]
	s_cbranch_execz .LBB358_1205
; %bb.1200:                             ;   in Loop: Header=BB358_690 Depth=1
	v_cmp_ne_u16_sdwa s[4:5], v6, s31 src0_sel:BYTE_0 src1_sel:DWORD
	v_bfrev_b32_e32 v5, 1
	s_and_saveexec_b64 s[26:27], s[4:5]
	s_cbranch_execz .LBB358_1204
; %bb.1201:                             ;   in Loop: Header=BB358_690 Depth=1
	v_bfe_u32 v10, v2, 16, 7
	v_cmp_ne_u32_e64 s[4:5], s34, v10
	v_mov_b32_e32 v5, 0x7f800001
	s_and_saveexec_b64 s[28:29], s[4:5]
	s_cbranch_execz .LBB358_1203
; %bb.1202:                             ;   in Loop: Header=BB358_690 Depth=1
	v_and_b32_e32 v5, 7, v6
	v_ffbh_u32_e32 v13, v5
	v_min_u32_e32 v13, 32, v13
	v_subrev_u32_e32 v20, 28, v13
	v_lshlrev_b64 v[20:21], v20, v[6:7]
	v_lshrrev_b32_e32 v12, 3, v10
	v_sub_u32_e32 v13, 29, v13
	v_and_b32_e32 v20, 7, v20
	v_cmp_gt_u32_e64 s[4:5], 8, v10
	v_cndmask_b32_e64 v10, v12, v13, s[4:5]
	v_cndmask_b32_e64 v5, v5, v20, s[4:5]
	v_lshlrev_b32_e32 v6, 24, v6
	v_bfrev_b32_e32 v12, 60
	v_lshlrev_b32_e32 v5, 20, v5
	v_and_b32_e32 v6, 0x80000000, v6
	v_lshl_add_u32 v10, v10, 23, v12
	v_or3_b32 v5, v6, v10, v5
.LBB358_1203:                           ;   in Loop: Header=BB358_690 Depth=1
	s_or_b64 exec, exec, s[28:29]
.LBB358_1204:                           ;   in Loop: Header=BB358_690 Depth=1
	s_or_b64 exec, exec, s[26:27]
.LBB358_1205:                           ;   in Loop: Header=BB358_690 Depth=1
	s_or_b64 exec, exec, s[24:25]
	v_mul_f32_e32 v5, v7, v5
	v_and_b32_e32 v6, 0x7f800000, v5
	v_cmp_ne_u32_e64 s[4:5], s15, v6
                                        ; implicit-def: $vgpr20
	s_and_saveexec_b64 s[24:25], s[4:5]
	s_xor_b64 s[4:5], exec, s[24:25]
; %bb.1206:                             ;   in Loop: Header=BB358_690 Depth=1
	v_bfe_u32 v6, v5, 16, 1
	v_add3_u32 v20, v5, v6, s30
                                        ; implicit-def: $vgpr5
; %bb.1207:                             ;   in Loop: Header=BB358_690 Depth=1
	s_andn2_saveexec_b64 s[24:25], s[4:5]
; %bb.1208:                             ;   in Loop: Header=BB358_690 Depth=1
	v_or_b32_e32 v6, 0x10000, v5
	v_cmp_eq_u32_sdwa s[4:5], v5, v11 src0_sel:WORD_0 src1_sel:DWORD
	v_cndmask_b32_e64 v20, v6, v5, s[4:5]
; %bb.1209:                             ;   in Loop: Header=BB358_690 Depth=1
	s_or_b64 exec, exec, s[24:25]
	v_cmp_lt_u32_e64 s[4:5], s11, v2
	v_mov_b32_e32 v5, 0
	s_and_saveexec_b64 s[24:25], s[4:5]
	s_cbranch_execz .LBB358_1215
; %bb.1210:                             ;   in Loop: Header=BB358_690 Depth=1
	v_lshrrev_b32_e32 v6, 24, v2
	v_cmp_ne_u32_e64 s[4:5], s31, v6
	v_bfrev_b32_e32 v5, 1
	s_and_saveexec_b64 s[26:27], s[4:5]
	s_cbranch_execz .LBB358_1214
; %bb.1211:                             ;   in Loop: Header=BB358_690 Depth=1
	v_bfe_u32 v10, v2, 24, 7
	v_cmp_ne_u32_e64 s[4:5], s34, v10
	v_mov_b32_e32 v5, 0x7f800001
	s_and_saveexec_b64 s[28:29], s[4:5]
	s_cbranch_execz .LBB358_1213
; %bb.1212:                             ;   in Loop: Header=BB358_690 Depth=1
	v_and_b32_e32 v5, 7, v6
	v_ffbh_u32_e32 v13, v5
	v_min_u32_e32 v13, 32, v13
	v_subrev_u32_e32 v21, 28, v13
	v_lshlrev_b64 v[26:27], v21, v[6:7]
	v_lshrrev_b32_e32 v12, 3, v10
	v_sub_u32_e32 v13, 29, v13
	v_and_b32_e32 v21, 7, v26
	v_cmp_gt_u32_e64 s[4:5], 8, v10
	v_cndmask_b32_e64 v10, v12, v13, s[4:5]
	v_cndmask_b32_e64 v5, v5, v21, s[4:5]
	v_lshlrev_b32_e32 v6, 24, v6
	v_bfrev_b32_e32 v12, 60
	v_lshlrev_b32_e32 v5, 20, v5
	v_and_b32_e32 v6, 0x80000000, v6
	v_lshl_add_u32 v10, v10, 23, v12
	v_or3_b32 v5, v6, v10, v5
.LBB358_1213:                           ;   in Loop: Header=BB358_690 Depth=1
	s_or_b64 exec, exec, s[28:29]
.LBB358_1214:                           ;   in Loop: Header=BB358_690 Depth=1
	s_or_b64 exec, exec, s[26:27]
.LBB358_1215:                           ;   in Loop: Header=BB358_690 Depth=1
	s_or_b64 exec, exec, s[24:25]
	v_mul_f32_e32 v5, v7, v5
	v_and_b32_e32 v6, 0x7f800000, v5
	v_cmp_ne_u32_e64 s[4:5], s15, v6
                                        ; implicit-def: $vgpr21
	s_and_saveexec_b64 s[24:25], s[4:5]
	s_xor_b64 s[4:5], exec, s[24:25]
; %bb.1216:                             ;   in Loop: Header=BB358_690 Depth=1
	v_bfe_u32 v6, v5, 16, 1
	v_add3_u32 v21, v5, v6, s30
                                        ; implicit-def: $vgpr5
; %bb.1217:                             ;   in Loop: Header=BB358_690 Depth=1
	s_andn2_saveexec_b64 s[24:25], s[4:5]
; %bb.1218:                             ;   in Loop: Header=BB358_690 Depth=1
	v_or_b32_e32 v6, 0x10000, v5
	v_cmp_eq_u32_sdwa s[4:5], v5, v11 src0_sel:WORD_0 src1_sel:DWORD
	v_cndmask_b32_e64 v21, v6, v5, s[4:5]
; %bb.1219:                             ;   in Loop: Header=BB358_690 Depth=1
	s_or_b64 exec, exec, s[24:25]
	v_mov_b32_e32 v10, v3
	v_cmp_ne_u16_sdwa s[4:5], v3, v11 src0_sel:BYTE_0 src1_sel:DWORD
	v_mov_b32_e32 v5, 0
	s_and_saveexec_b64 s[24:25], s[4:5]
	s_cbranch_execz .LBB358_1225
; %bb.1220:                             ;   in Loop: Header=BB358_690 Depth=1
	v_cmp_ne_u16_sdwa s[4:5], v3, s31 src0_sel:BYTE_0 src1_sel:DWORD
	v_bfrev_b32_e32 v5, 1
	s_and_saveexec_b64 s[26:27], s[4:5]
	s_cbranch_execz .LBB358_1224
; %bb.1221:                             ;   in Loop: Header=BB358_690 Depth=1
	v_and_b32_e32 v6, 0x7f, v3
	v_cmp_ne_u32_e64 s[4:5], s34, v6
	v_mov_b32_e32 v5, 0x7f800001
	s_and_saveexec_b64 s[28:29], s[4:5]
	s_cbranch_execz .LBB358_1223
; %bb.1222:                             ;   in Loop: Header=BB358_690 Depth=1
	v_and_b32_e32 v5, 7, v3
	v_ffbh_u32_e32 v5, v5
	v_min_u32_e32 v5, 32, v5
	v_subrev_u32_e32 v13, 28, v5
	v_cmp_gt_u32_e64 s[4:5], 8, v6
	v_lshrrev_b32_e32 v12, 3, v6
	v_cndmask_b32_e64 v6, 0, v13, s[4:5]
	v_sub_u32_e32 v5, 29, v5
	v_lshlrev_b64 v[26:27], v6, v[10:11]
	v_cndmask_b32_e64 v5, v12, v5, s[4:5]
	v_lshlrev_b32_e32 v6, 20, v26
	v_lshlrev_b32_e32 v12, 24, v10
	v_bfrev_b32_e32 v13, 60
	v_and_b32_e32 v6, 0x700000, v6
	v_and_b32_e32 v12, 0x80000000, v12
	v_lshl_add_u32 v5, v5, 23, v13
	v_or3_b32 v5, v12, v5, v6
.LBB358_1223:                           ;   in Loop: Header=BB358_690 Depth=1
	s_or_b64 exec, exec, s[28:29]
.LBB358_1224:                           ;   in Loop: Header=BB358_690 Depth=1
	s_or_b64 exec, exec, s[26:27]
.LBB358_1225:                           ;   in Loop: Header=BB358_690 Depth=1
	s_or_b64 exec, exec, s[24:25]
	v_mul_f32_e32 v5, v7, v5
	v_and_b32_e32 v6, 0x7f800000, v5
	v_cmp_ne_u32_e64 s[4:5], s15, v6
                                        ; implicit-def: $vgpr22
	s_and_saveexec_b64 s[24:25], s[4:5]
	s_xor_b64 s[4:5], exec, s[24:25]
; %bb.1226:                             ;   in Loop: Header=BB358_690 Depth=1
	v_bfe_u32 v6, v5, 16, 1
	v_add3_u32 v22, v5, v6, s30
                                        ; implicit-def: $vgpr5
; %bb.1227:                             ;   in Loop: Header=BB358_690 Depth=1
	s_andn2_saveexec_b64 s[24:25], s[4:5]
; %bb.1228:                             ;   in Loop: Header=BB358_690 Depth=1
	v_or_b32_e32 v6, 0x10000, v5
	v_cmp_eq_u32_sdwa s[4:5], v5, v11 src0_sel:WORD_0 src1_sel:DWORD
	v_cndmask_b32_e64 v22, v6, v5, s[4:5]
; %bb.1229:                             ;   in Loop: Header=BB358_690 Depth=1
	s_or_b64 exec, exec, s[24:25]
	v_lshrrev_b16_e32 v6, 8, v10
	v_cmp_ne_u16_e64 s[4:5], 0, v6
	v_mov_b32_e32 v5, 0
	s_and_saveexec_b64 s[24:25], s[4:5]
	s_cbranch_execz .LBB358_1235
; %bb.1230:                             ;   in Loop: Header=BB358_690 Depth=1
	v_cmp_ne_u16_e64 s[4:5], s31, v6
	v_bfrev_b32_e32 v5, 1
	s_and_saveexec_b64 s[26:27], s[4:5]
	s_cbranch_execz .LBB358_1234
; %bb.1231:                             ;   in Loop: Header=BB358_690 Depth=1
	v_and_b32_e32 v26, 0x7f, v6
	v_cmp_ne_u32_e64 s[4:5], s34, v26
	v_mov_b32_e32 v5, 0x7f800001
	s_and_saveexec_b64 s[28:29], s[4:5]
	s_cbranch_execz .LBB358_1233
; %bb.1232:                             ;   in Loop: Header=BB358_690 Depth=1
	v_and_b32_e32 v5, 7, v6
	v_ffbh_u32_e32 v13, v5
	v_min_u32_e32 v13, 32, v13
	v_subrev_u32_e32 v23, 28, v13
	v_lshlrev_b64 v[32:33], v23, v[6:7]
	v_lshrrev_b32_e32 v12, 3, v26
	v_sub_u32_e32 v6, 29, v13
	v_and_b32_e32 v13, 7, v32
	v_cmp_gt_u32_e64 s[4:5], 8, v26
	v_cndmask_b32_e64 v6, v12, v6, s[4:5]
	v_cndmask_b32_e64 v5, v5, v13, s[4:5]
	v_lshlrev_b32_e32 v10, 16, v10
	v_bfrev_b32_e32 v12, 60
	v_lshlrev_b32_e32 v5, 20, v5
	v_and_b32_e32 v10, 0x80000000, v10
	v_lshl_add_u32 v6, v6, 23, v12
	v_accvgpr_read_b32 v23, a32
	v_or3_b32 v5, v10, v6, v5
.LBB358_1233:                           ;   in Loop: Header=BB358_690 Depth=1
	s_or_b64 exec, exec, s[28:29]
.LBB358_1234:                           ;   in Loop: Header=BB358_690 Depth=1
	s_or_b64 exec, exec, s[26:27]
.LBB358_1235:                           ;   in Loop: Header=BB358_690 Depth=1
	s_or_b64 exec, exec, s[24:25]
	v_mul_f32_e32 v6, v7, v5
	v_and_b32_e32 v5, 0x7f800000, v6
	v_cmp_ne_u32_e64 s[4:5], s15, v5
                                        ; implicit-def: $vgpr5
	s_and_saveexec_b64 s[24:25], s[4:5]
	s_xor_b64 s[4:5], exec, s[24:25]
; %bb.1236:                             ;   in Loop: Header=BB358_690 Depth=1
	v_bfe_u32 v5, v6, 16, 1
	v_add3_u32 v5, v6, v5, s30
                                        ; implicit-def: $vgpr6
; %bb.1237:                             ;   in Loop: Header=BB358_690 Depth=1
	s_andn2_saveexec_b64 s[24:25], s[4:5]
; %bb.1238:                             ;   in Loop: Header=BB358_690 Depth=1
	v_or_b32_e32 v5, 0x10000, v6
	v_cmp_eq_u32_sdwa s[4:5], v6, v11 src0_sel:WORD_0 src1_sel:DWORD
	v_cndmask_b32_e64 v5, v5, v6, s[4:5]
; %bb.1239:                             ;   in Loop: Header=BB358_690 Depth=1
	s_or_b64 exec, exec, s[24:25]
	v_lshrrev_b32_e32 v6, 16, v3
	v_cmp_ne_u16_sdwa s[4:5], v6, v11 src0_sel:BYTE_0 src1_sel:DWORD
	v_mov_b32_e32 v10, 0
	s_and_saveexec_b64 s[24:25], s[4:5]
	s_cbranch_execz .LBB358_1245
; %bb.1240:                             ;   in Loop: Header=BB358_690 Depth=1
	v_cmp_ne_u16_sdwa s[4:5], v6, s31 src0_sel:BYTE_0 src1_sel:DWORD
	v_bfrev_b32_e32 v10, 1
	s_and_saveexec_b64 s[26:27], s[4:5]
	s_cbranch_execz .LBB358_1244
; %bb.1241:                             ;   in Loop: Header=BB358_690 Depth=1
	v_bfe_u32 v26, v3, 16, 7
	v_cmp_ne_u32_e64 s[4:5], s34, v26
	v_mov_b32_e32 v10, 0x7f800001
	s_and_saveexec_b64 s[28:29], s[4:5]
	s_cbranch_execz .LBB358_1243
; %bb.1242:                             ;   in Loop: Header=BB358_690 Depth=1
	v_and_b32_e32 v10, 7, v6
	v_ffbh_u32_e32 v13, v10
	v_min_u32_e32 v13, 32, v13
	v_subrev_u32_e32 v23, 28, v13
	v_lshlrev_b64 v[32:33], v23, v[6:7]
	v_lshrrev_b32_e32 v12, 3, v26
	v_sub_u32_e32 v13, 29, v13
	v_and_b32_e32 v23, 7, v32
	v_cmp_gt_u32_e64 s[4:5], 8, v26
	v_cndmask_b32_e64 v12, v12, v13, s[4:5]
	v_cndmask_b32_e64 v10, v10, v23, s[4:5]
	v_lshlrev_b32_e32 v6, 24, v6
	v_bfrev_b32_e32 v13, 60
	v_lshlrev_b32_e32 v10, 20, v10
	v_and_b32_e32 v6, 0x80000000, v6
	v_lshl_add_u32 v12, v12, 23, v13
	v_accvgpr_read_b32 v23, a32
	v_or3_b32 v10, v6, v12, v10
.LBB358_1243:                           ;   in Loop: Header=BB358_690 Depth=1
	s_or_b64 exec, exec, s[28:29]
.LBB358_1244:                           ;   in Loop: Header=BB358_690 Depth=1
	s_or_b64 exec, exec, s[26:27]
.LBB358_1245:                           ;   in Loop: Header=BB358_690 Depth=1
	s_or_b64 exec, exec, s[24:25]
	v_mul_f32_e32 v6, v7, v10
	v_and_b32_e32 v10, 0x7f800000, v6
	v_cmp_ne_u32_e64 s[4:5], s15, v10
                                        ; implicit-def: $vgpr26
	s_and_saveexec_b64 s[24:25], s[4:5]
	s_xor_b64 s[4:5], exec, s[24:25]
; %bb.1246:                             ;   in Loop: Header=BB358_690 Depth=1
	v_bfe_u32 v10, v6, 16, 1
	v_add3_u32 v26, v6, v10, s30
                                        ; implicit-def: $vgpr6
; %bb.1247:                             ;   in Loop: Header=BB358_690 Depth=1
	s_andn2_saveexec_b64 s[24:25], s[4:5]
; %bb.1248:                             ;   in Loop: Header=BB358_690 Depth=1
	v_or_b32_e32 v10, 0x10000, v6
	v_cmp_eq_u32_sdwa s[4:5], v6, v11 src0_sel:WORD_0 src1_sel:DWORD
	v_cndmask_b32_e64 v26, v10, v6, s[4:5]
; %bb.1249:                             ;   in Loop: Header=BB358_690 Depth=1
	s_or_b64 exec, exec, s[24:25]
	v_cmp_lt_u64_e64 s[4:5], s[10:11], v[2:3]
	v_mov_b32_e32 v6, 0
	s_and_saveexec_b64 s[24:25], s[4:5]
	s_cbranch_execz .LBB358_1255
; %bb.1250:                             ;   in Loop: Header=BB358_690 Depth=1
	v_lshrrev_b32_e32 v2, 24, v3
	v_cmp_ne_u32_e64 s[4:5], s31, v2
	v_bfrev_b32_e32 v6, 1
	s_and_saveexec_b64 s[26:27], s[4:5]
	s_cbranch_execz .LBB358_1254
; %bb.1251:                             ;   in Loop: Header=BB358_690 Depth=1
	v_bfe_u32 v3, v3, 24, 7
	v_cmp_ne_u32_e64 s[4:5], s34, v3
	v_mov_b32_e32 v6, 0x7f800001
	s_and_saveexec_b64 s[28:29], s[4:5]
	s_cbranch_execz .LBB358_1253
; %bb.1252:                             ;   in Loop: Header=BB358_690 Depth=1
	v_and_b32_e32 v6, 7, v2
	v_ffbh_u32_e32 v12, v6
	v_min_u32_e32 v12, 32, v12
	v_subrev_u32_e32 v13, 28, v12
	v_lshlrev_b64 v[32:33], v13, v[2:3]
	v_lshrrev_b32_e32 v10, 3, v3
	v_sub_u32_e32 v12, 29, v12
	v_and_b32_e32 v13, 7, v32
	v_cmp_gt_u32_e64 s[4:5], 8, v3
	v_cndmask_b32_e64 v3, v10, v12, s[4:5]
	v_cndmask_b32_e64 v6, v6, v13, s[4:5]
	v_lshlrev_b32_e32 v2, 24, v2
	v_bfrev_b32_e32 v10, 60
	v_lshlrev_b32_e32 v6, 20, v6
	v_and_b32_e32 v2, 0x80000000, v2
	v_lshl_add_u32 v3, v3, 23, v10
	v_or3_b32 v6, v2, v3, v6
.LBB358_1253:                           ;   in Loop: Header=BB358_690 Depth=1
	s_or_b64 exec, exec, s[28:29]
.LBB358_1254:                           ;   in Loop: Header=BB358_690 Depth=1
	s_or_b64 exec, exec, s[26:27]
.LBB358_1255:                           ;   in Loop: Header=BB358_690 Depth=1
	s_or_b64 exec, exec, s[24:25]
	v_mul_f32_e32 v3, v7, v6
	v_and_b32_e32 v2, 0x7f800000, v3
	v_cmp_ne_u32_e64 s[4:5], s15, v2
                                        ; implicit-def: $vgpr2
	s_and_saveexec_b64 s[24:25], s[4:5]
	s_xor_b64 s[4:5], exec, s[24:25]
; %bb.1256:                             ;   in Loop: Header=BB358_690 Depth=1
	v_bfe_u32 v2, v3, 16, 1
	v_add3_u32 v2, v3, v2, s30
                                        ; implicit-def: $vgpr3
; %bb.1257:                             ;   in Loop: Header=BB358_690 Depth=1
	s_andn2_saveexec_b64 s[24:25], s[4:5]
; %bb.1258:                             ;   in Loop: Header=BB358_690 Depth=1
	v_or_b32_e32 v2, 0x10000, v3
	v_cmp_eq_u32_sdwa s[4:5], v3, v11 src0_sel:WORD_0 src1_sel:DWORD
	v_cndmask_b32_e64 v2, v2, v3, s[4:5]
; %bb.1259:                             ;   in Loop: Header=BB358_690 Depth=1
	s_or_b64 exec, exec, s[24:25]
	v_lshrrev_b32_e32 v5, 16, v5
	v_lshrrev_b32_e32 v6, 16, v22
	;; [unrolled: 1-line block ×8, first 2 shown]
	s_and_saveexec_b64 s[24:25], vcc
	s_cbranch_execz .LBB358_1261
; %bb.1260:                             ;   in Loop: Header=BB358_690 Depth=1
	buffer_load_dword v12, off, s[0:3], s32 offset:196 ; 4-byte Folded Reload
	v_accvgpr_read_b32 v13, a38
	s_waitcnt vmcnt(0)
	v_cmp_lt_i32_e64 s[4:5], v53, v12
	v_cndmask_b32_e64 v8, 0, v8, s[4:5]
	v_cmp_lt_i32_e64 s[4:5], v13, v12
	v_accvgpr_read_b32 v13, a37
	v_cndmask_b32_e64 v9, 0, v9, s[4:5]
	v_cmp_lt_i32_e64 s[4:5], v13, v12
	v_accvgpr_read_b32 v13, a36
	;; [unrolled: 3-line block ×5, first 2 shown]
	v_cndmask_b32_e64 v5, 0, v5, s[4:5]
	v_cmp_lt_i32_e64 s[4:5], v13, v12
	v_cndmask_b32_e64 v3, 0, v3, s[4:5]
	v_cmp_lt_i32_e64 s[4:5], v23, v12
	v_cndmask_b32_e64 v2, 0, v2, s[4:5]
.LBB358_1261:                           ;   in Loop: Header=BB358_690 Depth=1
	s_or_b64 exec, exec, s[24:25]
	v_lshlrev_b32_e32 v8, 16, v8
	v_mul_f32_e32 v8, v56, v8
	v_and_b32_e32 v12, 0x7f800000, v8
	v_cmp_ne_u32_e64 s[4:5], s15, v12
                                        ; implicit-def: $vgpr35
	s_and_saveexec_b64 s[24:25], s[4:5]
	s_xor_b64 s[4:5], exec, s[24:25]
; %bb.1262:                             ;   in Loop: Header=BB358_690 Depth=1
	v_bfe_u32 v12, v8, 16, 1
	v_add3_u32 v35, v8, v12, s30
                                        ; implicit-def: $vgpr8
; %bb.1263:                             ;   in Loop: Header=BB358_690 Depth=1
	s_andn2_saveexec_b64 s[24:25], s[4:5]
; %bb.1264:                             ;   in Loop: Header=BB358_690 Depth=1
	v_or_b32_e32 v12, 0x10000, v8
	v_cmp_eq_u32_sdwa s[4:5], v8, v11 src0_sel:WORD_0 src1_sel:DWORD
	v_cndmask_b32_e64 v35, v12, v8, s[4:5]
; %bb.1265:                             ;   in Loop: Header=BB358_690 Depth=1
	s_or_b64 exec, exec, s[24:25]
	v_lshlrev_b32_e32 v8, 16, v9
	v_mul_f32_e32 v8, v57, v8
	v_and_b32_e32 v9, 0x7f800000, v8
	v_cmp_ne_u32_e64 s[4:5], s15, v9
                                        ; implicit-def: $vgpr30
	s_and_saveexec_b64 s[24:25], s[4:5]
	s_xor_b64 s[4:5], exec, s[24:25]
; %bb.1266:                             ;   in Loop: Header=BB358_690 Depth=1
	v_bfe_u32 v9, v8, 16, 1
	v_add3_u32 v30, v8, v9, s30
                                        ; implicit-def: $vgpr8
; %bb.1267:                             ;   in Loop: Header=BB358_690 Depth=1
	s_andn2_saveexec_b64 s[24:25], s[4:5]
; %bb.1268:                             ;   in Loop: Header=BB358_690 Depth=1
	v_or_b32_e32 v9, 0x10000, v8
	v_cmp_eq_u32_sdwa s[4:5], v8, v11 src0_sel:WORD_0 src1_sel:DWORD
	v_cndmask_b32_e64 v30, v9, v8, s[4:5]
; %bb.1269:                             ;   in Loop: Header=BB358_690 Depth=1
	s_or_b64 exec, exec, s[24:25]
	v_lshlrev_b32_e32 v8, 16, v20
	v_mul_f32_e32 v8, v58, v8
	v_and_b32_e32 v9, 0x7f800000, v8
	v_cmp_ne_u32_e64 s[4:5], s15, v9
                                        ; implicit-def: $vgpr27
	s_and_saveexec_b64 s[24:25], s[4:5]
	s_xor_b64 s[4:5], exec, s[24:25]
; %bb.1270:                             ;   in Loop: Header=BB358_690 Depth=1
	v_bfe_u32 v9, v8, 16, 1
	v_add3_u32 v27, v8, v9, s30
                                        ; implicit-def: $vgpr8
; %bb.1271:                             ;   in Loop: Header=BB358_690 Depth=1
	s_andn2_saveexec_b64 s[24:25], s[4:5]
; %bb.1272:                             ;   in Loop: Header=BB358_690 Depth=1
	v_or_b32_e32 v9, 0x10000, v8
	v_cmp_eq_u32_sdwa s[4:5], v8, v11 src0_sel:WORD_0 src1_sel:DWORD
	v_cndmask_b32_e64 v27, v9, v8, s[4:5]
; %bb.1273:                             ;   in Loop: Header=BB358_690 Depth=1
	s_or_b64 exec, exec, s[24:25]
	v_lshlrev_b32_e32 v8, 16, v10
	v_mul_f32_e32 v8, v60, v8
	v_and_b32_e32 v9, 0x7f800000, v8
	v_cmp_ne_u32_e64 s[4:5], s15, v9
                                        ; implicit-def: $vgpr26
	s_and_saveexec_b64 s[24:25], s[4:5]
	s_xor_b64 s[4:5], exec, s[24:25]
; %bb.1274:                             ;   in Loop: Header=BB358_690 Depth=1
	v_bfe_u32 v9, v8, 16, 1
	v_add3_u32 v26, v8, v9, s30
                                        ; implicit-def: $vgpr8
; %bb.1275:                             ;   in Loop: Header=BB358_690 Depth=1
	s_andn2_saveexec_b64 s[24:25], s[4:5]
; %bb.1276:                             ;   in Loop: Header=BB358_690 Depth=1
	v_or_b32_e32 v9, 0x10000, v8
	v_cmp_eq_u32_sdwa s[4:5], v8, v11 src0_sel:WORD_0 src1_sel:DWORD
	v_cndmask_b32_e64 v26, v9, v8, s[4:5]
; %bb.1277:                             ;   in Loop: Header=BB358_690 Depth=1
	s_or_b64 exec, exec, s[24:25]
	v_lshlrev_b32_e32 v6, 16, v6
	v_mul_f32_e32 v6, v36, v6
	v_and_b32_e32 v8, 0x7f800000, v6
	v_cmp_ne_u32_e64 s[4:5], s15, v8
                                        ; implicit-def: $vgpr40
	s_and_saveexec_b64 s[24:25], s[4:5]
	s_xor_b64 s[4:5], exec, s[24:25]
; %bb.1278:                             ;   in Loop: Header=BB358_690 Depth=1
	v_bfe_u32 v8, v6, 16, 1
	v_add3_u32 v40, v6, v8, s30
                                        ; implicit-def: $vgpr6
; %bb.1279:                             ;   in Loop: Header=BB358_690 Depth=1
	s_andn2_saveexec_b64 s[24:25], s[4:5]
; %bb.1280:                             ;   in Loop: Header=BB358_690 Depth=1
	v_or_b32_e32 v8, 0x10000, v6
	v_cmp_eq_u32_sdwa s[4:5], v6, v11 src0_sel:WORD_0 src1_sel:DWORD
	v_cndmask_b32_e64 v40, v8, v6, s[4:5]
; %bb.1281:                             ;   in Loop: Header=BB358_690 Depth=1
	s_or_b64 exec, exec, s[24:25]
	v_lshlrev_b32_e32 v5, 16, v5
	v_mul_f32_e32 v5, v41, v5
	v_and_b32_e32 v6, 0x7f800000, v5
	v_cmp_ne_u32_e64 s[4:5], s15, v6
                                        ; implicit-def: $vgpr61
	s_and_saveexec_b64 s[24:25], s[4:5]
	s_xor_b64 s[4:5], exec, s[24:25]
; %bb.1282:                             ;   in Loop: Header=BB358_690 Depth=1
	v_bfe_u32 v6, v5, 16, 1
	v_add3_u32 v61, v5, v6, s30
                                        ; implicit-def: $vgpr5
; %bb.1283:                             ;   in Loop: Header=BB358_690 Depth=1
	s_andn2_saveexec_b64 s[24:25], s[4:5]
; %bb.1284:                             ;   in Loop: Header=BB358_690 Depth=1
	v_or_b32_e32 v6, 0x10000, v5
	v_cmp_eq_u32_sdwa s[4:5], v5, v11 src0_sel:WORD_0 src1_sel:DWORD
	v_cndmask_b32_e64 v61, v6, v5, s[4:5]
; %bb.1285:                             ;   in Loop: Header=BB358_690 Depth=1
	s_or_b64 exec, exec, s[24:25]
	v_lshlrev_b32_e32 v3, 16, v3
	v_mul_f32_e32 v3, v34, v3
	v_and_b32_e32 v5, 0x7f800000, v3
	v_cmp_ne_u32_e64 s[4:5], s15, v5
                                        ; implicit-def: $vgpr54
	s_and_saveexec_b64 s[24:25], s[4:5]
	s_xor_b64 s[4:5], exec, s[24:25]
; %bb.1286:                             ;   in Loop: Header=BB358_690 Depth=1
	v_bfe_u32 v5, v3, 16, 1
	v_add3_u32 v54, v3, v5, s30
                                        ; implicit-def: $vgpr3
; %bb.1287:                             ;   in Loop: Header=BB358_690 Depth=1
	s_andn2_saveexec_b64 s[24:25], s[4:5]
; %bb.1288:                             ;   in Loop: Header=BB358_690 Depth=1
	v_or_b32_e32 v5, 0x10000, v3
	v_cmp_eq_u32_sdwa s[4:5], v3, v11 src0_sel:WORD_0 src1_sel:DWORD
	v_cndmask_b32_e64 v54, v5, v3, s[4:5]
; %bb.1289:                             ;   in Loop: Header=BB358_690 Depth=1
	s_or_b64 exec, exec, s[24:25]
	v_lshlrev_b32_e32 v2, 16, v2
	v_mul_f32_e32 v2, v31, v2
	v_and_b32_e32 v3, 0x7f800000, v2
	v_cmp_ne_u32_e64 s[4:5], s15, v3
                                        ; implicit-def: $vgpr55
	s_and_saveexec_b64 s[24:25], s[4:5]
	s_xor_b64 s[4:5], exec, s[24:25]
; %bb.1290:                             ;   in Loop: Header=BB358_690 Depth=1
	v_bfe_u32 v3, v2, 16, 1
	v_add3_u32 v55, v2, v3, s30
                                        ; implicit-def: $vgpr2
; %bb.1291:                             ;   in Loop: Header=BB358_690 Depth=1
	s_andn2_saveexec_b64 s[24:25], s[4:5]
; %bb.1292:                             ;   in Loop: Header=BB358_690 Depth=1
	v_or_b32_e32 v3, 0x10000, v2
	v_cmp_eq_u32_sdwa s[4:5], v2, v11 src0_sel:WORD_0 src1_sel:DWORD
	v_cndmask_b32_e64 v55, v3, v2, s[4:5]
; %bb.1293:                             ;   in Loop: Header=BB358_690 Depth=1
	s_or_b64 exec, exec, s[24:25]
	flat_load_dwordx2 v[2:3], v[0:1] offset:2560
	v_mov_b32_e32 v5, 0
	s_waitcnt vmcnt(0) lgkmcnt(0)
	v_cmp_ne_u16_sdwa s[4:5], v2, v11 src0_sel:BYTE_0 src1_sel:DWORD
	s_and_saveexec_b64 s[24:25], s[4:5]
	s_cbranch_execz .LBB358_1299
; %bb.1294:                             ;   in Loop: Header=BB358_690 Depth=1
	v_cmp_ne_u16_sdwa s[4:5], v2, s31 src0_sel:BYTE_0 src1_sel:DWORD
	v_bfrev_b32_e32 v5, 1
	s_and_saveexec_b64 s[26:27], s[4:5]
	s_cbranch_execz .LBB358_1298
; %bb.1295:                             ;   in Loop: Header=BB358_690 Depth=1
	v_and_b32_e32 v6, 0x7f, v2
	v_cmp_ne_u32_e64 s[4:5], s34, v6
	v_mov_b32_e32 v5, 0x7f800001
	s_and_saveexec_b64 s[28:29], s[4:5]
	s_cbranch_execz .LBB358_1297
; %bb.1296:                             ;   in Loop: Header=BB358_690 Depth=1
	v_and_b32_e32 v5, 7, v2
	v_ffbh_u32_e32 v5, v5
	v_min_u32_e32 v5, 32, v5
	v_subrev_u32_e32 v9, 28, v5
	v_cmp_gt_u32_e64 s[4:5], 8, v6
	v_lshrrev_b32_e32 v8, 3, v6
	v_sub_u32_e32 v5, 29, v5
	v_cndmask_b32_e64 v6, 0, v9, s[4:5]
	v_cndmask_b32_e64 v5, v8, v5, s[4:5]
	v_lshlrev_b64 v[8:9], v6, v[2:3]
	v_lshlrev_b32_e32 v6, 20, v8
	v_lshlrev_b32_e32 v8, 24, v2
	v_bfrev_b32_e32 v9, 60
	v_and_b32_e32 v6, 0x700000, v6
	v_and_b32_e32 v8, 0x80000000, v8
	v_lshl_add_u32 v5, v5, 23, v9
	v_or3_b32 v5, v8, v5, v6
.LBB358_1297:                           ;   in Loop: Header=BB358_690 Depth=1
	s_or_b64 exec, exec, s[28:29]
.LBB358_1298:                           ;   in Loop: Header=BB358_690 Depth=1
	s_or_b64 exec, exec, s[26:27]
.LBB358_1299:                           ;   in Loop: Header=BB358_690 Depth=1
	s_or_b64 exec, exec, s[24:25]
	v_mul_f32_e32 v5, v7, v5
	v_and_b32_e32 v6, 0x7f800000, v5
	v_cmp_ne_u32_e64 s[4:5], s15, v6
                                        ; implicit-def: $vgpr8
	s_and_saveexec_b64 s[24:25], s[4:5]
	s_xor_b64 s[4:5], exec, s[24:25]
; %bb.1300:                             ;   in Loop: Header=BB358_690 Depth=1
	v_bfe_u32 v6, v5, 16, 1
	v_add3_u32 v8, v5, v6, s30
                                        ; implicit-def: $vgpr5
; %bb.1301:                             ;   in Loop: Header=BB358_690 Depth=1
	s_andn2_saveexec_b64 s[24:25], s[4:5]
; %bb.1302:                             ;   in Loop: Header=BB358_690 Depth=1
	v_or_b32_e32 v6, 0x10000, v5
	v_cmp_eq_u32_sdwa s[4:5], v5, v11 src0_sel:WORD_0 src1_sel:DWORD
	v_cndmask_b32_e64 v8, v6, v5, s[4:5]
; %bb.1303:                             ;   in Loop: Header=BB358_690 Depth=1
	s_or_b64 exec, exec, s[24:25]
	v_lshrrev_b16_e32 v6, 8, v2
	v_cmp_ne_u16_e64 s[4:5], 0, v6
	v_mov_b32_e32 v5, 0
	s_and_saveexec_b64 s[24:25], s[4:5]
	s_cbranch_execz .LBB358_1309
; %bb.1304:                             ;   in Loop: Header=BB358_690 Depth=1
	v_cmp_ne_u16_e64 s[4:5], s31, v6
	v_bfrev_b32_e32 v5, 1
	s_and_saveexec_b64 s[26:27], s[4:5]
	s_cbranch_execz .LBB358_1308
; %bb.1305:                             ;   in Loop: Header=BB358_690 Depth=1
	v_and_b32_e32 v9, 0x7f, v6
	v_cmp_ne_u32_e64 s[4:5], s34, v9
	v_mov_b32_e32 v5, 0x7f800001
	s_and_saveexec_b64 s[28:29], s[4:5]
	s_cbranch_execz .LBB358_1307
; %bb.1306:                             ;   in Loop: Header=BB358_690 Depth=1
	v_and_b32_e32 v5, 7, v6
	v_ffbh_u32_e32 v12, v5
	v_min_u32_e32 v12, 32, v12
	v_subrev_u32_e32 v13, 28, v12
	v_lshlrev_b64 v[20:21], v13, v[6:7]
	v_lshrrev_b32_e32 v10, 3, v9
	v_sub_u32_e32 v6, 29, v12
	v_and_b32_e32 v12, 7, v20
	v_cmp_gt_u32_e64 s[4:5], 8, v9
	v_cndmask_b32_e64 v6, v10, v6, s[4:5]
	v_cndmask_b32_e64 v5, v5, v12, s[4:5]
	v_lshlrev_b32_e32 v9, 16, v2
	v_bfrev_b32_e32 v10, 60
	v_lshlrev_b32_e32 v5, 20, v5
	v_and_b32_e32 v9, 0x80000000, v9
	v_lshl_add_u32 v6, v6, 23, v10
	v_or3_b32 v5, v9, v6, v5
.LBB358_1307:                           ;   in Loop: Header=BB358_690 Depth=1
	s_or_b64 exec, exec, s[28:29]
.LBB358_1308:                           ;   in Loop: Header=BB358_690 Depth=1
	s_or_b64 exec, exec, s[26:27]
.LBB358_1309:                           ;   in Loop: Header=BB358_690 Depth=1
	s_or_b64 exec, exec, s[24:25]
	v_mul_f32_e32 v5, v7, v5
	v_and_b32_e32 v6, 0x7f800000, v5
	v_cmp_ne_u32_e64 s[4:5], s15, v6
                                        ; implicit-def: $vgpr9
	s_and_saveexec_b64 s[24:25], s[4:5]
	s_xor_b64 s[4:5], exec, s[24:25]
; %bb.1310:                             ;   in Loop: Header=BB358_690 Depth=1
	v_bfe_u32 v6, v5, 16, 1
	v_add3_u32 v9, v5, v6, s30
                                        ; implicit-def: $vgpr5
; %bb.1311:                             ;   in Loop: Header=BB358_690 Depth=1
	s_andn2_saveexec_b64 s[24:25], s[4:5]
; %bb.1312:                             ;   in Loop: Header=BB358_690 Depth=1
	v_or_b32_e32 v6, 0x10000, v5
	v_cmp_eq_u32_sdwa s[4:5], v5, v11 src0_sel:WORD_0 src1_sel:DWORD
	v_cndmask_b32_e64 v9, v6, v5, s[4:5]
; %bb.1313:                             ;   in Loop: Header=BB358_690 Depth=1
	s_or_b64 exec, exec, s[24:25]
	v_lshrrev_b32_e32 v6, 16, v2
	v_cmp_ne_u16_sdwa s[4:5], v6, v11 src0_sel:BYTE_0 src1_sel:DWORD
	v_mov_b32_e32 v5, 0
	s_and_saveexec_b64 s[24:25], s[4:5]
	s_cbranch_execz .LBB358_1319
; %bb.1314:                             ;   in Loop: Header=BB358_690 Depth=1
	v_cmp_ne_u16_sdwa s[4:5], v6, s31 src0_sel:BYTE_0 src1_sel:DWORD
	v_bfrev_b32_e32 v5, 1
	s_and_saveexec_b64 s[26:27], s[4:5]
	s_cbranch_execz .LBB358_1318
; %bb.1315:                             ;   in Loop: Header=BB358_690 Depth=1
	v_bfe_u32 v10, v2, 16, 7
	v_cmp_ne_u32_e64 s[4:5], s34, v10
	v_mov_b32_e32 v5, 0x7f800001
	s_and_saveexec_b64 s[28:29], s[4:5]
	s_cbranch_execz .LBB358_1317
; %bb.1316:                             ;   in Loop: Header=BB358_690 Depth=1
	v_and_b32_e32 v5, 7, v6
	v_ffbh_u32_e32 v13, v5
	v_min_u32_e32 v13, 32, v13
	v_subrev_u32_e32 v20, 28, v13
	v_lshlrev_b64 v[20:21], v20, v[6:7]
	v_lshrrev_b32_e32 v12, 3, v10
	v_sub_u32_e32 v13, 29, v13
	v_and_b32_e32 v20, 7, v20
	v_cmp_gt_u32_e64 s[4:5], 8, v10
	v_cndmask_b32_e64 v10, v12, v13, s[4:5]
	v_cndmask_b32_e64 v5, v5, v20, s[4:5]
	v_lshlrev_b32_e32 v6, 24, v6
	v_bfrev_b32_e32 v12, 60
	v_lshlrev_b32_e32 v5, 20, v5
	v_and_b32_e32 v6, 0x80000000, v6
	v_lshl_add_u32 v10, v10, 23, v12
	v_or3_b32 v5, v6, v10, v5
.LBB358_1317:                           ;   in Loop: Header=BB358_690 Depth=1
	s_or_b64 exec, exec, s[28:29]
.LBB358_1318:                           ;   in Loop: Header=BB358_690 Depth=1
	s_or_b64 exec, exec, s[26:27]
.LBB358_1319:                           ;   in Loop: Header=BB358_690 Depth=1
	s_or_b64 exec, exec, s[24:25]
	v_mul_f32_e32 v5, v7, v5
	v_and_b32_e32 v6, 0x7f800000, v5
	v_cmp_ne_u32_e64 s[4:5], s15, v6
                                        ; implicit-def: $vgpr20
	s_and_saveexec_b64 s[24:25], s[4:5]
	s_xor_b64 s[4:5], exec, s[24:25]
; %bb.1320:                             ;   in Loop: Header=BB358_690 Depth=1
	v_bfe_u32 v6, v5, 16, 1
	v_add3_u32 v20, v5, v6, s30
                                        ; implicit-def: $vgpr5
; %bb.1321:                             ;   in Loop: Header=BB358_690 Depth=1
	s_andn2_saveexec_b64 s[24:25], s[4:5]
; %bb.1322:                             ;   in Loop: Header=BB358_690 Depth=1
	v_or_b32_e32 v6, 0x10000, v5
	v_cmp_eq_u32_sdwa s[4:5], v5, v11 src0_sel:WORD_0 src1_sel:DWORD
	v_cndmask_b32_e64 v20, v6, v5, s[4:5]
; %bb.1323:                             ;   in Loop: Header=BB358_690 Depth=1
	s_or_b64 exec, exec, s[24:25]
	v_cmp_lt_u32_e64 s[4:5], s11, v2
	v_mov_b32_e32 v5, 0
	s_and_saveexec_b64 s[24:25], s[4:5]
	s_cbranch_execz .LBB358_1329
; %bb.1324:                             ;   in Loop: Header=BB358_690 Depth=1
	v_lshrrev_b32_e32 v6, 24, v2
	v_cmp_ne_u32_e64 s[4:5], s31, v6
	v_bfrev_b32_e32 v5, 1
	s_and_saveexec_b64 s[26:27], s[4:5]
	s_cbranch_execz .LBB358_1328
; %bb.1325:                             ;   in Loop: Header=BB358_690 Depth=1
	v_bfe_u32 v10, v2, 24, 7
	v_cmp_ne_u32_e64 s[4:5], s34, v10
	v_mov_b32_e32 v5, 0x7f800001
	s_and_saveexec_b64 s[28:29], s[4:5]
	s_cbranch_execz .LBB358_1327
; %bb.1326:                             ;   in Loop: Header=BB358_690 Depth=1
	v_and_b32_e32 v5, 7, v6
	v_ffbh_u32_e32 v13, v5
	v_min_u32_e32 v13, 32, v13
	v_subrev_u32_e32 v21, 28, v13
	v_lshlrev_b64 v[32:33], v21, v[6:7]
	v_lshrrev_b32_e32 v12, 3, v10
	v_sub_u32_e32 v13, 29, v13
	v_and_b32_e32 v21, 7, v32
	v_cmp_gt_u32_e64 s[4:5], 8, v10
	v_cndmask_b32_e64 v10, v12, v13, s[4:5]
	v_cndmask_b32_e64 v5, v5, v21, s[4:5]
	v_lshlrev_b32_e32 v6, 24, v6
	v_bfrev_b32_e32 v12, 60
	v_lshlrev_b32_e32 v5, 20, v5
	v_and_b32_e32 v6, 0x80000000, v6
	v_lshl_add_u32 v10, v10, 23, v12
	v_or3_b32 v5, v6, v10, v5
.LBB358_1327:                           ;   in Loop: Header=BB358_690 Depth=1
	s_or_b64 exec, exec, s[28:29]
.LBB358_1328:                           ;   in Loop: Header=BB358_690 Depth=1
	s_or_b64 exec, exec, s[26:27]
.LBB358_1329:                           ;   in Loop: Header=BB358_690 Depth=1
	s_or_b64 exec, exec, s[24:25]
	v_mul_f32_e32 v5, v7, v5
	v_and_b32_e32 v6, 0x7f800000, v5
	v_cmp_ne_u32_e64 s[4:5], s15, v6
                                        ; implicit-def: $vgpr21
	s_and_saveexec_b64 s[24:25], s[4:5]
	s_xor_b64 s[4:5], exec, s[24:25]
; %bb.1330:                             ;   in Loop: Header=BB358_690 Depth=1
	v_bfe_u32 v6, v5, 16, 1
	v_add3_u32 v21, v5, v6, s30
                                        ; implicit-def: $vgpr5
; %bb.1331:                             ;   in Loop: Header=BB358_690 Depth=1
	s_andn2_saveexec_b64 s[24:25], s[4:5]
; %bb.1332:                             ;   in Loop: Header=BB358_690 Depth=1
	v_or_b32_e32 v6, 0x10000, v5
	v_cmp_eq_u32_sdwa s[4:5], v5, v11 src0_sel:WORD_0 src1_sel:DWORD
	v_cndmask_b32_e64 v21, v6, v5, s[4:5]
; %bb.1333:                             ;   in Loop: Header=BB358_690 Depth=1
	s_or_b64 exec, exec, s[24:25]
	v_mov_b32_e32 v10, v3
	v_cmp_ne_u16_sdwa s[4:5], v3, v11 src0_sel:BYTE_0 src1_sel:DWORD
	v_mov_b32_e32 v5, 0
	s_and_saveexec_b64 s[24:25], s[4:5]
	s_cbranch_execz .LBB358_1339
; %bb.1334:                             ;   in Loop: Header=BB358_690 Depth=1
	v_cmp_ne_u16_sdwa s[4:5], v3, s31 src0_sel:BYTE_0 src1_sel:DWORD
	v_bfrev_b32_e32 v5, 1
	s_and_saveexec_b64 s[26:27], s[4:5]
	s_cbranch_execz .LBB358_1338
; %bb.1335:                             ;   in Loop: Header=BB358_690 Depth=1
	v_and_b32_e32 v6, 0x7f, v3
	v_cmp_ne_u32_e64 s[4:5], s34, v6
	v_mov_b32_e32 v5, 0x7f800001
	s_and_saveexec_b64 s[28:29], s[4:5]
	s_cbranch_execz .LBB358_1337
; %bb.1336:                             ;   in Loop: Header=BB358_690 Depth=1
	v_and_b32_e32 v5, 7, v3
	v_ffbh_u32_e32 v5, v5
	v_min_u32_e32 v5, 32, v5
	v_subrev_u32_e32 v13, 28, v5
	v_cmp_gt_u32_e64 s[4:5], 8, v6
	v_lshrrev_b32_e32 v12, 3, v6
	v_cndmask_b32_e64 v6, 0, v13, s[4:5]
	v_sub_u32_e32 v5, 29, v5
	v_lshlrev_b64 v[32:33], v6, v[10:11]
	v_cndmask_b32_e64 v5, v12, v5, s[4:5]
	v_lshlrev_b32_e32 v6, 20, v32
	v_lshlrev_b32_e32 v12, 24, v10
	v_bfrev_b32_e32 v13, 60
	v_and_b32_e32 v6, 0x700000, v6
	v_and_b32_e32 v12, 0x80000000, v12
	v_lshl_add_u32 v5, v5, 23, v13
	v_or3_b32 v5, v12, v5, v6
.LBB358_1337:                           ;   in Loop: Header=BB358_690 Depth=1
	s_or_b64 exec, exec, s[28:29]
.LBB358_1338:                           ;   in Loop: Header=BB358_690 Depth=1
	s_or_b64 exec, exec, s[26:27]
.LBB358_1339:                           ;   in Loop: Header=BB358_690 Depth=1
	s_or_b64 exec, exec, s[24:25]
	v_mul_f32_e32 v5, v7, v5
	v_and_b32_e32 v6, 0x7f800000, v5
	v_cmp_ne_u32_e64 s[4:5], s15, v6
                                        ; implicit-def: $vgpr22
	s_and_saveexec_b64 s[24:25], s[4:5]
	s_xor_b64 s[4:5], exec, s[24:25]
; %bb.1340:                             ;   in Loop: Header=BB358_690 Depth=1
	v_bfe_u32 v6, v5, 16, 1
	v_add3_u32 v22, v5, v6, s30
                                        ; implicit-def: $vgpr5
; %bb.1341:                             ;   in Loop: Header=BB358_690 Depth=1
	s_andn2_saveexec_b64 s[24:25], s[4:5]
; %bb.1342:                             ;   in Loop: Header=BB358_690 Depth=1
	v_or_b32_e32 v6, 0x10000, v5
	v_cmp_eq_u32_sdwa s[4:5], v5, v11 src0_sel:WORD_0 src1_sel:DWORD
	v_cndmask_b32_e64 v22, v6, v5, s[4:5]
; %bb.1343:                             ;   in Loop: Header=BB358_690 Depth=1
	s_or_b64 exec, exec, s[24:25]
	v_lshrrev_b16_e32 v6, 8, v10
	v_cmp_ne_u16_e64 s[4:5], 0, v6
	v_mov_b32_e32 v5, 0
	s_and_saveexec_b64 s[24:25], s[4:5]
	s_cbranch_execz .LBB358_1349
; %bb.1344:                             ;   in Loop: Header=BB358_690 Depth=1
	v_cmp_ne_u16_e64 s[4:5], s31, v6
	v_bfrev_b32_e32 v5, 1
	s_and_saveexec_b64 s[26:27], s[4:5]
	s_cbranch_execz .LBB358_1348
; %bb.1345:                             ;   in Loop: Header=BB358_690 Depth=1
	v_and_b32_e32 v29, 0x7f, v6
	v_cmp_ne_u32_e64 s[4:5], s34, v29
	v_mov_b32_e32 v5, 0x7f800001
	s_and_saveexec_b64 s[28:29], s[4:5]
	s_cbranch_execz .LBB358_1347
; %bb.1346:                             ;   in Loop: Header=BB358_690 Depth=1
	v_and_b32_e32 v5, 7, v6
	v_ffbh_u32_e32 v13, v5
	v_min_u32_e32 v13, 32, v13
	v_subrev_u32_e32 v23, 28, v13
	v_lshlrev_b64 v[32:33], v23, v[6:7]
	v_lshrrev_b32_e32 v12, 3, v29
	v_sub_u32_e32 v6, 29, v13
	v_and_b32_e32 v13, 7, v32
	v_cmp_gt_u32_e64 s[4:5], 8, v29
	v_cndmask_b32_e64 v6, v12, v6, s[4:5]
	v_cndmask_b32_e64 v5, v5, v13, s[4:5]
	v_lshlrev_b32_e32 v10, 16, v10
	v_bfrev_b32_e32 v12, 60
	v_lshlrev_b32_e32 v5, 20, v5
	v_and_b32_e32 v10, 0x80000000, v10
	v_lshl_add_u32 v6, v6, 23, v12
	v_accvgpr_read_b32 v23, a32
	v_or3_b32 v5, v10, v6, v5
.LBB358_1347:                           ;   in Loop: Header=BB358_690 Depth=1
	s_or_b64 exec, exec, s[28:29]
.LBB358_1348:                           ;   in Loop: Header=BB358_690 Depth=1
	s_or_b64 exec, exec, s[26:27]
.LBB358_1349:                           ;   in Loop: Header=BB358_690 Depth=1
	s_or_b64 exec, exec, s[24:25]
	v_mul_f32_e32 v6, v7, v5
	v_and_b32_e32 v5, 0x7f800000, v6
	v_cmp_ne_u32_e64 s[4:5], s15, v5
                                        ; implicit-def: $vgpr5
	s_and_saveexec_b64 s[24:25], s[4:5]
	s_xor_b64 s[4:5], exec, s[24:25]
; %bb.1350:                             ;   in Loop: Header=BB358_690 Depth=1
	v_bfe_u32 v5, v6, 16, 1
	v_add3_u32 v5, v6, v5, s30
                                        ; implicit-def: $vgpr6
; %bb.1351:                             ;   in Loop: Header=BB358_690 Depth=1
	s_andn2_saveexec_b64 s[24:25], s[4:5]
; %bb.1352:                             ;   in Loop: Header=BB358_690 Depth=1
	v_or_b32_e32 v5, 0x10000, v6
	v_cmp_eq_u32_sdwa s[4:5], v6, v11 src0_sel:WORD_0 src1_sel:DWORD
	v_cndmask_b32_e64 v5, v5, v6, s[4:5]
; %bb.1353:                             ;   in Loop: Header=BB358_690 Depth=1
	s_or_b64 exec, exec, s[24:25]
	v_lshrrev_b32_e32 v6, 16, v3
	v_cmp_ne_u16_sdwa s[4:5], v6, v11 src0_sel:BYTE_0 src1_sel:DWORD
	v_mov_b32_e32 v10, 0
	s_and_saveexec_b64 s[24:25], s[4:5]
	s_cbranch_execz .LBB358_1359
; %bb.1354:                             ;   in Loop: Header=BB358_690 Depth=1
	v_cmp_ne_u16_sdwa s[4:5], v6, s31 src0_sel:BYTE_0 src1_sel:DWORD
	v_bfrev_b32_e32 v10, 1
	s_and_saveexec_b64 s[26:27], s[4:5]
	s_cbranch_execz .LBB358_1358
; %bb.1355:                             ;   in Loop: Header=BB358_690 Depth=1
	v_bfe_u32 v29, v3, 16, 7
	v_cmp_ne_u32_e64 s[4:5], s34, v29
	v_mov_b32_e32 v10, 0x7f800001
	s_and_saveexec_b64 s[28:29], s[4:5]
	s_cbranch_execz .LBB358_1357
; %bb.1356:                             ;   in Loop: Header=BB358_690 Depth=1
	v_and_b32_e32 v10, 7, v6
	v_ffbh_u32_e32 v13, v10
	v_min_u32_e32 v13, 32, v13
	v_subrev_u32_e32 v23, 28, v13
	v_lshlrev_b64 v[32:33], v23, v[6:7]
	v_lshrrev_b32_e32 v12, 3, v29
	v_sub_u32_e32 v13, 29, v13
	v_and_b32_e32 v23, 7, v32
	v_cmp_gt_u32_e64 s[4:5], 8, v29
	v_cndmask_b32_e64 v12, v12, v13, s[4:5]
	v_cndmask_b32_e64 v10, v10, v23, s[4:5]
	v_lshlrev_b32_e32 v6, 24, v6
	v_bfrev_b32_e32 v13, 60
	v_lshlrev_b32_e32 v10, 20, v10
	v_and_b32_e32 v6, 0x80000000, v6
	v_lshl_add_u32 v12, v12, 23, v13
	v_accvgpr_read_b32 v23, a32
	v_or3_b32 v10, v6, v12, v10
.LBB358_1357:                           ;   in Loop: Header=BB358_690 Depth=1
	s_or_b64 exec, exec, s[28:29]
.LBB358_1358:                           ;   in Loop: Header=BB358_690 Depth=1
	s_or_b64 exec, exec, s[26:27]
.LBB358_1359:                           ;   in Loop: Header=BB358_690 Depth=1
	s_or_b64 exec, exec, s[24:25]
	v_mul_f32_e32 v6, v7, v10
	v_and_b32_e32 v10, 0x7f800000, v6
	v_cmp_ne_u32_e64 s[4:5], s15, v10
                                        ; implicit-def: $vgpr29
	s_and_saveexec_b64 s[24:25], s[4:5]
	s_xor_b64 s[4:5], exec, s[24:25]
; %bb.1360:                             ;   in Loop: Header=BB358_690 Depth=1
	v_bfe_u32 v10, v6, 16, 1
	v_add3_u32 v29, v6, v10, s30
                                        ; implicit-def: $vgpr6
; %bb.1361:                             ;   in Loop: Header=BB358_690 Depth=1
	s_andn2_saveexec_b64 s[24:25], s[4:5]
; %bb.1362:                             ;   in Loop: Header=BB358_690 Depth=1
	v_or_b32_e32 v10, 0x10000, v6
	v_cmp_eq_u32_sdwa s[4:5], v6, v11 src0_sel:WORD_0 src1_sel:DWORD
	v_cndmask_b32_e64 v29, v10, v6, s[4:5]
; %bb.1363:                             ;   in Loop: Header=BB358_690 Depth=1
	s_or_b64 exec, exec, s[24:25]
	v_cmp_lt_u64_e64 s[4:5], s[10:11], v[2:3]
	v_mov_b32_e32 v6, 0
	s_and_saveexec_b64 s[24:25], s[4:5]
	s_cbranch_execz .LBB358_1369
; %bb.1364:                             ;   in Loop: Header=BB358_690 Depth=1
	v_lshrrev_b32_e32 v2, 24, v3
	v_cmp_ne_u32_e64 s[4:5], s31, v2
	v_bfrev_b32_e32 v6, 1
	s_and_saveexec_b64 s[26:27], s[4:5]
	s_cbranch_execz .LBB358_1368
; %bb.1365:                             ;   in Loop: Header=BB358_690 Depth=1
	v_bfe_u32 v3, v3, 24, 7
	v_cmp_ne_u32_e64 s[4:5], s34, v3
	v_mov_b32_e32 v6, 0x7f800001
	s_and_saveexec_b64 s[28:29], s[4:5]
	s_cbranch_execz .LBB358_1367
; %bb.1366:                             ;   in Loop: Header=BB358_690 Depth=1
	v_and_b32_e32 v6, 7, v2
	v_ffbh_u32_e32 v12, v6
	v_min_u32_e32 v12, 32, v12
	v_subrev_u32_e32 v13, 28, v12
	v_lshlrev_b64 v[32:33], v13, v[2:3]
	v_lshrrev_b32_e32 v10, 3, v3
	v_sub_u32_e32 v12, 29, v12
	v_and_b32_e32 v13, 7, v32
	v_cmp_gt_u32_e64 s[4:5], 8, v3
	v_cndmask_b32_e64 v3, v10, v12, s[4:5]
	v_cndmask_b32_e64 v6, v6, v13, s[4:5]
	v_lshlrev_b32_e32 v2, 24, v2
	v_bfrev_b32_e32 v10, 60
	v_lshlrev_b32_e32 v6, 20, v6
	v_and_b32_e32 v2, 0x80000000, v2
	v_lshl_add_u32 v3, v3, 23, v10
	v_or3_b32 v6, v2, v3, v6
.LBB358_1367:                           ;   in Loop: Header=BB358_690 Depth=1
	s_or_b64 exec, exec, s[28:29]
.LBB358_1368:                           ;   in Loop: Header=BB358_690 Depth=1
	s_or_b64 exec, exec, s[26:27]
.LBB358_1369:                           ;   in Loop: Header=BB358_690 Depth=1
	s_or_b64 exec, exec, s[24:25]
	v_mul_f32_e32 v3, v7, v6
	v_and_b32_e32 v2, 0x7f800000, v3
	v_cmp_ne_u32_e64 s[4:5], s15, v2
                                        ; implicit-def: $vgpr2
	s_and_saveexec_b64 s[24:25], s[4:5]
	s_xor_b64 s[4:5], exec, s[24:25]
; %bb.1370:                             ;   in Loop: Header=BB358_690 Depth=1
	v_bfe_u32 v2, v3, 16, 1
	v_add3_u32 v2, v3, v2, s30
                                        ; implicit-def: $vgpr3
; %bb.1371:                             ;   in Loop: Header=BB358_690 Depth=1
	s_andn2_saveexec_b64 s[24:25], s[4:5]
; %bb.1372:                             ;   in Loop: Header=BB358_690 Depth=1
	v_or_b32_e32 v2, 0x10000, v3
	v_cmp_eq_u32_sdwa s[4:5], v3, v11 src0_sel:WORD_0 src1_sel:DWORD
	v_cndmask_b32_e64 v2, v2, v3, s[4:5]
; %bb.1373:                             ;   in Loop: Header=BB358_690 Depth=1
	s_or_b64 exec, exec, s[24:25]
	v_lshrrev_b32_e32 v5, 16, v5
	v_lshrrev_b32_e32 v6, 16, v22
	;; [unrolled: 1-line block ×8, first 2 shown]
	s_and_saveexec_b64 s[24:25], vcc
	s_cbranch_execz .LBB358_1375
; %bb.1374:                             ;   in Loop: Header=BB358_690 Depth=1
	buffer_load_dword v12, off, s[0:3], s32 offset:196 ; 4-byte Folded Reload
	v_accvgpr_read_b32 v13, a38
	s_waitcnt vmcnt(0)
	v_cmp_lt_i32_e64 s[4:5], v53, v12
	v_cndmask_b32_e64 v8, 0, v8, s[4:5]
	v_cmp_lt_i32_e64 s[4:5], v13, v12
	v_accvgpr_read_b32 v13, a37
	v_cndmask_b32_e64 v9, 0, v9, s[4:5]
	v_cmp_lt_i32_e64 s[4:5], v13, v12
	v_accvgpr_read_b32 v13, a36
	;; [unrolled: 3-line block ×5, first 2 shown]
	v_cndmask_b32_e64 v5, 0, v5, s[4:5]
	v_cmp_lt_i32_e64 s[4:5], v13, v12
	v_cndmask_b32_e64 v3, 0, v3, s[4:5]
	v_cmp_lt_i32_e64 s[4:5], v23, v12
	v_cndmask_b32_e64 v2, 0, v2, s[4:5]
.LBB358_1375:                           ;   in Loop: Header=BB358_690 Depth=1
	s_or_b64 exec, exec, s[24:25]
	v_lshlrev_b32_e32 v8, 16, v8
	v_mul_f32_e32 v8, v56, v8
	v_and_b32_e32 v12, 0x7f800000, v8
	v_cmp_ne_u32_e64 s[4:5], s15, v12
                                        ; implicit-def: $vgpr42
	s_and_saveexec_b64 s[24:25], s[4:5]
	s_xor_b64 s[4:5], exec, s[24:25]
; %bb.1376:                             ;   in Loop: Header=BB358_690 Depth=1
	v_bfe_u32 v12, v8, 16, 1
	v_add3_u32 v42, v8, v12, s30
                                        ; implicit-def: $vgpr8
; %bb.1377:                             ;   in Loop: Header=BB358_690 Depth=1
	s_andn2_saveexec_b64 s[24:25], s[4:5]
; %bb.1378:                             ;   in Loop: Header=BB358_690 Depth=1
	v_or_b32_e32 v12, 0x10000, v8
	v_cmp_eq_u32_sdwa s[4:5], v8, v11 src0_sel:WORD_0 src1_sel:DWORD
	v_cndmask_b32_e64 v42, v12, v8, s[4:5]
; %bb.1379:                             ;   in Loop: Header=BB358_690 Depth=1
	s_or_b64 exec, exec, s[24:25]
	v_lshlrev_b32_e32 v8, 16, v9
	v_mul_f32_e32 v8, v57, v8
	v_and_b32_e32 v9, 0x7f800000, v8
	v_cmp_ne_u32_e64 s[4:5], s15, v9
                                        ; implicit-def: $vgpr43
	s_and_saveexec_b64 s[24:25], s[4:5]
	s_xor_b64 s[4:5], exec, s[24:25]
; %bb.1380:                             ;   in Loop: Header=BB358_690 Depth=1
	v_bfe_u32 v9, v8, 16, 1
	v_add3_u32 v43, v8, v9, s30
                                        ; implicit-def: $vgpr8
; %bb.1381:                             ;   in Loop: Header=BB358_690 Depth=1
	s_andn2_saveexec_b64 s[24:25], s[4:5]
; %bb.1382:                             ;   in Loop: Header=BB358_690 Depth=1
	v_or_b32_e32 v9, 0x10000, v8
	v_cmp_eq_u32_sdwa s[4:5], v8, v11 src0_sel:WORD_0 src1_sel:DWORD
	v_cndmask_b32_e64 v43, v9, v8, s[4:5]
; %bb.1383:                             ;   in Loop: Header=BB358_690 Depth=1
	s_or_b64 exec, exec, s[24:25]
	v_lshlrev_b32_e32 v8, 16, v20
	v_mul_f32_e32 v8, v58, v8
	v_and_b32_e32 v9, 0x7f800000, v8
	v_cmp_ne_u32_e64 s[4:5], s15, v9
                                        ; implicit-def: $vgpr44
	s_and_saveexec_b64 s[24:25], s[4:5]
	s_xor_b64 s[4:5], exec, s[24:25]
; %bb.1384:                             ;   in Loop: Header=BB358_690 Depth=1
	v_bfe_u32 v9, v8, 16, 1
	v_add3_u32 v44, v8, v9, s30
                                        ; implicit-def: $vgpr8
; %bb.1385:                             ;   in Loop: Header=BB358_690 Depth=1
	s_andn2_saveexec_b64 s[24:25], s[4:5]
; %bb.1386:                             ;   in Loop: Header=BB358_690 Depth=1
	v_or_b32_e32 v9, 0x10000, v8
	v_cmp_eq_u32_sdwa s[4:5], v8, v11 src0_sel:WORD_0 src1_sel:DWORD
	v_cndmask_b32_e64 v44, v9, v8, s[4:5]
; %bb.1387:                             ;   in Loop: Header=BB358_690 Depth=1
	s_or_b64 exec, exec, s[24:25]
	v_lshlrev_b32_e32 v8, 16, v10
	v_mul_f32_e32 v8, v60, v8
	v_and_b32_e32 v9, 0x7f800000, v8
	v_cmp_ne_u32_e64 s[4:5], s15, v9
                                        ; implicit-def: $vgpr46
	s_and_saveexec_b64 s[24:25], s[4:5]
	s_xor_b64 s[4:5], exec, s[24:25]
; %bb.1388:                             ;   in Loop: Header=BB358_690 Depth=1
	v_bfe_u32 v9, v8, 16, 1
	v_add3_u32 v46, v8, v9, s30
                                        ; implicit-def: $vgpr8
; %bb.1389:                             ;   in Loop: Header=BB358_690 Depth=1
	s_andn2_saveexec_b64 s[24:25], s[4:5]
; %bb.1390:                             ;   in Loop: Header=BB358_690 Depth=1
	v_or_b32_e32 v9, 0x10000, v8
	v_cmp_eq_u32_sdwa s[4:5], v8, v11 src0_sel:WORD_0 src1_sel:DWORD
	v_cndmask_b32_e64 v46, v9, v8, s[4:5]
; %bb.1391:                             ;   in Loop: Header=BB358_690 Depth=1
	s_or_b64 exec, exec, s[24:25]
	v_lshlrev_b32_e32 v6, 16, v6
	v_mul_f32_e32 v6, v36, v6
	v_and_b32_e32 v8, 0x7f800000, v6
	v_cmp_ne_u32_e64 s[4:5], s15, v8
                                        ; implicit-def: $vgpr47
	s_and_saveexec_b64 s[24:25], s[4:5]
	s_xor_b64 s[4:5], exec, s[24:25]
; %bb.1392:                             ;   in Loop: Header=BB358_690 Depth=1
	v_bfe_u32 v8, v6, 16, 1
	v_add3_u32 v47, v6, v8, s30
                                        ; implicit-def: $vgpr6
; %bb.1393:                             ;   in Loop: Header=BB358_690 Depth=1
	s_andn2_saveexec_b64 s[24:25], s[4:5]
; %bb.1394:                             ;   in Loop: Header=BB358_690 Depth=1
	v_or_b32_e32 v8, 0x10000, v6
	v_cmp_eq_u32_sdwa s[4:5], v6, v11 src0_sel:WORD_0 src1_sel:DWORD
	v_cndmask_b32_e64 v47, v8, v6, s[4:5]
; %bb.1395:                             ;   in Loop: Header=BB358_690 Depth=1
	s_or_b64 exec, exec, s[24:25]
	v_lshlrev_b32_e32 v5, 16, v5
	v_mul_f32_e32 v5, v41, v5
	v_and_b32_e32 v6, 0x7f800000, v5
	v_cmp_ne_u32_e64 s[4:5], s15, v6
                                        ; implicit-def: $vgpr62
	s_and_saveexec_b64 s[24:25], s[4:5]
	s_xor_b64 s[4:5], exec, s[24:25]
; %bb.1396:                             ;   in Loop: Header=BB358_690 Depth=1
	v_bfe_u32 v6, v5, 16, 1
	v_add3_u32 v62, v5, v6, s30
                                        ; implicit-def: $vgpr5
; %bb.1397:                             ;   in Loop: Header=BB358_690 Depth=1
	s_andn2_saveexec_b64 s[24:25], s[4:5]
; %bb.1398:                             ;   in Loop: Header=BB358_690 Depth=1
	v_or_b32_e32 v6, 0x10000, v5
	v_cmp_eq_u32_sdwa s[4:5], v5, v11 src0_sel:WORD_0 src1_sel:DWORD
	v_cndmask_b32_e64 v62, v6, v5, s[4:5]
; %bb.1399:                             ;   in Loop: Header=BB358_690 Depth=1
	s_or_b64 exec, exec, s[24:25]
	v_lshlrev_b32_e32 v3, 16, v3
	v_mul_f32_e32 v3, v34, v3
	v_and_b32_e32 v5, 0x7f800000, v3
	v_cmp_ne_u32_e64 s[4:5], s15, v5
                                        ; implicit-def: $vgpr32
	s_and_saveexec_b64 s[24:25], s[4:5]
	s_xor_b64 s[4:5], exec, s[24:25]
; %bb.1400:                             ;   in Loop: Header=BB358_690 Depth=1
	v_bfe_u32 v5, v3, 16, 1
	v_add3_u32 v32, v3, v5, s30
                                        ; implicit-def: $vgpr3
; %bb.1401:                             ;   in Loop: Header=BB358_690 Depth=1
	s_andn2_saveexec_b64 s[24:25], s[4:5]
; %bb.1402:                             ;   in Loop: Header=BB358_690 Depth=1
	v_or_b32_e32 v5, 0x10000, v3
	v_cmp_eq_u32_sdwa s[4:5], v3, v11 src0_sel:WORD_0 src1_sel:DWORD
	v_cndmask_b32_e64 v32, v5, v3, s[4:5]
; %bb.1403:                             ;   in Loop: Header=BB358_690 Depth=1
	s_or_b64 exec, exec, s[24:25]
	v_lshlrev_b32_e32 v2, 16, v2
	v_mul_f32_e32 v2, v31, v2
	v_and_b32_e32 v3, 0x7f800000, v2
	v_cmp_ne_u32_e64 s[4:5], s15, v3
                                        ; implicit-def: $vgpr33
	s_and_saveexec_b64 s[24:25], s[4:5]
	s_xor_b64 s[4:5], exec, s[24:25]
; %bb.1404:                             ;   in Loop: Header=BB358_690 Depth=1
	v_bfe_u32 v3, v2, 16, 1
	v_add3_u32 v33, v2, v3, s30
                                        ; implicit-def: $vgpr2
; %bb.1405:                             ;   in Loop: Header=BB358_690 Depth=1
	s_andn2_saveexec_b64 s[24:25], s[4:5]
; %bb.1406:                             ;   in Loop: Header=BB358_690 Depth=1
	v_or_b32_e32 v3, 0x10000, v2
	v_cmp_eq_u32_sdwa s[4:5], v2, v11 src0_sel:WORD_0 src1_sel:DWORD
	v_cndmask_b32_e64 v33, v3, v2, s[4:5]
; %bb.1407:                             ;   in Loop: Header=BB358_690 Depth=1
	s_or_b64 exec, exec, s[24:25]
	flat_load_dwordx2 v[2:3], v[0:1] offset:3072
	v_mov_b32_e32 v5, 0
	s_waitcnt vmcnt(0) lgkmcnt(0)
	v_cmp_ne_u16_sdwa s[4:5], v2, v11 src0_sel:BYTE_0 src1_sel:DWORD
	s_and_saveexec_b64 s[24:25], s[4:5]
	s_cbranch_execz .LBB358_1413
; %bb.1408:                             ;   in Loop: Header=BB358_690 Depth=1
	v_cmp_ne_u16_sdwa s[4:5], v2, s31 src0_sel:BYTE_0 src1_sel:DWORD
	v_bfrev_b32_e32 v5, 1
	s_and_saveexec_b64 s[26:27], s[4:5]
	s_cbranch_execz .LBB358_1412
; %bb.1409:                             ;   in Loop: Header=BB358_690 Depth=1
	v_and_b32_e32 v6, 0x7f, v2
	v_cmp_ne_u32_e64 s[4:5], s34, v6
	v_mov_b32_e32 v5, 0x7f800001
	s_and_saveexec_b64 s[28:29], s[4:5]
	s_cbranch_execz .LBB358_1411
; %bb.1410:                             ;   in Loop: Header=BB358_690 Depth=1
	v_and_b32_e32 v5, 7, v2
	v_ffbh_u32_e32 v5, v5
	v_min_u32_e32 v5, 32, v5
	v_subrev_u32_e32 v9, 28, v5
	v_cmp_gt_u32_e64 s[4:5], 8, v6
	v_lshrrev_b32_e32 v8, 3, v6
	v_sub_u32_e32 v5, 29, v5
	v_cndmask_b32_e64 v6, 0, v9, s[4:5]
	v_cndmask_b32_e64 v5, v8, v5, s[4:5]
	v_lshlrev_b64 v[8:9], v6, v[2:3]
	v_lshlrev_b32_e32 v6, 20, v8
	v_lshlrev_b32_e32 v8, 24, v2
	v_bfrev_b32_e32 v9, 60
	v_and_b32_e32 v6, 0x700000, v6
	v_and_b32_e32 v8, 0x80000000, v8
	v_lshl_add_u32 v5, v5, 23, v9
	v_or3_b32 v5, v8, v5, v6
.LBB358_1411:                           ;   in Loop: Header=BB358_690 Depth=1
	s_or_b64 exec, exec, s[28:29]
.LBB358_1412:                           ;   in Loop: Header=BB358_690 Depth=1
	s_or_b64 exec, exec, s[26:27]
.LBB358_1413:                           ;   in Loop: Header=BB358_690 Depth=1
	s_or_b64 exec, exec, s[24:25]
	v_mul_f32_e32 v5, v7, v5
	v_and_b32_e32 v6, 0x7f800000, v5
	v_cmp_ne_u32_e64 s[4:5], s15, v6
                                        ; implicit-def: $vgpr8
	s_and_saveexec_b64 s[24:25], s[4:5]
	s_xor_b64 s[4:5], exec, s[24:25]
; %bb.1414:                             ;   in Loop: Header=BB358_690 Depth=1
	v_bfe_u32 v6, v5, 16, 1
	v_add3_u32 v8, v5, v6, s30
                                        ; implicit-def: $vgpr5
; %bb.1415:                             ;   in Loop: Header=BB358_690 Depth=1
	s_andn2_saveexec_b64 s[24:25], s[4:5]
; %bb.1416:                             ;   in Loop: Header=BB358_690 Depth=1
	v_or_b32_e32 v6, 0x10000, v5
	v_cmp_eq_u32_sdwa s[4:5], v5, v11 src0_sel:WORD_0 src1_sel:DWORD
	v_cndmask_b32_e64 v8, v6, v5, s[4:5]
; %bb.1417:                             ;   in Loop: Header=BB358_690 Depth=1
	s_or_b64 exec, exec, s[24:25]
	v_lshrrev_b16_e32 v6, 8, v2
	v_cmp_ne_u16_e64 s[4:5], 0, v6
	v_mov_b32_e32 v5, 0
	s_and_saveexec_b64 s[24:25], s[4:5]
	s_cbranch_execz .LBB358_1423
; %bb.1418:                             ;   in Loop: Header=BB358_690 Depth=1
	v_cmp_ne_u16_e64 s[4:5], s31, v6
	v_bfrev_b32_e32 v5, 1
	s_and_saveexec_b64 s[26:27], s[4:5]
	s_cbranch_execz .LBB358_1422
; %bb.1419:                             ;   in Loop: Header=BB358_690 Depth=1
	v_and_b32_e32 v9, 0x7f, v6
	v_cmp_ne_u32_e64 s[4:5], s34, v9
	v_mov_b32_e32 v5, 0x7f800001
	s_and_saveexec_b64 s[28:29], s[4:5]
	s_cbranch_execz .LBB358_1421
; %bb.1420:                             ;   in Loop: Header=BB358_690 Depth=1
	v_and_b32_e32 v5, 7, v6
	v_ffbh_u32_e32 v12, v5
	v_min_u32_e32 v12, 32, v12
	v_subrev_u32_e32 v13, 28, v12
	v_lshlrev_b64 v[20:21], v13, v[6:7]
	v_lshrrev_b32_e32 v10, 3, v9
	v_sub_u32_e32 v6, 29, v12
	v_and_b32_e32 v12, 7, v20
	v_cmp_gt_u32_e64 s[4:5], 8, v9
	v_cndmask_b32_e64 v6, v10, v6, s[4:5]
	v_cndmask_b32_e64 v5, v5, v12, s[4:5]
	v_lshlrev_b32_e32 v9, 16, v2
	v_bfrev_b32_e32 v10, 60
	v_lshlrev_b32_e32 v5, 20, v5
	v_and_b32_e32 v9, 0x80000000, v9
	v_lshl_add_u32 v6, v6, 23, v10
	v_or3_b32 v5, v9, v6, v5
.LBB358_1421:                           ;   in Loop: Header=BB358_690 Depth=1
	s_or_b64 exec, exec, s[28:29]
.LBB358_1422:                           ;   in Loop: Header=BB358_690 Depth=1
	s_or_b64 exec, exec, s[26:27]
.LBB358_1423:                           ;   in Loop: Header=BB358_690 Depth=1
	s_or_b64 exec, exec, s[24:25]
	v_mul_f32_e32 v5, v7, v5
	v_and_b32_e32 v6, 0x7f800000, v5
	v_cmp_ne_u32_e64 s[4:5], s15, v6
                                        ; implicit-def: $vgpr9
	s_and_saveexec_b64 s[24:25], s[4:5]
	s_xor_b64 s[4:5], exec, s[24:25]
; %bb.1424:                             ;   in Loop: Header=BB358_690 Depth=1
	v_bfe_u32 v6, v5, 16, 1
	v_add3_u32 v9, v5, v6, s30
                                        ; implicit-def: $vgpr5
; %bb.1425:                             ;   in Loop: Header=BB358_690 Depth=1
	s_andn2_saveexec_b64 s[24:25], s[4:5]
; %bb.1426:                             ;   in Loop: Header=BB358_690 Depth=1
	v_or_b32_e32 v6, 0x10000, v5
	v_cmp_eq_u32_sdwa s[4:5], v5, v11 src0_sel:WORD_0 src1_sel:DWORD
	v_cndmask_b32_e64 v9, v6, v5, s[4:5]
; %bb.1427:                             ;   in Loop: Header=BB358_690 Depth=1
	s_or_b64 exec, exec, s[24:25]
	v_lshrrev_b32_e32 v6, 16, v2
	v_cmp_ne_u16_sdwa s[4:5], v6, v11 src0_sel:BYTE_0 src1_sel:DWORD
	v_mov_b32_e32 v5, 0
	s_and_saveexec_b64 s[24:25], s[4:5]
	s_cbranch_execz .LBB358_1433
; %bb.1428:                             ;   in Loop: Header=BB358_690 Depth=1
	v_cmp_ne_u16_sdwa s[4:5], v6, s31 src0_sel:BYTE_0 src1_sel:DWORD
	v_bfrev_b32_e32 v5, 1
	s_and_saveexec_b64 s[26:27], s[4:5]
	s_cbranch_execz .LBB358_1432
; %bb.1429:                             ;   in Loop: Header=BB358_690 Depth=1
	v_bfe_u32 v10, v2, 16, 7
	v_cmp_ne_u32_e64 s[4:5], s34, v10
	v_mov_b32_e32 v5, 0x7f800001
	s_and_saveexec_b64 s[28:29], s[4:5]
	s_cbranch_execz .LBB358_1431
; %bb.1430:                             ;   in Loop: Header=BB358_690 Depth=1
	v_and_b32_e32 v5, 7, v6
	v_ffbh_u32_e32 v13, v5
	v_min_u32_e32 v13, 32, v13
	v_subrev_u32_e32 v20, 28, v13
	v_lshlrev_b64 v[20:21], v20, v[6:7]
	v_lshrrev_b32_e32 v12, 3, v10
	v_sub_u32_e32 v13, 29, v13
	v_and_b32_e32 v20, 7, v20
	v_cmp_gt_u32_e64 s[4:5], 8, v10
	v_cndmask_b32_e64 v10, v12, v13, s[4:5]
	v_cndmask_b32_e64 v5, v5, v20, s[4:5]
	v_lshlrev_b32_e32 v6, 24, v6
	v_bfrev_b32_e32 v12, 60
	v_lshlrev_b32_e32 v5, 20, v5
	v_and_b32_e32 v6, 0x80000000, v6
	v_lshl_add_u32 v10, v10, 23, v12
	v_or3_b32 v5, v6, v10, v5
.LBB358_1431:                           ;   in Loop: Header=BB358_690 Depth=1
	s_or_b64 exec, exec, s[28:29]
.LBB358_1432:                           ;   in Loop: Header=BB358_690 Depth=1
	s_or_b64 exec, exec, s[26:27]
.LBB358_1433:                           ;   in Loop: Header=BB358_690 Depth=1
	s_or_b64 exec, exec, s[24:25]
	v_mul_f32_e32 v5, v7, v5
	v_and_b32_e32 v6, 0x7f800000, v5
	v_cmp_ne_u32_e64 s[4:5], s15, v6
                                        ; implicit-def: $vgpr20
	s_and_saveexec_b64 s[24:25], s[4:5]
	s_xor_b64 s[4:5], exec, s[24:25]
; %bb.1434:                             ;   in Loop: Header=BB358_690 Depth=1
	v_bfe_u32 v6, v5, 16, 1
	v_add3_u32 v20, v5, v6, s30
                                        ; implicit-def: $vgpr5
; %bb.1435:                             ;   in Loop: Header=BB358_690 Depth=1
	s_andn2_saveexec_b64 s[24:25], s[4:5]
; %bb.1436:                             ;   in Loop: Header=BB358_690 Depth=1
	v_or_b32_e32 v6, 0x10000, v5
	v_cmp_eq_u32_sdwa s[4:5], v5, v11 src0_sel:WORD_0 src1_sel:DWORD
	v_cndmask_b32_e64 v20, v6, v5, s[4:5]
; %bb.1437:                             ;   in Loop: Header=BB358_690 Depth=1
	s_or_b64 exec, exec, s[24:25]
	v_cmp_lt_u32_e64 s[4:5], s11, v2
	v_mov_b32_e32 v5, 0
	s_and_saveexec_b64 s[24:25], s[4:5]
	s_cbranch_execz .LBB358_1443
; %bb.1438:                             ;   in Loop: Header=BB358_690 Depth=1
	v_lshrrev_b32_e32 v6, 24, v2
	v_cmp_ne_u32_e64 s[4:5], s31, v6
	v_bfrev_b32_e32 v5, 1
	s_and_saveexec_b64 s[26:27], s[4:5]
	s_cbranch_execz .LBB358_1442
; %bb.1439:                             ;   in Loop: Header=BB358_690 Depth=1
	v_bfe_u32 v10, v2, 24, 7
	v_cmp_ne_u32_e64 s[4:5], s34, v10
	v_mov_b32_e32 v5, 0x7f800001
	s_and_saveexec_b64 s[28:29], s[4:5]
	s_cbranch_execz .LBB358_1441
; %bb.1440:                             ;   in Loop: Header=BB358_690 Depth=1
	v_and_b32_e32 v5, 7, v6
	v_ffbh_u32_e32 v13, v5
	v_min_u32_e32 v13, 32, v13
	v_subrev_u32_e32 v21, 28, v13
	v_lshlrev_b64 v[48:49], v21, v[6:7]
	v_lshrrev_b32_e32 v12, 3, v10
	v_sub_u32_e32 v13, 29, v13
	v_and_b32_e32 v21, 7, v48
	v_cmp_gt_u32_e64 s[4:5], 8, v10
	v_cndmask_b32_e64 v10, v12, v13, s[4:5]
	v_cndmask_b32_e64 v5, v5, v21, s[4:5]
	v_lshlrev_b32_e32 v6, 24, v6
	v_bfrev_b32_e32 v12, 60
	v_lshlrev_b32_e32 v5, 20, v5
	v_and_b32_e32 v6, 0x80000000, v6
	v_lshl_add_u32 v10, v10, 23, v12
	v_or3_b32 v5, v6, v10, v5
.LBB358_1441:                           ;   in Loop: Header=BB358_690 Depth=1
	s_or_b64 exec, exec, s[28:29]
.LBB358_1442:                           ;   in Loop: Header=BB358_690 Depth=1
	s_or_b64 exec, exec, s[26:27]
.LBB358_1443:                           ;   in Loop: Header=BB358_690 Depth=1
	s_or_b64 exec, exec, s[24:25]
	v_mul_f32_e32 v5, v7, v5
	v_and_b32_e32 v6, 0x7f800000, v5
	v_cmp_ne_u32_e64 s[4:5], s15, v6
                                        ; implicit-def: $vgpr21
	s_and_saveexec_b64 s[24:25], s[4:5]
	s_xor_b64 s[4:5], exec, s[24:25]
; %bb.1444:                             ;   in Loop: Header=BB358_690 Depth=1
	v_bfe_u32 v6, v5, 16, 1
	v_add3_u32 v21, v5, v6, s30
                                        ; implicit-def: $vgpr5
; %bb.1445:                             ;   in Loop: Header=BB358_690 Depth=1
	s_andn2_saveexec_b64 s[24:25], s[4:5]
; %bb.1446:                             ;   in Loop: Header=BB358_690 Depth=1
	v_or_b32_e32 v6, 0x10000, v5
	v_cmp_eq_u32_sdwa s[4:5], v5, v11 src0_sel:WORD_0 src1_sel:DWORD
	v_cndmask_b32_e64 v21, v6, v5, s[4:5]
; %bb.1447:                             ;   in Loop: Header=BB358_690 Depth=1
	s_or_b64 exec, exec, s[24:25]
	v_mov_b32_e32 v10, v3
	v_cmp_ne_u16_sdwa s[4:5], v3, v11 src0_sel:BYTE_0 src1_sel:DWORD
	v_mov_b32_e32 v5, 0
	s_and_saveexec_b64 s[24:25], s[4:5]
	s_cbranch_execz .LBB358_1453
; %bb.1448:                             ;   in Loop: Header=BB358_690 Depth=1
	v_cmp_ne_u16_sdwa s[4:5], v3, s31 src0_sel:BYTE_0 src1_sel:DWORD
	v_bfrev_b32_e32 v5, 1
	s_and_saveexec_b64 s[26:27], s[4:5]
	s_cbranch_execz .LBB358_1452
; %bb.1449:                             ;   in Loop: Header=BB358_690 Depth=1
	v_and_b32_e32 v6, 0x7f, v3
	v_cmp_ne_u32_e64 s[4:5], s34, v6
	v_mov_b32_e32 v5, 0x7f800001
	s_and_saveexec_b64 s[28:29], s[4:5]
	s_cbranch_execz .LBB358_1451
; %bb.1450:                             ;   in Loop: Header=BB358_690 Depth=1
	v_and_b32_e32 v5, 7, v3
	v_ffbh_u32_e32 v5, v5
	v_min_u32_e32 v5, 32, v5
	v_subrev_u32_e32 v13, 28, v5
	v_cmp_gt_u32_e64 s[4:5], 8, v6
	v_lshrrev_b32_e32 v12, 3, v6
	v_cndmask_b32_e64 v6, 0, v13, s[4:5]
	v_sub_u32_e32 v5, 29, v5
	v_lshlrev_b64 v[48:49], v6, v[10:11]
	v_cndmask_b32_e64 v5, v12, v5, s[4:5]
	v_lshlrev_b32_e32 v6, 20, v48
	v_lshlrev_b32_e32 v12, 24, v10
	v_bfrev_b32_e32 v13, 60
	v_and_b32_e32 v6, 0x700000, v6
	v_and_b32_e32 v12, 0x80000000, v12
	v_lshl_add_u32 v5, v5, 23, v13
	v_or3_b32 v5, v12, v5, v6
.LBB358_1451:                           ;   in Loop: Header=BB358_690 Depth=1
	s_or_b64 exec, exec, s[28:29]
.LBB358_1452:                           ;   in Loop: Header=BB358_690 Depth=1
	s_or_b64 exec, exec, s[26:27]
.LBB358_1453:                           ;   in Loop: Header=BB358_690 Depth=1
	s_or_b64 exec, exec, s[24:25]
	v_mul_f32_e32 v5, v7, v5
	v_and_b32_e32 v6, 0x7f800000, v5
	v_cmp_ne_u32_e64 s[4:5], s15, v6
                                        ; implicit-def: $vgpr22
	s_and_saveexec_b64 s[24:25], s[4:5]
	s_xor_b64 s[4:5], exec, s[24:25]
; %bb.1454:                             ;   in Loop: Header=BB358_690 Depth=1
	v_bfe_u32 v6, v5, 16, 1
	v_add3_u32 v22, v5, v6, s30
                                        ; implicit-def: $vgpr5
; %bb.1455:                             ;   in Loop: Header=BB358_690 Depth=1
	s_andn2_saveexec_b64 s[24:25], s[4:5]
; %bb.1456:                             ;   in Loop: Header=BB358_690 Depth=1
	v_or_b32_e32 v6, 0x10000, v5
	v_cmp_eq_u32_sdwa s[4:5], v5, v11 src0_sel:WORD_0 src1_sel:DWORD
	v_cndmask_b32_e64 v22, v6, v5, s[4:5]
; %bb.1457:                             ;   in Loop: Header=BB358_690 Depth=1
	s_or_b64 exec, exec, s[24:25]
	v_lshrrev_b16_e32 v6, 8, v10
	v_cmp_ne_u16_e64 s[4:5], 0, v6
	v_mov_b32_e32 v5, 0
	s_and_saveexec_b64 s[24:25], s[4:5]
	s_cbranch_execz .LBB358_1463
; %bb.1458:                             ;   in Loop: Header=BB358_690 Depth=1
	v_cmp_ne_u16_e64 s[4:5], s31, v6
	v_bfrev_b32_e32 v5, 1
	s_and_saveexec_b64 s[26:27], s[4:5]
	s_cbranch_execz .LBB358_1462
; %bb.1459:                             ;   in Loop: Header=BB358_690 Depth=1
	v_and_b32_e32 v29, 0x7f, v6
	v_cmp_ne_u32_e64 s[4:5], s34, v29
	v_mov_b32_e32 v5, 0x7f800001
	s_and_saveexec_b64 s[28:29], s[4:5]
	s_cbranch_execz .LBB358_1461
; %bb.1460:                             ;   in Loop: Header=BB358_690 Depth=1
	v_and_b32_e32 v5, 7, v6
	v_ffbh_u32_e32 v13, v5
	v_min_u32_e32 v13, 32, v13
	v_subrev_u32_e32 v23, 28, v13
	v_lshlrev_b64 v[48:49], v23, v[6:7]
	v_lshrrev_b32_e32 v12, 3, v29
	v_sub_u32_e32 v6, 29, v13
	v_and_b32_e32 v13, 7, v48
	v_cmp_gt_u32_e64 s[4:5], 8, v29
	v_cndmask_b32_e64 v6, v12, v6, s[4:5]
	v_cndmask_b32_e64 v5, v5, v13, s[4:5]
	v_lshlrev_b32_e32 v10, 16, v10
	v_bfrev_b32_e32 v12, 60
	v_lshlrev_b32_e32 v5, 20, v5
	v_and_b32_e32 v10, 0x80000000, v10
	v_lshl_add_u32 v6, v6, 23, v12
	v_accvgpr_read_b32 v23, a32
	v_or3_b32 v5, v10, v6, v5
.LBB358_1461:                           ;   in Loop: Header=BB358_690 Depth=1
	s_or_b64 exec, exec, s[28:29]
.LBB358_1462:                           ;   in Loop: Header=BB358_690 Depth=1
	s_or_b64 exec, exec, s[26:27]
.LBB358_1463:                           ;   in Loop: Header=BB358_690 Depth=1
	s_or_b64 exec, exec, s[24:25]
	v_mul_f32_e32 v6, v7, v5
	v_and_b32_e32 v5, 0x7f800000, v6
	v_cmp_ne_u32_e64 s[4:5], s15, v5
                                        ; implicit-def: $vgpr5
	s_and_saveexec_b64 s[24:25], s[4:5]
	s_xor_b64 s[4:5], exec, s[24:25]
; %bb.1464:                             ;   in Loop: Header=BB358_690 Depth=1
	v_bfe_u32 v5, v6, 16, 1
	v_add3_u32 v5, v6, v5, s30
                                        ; implicit-def: $vgpr6
; %bb.1465:                             ;   in Loop: Header=BB358_690 Depth=1
	s_andn2_saveexec_b64 s[24:25], s[4:5]
; %bb.1466:                             ;   in Loop: Header=BB358_690 Depth=1
	v_or_b32_e32 v5, 0x10000, v6
	v_cmp_eq_u32_sdwa s[4:5], v6, v11 src0_sel:WORD_0 src1_sel:DWORD
	v_cndmask_b32_e64 v5, v5, v6, s[4:5]
; %bb.1467:                             ;   in Loop: Header=BB358_690 Depth=1
	s_or_b64 exec, exec, s[24:25]
	v_lshrrev_b32_e32 v6, 16, v3
	v_cmp_ne_u16_sdwa s[4:5], v6, v11 src0_sel:BYTE_0 src1_sel:DWORD
	v_mov_b32_e32 v10, 0
	s_and_saveexec_b64 s[24:25], s[4:5]
	s_cbranch_execz .LBB358_1473
; %bb.1468:                             ;   in Loop: Header=BB358_690 Depth=1
	v_cmp_ne_u16_sdwa s[4:5], v6, s31 src0_sel:BYTE_0 src1_sel:DWORD
	v_bfrev_b32_e32 v10, 1
	s_and_saveexec_b64 s[26:27], s[4:5]
	s_cbranch_execz .LBB358_1472
; %bb.1469:                             ;   in Loop: Header=BB358_690 Depth=1
	v_bfe_u32 v29, v3, 16, 7
	v_cmp_ne_u32_e64 s[4:5], s34, v29
	v_mov_b32_e32 v10, 0x7f800001
	s_and_saveexec_b64 s[28:29], s[4:5]
	s_cbranch_execz .LBB358_1471
; %bb.1470:                             ;   in Loop: Header=BB358_690 Depth=1
	v_and_b32_e32 v10, 7, v6
	v_ffbh_u32_e32 v13, v10
	v_min_u32_e32 v13, 32, v13
	v_subrev_u32_e32 v23, 28, v13
	v_lshlrev_b64 v[48:49], v23, v[6:7]
	v_lshrrev_b32_e32 v12, 3, v29
	v_sub_u32_e32 v13, 29, v13
	v_and_b32_e32 v23, 7, v48
	v_cmp_gt_u32_e64 s[4:5], 8, v29
	v_cndmask_b32_e64 v12, v12, v13, s[4:5]
	v_cndmask_b32_e64 v10, v10, v23, s[4:5]
	v_lshlrev_b32_e32 v6, 24, v6
	v_bfrev_b32_e32 v13, 60
	v_lshlrev_b32_e32 v10, 20, v10
	v_and_b32_e32 v6, 0x80000000, v6
	v_lshl_add_u32 v12, v12, 23, v13
	v_accvgpr_read_b32 v23, a32
	v_or3_b32 v10, v6, v12, v10
.LBB358_1471:                           ;   in Loop: Header=BB358_690 Depth=1
	s_or_b64 exec, exec, s[28:29]
.LBB358_1472:                           ;   in Loop: Header=BB358_690 Depth=1
	s_or_b64 exec, exec, s[26:27]
.LBB358_1473:                           ;   in Loop: Header=BB358_690 Depth=1
	s_or_b64 exec, exec, s[24:25]
	v_mul_f32_e32 v10, v7, v10
	v_and_b32_e32 v6, 0x7f800000, v10
	v_cmp_ne_u32_e64 s[4:5], s15, v6
                                        ; implicit-def: $vgpr6
	s_and_saveexec_b64 s[24:25], s[4:5]
	s_xor_b64 s[4:5], exec, s[24:25]
; %bb.1474:                             ;   in Loop: Header=BB358_690 Depth=1
	v_bfe_u32 v6, v10, 16, 1
	v_add3_u32 v6, v10, v6, s30
                                        ; implicit-def: $vgpr10
; %bb.1475:                             ;   in Loop: Header=BB358_690 Depth=1
	s_andn2_saveexec_b64 s[24:25], s[4:5]
; %bb.1476:                             ;   in Loop: Header=BB358_690 Depth=1
	v_or_b32_e32 v6, 0x10000, v10
	v_cmp_eq_u32_sdwa s[4:5], v10, v11 src0_sel:WORD_0 src1_sel:DWORD
	v_cndmask_b32_e64 v6, v6, v10, s[4:5]
; %bb.1477:                             ;   in Loop: Header=BB358_690 Depth=1
	s_or_b64 exec, exec, s[24:25]
	v_cmp_lt_u64_e64 s[4:5], s[10:11], v[2:3]
	v_mov_b32_e32 v10, 0
	s_and_saveexec_b64 s[24:25], s[4:5]
	s_cbranch_execz .LBB358_1483
; %bb.1478:                             ;   in Loop: Header=BB358_690 Depth=1
	v_lshrrev_b32_e32 v2, 24, v3
	v_cmp_ne_u32_e64 s[4:5], s31, v2
	v_bfrev_b32_e32 v10, 1
	s_and_saveexec_b64 s[26:27], s[4:5]
	s_cbranch_execz .LBB358_1482
; %bb.1479:                             ;   in Loop: Header=BB358_690 Depth=1
	v_bfe_u32 v3, v3, 24, 7
	v_cmp_ne_u32_e64 s[4:5], s34, v3
	v_mov_b32_e32 v10, 0x7f800001
	s_and_saveexec_b64 s[28:29], s[4:5]
	s_cbranch_execz .LBB358_1481
; %bb.1480:                             ;   in Loop: Header=BB358_690 Depth=1
	v_and_b32_e32 v10, 7, v2
	v_ffbh_u32_e32 v13, v10
	v_min_u32_e32 v13, 32, v13
	v_subrev_u32_e32 v23, 28, v13
	v_lshlrev_b64 v[48:49], v23, v[2:3]
	v_lshrrev_b32_e32 v12, 3, v3
	v_sub_u32_e32 v13, 29, v13
	v_and_b32_e32 v23, 7, v48
	v_cmp_gt_u32_e64 s[4:5], 8, v3
	v_cndmask_b32_e64 v3, v12, v13, s[4:5]
	v_cndmask_b32_e64 v10, v10, v23, s[4:5]
	v_lshlrev_b32_e32 v2, 24, v2
	v_bfrev_b32_e32 v12, 60
	v_lshlrev_b32_e32 v10, 20, v10
	v_and_b32_e32 v2, 0x80000000, v2
	v_lshl_add_u32 v3, v3, 23, v12
	v_accvgpr_read_b32 v23, a32
	v_or3_b32 v10, v2, v3, v10
.LBB358_1481:                           ;   in Loop: Header=BB358_690 Depth=1
	s_or_b64 exec, exec, s[28:29]
.LBB358_1482:                           ;   in Loop: Header=BB358_690 Depth=1
	s_or_b64 exec, exec, s[26:27]
.LBB358_1483:                           ;   in Loop: Header=BB358_690 Depth=1
	s_or_b64 exec, exec, s[24:25]
	v_mul_f32_e32 v3, v7, v10
	v_and_b32_e32 v2, 0x7f800000, v3
	v_cmp_ne_u32_e64 s[4:5], s15, v2
                                        ; implicit-def: $vgpr2
	s_and_saveexec_b64 s[24:25], s[4:5]
	s_xor_b64 s[4:5], exec, s[24:25]
; %bb.1484:                             ;   in Loop: Header=BB358_690 Depth=1
	v_bfe_u32 v2, v3, 16, 1
	v_add3_u32 v2, v3, v2, s30
                                        ; implicit-def: $vgpr3
; %bb.1485:                             ;   in Loop: Header=BB358_690 Depth=1
	s_andn2_saveexec_b64 s[24:25], s[4:5]
; %bb.1486:                             ;   in Loop: Header=BB358_690 Depth=1
	v_or_b32_e32 v2, 0x10000, v3
	v_cmp_eq_u32_sdwa s[4:5], v3, v11 src0_sel:WORD_0 src1_sel:DWORD
	v_cndmask_b32_e64 v2, v2, v3, s[4:5]
; %bb.1487:                             ;   in Loop: Header=BB358_690 Depth=1
	s_or_b64 exec, exec, s[24:25]
	v_lshrrev_b32_e32 v10, 16, v5
	v_lshrrev_b32_e32 v22, 16, v22
	v_lshrrev_b32_e32 v21, 16, v21
	v_lshrrev_b32_e32 v20, 16, v20
	v_lshrrev_b32_e32 v9, 16, v9
	v_lshrrev_b32_e32 v3, 16, v8
	v_lshrrev_b32_e32 v5, 16, v6
	v_lshrrev_b32_e32 v2, 16, v2
	s_and_saveexec_b64 s[24:25], vcc
	s_cbranch_execz .LBB358_1489
; %bb.1488:                             ;   in Loop: Header=BB358_690 Depth=1
	buffer_load_dword v6, off, s[0:3], s32 offset:196 ; 4-byte Folded Reload
	v_accvgpr_read_b32 v8, a38
	s_waitcnt vmcnt(0)
	v_cmp_lt_i32_e64 s[4:5], v53, v6
	v_cndmask_b32_e64 v3, 0, v3, s[4:5]
	v_cmp_lt_i32_e64 s[4:5], v8, v6
	v_accvgpr_read_b32 v8, a37
	v_cndmask_b32_e64 v9, 0, v9, s[4:5]
	v_cmp_lt_i32_e64 s[4:5], v8, v6
	v_accvgpr_read_b32 v8, a36
	;; [unrolled: 3-line block ×5, first 2 shown]
	v_cndmask_b32_e64 v10, 0, v10, s[4:5]
	v_cmp_lt_i32_e64 s[4:5], v8, v6
	v_cndmask_b32_e64 v5, 0, v5, s[4:5]
	v_cmp_lt_i32_e64 s[4:5], v23, v6
	v_cndmask_b32_e64 v2, 0, v2, s[4:5]
.LBB358_1489:                           ;   in Loop: Header=BB358_690 Depth=1
	s_or_b64 exec, exec, s[24:25]
	v_lshlrev_b32_e32 v3, 16, v3
	v_mul_f32_e32 v6, v56, v3
	v_and_b32_e32 v3, 0x7f800000, v6
	v_cmp_ne_u32_e64 s[4:5], s15, v3
                                        ; implicit-def: $vgpr3
	s_and_saveexec_b64 s[24:25], s[4:5]
	s_xor_b64 s[4:5], exec, s[24:25]
; %bb.1490:                             ;   in Loop: Header=BB358_690 Depth=1
	v_bfe_u32 v3, v6, 16, 1
	v_add3_u32 v3, v6, v3, s30
                                        ; implicit-def: $vgpr6
; %bb.1491:                             ;   in Loop: Header=BB358_690 Depth=1
	s_andn2_saveexec_b64 s[24:25], s[4:5]
; %bb.1492:                             ;   in Loop: Header=BB358_690 Depth=1
	v_or_b32_e32 v3, 0x10000, v6
	v_cmp_eq_u32_sdwa s[4:5], v6, v11 src0_sel:WORD_0 src1_sel:DWORD
	v_cndmask_b32_e64 v3, v3, v6, s[4:5]
; %bb.1493:                             ;   in Loop: Header=BB358_690 Depth=1
	s_or_b64 exec, exec, s[24:25]
	v_lshlrev_b32_e32 v6, 16, v9
	v_mul_f32_e32 v8, v57, v6
	v_and_b32_e32 v6, 0x7f800000, v8
	v_cmp_ne_u32_e64 s[4:5], s15, v6
                                        ; implicit-def: $vgpr6
	s_and_saveexec_b64 s[24:25], s[4:5]
	s_xor_b64 s[4:5], exec, s[24:25]
; %bb.1494:                             ;   in Loop: Header=BB358_690 Depth=1
	v_bfe_u32 v6, v8, 16, 1
	v_add3_u32 v6, v8, v6, s30
                                        ; implicit-def: $vgpr8
; %bb.1495:                             ;   in Loop: Header=BB358_690 Depth=1
	s_andn2_saveexec_b64 s[24:25], s[4:5]
; %bb.1496:                             ;   in Loop: Header=BB358_690 Depth=1
	v_or_b32_e32 v6, 0x10000, v8
	v_cmp_eq_u32_sdwa s[4:5], v8, v11 src0_sel:WORD_0 src1_sel:DWORD
	v_cndmask_b32_e64 v6, v6, v8, s[4:5]
; %bb.1497:                             ;   in Loop: Header=BB358_690 Depth=1
	s_or_b64 exec, exec, s[24:25]
	v_lshlrev_b32_e32 v8, 16, v20
	v_mul_f32_e32 v8, v58, v8
	v_and_b32_e32 v9, 0x7f800000, v8
	v_cmp_ne_u32_e64 s[4:5], s15, v9
                                        ; implicit-def: $vgpr59
	s_and_saveexec_b64 s[24:25], s[4:5]
	s_xor_b64 s[4:5], exec, s[24:25]
; %bb.1498:                             ;   in Loop: Header=BB358_690 Depth=1
	v_bfe_u32 v9, v8, 16, 1
	v_add3_u32 v59, v8, v9, s30
                                        ; implicit-def: $vgpr8
; %bb.1499:                             ;   in Loop: Header=BB358_690 Depth=1
	s_andn2_saveexec_b64 s[24:25], s[4:5]
; %bb.1500:                             ;   in Loop: Header=BB358_690 Depth=1
	v_or_b32_e32 v9, 0x10000, v8
	v_cmp_eq_u32_sdwa s[4:5], v8, v11 src0_sel:WORD_0 src1_sel:DWORD
	v_cndmask_b32_e64 v59, v9, v8, s[4:5]
; %bb.1501:                             ;   in Loop: Header=BB358_690 Depth=1
	s_or_b64 exec, exec, s[24:25]
	v_lshlrev_b32_e32 v8, 16, v21
	v_mul_f32_e32 v8, v60, v8
	v_and_b32_e32 v9, 0x7f800000, v8
	v_cmp_ne_u32_e64 s[4:5], s15, v9
                                        ; implicit-def: $vgpr21
	s_and_saveexec_b64 s[24:25], s[4:5]
	s_xor_b64 s[4:5], exec, s[24:25]
; %bb.1502:                             ;   in Loop: Header=BB358_690 Depth=1
	v_bfe_u32 v9, v8, 16, 1
	v_add3_u32 v21, v8, v9, s30
                                        ; implicit-def: $vgpr8
; %bb.1503:                             ;   in Loop: Header=BB358_690 Depth=1
	s_andn2_saveexec_b64 s[24:25], s[4:5]
; %bb.1504:                             ;   in Loop: Header=BB358_690 Depth=1
	v_or_b32_e32 v9, 0x10000, v8
	v_cmp_eq_u32_sdwa s[4:5], v8, v11 src0_sel:WORD_0 src1_sel:DWORD
	v_cndmask_b32_e64 v21, v9, v8, s[4:5]
; %bb.1505:                             ;   in Loop: Header=BB358_690 Depth=1
	s_or_b64 exec, exec, s[24:25]
	v_lshlrev_b32_e32 v8, 16, v22
	v_mul_f32_e32 v8, v36, v8
	v_and_b32_e32 v9, 0x7f800000, v8
	v_cmp_ne_u32_e64 s[4:5], s15, v9
                                        ; implicit-def: $vgpr20
	s_and_saveexec_b64 s[24:25], s[4:5]
	s_xor_b64 s[4:5], exec, s[24:25]
; %bb.1506:                             ;   in Loop: Header=BB358_690 Depth=1
	v_bfe_u32 v9, v8, 16, 1
	v_add3_u32 v20, v8, v9, s30
                                        ; implicit-def: $vgpr8
; %bb.1507:                             ;   in Loop: Header=BB358_690 Depth=1
	s_andn2_saveexec_b64 s[24:25], s[4:5]
; %bb.1508:                             ;   in Loop: Header=BB358_690 Depth=1
	v_or_b32_e32 v9, 0x10000, v8
	v_cmp_eq_u32_sdwa s[4:5], v8, v11 src0_sel:WORD_0 src1_sel:DWORD
	v_cndmask_b32_e64 v20, v9, v8, s[4:5]
; %bb.1509:                             ;   in Loop: Header=BB358_690 Depth=1
	s_or_b64 exec, exec, s[24:25]
	v_lshlrev_b32_e32 v8, 16, v10
	v_mul_f32_e32 v9, v41, v8
	v_and_b32_e32 v8, 0x7f800000, v9
	v_cmp_ne_u32_e64 s[4:5], s15, v8
                                        ; implicit-def: $vgpr8
	s_and_saveexec_b64 s[24:25], s[4:5]
	s_xor_b64 s[4:5], exec, s[24:25]
; %bb.1510:                             ;   in Loop: Header=BB358_690 Depth=1
	v_bfe_u32 v8, v9, 16, 1
	v_add3_u32 v8, v9, v8, s30
                                        ; implicit-def: $vgpr9
; %bb.1511:                             ;   in Loop: Header=BB358_690 Depth=1
	s_andn2_saveexec_b64 s[24:25], s[4:5]
; %bb.1512:                             ;   in Loop: Header=BB358_690 Depth=1
	v_or_b32_e32 v8, 0x10000, v9
	v_cmp_eq_u32_sdwa s[4:5], v9, v11 src0_sel:WORD_0 src1_sel:DWORD
	v_cndmask_b32_e64 v8, v8, v9, s[4:5]
; %bb.1513:                             ;   in Loop: Header=BB358_690 Depth=1
	s_or_b64 exec, exec, s[24:25]
	v_lshlrev_b32_e32 v5, 16, v5
	v_mul_f32_e32 v5, v34, v5
	v_and_b32_e32 v9, 0x7f800000, v5
	v_cmp_ne_u32_e64 s[4:5], s15, v9
                                        ; implicit-def: $vgpr22
	s_and_saveexec_b64 s[24:25], s[4:5]
	s_xor_b64 s[4:5], exec, s[24:25]
; %bb.1514:                             ;   in Loop: Header=BB358_690 Depth=1
	v_bfe_u32 v9, v5, 16, 1
	v_add3_u32 v22, v5, v9, s30
                                        ; implicit-def: $vgpr5
; %bb.1515:                             ;   in Loop: Header=BB358_690 Depth=1
	s_andn2_saveexec_b64 s[24:25], s[4:5]
; %bb.1516:                             ;   in Loop: Header=BB358_690 Depth=1
	v_or_b32_e32 v9, 0x10000, v5
	v_cmp_eq_u32_sdwa s[4:5], v5, v11 src0_sel:WORD_0 src1_sel:DWORD
	v_cndmask_b32_e64 v22, v9, v5, s[4:5]
; %bb.1517:                             ;   in Loop: Header=BB358_690 Depth=1
	s_or_b64 exec, exec, s[24:25]
	v_lshlrev_b32_e32 v2, 16, v2
	v_mul_f32_e32 v2, v31, v2
	v_and_b32_e32 v5, 0x7f800000, v2
	v_cmp_ne_u32_e64 s[4:5], s15, v5
                                        ; implicit-def: $vgpr9
	s_and_saveexec_b64 s[24:25], s[4:5]
	s_xor_b64 s[4:5], exec, s[24:25]
; %bb.1518:                             ;   in Loop: Header=BB358_690 Depth=1
	v_bfe_u32 v5, v2, 16, 1
	v_add3_u32 v9, v2, v5, s30
                                        ; implicit-def: $vgpr2
; %bb.1519:                             ;   in Loop: Header=BB358_690 Depth=1
	s_andn2_saveexec_b64 s[24:25], s[4:5]
; %bb.1520:                             ;   in Loop: Header=BB358_690 Depth=1
	v_or_b32_e32 v5, 0x10000, v2
	v_cmp_eq_u32_sdwa s[4:5], v2, v11 src0_sel:WORD_0 src1_sel:DWORD
	v_cndmask_b32_e64 v9, v5, v2, s[4:5]
; %bb.1521:                             ;   in Loop: Header=BB358_690 Depth=1
	s_or_b64 exec, exec, s[24:25]
	flat_load_dwordx2 v[0:1], v[0:1] offset:3584
	v_mov_b32_e32 v2, 0
	s_waitcnt vmcnt(0) lgkmcnt(0)
	v_cmp_ne_u16_sdwa s[4:5], v0, v11 src0_sel:BYTE_0 src1_sel:DWORD
	s_and_saveexec_b64 s[24:25], s[4:5]
	s_cbranch_execz .LBB358_1527
; %bb.1522:                             ;   in Loop: Header=BB358_690 Depth=1
	v_cmp_ne_u16_sdwa s[4:5], v0, s31 src0_sel:BYTE_0 src1_sel:DWORD
	v_bfrev_b32_e32 v2, 1
	s_and_saveexec_b64 s[26:27], s[4:5]
	s_cbranch_execz .LBB358_1526
; %bb.1523:                             ;   in Loop: Header=BB358_690 Depth=1
	v_and_b32_e32 v5, 0x7f, v0
	v_cmp_ne_u32_e64 s[4:5], s34, v5
	v_mov_b32_e32 v2, 0x7f800001
	s_and_saveexec_b64 s[28:29], s[4:5]
	s_cbranch_execz .LBB358_1525
; %bb.1524:                             ;   in Loop: Header=BB358_690 Depth=1
	v_and_b32_e32 v2, 7, v0
	v_ffbh_u32_e32 v2, v2
	v_min_u32_e32 v2, 32, v2
	v_subrev_u32_e32 v12, 28, v2
	v_cmp_gt_u32_e64 s[4:5], 8, v5
	v_lshrrev_b32_e32 v10, 3, v5
	v_cndmask_b32_e64 v5, 0, v12, s[4:5]
	v_sub_u32_e32 v2, 29, v2
	v_lshlrev_b64 v[48:49], v5, v[0:1]
	v_cndmask_b32_e64 v2, v10, v2, s[4:5]
	v_lshlrev_b32_e32 v5, 20, v48
	v_lshlrev_b32_e32 v10, 24, v0
	v_bfrev_b32_e32 v12, 60
	v_and_b32_e32 v5, 0x700000, v5
	v_and_b32_e32 v10, 0x80000000, v10
	v_lshl_add_u32 v2, v2, 23, v12
	v_or3_b32 v2, v10, v2, v5
.LBB358_1525:                           ;   in Loop: Header=BB358_690 Depth=1
	s_or_b64 exec, exec, s[28:29]
.LBB358_1526:                           ;   in Loop: Header=BB358_690 Depth=1
	s_or_b64 exec, exec, s[26:27]
.LBB358_1527:                           ;   in Loop: Header=BB358_690 Depth=1
	s_or_b64 exec, exec, s[24:25]
	v_mul_f32_e32 v2, v7, v2
	v_and_b32_e32 v5, 0x7f800000, v2
	v_cmp_ne_u32_e64 s[4:5], s15, v5
                                        ; implicit-def: $vgpr29
	s_and_saveexec_b64 s[24:25], s[4:5]
	s_xor_b64 s[4:5], exec, s[24:25]
; %bb.1528:                             ;   in Loop: Header=BB358_690 Depth=1
	v_bfe_u32 v5, v2, 16, 1
	v_add3_u32 v29, v2, v5, s30
                                        ; implicit-def: $vgpr2
; %bb.1529:                             ;   in Loop: Header=BB358_690 Depth=1
	s_andn2_saveexec_b64 s[24:25], s[4:5]
; %bb.1530:                             ;   in Loop: Header=BB358_690 Depth=1
	v_or_b32_e32 v5, 0x10000, v2
	v_cmp_eq_u32_sdwa s[4:5], v2, v11 src0_sel:WORD_0 src1_sel:DWORD
	v_cndmask_b32_e64 v29, v5, v2, s[4:5]
; %bb.1531:                             ;   in Loop: Header=BB358_690 Depth=1
	s_or_b64 exec, exec, s[24:25]
	v_lshrrev_b16_e32 v2, 8, v0
	v_cmp_ne_u16_e64 s[4:5], 0, v2
	v_mov_b32_e32 v5, 0
	s_and_saveexec_b64 s[24:25], s[4:5]
	s_cbranch_execz .LBB358_1537
; %bb.1532:                             ;   in Loop: Header=BB358_690 Depth=1
	v_cmp_ne_u16_e64 s[4:5], s31, v2
	v_bfrev_b32_e32 v5, 1
	s_and_saveexec_b64 s[26:27], s[4:5]
	s_cbranch_execz .LBB358_1536
; %bb.1533:                             ;   in Loop: Header=BB358_690 Depth=1
	v_and_b32_e32 v10, 0x7f, v2
	v_cmp_ne_u32_e64 s[4:5], s34, v10
	v_mov_b32_e32 v5, 0x7f800001
	s_and_saveexec_b64 s[28:29], s[4:5]
	s_cbranch_execz .LBB358_1535
; %bb.1534:                             ;   in Loop: Header=BB358_690 Depth=1
	v_and_b32_e32 v5, 7, v2
	v_ffbh_u32_e32 v13, v5
	v_min_u32_e32 v13, 32, v13
	v_subrev_u32_e32 v23, 28, v13
	v_lshlrev_b64 v[48:49], v23, v[2:3]
	v_lshrrev_b32_e32 v12, 3, v10
	v_sub_u32_e32 v2, 29, v13
	v_and_b32_e32 v13, 7, v48
	v_cmp_gt_u32_e64 s[4:5], 8, v10
	v_cndmask_b32_e64 v2, v12, v2, s[4:5]
	v_cndmask_b32_e64 v5, v5, v13, s[4:5]
	v_lshlrev_b32_e32 v10, 16, v0
	v_bfrev_b32_e32 v12, 60
	v_lshlrev_b32_e32 v5, 20, v5
	v_and_b32_e32 v10, 0x80000000, v10
	v_lshl_add_u32 v2, v2, 23, v12
	v_accvgpr_read_b32 v23, a32
	v_or3_b32 v5, v10, v2, v5
.LBB358_1535:                           ;   in Loop: Header=BB358_690 Depth=1
	s_or_b64 exec, exec, s[28:29]
.LBB358_1536:                           ;   in Loop: Header=BB358_690 Depth=1
	s_or_b64 exec, exec, s[26:27]
.LBB358_1537:                           ;   in Loop: Header=BB358_690 Depth=1
	s_or_b64 exec, exec, s[24:25]
	v_mul_f32_e32 v2, v7, v5
	v_and_b32_e32 v5, 0x7f800000, v2
	v_cmp_ne_u32_e64 s[4:5], s15, v5
                                        ; implicit-def: $vgpr48
	s_and_saveexec_b64 s[24:25], s[4:5]
	s_xor_b64 s[4:5], exec, s[24:25]
; %bb.1538:                             ;   in Loop: Header=BB358_690 Depth=1
	v_bfe_u32 v5, v2, 16, 1
	v_add3_u32 v48, v2, v5, s30
                                        ; implicit-def: $vgpr2
; %bb.1539:                             ;   in Loop: Header=BB358_690 Depth=1
	s_andn2_saveexec_b64 s[24:25], s[4:5]
; %bb.1540:                             ;   in Loop: Header=BB358_690 Depth=1
	v_or_b32_e32 v5, 0x10000, v2
	v_cmp_eq_u32_sdwa s[4:5], v2, v11 src0_sel:WORD_0 src1_sel:DWORD
	v_cndmask_b32_e64 v48, v5, v2, s[4:5]
; %bb.1541:                             ;   in Loop: Header=BB358_690 Depth=1
	s_or_b64 exec, exec, s[24:25]
	v_lshrrev_b32_e32 v2, 16, v0
	v_cmp_ne_u16_sdwa s[4:5], v2, v11 src0_sel:BYTE_0 src1_sel:DWORD
	v_mov_b32_e32 v5, 0
	s_and_saveexec_b64 s[24:25], s[4:5]
	s_cbranch_execz .LBB358_1547
; %bb.1542:                             ;   in Loop: Header=BB358_690 Depth=1
	v_cmp_ne_u16_sdwa s[4:5], v2, s31 src0_sel:BYTE_0 src1_sel:DWORD
	v_bfrev_b32_e32 v5, 1
	s_and_saveexec_b64 s[26:27], s[4:5]
	s_cbranch_execz .LBB358_1546
; %bb.1543:                             ;   in Loop: Header=BB358_690 Depth=1
	v_bfe_u32 v10, v0, 16, 7
	v_cmp_ne_u32_e64 s[4:5], s34, v10
	v_mov_b32_e32 v5, 0x7f800001
	s_and_saveexec_b64 s[28:29], s[4:5]
	s_cbranch_execz .LBB358_1545
; %bb.1544:                             ;   in Loop: Header=BB358_690 Depth=1
	v_and_b32_e32 v5, 7, v2
	v_ffbh_u32_e32 v13, v5
	v_min_u32_e32 v13, 32, v13
	v_subrev_u32_e32 v23, 28, v13
	v_lshlrev_b64 v[50:51], v23, v[2:3]
	v_lshrrev_b32_e32 v12, 3, v10
	v_sub_u32_e32 v13, 29, v13
	v_and_b32_e32 v23, 7, v50
	v_cmp_gt_u32_e64 s[4:5], 8, v10
	v_cndmask_b32_e64 v10, v12, v13, s[4:5]
	v_cndmask_b32_e64 v5, v5, v23, s[4:5]
	v_lshlrev_b32_e32 v2, 24, v2
	v_bfrev_b32_e32 v12, 60
	v_lshlrev_b32_e32 v5, 20, v5
	v_and_b32_e32 v2, 0x80000000, v2
	v_lshl_add_u32 v10, v10, 23, v12
	v_accvgpr_read_b32 v23, a32
	v_or3_b32 v5, v2, v10, v5
.LBB358_1545:                           ;   in Loop: Header=BB358_690 Depth=1
	s_or_b64 exec, exec, s[28:29]
.LBB358_1546:                           ;   in Loop: Header=BB358_690 Depth=1
	s_or_b64 exec, exec, s[26:27]
.LBB358_1547:                           ;   in Loop: Header=BB358_690 Depth=1
	s_or_b64 exec, exec, s[24:25]
	v_mul_f32_e32 v2, v7, v5
	v_and_b32_e32 v5, 0x7f800000, v2
	v_cmp_ne_u32_e64 s[4:5], s15, v5
                                        ; implicit-def: $vgpr49
	s_and_saveexec_b64 s[24:25], s[4:5]
	s_xor_b64 s[4:5], exec, s[24:25]
; %bb.1548:                             ;   in Loop: Header=BB358_690 Depth=1
	v_bfe_u32 v5, v2, 16, 1
	v_add3_u32 v49, v2, v5, s30
                                        ; implicit-def: $vgpr2
; %bb.1549:                             ;   in Loop: Header=BB358_690 Depth=1
	s_andn2_saveexec_b64 s[24:25], s[4:5]
; %bb.1550:                             ;   in Loop: Header=BB358_690 Depth=1
	v_or_b32_e32 v5, 0x10000, v2
	v_cmp_eq_u32_sdwa s[4:5], v2, v11 src0_sel:WORD_0 src1_sel:DWORD
	v_cndmask_b32_e64 v49, v5, v2, s[4:5]
; %bb.1551:                             ;   in Loop: Header=BB358_690 Depth=1
	s_or_b64 exec, exec, s[24:25]
	v_cmp_lt_u32_e64 s[4:5], s11, v0
	v_mov_b32_e32 v5, 0
	s_and_saveexec_b64 s[24:25], s[4:5]
	s_cbranch_execz .LBB358_1557
; %bb.1552:                             ;   in Loop: Header=BB358_690 Depth=1
	v_lshrrev_b32_e32 v2, 24, v0
	v_cmp_ne_u32_e64 s[4:5], s31, v2
	v_bfrev_b32_e32 v5, 1
	s_and_saveexec_b64 s[26:27], s[4:5]
	s_cbranch_execz .LBB358_1556
; %bb.1553:                             ;   in Loop: Header=BB358_690 Depth=1
	v_bfe_u32 v10, v0, 24, 7
	v_cmp_ne_u32_e64 s[4:5], s34, v10
	v_mov_b32_e32 v5, 0x7f800001
	s_and_saveexec_b64 s[28:29], s[4:5]
	s_cbranch_execz .LBB358_1555
; %bb.1554:                             ;   in Loop: Header=BB358_690 Depth=1
	v_and_b32_e32 v5, 7, v2
	v_ffbh_u32_e32 v13, v5
	v_min_u32_e32 v13, 32, v13
	v_subrev_u32_e32 v23, 28, v13
	v_lshlrev_b64 v[50:51], v23, v[2:3]
	v_lshrrev_b32_e32 v12, 3, v10
	v_sub_u32_e32 v13, 29, v13
	v_and_b32_e32 v23, 7, v50
	v_cmp_gt_u32_e64 s[4:5], 8, v10
	v_cndmask_b32_e64 v10, v12, v13, s[4:5]
	v_cndmask_b32_e64 v5, v5, v23, s[4:5]
	v_lshlrev_b32_e32 v2, 24, v2
	v_bfrev_b32_e32 v12, 60
	v_lshlrev_b32_e32 v5, 20, v5
	v_and_b32_e32 v2, 0x80000000, v2
	v_lshl_add_u32 v10, v10, 23, v12
	v_accvgpr_read_b32 v23, a32
	v_or3_b32 v5, v2, v10, v5
.LBB358_1555:                           ;   in Loop: Header=BB358_690 Depth=1
	s_or_b64 exec, exec, s[28:29]
.LBB358_1556:                           ;   in Loop: Header=BB358_690 Depth=1
	s_or_b64 exec, exec, s[26:27]
.LBB358_1557:                           ;   in Loop: Header=BB358_690 Depth=1
	s_or_b64 exec, exec, s[24:25]
	v_mul_f32_e32 v2, v7, v5
	v_and_b32_e32 v5, 0x7f800000, v2
	v_cmp_ne_u32_e64 s[4:5], s15, v5
                                        ; implicit-def: $vgpr50
	s_and_saveexec_b64 s[24:25], s[4:5]
	s_xor_b64 s[4:5], exec, s[24:25]
; %bb.1558:                             ;   in Loop: Header=BB358_690 Depth=1
	v_bfe_u32 v5, v2, 16, 1
	v_add3_u32 v50, v2, v5, s30
                                        ; implicit-def: $vgpr2
; %bb.1559:                             ;   in Loop: Header=BB358_690 Depth=1
	s_andn2_saveexec_b64 s[24:25], s[4:5]
; %bb.1560:                             ;   in Loop: Header=BB358_690 Depth=1
	v_or_b32_e32 v5, 0x10000, v2
	v_cmp_eq_u32_sdwa s[4:5], v2, v11 src0_sel:WORD_0 src1_sel:DWORD
	v_cndmask_b32_e64 v50, v5, v2, s[4:5]
; %bb.1561:                             ;   in Loop: Header=BB358_690 Depth=1
	s_or_b64 exec, exec, s[24:25]
	v_mov_b32_e32 v10, v1
	v_cmp_ne_u16_sdwa s[4:5], v1, v11 src0_sel:BYTE_0 src1_sel:DWORD
	v_mov_b32_e32 v2, 0
	s_and_saveexec_b64 s[24:25], s[4:5]
	s_cbranch_execz .LBB358_1567
; %bb.1562:                             ;   in Loop: Header=BB358_690 Depth=1
	v_cmp_ne_u16_sdwa s[4:5], v1, s31 src0_sel:BYTE_0 src1_sel:DWORD
	v_bfrev_b32_e32 v2, 1
	s_and_saveexec_b64 s[26:27], s[4:5]
	s_cbranch_execz .LBB358_1566
; %bb.1563:                             ;   in Loop: Header=BB358_690 Depth=1
	v_and_b32_e32 v5, 0x7f, v1
	v_cmp_ne_u32_e64 s[4:5], s34, v5
	v_mov_b32_e32 v2, 0x7f800001
	s_and_saveexec_b64 s[28:29], s[4:5]
	s_cbranch_execz .LBB358_1565
; %bb.1564:                             ;   in Loop: Header=BB358_690 Depth=1
	v_and_b32_e32 v2, 7, v1
	v_ffbh_u32_e32 v2, v2
	v_min_u32_e32 v2, 32, v2
	v_subrev_u32_e32 v13, 28, v2
	v_cmp_gt_u32_e64 s[4:5], 8, v5
	v_lshrrev_b32_e32 v12, 3, v5
	v_sub_u32_e32 v2, 29, v2
	v_cndmask_b32_e64 v5, 0, v13, s[4:5]
	v_cndmask_b32_e64 v2, v12, v2, s[4:5]
	v_lshlrev_b64 v[12:13], v5, v[10:11]
	v_lshlrev_b32_e32 v5, 20, v12
	v_lshlrev_b32_e32 v12, 24, v10
	v_bfrev_b32_e32 v13, 60
	v_and_b32_e32 v5, 0x700000, v5
	v_and_b32_e32 v12, 0x80000000, v12
	v_lshl_add_u32 v2, v2, 23, v13
	v_or3_b32 v2, v12, v2, v5
.LBB358_1565:                           ;   in Loop: Header=BB358_690 Depth=1
	s_or_b64 exec, exec, s[28:29]
.LBB358_1566:                           ;   in Loop: Header=BB358_690 Depth=1
	s_or_b64 exec, exec, s[26:27]
.LBB358_1567:                           ;   in Loop: Header=BB358_690 Depth=1
	s_or_b64 exec, exec, s[24:25]
	v_mul_f32_e32 v2, v7, v2
	v_and_b32_e32 v5, 0x7f800000, v2
	v_cmp_ne_u32_e64 s[4:5], s15, v5
                                        ; implicit-def: $vgpr5
	s_and_saveexec_b64 s[24:25], s[4:5]
	s_xor_b64 s[4:5], exec, s[24:25]
; %bb.1568:                             ;   in Loop: Header=BB358_690 Depth=1
	v_bfe_u32 v5, v2, 16, 1
	v_add3_u32 v5, v2, v5, s30
                                        ; implicit-def: $vgpr2
; %bb.1569:                             ;   in Loop: Header=BB358_690 Depth=1
	s_andn2_saveexec_b64 s[24:25], s[4:5]
; %bb.1570:                             ;   in Loop: Header=BB358_690 Depth=1
	v_or_b32_e32 v5, 0x10000, v2
	v_cmp_eq_u32_sdwa s[4:5], v2, v11 src0_sel:WORD_0 src1_sel:DWORD
	v_cndmask_b32_e64 v5, v5, v2, s[4:5]
; %bb.1571:                             ;   in Loop: Header=BB358_690 Depth=1
	s_or_b64 exec, exec, s[24:25]
	v_lshrrev_b16_e32 v2, 8, v10
	v_cmp_ne_u16_e64 s[4:5], 0, v2
	v_mov_b32_e32 v51, 0
	s_and_saveexec_b64 s[24:25], s[4:5]
	s_cbranch_execz .LBB358_1577
; %bb.1572:                             ;   in Loop: Header=BB358_690 Depth=1
	v_cmp_ne_u16_e64 s[4:5], s31, v2
	v_bfrev_b32_e32 v51, 1
	s_and_saveexec_b64 s[26:27], s[4:5]
	s_cbranch_execz .LBB358_1576
; %bb.1573:                             ;   in Loop: Header=BB358_690 Depth=1
	v_and_b32_e32 v52, 0x7f, v2
	v_cmp_ne_u32_e64 s[4:5], s34, v52
	v_mov_b32_e32 v51, 0x7f800001
	s_and_saveexec_b64 s[28:29], s[4:5]
	s_cbranch_execz .LBB358_1575
; %bb.1574:                             ;   in Loop: Header=BB358_690 Depth=1
	v_and_b32_e32 v23, 7, v2
	v_ffbh_u32_e32 v12, v23
	v_min_u32_e32 v51, 32, v12
	v_subrev_u32_e32 v12, 28, v51
	v_lshlrev_b64 v[12:13], v12, v[2:3]
	v_lshrrev_b32_e32 v28, 3, v52
	v_sub_u32_e32 v2, 29, v51
	v_and_b32_e32 v12, 7, v12
	v_cmp_gt_u32_e64 s[4:5], 8, v52
	v_cndmask_b32_e64 v2, v28, v2, s[4:5]
	v_cndmask_b32_e64 v12, v23, v12, s[4:5]
	v_lshlrev_b32_e32 v10, 16, v10
	v_bfrev_b32_e32 v13, 60
	v_lshlrev_b32_e32 v12, 20, v12
	v_and_b32_e32 v10, 0x80000000, v10
	v_lshl_add_u32 v2, v2, 23, v13
	v_accvgpr_read_b32 v28, a15
	v_accvgpr_read_b32 v23, a32
	v_or3_b32 v51, v10, v2, v12
.LBB358_1575:                           ;   in Loop: Header=BB358_690 Depth=1
	s_or_b64 exec, exec, s[28:29]
.LBB358_1576:                           ;   in Loop: Header=BB358_690 Depth=1
	s_or_b64 exec, exec, s[26:27]
.LBB358_1577:                           ;   in Loop: Header=BB358_690 Depth=1
	s_or_b64 exec, exec, s[24:25]
	v_mul_f32_e32 v2, v7, v51
	v_and_b32_e32 v10, 0x7f800000, v2
	v_cmp_ne_u32_e64 s[4:5], s15, v10
                                        ; implicit-def: $vgpr10
	s_and_saveexec_b64 s[24:25], s[4:5]
	s_xor_b64 s[4:5], exec, s[24:25]
; %bb.1578:                             ;   in Loop: Header=BB358_690 Depth=1
	v_bfe_u32 v10, v2, 16, 1
	v_add3_u32 v10, v2, v10, s30
                                        ; implicit-def: $vgpr2
; %bb.1579:                             ;   in Loop: Header=BB358_690 Depth=1
	s_andn2_saveexec_b64 s[24:25], s[4:5]
; %bb.1580:                             ;   in Loop: Header=BB358_690 Depth=1
	v_or_b32_e32 v10, 0x10000, v2
	v_cmp_eq_u32_sdwa s[4:5], v2, v11 src0_sel:WORD_0 src1_sel:DWORD
	v_cndmask_b32_e64 v10, v10, v2, s[4:5]
; %bb.1581:                             ;   in Loop: Header=BB358_690 Depth=1
	s_or_b64 exec, exec, s[24:25]
	v_lshrrev_b32_e32 v2, 16, v1
	v_cmp_ne_u16_sdwa s[4:5], v2, v11 src0_sel:BYTE_0 src1_sel:DWORD
	v_mov_b32_e32 v51, 0
	s_and_saveexec_b64 s[24:25], s[4:5]
	s_cbranch_execz .LBB358_1587
; %bb.1582:                             ;   in Loop: Header=BB358_690 Depth=1
	v_cmp_ne_u16_sdwa s[4:5], v2, s31 src0_sel:BYTE_0 src1_sel:DWORD
	v_bfrev_b32_e32 v51, 1
	s_and_saveexec_b64 s[26:27], s[4:5]
	s_cbranch_execz .LBB358_1586
; %bb.1583:                             ;   in Loop: Header=BB358_690 Depth=1
	v_bfe_u32 v52, v1, 16, 7
	v_cmp_ne_u32_e64 s[4:5], s34, v52
	v_mov_b32_e32 v51, 0x7f800001
	s_and_saveexec_b64 s[28:29], s[4:5]
	s_cbranch_execz .LBB358_1585
; %bb.1584:                             ;   in Loop: Header=BB358_690 Depth=1
	v_and_b32_e32 v23, 7, v2
	v_ffbh_u32_e32 v12, v23
	v_min_u32_e32 v51, 32, v12
	v_subrev_u32_e32 v12, 28, v51
	v_lshlrev_b64 v[12:13], v12, v[2:3]
	v_lshrrev_b32_e32 v28, 3, v52
	v_sub_u32_e32 v13, 29, v51
	v_and_b32_e32 v12, 7, v12
	v_cmp_gt_u32_e64 s[4:5], 8, v52
	v_cndmask_b32_e64 v13, v28, v13, s[4:5]
	v_cndmask_b32_e64 v12, v23, v12, s[4:5]
	v_lshlrev_b32_e32 v2, 24, v2
	v_bfrev_b32_e32 v23, 60
	v_lshlrev_b32_e32 v12, 20, v12
	v_and_b32_e32 v2, 0x80000000, v2
	v_lshl_add_u32 v13, v13, 23, v23
	v_accvgpr_read_b32 v28, a15
	v_accvgpr_read_b32 v23, a32
	v_or3_b32 v51, v2, v13, v12
.LBB358_1585:                           ;   in Loop: Header=BB358_690 Depth=1
	s_or_b64 exec, exec, s[28:29]
.LBB358_1586:                           ;   in Loop: Header=BB358_690 Depth=1
	s_or_b64 exec, exec, s[26:27]
.LBB358_1587:                           ;   in Loop: Header=BB358_690 Depth=1
	s_or_b64 exec, exec, s[24:25]
	v_mul_f32_e32 v51, v7, v51
	v_and_b32_e32 v2, 0x7f800000, v51
	v_cmp_ne_u32_e64 s[4:5], s15, v2
                                        ; implicit-def: $vgpr2
	s_and_saveexec_b64 s[24:25], s[4:5]
	s_xor_b64 s[4:5], exec, s[24:25]
; %bb.1588:                             ;   in Loop: Header=BB358_690 Depth=1
	v_bfe_u32 v2, v51, 16, 1
	v_add3_u32 v2, v51, v2, s30
                                        ; implicit-def: $vgpr51
; %bb.1589:                             ;   in Loop: Header=BB358_690 Depth=1
	s_andn2_saveexec_b64 s[24:25], s[4:5]
; %bb.1590:                             ;   in Loop: Header=BB358_690 Depth=1
	v_or_b32_e32 v2, 0x10000, v51
	v_cmp_eq_u32_sdwa s[4:5], v51, v11 src0_sel:WORD_0 src1_sel:DWORD
	v_cndmask_b32_e64 v2, v2, v51, s[4:5]
; %bb.1591:                             ;   in Loop: Header=BB358_690 Depth=1
	s_or_b64 exec, exec, s[24:25]
	v_cmp_lt_u64_e64 s[4:5], s[10:11], v[0:1]
	v_mov_b32_e32 v51, 0
	s_and_saveexec_b64 s[24:25], s[4:5]
	s_cbranch_execz .LBB358_1597
; %bb.1592:                             ;   in Loop: Header=BB358_690 Depth=1
	v_lshrrev_b32_e32 v0, 24, v1
	v_cmp_ne_u32_e64 s[4:5], s31, v0
	v_bfrev_b32_e32 v51, 1
	s_and_saveexec_b64 s[26:27], s[4:5]
	s_cbranch_execz .LBB358_1596
; %bb.1593:                             ;   in Loop: Header=BB358_690 Depth=1
	v_bfe_u32 v1, v1, 24, 7
	v_cmp_ne_u32_e64 s[4:5], s34, v1
	v_mov_b32_e32 v51, 0x7f800001
	s_and_saveexec_b64 s[28:29], s[4:5]
	s_cbranch_execz .LBB358_1595
; %bb.1594:                             ;   in Loop: Header=BB358_690 Depth=1
	v_and_b32_e32 v23, 7, v0
	v_ffbh_u32_e32 v12, v23
	v_min_u32_e32 v51, 32, v12
	v_subrev_u32_e32 v12, 28, v51
	v_lshlrev_b64 v[12:13], v12, v[0:1]
	v_lshrrev_b32_e32 v28, 3, v1
	v_sub_u32_e32 v13, 29, v51
	v_and_b32_e32 v12, 7, v12
	v_cmp_gt_u32_e64 s[4:5], 8, v1
	v_cndmask_b32_e64 v1, v28, v13, s[4:5]
	v_cndmask_b32_e64 v12, v23, v12, s[4:5]
	v_lshlrev_b32_e32 v0, 24, v0
	v_bfrev_b32_e32 v13, 60
	v_lshlrev_b32_e32 v12, 20, v12
	v_and_b32_e32 v0, 0x80000000, v0
	v_lshl_add_u32 v1, v1, 23, v13
	v_accvgpr_read_b32 v28, a15
	v_accvgpr_read_b32 v23, a32
	v_or3_b32 v51, v0, v1, v12
.LBB358_1595:                           ;   in Loop: Header=BB358_690 Depth=1
	s_or_b64 exec, exec, s[28:29]
.LBB358_1596:                           ;   in Loop: Header=BB358_690 Depth=1
	s_or_b64 exec, exec, s[26:27]
.LBB358_1597:                           ;   in Loop: Header=BB358_690 Depth=1
	s_or_b64 exec, exec, s[24:25]
	v_mul_f32_e32 v0, v7, v51
	v_and_b32_e32 v1, 0x7f800000, v0
	v_cmp_ne_u32_e64 s[4:5], s15, v1
                                        ; implicit-def: $vgpr52
	s_and_saveexec_b64 s[24:25], s[4:5]
	s_xor_b64 s[4:5], exec, s[24:25]
; %bb.1598:                             ;   in Loop: Header=BB358_690 Depth=1
	v_bfe_u32 v1, v0, 16, 1
	v_add3_u32 v52, v0, v1, s30
                                        ; implicit-def: $vgpr0
; %bb.1599:                             ;   in Loop: Header=BB358_690 Depth=1
	s_andn2_saveexec_b64 s[24:25], s[4:5]
; %bb.1600:                             ;   in Loop: Header=BB358_690 Depth=1
	v_or_b32_e32 v1, 0x10000, v0
	v_cmp_eq_u32_sdwa s[4:5], v0, v11 src0_sel:WORD_0 src1_sel:DWORD
	v_cndmask_b32_e64 v52, v1, v0, s[4:5]
; %bb.1601:                             ;   in Loop: Header=BB358_690 Depth=1
	s_or_b64 exec, exec, s[24:25]
	v_lshrrev_b32_e32 v51, 16, v10
	v_lshrrev_b32_e32 v5, 16, v5
	v_lshrrev_b32_e32 v7, 16, v50
	v_lshrrev_b32_e32 v49, 16, v49
	v_lshrrev_b32_e32 v1, 16, v48
	v_lshrrev_b32_e32 v0, 16, v29
	v_lshrrev_b32_e32 v29, 16, v2
	v_lshrrev_b32_e32 v10, 16, v52
	s_and_saveexec_b64 s[4:5], vcc
	s_cbranch_execz .LBB358_1603
; %bb.1602:                             ;   in Loop: Header=BB358_690 Depth=1
	buffer_load_dword v2, off, s[0:3], s32 offset:196 ; 4-byte Folded Reload
	v_accvgpr_read_b32 v12, a38
	s_waitcnt vmcnt(0)
	v_cmp_lt_i32_e32 vcc, v53, v2
	v_cndmask_b32_e32 v0, 0, v0, vcc
	v_cmp_lt_i32_e32 vcc, v12, v2
	v_accvgpr_read_b32 v12, a37
	v_cndmask_b32_e32 v1, 0, v1, vcc
	v_cmp_lt_i32_e32 vcc, v12, v2
	v_accvgpr_read_b32 v12, a36
	;; [unrolled: 3-line block ×5, first 2 shown]
	v_cndmask_b32_e32 v51, 0, v51, vcc
	v_cmp_lt_i32_e32 vcc, v12, v2
	v_cndmask_b32_e32 v29, 0, v29, vcc
	v_cmp_lt_i32_e32 vcc, v23, v2
	v_cndmask_b32_e32 v10, 0, v10, vcc
.LBB358_1603:                           ;   in Loop: Header=BB358_690 Depth=1
	s_or_b64 exec, exec, s[4:5]
	v_lshlrev_b32_e32 v0, 16, v0
	v_mul_f32_e32 v2, v56, v0
	v_and_b32_e32 v0, 0x7f800000, v2
	v_cmp_ne_u32_e32 vcc, s15, v0
                                        ; implicit-def: $vgpr0
	s_and_saveexec_b64 s[4:5], vcc
	s_xor_b64 s[4:5], exec, s[4:5]
; %bb.1604:                             ;   in Loop: Header=BB358_690 Depth=1
	v_bfe_u32 v0, v2, 16, 1
	v_add3_u32 v0, v2, v0, s30
                                        ; implicit-def: $vgpr2
; %bb.1605:                             ;   in Loop: Header=BB358_690 Depth=1
	s_andn2_saveexec_b64 s[4:5], s[4:5]
; %bb.1606:                             ;   in Loop: Header=BB358_690 Depth=1
	v_or_b32_e32 v0, 0x10000, v2
	v_cmp_eq_u32_sdwa vcc, v2, v11 src0_sel:WORD_0 src1_sel:DWORD
	v_cndmask_b32_e32 v0, v0, v2, vcc
; %bb.1607:                             ;   in Loop: Header=BB358_690 Depth=1
	s_or_b64 exec, exec, s[4:5]
	v_lshlrev_b32_e32 v1, 16, v1
	v_mul_f32_e32 v2, v57, v1
	v_and_b32_e32 v1, 0x7f800000, v2
	v_cmp_ne_u32_e32 vcc, s15, v1
                                        ; implicit-def: $vgpr1
	s_and_saveexec_b64 s[4:5], vcc
	s_xor_b64 s[4:5], exec, s[4:5]
; %bb.1608:                             ;   in Loop: Header=BB358_690 Depth=1
	v_bfe_u32 v1, v2, 16, 1
	v_add3_u32 v1, v2, v1, s30
                                        ; implicit-def: $vgpr2
; %bb.1609:                             ;   in Loop: Header=BB358_690 Depth=1
	s_andn2_saveexec_b64 s[4:5], s[4:5]
; %bb.1610:                             ;   in Loop: Header=BB358_690 Depth=1
	v_or_b32_e32 v1, 0x10000, v2
	v_cmp_eq_u32_sdwa vcc, v2, v11 src0_sel:WORD_0 src1_sel:DWORD
	v_cndmask_b32_e32 v1, v1, v2, vcc
; %bb.1611:                             ;   in Loop: Header=BB358_690 Depth=1
	s_or_b64 exec, exec, s[4:5]
	v_lshlrev_b32_e32 v2, 16, v49
	v_mul_f32_e32 v48, v58, v2
	v_and_b32_e32 v2, 0x7f800000, v48
	v_cmp_ne_u32_e32 vcc, s15, v2
                                        ; implicit-def: $vgpr2
	s_and_saveexec_b64 s[4:5], vcc
	s_xor_b64 s[4:5], exec, s[4:5]
; %bb.1612:                             ;   in Loop: Header=BB358_690 Depth=1
	v_bfe_u32 v2, v48, 16, 1
	v_add3_u32 v2, v48, v2, s30
                                        ; implicit-def: $vgpr48
; %bb.1613:                             ;   in Loop: Header=BB358_690 Depth=1
	s_andn2_saveexec_b64 s[4:5], s[4:5]
; %bb.1614:                             ;   in Loop: Header=BB358_690 Depth=1
	v_or_b32_e32 v2, 0x10000, v48
	v_cmp_eq_u32_sdwa vcc, v48, v11 src0_sel:WORD_0 src1_sel:DWORD
	v_cndmask_b32_e32 v2, v2, v48, vcc
; %bb.1615:                             ;   in Loop: Header=BB358_690 Depth=1
	s_or_b64 exec, exec, s[4:5]
	v_lshlrev_b32_e32 v7, 16, v7
	v_mul_f32_e32 v48, v60, v7
	v_and_b32_e32 v7, 0x7f800000, v48
	v_cmp_ne_u32_e32 vcc, s15, v7
                                        ; implicit-def: $vgpr7
	s_and_saveexec_b64 s[4:5], vcc
	s_xor_b64 s[4:5], exec, s[4:5]
; %bb.1616:                             ;   in Loop: Header=BB358_690 Depth=1
	v_bfe_u32 v7, v48, 16, 1
	v_add3_u32 v7, v48, v7, s30
                                        ; implicit-def: $vgpr48
; %bb.1617:                             ;   in Loop: Header=BB358_690 Depth=1
	s_andn2_saveexec_b64 s[4:5], s[4:5]
; %bb.1618:                             ;   in Loop: Header=BB358_690 Depth=1
	v_or_b32_e32 v7, 0x10000, v48
	v_cmp_eq_u32_sdwa vcc, v48, v11 src0_sel:WORD_0 src1_sel:DWORD
	v_cndmask_b32_e32 v7, v7, v48, vcc
; %bb.1619:                             ;   in Loop: Header=BB358_690 Depth=1
	s_or_b64 exec, exec, s[4:5]
	v_lshlrev_b32_e32 v5, 16, v5
	v_mul_f32_e32 v36, v36, v5
	v_and_b32_e32 v5, 0x7f800000, v36
	v_cmp_ne_u32_e32 vcc, s15, v5
                                        ; implicit-def: $vgpr5
	s_and_saveexec_b64 s[4:5], vcc
	s_xor_b64 s[4:5], exec, s[4:5]
; %bb.1620:                             ;   in Loop: Header=BB358_690 Depth=1
	v_bfe_u32 v5, v36, 16, 1
	v_add3_u32 v5, v36, v5, s30
                                        ; implicit-def: $vgpr36
; %bb.1621:                             ;   in Loop: Header=BB358_690 Depth=1
	s_andn2_saveexec_b64 s[4:5], s[4:5]
; %bb.1622:                             ;   in Loop: Header=BB358_690 Depth=1
	v_or_b32_e32 v5, 0x10000, v36
	v_cmp_eq_u32_sdwa vcc, v36, v11 src0_sel:WORD_0 src1_sel:DWORD
	v_cndmask_b32_e32 v5, v5, v36, vcc
; %bb.1623:                             ;   in Loop: Header=BB358_690 Depth=1
	s_or_b64 exec, exec, s[4:5]
	v_lshlrev_b32_e32 v12, 16, v51
	v_mul_f32_e32 v48, v41, v12
	v_and_b32_e32 v12, 0x7f800000, v48
	v_cmp_ne_u32_e32 vcc, s15, v12
                                        ; implicit-def: $vgpr36
	s_and_saveexec_b64 s[4:5], vcc
	s_xor_b64 s[4:5], exec, s[4:5]
; %bb.1624:                             ;   in Loop: Header=BB358_690 Depth=1
	v_bfe_u32 v12, v48, 16, 1
	v_add3_u32 v36, v48, v12, s30
                                        ; implicit-def: $vgpr48
; %bb.1625:                             ;   in Loop: Header=BB358_690 Depth=1
	s_andn2_saveexec_b64 s[4:5], s[4:5]
; %bb.1626:                             ;   in Loop: Header=BB358_690 Depth=1
	v_or_b32_e32 v12, 0x10000, v48
	v_cmp_eq_u32_sdwa vcc, v48, v11 src0_sel:WORD_0 src1_sel:DWORD
	v_cndmask_b32_e32 v36, v12, v48, vcc
; %bb.1627:                             ;   in Loop: Header=BB358_690 Depth=1
	s_or_b64 exec, exec, s[4:5]
	v_lshlrev_b32_e32 v12, 16, v29
	v_mul_f32_e32 v34, v34, v12
	v_and_b32_e32 v12, 0x7f800000, v34
	v_cmp_ne_u32_e32 vcc, s15, v12
                                        ; implicit-def: $vgpr29
	s_and_saveexec_b64 s[4:5], vcc
	s_xor_b64 s[4:5], exec, s[4:5]
; %bb.1628:                             ;   in Loop: Header=BB358_690 Depth=1
	v_bfe_u32 v12, v34, 16, 1
	v_add3_u32 v29, v34, v12, s30
                                        ; implicit-def: $vgpr34
; %bb.1629:                             ;   in Loop: Header=BB358_690 Depth=1
	s_andn2_saveexec_b64 s[4:5], s[4:5]
; %bb.1630:                             ;   in Loop: Header=BB358_690 Depth=1
	v_or_b32_e32 v12, 0x10000, v34
	v_cmp_eq_u32_sdwa vcc, v34, v11 src0_sel:WORD_0 src1_sel:DWORD
	v_cndmask_b32_e32 v29, v12, v34, vcc
; %bb.1631:                             ;   in Loop: Header=BB358_690 Depth=1
	s_or_b64 exec, exec, s[4:5]
	v_lshlrev_b32_e32 v10, 16, v10
	v_mul_f32_e32 v31, v31, v10
	v_and_b32_e32 v10, 0x7f800000, v31
	v_cmp_ne_u32_e32 vcc, s15, v10
                                        ; implicit-def: $vgpr10
	s_and_saveexec_b64 s[4:5], vcc
	s_xor_b64 s[4:5], exec, s[4:5]
; %bb.1632:                             ;   in Loop: Header=BB358_690 Depth=1
	v_bfe_u32 v10, v31, 16, 1
	v_add3_u32 v10, v31, v10, s30
                                        ; implicit-def: $vgpr31
; %bb.1633:                             ;   in Loop: Header=BB358_690 Depth=1
	s_andn2_saveexec_b64 s[4:5], s[4:5]
	s_cbranch_execz .LBB358_688
; %bb.1634:                             ;   in Loop: Header=BB358_690 Depth=1
	v_or_b32_e32 v10, 0x10000, v31
	v_cmp_eq_u32_sdwa vcc, v31, v11 src0_sel:WORD_0 src1_sel:DWORD
	v_cndmask_b32_e32 v10, v10, v31, vcc
	s_branch .LBB358_688
.LBB358_1635:
	s_or_b64 exec, exec, s[12:13]
	v_accvgpr_read_b32 v12, a18
	v_accvgpr_read_b32 v20, a16
	;; [unrolled: 1-line block ×4, first 2 shown]
.LBB358_1636:
	s_or_b64 exec, exec, s[8:9]
	ds_bpermute_b32 v0, v20, v24
	ds_bpermute_b32 v1, v20, v25
	;; [unrolled: 1-line block ×4, first 2 shown]
	s_waitcnt lgkmcnt(0)
	s_barrier
	v_pk_add_f32 v[8:9], v[24:25], v[0:1]
	v_pk_add_f32 v[0:1], v[16:17], v[4:5]
	buffer_load_dword v4, off, s[0:3], s32 offset:268 ; 4-byte Folded Reload
	ds_bpermute_b32 v2, v20, v18
	ds_bpermute_b32 v3, v20, v19
	;; [unrolled: 1-line block ×4, first 2 shown]
	s_waitcnt lgkmcnt(2)
	v_pk_add_f32 v[2:3], v[18:19], v[2:3]
	s_waitcnt lgkmcnt(0)
	v_pk_add_f32 v[6:7], v[12:13], v[6:7]
	s_waitcnt vmcnt(0)
	v_and_b32_e32 v4, 0x3c1, v4
	v_cmp_eq_u32_e32 vcc, 64, v4
	s_and_saveexec_b64 s[4:5], vcc
	s_cbranch_execz .LBB358_1638
; %bb.1637:
	s_load_dword s8, s[6:7], 0x0
	s_waitcnt lgkmcnt(0)
	v_lshl_add_u32 v4, v45, 1, s8
	ds_write2_b32 v4, v8, v9 offset1:32
	ds_write2_b32 v4, v2, v3 offset0:64 offset1:96
	ds_write2_b32 v4, v0, v1 offset0:128 offset1:160
	ds_write2_b32 v4, v6, v7 offset0:192 offset1:224
.LBB358_1638:
	s_or_b64 exec, exec, s[4:5]
	s_waitcnt lgkmcnt(0)
	s_barrier
	buffer_load_dword v4, off, s[0:3], s32 offset:268 ; 4-byte Folded Reload
	s_waitcnt vmcnt(0)
	v_cmp_gt_u32_e32 vcc, 64, v4
	s_and_saveexec_b64 s[8:9], vcc
	s_cbranch_execz .LBB358_1649
; %bb.1639:
	buffer_load_dword v4, off, s[0:3], s32 offset:268 ; 4-byte Folded Reload
	v_cmp_eq_u32_e64 s[4:5], 0, v10
	s_waitcnt vmcnt(0)
	v_lshrrev_b32_e32 v4, 1, v4
	s_and_saveexec_b64 s[10:11], s[4:5]
	s_cbranch_execnz .LBB358_1685
; %bb.1640:
	s_or_b64 exec, exec, s[10:11]
	s_and_saveexec_b64 s[10:11], s[4:5]
	s_cbranch_execnz .LBB358_1686
.LBB358_1641:
	s_or_b64 exec, exec, s[10:11]
	s_and_saveexec_b64 s[10:11], s[4:5]
	s_cbranch_execnz .LBB358_1687
.LBB358_1642:
	s_or_b64 exec, exec, s[10:11]
	s_and_saveexec_b64 s[10:11], s[4:5]
	s_cbranch_execnz .LBB358_1688
.LBB358_1643:
	s_or_b64 exec, exec, s[10:11]
	s_and_saveexec_b64 s[10:11], s[4:5]
	s_cbranch_execnz .LBB358_1689
.LBB358_1644:
	s_or_b64 exec, exec, s[10:11]
	s_and_saveexec_b64 s[10:11], s[4:5]
	s_cbranch_execnz .LBB358_1690
.LBB358_1645:
	s_or_b64 exec, exec, s[10:11]
	s_and_saveexec_b64 s[10:11], s[4:5]
	s_cbranch_execnz .LBB358_1691
.LBB358_1646:
	s_or_b64 exec, exec, s[10:11]
	s_and_saveexec_b64 s[10:11], s[4:5]
	s_cbranch_execz .LBB358_1648
.LBB358_1647:
	s_load_dword s4, s[6:7], 0x0
	s_waitcnt lgkmcnt(0)
	v_lshl_add_u32 v4, v4, 2, s4
	ds_read_b32 v4, v4 offset:896
	s_waitcnt lgkmcnt(0)
	v_add_f32_e32 v7, v7, v4
.LBB358_1648:
	s_or_b64 exec, exec, s[10:11]
.LBB358_1649:
	s_or_b64 exec, exec, s[8:9]
	s_barrier
	s_and_b64 exec, exec, vcc
	s_cbranch_execz .LBB358_1684
; %bb.1650:
	v_cmp_eq_u32_e32 vcc, 0, v10
	s_and_b64 exec, exec, vcc
	s_cbranch_execz .LBB358_1684
; %bb.1651:
	s_mov_b32 s4, 0x7f800000
	v_and_b32_e32 v4, 0x7f800000, v8
	v_cmp_ne_u32_e32 vcc, s4, v4
                                        ; implicit-def: $vgpr4
	s_and_saveexec_b64 s[4:5], vcc
	s_xor_b64 s[4:5], exec, s[4:5]
; %bb.1652:
	v_bfe_u32 v4, v8, 16, 1
	s_movk_i32 s6, 0x7fff
	v_add3_u32 v4, v8, v4, s6
; %bb.1653:
	s_andn2_saveexec_b64 s[4:5], s[4:5]
; %bb.1654:
	v_mov_b32_e32 v4, 0
	v_or_b32_e32 v5, 0x10000, v8
	v_cmp_eq_u32_sdwa vcc, v8, v4 src0_sel:WORD_0 src1_sel:DWORD
	v_cndmask_b32_e32 v4, v5, v8, vcc
; %bb.1655:
	s_or_b64 exec, exec, s[4:5]
	buffer_load_dword v8, off, s[0:3], s32 offset:332 ; 4-byte Folded Reload
	buffer_load_dword v10, off, s[0:3], s32 offset:328 ; 4-byte Folded Reload
	s_mul_i32 s4, s21, s18
	s_mul_i32 s4, s4, s19
	s_lshl_b32 s4, s4, 8
	s_mul_i32 s6, s20, s21
	s_lshl_b32 s8, s14, 8
	s_ashr_i32 s5, s4, 31
	s_ashr_i32 s7, s6, 31
	;; [unrolled: 1-line block ×3, first 2 shown]
	s_lshl_b64 s[4:5], s[4:5], 1
	s_lshl_b64 s[6:7], s[6:7], 1
	;; [unrolled: 1-line block ×3, first 2 shown]
	s_add_u32 s6, s8, s6
	s_addc_u32 s7, s9, s7
	s_add_u32 s4, s6, s4
	s_addc_u32 s5, s7, s5
	v_mov_b32_e32 v5, s5
	s_waitcnt vmcnt(1)
	v_add_co_u32_e32 v8, vcc, s4, v8
	s_waitcnt vmcnt(0)
	v_addc_co_u32_e32 v5, vcc, v5, v10, vcc
	buffer_load_dword v10, off, s[0:3], s32 offset:268 ; 4-byte Folded Reload
	s_mov_b32 s4, 0x7f800000
	s_waitcnt vmcnt(0)
	v_and_b32_e32 v10, 0x3fe, v10
	v_add_co_u32_e32 v10, vcc, v8, v10
	v_addc_co_u32_e32 v11, vcc, 0, v5, vcc
	flat_store_short_d16_hi v[10:11], v4
	v_and_b32_e32 v4, 0x7f800000, v9
	v_cmp_ne_u32_e32 vcc, s4, v4
                                        ; implicit-def: $vgpr4
	s_and_saveexec_b64 s[4:5], vcc
	s_xor_b64 s[4:5], exec, s[4:5]
; %bb.1656:
	v_bfe_u32 v4, v9, 16, 1
	s_movk_i32 s6, 0x7fff
	v_add3_u32 v4, v9, v4, s6
; %bb.1657:
	s_andn2_saveexec_b64 s[4:5], s[4:5]
; %bb.1658:
	v_mov_b32_e32 v4, 0
	v_or_b32_e32 v5, 0x10000, v9
	v_cmp_eq_u32_sdwa vcc, v9, v4 src0_sel:WORD_0 src1_sel:DWORD
	v_cndmask_b32_e32 v4, v5, v9, vcc
; %bb.1659:
	s_or_b64 exec, exec, s[4:5]
	flat_store_short_d16_hi v[10:11], v4 offset:64
	s_mov_b32 s4, 0x7f800000
	v_and_b32_e32 v4, 0x7f800000, v2
	v_cmp_ne_u32_e32 vcc, s4, v4
                                        ; implicit-def: $vgpr4
	s_and_saveexec_b64 s[4:5], vcc
	s_xor_b64 s[4:5], exec, s[4:5]
; %bb.1660:
	v_bfe_u32 v4, v2, 16, 1
	s_movk_i32 s6, 0x7fff
	v_add3_u32 v4, v2, v4, s6
; %bb.1661:
	s_andn2_saveexec_b64 s[4:5], s[4:5]
; %bb.1662:
	v_mov_b32_e32 v4, 0
	v_or_b32_e32 v5, 0x10000, v2
	v_cmp_eq_u32_sdwa vcc, v2, v4 src0_sel:WORD_0 src1_sel:DWORD
	v_cndmask_b32_e32 v4, v5, v2, vcc
; %bb.1663:
	s_or_b64 exec, exec, s[4:5]
	s_mov_b32 s4, 0x7f800000
	v_and_b32_e32 v2, 0x7f800000, v3
	v_cmp_ne_u32_e32 vcc, s4, v2
	flat_store_short_d16_hi v[10:11], v4 offset:128
                                        ; implicit-def: $vgpr2
	s_and_saveexec_b64 s[4:5], vcc
	s_xor_b64 s[4:5], exec, s[4:5]
; %bb.1664:
	v_bfe_u32 v2, v3, 16, 1
	s_movk_i32 s6, 0x7fff
	v_add3_u32 v2, v3, v2, s6
; %bb.1665:
	s_andn2_saveexec_b64 s[4:5], s[4:5]
; %bb.1666:
	v_mov_b32_e32 v2, 0
	v_or_b32_e32 v4, 0x10000, v3
	v_cmp_eq_u32_sdwa vcc, v3, v2 src0_sel:WORD_0 src1_sel:DWORD
	v_cndmask_b32_e32 v2, v4, v3, vcc
; %bb.1667:
	s_or_b64 exec, exec, s[4:5]
	flat_store_short_d16_hi v[10:11], v2 offset:192
	s_mov_b32 s4, 0x7f800000
	v_and_b32_e32 v2, 0x7f800000, v0
	v_cmp_ne_u32_e32 vcc, s4, v2
                                        ; implicit-def: $vgpr2
	s_and_saveexec_b64 s[4:5], vcc
	s_xor_b64 s[4:5], exec, s[4:5]
; %bb.1668:
	v_bfe_u32 v2, v0, 16, 1
	s_movk_i32 s6, 0x7fff
	v_add3_u32 v2, v0, v2, s6
; %bb.1669:
	s_andn2_saveexec_b64 s[4:5], s[4:5]
; %bb.1670:
	v_mov_b32_e32 v2, 0
	v_or_b32_e32 v3, 0x10000, v0
	v_cmp_eq_u32_sdwa vcc, v0, v2 src0_sel:WORD_0 src1_sel:DWORD
	v_cndmask_b32_e32 v2, v3, v0, vcc
; %bb.1671:
	s_or_b64 exec, exec, s[4:5]
	s_mov_b32 s4, 0x7f800000
	v_and_b32_e32 v0, 0x7f800000, v1
	v_cmp_ne_u32_e32 vcc, s4, v0
	flat_store_short_d16_hi v[10:11], v2 offset:256
                                        ; implicit-def: $vgpr0
	s_and_saveexec_b64 s[4:5], vcc
	s_xor_b64 s[4:5], exec, s[4:5]
; %bb.1672:
	v_bfe_u32 v0, v1, 16, 1
	s_movk_i32 s6, 0x7fff
	v_add3_u32 v0, v1, v0, s6
; %bb.1673:
	s_andn2_saveexec_b64 s[4:5], s[4:5]
; %bb.1674:
	v_mov_b32_e32 v0, 0
	v_or_b32_e32 v2, 0x10000, v1
	v_cmp_eq_u32_sdwa vcc, v1, v0 src0_sel:WORD_0 src1_sel:DWORD
	v_cndmask_b32_e32 v0, v2, v1, vcc
; %bb.1675:
	s_or_b64 exec, exec, s[4:5]
	flat_store_short_d16_hi v[10:11], v0 offset:320
	s_mov_b32 s4, 0x7f800000
	v_and_b32_e32 v0, 0x7f800000, v6
	v_cmp_ne_u32_e32 vcc, s4, v0
                                        ; implicit-def: $vgpr0
	s_and_saveexec_b64 s[4:5], vcc
	s_xor_b64 s[4:5], exec, s[4:5]
; %bb.1676:
	v_bfe_u32 v0, v6, 16, 1
	s_movk_i32 s6, 0x7fff
	v_add3_u32 v0, v6, v0, s6
; %bb.1677:
	s_andn2_saveexec_b64 s[4:5], s[4:5]
; %bb.1678:
	v_mov_b32_e32 v0, 0
	v_or_b32_e32 v1, 0x10000, v6
	v_cmp_eq_u32_sdwa vcc, v6, v0 src0_sel:WORD_0 src1_sel:DWORD
	v_cndmask_b32_e32 v0, v1, v6, vcc
; %bb.1679:
	s_or_b64 exec, exec, s[4:5]
	flat_store_short_d16_hi v[10:11], v0 offset:384
	s_mov_b32 s4, 0x7f800000
	v_and_b32_e32 v0, 0x7f800000, v7
	v_cmp_ne_u32_e32 vcc, s4, v0
                                        ; implicit-def: $vgpr8
	s_and_saveexec_b64 s[4:5], vcc
	s_xor_b64 s[4:5], exec, s[4:5]
; %bb.1680:
	v_bfe_u32 v0, v7, 16, 1
	s_movk_i32 s6, 0x7fff
	v_add3_u32 v8, v7, v0, s6
                                        ; implicit-def: $vgpr0_vgpr1_vgpr2_vgpr3_vgpr4_vgpr5_vgpr6_vgpr7
; %bb.1681:
	s_andn2_saveexec_b64 s[4:5], s[4:5]
; %bb.1682:
	v_mov_b32_e32 v0, 0
	v_or_b32_e32 v1, 0x10000, v7
	v_cmp_eq_u32_sdwa vcc, v7, v0 src0_sel:WORD_0 src1_sel:DWORD
	v_cndmask_b32_e32 v8, v1, v7, vcc
; %bb.1683:
	s_or_b64 exec, exec, s[4:5]
	flat_store_short_d16_hi v[10:11], v8 offset:448
.LBB358_1684:
	s_or_b64 exec, exec, s[16:17]
	buffer_load_dword a63, off, s[0:3], s32 offset:8 ; 4-byte Folded Reload
	buffer_load_dword a62, off, s[0:3], s32 offset:12 ; 4-byte Folded Reload
	;; [unrolled: 1-line block ×47, first 2 shown]
	v_readlane_b32 s30, v63, 9
	v_readlane_b32 s31, v63, 10
	;; [unrolled: 1-line block ×11, first 2 shown]
	s_or_saveexec_b64 s[4:5], -1
	buffer_load_dword v63, off, s[0:3], s32 offset:404 ; 4-byte Folded Reload
	s_mov_b64 exec, s[4:5]
	s_waitcnt vmcnt(0) lgkmcnt(0)
	s_setpc_b64 s[30:31]
.LBB358_1685:
	s_load_dword s12, s[6:7], 0x0
	s_waitcnt lgkmcnt(0)
	v_lshl_add_u32 v5, v4, 2, s12
	ds_read_b32 v5, v5
	s_waitcnt lgkmcnt(0)
	v_add_f32_e32 v8, v8, v5
	s_or_b64 exec, exec, s[10:11]
	s_and_saveexec_b64 s[10:11], s[4:5]
	s_cbranch_execz .LBB358_1641
.LBB358_1686:
	s_load_dword s12, s[6:7], 0x0
	s_waitcnt lgkmcnt(0)
	v_lshl_add_u32 v5, v4, 2, s12
	ds_read_b32 v5, v5 offset:128
	s_waitcnt lgkmcnt(0)
	v_add_f32_e32 v9, v9, v5
	s_or_b64 exec, exec, s[10:11]
	s_and_saveexec_b64 s[10:11], s[4:5]
	s_cbranch_execz .LBB358_1642
.LBB358_1687:
	s_load_dword s12, s[6:7], 0x0
	s_waitcnt lgkmcnt(0)
	v_lshl_add_u32 v5, v4, 2, s12
	ds_read_b32 v5, v5 offset:256
	s_waitcnt lgkmcnt(0)
	v_add_f32_e32 v2, v2, v5
	s_or_b64 exec, exec, s[10:11]
	s_and_saveexec_b64 s[10:11], s[4:5]
	s_cbranch_execz .LBB358_1643
.LBB358_1688:
	s_load_dword s12, s[6:7], 0x0
	s_waitcnt lgkmcnt(0)
	v_lshl_add_u32 v5, v4, 2, s12
	ds_read_b32 v5, v5 offset:384
	s_waitcnt lgkmcnt(0)
	v_add_f32_e32 v3, v3, v5
	s_or_b64 exec, exec, s[10:11]
	s_and_saveexec_b64 s[10:11], s[4:5]
	s_cbranch_execz .LBB358_1644
.LBB358_1689:
	s_load_dword s12, s[6:7], 0x0
	s_waitcnt lgkmcnt(0)
	v_lshl_add_u32 v5, v4, 2, s12
	ds_read_b32 v5, v5 offset:512
	s_waitcnt lgkmcnt(0)
	v_add_f32_e32 v0, v0, v5
	s_or_b64 exec, exec, s[10:11]
	s_and_saveexec_b64 s[10:11], s[4:5]
	s_cbranch_execz .LBB358_1645
.LBB358_1690:
	s_load_dword s12, s[6:7], 0x0
	s_waitcnt lgkmcnt(0)
	v_lshl_add_u32 v5, v4, 2, s12
	ds_read_b32 v5, v5 offset:640
	s_waitcnt lgkmcnt(0)
	v_add_f32_e32 v1, v1, v5
	s_or_b64 exec, exec, s[10:11]
	s_and_saveexec_b64 s[10:11], s[4:5]
	s_cbranch_execz .LBB358_1646
.LBB358_1691:
	s_load_dword s12, s[6:7], 0x0
	s_waitcnt lgkmcnt(0)
	v_lshl_add_u32 v5, v4, 2, s12
	ds_read_b32 v5, v5 offset:768
	s_waitcnt lgkmcnt(0)
	v_add_f32_e32 v6, v6, v5
	s_or_b64 exec, exec, s[10:11]
	s_and_saveexec_b64 s[10:11], s[4:5]
	s_cbranch_execnz .LBB358_1647
	s_branch .LBB358_1648
.Lfunc_end358:
	.size	_ZN4vllm22paged_attention_kernelI14__hip_bfloat16hLi256ELi16ELi128ELNS_18Fp8KVCacheDataTypeE1ELb1ELi512EEEvPfS3_PT_PKS4_PKT0_SA_ifPKiSC_iPKfiiiSE_SE_iiiii, .Lfunc_end358-_ZN4vllm22paged_attention_kernelI14__hip_bfloat16hLi256ELi16ELi128ELNS_18Fp8KVCacheDataTypeE1ELb1ELi512EEEvPfS3_PT_PKS4_PKT0_SA_ifPKiSC_iPKfiiiSE_SE_iiiii
                                        ; -- End function
	.section	.AMDGPU.csdata,"",@progbits
; Function info:
; codeLenInByte = 53756
; NumSgprs: 47
; NumVgprs: 64
; NumAgprs: 64
; TotalNumVgprs: 128
; ScratchSize: 412
; MemoryBound: 0
	.section	.text._ZN4vllm25paged_attention_v2_kernelI14__hip_bfloat16hLi256ELi16ELi128ELNS_18Fp8KVCacheDataTypeE1ELb1ELi512EEEvPfS3_PT_PKS4_PKT0_SA_ifPKiSC_iPKfiiiSE_SE_iiiii,"axG",@progbits,_ZN4vllm25paged_attention_v2_kernelI14__hip_bfloat16hLi256ELi16ELi128ELNS_18Fp8KVCacheDataTypeE1ELb1ELi512EEEvPfS3_PT_PKS4_PKT0_SA_ifPKiSC_iPKfiiiSE_SE_iiiii,comdat
	.protected	_ZN4vllm25paged_attention_v2_kernelI14__hip_bfloat16hLi256ELi16ELi128ELNS_18Fp8KVCacheDataTypeE1ELb1ELi512EEEvPfS3_PT_PKS4_PKT0_SA_ifPKiSC_iPKfiiiSE_SE_iiiii ; -- Begin function _ZN4vllm25paged_attention_v2_kernelI14__hip_bfloat16hLi256ELi16ELi128ELNS_18Fp8KVCacheDataTypeE1ELb1ELi512EEEvPfS3_PT_PKS4_PKT0_SA_ifPKiSC_iPKfiiiSE_SE_iiiii
	.globl	_ZN4vllm25paged_attention_v2_kernelI14__hip_bfloat16hLi256ELi16ELi128ELNS_18Fp8KVCacheDataTypeE1ELb1ELi512EEEvPfS3_PT_PKS4_PKT0_SA_ifPKiSC_iPKfiiiSE_SE_iiiii
	.p2align	8
	.type	_ZN4vllm25paged_attention_v2_kernelI14__hip_bfloat16hLi256ELi16ELi128ELNS_18Fp8KVCacheDataTypeE1ELb1ELi512EEEvPfS3_PT_PKS4_PKT0_SA_ifPKiSC_iPKfiiiSE_SE_iiiii,@function
_ZN4vllm25paged_attention_v2_kernelI14__hip_bfloat16hLi256ELi16ELi128ELNS_18Fp8KVCacheDataTypeE1ELb1ELi512EEEvPfS3_PT_PKS4_PKT0_SA_ifPKiSC_iPKfiiiSE_SE_iiiii: ; @_ZN4vllm25paged_attention_v2_kernelI14__hip_bfloat16hLi256ELi16ELi128ELNS_18Fp8KVCacheDataTypeE1ELb1ELi512EEEvPfS3_PT_PKS4_PKT0_SA_ifPKiSC_iPKfiiiSE_SE_iiiii
; %bb.0:
	s_add_u32 flat_scratch_lo, s6, s11
	s_addc_u32 flat_scratch_hi, s7, 0
	s_add_u32 s0, s0, s11
	s_mov_b32 s12, s8
	s_load_dwordx8 s[24:31], s[4:5], 0x0
	s_load_dwordx8 s[16:23], s[4:5], 0x20
	s_load_dwordx2 s[6:7], s[4:5], 0x40
	s_load_dwordx4 s[44:47], s[4:5], 0x78
	s_load_dwordx2 s[34:35], s[4:5], 0x50
	s_load_dword s11, s[4:5], 0x48
	s_load_dword s8, s[4:5], 0x88
	s_load_dwordx8 s[36:43], s[4:5], 0x58
	s_mov_b32 s32, 0
	s_addc_u32 s1, s1, 0
	s_waitcnt lgkmcnt(0)
	v_mov_b32_e32 v1, s47
	buffer_store_dword v1, off, s[0:3], s32
	v_mov_b32_e32 v1, s8
	s_add_u32 s8, s4, 0x90
	s_mov_b32 s13, s9
	buffer_store_dword v1, off, s[0:3], s32 offset:4
	s_addc_u32 s9, s5, 0
	s_mov_b32 s14, s10
	s_mov_b32 s15, 17
	v_mov_b32_e32 v31, v0
	v_mov_b32_e32 v0, s24
	;; [unrolled: 1-line block ×32, first 2 shown]
	s_getpc_b64 s[4:5]
	s_add_u32 s4, s4, _ZN4vllm22paged_attention_kernelI14__hip_bfloat16hLi256ELi16ELi128ELNS_18Fp8KVCacheDataTypeE1ELb1ELi512EEEvPfS3_PT_PKS4_PKT0_SA_ifPKiSC_iPKfiiiSE_SE_iiiii@rel32@lo+4
	s_addc_u32 s5, s5, _ZN4vllm22paged_attention_kernelI14__hip_bfloat16hLi256ELi16ELi128ELNS_18Fp8KVCacheDataTypeE1ELb1ELi512EEEvPfS3_PT_PKS4_PKT0_SA_ifPKiSC_iPKfiiiSE_SE_iiiii@rel32@hi+12
	s_swappc_b64 s[30:31], s[4:5]
	s_endpgm
	.section	.rodata,"a",@progbits
	.p2align	6, 0x0
	.amdhsa_kernel _ZN4vllm25paged_attention_v2_kernelI14__hip_bfloat16hLi256ELi16ELi128ELNS_18Fp8KVCacheDataTypeE1ELb1ELi512EEEvPfS3_PT_PKS4_PKT0_SA_ifPKiSC_iPKfiiiSE_SE_iiiii
		.amdhsa_group_segment_fixed_size 528
		.amdhsa_private_segment_fixed_size 412
		.amdhsa_kernarg_size 400
		.amdhsa_user_sgpr_count 8
		.amdhsa_user_sgpr_private_segment_buffer 1
		.amdhsa_user_sgpr_dispatch_ptr 0
		.amdhsa_user_sgpr_queue_ptr 0
		.amdhsa_user_sgpr_kernarg_segment_ptr 1
		.amdhsa_user_sgpr_dispatch_id 0
		.amdhsa_user_sgpr_flat_scratch_init 1
		.amdhsa_user_sgpr_kernarg_preload_length 0
		.amdhsa_user_sgpr_kernarg_preload_offset 0
		.amdhsa_user_sgpr_private_segment_size 0
		.amdhsa_uses_dynamic_stack 0
		.amdhsa_system_sgpr_private_segment_wavefront_offset 1
		.amdhsa_system_sgpr_workgroup_id_x 1
		.amdhsa_system_sgpr_workgroup_id_y 1
		.amdhsa_system_sgpr_workgroup_id_z 1
		.amdhsa_system_sgpr_workgroup_info 0
		.amdhsa_system_vgpr_workitem_id 0
		.amdhsa_next_free_vgpr 128
		.amdhsa_next_free_sgpr 48
		.amdhsa_accum_offset 64
		.amdhsa_reserve_vcc 1
		.amdhsa_reserve_flat_scratch 1
		.amdhsa_float_round_mode_32 0
		.amdhsa_float_round_mode_16_64 0
		.amdhsa_float_denorm_mode_32 3
		.amdhsa_float_denorm_mode_16_64 3
		.amdhsa_dx10_clamp 1
		.amdhsa_ieee_mode 1
		.amdhsa_fp16_overflow 0
		.amdhsa_tg_split 0
		.amdhsa_exception_fp_ieee_invalid_op 0
		.amdhsa_exception_fp_denorm_src 0
		.amdhsa_exception_fp_ieee_div_zero 0
		.amdhsa_exception_fp_ieee_overflow 0
		.amdhsa_exception_fp_ieee_underflow 0
		.amdhsa_exception_fp_ieee_inexact 0
		.amdhsa_exception_int_div_zero 0
	.end_amdhsa_kernel
	.section	.text._ZN4vllm25paged_attention_v2_kernelI14__hip_bfloat16hLi256ELi16ELi128ELNS_18Fp8KVCacheDataTypeE1ELb1ELi512EEEvPfS3_PT_PKS4_PKT0_SA_ifPKiSC_iPKfiiiSE_SE_iiiii,"axG",@progbits,_ZN4vllm25paged_attention_v2_kernelI14__hip_bfloat16hLi256ELi16ELi128ELNS_18Fp8KVCacheDataTypeE1ELb1ELi512EEEvPfS3_PT_PKS4_PKT0_SA_ifPKiSC_iPKfiiiSE_SE_iiiii,comdat
.Lfunc_end359:
	.size	_ZN4vllm25paged_attention_v2_kernelI14__hip_bfloat16hLi256ELi16ELi128ELNS_18Fp8KVCacheDataTypeE1ELb1ELi512EEEvPfS3_PT_PKS4_PKT0_SA_ifPKiSC_iPKfiiiSE_SE_iiiii, .Lfunc_end359-_ZN4vllm25paged_attention_v2_kernelI14__hip_bfloat16hLi256ELi16ELi128ELNS_18Fp8KVCacheDataTypeE1ELb1ELi512EEEvPfS3_PT_PKS4_PKT0_SA_ifPKiSC_iPKfiiiSE_SE_iiiii
                                        ; -- End function
	.section	.AMDGPU.csdata,"",@progbits
; Kernel info:
; codeLenInByte = 296
; NumSgprs: 54
; NumVgprs: 64
; NumAgprs: 64
; TotalNumVgprs: 128
; ScratchSize: 412
; MemoryBound: 0
; FloatMode: 240
; IeeeMode: 1
; LDSByteSize: 528 bytes/workgroup (compile time only)
; SGPRBlocks: 6
; VGPRBlocks: 15
; NumSGPRsForWavesPerEU: 54
; NumVGPRsForWavesPerEU: 128
; AccumOffset: 64
; Occupancy: 4
; WaveLimiterHint : 1
; COMPUTE_PGM_RSRC2:SCRATCH_EN: 1
; COMPUTE_PGM_RSRC2:USER_SGPR: 8
; COMPUTE_PGM_RSRC2:TRAP_HANDLER: 0
; COMPUTE_PGM_RSRC2:TGID_X_EN: 1
; COMPUTE_PGM_RSRC2:TGID_Y_EN: 1
; COMPUTE_PGM_RSRC2:TGID_Z_EN: 1
; COMPUTE_PGM_RSRC2:TIDIG_COMP_CNT: 0
; COMPUTE_PGM_RSRC3_GFX90A:ACCUM_OFFSET: 15
; COMPUTE_PGM_RSRC3_GFX90A:TG_SPLIT: 0
	.section	.text._ZN4vllm25paged_attention_v2_kernelI14__hip_bfloat16hLi32ELi16ELi128ELNS_18Fp8KVCacheDataTypeE1ELb0ELi512EEEvPfS3_PT_PKS4_PKT0_SA_ifPKiSC_iPKfiiiSE_SE_iiiii,"axG",@progbits,_ZN4vllm25paged_attention_v2_kernelI14__hip_bfloat16hLi32ELi16ELi128ELNS_18Fp8KVCacheDataTypeE1ELb0ELi512EEEvPfS3_PT_PKS4_PKT0_SA_ifPKiSC_iPKfiiiSE_SE_iiiii,comdat
	.protected	_ZN4vllm25paged_attention_v2_kernelI14__hip_bfloat16hLi32ELi16ELi128ELNS_18Fp8KVCacheDataTypeE1ELb0ELi512EEEvPfS3_PT_PKS4_PKT0_SA_ifPKiSC_iPKfiiiSE_SE_iiiii ; -- Begin function _ZN4vllm25paged_attention_v2_kernelI14__hip_bfloat16hLi32ELi16ELi128ELNS_18Fp8KVCacheDataTypeE1ELb0ELi512EEEvPfS3_PT_PKS4_PKT0_SA_ifPKiSC_iPKfiiiSE_SE_iiiii
	.globl	_ZN4vllm25paged_attention_v2_kernelI14__hip_bfloat16hLi32ELi16ELi128ELNS_18Fp8KVCacheDataTypeE1ELb0ELi512EEEvPfS3_PT_PKS4_PKT0_SA_ifPKiSC_iPKfiiiSE_SE_iiiii
	.p2align	8
	.type	_ZN4vllm25paged_attention_v2_kernelI14__hip_bfloat16hLi32ELi16ELi128ELNS_18Fp8KVCacheDataTypeE1ELb0ELi512EEEvPfS3_PT_PKS4_PKT0_SA_ifPKiSC_iPKfiiiSE_SE_iiiii,@function
_ZN4vllm25paged_attention_v2_kernelI14__hip_bfloat16hLi32ELi16ELi128ELNS_18Fp8KVCacheDataTypeE1ELb0ELi512EEEvPfS3_PT_PKS4_PKT0_SA_ifPKiSC_iPKfiiiSE_SE_iiiii: ; @_ZN4vllm25paged_attention_v2_kernelI14__hip_bfloat16hLi32ELi16ELi128ELNS_18Fp8KVCacheDataTypeE1ELb0ELi512EEEvPfS3_PT_PKS4_PKT0_SA_ifPKiSC_iPKfiiiSE_SE_iiiii
; %bb.0:
	s_load_dwordx2 s[0:1], s[4:5], 0x40
	s_mov_b32 s28, s7
	s_ashr_i32 s29, s7, 31
	s_lshl_b64 s[2:3], s[28:29], 2
	s_waitcnt lgkmcnt(0)
	s_add_u32 s0, s0, s2
	s_addc_u32 s1, s1, s3
	s_load_dword s29, s[0:1], 0x0
	s_lshl_b32 s44, s8, 9
	s_waitcnt lgkmcnt(0)
	s_cmp_ge_i32 s44, s29
	s_cbranch_scc1 .LBB360_280
; %bb.1:
	s_load_dword s9, s[4:5], 0x90
	s_load_dwordx2 s[10:11], s[4:5], 0x30
	s_waitcnt lgkmcnt(0)
	s_abs_i32 s2, s9
	s_abs_i32 s0, s10
	v_cvt_f32_u32_e32 v1, s0
	s_sub_i32 s3, 0, s0
	s_xor_b32 s1, s9, s10
	s_ashr_i32 s1, s1, 31
	v_rcp_iflag_f32_e32 v1, v1
	v_mul_f32_e32 v1, 0x4f7ffffe, v1
	v_cvt_u32_f32_e32 v1, v1
	v_readfirstlane_b32 s7, v1
	s_mul_i32 s3, s3, s7
	s_mul_hi_u32 s3, s7, s3
	s_add_i32 s7, s7, s3
	s_mul_hi_u32 s3, s2, s7
	s_mul_i32 s7, s3, s0
	s_sub_i32 s2, s2, s7
	s_add_i32 s10, s3, 1
	s_sub_i32 s7, s2, s0
	s_cmp_ge_u32 s2, s0
	s_cselect_b32 s3, s10, s3
	s_cselect_b32 s2, s7, s2
	s_add_i32 s7, s3, 1
	s_cmp_ge_u32 s2, s0
	s_cselect_b32 s0, s7, s3
	s_xor_b32 s0, s0, s1
	s_sub_i32 s18, s0, s1
	s_abs_i32 s2, s18
	v_cvt_f32_u32_e32 v1, s2
	s_load_dwordx2 s[0:1], s[4:5], 0x50
	s_sub_i32 s7, 0, s2
	s_abs_i32 s3, s6
	v_rcp_iflag_f32_e32 v1, v1
	s_mov_b32 s10, 0
	v_mul_f32_e32 v1, 0x4f7ffffe, v1
	v_cvt_u32_f32_e32 v1, v1
	v_readfirstlane_b32 s12, v1
	s_mul_i32 s7, s7, s12
	s_mul_hi_u32 s7, s12, s7
	s_add_i32 s12, s12, s7
	s_waitcnt lgkmcnt(0)
	s_cmp_eq_u64 s[0:1], 0
	s_mul_hi_u32 s16, s3, s12
	s_cbranch_scc1 .LBB360_3
; %bb.2:
	s_ashr_i32 s7, s6, 31
	s_lshl_b64 s[12:13], s[6:7], 2
	s_add_u32 s0, s0, s12
	s_addc_u32 s1, s1, s13
	s_load_dword s10, s[0:1], 0x0
.LBB360_3:
	s_load_dwordx4 s[12:15], s[4:5], 0x58
	s_ashr_i32 s17, s6, 31
	s_waitcnt lgkmcnt(0)
	s_ashr_i32 s15, s18, 31
	v_and_b32_e32 v6, 3, v0
	s_lshl_b32 s24, s6, 5
	v_cmp_gt_u32_e32 vcc, 16, v0
	s_and_saveexec_b64 s[0:1], vcc
	s_cbranch_execz .LBB360_5
; %bb.4:
	s_load_dwordx2 s[18:19], s[4:5], 0x18
	s_mul_i32 s20, s28, s12
	s_ashr_i32 s21, s20, 31
	s_lshl_b64 s[20:21], s[20:21], 1
	v_lshlrev_b32_e32 v1, 2, v0
	s_waitcnt lgkmcnt(0)
	s_add_u32 s7, s18, s20
	s_addc_u32 s12, s19, s21
	s_ashr_i32 s25, s24, 31
	s_lshl_b64 s[18:19], s[24:25], 1
	s_add_u32 s18, s7, s18
	s_addc_u32 s19, s12, s19
	global_load_dword v1, v1, s[18:19]
	v_and_b32_e32 v2, 0x3fc, v0
	v_lshl_add_u32 v2, v6, 4, v2
	s_waitcnt vmcnt(0)
	ds_write_b32 v2, v1
.LBB360_5:
	s_or_b64 exec, exec, s[0:1]
	s_add_i32 s0, s29, 15
	s_ashr_i32 s1, s0, 31
	s_lshr_b32 s1, s1, 28
	s_add_i32 s0, s0, s1
	s_lshl_b32 s12, s8, 5
	s_mul_i32 s1, s16, s2
	s_ashr_i32 s7, s0, 4
	s_add_i32 s0, s12, 32
	s_sub_i32 s1, s3, s1
	s_min_i32 s33, s0, s7
	s_xor_b32 s0, s17, s15
	s_add_i32 s3, s16, 1
	s_sub_i32 s15, s1, s2
	s_cmp_ge_u32 s1, s2
	s_cselect_b32 s3, s3, s16
	s_cselect_b32 s1, s15, s1
	s_add_i32 s15, s3, 1
	s_cmp_ge_u32 s1, s2
	s_load_dwordx2 s[30:31], s[4:5], 0x38
	s_load_dword s2, s[4:5], 0x48
	v_lshrrev_b32_e32 v5, 6, v0
	s_cselect_b32 s1, s15, s3
	s_xor_b32 s1, s1, s0
	v_or_b32_e32 v10, s12, v5
	s_waitcnt lgkmcnt(0)
	s_mul_i32 s34, s28, s2
	s_sub_i32 s45, s1, s0
	s_ashr_i32 s35, s34, 31
	v_cmp_gt_i32_e64 s[0:1], s33, v10
	v_cmp_le_i32_e32 vcc, s33, v10
	v_mbcnt_lo_u32_b32 v7, -1, 0
	s_barrier
	s_waitcnt lgkmcnt(0)
                                        ; implicit-def: $sgpr15
                                        ; implicit-def: $vgpr13
                                        ; implicit-def: $vgpr15
	s_and_saveexec_b64 s[2:3], vcc
	s_xor_b64 s[2:3], exec, s[2:3]
; %bb.6:
	v_mbcnt_hi_u32_b32 v13, -1, v7
	v_and_b32_e32 v1, 64, v13
	v_add_u32_e32 v15, 64, v1
	s_mov_b32 s15, 0xff7fffff
                                        ; implicit-def: $vgpr6
                                        ; implicit-def: $vgpr7
; %bb.7:
	s_or_saveexec_b64 s[38:39], s[2:3]
	s_load_dwordx4 s[20:23], s[4:5], 0x0
	s_load_dwordx2 s[26:27], s[4:5], 0x10
	s_load_dword s25, s[4:5], 0x98
	s_load_dwordx2 s[36:37], s[4:5], 0x28
	s_load_dwordx4 s[16:19], s[4:5], 0x68
	v_mov_b32_e32 v24, s15
	s_mul_i32 s45, s45, s14
	v_ashrrev_i32_e32 v11, 31, v10
	s_xor_b64 exec, exec, s[38:39]
	s_cbranch_execz .LBB360_93
; %bb.8:
	s_load_dwordx2 s[2:3], s[4:5], 0x20
	v_lshlrev_b32_e32 v4, 4, v6
	ds_read_b128 v[12:15], v4
	s_ashr_i32 s4, s45, 31
	v_bfe_u32 v8, v0, 2, 4
	s_waitcnt lgkmcnt(0)
	s_add_u32 s2, s2, s45
	v_lshlrev_b32_e32 v2, 4, v8
	s_addc_u32 s3, s3, s4
	v_lshlrev_b32_e32 v18, 16, v13
	v_and_b32_e32 v19, 0xffff0000, v13
	v_mbcnt_hi_u32_b32 v13, -1, v7
	v_mov_b32_e32 v3, s3
	v_add_co_u32_e32 v2, vcc, s2, v2
	v_and_b32_e32 v7, 64, v13
	v_addc_co_u32_e32 v3, vcc, 0, v3, vcc
	v_lshlrev_b32_e32 v22, 16, v15
	v_and_b32_e32 v23, 0xffff0000, v15
	v_add_u32_e32 v15, 64, v7
	v_xor_b32_e32 v7, 2, v13
	v_cmp_lt_i32_e32 vcc, v7, v15
	v_cndmask_b32_e32 v7, v13, v7, vcc
	v_lshlrev_b32_e32 v25, 2, v7
	v_xor_b32_e32 v7, 1, v13
	v_cmp_lt_i32_e32 vcc, v7, v15
	v_lshlrev_b32_e32 v4, 1, v6
	v_cndmask_b32_e32 v7, v13, v7, vcc
	v_cmp_eq_u32_e32 vcc, 0, v6
	v_lshlrev_b32_e32 v6, 4, v5
	s_load_dword s47, s[16:17], 0x0
	s_sub_i32 s48, 1, s29
	v_add3_u32 v27, s44, v6, v8
	v_lshlrev_b32_e32 v6, 2, v8
	s_lshl_b64 s[4:5], s[34:35], 2
	v_lshl_or_b32 v6, v5, 6, v6
	s_add_u32 s4, s30, s4
	v_lshlrev_b32_e32 v26, 2, v7
	v_add_u32_e32 v28, 0x50, v6
	v_lshlrev_b64 v[6:7], 2, v[10:11]
	s_addc_u32 s5, s31, s5
	v_mov_b32_e32 v8, s5
	v_add_co_u32_e64 v6, s[4:5], s4, v6
	s_mov_b32 s46, s13
	v_mov_b32_e32 v1, 0
	v_lshlrev_b32_e32 v16, 16, v12
	v_and_b32_e32 v17, 0xffff0000, v12
	v_lshlrev_b32_e32 v20, 16, v14
	v_and_b32_e32 v21, 0xffff0000, v14
	v_cmp_neq_f32_e64 s[2:3], s10, 0
	v_addc_co_u32_e64 v7, s[4:5], v8, v7, s[4:5]
	s_mov_b64 s[14:15], 0
	v_mov_b32_e32 v24, 0xff7fffff
	s_movk_i32 s49, 0x80
	s_movk_i32 s50, 0x7f
	s_mov_b32 s51, 0x7f800000
	s_movk_i32 s52, 0x7fff
	v_bfrev_b32_e32 v29, 60
	v_mov_b32_e32 v30, v10
	s_branch .LBB360_10
.LBB360_9:                              ;   in Loop: Header=BB360_10 Depth=1
	s_or_b64 exec, exec, s[16:17]
	v_add_u32_e32 v30, 2, v30
	v_cmp_le_i32_e64 s[4:5], s33, v30
	s_or_b64 s[14:15], s[4:5], s[14:15]
	v_add_co_u32_e64 v6, s[4:5], 8, v6
	v_add_u32_e32 v27, 32, v27
	v_add_u32_e32 v28, 0x80, v28
	v_addc_co_u32_e64 v7, s[4:5], 0, v7, s[4:5]
	s_andn2_b64 exec, exec, s[14:15]
	s_cbranch_execz .LBB360_92
.LBB360_10:                             ; =>This Inner Loop Header: Depth=1
	global_load_dword v8, v[6:7], off
	s_waitcnt vmcnt(0) lgkmcnt(0)
	v_mad_i64_i32 v[8:9], s[4:5], v8, s46, v[2:3]
	v_add_co_u32_e64 v8, s[4:5], v8, v4
	v_addc_co_u32_e64 v9, s[4:5], 0, v9, s[4:5]
	global_load_ushort v14, v[8:9], off
	s_waitcnt vmcnt(0)
	v_and_b32_e32 v12, 0xffff, v14
	v_cmp_ne_u16_sdwa s[4:5], v14, v1 src0_sel:BYTE_0 src1_sel:DWORD
	v_mov_b32_e32 v14, 0
	s_and_saveexec_b64 s[16:17], s[4:5]
	s_cbranch_execz .LBB360_16
; %bb.11:                               ;   in Loop: Header=BB360_10 Depth=1
	v_cmp_ne_u16_sdwa s[4:5], v12, s49 src0_sel:BYTE_0 src1_sel:DWORD
	v_bfrev_b32_e32 v14, 1
	s_and_saveexec_b64 s[40:41], s[4:5]
	s_cbranch_execz .LBB360_15
; %bb.12:                               ;   in Loop: Header=BB360_10 Depth=1
	v_and_b32_e32 v31, 0x7f, v12
	v_cmp_ne_u32_e64 s[4:5], s50, v31
	v_mov_b32_e32 v14, 0x7f800001
	s_and_saveexec_b64 s[42:43], s[4:5]
	s_cbranch_execz .LBB360_14
; %bb.13:                               ;   in Loop: Header=BB360_10 Depth=1
	v_and_b32_e32 v14, 7, v12
	v_ffbh_u32_e32 v32, v14
	v_min_u32_e32 v35, 32, v32
	v_subrev_u32_e32 v32, 28, v35
	v_lshlrev_b64 v[32:33], v32, v[12:13]
	v_lshrrev_b32_e32 v34, 3, v31
	v_sub_u32_e32 v33, 29, v35
	v_and_b32_e32 v32, 7, v32
	v_cmp_gt_u32_e64 s[4:5], 8, v31
	v_cndmask_b32_e64 v31, v34, v33, s[4:5]
	v_cndmask_b32_e64 v14, v14, v32, s[4:5]
	v_lshlrev_b32_e32 v32, 24, v12
	v_lshlrev_b32_e32 v14, 20, v14
	v_and_b32_e32 v32, 0x80000000, v32
	v_lshl_add_u32 v31, v31, 23, v29
	v_or3_b32 v14, v32, v31, v14
.LBB360_14:                             ;   in Loop: Header=BB360_10 Depth=1
	s_or_b64 exec, exec, s[42:43]
.LBB360_15:                             ;   in Loop: Header=BB360_10 Depth=1
	s_or_b64 exec, exec, s[40:41]
.LBB360_16:                             ;   in Loop: Header=BB360_10 Depth=1
	s_or_b64 exec, exec, s[16:17]
	s_waitcnt lgkmcnt(0)
	v_mul_f32_e32 v14, s47, v14
	v_and_b32_e32 v31, 0x7f800000, v14
	v_cmp_ne_u32_e64 s[4:5], s51, v31
                                        ; implicit-def: $vgpr31
	s_and_saveexec_b64 s[16:17], s[4:5]
	s_xor_b64 s[4:5], exec, s[16:17]
; %bb.17:                               ;   in Loop: Header=BB360_10 Depth=1
	v_bfe_u32 v31, v14, 16, 1
	v_add3_u32 v31, v14, v31, s52
                                        ; implicit-def: $vgpr14
; %bb.18:                               ;   in Loop: Header=BB360_10 Depth=1
	s_andn2_saveexec_b64 s[16:17], s[4:5]
; %bb.19:                               ;   in Loop: Header=BB360_10 Depth=1
	v_or_b32_e32 v31, 0x10000, v14
	v_cmp_eq_u32_sdwa s[4:5], v14, v1 src0_sel:WORD_0 src1_sel:DWORD
	v_cndmask_b32_e64 v31, v31, v14, s[4:5]
; %bb.20:                               ;   in Loop: Header=BB360_10 Depth=1
	s_or_b64 exec, exec, s[16:17]
	v_lshrrev_b16_e32 v14, 8, v12
	v_cmp_ne_u16_e64 s[4:5], 0, v14
	v_mov_b32_e32 v32, 0
	s_and_saveexec_b64 s[16:17], s[4:5]
	s_cbranch_execz .LBB360_26
; %bb.21:                               ;   in Loop: Header=BB360_10 Depth=1
	v_cmp_ne_u16_e64 s[4:5], s49, v14
	v_bfrev_b32_e32 v32, 1
	s_and_saveexec_b64 s[40:41], s[4:5]
	s_cbranch_execz .LBB360_25
; %bb.22:                               ;   in Loop: Header=BB360_10 Depth=1
	v_and_b32_e32 v33, 0x7f, v14
	v_cmp_ne_u32_e64 s[4:5], s50, v33
	v_mov_b32_e32 v32, 0x7f800001
	s_and_saveexec_b64 s[42:43], s[4:5]
	s_cbranch_execz .LBB360_24
; %bb.23:                               ;   in Loop: Header=BB360_10 Depth=1
	v_and_b32_e32 v32, 7, v14
	v_ffbh_u32_e32 v34, v32
	v_min_u32_e32 v37, 32, v34
	v_subrev_u32_e32 v34, 28, v37
	v_lshlrev_b64 v[34:35], v34, v[14:15]
	v_lshrrev_b32_e32 v36, 3, v33
	v_sub_u32_e32 v14, 29, v37
	v_and_b32_e32 v34, 7, v34
	v_cmp_gt_u32_e64 s[4:5], 8, v33
	v_cndmask_b32_e64 v14, v36, v14, s[4:5]
	v_cndmask_b32_e64 v32, v32, v34, s[4:5]
	v_lshlrev_b32_e32 v12, 16, v12
	v_lshlrev_b32_e32 v32, 20, v32
	v_and_b32_e32 v12, 0x80000000, v12
	v_lshl_add_u32 v14, v14, 23, v29
	v_or3_b32 v32, v12, v14, v32
.LBB360_24:                             ;   in Loop: Header=BB360_10 Depth=1
	s_or_b64 exec, exec, s[42:43]
.LBB360_25:                             ;   in Loop: Header=BB360_10 Depth=1
	s_or_b64 exec, exec, s[40:41]
.LBB360_26:                             ;   in Loop: Header=BB360_10 Depth=1
	s_or_b64 exec, exec, s[16:17]
	v_mul_f32_e32 v12, s47, v32
	v_and_b32_e32 v14, 0x7f800000, v12
	v_cmp_ne_u32_e64 s[4:5], s51, v14
                                        ; implicit-def: $vgpr32
	s_and_saveexec_b64 s[16:17], s[4:5]
	s_xor_b64 s[4:5], exec, s[16:17]
; %bb.27:                               ;   in Loop: Header=BB360_10 Depth=1
	v_bfe_u32 v14, v12, 16, 1
	v_add3_u32 v32, v12, v14, s52
                                        ; implicit-def: $vgpr12
; %bb.28:                               ;   in Loop: Header=BB360_10 Depth=1
	s_andn2_saveexec_b64 s[16:17], s[4:5]
; %bb.29:                               ;   in Loop: Header=BB360_10 Depth=1
	v_or_b32_e32 v14, 0x10000, v12
	v_cmp_eq_u32_sdwa s[4:5], v12, v1 src0_sel:WORD_0 src1_sel:DWORD
	v_cndmask_b32_e64 v32, v14, v12, s[4:5]
; %bb.30:                               ;   in Loop: Header=BB360_10 Depth=1
	s_or_b64 exec, exec, s[16:17]
	global_load_ushort v14, v[8:9], off offset:8
	s_waitcnt vmcnt(0)
	v_and_b32_e32 v12, 0xffff, v14
	v_cmp_ne_u16_sdwa s[4:5], v14, v1 src0_sel:BYTE_0 src1_sel:DWORD
	v_mov_b32_e32 v14, 0
	s_and_saveexec_b64 s[16:17], s[4:5]
	s_cbranch_execz .LBB360_36
; %bb.31:                               ;   in Loop: Header=BB360_10 Depth=1
	v_cmp_ne_u16_sdwa s[4:5], v12, s49 src0_sel:BYTE_0 src1_sel:DWORD
	v_bfrev_b32_e32 v14, 1
	s_and_saveexec_b64 s[40:41], s[4:5]
	s_cbranch_execz .LBB360_35
; %bb.32:                               ;   in Loop: Header=BB360_10 Depth=1
	v_and_b32_e32 v33, 0x7f, v12
	v_cmp_ne_u32_e64 s[4:5], s50, v33
	v_mov_b32_e32 v14, 0x7f800001
	s_and_saveexec_b64 s[42:43], s[4:5]
	s_cbranch_execz .LBB360_34
; %bb.33:                               ;   in Loop: Header=BB360_10 Depth=1
	v_and_b32_e32 v14, 7, v12
	v_ffbh_u32_e32 v34, v14
	v_min_u32_e32 v37, 32, v34
	v_subrev_u32_e32 v34, 28, v37
	v_lshlrev_b64 v[34:35], v34, v[12:13]
	v_lshrrev_b32_e32 v36, 3, v33
	v_sub_u32_e32 v35, 29, v37
	v_and_b32_e32 v34, 7, v34
	v_cmp_gt_u32_e64 s[4:5], 8, v33
	v_cndmask_b32_e64 v33, v36, v35, s[4:5]
	v_cndmask_b32_e64 v14, v14, v34, s[4:5]
	v_lshlrev_b32_e32 v34, 24, v12
	v_lshlrev_b32_e32 v14, 20, v14
	v_and_b32_e32 v34, 0x80000000, v34
	v_lshl_add_u32 v33, v33, 23, v29
	v_or3_b32 v14, v34, v33, v14
.LBB360_34:                             ;   in Loop: Header=BB360_10 Depth=1
	s_or_b64 exec, exec, s[42:43]
.LBB360_35:                             ;   in Loop: Header=BB360_10 Depth=1
	s_or_b64 exec, exec, s[40:41]
.LBB360_36:                             ;   in Loop: Header=BB360_10 Depth=1
	s_or_b64 exec, exec, s[16:17]
	v_mul_f32_e32 v14, s47, v14
	v_and_b32_e32 v33, 0x7f800000, v14
	v_cmp_ne_u32_e64 s[4:5], s51, v33
                                        ; implicit-def: $vgpr33
	s_and_saveexec_b64 s[16:17], s[4:5]
	s_xor_b64 s[4:5], exec, s[16:17]
; %bb.37:                               ;   in Loop: Header=BB360_10 Depth=1
	v_bfe_u32 v33, v14, 16, 1
	v_add3_u32 v33, v14, v33, s52
                                        ; implicit-def: $vgpr14
; %bb.38:                               ;   in Loop: Header=BB360_10 Depth=1
	s_andn2_saveexec_b64 s[16:17], s[4:5]
; %bb.39:                               ;   in Loop: Header=BB360_10 Depth=1
	v_or_b32_e32 v33, 0x10000, v14
	v_cmp_eq_u32_sdwa s[4:5], v14, v1 src0_sel:WORD_0 src1_sel:DWORD
	v_cndmask_b32_e64 v33, v33, v14, s[4:5]
; %bb.40:                               ;   in Loop: Header=BB360_10 Depth=1
	s_or_b64 exec, exec, s[16:17]
	v_lshrrev_b16_e32 v14, 8, v12
	v_cmp_ne_u16_e64 s[4:5], 0, v14
	v_mov_b32_e32 v34, 0
	s_and_saveexec_b64 s[16:17], s[4:5]
	s_cbranch_execz .LBB360_46
; %bb.41:                               ;   in Loop: Header=BB360_10 Depth=1
	v_cmp_ne_u16_e64 s[4:5], s49, v14
	v_bfrev_b32_e32 v34, 1
	s_and_saveexec_b64 s[40:41], s[4:5]
	s_cbranch_execz .LBB360_45
; %bb.42:                               ;   in Loop: Header=BB360_10 Depth=1
	v_and_b32_e32 v35, 0x7f, v14
	v_cmp_ne_u32_e64 s[4:5], s50, v35
	v_mov_b32_e32 v34, 0x7f800001
	s_and_saveexec_b64 s[42:43], s[4:5]
	s_cbranch_execz .LBB360_44
; %bb.43:                               ;   in Loop: Header=BB360_10 Depth=1
	v_and_b32_e32 v34, 7, v14
	v_ffbh_u32_e32 v36, v34
	v_min_u32_e32 v39, 32, v36
	v_subrev_u32_e32 v36, 28, v39
	v_lshlrev_b64 v[36:37], v36, v[14:15]
	v_lshrrev_b32_e32 v38, 3, v35
	v_sub_u32_e32 v14, 29, v39
	v_and_b32_e32 v36, 7, v36
	v_cmp_gt_u32_e64 s[4:5], 8, v35
	v_cndmask_b32_e64 v14, v38, v14, s[4:5]
	v_cndmask_b32_e64 v34, v34, v36, s[4:5]
	v_lshlrev_b32_e32 v12, 16, v12
	v_lshlrev_b32_e32 v34, 20, v34
	v_and_b32_e32 v12, 0x80000000, v12
	v_lshl_add_u32 v14, v14, 23, v29
	v_or3_b32 v34, v12, v14, v34
.LBB360_44:                             ;   in Loop: Header=BB360_10 Depth=1
	s_or_b64 exec, exec, s[42:43]
.LBB360_45:                             ;   in Loop: Header=BB360_10 Depth=1
	s_or_b64 exec, exec, s[40:41]
.LBB360_46:                             ;   in Loop: Header=BB360_10 Depth=1
	s_or_b64 exec, exec, s[16:17]
	v_mul_f32_e32 v12, s47, v34
	v_and_b32_e32 v14, 0x7f800000, v12
	v_cmp_ne_u32_e64 s[4:5], s51, v14
                                        ; implicit-def: $vgpr34
	s_and_saveexec_b64 s[16:17], s[4:5]
	s_xor_b64 s[4:5], exec, s[16:17]
; %bb.47:                               ;   in Loop: Header=BB360_10 Depth=1
	v_bfe_u32 v14, v12, 16, 1
	v_add3_u32 v34, v12, v14, s52
                                        ; implicit-def: $vgpr12
; %bb.48:                               ;   in Loop: Header=BB360_10 Depth=1
	s_andn2_saveexec_b64 s[16:17], s[4:5]
; %bb.49:                               ;   in Loop: Header=BB360_10 Depth=1
	v_or_b32_e32 v14, 0x10000, v12
	v_cmp_eq_u32_sdwa s[4:5], v12, v1 src0_sel:WORD_0 src1_sel:DWORD
	v_cndmask_b32_e64 v34, v14, v12, s[4:5]
; %bb.50:                               ;   in Loop: Header=BB360_10 Depth=1
	s_or_b64 exec, exec, s[16:17]
	global_load_ushort v14, v[8:9], off offset:256
	s_waitcnt vmcnt(0)
	v_and_b32_e32 v12, 0xffff, v14
	v_cmp_ne_u16_sdwa s[4:5], v14, v1 src0_sel:BYTE_0 src1_sel:DWORD
	v_mov_b32_e32 v14, 0
	s_and_saveexec_b64 s[16:17], s[4:5]
	s_cbranch_execz .LBB360_56
; %bb.51:                               ;   in Loop: Header=BB360_10 Depth=1
	v_cmp_ne_u16_sdwa s[4:5], v12, s49 src0_sel:BYTE_0 src1_sel:DWORD
	v_bfrev_b32_e32 v14, 1
	s_and_saveexec_b64 s[40:41], s[4:5]
	s_cbranch_execz .LBB360_55
; %bb.52:                               ;   in Loop: Header=BB360_10 Depth=1
	v_and_b32_e32 v35, 0x7f, v12
	v_cmp_ne_u32_e64 s[4:5], s50, v35
	v_mov_b32_e32 v14, 0x7f800001
	s_and_saveexec_b64 s[42:43], s[4:5]
	s_cbranch_execz .LBB360_54
; %bb.53:                               ;   in Loop: Header=BB360_10 Depth=1
	v_and_b32_e32 v14, 7, v12
	v_ffbh_u32_e32 v36, v14
	v_min_u32_e32 v39, 32, v36
	v_subrev_u32_e32 v36, 28, v39
	v_lshlrev_b64 v[36:37], v36, v[12:13]
	v_lshrrev_b32_e32 v38, 3, v35
	v_sub_u32_e32 v37, 29, v39
	v_and_b32_e32 v36, 7, v36
	v_cmp_gt_u32_e64 s[4:5], 8, v35
	v_cndmask_b32_e64 v35, v38, v37, s[4:5]
	v_cndmask_b32_e64 v14, v14, v36, s[4:5]
	v_lshlrev_b32_e32 v36, 24, v12
	v_lshlrev_b32_e32 v14, 20, v14
	v_and_b32_e32 v36, 0x80000000, v36
	v_lshl_add_u32 v35, v35, 23, v29
	v_or3_b32 v14, v36, v35, v14
.LBB360_54:                             ;   in Loop: Header=BB360_10 Depth=1
	s_or_b64 exec, exec, s[42:43]
.LBB360_55:                             ;   in Loop: Header=BB360_10 Depth=1
	s_or_b64 exec, exec, s[40:41]
.LBB360_56:                             ;   in Loop: Header=BB360_10 Depth=1
	s_or_b64 exec, exec, s[16:17]
	v_mul_f32_e32 v14, s47, v14
	v_and_b32_e32 v35, 0x7f800000, v14
	v_cmp_ne_u32_e64 s[4:5], s51, v35
                                        ; implicit-def: $vgpr35
	s_and_saveexec_b64 s[16:17], s[4:5]
	s_xor_b64 s[4:5], exec, s[16:17]
; %bb.57:                               ;   in Loop: Header=BB360_10 Depth=1
	v_bfe_u32 v35, v14, 16, 1
	v_add3_u32 v35, v14, v35, s52
                                        ; implicit-def: $vgpr14
; %bb.58:                               ;   in Loop: Header=BB360_10 Depth=1
	s_andn2_saveexec_b64 s[16:17], s[4:5]
; %bb.59:                               ;   in Loop: Header=BB360_10 Depth=1
	v_or_b32_e32 v35, 0x10000, v14
	v_cmp_eq_u32_sdwa s[4:5], v14, v1 src0_sel:WORD_0 src1_sel:DWORD
	v_cndmask_b32_e64 v35, v35, v14, s[4:5]
; %bb.60:                               ;   in Loop: Header=BB360_10 Depth=1
	s_or_b64 exec, exec, s[16:17]
	v_lshrrev_b16_e32 v14, 8, v12
	v_cmp_ne_u16_e64 s[4:5], 0, v14
	v_mov_b32_e32 v36, 0
	s_and_saveexec_b64 s[16:17], s[4:5]
	s_cbranch_execz .LBB360_66
; %bb.61:                               ;   in Loop: Header=BB360_10 Depth=1
	v_cmp_ne_u16_e64 s[4:5], s49, v14
	v_bfrev_b32_e32 v36, 1
	s_and_saveexec_b64 s[40:41], s[4:5]
	s_cbranch_execz .LBB360_65
; %bb.62:                               ;   in Loop: Header=BB360_10 Depth=1
	v_and_b32_e32 v37, 0x7f, v14
	v_cmp_ne_u32_e64 s[4:5], s50, v37
	v_mov_b32_e32 v36, 0x7f800001
	s_and_saveexec_b64 s[42:43], s[4:5]
	s_cbranch_execz .LBB360_64
; %bb.63:                               ;   in Loop: Header=BB360_10 Depth=1
	v_and_b32_e32 v36, 7, v14
	v_ffbh_u32_e32 v38, v36
	v_min_u32_e32 v41, 32, v38
	v_subrev_u32_e32 v38, 28, v41
	v_lshlrev_b64 v[38:39], v38, v[14:15]
	v_lshrrev_b32_e32 v40, 3, v37
	v_sub_u32_e32 v14, 29, v41
	v_and_b32_e32 v38, 7, v38
	v_cmp_gt_u32_e64 s[4:5], 8, v37
	v_cndmask_b32_e64 v14, v40, v14, s[4:5]
	v_cndmask_b32_e64 v36, v36, v38, s[4:5]
	v_lshlrev_b32_e32 v12, 16, v12
	v_lshlrev_b32_e32 v36, 20, v36
	v_and_b32_e32 v12, 0x80000000, v12
	v_lshl_add_u32 v14, v14, 23, v29
	v_or3_b32 v36, v12, v14, v36
.LBB360_64:                             ;   in Loop: Header=BB360_10 Depth=1
	s_or_b64 exec, exec, s[42:43]
.LBB360_65:                             ;   in Loop: Header=BB360_10 Depth=1
	s_or_b64 exec, exec, s[40:41]
.LBB360_66:                             ;   in Loop: Header=BB360_10 Depth=1
	s_or_b64 exec, exec, s[16:17]
	v_mul_f32_e32 v12, s47, v36
	v_and_b32_e32 v14, 0x7f800000, v12
	v_cmp_ne_u32_e64 s[4:5], s51, v14
                                        ; implicit-def: $vgpr14
	s_and_saveexec_b64 s[16:17], s[4:5]
	s_xor_b64 s[4:5], exec, s[16:17]
; %bb.67:                               ;   in Loop: Header=BB360_10 Depth=1
	v_bfe_u32 v14, v12, 16, 1
	v_add3_u32 v14, v12, v14, s52
                                        ; implicit-def: $vgpr12
; %bb.68:                               ;   in Loop: Header=BB360_10 Depth=1
	s_andn2_saveexec_b64 s[16:17], s[4:5]
; %bb.69:                               ;   in Loop: Header=BB360_10 Depth=1
	v_or_b32_e32 v14, 0x10000, v12
	v_cmp_eq_u32_sdwa s[4:5], v12, v1 src0_sel:WORD_0 src1_sel:DWORD
	v_cndmask_b32_e64 v14, v14, v12, s[4:5]
; %bb.70:                               ;   in Loop: Header=BB360_10 Depth=1
	s_or_b64 exec, exec, s[16:17]
	global_load_ushort v9, v[8:9], off offset:264
	s_waitcnt vmcnt(0)
	v_and_b32_e32 v8, 0xffff, v9
	v_cmp_ne_u16_sdwa s[4:5], v9, v1 src0_sel:BYTE_0 src1_sel:DWORD
	v_mov_b32_e32 v9, 0
	s_and_saveexec_b64 s[16:17], s[4:5]
	s_cbranch_execz .LBB360_76
; %bb.71:                               ;   in Loop: Header=BB360_10 Depth=1
	v_cmp_ne_u16_sdwa s[4:5], v8, s49 src0_sel:BYTE_0 src1_sel:DWORD
	v_bfrev_b32_e32 v9, 1
	s_and_saveexec_b64 s[40:41], s[4:5]
	s_cbranch_execz .LBB360_75
; %bb.72:                               ;   in Loop: Header=BB360_10 Depth=1
	v_and_b32_e32 v12, 0x7f, v8
	v_cmp_ne_u32_e64 s[4:5], s50, v12
	v_mov_b32_e32 v9, 0x7f800001
	s_and_saveexec_b64 s[42:43], s[4:5]
	s_cbranch_execz .LBB360_74
; %bb.73:                               ;   in Loop: Header=BB360_10 Depth=1
	v_and_b32_e32 v9, 7, v8
	v_ffbh_u32_e32 v36, v9
	v_min_u32_e32 v39, 32, v36
	v_subrev_u32_e32 v36, 28, v39
	v_lshlrev_b64 v[36:37], v36, v[8:9]
	v_lshrrev_b32_e32 v38, 3, v12
	v_sub_u32_e32 v37, 29, v39
	v_and_b32_e32 v36, 7, v36
	v_cmp_gt_u32_e64 s[4:5], 8, v12
	v_cndmask_b32_e64 v12, v38, v37, s[4:5]
	v_cndmask_b32_e64 v9, v9, v36, s[4:5]
	v_lshlrev_b32_e32 v36, 24, v8
	v_lshlrev_b32_e32 v9, 20, v9
	v_and_b32_e32 v36, 0x80000000, v36
	v_lshl_add_u32 v12, v12, 23, v29
	v_or3_b32 v9, v36, v12, v9
.LBB360_74:                             ;   in Loop: Header=BB360_10 Depth=1
	s_or_b64 exec, exec, s[42:43]
.LBB360_75:                             ;   in Loop: Header=BB360_10 Depth=1
	s_or_b64 exec, exec, s[40:41]
.LBB360_76:                             ;   in Loop: Header=BB360_10 Depth=1
	s_or_b64 exec, exec, s[16:17]
	v_mul_f32_e32 v12, s47, v9
	v_and_b32_e32 v9, 0x7f800000, v12
	v_cmp_ne_u32_e64 s[4:5], s51, v9
                                        ; implicit-def: $vgpr9
	s_and_saveexec_b64 s[16:17], s[4:5]
	s_xor_b64 s[4:5], exec, s[16:17]
; %bb.77:                               ;   in Loop: Header=BB360_10 Depth=1
	v_bfe_u32 v9, v12, 16, 1
	v_add3_u32 v9, v12, v9, s52
                                        ; implicit-def: $vgpr12
; %bb.78:                               ;   in Loop: Header=BB360_10 Depth=1
	s_andn2_saveexec_b64 s[16:17], s[4:5]
; %bb.79:                               ;   in Loop: Header=BB360_10 Depth=1
	v_or_b32_e32 v9, 0x10000, v12
	v_cmp_eq_u32_sdwa s[4:5], v12, v1 src0_sel:WORD_0 src1_sel:DWORD
	v_cndmask_b32_e64 v9, v9, v12, s[4:5]
; %bb.80:                               ;   in Loop: Header=BB360_10 Depth=1
	s_or_b64 exec, exec, s[16:17]
	v_lshrrev_b16_e32 v12, 8, v8
	v_cmp_ne_u16_e64 s[4:5], 0, v12
	v_mov_b32_e32 v36, 0
	s_and_saveexec_b64 s[16:17], s[4:5]
	s_cbranch_execz .LBB360_86
; %bb.81:                               ;   in Loop: Header=BB360_10 Depth=1
	v_cmp_ne_u16_e64 s[4:5], s49, v12
	v_bfrev_b32_e32 v36, 1
	s_and_saveexec_b64 s[40:41], s[4:5]
	s_cbranch_execz .LBB360_85
; %bb.82:                               ;   in Loop: Header=BB360_10 Depth=1
	v_and_b32_e32 v37, 0x7f, v12
	v_cmp_ne_u32_e64 s[4:5], s50, v37
	v_mov_b32_e32 v36, 0x7f800001
	s_and_saveexec_b64 s[42:43], s[4:5]
	s_cbranch_execz .LBB360_84
; %bb.83:                               ;   in Loop: Header=BB360_10 Depth=1
	v_and_b32_e32 v36, 7, v12
	v_ffbh_u32_e32 v38, v36
	v_min_u32_e32 v41, 32, v38
	v_subrev_u32_e32 v38, 28, v41
	v_lshlrev_b64 v[38:39], v38, v[12:13]
	v_lshrrev_b32_e32 v40, 3, v37
	v_sub_u32_e32 v12, 29, v41
	v_and_b32_e32 v38, 7, v38
	v_cmp_gt_u32_e64 s[4:5], 8, v37
	v_cndmask_b32_e64 v12, v40, v12, s[4:5]
	v_cndmask_b32_e64 v36, v36, v38, s[4:5]
	v_lshlrev_b32_e32 v8, 16, v8
	v_lshlrev_b32_e32 v36, 20, v36
	v_and_b32_e32 v8, 0x80000000, v8
	v_lshl_add_u32 v12, v12, 23, v29
	v_or3_b32 v36, v8, v12, v36
.LBB360_84:                             ;   in Loop: Header=BB360_10 Depth=1
	s_or_b64 exec, exec, s[42:43]
.LBB360_85:                             ;   in Loop: Header=BB360_10 Depth=1
	s_or_b64 exec, exec, s[40:41]
.LBB360_86:                             ;   in Loop: Header=BB360_10 Depth=1
	s_or_b64 exec, exec, s[16:17]
	v_mul_f32_e32 v12, s47, v36
	v_and_b32_e32 v8, 0x7f800000, v12
	v_cmp_ne_u32_e64 s[4:5], s51, v8
                                        ; implicit-def: $vgpr8
	s_and_saveexec_b64 s[16:17], s[4:5]
	s_xor_b64 s[4:5], exec, s[16:17]
; %bb.87:                               ;   in Loop: Header=BB360_10 Depth=1
	v_bfe_u32 v8, v12, 16, 1
	v_add3_u32 v8, v12, v8, s52
                                        ; implicit-def: $vgpr12
; %bb.88:                               ;   in Loop: Header=BB360_10 Depth=1
	s_andn2_saveexec_b64 s[16:17], s[4:5]
; %bb.89:                               ;   in Loop: Header=BB360_10 Depth=1
	v_or_b32_e32 v8, 0x10000, v12
	v_cmp_eq_u32_sdwa s[4:5], v12, v1 src0_sel:WORD_0 src1_sel:DWORD
	v_cndmask_b32_e64 v8, v8, v12, s[4:5]
; %bb.90:                               ;   in Loop: Header=BB360_10 Depth=1
	s_or_b64 exec, exec, s[16:17]
	v_and_b32_e32 v33, 0xffff0000, v33
	v_and_b32_e32 v34, 0xffff0000, v34
	;; [unrolled: 1-line block ×3, first 2 shown]
	v_mul_f32_e32 v33, v18, v33
	v_and_b32_e32 v32, 0xffff0000, v32
	v_fmac_f32_e32 v33, v16, v31
	v_mul_f32_e32 v31, v19, v34
	v_and_b32_e32 v12, 0xffff0000, v14
	v_and_b32_e32 v14, 0xffff0000, v35
	v_fmac_f32_e32 v31, v17, v32
	v_and_b32_e32 v9, 0xffff0000, v9
	v_and_b32_e32 v8, 0xffff0000, v8
	v_fmac_f32_e32 v33, v20, v14
	v_fmac_f32_e32 v31, v21, v12
	;; [unrolled: 1-line block ×4, first 2 shown]
	v_add_f32_e32 v8, v33, v31
	ds_bpermute_b32 v9, v25, v8
	s_waitcnt lgkmcnt(0)
	v_add_f32_e32 v8, v8, v9
	ds_bpermute_b32 v9, v26, v8
	s_and_saveexec_b64 s[16:17], vcc
	s_cbranch_execz .LBB360_9
; %bb.91:                               ;   in Loop: Header=BB360_10 Depth=1
	v_add_u32_e32 v12, s48, v27
	v_cvt_f32_i32_e32 v12, v12
	s_waitcnt lgkmcnt(0)
	v_add_f32_e32 v8, v8, v9
	v_cmp_gt_i32_e64 s[4:5], s29, v27
	v_max_f32_e32 v9, v24, v24
	v_mul_f32_e32 v12, s10, v12
	v_cndmask_b32_e64 v12, 0, v12, s[2:3]
	v_fmac_f32_e32 v12, s11, v8
	v_cndmask_b32_e64 v8, 0, v12, s[4:5]
	ds_write_b32 v28, v8
	v_max_f32_e32 v8, v9, v12
	v_cndmask_b32_e64 v24, v24, v8, s[4:5]
	s_branch .LBB360_9
.LBB360_92:
	s_or_b64 exec, exec, s[14:15]
.LBB360_93:
	s_or_b64 exec, exec, s[38:39]
	v_xor_b32_e32 v1, 32, v13
	v_cmp_lt_i32_e32 vcc, v1, v15
	v_cndmask_b32_e32 v1, v13, v1, vcc
	v_lshlrev_b32_e32 v2, 2, v1
	ds_bpermute_b32 v1, v2, v24
	v_xor_b32_e32 v4, 16, v13
	v_max_f32_e32 v3, v24, v24
	v_cmp_lt_i32_e32 vcc, v4, v15
	v_xor_b32_e32 v6, 8, v13
	s_waitcnt lgkmcnt(0)
	v_max_f32_e32 v1, v1, v1
	v_max_f32_e32 v1, v3, v1
	v_cndmask_b32_e32 v3, v13, v4, vcc
	v_lshlrev_b32_e32 v3, 2, v3
	ds_bpermute_b32 v4, v3, v1
	v_cmp_lt_i32_e32 vcc, v6, v15
	s_waitcnt lgkmcnt(0)
	v_max_f32_e32 v4, v4, v4
	v_max_f32_e32 v1, v1, v4
	v_cndmask_b32_e32 v4, v13, v6, vcc
	v_lshlrev_b32_e32 v8, 2, v4
	ds_bpermute_b32 v4, v8, v1
	v_xor_b32_e32 v6, 4, v13
	v_cmp_lt_i32_e32 vcc, v6, v15
	s_waitcnt lgkmcnt(0)
	v_max_f32_e32 v4, v4, v4
	v_max_f32_e32 v4, v1, v4
	v_cndmask_b32_e32 v1, v13, v6, vcc
	v_lshlrev_b32_e32 v9, 2, v1
	ds_bpermute_b32 v7, v9, v4
	v_and_b32_e32 v1, 63, v0
	v_cmp_eq_u32_e32 vcc, 0, v1
	v_lshlrev_b32_e32 v6, 2, v5
	s_and_saveexec_b64 s[2:3], vcc
	s_cbranch_execz .LBB360_95
; %bb.94:
	s_waitcnt lgkmcnt(0)
	v_max_f32_e32 v7, v7, v7
	v_max_f32_e32 v4, v4, v4
	v_max_f32_e32 v4, v4, v7
	ds_write_b32 v6, v4 offset:64
.LBB360_95:
	s_or_b64 exec, exec, s[2:3]
	v_cmp_gt_u32_e64 s[2:3], 2, v1
	v_mov_b32_e32 v4, 0xff7fffff
	s_waitcnt lgkmcnt(0)
	v_lshlrev_b32_e32 v7, 2, v1
	s_barrier
	s_and_saveexec_b64 s[4:5], s[2:3]
	s_cbranch_execz .LBB360_97
; %bb.96:
	ds_read_b32 v4, v7 offset:64
.LBB360_97:
	s_or_b64 exec, exec, s[4:5]
	v_xor_b32_e32 v12, 1, v13
	v_cmp_lt_i32_e64 s[4:5], v12, v15
	v_cndmask_b32_e64 v12, v13, v12, s[4:5]
	v_lshlrev_b32_e32 v18, 2, v12
	s_waitcnt lgkmcnt(0)
	ds_bpermute_b32 v12, v18, v4
	v_max_f32_e32 v4, v4, v4
	s_sub_i32 s4, s33, s12
	s_lshl_b32 s4, s4, 4
	s_add_i32 s4, s4, s44
	s_waitcnt lgkmcnt(0)
	v_max_f32_e32 v12, v12, v12
	v_max_f32_e32 v4, v4, v12
	v_lshlrev_b32_e32 v12, 2, v13
	v_and_b32_e32 v12, 0xffffff00, v12
	ds_bpermute_b32 v4, v12, v4
	s_min_i32 s39, s4, s29
	s_sub_i32 s38, s39, s44
	v_cmp_gt_i32_e64 s[4:5], s38, v0
	v_mov_b32_e32 v14, 0
	s_and_saveexec_b64 s[14:15], s[4:5]
	s_cbranch_execz .LBB360_101
; %bb.98:
	v_mov_b32_e32 v14, 0x50
	v_lshl_add_u32 v16, v0, 2, v14
	s_mov_b64 s[16:17], 0
	v_mov_b32_e32 v14, 0
	v_mov_b32_e32 v17, v0
.LBB360_99:                             ; =>This Inner Loop Header: Depth=1
	ds_read_b32 v19, v16
	v_add_u32_e32 v17, 0x80, v17
	v_cmp_le_i32_e64 s[10:11], s38, v17
	s_or_b64 s[16:17], s[10:11], s[16:17]
	s_waitcnt lgkmcnt(0)
	v_sub_f32_e32 v19, v19, v4
	v_mul_f32_e32 v19, 0x3fb8aa3b, v19
	v_exp_f32_e32 v19, v19
	ds_write_b32 v16, v19
	v_add_f32_e32 v14, v14, v19
	v_add_u32_e32 v16, 0x200, v16
	s_andn2_b64 exec, exec, s[16:17]
	s_cbranch_execnz .LBB360_99
; %bb.100:
	s_or_b64 exec, exec, s[16:17]
.LBB360_101:
	s_or_b64 exec, exec, s[14:15]
	ds_bpermute_b32 v2, v2, v14
	s_waitcnt lgkmcnt(0)
	v_add_f32_e32 v2, v14, v2
	ds_bpermute_b32 v3, v3, v2
	s_waitcnt lgkmcnt(0)
	v_add_f32_e32 v2, v2, v3
	ds_bpermute_b32 v3, v8, v2
	v_xor_b32_e32 v8, 2, v13
	v_cmp_lt_i32_e64 s[10:11], v8, v15
	v_cndmask_b32_e64 v8, v13, v8, s[10:11]
	s_waitcnt lgkmcnt(0)
	v_add_f32_e32 v2, v2, v3
	ds_bpermute_b32 v3, v9, v2
	s_waitcnt lgkmcnt(0)
	v_add_f32_e32 v2, v2, v3
	v_lshlrev_b32_e32 v3, 2, v8
	ds_bpermute_b32 v3, v3, v2
	s_waitcnt lgkmcnt(0)
	v_add_f32_e32 v2, v2, v3
	ds_bpermute_b32 v3, v18, v2
	s_waitcnt lgkmcnt(0)
	v_add_f32_e32 v2, v2, v3
	s_and_saveexec_b64 s[10:11], vcc
	s_cbranch_execz .LBB360_103
; %bb.102:
	ds_write_b32 v6, v2 offset:72
.LBB360_103:
	s_or_b64 exec, exec, s[10:11]
	s_waitcnt lgkmcnt(0)
	s_barrier
	s_and_saveexec_b64 s[10:11], s[2:3]
	s_cbranch_execz .LBB360_105
; %bb.104:
	ds_read_b32 v2, v7 offset:72
.LBB360_105:
	s_or_b64 exec, exec, s[10:11]
	s_waitcnt lgkmcnt(0)
	ds_bpermute_b32 v3, v18, v2
	s_waitcnt lgkmcnt(0)
	v_add_f32_e32 v2, v2, v3
	ds_bpermute_b32 v6, v12, v2
	s_and_saveexec_b64 s[2:3], s[4:5]
	s_cbranch_execz .LBB360_118
; %bb.106:
	s_waitcnt lgkmcnt(0)
	v_add_f32_e32 v2, 0x358637bd, v6
	v_div_scale_f32 v3, s[4:5], v2, v2, 1.0
	v_rcp_f32_e32 v7, v3
	v_div_scale_f32 v8, vcc, 1.0, v2, 1.0
	s_movk_i32 s4, 0x7f
	v_fma_f32 v9, -v3, v7, 1.0
	v_fmac_f32_e32 v7, v9, v7
	v_mul_f32_e32 v9, v8, v7
	v_fma_f32 v12, -v3, v9, v8
	v_fmac_f32_e32 v9, v12, v7
	v_fma_f32 v3, -v3, v9, v8
	v_div_fmas_f32 v3, v3, v7, v9
	v_div_fixup_f32 v2, v3, v2, 1.0
	v_xad_u32 v3, v0, -1, s39
	v_subrev_u32_e32 v7, s44, v3
	v_cmp_lt_u32_e32 vcc, s4, v7
	s_mov_b64 s[10:11], -1
	v_mov_b32_e32 v3, v0
	s_and_saveexec_b64 s[4:5], vcc
	s_cbranch_execz .LBB360_115
; %bb.107:
	v_lshrrev_b32_e32 v7, 7, v7
	v_add_u32_e32 v9, -1, v7
	v_lshrrev_b32_e32 v8, 1, v9
	v_mov_b32_e32 v3, v2
	v_add_u32_e32 v8, 1, v8
	v_cmp_lt_u32_e32 vcc, 13, v9
	v_mov_b32_e32 v13, 0
	s_and_saveexec_b64 s[10:11], vcc
	s_cbranch_execz .LBB360_111
; %bb.108:
	v_mov_b32_e32 v12, 0x50
	v_and_b32_e32 v9, -8, v8
	v_lshl_add_u32 v12, v0, 2, v12
	s_mov_b32 s16, 0
	s_mov_b64 s[14:15], 0
.LBB360_109:                            ; =>This Inner Loop Header: Depth=1
	ds_read2st64_b32 v[14:15], v12 offset1:2
	ds_read2st64_b32 v[16:17], v12 offset0:4 offset1:6
	ds_read2st64_b32 v[20:21], v12 offset0:8 offset1:10
	ds_read2st64_b32 v[22:23], v12 offset0:12 offset1:14
	v_add_u32_e32 v9, -8, v9
	s_waitcnt lgkmcnt(3)
	v_pk_mul_f32 v[14:15], v[2:3], v[14:15]
	s_waitcnt lgkmcnt(2)
	v_pk_mul_f32 v[16:17], v[2:3], v[16:17]
	ds_write2st64_b32 v12, v14, v15 offset1:2
	ds_write2st64_b32 v12, v16, v17 offset0:4 offset1:6
	ds_read2st64_b32 v[16:17], v12 offset0:16 offset1:18
	s_waitcnt lgkmcnt(4)
	v_pk_mul_f32 v[14:15], v[2:3], v[20:21]
	ds_write2st64_b32 v12, v14, v15 offset0:8 offset1:10
	s_waitcnt lgkmcnt(4)
	v_pk_mul_f32 v[14:15], v[2:3], v[22:23]
	ds_write2st64_b32 v12, v14, v15 offset0:12 offset1:14
	ds_read2st64_b32 v[14:15], v12 offset0:20 offset1:22
	s_waitcnt lgkmcnt(3)
	v_pk_mul_f32 v[16:17], v[2:3], v[16:17]
	ds_read2st64_b32 v[20:21], v12 offset0:24 offset1:26
	ds_write2st64_b32 v12, v16, v17 offset0:16 offset1:18
	ds_read2st64_b32 v[16:17], v12 offset0:28 offset1:30
	s_waitcnt lgkmcnt(3)
	v_pk_mul_f32 v[14:15], v[2:3], v[14:15]
	ds_write2st64_b32 v12, v14, v15 offset0:20 offset1:22
	s_waitcnt lgkmcnt(3)
	v_pk_mul_f32 v[14:15], v[2:3], v[20:21]
	ds_write2st64_b32 v12, v14, v15 offset0:24 offset1:26
	s_waitcnt lgkmcnt(2)
	v_pk_mul_f32 v[14:15], v[2:3], v[16:17]
	s_add_i32 s16, s16, 16
	v_cmp_eq_u32_e32 vcc, 0, v9
	ds_write2st64_b32 v12, v14, v15 offset0:28 offset1:30
	v_add_u32_e32 v12, 0x2000, v12
	s_or_b64 s[14:15], vcc, s[14:15]
	v_mov_b32_e32 v13, s16
	s_andn2_b64 exec, exec, s[14:15]
	s_cbranch_execnz .LBB360_109
; %bb.110:
	s_or_b64 exec, exec, s[14:15]
.LBB360_111:
	s_or_b64 exec, exec, s[10:11]
	v_and_b32_e32 v8, 7, v8
	v_cmp_ne_u32_e32 vcc, 0, v8
	s_and_saveexec_b64 s[10:11], vcc
	s_cbranch_execz .LBB360_114
; %bb.112:
	v_lshlrev_b32_e32 v9, 9, v13
	v_lshlrev_b32_e32 v12, 2, v0
	s_movk_i32 s14, 0x50
	v_add3_u32 v9, v9, v12, s14
	s_mov_b64 s[14:15], 0
.LBB360_113:                            ; =>This Inner Loop Header: Depth=1
	ds_read2st64_b32 v[12:13], v9 offset1:2
	v_add_u32_e32 v8, -1, v8
	v_cmp_eq_u32_e32 vcc, 0, v8
	s_or_b64 s[14:15], vcc, s[14:15]
	s_waitcnt lgkmcnt(0)
	v_pk_mul_f32 v[12:13], v[2:3], v[12:13]
	ds_write2st64_b32 v9, v12, v13 offset1:2
	v_add_u32_e32 v9, 0x400, v9
	s_andn2_b64 exec, exec, s[14:15]
	s_cbranch_execnz .LBB360_113
.LBB360_114:
	s_or_b64 exec, exec, s[10:11]
	v_add_u32_e32 v7, 1, v7
	v_and_b32_e32 v8, 0x3fffffe, v7
	v_cmp_ne_u32_e32 vcc, v7, v8
	v_lshl_add_u32 v3, v8, 7, v0
	s_orn2_b64 s[10:11], vcc, exec
.LBB360_115:
	s_or_b64 exec, exec, s[4:5]
	s_and_b64 exec, exec, s[10:11]
	s_cbranch_execz .LBB360_118
; %bb.116:
	v_mov_b32_e32 v7, 0x50
	v_lshl_add_u32 v7, v3, 2, v7
	s_mov_b64 s[4:5], 0
.LBB360_117:                            ; =>This Inner Loop Header: Depth=1
	ds_read_b32 v8, v7
	v_add_u32_e32 v3, 0x80, v3
	v_cmp_le_i32_e32 vcc, s38, v3
	s_or_b64 s[4:5], vcc, s[4:5]
	s_waitcnt lgkmcnt(0)
	v_mul_f32_e32 v8, v2, v8
	ds_write_b32 v7, v8
	v_add_u32_e32 v7, 0x200, v7
	s_andn2_b64 exec, exec, s[4:5]
	s_cbranch_execnz .LBB360_117
.LBB360_118:
	s_or_b64 exec, exec, s[2:3]
	s_mul_i32 s2, s25, s28
	v_cmp_eq_u32_e32 vcc, 0, v0
	s_mul_i32 s2, s2, s9
	s_waitcnt lgkmcnt(0)
	s_barrier
	s_and_saveexec_b64 s[4:5], vcc
	s_cbranch_execz .LBB360_120
; %bb.119:
	s_ashr_i32 s3, s2, 31
	s_lshl_b64 s[10:11], s[2:3], 2
	s_add_u32 s3, s22, s10
	s_mul_i32 s14, s25, s6
	s_addc_u32 s9, s23, s11
	s_ashr_i32 s15, s14, 31
	s_lshl_b64 s[14:15], s[14:15], 2
	s_add_u32 s3, s3, s14
	s_addc_u32 s6, s9, s15
	s_ashr_i32 s9, s8, 31
	s_lshl_b64 s[8:9], s[8:9], 2
	s_add_u32 s16, s3, s8
	s_addc_u32 s17, s6, s9
	s_add_u32 s3, s20, s10
	s_addc_u32 s6, s21, s11
	;; [unrolled: 2-line block ×3, first 2 shown]
	s_add_u32 s8, s3, s8
	v_mov_b32_e32 v2, 0
	s_addc_u32 s9, s6, s9
	global_store_dword v2, v4, s[16:17]
	global_store_dword v2, v6, s[8:9]
.LBB360_120:
	s_or_b64 exec, exec, s[4:5]
	v_mov_b32_e32 v21, 0
	s_and_saveexec_b64 s[4:5], s[0:1]
	s_cbranch_execz .LBB360_270
; %bb.121:
	v_lshlrev_b32_e32 v2, 3, v0
	s_ashr_i32 s0, s45, 31
	v_and_b32_e32 v3, 8, v2
	s_add_u32 s1, s36, s45
	v_and_b32_e32 v2, 0x1f8, v2
	v_add_co_u32_e32 v14, vcc, s1, v2
	v_lshl_add_u32 v2, v5, 4, s44
	v_add3_u32 v19, v2, v3, 7
	v_and_b32_e32 v2, 1, v0
	s_mov_b32 s3, s13
	s_addc_u32 s0, s37, s0
	s_load_dword s13, s[18:19], 0x0
	s_add_i32 s16, s7, -1
	v_lshlrev_b32_e32 v2, 5, v2
	s_lshl_b64 s[6:7], s[34:35], 2
	v_mov_b32_e32 v4, s0
	v_lshl_or_b32 v2, v5, 6, v2
	s_add_u32 s6, s30, s6
	v_addc_co_u32_e32 v15, vcc, 0, v4, vcc
	v_add_u32_e32 v20, 0x50, v2
	v_lshlrev_b64 v[2:3], 2, v[10:11]
	s_addc_u32 s7, s31, s7
	s_mov_b32 s0, -1
	v_mov_b32_e32 v4, s7
	v_add_co_u32_e32 v16, vcc, s6, v2
	v_mov_b32_e32 v13, 0
	s_mov_b32 s1, 0xffffff
	v_addc_co_u32_e32 v17, vcc, v4, v3, vcc
	s_mov_b64 s[6:7], 0
	s_mov_b32 s17, 0x7f800000
	s_movk_i32 s18, 0x7fff
	s_movk_i32 s19, 0x80
	;; [unrolled: 1-line block ×3, first 2 shown]
	v_bfrev_b32_e32 v11, 60
	v_mov_b32_e32 v21, 0
	s_branch .LBB360_123
.LBB360_122:                            ;   in Loop: Header=BB360_123 Depth=1
	s_or_b64 exec, exec, s[8:9]
	v_and_b32_e32 v7, 0xffff0000, v6
	v_and_b32_e32 v6, 0xffff0000, v8
	;; [unrolled: 1-line block ×8, first 2 shown]
	v_pk_add_f32 v[2:3], v[4:5], v[8:9]
	v_mov_b32_e32 v4, v3
	v_pk_add_f32 v[2:3], v[2:3], v[4:5]
	v_pk_add_f32 v[4:5], v[24:25], v[6:7]
	v_add_u32_e32 v10, 2, v10
	v_pk_add_f32 v[2:3], v[2:3], v[4:5]
	v_mov_b32_e32 v4, v5
	v_cmp_le_i32_e32 vcc, s33, v10
	v_pk_add_f32 v[2:3], v[2:3], v[4:5]
	s_or_b64 s[6:7], vcc, s[6:7]
	v_add_co_u32_e32 v16, vcc, 8, v16
	v_add_f32_e32 v21, v21, v2
	v_add_u32_e32 v19, 32, v19
	v_add_u32_e32 v20, 0x80, v20
	v_addc_co_u32_e32 v17, vcc, 0, v17, vcc
	s_andn2_b64 exec, exec, s[6:7]
	s_cbranch_execz .LBB360_269
.LBB360_123:                            ; =>This Inner Loop Header: Depth=1
	global_load_dword v12, v[16:17], off
	ds_read2_b64 v[6:9], v20 offset1:1
	ds_read2_b64 v[2:5], v20 offset0:2 offset1:3
                                        ; implicit-def: $vgpr25
	s_waitcnt lgkmcnt(0)
	v_and_b32_e32 v22, 0x7f800000, v6
	v_cmp_ne_u32_e32 vcc, s17, v22
	s_and_saveexec_b64 s[8:9], vcc
	s_xor_b64 s[8:9], exec, s[8:9]
; %bb.124:                              ;   in Loop: Header=BB360_123 Depth=1
	v_bfe_u32 v22, v6, 16, 1
	v_add3_u32 v25, v6, v22, s18
; %bb.125:                              ;   in Loop: Header=BB360_123 Depth=1
	s_andn2_saveexec_b64 s[8:9], s[8:9]
; %bb.126:                              ;   in Loop: Header=BB360_123 Depth=1
	v_or_b32_e32 v22, 0x10000, v6
	v_cmp_eq_u32_sdwa vcc, v6, v13 src0_sel:WORD_0 src1_sel:DWORD
	v_cndmask_b32_e32 v25, v22, v6, vcc
; %bb.127:                              ;   in Loop: Header=BB360_123 Depth=1
	s_or_b64 exec, exec, s[8:9]
	v_and_b32_e32 v6, 0x7f800000, v7
	v_cmp_ne_u32_e32 vcc, s17, v6
                                        ; implicit-def: $vgpr24
	s_and_saveexec_b64 s[8:9], vcc
	s_xor_b64 s[8:9], exec, s[8:9]
; %bb.128:                              ;   in Loop: Header=BB360_123 Depth=1
	v_bfe_u32 v6, v7, 16, 1
	v_add3_u32 v24, v7, v6, s18
; %bb.129:                              ;   in Loop: Header=BB360_123 Depth=1
	s_andn2_saveexec_b64 s[8:9], s[8:9]
; %bb.130:                              ;   in Loop: Header=BB360_123 Depth=1
	v_or_b32_e32 v6, 0x10000, v7
	v_cmp_eq_u32_sdwa vcc, v7, v13 src0_sel:WORD_0 src1_sel:DWORD
	v_cndmask_b32_e32 v24, v6, v7, vcc
; %bb.131:                              ;   in Loop: Header=BB360_123 Depth=1
	s_or_b64 exec, exec, s[8:9]
	v_and_b32_e32 v6, 0x7f800000, v8
	v_cmp_ne_u32_e32 vcc, s17, v6
                                        ; implicit-def: $vgpr23
	s_and_saveexec_b64 s[8:9], vcc
	s_xor_b64 s[8:9], exec, s[8:9]
; %bb.132:                              ;   in Loop: Header=BB360_123 Depth=1
	v_bfe_u32 v6, v8, 16, 1
	v_add3_u32 v23, v8, v6, s18
; %bb.133:                              ;   in Loop: Header=BB360_123 Depth=1
	s_andn2_saveexec_b64 s[8:9], s[8:9]
; %bb.134:                              ;   in Loop: Header=BB360_123 Depth=1
	v_or_b32_e32 v6, 0x10000, v8
	v_cmp_eq_u32_sdwa vcc, v8, v13 src0_sel:WORD_0 src1_sel:DWORD
	v_cndmask_b32_e32 v23, v6, v8, vcc
; %bb.135:                              ;   in Loop: Header=BB360_123 Depth=1
	s_or_b64 exec, exec, s[8:9]
	v_and_b32_e32 v6, 0x7f800000, v9
	v_cmp_ne_u32_e32 vcc, s17, v6
                                        ; implicit-def: $vgpr22
	s_and_saveexec_b64 s[8:9], vcc
	s_xor_b64 s[8:9], exec, s[8:9]
; %bb.136:                              ;   in Loop: Header=BB360_123 Depth=1
	v_bfe_u32 v6, v9, 16, 1
	v_add3_u32 v22, v9, v6, s18
                                        ; implicit-def: $vgpr6_vgpr7_vgpr8_vgpr9
; %bb.137:                              ;   in Loop: Header=BB360_123 Depth=1
	s_andn2_saveexec_b64 s[8:9], s[8:9]
; %bb.138:                              ;   in Loop: Header=BB360_123 Depth=1
	v_or_b32_e32 v6, 0x10000, v9
	v_cmp_eq_u32_sdwa vcc, v9, v13 src0_sel:WORD_0 src1_sel:DWORD
	v_cndmask_b32_e32 v22, v6, v9, vcc
; %bb.139:                              ;   in Loop: Header=BB360_123 Depth=1
	s_or_b64 exec, exec, s[8:9]
	v_and_b32_e32 v6, 0x7f800000, v2
	v_cmp_ne_u32_e32 vcc, s17, v6
                                        ; implicit-def: $vgpr9
	s_and_saveexec_b64 s[8:9], vcc
	s_xor_b64 s[8:9], exec, s[8:9]
; %bb.140:                              ;   in Loop: Header=BB360_123 Depth=1
	v_bfe_u32 v6, v2, 16, 1
	v_add3_u32 v9, v2, v6, s18
; %bb.141:                              ;   in Loop: Header=BB360_123 Depth=1
	s_andn2_saveexec_b64 s[8:9], s[8:9]
; %bb.142:                              ;   in Loop: Header=BB360_123 Depth=1
	v_or_b32_e32 v6, 0x10000, v2
	v_cmp_eq_u32_sdwa vcc, v2, v13 src0_sel:WORD_0 src1_sel:DWORD
	v_cndmask_b32_e32 v9, v6, v2, vcc
; %bb.143:                              ;   in Loop: Header=BB360_123 Depth=1
	s_or_b64 exec, exec, s[8:9]
	v_and_b32_e32 v2, 0x7f800000, v3
	v_cmp_ne_u32_e32 vcc, s17, v2
                                        ; implicit-def: $vgpr8
	s_and_saveexec_b64 s[8:9], vcc
	s_xor_b64 s[8:9], exec, s[8:9]
; %bb.144:                              ;   in Loop: Header=BB360_123 Depth=1
	v_bfe_u32 v2, v3, 16, 1
	v_add3_u32 v8, v3, v2, s18
; %bb.145:                              ;   in Loop: Header=BB360_123 Depth=1
	s_andn2_saveexec_b64 s[8:9], s[8:9]
; %bb.146:                              ;   in Loop: Header=BB360_123 Depth=1
	v_or_b32_e32 v2, 0x10000, v3
	v_cmp_eq_u32_sdwa vcc, v3, v13 src0_sel:WORD_0 src1_sel:DWORD
	v_cndmask_b32_e32 v8, v2, v3, vcc
; %bb.147:                              ;   in Loop: Header=BB360_123 Depth=1
	s_or_b64 exec, exec, s[8:9]
	v_and_b32_e32 v2, 0x7f800000, v4
	v_cmp_ne_u32_e32 vcc, s17, v2
                                        ; implicit-def: $vgpr7
	s_and_saveexec_b64 s[8:9], vcc
	s_xor_b64 s[8:9], exec, s[8:9]
; %bb.148:                              ;   in Loop: Header=BB360_123 Depth=1
	v_bfe_u32 v2, v4, 16, 1
	v_add3_u32 v7, v4, v2, s18
; %bb.149:                              ;   in Loop: Header=BB360_123 Depth=1
	s_andn2_saveexec_b64 s[8:9], s[8:9]
; %bb.150:                              ;   in Loop: Header=BB360_123 Depth=1
	v_or_b32_e32 v2, 0x10000, v4
	v_cmp_eq_u32_sdwa vcc, v4, v13 src0_sel:WORD_0 src1_sel:DWORD
	v_cndmask_b32_e32 v7, v2, v4, vcc
; %bb.151:                              ;   in Loop: Header=BB360_123 Depth=1
	s_or_b64 exec, exec, s[8:9]
	v_and_b32_e32 v2, 0x7f800000, v5
	v_cmp_ne_u32_e32 vcc, s17, v2
                                        ; implicit-def: $vgpr6
	s_and_saveexec_b64 s[8:9], vcc
	s_xor_b64 s[8:9], exec, s[8:9]
; %bb.152:                              ;   in Loop: Header=BB360_123 Depth=1
	v_bfe_u32 v2, v5, 16, 1
	v_add3_u32 v6, v5, v2, s18
                                        ; implicit-def: $vgpr2_vgpr3_vgpr4_vgpr5
; %bb.153:                              ;   in Loop: Header=BB360_123 Depth=1
	s_andn2_saveexec_b64 s[8:9], s[8:9]
; %bb.154:                              ;   in Loop: Header=BB360_123 Depth=1
	v_or_b32_e32 v2, 0x10000, v5
	v_cmp_eq_u32_sdwa vcc, v5, v13 src0_sel:WORD_0 src1_sel:DWORD
	v_cndmask_b32_e32 v6, v2, v5, vcc
; %bb.155:                              ;   in Loop: Header=BB360_123 Depth=1
	s_or_b64 exec, exec, s[8:9]
	s_waitcnt vmcnt(0)
	v_mad_i64_i32 v[2:3], s[8:9], v12, s3, v[14:15]
	global_load_dwordx2 v[2:3], v[2:3], off
	v_mov_b32_e32 v4, 0
	s_waitcnt vmcnt(0)
	v_cmp_ne_u16_sdwa s[10:11], v2, v13 src0_sel:BYTE_0 src1_sel:DWORD
	s_and_saveexec_b64 s[8:9], s[10:11]
	s_cbranch_execz .LBB360_161
; %bb.156:                              ;   in Loop: Header=BB360_123 Depth=1
	v_cmp_ne_u16_sdwa s[14:15], v2, s19 src0_sel:BYTE_0 src1_sel:DWORD
	v_bfrev_b32_e32 v4, 1
	s_and_saveexec_b64 s[10:11], s[14:15]
	s_cbranch_execz .LBB360_160
; %bb.157:                              ;   in Loop: Header=BB360_123 Depth=1
	v_and_b32_e32 v5, 0x7f, v2
	v_cmp_ne_u32_e32 vcc, s20, v5
	v_mov_b32_e32 v4, 0x7f800001
	s_and_saveexec_b64 s[14:15], vcc
	s_cbranch_execz .LBB360_159
; %bb.158:                              ;   in Loop: Header=BB360_123 Depth=1
	v_and_b32_e32 v4, 7, v2
	v_ffbh_u32_e32 v4, v4
	v_min_u32_e32 v4, 32, v4
	v_lshrrev_b32_e32 v12, 3, v5
	v_subrev_u32_e32 v26, 28, v4
	v_sub_u32_e32 v4, 29, v4
	v_cmp_gt_u32_e32 vcc, 8, v5
	v_cndmask_b32_e32 v12, v12, v4, vcc
	v_cndmask_b32_e32 v4, 0, v26, vcc
	v_lshlrev_b64 v[4:5], v4, v[2:3]
	v_lshlrev_b32_e32 v4, 20, v4
	v_lshlrev_b32_e32 v5, 24, v2
	v_and_b32_e32 v4, 0x700000, v4
	v_and_b32_e32 v5, 0x80000000, v5
	v_lshl_add_u32 v12, v12, 23, v11
	v_or3_b32 v4, v5, v12, v4
.LBB360_159:                            ;   in Loop: Header=BB360_123 Depth=1
	s_or_b64 exec, exec, s[14:15]
.LBB360_160:                            ;   in Loop: Header=BB360_123 Depth=1
	s_or_b64 exec, exec, s[10:11]
.LBB360_161:                            ;   in Loop: Header=BB360_123 Depth=1
	s_or_b64 exec, exec, s[8:9]
	v_mul_f32_e32 v4, s13, v4
	v_and_b32_e32 v5, 0x7f800000, v4
	v_cmp_ne_u32_e32 vcc, s17, v5
                                        ; implicit-def: $vgpr5
	s_and_saveexec_b64 s[8:9], vcc
	s_xor_b64 s[8:9], exec, s[8:9]
; %bb.162:                              ;   in Loop: Header=BB360_123 Depth=1
	v_bfe_u32 v5, v4, 16, 1
	v_add3_u32 v5, v4, v5, s18
                                        ; implicit-def: $vgpr4
; %bb.163:                              ;   in Loop: Header=BB360_123 Depth=1
	s_andn2_saveexec_b64 s[8:9], s[8:9]
; %bb.164:                              ;   in Loop: Header=BB360_123 Depth=1
	v_or_b32_e32 v5, 0x10000, v4
	v_cmp_eq_u32_sdwa vcc, v4, v13 src0_sel:WORD_0 src1_sel:DWORD
	v_cndmask_b32_e32 v5, v5, v4, vcc
; %bb.165:                              ;   in Loop: Header=BB360_123 Depth=1
	s_or_b64 exec, exec, s[8:9]
	v_lshrrev_b16_e32 v4, 8, v2
	v_cmp_ne_u16_e32 vcc, 0, v4
	v_mov_b32_e32 v12, 0
	s_and_saveexec_b64 s[8:9], vcc
	s_cbranch_execz .LBB360_171
; %bb.166:                              ;   in Loop: Header=BB360_123 Depth=1
	v_cmp_ne_u16_e32 vcc, s19, v4
	v_bfrev_b32_e32 v12, 1
	s_and_saveexec_b64 s[10:11], vcc
	s_cbranch_execz .LBB360_170
; %bb.167:                              ;   in Loop: Header=BB360_123 Depth=1
	v_and_b32_e32 v26, 0x7f, v4
	v_cmp_ne_u32_e32 vcc, s20, v26
	v_mov_b32_e32 v12, 0x7f800001
	s_and_saveexec_b64 s[14:15], vcc
	s_cbranch_execz .LBB360_169
; %bb.168:                              ;   in Loop: Header=BB360_123 Depth=1
	v_and_b32_e32 v12, 7, v4
	v_ffbh_u32_e32 v28, v12
	v_min_u32_e32 v30, 32, v28
	v_subrev_u32_e32 v28, 28, v30
	v_lshlrev_b64 v[28:29], v28, v[4:5]
	v_lshrrev_b32_e32 v27, 3, v26
	v_sub_u32_e32 v4, 29, v30
	v_and_b32_e32 v28, 7, v28
	v_cmp_gt_u32_e32 vcc, 8, v26
	v_cndmask_b32_e32 v4, v27, v4, vcc
	v_cndmask_b32_e32 v12, v12, v28, vcc
	v_lshlrev_b32_e32 v26, 16, v2
	v_lshlrev_b32_e32 v12, 20, v12
	v_and_b32_e32 v26, 0x80000000, v26
	v_lshl_add_u32 v4, v4, 23, v11
	v_or3_b32 v12, v26, v4, v12
.LBB360_169:                            ;   in Loop: Header=BB360_123 Depth=1
	s_or_b64 exec, exec, s[14:15]
.LBB360_170:                            ;   in Loop: Header=BB360_123 Depth=1
	s_or_b64 exec, exec, s[10:11]
.LBB360_171:                            ;   in Loop: Header=BB360_123 Depth=1
	s_or_b64 exec, exec, s[8:9]
	v_mul_f32_e32 v4, s13, v12
	v_and_b32_e32 v12, 0x7f800000, v4
	v_cmp_ne_u32_e32 vcc, s17, v12
                                        ; implicit-def: $vgpr26
	s_and_saveexec_b64 s[8:9], vcc
	s_xor_b64 s[8:9], exec, s[8:9]
; %bb.172:                              ;   in Loop: Header=BB360_123 Depth=1
	v_bfe_u32 v12, v4, 16, 1
	v_add3_u32 v26, v4, v12, s18
                                        ; implicit-def: $vgpr4
; %bb.173:                              ;   in Loop: Header=BB360_123 Depth=1
	s_andn2_saveexec_b64 s[8:9], s[8:9]
; %bb.174:                              ;   in Loop: Header=BB360_123 Depth=1
	v_or_b32_e32 v12, 0x10000, v4
	v_cmp_eq_u32_sdwa vcc, v4, v13 src0_sel:WORD_0 src1_sel:DWORD
	v_cndmask_b32_e32 v26, v12, v4, vcc
; %bb.175:                              ;   in Loop: Header=BB360_123 Depth=1
	s_or_b64 exec, exec, s[8:9]
	v_lshrrev_b32_e32 v4, 16, v2
	v_cmp_ne_u16_sdwa s[10:11], v4, v13 src0_sel:BYTE_0 src1_sel:DWORD
	v_mov_b32_e32 v12, 0
	s_and_saveexec_b64 s[8:9], s[10:11]
	s_cbranch_execz .LBB360_181
; %bb.176:                              ;   in Loop: Header=BB360_123 Depth=1
	v_cmp_ne_u16_sdwa s[14:15], v4, s19 src0_sel:BYTE_0 src1_sel:DWORD
	v_bfrev_b32_e32 v12, 1
	s_and_saveexec_b64 s[10:11], s[14:15]
	s_cbranch_execz .LBB360_180
; %bb.177:                              ;   in Loop: Header=BB360_123 Depth=1
	v_bfe_u32 v27, v2, 16, 7
	v_cmp_ne_u32_e32 vcc, s20, v27
	v_mov_b32_e32 v12, 0x7f800001
	s_and_saveexec_b64 s[14:15], vcc
	s_cbranch_execz .LBB360_179
; %bb.178:                              ;   in Loop: Header=BB360_123 Depth=1
	v_and_b32_e32 v12, 7, v4
	v_ffbh_u32_e32 v28, v12
	v_min_u32_e32 v31, 32, v28
	v_subrev_u32_e32 v28, 28, v31
	v_lshlrev_b64 v[28:29], v28, v[4:5]
	v_lshrrev_b32_e32 v30, 3, v27
	v_sub_u32_e32 v29, 29, v31
	v_and_b32_e32 v28, 7, v28
	v_cmp_gt_u32_e32 vcc, 8, v27
	v_cndmask_b32_e32 v27, v30, v29, vcc
	v_cndmask_b32_e32 v12, v12, v28, vcc
	v_lshlrev_b32_e32 v4, 24, v4
	v_lshlrev_b32_e32 v12, 20, v12
	v_and_b32_e32 v4, 0x80000000, v4
	v_lshl_add_u32 v27, v27, 23, v11
	v_or3_b32 v12, v4, v27, v12
.LBB360_179:                            ;   in Loop: Header=BB360_123 Depth=1
	s_or_b64 exec, exec, s[14:15]
.LBB360_180:                            ;   in Loop: Header=BB360_123 Depth=1
	s_or_b64 exec, exec, s[10:11]
.LBB360_181:                            ;   in Loop: Header=BB360_123 Depth=1
	s_or_b64 exec, exec, s[8:9]
	v_mul_f32_e32 v4, s13, v12
	v_and_b32_e32 v12, 0x7f800000, v4
	v_cmp_ne_u32_e32 vcc, s17, v12
                                        ; implicit-def: $vgpr27
	s_and_saveexec_b64 s[8:9], vcc
	s_xor_b64 s[8:9], exec, s[8:9]
; %bb.182:                              ;   in Loop: Header=BB360_123 Depth=1
	v_bfe_u32 v12, v4, 16, 1
	v_add3_u32 v27, v4, v12, s18
                                        ; implicit-def: $vgpr4
; %bb.183:                              ;   in Loop: Header=BB360_123 Depth=1
	s_andn2_saveexec_b64 s[8:9], s[8:9]
; %bb.184:                              ;   in Loop: Header=BB360_123 Depth=1
	v_or_b32_e32 v12, 0x10000, v4
	v_cmp_eq_u32_sdwa vcc, v4, v13 src0_sel:WORD_0 src1_sel:DWORD
	v_cndmask_b32_e32 v27, v12, v4, vcc
; %bb.185:                              ;   in Loop: Header=BB360_123 Depth=1
	s_or_b64 exec, exec, s[8:9]
	v_cmp_lt_u32_e32 vcc, s1, v2
	v_mov_b32_e32 v12, 0
	s_and_saveexec_b64 s[8:9], vcc
	s_cbranch_execz .LBB360_191
; %bb.186:                              ;   in Loop: Header=BB360_123 Depth=1
	v_lshrrev_b32_e32 v4, 24, v2
	v_cmp_ne_u32_e32 vcc, s19, v4
	v_bfrev_b32_e32 v12, 1
	s_and_saveexec_b64 s[10:11], vcc
	s_cbranch_execz .LBB360_190
; %bb.187:                              ;   in Loop: Header=BB360_123 Depth=1
	v_bfe_u32 v28, v2, 24, 7
	v_cmp_ne_u32_e32 vcc, s20, v28
	v_mov_b32_e32 v12, 0x7f800001
	s_and_saveexec_b64 s[14:15], vcc
	s_cbranch_execz .LBB360_189
; %bb.188:                              ;   in Loop: Header=BB360_123 Depth=1
	v_and_b32_e32 v12, 7, v4
	v_ffbh_u32_e32 v30, v12
	v_min_u32_e32 v32, 32, v30
	v_subrev_u32_e32 v30, 28, v32
	v_lshlrev_b64 v[30:31], v30, v[4:5]
	v_lshrrev_b32_e32 v29, 3, v28
	v_sub_u32_e32 v31, 29, v32
	v_and_b32_e32 v30, 7, v30
	v_cmp_gt_u32_e32 vcc, 8, v28
	v_cndmask_b32_e32 v28, v29, v31, vcc
	v_cndmask_b32_e32 v12, v12, v30, vcc
	v_lshlrev_b32_e32 v4, 24, v4
	v_lshlrev_b32_e32 v12, 20, v12
	v_and_b32_e32 v4, 0x80000000, v4
	v_lshl_add_u32 v28, v28, 23, v11
	v_or3_b32 v12, v4, v28, v12
.LBB360_189:                            ;   in Loop: Header=BB360_123 Depth=1
	s_or_b64 exec, exec, s[14:15]
.LBB360_190:                            ;   in Loop: Header=BB360_123 Depth=1
	s_or_b64 exec, exec, s[10:11]
.LBB360_191:                            ;   in Loop: Header=BB360_123 Depth=1
	s_or_b64 exec, exec, s[8:9]
	v_mul_f32_e32 v4, s13, v12
	v_and_b32_e32 v12, 0x7f800000, v4
	v_cmp_ne_u32_e32 vcc, s17, v12
                                        ; implicit-def: $vgpr28
	s_and_saveexec_b64 s[8:9], vcc
	s_xor_b64 s[8:9], exec, s[8:9]
; %bb.192:                              ;   in Loop: Header=BB360_123 Depth=1
	v_bfe_u32 v12, v4, 16, 1
	v_add3_u32 v28, v4, v12, s18
                                        ; implicit-def: $vgpr4
; %bb.193:                              ;   in Loop: Header=BB360_123 Depth=1
	s_andn2_saveexec_b64 s[8:9], s[8:9]
; %bb.194:                              ;   in Loop: Header=BB360_123 Depth=1
	v_or_b32_e32 v12, 0x10000, v4
	v_cmp_eq_u32_sdwa vcc, v4, v13 src0_sel:WORD_0 src1_sel:DWORD
	v_cndmask_b32_e32 v28, v12, v4, vcc
; %bb.195:                              ;   in Loop: Header=BB360_123 Depth=1
	s_or_b64 exec, exec, s[8:9]
	v_mov_b32_e32 v12, v3
	v_cmp_ne_u16_sdwa s[10:11], v3, v13 src0_sel:BYTE_0 src1_sel:DWORD
	v_mov_b32_e32 v4, 0
	s_and_saveexec_b64 s[8:9], s[10:11]
	s_cbranch_execz .LBB360_201
; %bb.196:                              ;   in Loop: Header=BB360_123 Depth=1
	v_cmp_ne_u16_sdwa s[14:15], v3, s19 src0_sel:BYTE_0 src1_sel:DWORD
	v_bfrev_b32_e32 v4, 1
	s_and_saveexec_b64 s[10:11], s[14:15]
	s_cbranch_execz .LBB360_200
; %bb.197:                              ;   in Loop: Header=BB360_123 Depth=1
	v_and_b32_e32 v29, 0x7f, v3
	v_cmp_ne_u32_e32 vcc, s20, v29
	v_mov_b32_e32 v4, 0x7f800001
	s_and_saveexec_b64 s[14:15], vcc
	s_cbranch_execz .LBB360_199
; %bb.198:                              ;   in Loop: Header=BB360_123 Depth=1
	v_and_b32_e32 v4, 7, v3
	v_ffbh_u32_e32 v4, v4
	v_min_u32_e32 v4, 32, v4
	v_subrev_u32_e32 v31, 28, v4
	v_cmp_gt_u32_e32 vcc, 8, v29
	v_lshrrev_b32_e32 v30, 3, v29
	v_sub_u32_e32 v4, 29, v4
	v_cndmask_b32_e32 v29, 0, v31, vcc
	v_cndmask_b32_e32 v4, v30, v4, vcc
	v_lshlrev_b64 v[30:31], v29, v[12:13]
	v_lshlrev_b32_e32 v29, 20, v30
	v_lshlrev_b32_e32 v30, 24, v12
	v_and_b32_e32 v29, 0x700000, v29
	v_and_b32_e32 v30, 0x80000000, v30
	v_lshl_add_u32 v4, v4, 23, v11
	v_or3_b32 v4, v30, v4, v29
.LBB360_199:                            ;   in Loop: Header=BB360_123 Depth=1
	s_or_b64 exec, exec, s[14:15]
.LBB360_200:                            ;   in Loop: Header=BB360_123 Depth=1
	s_or_b64 exec, exec, s[10:11]
.LBB360_201:                            ;   in Loop: Header=BB360_123 Depth=1
	s_or_b64 exec, exec, s[8:9]
	v_mul_f32_e32 v4, s13, v4
	v_and_b32_e32 v29, 0x7f800000, v4
	v_cmp_ne_u32_e32 vcc, s17, v29
                                        ; implicit-def: $vgpr29
	s_and_saveexec_b64 s[8:9], vcc
	s_xor_b64 s[8:9], exec, s[8:9]
; %bb.202:                              ;   in Loop: Header=BB360_123 Depth=1
	v_bfe_u32 v29, v4, 16, 1
	v_add3_u32 v29, v4, v29, s18
                                        ; implicit-def: $vgpr4
; %bb.203:                              ;   in Loop: Header=BB360_123 Depth=1
	s_andn2_saveexec_b64 s[8:9], s[8:9]
; %bb.204:                              ;   in Loop: Header=BB360_123 Depth=1
	v_or_b32_e32 v29, 0x10000, v4
	v_cmp_eq_u32_sdwa vcc, v4, v13 src0_sel:WORD_0 src1_sel:DWORD
	v_cndmask_b32_e32 v29, v29, v4, vcc
; %bb.205:                              ;   in Loop: Header=BB360_123 Depth=1
	s_or_b64 exec, exec, s[8:9]
	v_lshrrev_b16_e32 v4, 8, v12
	v_cmp_ne_u16_e32 vcc, 0, v4
	v_mov_b32_e32 v30, 0
	s_and_saveexec_b64 s[8:9], vcc
	s_cbranch_execz .LBB360_211
; %bb.206:                              ;   in Loop: Header=BB360_123 Depth=1
	v_cmp_ne_u16_e32 vcc, s19, v4
	v_bfrev_b32_e32 v30, 1
	s_and_saveexec_b64 s[10:11], vcc
	s_cbranch_execz .LBB360_210
; %bb.207:                              ;   in Loop: Header=BB360_123 Depth=1
	v_and_b32_e32 v31, 0x7f, v4
	v_cmp_ne_u32_e32 vcc, s20, v31
	v_mov_b32_e32 v30, 0x7f800001
	s_and_saveexec_b64 s[14:15], vcc
	s_cbranch_execz .LBB360_209
; %bb.208:                              ;   in Loop: Header=BB360_123 Depth=1
	v_and_b32_e32 v30, 7, v4
	v_ffbh_u32_e32 v32, v30
	v_min_u32_e32 v35, 32, v32
	v_subrev_u32_e32 v32, 28, v35
	v_lshlrev_b64 v[32:33], v32, v[4:5]
	v_lshrrev_b32_e32 v34, 3, v31
	v_sub_u32_e32 v4, 29, v35
	v_and_b32_e32 v32, 7, v32
	v_cmp_gt_u32_e32 vcc, 8, v31
	v_cndmask_b32_e32 v4, v34, v4, vcc
	v_cndmask_b32_e32 v30, v30, v32, vcc
	v_lshlrev_b32_e32 v12, 16, v12
	v_lshlrev_b32_e32 v30, 20, v30
	v_and_b32_e32 v12, 0x80000000, v12
	v_lshl_add_u32 v4, v4, 23, v11
	v_or3_b32 v30, v12, v4, v30
.LBB360_209:                            ;   in Loop: Header=BB360_123 Depth=1
	s_or_b64 exec, exec, s[14:15]
.LBB360_210:                            ;   in Loop: Header=BB360_123 Depth=1
	s_or_b64 exec, exec, s[10:11]
.LBB360_211:                            ;   in Loop: Header=BB360_123 Depth=1
	s_or_b64 exec, exec, s[8:9]
	v_mul_f32_e32 v4, s13, v30
	v_and_b32_e32 v12, 0x7f800000, v4
	v_cmp_ne_u32_e32 vcc, s17, v12
                                        ; implicit-def: $vgpr12
	s_and_saveexec_b64 s[8:9], vcc
	s_xor_b64 s[8:9], exec, s[8:9]
; %bb.212:                              ;   in Loop: Header=BB360_123 Depth=1
	v_bfe_u32 v12, v4, 16, 1
	v_add3_u32 v12, v4, v12, s18
                                        ; implicit-def: $vgpr4
; %bb.213:                              ;   in Loop: Header=BB360_123 Depth=1
	s_andn2_saveexec_b64 s[8:9], s[8:9]
; %bb.214:                              ;   in Loop: Header=BB360_123 Depth=1
	v_or_b32_e32 v12, 0x10000, v4
	v_cmp_eq_u32_sdwa vcc, v4, v13 src0_sel:WORD_0 src1_sel:DWORD
	v_cndmask_b32_e32 v12, v12, v4, vcc
; %bb.215:                              ;   in Loop: Header=BB360_123 Depth=1
	s_or_b64 exec, exec, s[8:9]
	v_lshrrev_b32_e32 v4, 16, v3
	v_cmp_ne_u16_sdwa s[10:11], v4, v13 src0_sel:BYTE_0 src1_sel:DWORD
	v_mov_b32_e32 v30, 0
	s_and_saveexec_b64 s[8:9], s[10:11]
	s_cbranch_execz .LBB360_221
; %bb.216:                              ;   in Loop: Header=BB360_123 Depth=1
	v_cmp_ne_u16_sdwa s[14:15], v4, s19 src0_sel:BYTE_0 src1_sel:DWORD
	v_bfrev_b32_e32 v30, 1
	s_and_saveexec_b64 s[10:11], s[14:15]
	s_cbranch_execz .LBB360_220
; %bb.217:                              ;   in Loop: Header=BB360_123 Depth=1
	v_bfe_u32 v31, v3, 16, 7
	v_cmp_ne_u32_e32 vcc, s20, v31
	v_mov_b32_e32 v30, 0x7f800001
	s_and_saveexec_b64 s[14:15], vcc
	s_cbranch_execz .LBB360_219
; %bb.218:                              ;   in Loop: Header=BB360_123 Depth=1
	v_and_b32_e32 v30, 7, v4
	v_ffbh_u32_e32 v32, v30
	v_min_u32_e32 v35, 32, v32
	v_subrev_u32_e32 v32, 28, v35
	v_lshlrev_b64 v[32:33], v32, v[4:5]
	v_lshrrev_b32_e32 v34, 3, v31
	v_sub_u32_e32 v33, 29, v35
	v_and_b32_e32 v32, 7, v32
	v_cmp_gt_u32_e32 vcc, 8, v31
	v_cndmask_b32_e32 v31, v34, v33, vcc
	v_cndmask_b32_e32 v30, v30, v32, vcc
	v_lshlrev_b32_e32 v4, 24, v4
	v_lshlrev_b32_e32 v30, 20, v30
	v_and_b32_e32 v4, 0x80000000, v4
	v_lshl_add_u32 v31, v31, 23, v11
	v_or3_b32 v30, v4, v31, v30
.LBB360_219:                            ;   in Loop: Header=BB360_123 Depth=1
	s_or_b64 exec, exec, s[14:15]
.LBB360_220:                            ;   in Loop: Header=BB360_123 Depth=1
	s_or_b64 exec, exec, s[10:11]
.LBB360_221:                            ;   in Loop: Header=BB360_123 Depth=1
	s_or_b64 exec, exec, s[8:9]
	v_mul_f32_e32 v30, s13, v30
	v_and_b32_e32 v4, 0x7f800000, v30
	v_cmp_ne_u32_e32 vcc, s17, v4
                                        ; implicit-def: $vgpr4
	s_and_saveexec_b64 s[8:9], vcc
	s_xor_b64 s[8:9], exec, s[8:9]
; %bb.222:                              ;   in Loop: Header=BB360_123 Depth=1
	v_bfe_u32 v4, v30, 16, 1
	v_add3_u32 v4, v30, v4, s18
                                        ; implicit-def: $vgpr30
; %bb.223:                              ;   in Loop: Header=BB360_123 Depth=1
	s_andn2_saveexec_b64 s[8:9], s[8:9]
; %bb.224:                              ;   in Loop: Header=BB360_123 Depth=1
	v_or_b32_e32 v4, 0x10000, v30
	v_cmp_eq_u32_sdwa vcc, v30, v13 src0_sel:WORD_0 src1_sel:DWORD
	v_cndmask_b32_e32 v4, v4, v30, vcc
; %bb.225:                              ;   in Loop: Header=BB360_123 Depth=1
	s_or_b64 exec, exec, s[8:9]
	v_cmp_lt_u64_e32 vcc, s[0:1], v[2:3]
	v_mov_b32_e32 v30, 0
	s_and_saveexec_b64 s[8:9], vcc
	s_cbranch_execz .LBB360_231
; %bb.226:                              ;   in Loop: Header=BB360_123 Depth=1
	v_lshrrev_b32_e32 v2, 24, v3
	v_cmp_ne_u32_e32 vcc, s19, v2
	v_bfrev_b32_e32 v30, 1
	s_and_saveexec_b64 s[10:11], vcc
	s_cbranch_execz .LBB360_230
; %bb.227:                              ;   in Loop: Header=BB360_123 Depth=1
	v_bfe_u32 v3, v3, 24, 7
	v_cmp_ne_u32_e32 vcc, s20, v3
	v_mov_b32_e32 v30, 0x7f800001
	s_and_saveexec_b64 s[14:15], vcc
	s_cbranch_execz .LBB360_229
; %bb.228:                              ;   in Loop: Header=BB360_123 Depth=1
	v_and_b32_e32 v32, 7, v2
	v_ffbh_u32_e32 v30, v32
	v_min_u32_e32 v34, 32, v30
	v_subrev_u32_e32 v30, 28, v34
	v_lshlrev_b64 v[30:31], v30, v[2:3]
	v_lshrrev_b32_e32 v33, 3, v3
	v_sub_u32_e32 v31, 29, v34
	v_and_b32_e32 v30, 7, v30
	v_cmp_gt_u32_e32 vcc, 8, v3
	v_cndmask_b32_e32 v3, v33, v31, vcc
	v_cndmask_b32_e32 v30, v32, v30, vcc
	v_lshlrev_b32_e32 v2, 24, v2
	v_lshlrev_b32_e32 v30, 20, v30
	v_and_b32_e32 v2, 0x80000000, v2
	v_lshl_add_u32 v3, v3, 23, v11
	v_or3_b32 v30, v2, v3, v30
.LBB360_229:                            ;   in Loop: Header=BB360_123 Depth=1
	s_or_b64 exec, exec, s[14:15]
.LBB360_230:                            ;   in Loop: Header=BB360_123 Depth=1
	s_or_b64 exec, exec, s[10:11]
.LBB360_231:                            ;   in Loop: Header=BB360_123 Depth=1
	s_or_b64 exec, exec, s[8:9]
	v_mul_f32_e32 v3, s13, v30
	v_and_b32_e32 v2, 0x7f800000, v3
	v_cmp_ne_u32_e32 vcc, s17, v2
                                        ; implicit-def: $vgpr2
	s_and_saveexec_b64 s[8:9], vcc
	s_xor_b64 s[8:9], exec, s[8:9]
; %bb.232:                              ;   in Loop: Header=BB360_123 Depth=1
	v_bfe_u32 v2, v3, 16, 1
	v_add3_u32 v2, v3, v2, s18
                                        ; implicit-def: $vgpr3
; %bb.233:                              ;   in Loop: Header=BB360_123 Depth=1
	s_andn2_saveexec_b64 s[8:9], s[8:9]
; %bb.234:                              ;   in Loop: Header=BB360_123 Depth=1
	v_or_b32_e32 v2, 0x10000, v3
	v_cmp_eq_u32_sdwa vcc, v3, v13 src0_sel:WORD_0 src1_sel:DWORD
	v_cndmask_b32_e32 v2, v2, v3, vcc
; %bb.235:                              ;   in Loop: Header=BB360_123 Depth=1
	s_or_b64 exec, exec, s[8:9]
	v_lshrrev_b32_e32 v12, 16, v12
	v_lshrrev_b32_e32 v29, 16, v29
	;; [unrolled: 1-line block ×8, first 2 shown]
	v_cmp_eq_u32_e32 vcc, s16, v10
	s_and_saveexec_b64 s[8:9], vcc
	s_cbranch_execz .LBB360_237
; %bb.236:                              ;   in Loop: Header=BB360_123 Depth=1
	v_add_u32_e32 v5, -7, v19
	v_cmp_gt_i32_e32 vcc, s29, v5
	v_add_u32_e32 v5, -6, v19
	v_cndmask_b32_e32 v3, 0, v3, vcc
	v_cmp_gt_i32_e32 vcc, s29, v5
	v_add_u32_e32 v5, -5, v19
	v_cndmask_b32_e32 v26, 0, v26, vcc
	;; [unrolled: 3-line block ×6, first 2 shown]
	v_cmp_gt_i32_e32 vcc, s29, v5
	v_cndmask_b32_e32 v4, 0, v4, vcc
	v_cmp_gt_i32_e32 vcc, s29, v19
	v_cndmask_b32_e32 v2, 0, v2, vcc
.LBB360_237:                            ;   in Loop: Header=BB360_123 Depth=1
	s_or_b64 exec, exec, s[8:9]
	v_and_b32_e32 v5, 0xffff0000, v25
	v_lshlrev_b32_e32 v3, 16, v3
	v_mul_f32_e32 v5, v5, v3
	v_and_b32_e32 v3, 0x7f800000, v5
	v_cmp_ne_u32_e32 vcc, s17, v3
                                        ; implicit-def: $vgpr3
	s_and_saveexec_b64 s[8:9], vcc
	s_xor_b64 s[8:9], exec, s[8:9]
; %bb.238:                              ;   in Loop: Header=BB360_123 Depth=1
	v_bfe_u32 v3, v5, 16, 1
	v_add3_u32 v3, v5, v3, s18
                                        ; implicit-def: $vgpr5
; %bb.239:                              ;   in Loop: Header=BB360_123 Depth=1
	s_andn2_saveexec_b64 s[8:9], s[8:9]
; %bb.240:                              ;   in Loop: Header=BB360_123 Depth=1
	v_or_b32_e32 v3, 0x10000, v5
	v_cmp_eq_u32_sdwa vcc, v5, v13 src0_sel:WORD_0 src1_sel:DWORD
	v_cndmask_b32_e32 v3, v3, v5, vcc
; %bb.241:                              ;   in Loop: Header=BB360_123 Depth=1
	s_or_b64 exec, exec, s[8:9]
	v_and_b32_e32 v5, 0xffff0000, v24
	v_lshlrev_b32_e32 v24, 16, v26
	v_mul_f32_e32 v24, v5, v24
	v_and_b32_e32 v5, 0x7f800000, v24
	v_cmp_ne_u32_e32 vcc, s17, v5
                                        ; implicit-def: $vgpr5
	s_and_saveexec_b64 s[8:9], vcc
	s_xor_b64 s[8:9], exec, s[8:9]
; %bb.242:                              ;   in Loop: Header=BB360_123 Depth=1
	v_bfe_u32 v5, v24, 16, 1
	v_add3_u32 v5, v24, v5, s18
                                        ; implicit-def: $vgpr24
; %bb.243:                              ;   in Loop: Header=BB360_123 Depth=1
	s_andn2_saveexec_b64 s[8:9], s[8:9]
; %bb.244:                              ;   in Loop: Header=BB360_123 Depth=1
	v_or_b32_e32 v5, 0x10000, v24
	v_cmp_eq_u32_sdwa vcc, v24, v13 src0_sel:WORD_0 src1_sel:DWORD
	v_cndmask_b32_e32 v5, v5, v24, vcc
; %bb.245:                              ;   in Loop: Header=BB360_123 Depth=1
	s_or_b64 exec, exec, s[8:9]
	v_and_b32_e32 v23, 0xffff0000, v23
	v_lshlrev_b32_e32 v24, 16, v27
	v_mul_f32_e32 v24, v23, v24
	v_and_b32_e32 v23, 0x7f800000, v24
	v_cmp_ne_u32_e32 vcc, s17, v23
                                        ; implicit-def: $vgpr23
	s_and_saveexec_b64 s[8:9], vcc
	s_xor_b64 s[8:9], exec, s[8:9]
; %bb.246:                              ;   in Loop: Header=BB360_123 Depth=1
	v_bfe_u32 v23, v24, 16, 1
	v_add3_u32 v23, v24, v23, s18
                                        ; implicit-def: $vgpr24
; %bb.247:                              ;   in Loop: Header=BB360_123 Depth=1
	s_andn2_saveexec_b64 s[8:9], s[8:9]
; %bb.248:                              ;   in Loop: Header=BB360_123 Depth=1
	v_or_b32_e32 v23, 0x10000, v24
	v_cmp_eq_u32_sdwa vcc, v24, v13 src0_sel:WORD_0 src1_sel:DWORD
	v_cndmask_b32_e32 v23, v23, v24, vcc
; %bb.249:                              ;   in Loop: Header=BB360_123 Depth=1
	s_or_b64 exec, exec, s[8:9]
	v_and_b32_e32 v22, 0xffff0000, v22
	v_lshlrev_b32_e32 v24, 16, v28
	v_mul_f32_e32 v24, v22, v24
	v_and_b32_e32 v22, 0x7f800000, v24
	v_cmp_ne_u32_e32 vcc, s17, v22
                                        ; implicit-def: $vgpr22
	s_and_saveexec_b64 s[8:9], vcc
	s_xor_b64 s[8:9], exec, s[8:9]
; %bb.250:                              ;   in Loop: Header=BB360_123 Depth=1
	v_bfe_u32 v22, v24, 16, 1
	v_add3_u32 v22, v24, v22, s18
                                        ; implicit-def: $vgpr24
; %bb.251:                              ;   in Loop: Header=BB360_123 Depth=1
	s_andn2_saveexec_b64 s[8:9], s[8:9]
; %bb.252:                              ;   in Loop: Header=BB360_123 Depth=1
	v_or_b32_e32 v22, 0x10000, v24
	v_cmp_eq_u32_sdwa vcc, v24, v13 src0_sel:WORD_0 src1_sel:DWORD
	v_cndmask_b32_e32 v22, v22, v24, vcc
; %bb.253:                              ;   in Loop: Header=BB360_123 Depth=1
	s_or_b64 exec, exec, s[8:9]
	v_and_b32_e32 v9, 0xffff0000, v9
	v_lshlrev_b32_e32 v24, 16, v29
	v_mul_f32_e32 v24, v9, v24
	v_and_b32_e32 v9, 0x7f800000, v24
	v_cmp_ne_u32_e32 vcc, s17, v9
                                        ; implicit-def: $vgpr9
	s_and_saveexec_b64 s[8:9], vcc
	s_xor_b64 s[8:9], exec, s[8:9]
; %bb.254:                              ;   in Loop: Header=BB360_123 Depth=1
	v_bfe_u32 v9, v24, 16, 1
	v_add3_u32 v9, v24, v9, s18
                                        ; implicit-def: $vgpr24
; %bb.255:                              ;   in Loop: Header=BB360_123 Depth=1
	s_andn2_saveexec_b64 s[8:9], s[8:9]
; %bb.256:                              ;   in Loop: Header=BB360_123 Depth=1
	v_or_b32_e32 v9, 0x10000, v24
	v_cmp_eq_u32_sdwa vcc, v24, v13 src0_sel:WORD_0 src1_sel:DWORD
	v_cndmask_b32_e32 v9, v9, v24, vcc
; %bb.257:                              ;   in Loop: Header=BB360_123 Depth=1
	s_or_b64 exec, exec, s[8:9]
	v_and_b32_e32 v8, 0xffff0000, v8
	v_lshlrev_b32_e32 v12, 16, v12
	v_mul_f32_e32 v12, v8, v12
	v_and_b32_e32 v8, 0x7f800000, v12
	v_cmp_ne_u32_e32 vcc, s17, v8
                                        ; implicit-def: $vgpr8
	s_and_saveexec_b64 s[8:9], vcc
	s_xor_b64 s[8:9], exec, s[8:9]
; %bb.258:                              ;   in Loop: Header=BB360_123 Depth=1
	v_bfe_u32 v8, v12, 16, 1
	v_add3_u32 v8, v12, v8, s18
                                        ; implicit-def: $vgpr12
; %bb.259:                              ;   in Loop: Header=BB360_123 Depth=1
	s_andn2_saveexec_b64 s[8:9], s[8:9]
; %bb.260:                              ;   in Loop: Header=BB360_123 Depth=1
	v_or_b32_e32 v8, 0x10000, v12
	v_cmp_eq_u32_sdwa vcc, v12, v13 src0_sel:WORD_0 src1_sel:DWORD
	v_cndmask_b32_e32 v8, v8, v12, vcc
; %bb.261:                              ;   in Loop: Header=BB360_123 Depth=1
	s_or_b64 exec, exec, s[8:9]
	v_and_b32_e32 v7, 0xffff0000, v7
	v_lshlrev_b32_e32 v4, 16, v4
	v_mul_f32_e32 v7, v7, v4
	v_and_b32_e32 v4, 0x7f800000, v7
	v_cmp_ne_u32_e32 vcc, s17, v4
                                        ; implicit-def: $vgpr4
	s_and_saveexec_b64 s[8:9], vcc
	s_xor_b64 s[8:9], exec, s[8:9]
; %bb.262:                              ;   in Loop: Header=BB360_123 Depth=1
	v_bfe_u32 v4, v7, 16, 1
	v_add3_u32 v4, v7, v4, s18
                                        ; implicit-def: $vgpr7
; %bb.263:                              ;   in Loop: Header=BB360_123 Depth=1
	s_andn2_saveexec_b64 s[8:9], s[8:9]
; %bb.264:                              ;   in Loop: Header=BB360_123 Depth=1
	v_or_b32_e32 v4, 0x10000, v7
	v_cmp_eq_u32_sdwa vcc, v7, v13 src0_sel:WORD_0 src1_sel:DWORD
	v_cndmask_b32_e32 v4, v4, v7, vcc
; %bb.265:                              ;   in Loop: Header=BB360_123 Depth=1
	s_or_b64 exec, exec, s[8:9]
	v_and_b32_e32 v6, 0xffff0000, v6
	v_lshlrev_b32_e32 v2, 16, v2
	v_mul_f32_e32 v2, v6, v2
	v_and_b32_e32 v6, 0x7f800000, v2
	v_cmp_ne_u32_e32 vcc, s17, v6
                                        ; implicit-def: $vgpr6
	s_and_saveexec_b64 s[8:9], vcc
	s_xor_b64 s[8:9], exec, s[8:9]
; %bb.266:                              ;   in Loop: Header=BB360_123 Depth=1
	v_bfe_u32 v6, v2, 16, 1
	v_add3_u32 v6, v2, v6, s18
                                        ; implicit-def: $vgpr2
; %bb.267:                              ;   in Loop: Header=BB360_123 Depth=1
	s_andn2_saveexec_b64 s[8:9], s[8:9]
	s_cbranch_execz .LBB360_122
; %bb.268:                              ;   in Loop: Header=BB360_123 Depth=1
	v_or_b32_e32 v6, 0x10000, v2
	v_cmp_eq_u32_sdwa vcc, v2, v13 src0_sel:WORD_0 src1_sel:DWORD
	v_cndmask_b32_e32 v6, v6, v2, vcc
	s_branch .LBB360_122
.LBB360_269:
	s_or_b64 exec, exec, s[6:7]
.LBB360_270:
	s_or_b64 exec, exec, s[4:5]
	ds_bpermute_b32 v2, v18, v21
	v_and_b32_e32 v3, 0x3c1, v0
	v_cmp_eq_u32_e32 vcc, 64, v3
	s_waitcnt lgkmcnt(0)
	s_barrier
	v_add_f32_e32 v2, v21, v2
	s_and_saveexec_b64 s[0:1], vcc
	s_cbranch_execz .LBB360_272
; %bb.271:
	v_mov_b32_e32 v4, 0x50
	v_lshl_add_u32 v1, v1, 1, v4
	ds_write_b32 v1, v2
.LBB360_272:
	s_or_b64 exec, exec, s[0:1]
	v_cmp_eq_u32_e32 vcc, 0, v3
	s_waitcnt lgkmcnt(0)
	s_barrier
	s_and_saveexec_b64 s[0:1], vcc
	s_cbranch_execz .LBB360_274
; %bb.273:
	v_mov_b32_e32 v1, 0x50
	v_lshl_add_u32 v1, v0, 1, v1
	ds_read_b32 v1, v1
	s_waitcnt lgkmcnt(0)
	v_add_f32_e32 v2, v2, v1
.LBB360_274:
	s_or_b64 exec, exec, s[0:1]
	s_barrier
	s_and_saveexec_b64 s[0:1], vcc
	s_cbranch_execz .LBB360_280
; %bb.275:
	s_mov_b32 s0, 0x7f800000
	v_and_b32_e32 v1, 0x7f800000, v2
	v_cmp_ne_u32_e32 vcc, s0, v1
                                        ; implicit-def: $vgpr1
	s_and_saveexec_b64 s[0:1], vcc
	s_xor_b64 s[0:1], exec, s[0:1]
; %bb.276:
	v_bfe_u32 v1, v2, 16, 1
	s_movk_i32 s3, 0x7fff
	v_add3_u32 v1, v2, v1, s3
                                        ; implicit-def: $vgpr2
; %bb.277:
	s_andn2_saveexec_b64 s[0:1], s[0:1]
; %bb.278:
	v_mov_b32_e32 v1, 0
	v_or_b32_e32 v3, 0x10000, v2
	v_cmp_eq_u32_sdwa vcc, v2, v1 src0_sel:WORD_0 src1_sel:DWORD
	v_cndmask_b32_e32 v1, v3, v2, vcc
; %bb.279:
	s_or_b64 exec, exec, s[0:1]
	s_lshl_b32 s0, s2, 5
	s_ashr_i32 s1, s0, 31
	s_lshl_b64 s[0:1], s[0:1], 1
	s_add_u32 s2, s26, s0
	s_mul_i32 s0, s25, s24
	s_addc_u32 s3, s27, s1
	s_ashr_i32 s1, s0, 31
	s_lshl_b64 s[0:1], s[0:1], 1
	s_add_u32 s2, s2, s0
	s_addc_u32 s3, s3, s1
	s_ashr_i32 s13, s12, 31
	s_lshl_b64 s[0:1], s[12:13], 1
	s_add_u32 s0, s2, s0
	s_addc_u32 s1, s3, s1
	global_store_short_d16_hi v0, v1, s[0:1]
.LBB360_280:
	s_endpgm
	.section	.rodata,"a",@progbits
	.p2align	6, 0x0
	.amdhsa_kernel _ZN4vllm25paged_attention_v2_kernelI14__hip_bfloat16hLi32ELi16ELi128ELNS_18Fp8KVCacheDataTypeE1ELb0ELi512EEEvPfS3_PT_PKS4_PKT0_SA_ifPKiSC_iPKfiiiSE_SE_iiiii
		.amdhsa_group_segment_fixed_size 80
		.amdhsa_private_segment_fixed_size 0
		.amdhsa_kernarg_size 400
		.amdhsa_user_sgpr_count 6
		.amdhsa_user_sgpr_private_segment_buffer 1
		.amdhsa_user_sgpr_dispatch_ptr 0
		.amdhsa_user_sgpr_queue_ptr 0
		.amdhsa_user_sgpr_kernarg_segment_ptr 1
		.amdhsa_user_sgpr_dispatch_id 0
		.amdhsa_user_sgpr_flat_scratch_init 0
		.amdhsa_user_sgpr_kernarg_preload_length 0
		.amdhsa_user_sgpr_kernarg_preload_offset 0
		.amdhsa_user_sgpr_private_segment_size 0
		.amdhsa_uses_dynamic_stack 0
		.amdhsa_system_sgpr_private_segment_wavefront_offset 0
		.amdhsa_system_sgpr_workgroup_id_x 1
		.amdhsa_system_sgpr_workgroup_id_y 1
		.amdhsa_system_sgpr_workgroup_id_z 1
		.amdhsa_system_sgpr_workgroup_info 0
		.amdhsa_system_vgpr_workitem_id 0
		.amdhsa_next_free_vgpr 42
		.amdhsa_next_free_sgpr 53
		.amdhsa_accum_offset 44
		.amdhsa_reserve_vcc 1
		.amdhsa_reserve_flat_scratch 0
		.amdhsa_float_round_mode_32 0
		.amdhsa_float_round_mode_16_64 0
		.amdhsa_float_denorm_mode_32 3
		.amdhsa_float_denorm_mode_16_64 3
		.amdhsa_dx10_clamp 1
		.amdhsa_ieee_mode 1
		.amdhsa_fp16_overflow 0
		.amdhsa_tg_split 0
		.amdhsa_exception_fp_ieee_invalid_op 0
		.amdhsa_exception_fp_denorm_src 0
		.amdhsa_exception_fp_ieee_div_zero 0
		.amdhsa_exception_fp_ieee_overflow 0
		.amdhsa_exception_fp_ieee_underflow 0
		.amdhsa_exception_fp_ieee_inexact 0
		.amdhsa_exception_int_div_zero 0
	.end_amdhsa_kernel
	.section	.text._ZN4vllm25paged_attention_v2_kernelI14__hip_bfloat16hLi32ELi16ELi128ELNS_18Fp8KVCacheDataTypeE1ELb0ELi512EEEvPfS3_PT_PKS4_PKT0_SA_ifPKiSC_iPKfiiiSE_SE_iiiii,"axG",@progbits,_ZN4vllm25paged_attention_v2_kernelI14__hip_bfloat16hLi32ELi16ELi128ELNS_18Fp8KVCacheDataTypeE1ELb0ELi512EEEvPfS3_PT_PKS4_PKT0_SA_ifPKiSC_iPKfiiiSE_SE_iiiii,comdat
.Lfunc_end360:
	.size	_ZN4vllm25paged_attention_v2_kernelI14__hip_bfloat16hLi32ELi16ELi128ELNS_18Fp8KVCacheDataTypeE1ELb0ELi512EEEvPfS3_PT_PKS4_PKT0_SA_ifPKiSC_iPKfiiiSE_SE_iiiii, .Lfunc_end360-_ZN4vllm25paged_attention_v2_kernelI14__hip_bfloat16hLi32ELi16ELi128ELNS_18Fp8KVCacheDataTypeE1ELb0ELi512EEEvPfS3_PT_PKS4_PKT0_SA_ifPKiSC_iPKfiiiSE_SE_iiiii
                                        ; -- End function
	.section	.AMDGPU.csdata,"",@progbits
; Kernel info:
; codeLenInByte = 8672
; NumSgprs: 57
; NumVgprs: 42
; NumAgprs: 0
; TotalNumVgprs: 42
; ScratchSize: 0
; MemoryBound: 0
; FloatMode: 240
; IeeeMode: 1
; LDSByteSize: 80 bytes/workgroup (compile time only)
; SGPRBlocks: 7
; VGPRBlocks: 5
; NumSGPRsForWavesPerEU: 57
; NumVGPRsForWavesPerEU: 42
; AccumOffset: 44
; Occupancy: 8
; WaveLimiterHint : 1
; COMPUTE_PGM_RSRC2:SCRATCH_EN: 0
; COMPUTE_PGM_RSRC2:USER_SGPR: 6
; COMPUTE_PGM_RSRC2:TRAP_HANDLER: 0
; COMPUTE_PGM_RSRC2:TGID_X_EN: 1
; COMPUTE_PGM_RSRC2:TGID_Y_EN: 1
; COMPUTE_PGM_RSRC2:TGID_Z_EN: 1
; COMPUTE_PGM_RSRC2:TIDIG_COMP_CNT: 0
; COMPUTE_PGM_RSRC3_GFX90A:ACCUM_OFFSET: 10
; COMPUTE_PGM_RSRC3_GFX90A:TG_SPLIT: 0
	.section	.text._ZN4vllm25paged_attention_v2_kernelI14__hip_bfloat16hLi64ELi16ELi128ELNS_18Fp8KVCacheDataTypeE1ELb0ELi512EEEvPfS3_PT_PKS4_PKT0_SA_ifPKiSC_iPKfiiiSE_SE_iiiii,"axG",@progbits,_ZN4vllm25paged_attention_v2_kernelI14__hip_bfloat16hLi64ELi16ELi128ELNS_18Fp8KVCacheDataTypeE1ELb0ELi512EEEvPfS3_PT_PKS4_PKT0_SA_ifPKiSC_iPKfiiiSE_SE_iiiii,comdat
	.protected	_ZN4vllm25paged_attention_v2_kernelI14__hip_bfloat16hLi64ELi16ELi128ELNS_18Fp8KVCacheDataTypeE1ELb0ELi512EEEvPfS3_PT_PKS4_PKT0_SA_ifPKiSC_iPKfiiiSE_SE_iiiii ; -- Begin function _ZN4vllm25paged_attention_v2_kernelI14__hip_bfloat16hLi64ELi16ELi128ELNS_18Fp8KVCacheDataTypeE1ELb0ELi512EEEvPfS3_PT_PKS4_PKT0_SA_ifPKiSC_iPKfiiiSE_SE_iiiii
	.globl	_ZN4vllm25paged_attention_v2_kernelI14__hip_bfloat16hLi64ELi16ELi128ELNS_18Fp8KVCacheDataTypeE1ELb0ELi512EEEvPfS3_PT_PKS4_PKT0_SA_ifPKiSC_iPKfiiiSE_SE_iiiii
	.p2align	8
	.type	_ZN4vllm25paged_attention_v2_kernelI14__hip_bfloat16hLi64ELi16ELi128ELNS_18Fp8KVCacheDataTypeE1ELb0ELi512EEEvPfS3_PT_PKS4_PKT0_SA_ifPKiSC_iPKfiiiSE_SE_iiiii,@function
_ZN4vllm25paged_attention_v2_kernelI14__hip_bfloat16hLi64ELi16ELi128ELNS_18Fp8KVCacheDataTypeE1ELb0ELi512EEEvPfS3_PT_PKS4_PKT0_SA_ifPKiSC_iPKfiiiSE_SE_iiiii: ; @_ZN4vllm25paged_attention_v2_kernelI14__hip_bfloat16hLi64ELi16ELi128ELNS_18Fp8KVCacheDataTypeE1ELb0ELi512EEEvPfS3_PT_PKS4_PKT0_SA_ifPKiSC_iPKfiiiSE_SE_iiiii
; %bb.0:
	s_load_dwordx2 s[0:1], s[4:5], 0x40
	s_mov_b32 s24, s7
	s_ashr_i32 s25, s7, 31
	s_lshl_b64 s[2:3], s[24:25], 2
	s_waitcnt lgkmcnt(0)
	s_add_u32 s0, s0, s2
	s_addc_u32 s1, s1, s3
	s_load_dword s33, s[0:1], 0x0
	s_lshl_b32 s45, s8, 9
	s_waitcnt lgkmcnt(0)
	s_cmp_ge_i32 s45, s33
	s_cbranch_scc1 .LBB361_483
; %bb.1:
	s_load_dword s25, s[4:5], 0x90
	s_load_dwordx2 s[10:11], s[4:5], 0x30
	s_waitcnt lgkmcnt(0)
	s_abs_i32 s2, s25
	s_abs_i32 s0, s10
	v_cvt_f32_u32_e32 v1, s0
	s_sub_i32 s3, 0, s0
	s_xor_b32 s1, s25, s10
	s_ashr_i32 s1, s1, 31
	v_rcp_iflag_f32_e32 v1, v1
	s_mov_b32 s10, 0
	v_mul_f32_e32 v1, 0x4f7ffffe, v1
	v_cvt_u32_f32_e32 v1, v1
	v_readfirstlane_b32 s7, v1
	s_mul_i32 s3, s3, s7
	s_mul_hi_u32 s3, s7, s3
	s_add_i32 s7, s7, s3
	s_mul_hi_u32 s3, s2, s7
	s_mul_i32 s7, s3, s0
	s_sub_i32 s2, s2, s7
	s_add_i32 s9, s3, 1
	s_sub_i32 s7, s2, s0
	s_cmp_ge_u32 s2, s0
	s_cselect_b32 s3, s9, s3
	s_cselect_b32 s2, s7, s2
	s_add_i32 s7, s3, 1
	s_cmp_ge_u32 s2, s0
	s_cselect_b32 s0, s7, s3
	s_xor_b32 s0, s0, s1
	s_sub_i32 s9, s0, s1
	s_abs_i32 s2, s9
	v_cvt_f32_u32_e32 v1, s2
	s_load_dwordx2 s[0:1], s[4:5], 0x50
	s_sub_i32 s7, 0, s2
	s_abs_i32 s3, s6
	v_rcp_iflag_f32_e32 v1, v1
	v_mul_f32_e32 v1, 0x4f7ffffe, v1
	v_cvt_u32_f32_e32 v1, v1
	v_readfirstlane_b32 s12, v1
	s_mul_i32 s7, s7, s12
	s_mul_hi_u32 s7, s12, s7
	s_add_i32 s12, s12, s7
	s_waitcnt lgkmcnt(0)
	s_cmp_eq_u64 s[0:1], 0
	s_mul_hi_u32 s16, s3, s12
	s_cbranch_scc1 .LBB361_3
; %bb.2:
	s_ashr_i32 s7, s6, 31
	s_lshl_b64 s[12:13], s[6:7], 2
	s_add_u32 s0, s0, s12
	s_addc_u32 s1, s1, s13
	s_load_dword s10, s[0:1], 0x0
.LBB361_3:
	s_load_dwordx4 s[12:15], s[4:5], 0x58
	s_ashr_i32 s17, s6, 31
	s_waitcnt lgkmcnt(0)
	s_ashr_i32 s15, s9, 31
	v_and_b32_e32 v6, 3, v0
	s_lshl_b32 s26, s6, 6
	v_cmp_gt_u32_e32 vcc, 32, v0
	s_and_saveexec_b64 s[0:1], vcc
	s_cbranch_execz .LBB361_5
; %bb.4:
	s_load_dwordx2 s[18:19], s[4:5], 0x18
	s_mul_i32 s20, s24, s12
	s_ashr_i32 s21, s20, 31
	s_lshl_b64 s[20:21], s[20:21], 1
	v_lshlrev_b32_e32 v1, 2, v0
	s_waitcnt lgkmcnt(0)
	s_add_u32 s7, s18, s20
	s_addc_u32 s9, s19, s21
	s_ashr_i32 s27, s26, 31
	s_lshl_b64 s[18:19], s[26:27], 1
	s_add_u32 s18, s7, s18
	s_addc_u32 s19, s9, s19
	global_load_dword v1, v1, s[18:19]
	v_and_b32_e32 v2, 0x3fc, v0
	v_lshl_add_u32 v2, v6, 5, v2
	s_waitcnt vmcnt(0)
	ds_write_b32 v2, v1
.LBB361_5:
	s_or_b64 exec, exec, s[0:1]
	s_add_i32 s0, s33, 15
	s_ashr_i32 s1, s0, 31
	s_lshr_b32 s1, s1, 28
	s_add_i32 s0, s0, s1
	s_lshl_b32 s9, s8, 5
	s_mul_i32 s1, s16, s2
	s_ashr_i32 s7, s0, 4
	s_add_i32 s0, s9, 32
	s_sub_i32 s1, s3, s1
	s_min_i32 s44, s0, s7
	s_xor_b32 s0, s17, s15
	s_add_i32 s3, s16, 1
	s_sub_i32 s12, s1, s2
	s_cmp_ge_u32 s1, s2
	s_cselect_b32 s3, s3, s16
	s_cselect_b32 s1, s12, s1
	s_add_i32 s12, s3, 1
	s_cmp_ge_u32 s1, s2
	s_load_dwordx2 s[30:31], s[4:5], 0x38
	s_load_dword s2, s[4:5], 0x48
	v_lshrrev_b32_e32 v5, 6, v0
	s_cselect_b32 s1, s12, s3
	s_xor_b32 s1, s1, s0
	v_or_b32_e32 v10, s9, v5
	s_waitcnt lgkmcnt(0)
	s_mul_i32 s34, s24, s2
	s_sub_i32 s12, s1, s0
	s_ashr_i32 s35, s34, 31
	v_cmp_gt_i32_e64 s[0:1], s44, v10
	v_cmp_le_i32_e32 vcc, s44, v10
	v_mbcnt_lo_u32_b32 v7, -1, 0
	s_barrier
	s_waitcnt lgkmcnt(0)
                                        ; implicit-def: $sgpr15
                                        ; implicit-def: $vgpr13
                                        ; implicit-def: $vgpr15
	s_and_saveexec_b64 s[2:3], vcc
	s_xor_b64 s[2:3], exec, s[2:3]
; %bb.6:
	v_mbcnt_hi_u32_b32 v13, -1, v7
	v_and_b32_e32 v1, 64, v13
	v_add_u32_e32 v15, 64, v1
	s_mov_b32 s15, 0xff7fffff
                                        ; implicit-def: $vgpr6
                                        ; implicit-def: $vgpr7
; %bb.7:
	s_or_saveexec_b64 s[38:39], s[2:3]
	s_load_dwordx4 s[20:23], s[4:5], 0x0
	s_load_dwordx2 s[28:29], s[4:5], 0x10
	s_load_dword s27, s[4:5], 0x98
	s_load_dwordx2 s[36:37], s[4:5], 0x28
	s_load_dwordx4 s[16:19], s[4:5], 0x68
	v_mov_b32_e32 v32, s15
	s_mul_i32 s12, s12, s14
	v_ashrrev_i32_e32 v11, 31, v10
	s_xor_b64 exec, exec, s[38:39]
	s_cbranch_execz .LBB361_173
; %bb.8:
	s_load_dwordx2 s[2:3], s[4:5], 0x20
	v_lshlrev_b32_e32 v9, 5, v6
	ds_read_b128 v[12:15], v9
	ds_read_b128 v[28:31], v9 offset:16
	s_ashr_i32 s4, s12, 31
	v_bfe_u32 v8, v0, 2, 4
	s_waitcnt lgkmcnt(0)
	s_add_u32 s2, s2, s12
	v_lshlrev_b32_e32 v2, 4, v8
	s_addc_u32 s3, s3, s4
	v_lshlrev_b32_e32 v18, 16, v13
	v_and_b32_e32 v19, 0xffff0000, v13
	v_mbcnt_hi_u32_b32 v13, -1, v7
	v_mov_b32_e32 v3, s3
	v_add_co_u32_e32 v2, vcc, s2, v2
	v_and_b32_e32 v7, 64, v13
	v_addc_co_u32_e32 v3, vcc, 0, v3, vcc
	v_lshlrev_b32_e32 v22, 16, v15
	v_and_b32_e32 v23, 0xffff0000, v15
	v_add_u32_e32 v15, 64, v7
	v_xor_b32_e32 v7, 2, v13
	v_cmp_lt_i32_e32 vcc, v7, v15
	v_cndmask_b32_e32 v7, v13, v7, vcc
	v_lshlrev_b32_e32 v33, 2, v7
	v_xor_b32_e32 v7, 1, v13
	v_cmp_lt_i32_e32 vcc, v7, v15
	v_lshlrev_b32_e32 v4, 1, v6
	v_cndmask_b32_e32 v7, v13, v7, vcc
	v_cmp_eq_u32_e32 vcc, 0, v6
	v_lshlrev_b32_e32 v6, 4, v5
	s_load_dword s47, s[16:17], 0x0
	s_sub_i32 s48, 1, s33
	v_add3_u32 v35, s45, v6, v8
	v_lshlrev_b32_e32 v6, 2, v8
	s_lshl_b64 s[4:5], s[34:35], 2
	v_lshl_or_b32 v6, v5, 6, v6
	s_add_u32 s4, s30, s4
	v_lshlrev_b32_e32 v34, 2, v7
	v_add_u32_e32 v36, 0x90, v6
	v_lshlrev_b64 v[6:7], 2, v[10:11]
	s_addc_u32 s5, s31, s5
	v_mov_b32_e32 v8, s5
	v_add_co_u32_e64 v6, s[4:5], s4, v6
	s_mov_b32 s46, s13
	v_mov_b32_e32 v1, 0
	v_lshlrev_b32_e32 v16, 16, v12
	v_and_b32_e32 v17, 0xffff0000, v12
	v_lshlrev_b32_e32 v20, 16, v14
	v_and_b32_e32 v21, 0xffff0000, v14
	;; [unrolled: 2-line block ×6, first 2 shown]
	v_cmp_neq_f32_e64 s[2:3], s10, 0
	v_addc_co_u32_e64 v7, s[4:5], v8, v7, s[4:5]
	s_mov_b64 s[14:15], 0
	v_mov_b32_e32 v32, 0xff7fffff
	s_movk_i32 s49, 0x80
	s_movk_i32 s50, 0x7f
	s_mov_b32 s51, 0x7f800000
	s_movk_i32 s52, 0x7fff
	v_bfrev_b32_e32 v37, 60
	v_mov_b32_e32 v38, v10
	s_branch .LBB361_10
.LBB361_9:                              ;   in Loop: Header=BB361_10 Depth=1
	s_or_b64 exec, exec, s[16:17]
	v_add_u32_e32 v38, 2, v38
	v_cmp_le_i32_e64 s[4:5], s44, v38
	s_or_b64 s[14:15], s[4:5], s[14:15]
	v_add_co_u32_e64 v6, s[4:5], 8, v6
	v_add_u32_e32 v35, 32, v35
	v_add_u32_e32 v36, 0x80, v36
	v_addc_co_u32_e64 v7, s[4:5], 0, v7, s[4:5]
	s_andn2_b64 exec, exec, s[14:15]
	s_cbranch_execz .LBB361_172
.LBB361_10:                             ; =>This Inner Loop Header: Depth=1
	global_load_dword v8, v[6:7], off
	s_waitcnt vmcnt(0) lgkmcnt(0)
	v_mad_i64_i32 v[8:9], s[4:5], v8, s46, v[2:3]
	v_add_co_u32_e64 v8, s[4:5], v8, v4
	v_addc_co_u32_e64 v9, s[4:5], 0, v9, s[4:5]
	global_load_ushort v14, v[8:9], off
	s_waitcnt vmcnt(0)
	v_and_b32_e32 v12, 0xffff, v14
	v_cmp_ne_u16_sdwa s[4:5], v14, v1 src0_sel:BYTE_0 src1_sel:DWORD
	v_mov_b32_e32 v14, 0
	s_and_saveexec_b64 s[16:17], s[4:5]
	s_cbranch_execz .LBB361_16
; %bb.11:                               ;   in Loop: Header=BB361_10 Depth=1
	v_cmp_ne_u16_sdwa s[4:5], v12, s49 src0_sel:BYTE_0 src1_sel:DWORD
	v_bfrev_b32_e32 v14, 1
	s_and_saveexec_b64 s[40:41], s[4:5]
	s_cbranch_execz .LBB361_15
; %bb.12:                               ;   in Loop: Header=BB361_10 Depth=1
	v_and_b32_e32 v39, 0x7f, v12
	v_cmp_ne_u32_e64 s[4:5], s50, v39
	v_mov_b32_e32 v14, 0x7f800001
	s_and_saveexec_b64 s[42:43], s[4:5]
	s_cbranch_execz .LBB361_14
; %bb.13:                               ;   in Loop: Header=BB361_10 Depth=1
	v_and_b32_e32 v14, 7, v12
	v_ffbh_u32_e32 v40, v14
	v_min_u32_e32 v43, 32, v40
	v_subrev_u32_e32 v40, 28, v43
	v_lshlrev_b64 v[40:41], v40, v[12:13]
	v_lshrrev_b32_e32 v42, 3, v39
	v_sub_u32_e32 v41, 29, v43
	v_and_b32_e32 v40, 7, v40
	v_cmp_gt_u32_e64 s[4:5], 8, v39
	v_cndmask_b32_e64 v39, v42, v41, s[4:5]
	v_cndmask_b32_e64 v14, v14, v40, s[4:5]
	v_lshlrev_b32_e32 v40, 24, v12
	v_lshlrev_b32_e32 v14, 20, v14
	v_and_b32_e32 v40, 0x80000000, v40
	v_lshl_add_u32 v39, v39, 23, v37
	v_or3_b32 v14, v40, v39, v14
.LBB361_14:                             ;   in Loop: Header=BB361_10 Depth=1
	s_or_b64 exec, exec, s[42:43]
.LBB361_15:                             ;   in Loop: Header=BB361_10 Depth=1
	s_or_b64 exec, exec, s[40:41]
.LBB361_16:                             ;   in Loop: Header=BB361_10 Depth=1
	s_or_b64 exec, exec, s[16:17]
	s_waitcnt lgkmcnt(0)
	v_mul_f32_e32 v14, s47, v14
	v_and_b32_e32 v39, 0x7f800000, v14
	v_cmp_ne_u32_e64 s[4:5], s51, v39
                                        ; implicit-def: $vgpr39
	s_and_saveexec_b64 s[16:17], s[4:5]
	s_xor_b64 s[4:5], exec, s[16:17]
; %bb.17:                               ;   in Loop: Header=BB361_10 Depth=1
	v_bfe_u32 v39, v14, 16, 1
	v_add3_u32 v39, v14, v39, s52
                                        ; implicit-def: $vgpr14
; %bb.18:                               ;   in Loop: Header=BB361_10 Depth=1
	s_andn2_saveexec_b64 s[16:17], s[4:5]
; %bb.19:                               ;   in Loop: Header=BB361_10 Depth=1
	v_or_b32_e32 v39, 0x10000, v14
	v_cmp_eq_u32_sdwa s[4:5], v14, v1 src0_sel:WORD_0 src1_sel:DWORD
	v_cndmask_b32_e64 v39, v39, v14, s[4:5]
; %bb.20:                               ;   in Loop: Header=BB361_10 Depth=1
	s_or_b64 exec, exec, s[16:17]
	v_lshrrev_b16_e32 v14, 8, v12
	v_cmp_ne_u16_e64 s[4:5], 0, v14
	v_mov_b32_e32 v40, 0
	s_and_saveexec_b64 s[16:17], s[4:5]
	s_cbranch_execz .LBB361_26
; %bb.21:                               ;   in Loop: Header=BB361_10 Depth=1
	v_cmp_ne_u16_e64 s[4:5], s49, v14
	v_bfrev_b32_e32 v40, 1
	s_and_saveexec_b64 s[40:41], s[4:5]
	s_cbranch_execz .LBB361_25
; %bb.22:                               ;   in Loop: Header=BB361_10 Depth=1
	v_and_b32_e32 v41, 0x7f, v14
	v_cmp_ne_u32_e64 s[4:5], s50, v41
	v_mov_b32_e32 v40, 0x7f800001
	s_and_saveexec_b64 s[42:43], s[4:5]
	s_cbranch_execz .LBB361_24
; %bb.23:                               ;   in Loop: Header=BB361_10 Depth=1
	v_and_b32_e32 v40, 7, v14
	v_ffbh_u32_e32 v42, v40
	v_min_u32_e32 v45, 32, v42
	v_subrev_u32_e32 v42, 28, v45
	v_lshlrev_b64 v[42:43], v42, v[14:15]
	v_lshrrev_b32_e32 v44, 3, v41
	v_sub_u32_e32 v14, 29, v45
	v_and_b32_e32 v42, 7, v42
	v_cmp_gt_u32_e64 s[4:5], 8, v41
	v_cndmask_b32_e64 v14, v44, v14, s[4:5]
	v_cndmask_b32_e64 v40, v40, v42, s[4:5]
	v_lshlrev_b32_e32 v12, 16, v12
	v_lshlrev_b32_e32 v40, 20, v40
	v_and_b32_e32 v12, 0x80000000, v12
	v_lshl_add_u32 v14, v14, 23, v37
	v_or3_b32 v40, v12, v14, v40
.LBB361_24:                             ;   in Loop: Header=BB361_10 Depth=1
	s_or_b64 exec, exec, s[42:43]
.LBB361_25:                             ;   in Loop: Header=BB361_10 Depth=1
	s_or_b64 exec, exec, s[40:41]
.LBB361_26:                             ;   in Loop: Header=BB361_10 Depth=1
	s_or_b64 exec, exec, s[16:17]
	v_mul_f32_e32 v12, s47, v40
	v_and_b32_e32 v14, 0x7f800000, v12
	v_cmp_ne_u32_e64 s[4:5], s51, v14
                                        ; implicit-def: $vgpr40
	s_and_saveexec_b64 s[16:17], s[4:5]
	s_xor_b64 s[4:5], exec, s[16:17]
; %bb.27:                               ;   in Loop: Header=BB361_10 Depth=1
	v_bfe_u32 v14, v12, 16, 1
	v_add3_u32 v40, v12, v14, s52
                                        ; implicit-def: $vgpr12
; %bb.28:                               ;   in Loop: Header=BB361_10 Depth=1
	s_andn2_saveexec_b64 s[16:17], s[4:5]
; %bb.29:                               ;   in Loop: Header=BB361_10 Depth=1
	v_or_b32_e32 v14, 0x10000, v12
	v_cmp_eq_u32_sdwa s[4:5], v12, v1 src0_sel:WORD_0 src1_sel:DWORD
	v_cndmask_b32_e64 v40, v14, v12, s[4:5]
; %bb.30:                               ;   in Loop: Header=BB361_10 Depth=1
	s_or_b64 exec, exec, s[16:17]
	global_load_ushort v14, v[8:9], off offset:8
	s_waitcnt vmcnt(0)
	v_and_b32_e32 v12, 0xffff, v14
	v_cmp_ne_u16_sdwa s[4:5], v14, v1 src0_sel:BYTE_0 src1_sel:DWORD
	v_mov_b32_e32 v14, 0
	s_and_saveexec_b64 s[16:17], s[4:5]
	s_cbranch_execz .LBB361_36
; %bb.31:                               ;   in Loop: Header=BB361_10 Depth=1
	v_cmp_ne_u16_sdwa s[4:5], v12, s49 src0_sel:BYTE_0 src1_sel:DWORD
	v_bfrev_b32_e32 v14, 1
	s_and_saveexec_b64 s[40:41], s[4:5]
	s_cbranch_execz .LBB361_35
; %bb.32:                               ;   in Loop: Header=BB361_10 Depth=1
	v_and_b32_e32 v41, 0x7f, v12
	v_cmp_ne_u32_e64 s[4:5], s50, v41
	v_mov_b32_e32 v14, 0x7f800001
	s_and_saveexec_b64 s[42:43], s[4:5]
	s_cbranch_execz .LBB361_34
; %bb.33:                               ;   in Loop: Header=BB361_10 Depth=1
	v_and_b32_e32 v14, 7, v12
	v_ffbh_u32_e32 v42, v14
	v_min_u32_e32 v45, 32, v42
	v_subrev_u32_e32 v42, 28, v45
	v_lshlrev_b64 v[42:43], v42, v[12:13]
	v_lshrrev_b32_e32 v44, 3, v41
	v_sub_u32_e32 v43, 29, v45
	v_and_b32_e32 v42, 7, v42
	v_cmp_gt_u32_e64 s[4:5], 8, v41
	v_cndmask_b32_e64 v41, v44, v43, s[4:5]
	v_cndmask_b32_e64 v14, v14, v42, s[4:5]
	v_lshlrev_b32_e32 v42, 24, v12
	v_lshlrev_b32_e32 v14, 20, v14
	v_and_b32_e32 v42, 0x80000000, v42
	v_lshl_add_u32 v41, v41, 23, v37
	v_or3_b32 v14, v42, v41, v14
.LBB361_34:                             ;   in Loop: Header=BB361_10 Depth=1
	s_or_b64 exec, exec, s[42:43]
.LBB361_35:                             ;   in Loop: Header=BB361_10 Depth=1
	s_or_b64 exec, exec, s[40:41]
.LBB361_36:                             ;   in Loop: Header=BB361_10 Depth=1
	s_or_b64 exec, exec, s[16:17]
	v_mul_f32_e32 v14, s47, v14
	v_and_b32_e32 v41, 0x7f800000, v14
	v_cmp_ne_u32_e64 s[4:5], s51, v41
                                        ; implicit-def: $vgpr41
	s_and_saveexec_b64 s[16:17], s[4:5]
	s_xor_b64 s[4:5], exec, s[16:17]
; %bb.37:                               ;   in Loop: Header=BB361_10 Depth=1
	v_bfe_u32 v41, v14, 16, 1
	v_add3_u32 v41, v14, v41, s52
                                        ; implicit-def: $vgpr14
; %bb.38:                               ;   in Loop: Header=BB361_10 Depth=1
	s_andn2_saveexec_b64 s[16:17], s[4:5]
; %bb.39:                               ;   in Loop: Header=BB361_10 Depth=1
	v_or_b32_e32 v41, 0x10000, v14
	v_cmp_eq_u32_sdwa s[4:5], v14, v1 src0_sel:WORD_0 src1_sel:DWORD
	v_cndmask_b32_e64 v41, v41, v14, s[4:5]
; %bb.40:                               ;   in Loop: Header=BB361_10 Depth=1
	s_or_b64 exec, exec, s[16:17]
	v_lshrrev_b16_e32 v14, 8, v12
	v_cmp_ne_u16_e64 s[4:5], 0, v14
	v_mov_b32_e32 v42, 0
	s_and_saveexec_b64 s[16:17], s[4:5]
	s_cbranch_execz .LBB361_46
; %bb.41:                               ;   in Loop: Header=BB361_10 Depth=1
	v_cmp_ne_u16_e64 s[4:5], s49, v14
	v_bfrev_b32_e32 v42, 1
	s_and_saveexec_b64 s[40:41], s[4:5]
	s_cbranch_execz .LBB361_45
; %bb.42:                               ;   in Loop: Header=BB361_10 Depth=1
	v_and_b32_e32 v43, 0x7f, v14
	v_cmp_ne_u32_e64 s[4:5], s50, v43
	v_mov_b32_e32 v42, 0x7f800001
	s_and_saveexec_b64 s[42:43], s[4:5]
	s_cbranch_execz .LBB361_44
; %bb.43:                               ;   in Loop: Header=BB361_10 Depth=1
	v_and_b32_e32 v42, 7, v14
	v_ffbh_u32_e32 v44, v42
	v_min_u32_e32 v47, 32, v44
	v_subrev_u32_e32 v44, 28, v47
	v_lshlrev_b64 v[44:45], v44, v[14:15]
	v_lshrrev_b32_e32 v46, 3, v43
	v_sub_u32_e32 v14, 29, v47
	v_and_b32_e32 v44, 7, v44
	v_cmp_gt_u32_e64 s[4:5], 8, v43
	v_cndmask_b32_e64 v14, v46, v14, s[4:5]
	v_cndmask_b32_e64 v42, v42, v44, s[4:5]
	v_lshlrev_b32_e32 v12, 16, v12
	v_lshlrev_b32_e32 v42, 20, v42
	v_and_b32_e32 v12, 0x80000000, v12
	v_lshl_add_u32 v14, v14, 23, v37
	v_or3_b32 v42, v12, v14, v42
.LBB361_44:                             ;   in Loop: Header=BB361_10 Depth=1
	s_or_b64 exec, exec, s[42:43]
.LBB361_45:                             ;   in Loop: Header=BB361_10 Depth=1
	s_or_b64 exec, exec, s[40:41]
.LBB361_46:                             ;   in Loop: Header=BB361_10 Depth=1
	s_or_b64 exec, exec, s[16:17]
	v_mul_f32_e32 v12, s47, v42
	v_and_b32_e32 v14, 0x7f800000, v12
	v_cmp_ne_u32_e64 s[4:5], s51, v14
                                        ; implicit-def: $vgpr42
	s_and_saveexec_b64 s[16:17], s[4:5]
	s_xor_b64 s[4:5], exec, s[16:17]
; %bb.47:                               ;   in Loop: Header=BB361_10 Depth=1
	v_bfe_u32 v14, v12, 16, 1
	v_add3_u32 v42, v12, v14, s52
                                        ; implicit-def: $vgpr12
; %bb.48:                               ;   in Loop: Header=BB361_10 Depth=1
	s_andn2_saveexec_b64 s[16:17], s[4:5]
; %bb.49:                               ;   in Loop: Header=BB361_10 Depth=1
	v_or_b32_e32 v14, 0x10000, v12
	v_cmp_eq_u32_sdwa s[4:5], v12, v1 src0_sel:WORD_0 src1_sel:DWORD
	v_cndmask_b32_e64 v42, v14, v12, s[4:5]
; %bb.50:                               ;   in Loop: Header=BB361_10 Depth=1
	s_or_b64 exec, exec, s[16:17]
	global_load_ushort v14, v[8:9], off offset:256
	s_waitcnt vmcnt(0)
	v_and_b32_e32 v12, 0xffff, v14
	v_cmp_ne_u16_sdwa s[4:5], v14, v1 src0_sel:BYTE_0 src1_sel:DWORD
	v_mov_b32_e32 v14, 0
	s_and_saveexec_b64 s[16:17], s[4:5]
	s_cbranch_execz .LBB361_56
; %bb.51:                               ;   in Loop: Header=BB361_10 Depth=1
	v_cmp_ne_u16_sdwa s[4:5], v12, s49 src0_sel:BYTE_0 src1_sel:DWORD
	v_bfrev_b32_e32 v14, 1
	s_and_saveexec_b64 s[40:41], s[4:5]
	s_cbranch_execz .LBB361_55
; %bb.52:                               ;   in Loop: Header=BB361_10 Depth=1
	v_and_b32_e32 v43, 0x7f, v12
	v_cmp_ne_u32_e64 s[4:5], s50, v43
	v_mov_b32_e32 v14, 0x7f800001
	s_and_saveexec_b64 s[42:43], s[4:5]
	s_cbranch_execz .LBB361_54
; %bb.53:                               ;   in Loop: Header=BB361_10 Depth=1
	v_and_b32_e32 v14, 7, v12
	v_ffbh_u32_e32 v44, v14
	v_min_u32_e32 v47, 32, v44
	v_subrev_u32_e32 v44, 28, v47
	v_lshlrev_b64 v[44:45], v44, v[12:13]
	v_lshrrev_b32_e32 v46, 3, v43
	v_sub_u32_e32 v45, 29, v47
	v_and_b32_e32 v44, 7, v44
	v_cmp_gt_u32_e64 s[4:5], 8, v43
	v_cndmask_b32_e64 v43, v46, v45, s[4:5]
	v_cndmask_b32_e64 v14, v14, v44, s[4:5]
	v_lshlrev_b32_e32 v44, 24, v12
	v_lshlrev_b32_e32 v14, 20, v14
	v_and_b32_e32 v44, 0x80000000, v44
	v_lshl_add_u32 v43, v43, 23, v37
	v_or3_b32 v14, v44, v43, v14
.LBB361_54:                             ;   in Loop: Header=BB361_10 Depth=1
	s_or_b64 exec, exec, s[42:43]
.LBB361_55:                             ;   in Loop: Header=BB361_10 Depth=1
	s_or_b64 exec, exec, s[40:41]
.LBB361_56:                             ;   in Loop: Header=BB361_10 Depth=1
	s_or_b64 exec, exec, s[16:17]
	v_mul_f32_e32 v14, s47, v14
	v_and_b32_e32 v43, 0x7f800000, v14
	v_cmp_ne_u32_e64 s[4:5], s51, v43
                                        ; implicit-def: $vgpr43
	s_and_saveexec_b64 s[16:17], s[4:5]
	s_xor_b64 s[4:5], exec, s[16:17]
; %bb.57:                               ;   in Loop: Header=BB361_10 Depth=1
	v_bfe_u32 v43, v14, 16, 1
	v_add3_u32 v43, v14, v43, s52
                                        ; implicit-def: $vgpr14
; %bb.58:                               ;   in Loop: Header=BB361_10 Depth=1
	s_andn2_saveexec_b64 s[16:17], s[4:5]
; %bb.59:                               ;   in Loop: Header=BB361_10 Depth=1
	v_or_b32_e32 v43, 0x10000, v14
	v_cmp_eq_u32_sdwa s[4:5], v14, v1 src0_sel:WORD_0 src1_sel:DWORD
	v_cndmask_b32_e64 v43, v43, v14, s[4:5]
; %bb.60:                               ;   in Loop: Header=BB361_10 Depth=1
	s_or_b64 exec, exec, s[16:17]
	v_lshrrev_b16_e32 v14, 8, v12
	v_cmp_ne_u16_e64 s[4:5], 0, v14
	v_mov_b32_e32 v44, 0
	s_and_saveexec_b64 s[16:17], s[4:5]
	s_cbranch_execz .LBB361_66
; %bb.61:                               ;   in Loop: Header=BB361_10 Depth=1
	v_cmp_ne_u16_e64 s[4:5], s49, v14
	v_bfrev_b32_e32 v44, 1
	s_and_saveexec_b64 s[40:41], s[4:5]
	s_cbranch_execz .LBB361_65
; %bb.62:                               ;   in Loop: Header=BB361_10 Depth=1
	v_and_b32_e32 v45, 0x7f, v14
	v_cmp_ne_u32_e64 s[4:5], s50, v45
	v_mov_b32_e32 v44, 0x7f800001
	s_and_saveexec_b64 s[42:43], s[4:5]
	s_cbranch_execz .LBB361_64
; %bb.63:                               ;   in Loop: Header=BB361_10 Depth=1
	v_and_b32_e32 v44, 7, v14
	v_ffbh_u32_e32 v46, v44
	v_min_u32_e32 v49, 32, v46
	v_subrev_u32_e32 v46, 28, v49
	v_lshlrev_b64 v[46:47], v46, v[14:15]
	v_lshrrev_b32_e32 v48, 3, v45
	v_sub_u32_e32 v14, 29, v49
	v_and_b32_e32 v46, 7, v46
	v_cmp_gt_u32_e64 s[4:5], 8, v45
	v_cndmask_b32_e64 v14, v48, v14, s[4:5]
	v_cndmask_b32_e64 v44, v44, v46, s[4:5]
	v_lshlrev_b32_e32 v12, 16, v12
	v_lshlrev_b32_e32 v44, 20, v44
	v_and_b32_e32 v12, 0x80000000, v12
	v_lshl_add_u32 v14, v14, 23, v37
	v_or3_b32 v44, v12, v14, v44
.LBB361_64:                             ;   in Loop: Header=BB361_10 Depth=1
	s_or_b64 exec, exec, s[42:43]
.LBB361_65:                             ;   in Loop: Header=BB361_10 Depth=1
	s_or_b64 exec, exec, s[40:41]
.LBB361_66:                             ;   in Loop: Header=BB361_10 Depth=1
	s_or_b64 exec, exec, s[16:17]
	v_mul_f32_e32 v12, s47, v44
	v_and_b32_e32 v14, 0x7f800000, v12
	v_cmp_ne_u32_e64 s[4:5], s51, v14
                                        ; implicit-def: $vgpr44
	s_and_saveexec_b64 s[16:17], s[4:5]
	s_xor_b64 s[4:5], exec, s[16:17]
; %bb.67:                               ;   in Loop: Header=BB361_10 Depth=1
	v_bfe_u32 v14, v12, 16, 1
	v_add3_u32 v44, v12, v14, s52
                                        ; implicit-def: $vgpr12
; %bb.68:                               ;   in Loop: Header=BB361_10 Depth=1
	s_andn2_saveexec_b64 s[16:17], s[4:5]
; %bb.69:                               ;   in Loop: Header=BB361_10 Depth=1
	v_or_b32_e32 v14, 0x10000, v12
	v_cmp_eq_u32_sdwa s[4:5], v12, v1 src0_sel:WORD_0 src1_sel:DWORD
	v_cndmask_b32_e64 v44, v14, v12, s[4:5]
; %bb.70:                               ;   in Loop: Header=BB361_10 Depth=1
	s_or_b64 exec, exec, s[16:17]
	global_load_ushort v14, v[8:9], off offset:264
	s_waitcnt vmcnt(0)
	v_and_b32_e32 v12, 0xffff, v14
	v_cmp_ne_u16_sdwa s[4:5], v14, v1 src0_sel:BYTE_0 src1_sel:DWORD
	v_mov_b32_e32 v14, 0
	s_and_saveexec_b64 s[16:17], s[4:5]
	s_cbranch_execz .LBB361_76
; %bb.71:                               ;   in Loop: Header=BB361_10 Depth=1
	v_cmp_ne_u16_sdwa s[4:5], v12, s49 src0_sel:BYTE_0 src1_sel:DWORD
	v_bfrev_b32_e32 v14, 1
	s_and_saveexec_b64 s[40:41], s[4:5]
	s_cbranch_execz .LBB361_75
; %bb.72:                               ;   in Loop: Header=BB361_10 Depth=1
	v_and_b32_e32 v45, 0x7f, v12
	v_cmp_ne_u32_e64 s[4:5], s50, v45
	v_mov_b32_e32 v14, 0x7f800001
	s_and_saveexec_b64 s[42:43], s[4:5]
	s_cbranch_execz .LBB361_74
; %bb.73:                               ;   in Loop: Header=BB361_10 Depth=1
	v_and_b32_e32 v14, 7, v12
	v_ffbh_u32_e32 v46, v14
	v_min_u32_e32 v49, 32, v46
	v_subrev_u32_e32 v46, 28, v49
	v_lshlrev_b64 v[46:47], v46, v[12:13]
	v_lshrrev_b32_e32 v48, 3, v45
	v_sub_u32_e32 v47, 29, v49
	v_and_b32_e32 v46, 7, v46
	v_cmp_gt_u32_e64 s[4:5], 8, v45
	v_cndmask_b32_e64 v45, v48, v47, s[4:5]
	v_cndmask_b32_e64 v14, v14, v46, s[4:5]
	v_lshlrev_b32_e32 v46, 24, v12
	v_lshlrev_b32_e32 v14, 20, v14
	v_and_b32_e32 v46, 0x80000000, v46
	v_lshl_add_u32 v45, v45, 23, v37
	v_or3_b32 v14, v46, v45, v14
.LBB361_74:                             ;   in Loop: Header=BB361_10 Depth=1
	s_or_b64 exec, exec, s[42:43]
.LBB361_75:                             ;   in Loop: Header=BB361_10 Depth=1
	s_or_b64 exec, exec, s[40:41]
.LBB361_76:                             ;   in Loop: Header=BB361_10 Depth=1
	s_or_b64 exec, exec, s[16:17]
	v_mul_f32_e32 v14, s47, v14
	v_and_b32_e32 v45, 0x7f800000, v14
	v_cmp_ne_u32_e64 s[4:5], s51, v45
                                        ; implicit-def: $vgpr45
	s_and_saveexec_b64 s[16:17], s[4:5]
	s_xor_b64 s[4:5], exec, s[16:17]
; %bb.77:                               ;   in Loop: Header=BB361_10 Depth=1
	v_bfe_u32 v45, v14, 16, 1
	v_add3_u32 v45, v14, v45, s52
                                        ; implicit-def: $vgpr14
; %bb.78:                               ;   in Loop: Header=BB361_10 Depth=1
	s_andn2_saveexec_b64 s[16:17], s[4:5]
; %bb.79:                               ;   in Loop: Header=BB361_10 Depth=1
	v_or_b32_e32 v45, 0x10000, v14
	v_cmp_eq_u32_sdwa s[4:5], v14, v1 src0_sel:WORD_0 src1_sel:DWORD
	v_cndmask_b32_e64 v45, v45, v14, s[4:5]
; %bb.80:                               ;   in Loop: Header=BB361_10 Depth=1
	s_or_b64 exec, exec, s[16:17]
	v_lshrrev_b16_e32 v14, 8, v12
	v_cmp_ne_u16_e64 s[4:5], 0, v14
	v_mov_b32_e32 v46, 0
	s_and_saveexec_b64 s[16:17], s[4:5]
	s_cbranch_execz .LBB361_86
; %bb.81:                               ;   in Loop: Header=BB361_10 Depth=1
	v_cmp_ne_u16_e64 s[4:5], s49, v14
	v_bfrev_b32_e32 v46, 1
	s_and_saveexec_b64 s[40:41], s[4:5]
	s_cbranch_execz .LBB361_85
; %bb.82:                               ;   in Loop: Header=BB361_10 Depth=1
	v_and_b32_e32 v47, 0x7f, v14
	v_cmp_ne_u32_e64 s[4:5], s50, v47
	v_mov_b32_e32 v46, 0x7f800001
	s_and_saveexec_b64 s[42:43], s[4:5]
	s_cbranch_execz .LBB361_84
; %bb.83:                               ;   in Loop: Header=BB361_10 Depth=1
	v_and_b32_e32 v46, 7, v14
	v_ffbh_u32_e32 v48, v46
	v_min_u32_e32 v51, 32, v48
	v_subrev_u32_e32 v48, 28, v51
	v_lshlrev_b64 v[48:49], v48, v[14:15]
	v_lshrrev_b32_e32 v50, 3, v47
	v_sub_u32_e32 v14, 29, v51
	v_and_b32_e32 v48, 7, v48
	v_cmp_gt_u32_e64 s[4:5], 8, v47
	v_cndmask_b32_e64 v14, v50, v14, s[4:5]
	v_cndmask_b32_e64 v46, v46, v48, s[4:5]
	v_lshlrev_b32_e32 v12, 16, v12
	v_lshlrev_b32_e32 v46, 20, v46
	v_and_b32_e32 v12, 0x80000000, v12
	v_lshl_add_u32 v14, v14, 23, v37
	v_or3_b32 v46, v12, v14, v46
.LBB361_84:                             ;   in Loop: Header=BB361_10 Depth=1
	s_or_b64 exec, exec, s[42:43]
.LBB361_85:                             ;   in Loop: Header=BB361_10 Depth=1
	s_or_b64 exec, exec, s[40:41]
.LBB361_86:                             ;   in Loop: Header=BB361_10 Depth=1
	s_or_b64 exec, exec, s[16:17]
	v_mul_f32_e32 v12, s47, v46
	v_and_b32_e32 v14, 0x7f800000, v12
	v_cmp_ne_u32_e64 s[4:5], s51, v14
                                        ; implicit-def: $vgpr46
	s_and_saveexec_b64 s[16:17], s[4:5]
	s_xor_b64 s[4:5], exec, s[16:17]
; %bb.87:                               ;   in Loop: Header=BB361_10 Depth=1
	v_bfe_u32 v14, v12, 16, 1
	v_add3_u32 v46, v12, v14, s52
                                        ; implicit-def: $vgpr12
; %bb.88:                               ;   in Loop: Header=BB361_10 Depth=1
	s_andn2_saveexec_b64 s[16:17], s[4:5]
; %bb.89:                               ;   in Loop: Header=BB361_10 Depth=1
	v_or_b32_e32 v14, 0x10000, v12
	v_cmp_eq_u32_sdwa s[4:5], v12, v1 src0_sel:WORD_0 src1_sel:DWORD
	v_cndmask_b32_e64 v46, v14, v12, s[4:5]
; %bb.90:                               ;   in Loop: Header=BB361_10 Depth=1
	s_or_b64 exec, exec, s[16:17]
	global_load_ushort v14, v[8:9], off offset:512
	s_waitcnt vmcnt(0)
	v_and_b32_e32 v12, 0xffff, v14
	v_cmp_ne_u16_sdwa s[4:5], v14, v1 src0_sel:BYTE_0 src1_sel:DWORD
	v_mov_b32_e32 v14, 0
	s_and_saveexec_b64 s[16:17], s[4:5]
	s_cbranch_execz .LBB361_96
; %bb.91:                               ;   in Loop: Header=BB361_10 Depth=1
	v_cmp_ne_u16_sdwa s[4:5], v12, s49 src0_sel:BYTE_0 src1_sel:DWORD
	v_bfrev_b32_e32 v14, 1
	s_and_saveexec_b64 s[40:41], s[4:5]
	s_cbranch_execz .LBB361_95
; %bb.92:                               ;   in Loop: Header=BB361_10 Depth=1
	v_and_b32_e32 v47, 0x7f, v12
	v_cmp_ne_u32_e64 s[4:5], s50, v47
	v_mov_b32_e32 v14, 0x7f800001
	s_and_saveexec_b64 s[42:43], s[4:5]
	s_cbranch_execz .LBB361_94
; %bb.93:                               ;   in Loop: Header=BB361_10 Depth=1
	v_and_b32_e32 v14, 7, v12
	v_ffbh_u32_e32 v48, v14
	v_min_u32_e32 v51, 32, v48
	v_subrev_u32_e32 v48, 28, v51
	v_lshlrev_b64 v[48:49], v48, v[12:13]
	v_lshrrev_b32_e32 v50, 3, v47
	v_sub_u32_e32 v49, 29, v51
	v_and_b32_e32 v48, 7, v48
	v_cmp_gt_u32_e64 s[4:5], 8, v47
	v_cndmask_b32_e64 v47, v50, v49, s[4:5]
	v_cndmask_b32_e64 v14, v14, v48, s[4:5]
	v_lshlrev_b32_e32 v48, 24, v12
	v_lshlrev_b32_e32 v14, 20, v14
	v_and_b32_e32 v48, 0x80000000, v48
	v_lshl_add_u32 v47, v47, 23, v37
	v_or3_b32 v14, v48, v47, v14
.LBB361_94:                             ;   in Loop: Header=BB361_10 Depth=1
	s_or_b64 exec, exec, s[42:43]
.LBB361_95:                             ;   in Loop: Header=BB361_10 Depth=1
	s_or_b64 exec, exec, s[40:41]
.LBB361_96:                             ;   in Loop: Header=BB361_10 Depth=1
	s_or_b64 exec, exec, s[16:17]
	v_mul_f32_e32 v14, s47, v14
	v_and_b32_e32 v47, 0x7f800000, v14
	v_cmp_ne_u32_e64 s[4:5], s51, v47
                                        ; implicit-def: $vgpr47
	s_and_saveexec_b64 s[16:17], s[4:5]
	s_xor_b64 s[4:5], exec, s[16:17]
; %bb.97:                               ;   in Loop: Header=BB361_10 Depth=1
	v_bfe_u32 v47, v14, 16, 1
	v_add3_u32 v47, v14, v47, s52
                                        ; implicit-def: $vgpr14
; %bb.98:                               ;   in Loop: Header=BB361_10 Depth=1
	s_andn2_saveexec_b64 s[16:17], s[4:5]
; %bb.99:                               ;   in Loop: Header=BB361_10 Depth=1
	v_or_b32_e32 v47, 0x10000, v14
	v_cmp_eq_u32_sdwa s[4:5], v14, v1 src0_sel:WORD_0 src1_sel:DWORD
	v_cndmask_b32_e64 v47, v47, v14, s[4:5]
; %bb.100:                              ;   in Loop: Header=BB361_10 Depth=1
	s_or_b64 exec, exec, s[16:17]
	v_lshrrev_b16_e32 v14, 8, v12
	v_cmp_ne_u16_e64 s[4:5], 0, v14
	v_mov_b32_e32 v48, 0
	s_and_saveexec_b64 s[16:17], s[4:5]
	s_cbranch_execz .LBB361_106
; %bb.101:                              ;   in Loop: Header=BB361_10 Depth=1
	v_cmp_ne_u16_e64 s[4:5], s49, v14
	v_bfrev_b32_e32 v48, 1
	s_and_saveexec_b64 s[40:41], s[4:5]
	s_cbranch_execz .LBB361_105
; %bb.102:                              ;   in Loop: Header=BB361_10 Depth=1
	v_and_b32_e32 v49, 0x7f, v14
	v_cmp_ne_u32_e64 s[4:5], s50, v49
	v_mov_b32_e32 v48, 0x7f800001
	s_and_saveexec_b64 s[42:43], s[4:5]
	s_cbranch_execz .LBB361_104
; %bb.103:                              ;   in Loop: Header=BB361_10 Depth=1
	v_and_b32_e32 v48, 7, v14
	v_ffbh_u32_e32 v50, v48
	v_min_u32_e32 v53, 32, v50
	v_subrev_u32_e32 v50, 28, v53
	v_lshlrev_b64 v[50:51], v50, v[14:15]
	v_lshrrev_b32_e32 v52, 3, v49
	v_sub_u32_e32 v14, 29, v53
	v_and_b32_e32 v50, 7, v50
	v_cmp_gt_u32_e64 s[4:5], 8, v49
	v_cndmask_b32_e64 v14, v52, v14, s[4:5]
	v_cndmask_b32_e64 v48, v48, v50, s[4:5]
	v_lshlrev_b32_e32 v12, 16, v12
	v_lshlrev_b32_e32 v48, 20, v48
	v_and_b32_e32 v12, 0x80000000, v12
	v_lshl_add_u32 v14, v14, 23, v37
	v_or3_b32 v48, v12, v14, v48
.LBB361_104:                            ;   in Loop: Header=BB361_10 Depth=1
	s_or_b64 exec, exec, s[42:43]
.LBB361_105:                            ;   in Loop: Header=BB361_10 Depth=1
	s_or_b64 exec, exec, s[40:41]
.LBB361_106:                            ;   in Loop: Header=BB361_10 Depth=1
	s_or_b64 exec, exec, s[16:17]
	v_mul_f32_e32 v12, s47, v48
	v_and_b32_e32 v14, 0x7f800000, v12
	v_cmp_ne_u32_e64 s[4:5], s51, v14
                                        ; implicit-def: $vgpr48
	s_and_saveexec_b64 s[16:17], s[4:5]
	s_xor_b64 s[4:5], exec, s[16:17]
; %bb.107:                              ;   in Loop: Header=BB361_10 Depth=1
	v_bfe_u32 v14, v12, 16, 1
	v_add3_u32 v48, v12, v14, s52
                                        ; implicit-def: $vgpr12
; %bb.108:                              ;   in Loop: Header=BB361_10 Depth=1
	s_andn2_saveexec_b64 s[16:17], s[4:5]
; %bb.109:                              ;   in Loop: Header=BB361_10 Depth=1
	v_or_b32_e32 v14, 0x10000, v12
	v_cmp_eq_u32_sdwa s[4:5], v12, v1 src0_sel:WORD_0 src1_sel:DWORD
	v_cndmask_b32_e64 v48, v14, v12, s[4:5]
; %bb.110:                              ;   in Loop: Header=BB361_10 Depth=1
	s_or_b64 exec, exec, s[16:17]
	global_load_ushort v14, v[8:9], off offset:520
	s_waitcnt vmcnt(0)
	v_and_b32_e32 v12, 0xffff, v14
	v_cmp_ne_u16_sdwa s[4:5], v14, v1 src0_sel:BYTE_0 src1_sel:DWORD
	v_mov_b32_e32 v14, 0
	s_and_saveexec_b64 s[16:17], s[4:5]
	s_cbranch_execz .LBB361_116
; %bb.111:                              ;   in Loop: Header=BB361_10 Depth=1
	v_cmp_ne_u16_sdwa s[4:5], v12, s49 src0_sel:BYTE_0 src1_sel:DWORD
	v_bfrev_b32_e32 v14, 1
	s_and_saveexec_b64 s[40:41], s[4:5]
	s_cbranch_execz .LBB361_115
; %bb.112:                              ;   in Loop: Header=BB361_10 Depth=1
	v_and_b32_e32 v49, 0x7f, v12
	v_cmp_ne_u32_e64 s[4:5], s50, v49
	v_mov_b32_e32 v14, 0x7f800001
	s_and_saveexec_b64 s[42:43], s[4:5]
	s_cbranch_execz .LBB361_114
; %bb.113:                              ;   in Loop: Header=BB361_10 Depth=1
	v_and_b32_e32 v14, 7, v12
	v_ffbh_u32_e32 v50, v14
	v_min_u32_e32 v53, 32, v50
	v_subrev_u32_e32 v50, 28, v53
	v_lshlrev_b64 v[50:51], v50, v[12:13]
	v_lshrrev_b32_e32 v52, 3, v49
	v_sub_u32_e32 v51, 29, v53
	v_and_b32_e32 v50, 7, v50
	v_cmp_gt_u32_e64 s[4:5], 8, v49
	v_cndmask_b32_e64 v49, v52, v51, s[4:5]
	v_cndmask_b32_e64 v14, v14, v50, s[4:5]
	v_lshlrev_b32_e32 v50, 24, v12
	v_lshlrev_b32_e32 v14, 20, v14
	v_and_b32_e32 v50, 0x80000000, v50
	v_lshl_add_u32 v49, v49, 23, v37
	v_or3_b32 v14, v50, v49, v14
.LBB361_114:                            ;   in Loop: Header=BB361_10 Depth=1
	s_or_b64 exec, exec, s[42:43]
.LBB361_115:                            ;   in Loop: Header=BB361_10 Depth=1
	s_or_b64 exec, exec, s[40:41]
.LBB361_116:                            ;   in Loop: Header=BB361_10 Depth=1
	s_or_b64 exec, exec, s[16:17]
	v_mul_f32_e32 v14, s47, v14
	v_and_b32_e32 v49, 0x7f800000, v14
	v_cmp_ne_u32_e64 s[4:5], s51, v49
                                        ; implicit-def: $vgpr49
	s_and_saveexec_b64 s[16:17], s[4:5]
	s_xor_b64 s[4:5], exec, s[16:17]
; %bb.117:                              ;   in Loop: Header=BB361_10 Depth=1
	v_bfe_u32 v49, v14, 16, 1
	v_add3_u32 v49, v14, v49, s52
                                        ; implicit-def: $vgpr14
; %bb.118:                              ;   in Loop: Header=BB361_10 Depth=1
	s_andn2_saveexec_b64 s[16:17], s[4:5]
; %bb.119:                              ;   in Loop: Header=BB361_10 Depth=1
	v_or_b32_e32 v49, 0x10000, v14
	v_cmp_eq_u32_sdwa s[4:5], v14, v1 src0_sel:WORD_0 src1_sel:DWORD
	v_cndmask_b32_e64 v49, v49, v14, s[4:5]
; %bb.120:                              ;   in Loop: Header=BB361_10 Depth=1
	s_or_b64 exec, exec, s[16:17]
	v_lshrrev_b16_e32 v14, 8, v12
	v_cmp_ne_u16_e64 s[4:5], 0, v14
	v_mov_b32_e32 v50, 0
	s_and_saveexec_b64 s[16:17], s[4:5]
	s_cbranch_execz .LBB361_126
; %bb.121:                              ;   in Loop: Header=BB361_10 Depth=1
	v_cmp_ne_u16_e64 s[4:5], s49, v14
	v_bfrev_b32_e32 v50, 1
	s_and_saveexec_b64 s[40:41], s[4:5]
	s_cbranch_execz .LBB361_125
; %bb.122:                              ;   in Loop: Header=BB361_10 Depth=1
	v_and_b32_e32 v51, 0x7f, v14
	v_cmp_ne_u32_e64 s[4:5], s50, v51
	v_mov_b32_e32 v50, 0x7f800001
	s_and_saveexec_b64 s[42:43], s[4:5]
	s_cbranch_execz .LBB361_124
; %bb.123:                              ;   in Loop: Header=BB361_10 Depth=1
	v_and_b32_e32 v50, 7, v14
	v_ffbh_u32_e32 v52, v50
	v_min_u32_e32 v55, 32, v52
	v_subrev_u32_e32 v52, 28, v55
	v_lshlrev_b64 v[52:53], v52, v[14:15]
	v_lshrrev_b32_e32 v54, 3, v51
	v_sub_u32_e32 v14, 29, v55
	v_and_b32_e32 v52, 7, v52
	v_cmp_gt_u32_e64 s[4:5], 8, v51
	v_cndmask_b32_e64 v14, v54, v14, s[4:5]
	v_cndmask_b32_e64 v50, v50, v52, s[4:5]
	v_lshlrev_b32_e32 v12, 16, v12
	v_lshlrev_b32_e32 v50, 20, v50
	v_and_b32_e32 v12, 0x80000000, v12
	v_lshl_add_u32 v14, v14, 23, v37
	v_or3_b32 v50, v12, v14, v50
.LBB361_124:                            ;   in Loop: Header=BB361_10 Depth=1
	s_or_b64 exec, exec, s[42:43]
.LBB361_125:                            ;   in Loop: Header=BB361_10 Depth=1
	s_or_b64 exec, exec, s[40:41]
.LBB361_126:                            ;   in Loop: Header=BB361_10 Depth=1
	s_or_b64 exec, exec, s[16:17]
	v_mul_f32_e32 v12, s47, v50
	v_and_b32_e32 v14, 0x7f800000, v12
	v_cmp_ne_u32_e64 s[4:5], s51, v14
                                        ; implicit-def: $vgpr50
	s_and_saveexec_b64 s[16:17], s[4:5]
	s_xor_b64 s[4:5], exec, s[16:17]
; %bb.127:                              ;   in Loop: Header=BB361_10 Depth=1
	v_bfe_u32 v14, v12, 16, 1
	v_add3_u32 v50, v12, v14, s52
                                        ; implicit-def: $vgpr12
; %bb.128:                              ;   in Loop: Header=BB361_10 Depth=1
	s_andn2_saveexec_b64 s[16:17], s[4:5]
; %bb.129:                              ;   in Loop: Header=BB361_10 Depth=1
	v_or_b32_e32 v14, 0x10000, v12
	v_cmp_eq_u32_sdwa s[4:5], v12, v1 src0_sel:WORD_0 src1_sel:DWORD
	v_cndmask_b32_e64 v50, v14, v12, s[4:5]
; %bb.130:                              ;   in Loop: Header=BB361_10 Depth=1
	s_or_b64 exec, exec, s[16:17]
	global_load_ushort v14, v[8:9], off offset:768
	s_waitcnt vmcnt(0)
	v_and_b32_e32 v12, 0xffff, v14
	v_cmp_ne_u16_sdwa s[4:5], v14, v1 src0_sel:BYTE_0 src1_sel:DWORD
	v_mov_b32_e32 v14, 0
	s_and_saveexec_b64 s[16:17], s[4:5]
	s_cbranch_execz .LBB361_136
; %bb.131:                              ;   in Loop: Header=BB361_10 Depth=1
	v_cmp_ne_u16_sdwa s[4:5], v12, s49 src0_sel:BYTE_0 src1_sel:DWORD
	v_bfrev_b32_e32 v14, 1
	s_and_saveexec_b64 s[40:41], s[4:5]
	s_cbranch_execz .LBB361_135
; %bb.132:                              ;   in Loop: Header=BB361_10 Depth=1
	v_and_b32_e32 v51, 0x7f, v12
	v_cmp_ne_u32_e64 s[4:5], s50, v51
	v_mov_b32_e32 v14, 0x7f800001
	s_and_saveexec_b64 s[42:43], s[4:5]
	s_cbranch_execz .LBB361_134
; %bb.133:                              ;   in Loop: Header=BB361_10 Depth=1
	v_and_b32_e32 v14, 7, v12
	v_ffbh_u32_e32 v52, v14
	v_min_u32_e32 v55, 32, v52
	v_subrev_u32_e32 v52, 28, v55
	v_lshlrev_b64 v[52:53], v52, v[12:13]
	v_lshrrev_b32_e32 v54, 3, v51
	v_sub_u32_e32 v53, 29, v55
	v_and_b32_e32 v52, 7, v52
	v_cmp_gt_u32_e64 s[4:5], 8, v51
	v_cndmask_b32_e64 v51, v54, v53, s[4:5]
	v_cndmask_b32_e64 v14, v14, v52, s[4:5]
	v_lshlrev_b32_e32 v52, 24, v12
	v_lshlrev_b32_e32 v14, 20, v14
	v_and_b32_e32 v52, 0x80000000, v52
	v_lshl_add_u32 v51, v51, 23, v37
	v_or3_b32 v14, v52, v51, v14
.LBB361_134:                            ;   in Loop: Header=BB361_10 Depth=1
	s_or_b64 exec, exec, s[42:43]
.LBB361_135:                            ;   in Loop: Header=BB361_10 Depth=1
	s_or_b64 exec, exec, s[40:41]
.LBB361_136:                            ;   in Loop: Header=BB361_10 Depth=1
	s_or_b64 exec, exec, s[16:17]
	v_mul_f32_e32 v14, s47, v14
	v_and_b32_e32 v51, 0x7f800000, v14
	v_cmp_ne_u32_e64 s[4:5], s51, v51
                                        ; implicit-def: $vgpr51
	s_and_saveexec_b64 s[16:17], s[4:5]
	s_xor_b64 s[4:5], exec, s[16:17]
; %bb.137:                              ;   in Loop: Header=BB361_10 Depth=1
	v_bfe_u32 v51, v14, 16, 1
	v_add3_u32 v51, v14, v51, s52
                                        ; implicit-def: $vgpr14
; %bb.138:                              ;   in Loop: Header=BB361_10 Depth=1
	s_andn2_saveexec_b64 s[16:17], s[4:5]
; %bb.139:                              ;   in Loop: Header=BB361_10 Depth=1
	v_or_b32_e32 v51, 0x10000, v14
	v_cmp_eq_u32_sdwa s[4:5], v14, v1 src0_sel:WORD_0 src1_sel:DWORD
	v_cndmask_b32_e64 v51, v51, v14, s[4:5]
; %bb.140:                              ;   in Loop: Header=BB361_10 Depth=1
	s_or_b64 exec, exec, s[16:17]
	v_lshrrev_b16_e32 v14, 8, v12
	v_cmp_ne_u16_e64 s[4:5], 0, v14
	v_mov_b32_e32 v52, 0
	s_and_saveexec_b64 s[16:17], s[4:5]
	s_cbranch_execz .LBB361_146
; %bb.141:                              ;   in Loop: Header=BB361_10 Depth=1
	v_cmp_ne_u16_e64 s[4:5], s49, v14
	v_bfrev_b32_e32 v52, 1
	s_and_saveexec_b64 s[40:41], s[4:5]
	s_cbranch_execz .LBB361_145
; %bb.142:                              ;   in Loop: Header=BB361_10 Depth=1
	v_and_b32_e32 v53, 0x7f, v14
	v_cmp_ne_u32_e64 s[4:5], s50, v53
	v_mov_b32_e32 v52, 0x7f800001
	s_and_saveexec_b64 s[42:43], s[4:5]
	s_cbranch_execz .LBB361_144
; %bb.143:                              ;   in Loop: Header=BB361_10 Depth=1
	v_and_b32_e32 v52, 7, v14
	v_ffbh_u32_e32 v54, v52
	v_min_u32_e32 v57, 32, v54
	v_subrev_u32_e32 v54, 28, v57
	v_lshlrev_b64 v[54:55], v54, v[14:15]
	v_lshrrev_b32_e32 v56, 3, v53
	v_sub_u32_e32 v14, 29, v57
	v_and_b32_e32 v54, 7, v54
	v_cmp_gt_u32_e64 s[4:5], 8, v53
	v_cndmask_b32_e64 v14, v56, v14, s[4:5]
	v_cndmask_b32_e64 v52, v52, v54, s[4:5]
	v_lshlrev_b32_e32 v12, 16, v12
	v_lshlrev_b32_e32 v52, 20, v52
	v_and_b32_e32 v12, 0x80000000, v12
	v_lshl_add_u32 v14, v14, 23, v37
	v_or3_b32 v52, v12, v14, v52
.LBB361_144:                            ;   in Loop: Header=BB361_10 Depth=1
	s_or_b64 exec, exec, s[42:43]
.LBB361_145:                            ;   in Loop: Header=BB361_10 Depth=1
	s_or_b64 exec, exec, s[40:41]
.LBB361_146:                            ;   in Loop: Header=BB361_10 Depth=1
	s_or_b64 exec, exec, s[16:17]
	v_mul_f32_e32 v12, s47, v52
	v_and_b32_e32 v14, 0x7f800000, v12
	v_cmp_ne_u32_e64 s[4:5], s51, v14
                                        ; implicit-def: $vgpr14
	s_and_saveexec_b64 s[16:17], s[4:5]
	s_xor_b64 s[4:5], exec, s[16:17]
; %bb.147:                              ;   in Loop: Header=BB361_10 Depth=1
	v_bfe_u32 v14, v12, 16, 1
	v_add3_u32 v14, v12, v14, s52
                                        ; implicit-def: $vgpr12
; %bb.148:                              ;   in Loop: Header=BB361_10 Depth=1
	s_andn2_saveexec_b64 s[16:17], s[4:5]
; %bb.149:                              ;   in Loop: Header=BB361_10 Depth=1
	v_or_b32_e32 v14, 0x10000, v12
	v_cmp_eq_u32_sdwa s[4:5], v12, v1 src0_sel:WORD_0 src1_sel:DWORD
	v_cndmask_b32_e64 v14, v14, v12, s[4:5]
; %bb.150:                              ;   in Loop: Header=BB361_10 Depth=1
	s_or_b64 exec, exec, s[16:17]
	global_load_ushort v9, v[8:9], off offset:776
	s_waitcnt vmcnt(0)
	v_and_b32_e32 v8, 0xffff, v9
	v_cmp_ne_u16_sdwa s[4:5], v9, v1 src0_sel:BYTE_0 src1_sel:DWORD
	v_mov_b32_e32 v9, 0
	s_and_saveexec_b64 s[16:17], s[4:5]
	s_cbranch_execz .LBB361_156
; %bb.151:                              ;   in Loop: Header=BB361_10 Depth=1
	v_cmp_ne_u16_sdwa s[4:5], v8, s49 src0_sel:BYTE_0 src1_sel:DWORD
	v_bfrev_b32_e32 v9, 1
	s_and_saveexec_b64 s[40:41], s[4:5]
	s_cbranch_execz .LBB361_155
; %bb.152:                              ;   in Loop: Header=BB361_10 Depth=1
	v_and_b32_e32 v12, 0x7f, v8
	v_cmp_ne_u32_e64 s[4:5], s50, v12
	v_mov_b32_e32 v9, 0x7f800001
	s_and_saveexec_b64 s[42:43], s[4:5]
	s_cbranch_execz .LBB361_154
; %bb.153:                              ;   in Loop: Header=BB361_10 Depth=1
	v_and_b32_e32 v9, 7, v8
	v_ffbh_u32_e32 v52, v9
	v_min_u32_e32 v55, 32, v52
	v_subrev_u32_e32 v52, 28, v55
	v_lshlrev_b64 v[52:53], v52, v[8:9]
	v_lshrrev_b32_e32 v54, 3, v12
	v_sub_u32_e32 v53, 29, v55
	v_and_b32_e32 v52, 7, v52
	v_cmp_gt_u32_e64 s[4:5], 8, v12
	v_cndmask_b32_e64 v12, v54, v53, s[4:5]
	v_cndmask_b32_e64 v9, v9, v52, s[4:5]
	v_lshlrev_b32_e32 v52, 24, v8
	v_lshlrev_b32_e32 v9, 20, v9
	v_and_b32_e32 v52, 0x80000000, v52
	v_lshl_add_u32 v12, v12, 23, v37
	v_or3_b32 v9, v52, v12, v9
.LBB361_154:                            ;   in Loop: Header=BB361_10 Depth=1
	s_or_b64 exec, exec, s[42:43]
.LBB361_155:                            ;   in Loop: Header=BB361_10 Depth=1
	s_or_b64 exec, exec, s[40:41]
.LBB361_156:                            ;   in Loop: Header=BB361_10 Depth=1
	s_or_b64 exec, exec, s[16:17]
	v_mul_f32_e32 v12, s47, v9
	v_and_b32_e32 v9, 0x7f800000, v12
	v_cmp_ne_u32_e64 s[4:5], s51, v9
                                        ; implicit-def: $vgpr9
	s_and_saveexec_b64 s[16:17], s[4:5]
	s_xor_b64 s[4:5], exec, s[16:17]
; %bb.157:                              ;   in Loop: Header=BB361_10 Depth=1
	v_bfe_u32 v9, v12, 16, 1
	v_add3_u32 v9, v12, v9, s52
                                        ; implicit-def: $vgpr12
; %bb.158:                              ;   in Loop: Header=BB361_10 Depth=1
	s_andn2_saveexec_b64 s[16:17], s[4:5]
; %bb.159:                              ;   in Loop: Header=BB361_10 Depth=1
	v_or_b32_e32 v9, 0x10000, v12
	v_cmp_eq_u32_sdwa s[4:5], v12, v1 src0_sel:WORD_0 src1_sel:DWORD
	v_cndmask_b32_e64 v9, v9, v12, s[4:5]
; %bb.160:                              ;   in Loop: Header=BB361_10 Depth=1
	s_or_b64 exec, exec, s[16:17]
	v_lshrrev_b16_e32 v12, 8, v8
	v_cmp_ne_u16_e64 s[4:5], 0, v12
	v_mov_b32_e32 v52, 0
	s_and_saveexec_b64 s[16:17], s[4:5]
	s_cbranch_execz .LBB361_166
; %bb.161:                              ;   in Loop: Header=BB361_10 Depth=1
	v_cmp_ne_u16_e64 s[4:5], s49, v12
	v_bfrev_b32_e32 v52, 1
	s_and_saveexec_b64 s[40:41], s[4:5]
	s_cbranch_execz .LBB361_165
; %bb.162:                              ;   in Loop: Header=BB361_10 Depth=1
	v_and_b32_e32 v53, 0x7f, v12
	v_cmp_ne_u32_e64 s[4:5], s50, v53
	v_mov_b32_e32 v52, 0x7f800001
	s_and_saveexec_b64 s[42:43], s[4:5]
	s_cbranch_execz .LBB361_164
; %bb.163:                              ;   in Loop: Header=BB361_10 Depth=1
	v_and_b32_e32 v52, 7, v12
	v_ffbh_u32_e32 v54, v52
	v_min_u32_e32 v57, 32, v54
	v_subrev_u32_e32 v54, 28, v57
	v_lshlrev_b64 v[54:55], v54, v[12:13]
	v_lshrrev_b32_e32 v56, 3, v53
	v_sub_u32_e32 v12, 29, v57
	v_and_b32_e32 v54, 7, v54
	v_cmp_gt_u32_e64 s[4:5], 8, v53
	v_cndmask_b32_e64 v12, v56, v12, s[4:5]
	v_cndmask_b32_e64 v52, v52, v54, s[4:5]
	v_lshlrev_b32_e32 v8, 16, v8
	v_lshlrev_b32_e32 v52, 20, v52
	v_and_b32_e32 v8, 0x80000000, v8
	v_lshl_add_u32 v12, v12, 23, v37
	v_or3_b32 v52, v8, v12, v52
.LBB361_164:                            ;   in Loop: Header=BB361_10 Depth=1
	s_or_b64 exec, exec, s[42:43]
.LBB361_165:                            ;   in Loop: Header=BB361_10 Depth=1
	s_or_b64 exec, exec, s[40:41]
.LBB361_166:                            ;   in Loop: Header=BB361_10 Depth=1
	s_or_b64 exec, exec, s[16:17]
	v_mul_f32_e32 v12, s47, v52
	v_and_b32_e32 v8, 0x7f800000, v12
	v_cmp_ne_u32_e64 s[4:5], s51, v8
                                        ; implicit-def: $vgpr8
	s_and_saveexec_b64 s[16:17], s[4:5]
	s_xor_b64 s[4:5], exec, s[16:17]
; %bb.167:                              ;   in Loop: Header=BB361_10 Depth=1
	v_bfe_u32 v8, v12, 16, 1
	v_add3_u32 v8, v12, v8, s52
                                        ; implicit-def: $vgpr12
; %bb.168:                              ;   in Loop: Header=BB361_10 Depth=1
	s_andn2_saveexec_b64 s[16:17], s[4:5]
; %bb.169:                              ;   in Loop: Header=BB361_10 Depth=1
	v_or_b32_e32 v8, 0x10000, v12
	v_cmp_eq_u32_sdwa s[4:5], v12, v1 src0_sel:WORD_0 src1_sel:DWORD
	v_cndmask_b32_e64 v8, v8, v12, s[4:5]
; %bb.170:                              ;   in Loop: Header=BB361_10 Depth=1
	s_or_b64 exec, exec, s[16:17]
	v_and_b32_e32 v41, 0xffff0000, v41
	v_and_b32_e32 v42, 0xffff0000, v42
	;; [unrolled: 1-line block ×3, first 2 shown]
	v_mul_f32_e32 v41, v18, v41
	v_and_b32_e32 v40, 0xffff0000, v40
	v_fmac_f32_e32 v41, v16, v39
	v_mul_f32_e32 v39, v19, v42
	v_and_b32_e32 v44, 0xffff0000, v44
	v_and_b32_e32 v43, 0xffff0000, v43
	v_fmac_f32_e32 v39, v17, v40
	v_and_b32_e32 v46, 0xffff0000, v46
	v_and_b32_e32 v45, 0xffff0000, v45
	v_fmac_f32_e32 v41, v20, v43
	v_fmac_f32_e32 v39, v21, v44
	v_and_b32_e32 v48, 0xffff0000, v48
	v_and_b32_e32 v47, 0xffff0000, v47
	v_fmac_f32_e32 v41, v22, v45
	;; [unrolled: 4-line block ×5, first 2 shown]
	v_fmac_f32_e32 v39, v29, v12
	v_fmac_f32_e32 v41, v30, v9
	;; [unrolled: 1-line block ×3, first 2 shown]
	v_add_f32_e32 v8, v41, v39
	ds_bpermute_b32 v9, v33, v8
	s_waitcnt lgkmcnt(0)
	v_add_f32_e32 v8, v8, v9
	ds_bpermute_b32 v9, v34, v8
	s_and_saveexec_b64 s[16:17], vcc
	s_cbranch_execz .LBB361_9
; %bb.171:                              ;   in Loop: Header=BB361_10 Depth=1
	v_add_u32_e32 v12, s48, v35
	v_cvt_f32_i32_e32 v12, v12
	s_waitcnt lgkmcnt(0)
	v_add_f32_e32 v8, v8, v9
	v_cmp_gt_i32_e64 s[4:5], s33, v35
	v_max_f32_e32 v9, v32, v32
	v_mul_f32_e32 v12, s10, v12
	v_cndmask_b32_e64 v12, 0, v12, s[2:3]
	v_fmac_f32_e32 v12, s11, v8
	v_cndmask_b32_e64 v8, 0, v12, s[4:5]
	ds_write_b32 v36, v8
	v_max_f32_e32 v8, v9, v12
	v_cndmask_b32_e64 v32, v32, v8, s[4:5]
	s_branch .LBB361_9
.LBB361_172:
	s_or_b64 exec, exec, s[14:15]
.LBB361_173:
	s_or_b64 exec, exec, s[38:39]
	v_xor_b32_e32 v1, 32, v13
	v_cmp_lt_i32_e32 vcc, v1, v15
	v_cndmask_b32_e32 v1, v13, v1, vcc
	v_lshlrev_b32_e32 v2, 2, v1
	ds_bpermute_b32 v1, v2, v32
	v_xor_b32_e32 v4, 16, v13
	v_max_f32_e32 v3, v32, v32
	v_cmp_lt_i32_e32 vcc, v4, v15
	v_xor_b32_e32 v6, 8, v13
	s_waitcnt lgkmcnt(0)
	v_max_f32_e32 v1, v1, v1
	v_max_f32_e32 v1, v3, v1
	v_cndmask_b32_e32 v3, v13, v4, vcc
	v_lshlrev_b32_e32 v3, 2, v3
	ds_bpermute_b32 v4, v3, v1
	v_cmp_lt_i32_e32 vcc, v6, v15
	s_waitcnt lgkmcnt(0)
	v_max_f32_e32 v4, v4, v4
	v_max_f32_e32 v1, v1, v4
	v_cndmask_b32_e32 v4, v13, v6, vcc
	v_lshlrev_b32_e32 v8, 2, v4
	ds_bpermute_b32 v4, v8, v1
	v_xor_b32_e32 v6, 4, v13
	v_cmp_lt_i32_e32 vcc, v6, v15
	s_waitcnt lgkmcnt(0)
	v_max_f32_e32 v4, v4, v4
	v_max_f32_e32 v4, v1, v4
	v_cndmask_b32_e32 v1, v13, v6, vcc
	v_lshlrev_b32_e32 v9, 2, v1
	ds_bpermute_b32 v7, v9, v4
	v_and_b32_e32 v1, 63, v0
	v_cmp_eq_u32_e32 vcc, 0, v1
	v_lshlrev_b32_e32 v6, 2, v5
	s_and_saveexec_b64 s[2:3], vcc
	s_cbranch_execz .LBB361_175
; %bb.174:
	s_waitcnt lgkmcnt(0)
	v_max_f32_e32 v7, v7, v7
	v_max_f32_e32 v4, v4, v4
	v_max_f32_e32 v4, v4, v7
	ds_write_b32 v6, v4 offset:128
.LBB361_175:
	s_or_b64 exec, exec, s[2:3]
	v_cmp_gt_u32_e64 s[2:3], 2, v1
	v_mov_b32_e32 v4, 0xff7fffff
	s_waitcnt lgkmcnt(0)
	v_lshlrev_b32_e32 v7, 2, v1
	s_barrier
	s_and_saveexec_b64 s[4:5], s[2:3]
	s_cbranch_execz .LBB361_177
; %bb.176:
	ds_read_b32 v4, v7 offset:128
.LBB361_177:
	s_or_b64 exec, exec, s[4:5]
	v_xor_b32_e32 v12, 1, v13
	v_cmp_lt_i32_e64 s[4:5], v12, v15
	v_cndmask_b32_e64 v12, v13, v12, s[4:5]
	v_lshlrev_b32_e32 v20, 2, v12
	s_waitcnt lgkmcnt(0)
	ds_bpermute_b32 v12, v20, v4
	v_max_f32_e32 v4, v4, v4
	s_sub_i32 s4, s44, s9
	s_lshl_b32 s4, s4, 4
	s_add_i32 s4, s4, s45
	s_waitcnt lgkmcnt(0)
	v_max_f32_e32 v12, v12, v12
	v_max_f32_e32 v4, v4, v12
	v_lshlrev_b32_e32 v12, 2, v13
	v_and_b32_e32 v12, 0xffffff00, v12
	ds_bpermute_b32 v4, v12, v4
	s_min_i32 s38, s4, s33
	s_sub_i32 s9, s38, s45
	v_cmp_gt_i32_e64 s[4:5], s9, v0
	v_mov_b32_e32 v14, 0
	s_and_saveexec_b64 s[14:15], s[4:5]
	s_cbranch_execz .LBB361_181
; %bb.178:
	v_mov_b32_e32 v14, 0x90
	v_lshl_add_u32 v16, v0, 2, v14
	s_mov_b64 s[16:17], 0
	v_mov_b32_e32 v14, 0
	v_mov_b32_e32 v17, v0
.LBB361_179:                            ; =>This Inner Loop Header: Depth=1
	ds_read_b32 v18, v16
	v_add_u32_e32 v17, 0x80, v17
	v_cmp_le_i32_e64 s[10:11], s9, v17
	s_or_b64 s[16:17], s[10:11], s[16:17]
	s_waitcnt lgkmcnt(0)
	v_sub_f32_e32 v18, v18, v4
	v_mul_f32_e32 v18, 0x3fb8aa3b, v18
	v_exp_f32_e32 v18, v18
	ds_write_b32 v16, v18
	v_add_f32_e32 v14, v14, v18
	v_add_u32_e32 v16, 0x200, v16
	s_andn2_b64 exec, exec, s[16:17]
	s_cbranch_execnz .LBB361_179
; %bb.180:
	s_or_b64 exec, exec, s[16:17]
.LBB361_181:
	s_or_b64 exec, exec, s[14:15]
	ds_bpermute_b32 v2, v2, v14
	s_waitcnt lgkmcnt(0)
	v_add_f32_e32 v2, v14, v2
	ds_bpermute_b32 v3, v3, v2
	s_waitcnt lgkmcnt(0)
	v_add_f32_e32 v2, v2, v3
	ds_bpermute_b32 v3, v8, v2
	v_xor_b32_e32 v8, 2, v13
	v_cmp_lt_i32_e64 s[10:11], v8, v15
	v_cndmask_b32_e64 v8, v13, v8, s[10:11]
	s_waitcnt lgkmcnt(0)
	v_add_f32_e32 v2, v2, v3
	ds_bpermute_b32 v3, v9, v2
	s_waitcnt lgkmcnt(0)
	v_add_f32_e32 v2, v2, v3
	v_lshlrev_b32_e32 v3, 2, v8
	ds_bpermute_b32 v3, v3, v2
	s_waitcnt lgkmcnt(0)
	v_add_f32_e32 v2, v2, v3
	ds_bpermute_b32 v3, v20, v2
	s_waitcnt lgkmcnt(0)
	v_add_f32_e32 v2, v2, v3
	s_and_saveexec_b64 s[10:11], vcc
	s_cbranch_execz .LBB361_183
; %bb.182:
	ds_write_b32 v6, v2 offset:136
.LBB361_183:
	s_or_b64 exec, exec, s[10:11]
	s_waitcnt lgkmcnt(0)
	s_barrier
	s_and_saveexec_b64 s[10:11], s[2:3]
	s_cbranch_execz .LBB361_185
; %bb.184:
	ds_read_b32 v2, v7 offset:136
.LBB361_185:
	s_or_b64 exec, exec, s[10:11]
	s_waitcnt lgkmcnt(0)
	ds_bpermute_b32 v3, v20, v2
	s_waitcnt lgkmcnt(0)
	v_add_f32_e32 v2, v2, v3
	ds_bpermute_b32 v6, v12, v2
	s_and_saveexec_b64 s[2:3], s[4:5]
	s_cbranch_execz .LBB361_198
; %bb.186:
	s_waitcnt lgkmcnt(0)
	v_add_f32_e32 v2, 0x358637bd, v6
	v_div_scale_f32 v3, s[4:5], v2, v2, 1.0
	v_rcp_f32_e32 v7, v3
	v_div_scale_f32 v8, vcc, 1.0, v2, 1.0
	s_movk_i32 s4, 0x7f
	v_fma_f32 v9, -v3, v7, 1.0
	v_fmac_f32_e32 v7, v9, v7
	v_mul_f32_e32 v9, v8, v7
	v_fma_f32 v12, -v3, v9, v8
	v_fmac_f32_e32 v9, v12, v7
	v_fma_f32 v3, -v3, v9, v8
	v_div_fmas_f32 v3, v3, v7, v9
	v_div_fixup_f32 v2, v3, v2, 1.0
	v_xad_u32 v3, v0, -1, s38
	v_subrev_u32_e32 v7, s45, v3
	v_cmp_lt_u32_e32 vcc, s4, v7
	s_mov_b64 s[10:11], -1
	v_mov_b32_e32 v3, v0
	s_and_saveexec_b64 s[4:5], vcc
	s_cbranch_execz .LBB361_195
; %bb.187:
	v_lshrrev_b32_e32 v7, 7, v7
	v_add_u32_e32 v9, -1, v7
	v_lshrrev_b32_e32 v8, 1, v9
	v_mov_b32_e32 v3, v2
	v_add_u32_e32 v8, 1, v8
	v_cmp_lt_u32_e32 vcc, 13, v9
	v_mov_b32_e32 v13, 0
	s_and_saveexec_b64 s[10:11], vcc
	s_cbranch_execz .LBB361_191
; %bb.188:
	v_mov_b32_e32 v12, 0x90
	v_and_b32_e32 v9, -8, v8
	v_lshl_add_u32 v12, v0, 2, v12
	s_mov_b32 s16, 0
	s_mov_b64 s[14:15], 0
.LBB361_189:                            ; =>This Inner Loop Header: Depth=1
	ds_read2st64_b32 v[14:15], v12 offset1:2
	ds_read2st64_b32 v[16:17], v12 offset0:4 offset1:6
	ds_read2st64_b32 v[18:19], v12 offset0:8 offset1:10
	;; [unrolled: 1-line block ×3, first 2 shown]
	v_add_u32_e32 v9, -8, v9
	s_waitcnt lgkmcnt(3)
	v_pk_mul_f32 v[14:15], v[2:3], v[14:15]
	s_waitcnt lgkmcnt(2)
	v_pk_mul_f32 v[16:17], v[2:3], v[16:17]
	ds_write2st64_b32 v12, v14, v15 offset1:2
	ds_write2st64_b32 v12, v16, v17 offset0:4 offset1:6
	ds_read2st64_b32 v[16:17], v12 offset0:16 offset1:18
	s_waitcnt lgkmcnt(4)
	v_pk_mul_f32 v[14:15], v[2:3], v[18:19]
	ds_write2st64_b32 v12, v14, v15 offset0:8 offset1:10
	s_waitcnt lgkmcnt(4)
	v_pk_mul_f32 v[14:15], v[2:3], v[22:23]
	ds_write2st64_b32 v12, v14, v15 offset0:12 offset1:14
	ds_read2st64_b32 v[14:15], v12 offset0:20 offset1:22
	s_waitcnt lgkmcnt(3)
	v_pk_mul_f32 v[16:17], v[2:3], v[16:17]
	ds_read2st64_b32 v[18:19], v12 offset0:24 offset1:26
	ds_write2st64_b32 v12, v16, v17 offset0:16 offset1:18
	ds_read2st64_b32 v[16:17], v12 offset0:28 offset1:30
	s_waitcnt lgkmcnt(3)
	v_pk_mul_f32 v[14:15], v[2:3], v[14:15]
	ds_write2st64_b32 v12, v14, v15 offset0:20 offset1:22
	s_waitcnt lgkmcnt(3)
	v_pk_mul_f32 v[14:15], v[2:3], v[18:19]
	ds_write2st64_b32 v12, v14, v15 offset0:24 offset1:26
	s_waitcnt lgkmcnt(2)
	v_pk_mul_f32 v[14:15], v[2:3], v[16:17]
	s_add_i32 s16, s16, 16
	v_cmp_eq_u32_e32 vcc, 0, v9
	ds_write2st64_b32 v12, v14, v15 offset0:28 offset1:30
	v_add_u32_e32 v12, 0x2000, v12
	s_or_b64 s[14:15], vcc, s[14:15]
	v_mov_b32_e32 v13, s16
	s_andn2_b64 exec, exec, s[14:15]
	s_cbranch_execnz .LBB361_189
; %bb.190:
	s_or_b64 exec, exec, s[14:15]
.LBB361_191:
	s_or_b64 exec, exec, s[10:11]
	v_and_b32_e32 v8, 7, v8
	v_cmp_ne_u32_e32 vcc, 0, v8
	s_and_saveexec_b64 s[10:11], vcc
	s_cbranch_execz .LBB361_194
; %bb.192:
	v_lshlrev_b32_e32 v9, 9, v13
	v_lshlrev_b32_e32 v12, 2, v0
	s_movk_i32 s14, 0x90
	v_add3_u32 v9, v9, v12, s14
	s_mov_b64 s[14:15], 0
.LBB361_193:                            ; =>This Inner Loop Header: Depth=1
	ds_read2st64_b32 v[12:13], v9 offset1:2
	v_add_u32_e32 v8, -1, v8
	v_cmp_eq_u32_e32 vcc, 0, v8
	s_or_b64 s[14:15], vcc, s[14:15]
	s_waitcnt lgkmcnt(0)
	v_pk_mul_f32 v[12:13], v[2:3], v[12:13]
	ds_write2st64_b32 v9, v12, v13 offset1:2
	v_add_u32_e32 v9, 0x400, v9
	s_andn2_b64 exec, exec, s[14:15]
	s_cbranch_execnz .LBB361_193
.LBB361_194:
	s_or_b64 exec, exec, s[10:11]
	v_add_u32_e32 v7, 1, v7
	v_and_b32_e32 v8, 0x3fffffe, v7
	v_cmp_ne_u32_e32 vcc, v7, v8
	v_lshl_add_u32 v3, v8, 7, v0
	s_orn2_b64 s[10:11], vcc, exec
.LBB361_195:
	s_or_b64 exec, exec, s[4:5]
	s_and_b64 exec, exec, s[10:11]
	s_cbranch_execz .LBB361_198
; %bb.196:
	v_mov_b32_e32 v7, 0x90
	v_lshl_add_u32 v7, v3, 2, v7
	s_mov_b64 s[4:5], 0
.LBB361_197:                            ; =>This Inner Loop Header: Depth=1
	ds_read_b32 v8, v7
	v_add_u32_e32 v3, 0x80, v3
	v_cmp_le_i32_e32 vcc, s9, v3
	s_or_b64 s[4:5], vcc, s[4:5]
	s_waitcnt lgkmcnt(0)
	v_mul_f32_e32 v8, v2, v8
	ds_write_b32 v7, v8
	v_add_u32_e32 v7, 0x200, v7
	s_andn2_b64 exec, exec, s[4:5]
	s_cbranch_execnz .LBB361_197
.LBB361_198:
	s_or_b64 exec, exec, s[2:3]
	v_cmp_eq_u32_e32 vcc, 0, v0
	s_waitcnt lgkmcnt(0)
	s_barrier
	s_and_saveexec_b64 s[2:3], vcc
	s_cbranch_execz .LBB361_200
; %bb.199:
	s_mul_i32 s4, s27, s24
	s_mul_i32 s4, s4, s25
	s_ashr_i32 s5, s4, 31
	s_lshl_b64 s[4:5], s[4:5], 2
	s_add_u32 s9, s22, s4
	s_mul_i32 s10, s27, s6
	s_addc_u32 s14, s23, s5
	s_ashr_i32 s11, s10, 31
	s_lshl_b64 s[10:11], s[10:11], 2
	s_add_u32 s6, s9, s10
	s_addc_u32 s17, s14, s11
	s_ashr_i32 s9, s8, 31
	s_lshl_b64 s[14:15], s[8:9], 2
	s_add_u32 s16, s6, s14
	s_addc_u32 s17, s17, s15
	s_add_u32 s4, s20, s4
	s_addc_u32 s5, s21, s5
	;; [unrolled: 2-line block ×3, first 2 shown]
	s_add_u32 s4, s4, s14
	v_mov_b32_e32 v2, 0
	s_addc_u32 s5, s5, s15
	global_store_dword v2, v4, s[16:17]
	global_store_dword v2, v6, s[4:5]
.LBB361_200:
	s_or_b64 exec, exec, s[2:3]
	v_mov_b32_e32 v17, 0
	v_and_b32_e32 v21, 1, v0
	v_mov_b32_e32 v16, v17
	s_and_saveexec_b64 s[2:3], s[0:1]
	s_cbranch_execz .LBB361_464
; %bb.201:
	v_lshlrev_b32_e32 v2, 3, v0
	s_ashr_i32 s0, s12, 31
	v_and_b32_e32 v3, 8, v2
	s_add_u32 s1, s36, s12
	v_and_b32_e32 v2, 0x1f8, v2
	s_addc_u32 s0, s37, s0
	v_add_co_u32_e32 v14, vcc, s1, v2
	v_lshl_add_u32 v2, v5, 4, s45
	s_load_dword s16, s[18:19], 0x0
	s_add_i32 s17, s7, -1
	v_mov_b32_e32 v4, s0
	v_add3_u32 v22, v2, v3, 7
	v_lshlrev_b32_e32 v2, 5, v21
	s_lshl_b64 s[0:1], s[34:35], 2
	v_lshl_or_b32 v2, v5, 6, v2
	s_add_u32 s0, s30, s0
	v_addc_co_u32_e32 v15, vcc, 0, v4, vcc
	v_add_u32_e32 v23, 0x90, v2
	v_lshlrev_b64 v[2:3], 2, v[10:11]
	s_addc_u32 s1, s31, s1
	s_mov_b32 s4, -1
	v_mov_b32_e32 v13, 0
	v_mov_b32_e32 v4, s1
	v_add_co_u32_e32 v18, vcc, s0, v2
	s_mov_b32 s9, s13
	s_mov_b32 s5, 0xffffff
	v_addc_co_u32_e32 v19, vcc, v4, v3, vcc
	s_mov_b64 s[6:7], 0
	s_mov_b32 s18, 0x7f800000
	s_movk_i32 s19, 0x7fff
	s_movk_i32 s20, 0x80
	;; [unrolled: 1-line block ×3, first 2 shown]
	v_bfrev_b32_e32 v11, 60
	v_mov_b32_e32 v16, v13
	v_mov_b32_e32 v17, v13
	s_branch .LBB361_203
.LBB361_202:                            ;   in Loop: Header=BB361_203 Depth=1
	s_or_b64 exec, exec, s[0:1]
	v_and_b32_e32 v30, 0xffff0000, v24
	v_and_b32_e32 v24, 0xffff0000, v9
	;; [unrolled: 1-line block ×6, first 2 shown]
	v_pk_add_f32 v[6:7], v[6:7], v[8:9]
	v_and_b32_e32 v31, 0xffff0000, v33
	v_and_b32_e32 v25, 0xffff0000, v25
	v_mov_b32_e32 v8, v7
	v_pk_add_f32 v[6:7], v[6:7], v[8:9]
	v_pk_add_f32 v[8:9], v[24:25], v[30:31]
	;; [unrolled: 1-line block ×3, first 2 shown]
	v_mov_b32_e32 v8, v9
	v_pk_add_f32 v[6:7], v[6:7], v[8:9]
	v_and_b32_e32 v9, 0xffff0000, v3
	v_and_b32_e32 v5, 0xffff0000, v27
	;; [unrolled: 1-line block ×5, first 2 shown]
	v_pk_add_f32 v[2:3], v[2:3], v[4:5]
	v_and_b32_e32 v8, 0xffff0000, v29
	v_and_b32_e32 v25, 0xffff0000, v12
	;; [unrolled: 1-line block ×3, first 2 shown]
	v_mov_b32_e32 v4, v3
	v_pk_add_f32 v[2:3], v[2:3], v[4:5]
	v_pk_add_f32 v[4:5], v[24:25], v[8:9]
	;; [unrolled: 1-line block ×3, first 2 shown]
	v_mov_b32_e32 v4, v5
	v_pk_add_f32 v[2:3], v[2:3], v[4:5]
	v_add_u32_e32 v10, 2, v10
	v_mov_b32_e32 v3, v2
	v_cmp_le_i32_e32 vcc, s44, v10
	v_pk_add_f32 v[6:7], v[16:17], v[6:7]
	v_pk_add_f32 v[16:17], v[16:17], v[2:3]
	s_or_b64 s[6:7], vcc, s[6:7]
	v_add_co_u32_e32 v18, vcc, 8, v18
	v_mov_b32_e32 v16, v6
	v_add_u32_e32 v22, 32, v22
	v_add_u32_e32 v23, 0x80, v23
	v_addc_co_u32_e32 v19, vcc, 0, v19, vcc
	s_andn2_b64 exec, exec, s[6:7]
	s_cbranch_execz .LBB361_463
.LBB361_203:                            ; =>This Inner Loop Header: Depth=1
	global_load_dword v12, v[18:19], off
	ds_read2_b64 v[6:9], v23 offset1:1
	ds_read2_b64 v[2:5], v23 offset0:2 offset1:3
                                        ; implicit-def: $vgpr34
	s_waitcnt lgkmcnt(0)
	v_and_b32_e32 v24, 0x7f800000, v6
	v_cmp_ne_u32_e32 vcc, s18, v24
	s_and_saveexec_b64 s[0:1], vcc
	s_xor_b64 s[0:1], exec, s[0:1]
; %bb.204:                              ;   in Loop: Header=BB361_203 Depth=1
	v_bfe_u32 v24, v6, 16, 1
	v_add3_u32 v34, v6, v24, s19
; %bb.205:                              ;   in Loop: Header=BB361_203 Depth=1
	s_andn2_saveexec_b64 s[0:1], s[0:1]
; %bb.206:                              ;   in Loop: Header=BB361_203 Depth=1
	v_or_b32_e32 v24, 0x10000, v6
	v_cmp_eq_u32_sdwa vcc, v6, v13 src0_sel:WORD_0 src1_sel:DWORD
	v_cndmask_b32_e32 v34, v24, v6, vcc
; %bb.207:                              ;   in Loop: Header=BB361_203 Depth=1
	s_or_b64 exec, exec, s[0:1]
	v_and_b32_e32 v6, 0x7f800000, v7
	v_cmp_ne_u32_e32 vcc, s18, v6
                                        ; implicit-def: $vgpr35
	s_and_saveexec_b64 s[0:1], vcc
	s_xor_b64 s[0:1], exec, s[0:1]
; %bb.208:                              ;   in Loop: Header=BB361_203 Depth=1
	v_bfe_u32 v6, v7, 16, 1
	v_add3_u32 v35, v7, v6, s19
; %bb.209:                              ;   in Loop: Header=BB361_203 Depth=1
	s_andn2_saveexec_b64 s[0:1], s[0:1]
; %bb.210:                              ;   in Loop: Header=BB361_203 Depth=1
	v_or_b32_e32 v6, 0x10000, v7
	v_cmp_eq_u32_sdwa vcc, v7, v13 src0_sel:WORD_0 src1_sel:DWORD
	v_cndmask_b32_e32 v35, v6, v7, vcc
; %bb.211:                              ;   in Loop: Header=BB361_203 Depth=1
	s_or_b64 exec, exec, s[0:1]
	v_and_b32_e32 v6, 0x7f800000, v8
	v_cmp_ne_u32_e32 vcc, s18, v6
                                        ; implicit-def: $vgpr36
	s_and_saveexec_b64 s[0:1], vcc
	s_xor_b64 s[0:1], exec, s[0:1]
; %bb.212:                              ;   in Loop: Header=BB361_203 Depth=1
	v_bfe_u32 v6, v8, 16, 1
	v_add3_u32 v36, v8, v6, s19
; %bb.213:                              ;   in Loop: Header=BB361_203 Depth=1
	s_andn2_saveexec_b64 s[0:1], s[0:1]
; %bb.214:                              ;   in Loop: Header=BB361_203 Depth=1
	v_or_b32_e32 v6, 0x10000, v8
	v_cmp_eq_u32_sdwa vcc, v8, v13 src0_sel:WORD_0 src1_sel:DWORD
	v_cndmask_b32_e32 v36, v6, v8, vcc
; %bb.215:                              ;   in Loop: Header=BB361_203 Depth=1
	s_or_b64 exec, exec, s[0:1]
	v_and_b32_e32 v6, 0x7f800000, v9
	v_cmp_ne_u32_e32 vcc, s18, v6
                                        ; implicit-def: $vgpr37
	s_and_saveexec_b64 s[0:1], vcc
	s_xor_b64 s[0:1], exec, s[0:1]
; %bb.216:                              ;   in Loop: Header=BB361_203 Depth=1
	v_bfe_u32 v6, v9, 16, 1
	v_add3_u32 v37, v9, v6, s19
                                        ; implicit-def: $vgpr6_vgpr7_vgpr8_vgpr9
; %bb.217:                              ;   in Loop: Header=BB361_203 Depth=1
	s_andn2_saveexec_b64 s[0:1], s[0:1]
; %bb.218:                              ;   in Loop: Header=BB361_203 Depth=1
	v_or_b32_e32 v6, 0x10000, v9
	v_cmp_eq_u32_sdwa vcc, v9, v13 src0_sel:WORD_0 src1_sel:DWORD
	v_cndmask_b32_e32 v37, v6, v9, vcc
; %bb.219:                              ;   in Loop: Header=BB361_203 Depth=1
	s_or_b64 exec, exec, s[0:1]
	v_and_b32_e32 v6, 0x7f800000, v2
	v_cmp_ne_u32_e32 vcc, s18, v6
                                        ; implicit-def: $vgpr9
	s_and_saveexec_b64 s[0:1], vcc
	s_xor_b64 s[0:1], exec, s[0:1]
; %bb.220:                              ;   in Loop: Header=BB361_203 Depth=1
	v_bfe_u32 v6, v2, 16, 1
	v_add3_u32 v9, v2, v6, s19
; %bb.221:                              ;   in Loop: Header=BB361_203 Depth=1
	s_andn2_saveexec_b64 s[0:1], s[0:1]
; %bb.222:                              ;   in Loop: Header=BB361_203 Depth=1
	v_or_b32_e32 v6, 0x10000, v2
	v_cmp_eq_u32_sdwa vcc, v2, v13 src0_sel:WORD_0 src1_sel:DWORD
	v_cndmask_b32_e32 v9, v6, v2, vcc
; %bb.223:                              ;   in Loop: Header=BB361_203 Depth=1
	s_or_b64 exec, exec, s[0:1]
	v_and_b32_e32 v2, 0x7f800000, v3
	v_cmp_ne_u32_e32 vcc, s18, v2
                                        ; implicit-def: $vgpr24
	s_and_saveexec_b64 s[0:1], vcc
	s_xor_b64 s[0:1], exec, s[0:1]
; %bb.224:                              ;   in Loop: Header=BB361_203 Depth=1
	v_bfe_u32 v2, v3, 16, 1
	v_add3_u32 v24, v3, v2, s19
; %bb.225:                              ;   in Loop: Header=BB361_203 Depth=1
	s_andn2_saveexec_b64 s[0:1], s[0:1]
; %bb.226:                              ;   in Loop: Header=BB361_203 Depth=1
	v_or_b32_e32 v2, 0x10000, v3
	v_cmp_eq_u32_sdwa vcc, v3, v13 src0_sel:WORD_0 src1_sel:DWORD
	v_cndmask_b32_e32 v24, v2, v3, vcc
; %bb.227:                              ;   in Loop: Header=BB361_203 Depth=1
	s_or_b64 exec, exec, s[0:1]
	v_and_b32_e32 v2, 0x7f800000, v4
	v_cmp_ne_u32_e32 vcc, s18, v2
                                        ; implicit-def: $vgpr25
	s_and_saveexec_b64 s[0:1], vcc
	s_xor_b64 s[0:1], exec, s[0:1]
; %bb.228:                              ;   in Loop: Header=BB361_203 Depth=1
	v_bfe_u32 v2, v4, 16, 1
	v_add3_u32 v25, v4, v2, s19
; %bb.229:                              ;   in Loop: Header=BB361_203 Depth=1
	s_andn2_saveexec_b64 s[0:1], s[0:1]
; %bb.230:                              ;   in Loop: Header=BB361_203 Depth=1
	v_or_b32_e32 v2, 0x10000, v4
	v_cmp_eq_u32_sdwa vcc, v4, v13 src0_sel:WORD_0 src1_sel:DWORD
	v_cndmask_b32_e32 v25, v2, v4, vcc
; %bb.231:                              ;   in Loop: Header=BB361_203 Depth=1
	s_or_b64 exec, exec, s[0:1]
	v_and_b32_e32 v2, 0x7f800000, v5
	v_cmp_ne_u32_e32 vcc, s18, v2
                                        ; implicit-def: $vgpr33
	s_and_saveexec_b64 s[0:1], vcc
	s_xor_b64 s[0:1], exec, s[0:1]
; %bb.232:                              ;   in Loop: Header=BB361_203 Depth=1
	v_bfe_u32 v2, v5, 16, 1
	v_add3_u32 v33, v5, v2, s19
                                        ; implicit-def: $vgpr2_vgpr3_vgpr4_vgpr5
; %bb.233:                              ;   in Loop: Header=BB361_203 Depth=1
	s_andn2_saveexec_b64 s[0:1], s[0:1]
; %bb.234:                              ;   in Loop: Header=BB361_203 Depth=1
	v_or_b32_e32 v2, 0x10000, v5
	v_cmp_eq_u32_sdwa vcc, v5, v13 src0_sel:WORD_0 src1_sel:DWORD
	v_cndmask_b32_e32 v33, v2, v5, vcc
; %bb.235:                              ;   in Loop: Header=BB361_203 Depth=1
	s_or_b64 exec, exec, s[0:1]
	s_waitcnt vmcnt(0)
	v_mad_i64_i32 v[2:3], s[0:1], v12, s9, v[14:15]
	global_load_dwordx2 v[4:5], v[2:3], off
	v_mov_b32_e32 v6, 0
	s_waitcnt vmcnt(0)
	v_cmp_ne_u16_sdwa s[10:11], v4, v13 src0_sel:BYTE_0 src1_sel:DWORD
	s_and_saveexec_b64 s[0:1], s[10:11]
	s_cbranch_execz .LBB361_241
; %bb.236:                              ;   in Loop: Header=BB361_203 Depth=1
	v_cmp_ne_u16_sdwa s[12:13], v4, s20 src0_sel:BYTE_0 src1_sel:DWORD
	v_bfrev_b32_e32 v6, 1
	s_and_saveexec_b64 s[10:11], s[12:13]
	s_cbranch_execz .LBB361_240
; %bb.237:                              ;   in Loop: Header=BB361_203 Depth=1
	v_and_b32_e32 v7, 0x7f, v4
	v_cmp_ne_u32_e32 vcc, s21, v7
	v_mov_b32_e32 v6, 0x7f800001
	s_and_saveexec_b64 s[12:13], vcc
	s_cbranch_execz .LBB361_239
; %bb.238:                              ;   in Loop: Header=BB361_203 Depth=1
	v_and_b32_e32 v6, 7, v4
	v_ffbh_u32_e32 v6, v6
	v_min_u32_e32 v6, 32, v6
	v_lshrrev_b32_e32 v8, 3, v7
	v_subrev_u32_e32 v12, 28, v6
	v_sub_u32_e32 v6, 29, v6
	v_cmp_gt_u32_e32 vcc, 8, v7
	v_cndmask_b32_e32 v8, v8, v6, vcc
	v_cndmask_b32_e32 v6, 0, v12, vcc
	v_lshlrev_b64 v[6:7], v6, v[4:5]
	v_lshlrev_b32_e32 v6, 20, v6
	v_lshlrev_b32_e32 v7, 24, v4
	v_and_b32_e32 v6, 0x700000, v6
	v_and_b32_e32 v7, 0x80000000, v7
	v_lshl_add_u32 v8, v8, 23, v11
	v_or3_b32 v6, v7, v8, v6
.LBB361_239:                            ;   in Loop: Header=BB361_203 Depth=1
	s_or_b64 exec, exec, s[12:13]
.LBB361_240:                            ;   in Loop: Header=BB361_203 Depth=1
	s_or_b64 exec, exec, s[10:11]
.LBB361_241:                            ;   in Loop: Header=BB361_203 Depth=1
	s_or_b64 exec, exec, s[0:1]
	v_mul_f32_e32 v6, s16, v6
	v_and_b32_e32 v7, 0x7f800000, v6
	v_cmp_ne_u32_e32 vcc, s18, v7
                                        ; implicit-def: $vgpr7
	s_and_saveexec_b64 s[0:1], vcc
	s_xor_b64 s[0:1], exec, s[0:1]
; %bb.242:                              ;   in Loop: Header=BB361_203 Depth=1
	v_bfe_u32 v7, v6, 16, 1
	v_add3_u32 v7, v6, v7, s19
                                        ; implicit-def: $vgpr6
; %bb.243:                              ;   in Loop: Header=BB361_203 Depth=1
	s_andn2_saveexec_b64 s[0:1], s[0:1]
; %bb.244:                              ;   in Loop: Header=BB361_203 Depth=1
	v_or_b32_e32 v7, 0x10000, v6
	v_cmp_eq_u32_sdwa vcc, v6, v13 src0_sel:WORD_0 src1_sel:DWORD
	v_cndmask_b32_e32 v7, v7, v6, vcc
; %bb.245:                              ;   in Loop: Header=BB361_203 Depth=1
	s_or_b64 exec, exec, s[0:1]
	v_lshrrev_b16_e32 v6, 8, v4
	v_cmp_ne_u16_e32 vcc, 0, v6
	v_mov_b32_e32 v8, 0
	s_and_saveexec_b64 s[0:1], vcc
	s_cbranch_execz .LBB361_251
; %bb.246:                              ;   in Loop: Header=BB361_203 Depth=1
	v_cmp_ne_u16_e32 vcc, s20, v6
	v_bfrev_b32_e32 v8, 1
	s_and_saveexec_b64 s[10:11], vcc
	s_cbranch_execz .LBB361_250
; %bb.247:                              ;   in Loop: Header=BB361_203 Depth=1
	v_and_b32_e32 v12, 0x7f, v6
	v_cmp_ne_u32_e32 vcc, s21, v12
	v_mov_b32_e32 v8, 0x7f800001
	s_and_saveexec_b64 s[12:13], vcc
	s_cbranch_execz .LBB361_249
; %bb.248:                              ;   in Loop: Header=BB361_203 Depth=1
	v_and_b32_e32 v8, 7, v6
	v_ffbh_u32_e32 v26, v8
	v_min_u32_e32 v29, 32, v26
	v_subrev_u32_e32 v26, 28, v29
	v_lshlrev_b64 v[26:27], v26, v[6:7]
	v_lshrrev_b32_e32 v28, 3, v12
	v_sub_u32_e32 v6, 29, v29
	v_and_b32_e32 v26, 7, v26
	v_cmp_gt_u32_e32 vcc, 8, v12
	v_cndmask_b32_e32 v6, v28, v6, vcc
	v_cndmask_b32_e32 v8, v8, v26, vcc
	v_lshlrev_b32_e32 v12, 16, v4
	v_lshlrev_b32_e32 v8, 20, v8
	v_and_b32_e32 v12, 0x80000000, v12
	v_lshl_add_u32 v6, v6, 23, v11
	v_or3_b32 v8, v12, v6, v8
.LBB361_249:                            ;   in Loop: Header=BB361_203 Depth=1
	s_or_b64 exec, exec, s[12:13]
.LBB361_250:                            ;   in Loop: Header=BB361_203 Depth=1
	s_or_b64 exec, exec, s[10:11]
.LBB361_251:                            ;   in Loop: Header=BB361_203 Depth=1
	s_or_b64 exec, exec, s[0:1]
	v_mul_f32_e32 v6, s16, v8
	v_and_b32_e32 v8, 0x7f800000, v6
	v_cmp_ne_u32_e32 vcc, s18, v8
                                        ; implicit-def: $vgpr8
	s_and_saveexec_b64 s[0:1], vcc
	s_xor_b64 s[0:1], exec, s[0:1]
; %bb.252:                              ;   in Loop: Header=BB361_203 Depth=1
	v_bfe_u32 v8, v6, 16, 1
	v_add3_u32 v8, v6, v8, s19
                                        ; implicit-def: $vgpr6
; %bb.253:                              ;   in Loop: Header=BB361_203 Depth=1
	s_andn2_saveexec_b64 s[0:1], s[0:1]
; %bb.254:                              ;   in Loop: Header=BB361_203 Depth=1
	v_or_b32_e32 v8, 0x10000, v6
	v_cmp_eq_u32_sdwa vcc, v6, v13 src0_sel:WORD_0 src1_sel:DWORD
	v_cndmask_b32_e32 v8, v8, v6, vcc
; %bb.255:                              ;   in Loop: Header=BB361_203 Depth=1
	s_or_b64 exec, exec, s[0:1]
	v_lshrrev_b32_e32 v6, 16, v4
	v_cmp_ne_u16_sdwa s[10:11], v6, v13 src0_sel:BYTE_0 src1_sel:DWORD
	v_mov_b32_e32 v12, 0
	s_and_saveexec_b64 s[0:1], s[10:11]
	s_cbranch_execz .LBB361_261
; %bb.256:                              ;   in Loop: Header=BB361_203 Depth=1
	v_cmp_ne_u16_sdwa s[12:13], v6, s20 src0_sel:BYTE_0 src1_sel:DWORD
	v_bfrev_b32_e32 v12, 1
	s_and_saveexec_b64 s[10:11], s[12:13]
	s_cbranch_execz .LBB361_260
; %bb.257:                              ;   in Loop: Header=BB361_203 Depth=1
	v_bfe_u32 v26, v4, 16, 7
	v_cmp_ne_u32_e32 vcc, s21, v26
	v_mov_b32_e32 v12, 0x7f800001
	s_and_saveexec_b64 s[12:13], vcc
	s_cbranch_execz .LBB361_259
; %bb.258:                              ;   in Loop: Header=BB361_203 Depth=1
	v_and_b32_e32 v12, 7, v6
	v_ffbh_u32_e32 v28, v12
	v_min_u32_e32 v30, 32, v28
	v_subrev_u32_e32 v28, 28, v30
	v_lshlrev_b64 v[28:29], v28, v[6:7]
	v_lshrrev_b32_e32 v27, 3, v26
	v_sub_u32_e32 v29, 29, v30
	v_and_b32_e32 v28, 7, v28
	v_cmp_gt_u32_e32 vcc, 8, v26
	v_cndmask_b32_e32 v26, v27, v29, vcc
	v_cndmask_b32_e32 v12, v12, v28, vcc
	v_lshlrev_b32_e32 v6, 24, v6
	v_lshlrev_b32_e32 v12, 20, v12
	v_and_b32_e32 v6, 0x80000000, v6
	v_lshl_add_u32 v26, v26, 23, v11
	v_or3_b32 v12, v6, v26, v12
.LBB361_259:                            ;   in Loop: Header=BB361_203 Depth=1
	s_or_b64 exec, exec, s[12:13]
.LBB361_260:                            ;   in Loop: Header=BB361_203 Depth=1
	s_or_b64 exec, exec, s[10:11]
.LBB361_261:                            ;   in Loop: Header=BB361_203 Depth=1
	s_or_b64 exec, exec, s[0:1]
	v_mul_f32_e32 v6, s16, v12
	v_and_b32_e32 v12, 0x7f800000, v6
	v_cmp_ne_u32_e32 vcc, s18, v12
                                        ; implicit-def: $vgpr27
	s_and_saveexec_b64 s[0:1], vcc
	s_xor_b64 s[0:1], exec, s[0:1]
; %bb.262:                              ;   in Loop: Header=BB361_203 Depth=1
	v_bfe_u32 v12, v6, 16, 1
	v_add3_u32 v27, v6, v12, s19
                                        ; implicit-def: $vgpr6
; %bb.263:                              ;   in Loop: Header=BB361_203 Depth=1
	s_andn2_saveexec_b64 s[0:1], s[0:1]
; %bb.264:                              ;   in Loop: Header=BB361_203 Depth=1
	v_or_b32_e32 v12, 0x10000, v6
	v_cmp_eq_u32_sdwa vcc, v6, v13 src0_sel:WORD_0 src1_sel:DWORD
	v_cndmask_b32_e32 v27, v12, v6, vcc
; %bb.265:                              ;   in Loop: Header=BB361_203 Depth=1
	s_or_b64 exec, exec, s[0:1]
	v_cmp_lt_u32_e32 vcc, s5, v4
	v_mov_b32_e32 v12, 0
	s_and_saveexec_b64 s[0:1], vcc
	s_cbranch_execz .LBB361_271
; %bb.266:                              ;   in Loop: Header=BB361_203 Depth=1
	v_lshrrev_b32_e32 v6, 24, v4
	v_cmp_ne_u32_e32 vcc, s20, v6
	v_bfrev_b32_e32 v12, 1
	s_and_saveexec_b64 s[10:11], vcc
	s_cbranch_execz .LBB361_270
; %bb.267:                              ;   in Loop: Header=BB361_203 Depth=1
	v_bfe_u32 v26, v4, 24, 7
	v_cmp_ne_u32_e32 vcc, s21, v26
	v_mov_b32_e32 v12, 0x7f800001
	s_and_saveexec_b64 s[12:13], vcc
	s_cbranch_execz .LBB361_269
; %bb.268:                              ;   in Loop: Header=BB361_203 Depth=1
	v_and_b32_e32 v12, 7, v6
	v_ffbh_u32_e32 v28, v12
	v_min_u32_e32 v31, 32, v28
	v_subrev_u32_e32 v28, 28, v31
	v_lshlrev_b64 v[28:29], v28, v[6:7]
	v_lshrrev_b32_e32 v30, 3, v26
	v_sub_u32_e32 v29, 29, v31
	v_and_b32_e32 v28, 7, v28
	v_cmp_gt_u32_e32 vcc, 8, v26
	v_cndmask_b32_e32 v26, v30, v29, vcc
	v_cndmask_b32_e32 v12, v12, v28, vcc
	v_lshlrev_b32_e32 v6, 24, v6
	v_lshlrev_b32_e32 v12, 20, v12
	v_and_b32_e32 v6, 0x80000000, v6
	v_lshl_add_u32 v26, v26, 23, v11
	v_or3_b32 v12, v6, v26, v12
.LBB361_269:                            ;   in Loop: Header=BB361_203 Depth=1
	s_or_b64 exec, exec, s[12:13]
.LBB361_270:                            ;   in Loop: Header=BB361_203 Depth=1
	s_or_b64 exec, exec, s[10:11]
.LBB361_271:                            ;   in Loop: Header=BB361_203 Depth=1
	s_or_b64 exec, exec, s[0:1]
	v_mul_f32_e32 v6, s16, v12
	v_and_b32_e32 v12, 0x7f800000, v6
	v_cmp_ne_u32_e32 vcc, s18, v12
                                        ; implicit-def: $vgpr28
	s_and_saveexec_b64 s[0:1], vcc
	s_xor_b64 s[0:1], exec, s[0:1]
; %bb.272:                              ;   in Loop: Header=BB361_203 Depth=1
	v_bfe_u32 v12, v6, 16, 1
	v_add3_u32 v28, v6, v12, s19
                                        ; implicit-def: $vgpr6
; %bb.273:                              ;   in Loop: Header=BB361_203 Depth=1
	s_andn2_saveexec_b64 s[0:1], s[0:1]
; %bb.274:                              ;   in Loop: Header=BB361_203 Depth=1
	v_or_b32_e32 v12, 0x10000, v6
	v_cmp_eq_u32_sdwa vcc, v6, v13 src0_sel:WORD_0 src1_sel:DWORD
	v_cndmask_b32_e32 v28, v12, v6, vcc
; %bb.275:                              ;   in Loop: Header=BB361_203 Depth=1
	s_or_b64 exec, exec, s[0:1]
	v_mov_b32_e32 v12, v5
	v_cmp_ne_u16_sdwa s[10:11], v5, v13 src0_sel:BYTE_0 src1_sel:DWORD
	v_mov_b32_e32 v6, 0
	s_and_saveexec_b64 s[0:1], s[10:11]
	s_cbranch_execz .LBB361_281
; %bb.276:                              ;   in Loop: Header=BB361_203 Depth=1
	v_cmp_ne_u16_sdwa s[12:13], v5, s20 src0_sel:BYTE_0 src1_sel:DWORD
	v_bfrev_b32_e32 v6, 1
	s_and_saveexec_b64 s[10:11], s[12:13]
	s_cbranch_execz .LBB361_280
; %bb.277:                              ;   in Loop: Header=BB361_203 Depth=1
	v_and_b32_e32 v26, 0x7f, v5
	v_cmp_ne_u32_e32 vcc, s21, v26
	v_mov_b32_e32 v6, 0x7f800001
	s_and_saveexec_b64 s[12:13], vcc
	s_cbranch_execz .LBB361_279
; %bb.278:                              ;   in Loop: Header=BB361_203 Depth=1
	v_and_b32_e32 v6, 7, v5
	v_ffbh_u32_e32 v6, v6
	v_min_u32_e32 v6, 32, v6
	v_subrev_u32_e32 v30, 28, v6
	v_cmp_gt_u32_e32 vcc, 8, v26
	v_lshrrev_b32_e32 v29, 3, v26
	v_cndmask_b32_e32 v26, 0, v30, vcc
	v_sub_u32_e32 v6, 29, v6
	v_lshlrev_b64 v[30:31], v26, v[12:13]
	v_cndmask_b32_e32 v6, v29, v6, vcc
	v_lshlrev_b32_e32 v26, 20, v30
	v_lshlrev_b32_e32 v29, 24, v12
	v_and_b32_e32 v26, 0x700000, v26
	v_and_b32_e32 v29, 0x80000000, v29
	v_lshl_add_u32 v6, v6, 23, v11
	v_or3_b32 v6, v29, v6, v26
.LBB361_279:                            ;   in Loop: Header=BB361_203 Depth=1
	s_or_b64 exec, exec, s[12:13]
.LBB361_280:                            ;   in Loop: Header=BB361_203 Depth=1
	s_or_b64 exec, exec, s[10:11]
.LBB361_281:                            ;   in Loop: Header=BB361_203 Depth=1
	s_or_b64 exec, exec, s[0:1]
	v_mul_f32_e32 v6, s16, v6
	v_and_b32_e32 v26, 0x7f800000, v6
	v_cmp_ne_u32_e32 vcc, s18, v26
                                        ; implicit-def: $vgpr29
	s_and_saveexec_b64 s[0:1], vcc
	s_xor_b64 s[0:1], exec, s[0:1]
; %bb.282:                              ;   in Loop: Header=BB361_203 Depth=1
	v_bfe_u32 v26, v6, 16, 1
	v_add3_u32 v29, v6, v26, s19
                                        ; implicit-def: $vgpr6
; %bb.283:                              ;   in Loop: Header=BB361_203 Depth=1
	s_andn2_saveexec_b64 s[0:1], s[0:1]
; %bb.284:                              ;   in Loop: Header=BB361_203 Depth=1
	v_or_b32_e32 v26, 0x10000, v6
	v_cmp_eq_u32_sdwa vcc, v6, v13 src0_sel:WORD_0 src1_sel:DWORD
	v_cndmask_b32_e32 v29, v26, v6, vcc
; %bb.285:                              ;   in Loop: Header=BB361_203 Depth=1
	s_or_b64 exec, exec, s[0:1]
	v_lshrrev_b16_e32 v6, 8, v12
	v_cmp_ne_u16_e32 vcc, 0, v6
	v_mov_b32_e32 v26, 0
	s_and_saveexec_b64 s[0:1], vcc
	s_cbranch_execz .LBB361_291
; %bb.286:                              ;   in Loop: Header=BB361_203 Depth=1
	v_cmp_ne_u16_e32 vcc, s20, v6
	v_bfrev_b32_e32 v26, 1
	s_and_saveexec_b64 s[10:11], vcc
	s_cbranch_execz .LBB361_290
; %bb.287:                              ;   in Loop: Header=BB361_203 Depth=1
	v_and_b32_e32 v30, 0x7f, v6
	v_cmp_ne_u32_e32 vcc, s21, v30
	v_mov_b32_e32 v26, 0x7f800001
	s_and_saveexec_b64 s[12:13], vcc
	s_cbranch_execz .LBB361_289
; %bb.288:                              ;   in Loop: Header=BB361_203 Depth=1
	v_and_b32_e32 v26, 7, v6
	v_ffbh_u32_e32 v32, v26
	v_min_u32_e32 v32, 32, v32
	v_subrev_u32_e32 v38, 28, v32
	v_lshlrev_b64 v[38:39], v38, v[6:7]
	v_lshrrev_b32_e32 v31, 3, v30
	v_sub_u32_e32 v6, 29, v32
	v_and_b32_e32 v32, 7, v38
	v_cmp_gt_u32_e32 vcc, 8, v30
	v_cndmask_b32_e32 v6, v31, v6, vcc
	v_cndmask_b32_e32 v26, v26, v32, vcc
	v_lshlrev_b32_e32 v12, 16, v12
	v_lshlrev_b32_e32 v26, 20, v26
	v_and_b32_e32 v12, 0x80000000, v12
	v_lshl_add_u32 v6, v6, 23, v11
	v_or3_b32 v26, v12, v6, v26
.LBB361_289:                            ;   in Loop: Header=BB361_203 Depth=1
	s_or_b64 exec, exec, s[12:13]
.LBB361_290:                            ;   in Loop: Header=BB361_203 Depth=1
	s_or_b64 exec, exec, s[10:11]
.LBB361_291:                            ;   in Loop: Header=BB361_203 Depth=1
	s_or_b64 exec, exec, s[0:1]
	v_mul_f32_e32 v6, s16, v26
	v_and_b32_e32 v12, 0x7f800000, v6
	v_cmp_ne_u32_e32 vcc, s18, v12
                                        ; implicit-def: $vgpr12
	s_and_saveexec_b64 s[0:1], vcc
	s_xor_b64 s[0:1], exec, s[0:1]
; %bb.292:                              ;   in Loop: Header=BB361_203 Depth=1
	v_bfe_u32 v12, v6, 16, 1
	v_add3_u32 v12, v6, v12, s19
                                        ; implicit-def: $vgpr6
; %bb.293:                              ;   in Loop: Header=BB361_203 Depth=1
	s_andn2_saveexec_b64 s[0:1], s[0:1]
; %bb.294:                              ;   in Loop: Header=BB361_203 Depth=1
	v_or_b32_e32 v12, 0x10000, v6
	v_cmp_eq_u32_sdwa vcc, v6, v13 src0_sel:WORD_0 src1_sel:DWORD
	v_cndmask_b32_e32 v12, v12, v6, vcc
; %bb.295:                              ;   in Loop: Header=BB361_203 Depth=1
	s_or_b64 exec, exec, s[0:1]
	v_lshrrev_b32_e32 v6, 16, v5
	v_cmp_ne_u16_sdwa s[10:11], v6, v13 src0_sel:BYTE_0 src1_sel:DWORD
	v_mov_b32_e32 v26, 0
	s_and_saveexec_b64 s[0:1], s[10:11]
	s_cbranch_execz .LBB361_301
; %bb.296:                              ;   in Loop: Header=BB361_203 Depth=1
	v_cmp_ne_u16_sdwa s[12:13], v6, s20 src0_sel:BYTE_0 src1_sel:DWORD
	v_bfrev_b32_e32 v26, 1
	s_and_saveexec_b64 s[10:11], s[12:13]
	s_cbranch_execz .LBB361_300
; %bb.297:                              ;   in Loop: Header=BB361_203 Depth=1
	v_bfe_u32 v30, v5, 16, 7
	v_cmp_ne_u32_e32 vcc, s21, v30
	v_mov_b32_e32 v26, 0x7f800001
	s_and_saveexec_b64 s[12:13], vcc
	s_cbranch_execz .LBB361_299
; %bb.298:                              ;   in Loop: Header=BB361_203 Depth=1
	v_and_b32_e32 v26, 7, v6
	v_ffbh_u32_e32 v32, v26
	v_min_u32_e32 v32, 32, v32
	v_subrev_u32_e32 v38, 28, v32
	v_lshlrev_b64 v[38:39], v38, v[6:7]
	v_lshrrev_b32_e32 v31, 3, v30
	v_sub_u32_e32 v32, 29, v32
	v_and_b32_e32 v38, 7, v38
	v_cmp_gt_u32_e32 vcc, 8, v30
	v_cndmask_b32_e32 v30, v31, v32, vcc
	v_cndmask_b32_e32 v26, v26, v38, vcc
	v_lshlrev_b32_e32 v6, 24, v6
	v_lshlrev_b32_e32 v26, 20, v26
	v_and_b32_e32 v6, 0x80000000, v6
	v_lshl_add_u32 v30, v30, 23, v11
	v_or3_b32 v26, v6, v30, v26
.LBB361_299:                            ;   in Loop: Header=BB361_203 Depth=1
	s_or_b64 exec, exec, s[12:13]
.LBB361_300:                            ;   in Loop: Header=BB361_203 Depth=1
	s_or_b64 exec, exec, s[10:11]
.LBB361_301:                            ;   in Loop: Header=BB361_203 Depth=1
	s_or_b64 exec, exec, s[0:1]
	v_mul_f32_e32 v26, s16, v26
	v_and_b32_e32 v6, 0x7f800000, v26
	v_cmp_ne_u32_e32 vcc, s18, v6
                                        ; implicit-def: $vgpr6
	s_and_saveexec_b64 s[0:1], vcc
	s_xor_b64 s[0:1], exec, s[0:1]
; %bb.302:                              ;   in Loop: Header=BB361_203 Depth=1
	v_bfe_u32 v6, v26, 16, 1
	v_add3_u32 v6, v26, v6, s19
                                        ; implicit-def: $vgpr26
; %bb.303:                              ;   in Loop: Header=BB361_203 Depth=1
	s_andn2_saveexec_b64 s[0:1], s[0:1]
; %bb.304:                              ;   in Loop: Header=BB361_203 Depth=1
	v_or_b32_e32 v6, 0x10000, v26
	v_cmp_eq_u32_sdwa vcc, v26, v13 src0_sel:WORD_0 src1_sel:DWORD
	v_cndmask_b32_e32 v6, v6, v26, vcc
; %bb.305:                              ;   in Loop: Header=BB361_203 Depth=1
	s_or_b64 exec, exec, s[0:1]
	v_cmp_lt_u64_e32 vcc, s[4:5], v[4:5]
	v_mov_b32_e32 v26, 0
	s_and_saveexec_b64 s[0:1], vcc
	s_cbranch_execz .LBB361_311
; %bb.306:                              ;   in Loop: Header=BB361_203 Depth=1
	v_lshrrev_b32_e32 v4, 24, v5
	v_cmp_ne_u32_e32 vcc, s20, v4
	v_bfrev_b32_e32 v26, 1
	s_and_saveexec_b64 s[10:11], vcc
	s_cbranch_execz .LBB361_310
; %bb.307:                              ;   in Loop: Header=BB361_203 Depth=1
	v_bfe_u32 v5, v5, 24, 7
	v_cmp_ne_u32_e32 vcc, s21, v5
	v_mov_b32_e32 v26, 0x7f800001
	s_and_saveexec_b64 s[12:13], vcc
	s_cbranch_execz .LBB361_309
; %bb.308:                              ;   in Loop: Header=BB361_203 Depth=1
	v_and_b32_e32 v26, 7, v4
	v_ffbh_u32_e32 v30, v26
	v_min_u32_e32 v38, 32, v30
	v_subrev_u32_e32 v30, 28, v38
	v_lshlrev_b64 v[30:31], v30, v[4:5]
	v_lshrrev_b32_e32 v32, 3, v5
	v_sub_u32_e32 v31, 29, v38
	v_and_b32_e32 v30, 7, v30
	v_cmp_gt_u32_e32 vcc, 8, v5
	v_cndmask_b32_e32 v5, v32, v31, vcc
	v_cndmask_b32_e32 v26, v26, v30, vcc
	v_lshlrev_b32_e32 v4, 24, v4
	v_lshlrev_b32_e32 v26, 20, v26
	v_and_b32_e32 v4, 0x80000000, v4
	v_lshl_add_u32 v5, v5, 23, v11
	v_or3_b32 v26, v4, v5, v26
.LBB361_309:                            ;   in Loop: Header=BB361_203 Depth=1
	s_or_b64 exec, exec, s[12:13]
.LBB361_310:                            ;   in Loop: Header=BB361_203 Depth=1
	s_or_b64 exec, exec, s[10:11]
.LBB361_311:                            ;   in Loop: Header=BB361_203 Depth=1
	s_or_b64 exec, exec, s[0:1]
	v_mul_f32_e32 v5, s16, v26
	v_and_b32_e32 v4, 0x7f800000, v5
	v_cmp_ne_u32_e32 vcc, s18, v4
                                        ; implicit-def: $vgpr4
	s_and_saveexec_b64 s[0:1], vcc
	s_xor_b64 s[0:1], exec, s[0:1]
; %bb.312:                              ;   in Loop: Header=BB361_203 Depth=1
	v_bfe_u32 v4, v5, 16, 1
	v_add3_u32 v4, v5, v4, s19
                                        ; implicit-def: $vgpr5
; %bb.313:                              ;   in Loop: Header=BB361_203 Depth=1
	s_andn2_saveexec_b64 s[0:1], s[0:1]
; %bb.314:                              ;   in Loop: Header=BB361_203 Depth=1
	v_or_b32_e32 v4, 0x10000, v5
	v_cmp_eq_u32_sdwa vcc, v5, v13 src0_sel:WORD_0 src1_sel:DWORD
	v_cndmask_b32_e32 v4, v4, v5, vcc
; %bb.315:                              ;   in Loop: Header=BB361_203 Depth=1
	s_or_b64 exec, exec, s[0:1]
	v_cmp_eq_u32_e32 vcc, s17, v10
	v_add_u32_e32 v26, -7, v22
	v_lshrrev_b32_e32 v40, 16, v12
	v_lshrrev_b32_e32 v39, 16, v29
	;; [unrolled: 1-line block ×8, first 2 shown]
	v_add_u32_e32 v32, -6, v22
	v_add_u32_e32 v31, -5, v22
	;; [unrolled: 1-line block ×6, first 2 shown]
	s_and_saveexec_b64 s[10:11], vcc
	s_cbranch_execz .LBB361_317
; %bb.316:                              ;   in Loop: Header=BB361_203 Depth=1
	v_cmp_gt_i32_e64 s[0:1], s33, v26
	v_cndmask_b32_e64 v5, 0, v5, s[0:1]
	v_cmp_gt_i32_e64 s[0:1], s33, v32
	v_cndmask_b32_e64 v8, 0, v8, s[0:1]
	;; [unrolled: 2-line block ×8, first 2 shown]
.LBB361_317:                            ;   in Loop: Header=BB361_203 Depth=1
	s_or_b64 exec, exec, s[10:11]
	v_and_b32_e32 v34, 0xffff0000, v34
	v_lshlrev_b32_e32 v5, 16, v5
	v_mul_f32_e32 v6, v34, v5
	v_and_b32_e32 v5, 0x7f800000, v6
	v_cmp_ne_u32_e64 s[0:1], s18, v5
                                        ; implicit-def: $vgpr5
	s_and_saveexec_b64 s[10:11], s[0:1]
	s_xor_b64 s[0:1], exec, s[10:11]
; %bb.318:                              ;   in Loop: Header=BB361_203 Depth=1
	v_bfe_u32 v5, v6, 16, 1
	v_add3_u32 v5, v6, v5, s19
                                        ; implicit-def: $vgpr6
; %bb.319:                              ;   in Loop: Header=BB361_203 Depth=1
	s_andn2_saveexec_b64 s[10:11], s[0:1]
; %bb.320:                              ;   in Loop: Header=BB361_203 Depth=1
	v_or_b32_e32 v5, 0x10000, v6
	v_cmp_eq_u32_sdwa s[0:1], v6, v13 src0_sel:WORD_0 src1_sel:DWORD
	v_cndmask_b32_e64 v5, v5, v6, s[0:1]
; %bb.321:                              ;   in Loop: Header=BB361_203 Depth=1
	s_or_b64 exec, exec, s[10:11]
	v_and_b32_e32 v35, 0xffff0000, v35
	v_lshlrev_b32_e32 v6, 16, v8
	v_mul_f32_e32 v7, v35, v6
	v_and_b32_e32 v6, 0x7f800000, v7
	v_cmp_ne_u32_e64 s[0:1], s18, v6
                                        ; implicit-def: $vgpr6
	s_and_saveexec_b64 s[10:11], s[0:1]
	s_xor_b64 s[0:1], exec, s[10:11]
; %bb.322:                              ;   in Loop: Header=BB361_203 Depth=1
	v_bfe_u32 v6, v7, 16, 1
	v_add3_u32 v6, v7, v6, s19
                                        ; implicit-def: $vgpr7
; %bb.323:                              ;   in Loop: Header=BB361_203 Depth=1
	s_andn2_saveexec_b64 s[10:11], s[0:1]
; %bb.324:                              ;   in Loop: Header=BB361_203 Depth=1
	v_or_b32_e32 v6, 0x10000, v7
	v_cmp_eq_u32_sdwa s[0:1], v7, v13 src0_sel:WORD_0 src1_sel:DWORD
	v_cndmask_b32_e64 v6, v6, v7, s[0:1]
; %bb.325:                              ;   in Loop: Header=BB361_203 Depth=1
	s_or_b64 exec, exec, s[10:11]
	v_and_b32_e32 v36, 0xffff0000, v36
	v_lshlrev_b32_e32 v7, 16, v41
	v_mul_f32_e32 v8, v36, v7
	v_and_b32_e32 v7, 0x7f800000, v8
	v_cmp_ne_u32_e64 s[0:1], s18, v7
                                        ; implicit-def: $vgpr7
	s_and_saveexec_b64 s[10:11], s[0:1]
	s_xor_b64 s[0:1], exec, s[10:11]
; %bb.326:                              ;   in Loop: Header=BB361_203 Depth=1
	v_bfe_u32 v7, v8, 16, 1
	v_add3_u32 v7, v8, v7, s19
                                        ; implicit-def: $vgpr8
; %bb.327:                              ;   in Loop: Header=BB361_203 Depth=1
	s_andn2_saveexec_b64 s[10:11], s[0:1]
; %bb.328:                              ;   in Loop: Header=BB361_203 Depth=1
	v_or_b32_e32 v7, 0x10000, v8
	v_cmp_eq_u32_sdwa s[0:1], v8, v13 src0_sel:WORD_0 src1_sel:DWORD
	v_cndmask_b32_e64 v7, v7, v8, s[0:1]
; %bb.329:                              ;   in Loop: Header=BB361_203 Depth=1
	s_or_b64 exec, exec, s[10:11]
	v_and_b32_e32 v37, 0xffff0000, v37
	v_lshlrev_b32_e32 v8, 16, v38
	v_mul_f32_e32 v38, v37, v8
	v_and_b32_e32 v8, 0x7f800000, v38
	v_cmp_ne_u32_e64 s[0:1], s18, v8
                                        ; implicit-def: $vgpr8
	s_and_saveexec_b64 s[10:11], s[0:1]
	s_xor_b64 s[0:1], exec, s[10:11]
; %bb.330:                              ;   in Loop: Header=BB361_203 Depth=1
	v_bfe_u32 v8, v38, 16, 1
	v_add3_u32 v8, v38, v8, s19
                                        ; implicit-def: $vgpr38
; %bb.331:                              ;   in Loop: Header=BB361_203 Depth=1
	s_andn2_saveexec_b64 s[10:11], s[0:1]
; %bb.332:                              ;   in Loop: Header=BB361_203 Depth=1
	v_or_b32_e32 v8, 0x10000, v38
	v_cmp_eq_u32_sdwa s[0:1], v38, v13 src0_sel:WORD_0 src1_sel:DWORD
	v_cndmask_b32_e64 v8, v8, v38, s[0:1]
; %bb.333:                              ;   in Loop: Header=BB361_203 Depth=1
	s_or_b64 exec, exec, s[10:11]
	v_and_b32_e32 v38, 0xffff0000, v9
	v_lshlrev_b32_e32 v9, 16, v39
	v_mul_f32_e32 v39, v38, v9
	v_and_b32_e32 v9, 0x7f800000, v39
	v_cmp_ne_u32_e64 s[0:1], s18, v9
                                        ; implicit-def: $vgpr9
	s_and_saveexec_b64 s[10:11], s[0:1]
	s_xor_b64 s[0:1], exec, s[10:11]
; %bb.334:                              ;   in Loop: Header=BB361_203 Depth=1
	v_bfe_u32 v9, v39, 16, 1
	v_add3_u32 v9, v39, v9, s19
                                        ; implicit-def: $vgpr39
; %bb.335:                              ;   in Loop: Header=BB361_203 Depth=1
	s_andn2_saveexec_b64 s[10:11], s[0:1]
; %bb.336:                              ;   in Loop: Header=BB361_203 Depth=1
	v_or_b32_e32 v9, 0x10000, v39
	v_cmp_eq_u32_sdwa s[0:1], v39, v13 src0_sel:WORD_0 src1_sel:DWORD
	v_cndmask_b32_e64 v9, v9, v39, s[0:1]
; %bb.337:                              ;   in Loop: Header=BB361_203 Depth=1
	s_or_b64 exec, exec, s[10:11]
	v_and_b32_e32 v39, 0xffff0000, v24
	v_lshlrev_b32_e32 v24, 16, v40
	v_mul_f32_e32 v40, v39, v24
	v_and_b32_e32 v24, 0x7f800000, v40
	v_cmp_ne_u32_e64 s[0:1], s18, v24
                                        ; implicit-def: $vgpr24
	s_and_saveexec_b64 s[10:11], s[0:1]
	s_xor_b64 s[0:1], exec, s[10:11]
; %bb.338:                              ;   in Loop: Header=BB361_203 Depth=1
	v_bfe_u32 v24, v40, 16, 1
	v_add3_u32 v24, v40, v24, s19
                                        ; implicit-def: $vgpr40
; %bb.339:                              ;   in Loop: Header=BB361_203 Depth=1
	s_andn2_saveexec_b64 s[10:11], s[0:1]
; %bb.340:                              ;   in Loop: Header=BB361_203 Depth=1
	v_or_b32_e32 v24, 0x10000, v40
	v_cmp_eq_u32_sdwa s[0:1], v40, v13 src0_sel:WORD_0 src1_sel:DWORD
	v_cndmask_b32_e64 v24, v24, v40, s[0:1]
; %bb.341:                              ;   in Loop: Header=BB361_203 Depth=1
	s_or_b64 exec, exec, s[10:11]
	v_and_b32_e32 v40, 0xffff0000, v25
	v_lshlrev_b32_e32 v12, 16, v12
	v_mul_f32_e32 v12, v40, v12
	v_and_b32_e32 v25, 0x7f800000, v12
	v_cmp_ne_u32_e64 s[0:1], s18, v25
                                        ; implicit-def: $vgpr25
	s_and_saveexec_b64 s[10:11], s[0:1]
	s_xor_b64 s[0:1], exec, s[10:11]
; %bb.342:                              ;   in Loop: Header=BB361_203 Depth=1
	v_bfe_u32 v25, v12, 16, 1
	v_add3_u32 v25, v12, v25, s19
                                        ; implicit-def: $vgpr12
; %bb.343:                              ;   in Loop: Header=BB361_203 Depth=1
	s_andn2_saveexec_b64 s[10:11], s[0:1]
; %bb.344:                              ;   in Loop: Header=BB361_203 Depth=1
	v_or_b32_e32 v25, 0x10000, v12
	v_cmp_eq_u32_sdwa s[0:1], v12, v13 src0_sel:WORD_0 src1_sel:DWORD
	v_cndmask_b32_e64 v25, v25, v12, s[0:1]
; %bb.345:                              ;   in Loop: Header=BB361_203 Depth=1
	s_or_b64 exec, exec, s[10:11]
	v_and_b32_e32 v41, 0xffff0000, v33
	v_lshlrev_b32_e32 v4, 16, v4
	v_mul_f32_e32 v4, v41, v4
	v_and_b32_e32 v12, 0x7f800000, v4
	v_cmp_ne_u32_e64 s[0:1], s18, v12
                                        ; implicit-def: $vgpr33
	s_and_saveexec_b64 s[10:11], s[0:1]
	s_xor_b64 s[0:1], exec, s[10:11]
; %bb.346:                              ;   in Loop: Header=BB361_203 Depth=1
	v_bfe_u32 v12, v4, 16, 1
	v_add3_u32 v33, v4, v12, s19
                                        ; implicit-def: $vgpr4
; %bb.347:                              ;   in Loop: Header=BB361_203 Depth=1
	s_andn2_saveexec_b64 s[10:11], s[0:1]
; %bb.348:                              ;   in Loop: Header=BB361_203 Depth=1
	v_or_b32_e32 v12, 0x10000, v4
	v_cmp_eq_u32_sdwa s[0:1], v4, v13 src0_sel:WORD_0 src1_sel:DWORD
	v_cndmask_b32_e64 v33, v12, v4, s[0:1]
; %bb.349:                              ;   in Loop: Header=BB361_203 Depth=1
	s_or_b64 exec, exec, s[10:11]
	global_load_dwordx2 v[2:3], v[2:3], off offset:512
	v_mov_b32_e32 v4, 0
	s_waitcnt vmcnt(0)
	v_cmp_ne_u16_sdwa s[0:1], v2, v13 src0_sel:BYTE_0 src1_sel:DWORD
	s_and_saveexec_b64 s[10:11], s[0:1]
	s_cbranch_execz .LBB361_355
; %bb.350:                              ;   in Loop: Header=BB361_203 Depth=1
	v_cmp_ne_u16_sdwa s[0:1], v2, s20 src0_sel:BYTE_0 src1_sel:DWORD
	v_bfrev_b32_e32 v4, 1
	s_and_saveexec_b64 s[12:13], s[0:1]
	s_cbranch_execz .LBB361_354
; %bb.351:                              ;   in Loop: Header=BB361_203 Depth=1
	v_and_b32_e32 v12, 0x7f, v2
	v_cmp_ne_u32_e64 s[0:1], s21, v12
	v_mov_b32_e32 v4, 0x7f800001
	s_and_saveexec_b64 s[14:15], s[0:1]
	s_cbranch_execz .LBB361_353
; %bb.352:                              ;   in Loop: Header=BB361_203 Depth=1
	v_and_b32_e32 v4, 7, v2
	v_ffbh_u32_e32 v4, v4
	v_min_u32_e32 v4, 32, v4
	v_subrev_u32_e32 v43, 28, v4
	v_cmp_gt_u32_e64 s[0:1], 8, v12
	v_lshrrev_b32_e32 v42, 3, v12
	v_sub_u32_e32 v4, 29, v4
	v_cndmask_b32_e64 v12, 0, v43, s[0:1]
	v_cndmask_b32_e64 v4, v42, v4, s[0:1]
	v_lshlrev_b64 v[42:43], v12, v[2:3]
	v_lshlrev_b32_e32 v12, 20, v42
	v_lshlrev_b32_e32 v42, 24, v2
	v_and_b32_e32 v12, 0x700000, v12
	v_and_b32_e32 v42, 0x80000000, v42
	v_lshl_add_u32 v4, v4, 23, v11
	v_or3_b32 v4, v42, v4, v12
.LBB361_353:                            ;   in Loop: Header=BB361_203 Depth=1
	s_or_b64 exec, exec, s[14:15]
.LBB361_354:                            ;   in Loop: Header=BB361_203 Depth=1
	s_or_b64 exec, exec, s[12:13]
.LBB361_355:                            ;   in Loop: Header=BB361_203 Depth=1
	s_or_b64 exec, exec, s[10:11]
	v_mul_f32_e32 v4, s16, v4
	v_and_b32_e32 v12, 0x7f800000, v4
	v_cmp_ne_u32_e64 s[0:1], s18, v12
                                        ; implicit-def: $vgpr42
	s_and_saveexec_b64 s[10:11], s[0:1]
	s_xor_b64 s[0:1], exec, s[10:11]
; %bb.356:                              ;   in Loop: Header=BB361_203 Depth=1
	v_bfe_u32 v12, v4, 16, 1
	v_add3_u32 v42, v4, v12, s19
                                        ; implicit-def: $vgpr4
; %bb.357:                              ;   in Loop: Header=BB361_203 Depth=1
	s_andn2_saveexec_b64 s[10:11], s[0:1]
; %bb.358:                              ;   in Loop: Header=BB361_203 Depth=1
	v_or_b32_e32 v12, 0x10000, v4
	v_cmp_eq_u32_sdwa s[0:1], v4, v13 src0_sel:WORD_0 src1_sel:DWORD
	v_cndmask_b32_e64 v42, v12, v4, s[0:1]
; %bb.359:                              ;   in Loop: Header=BB361_203 Depth=1
	s_or_b64 exec, exec, s[10:11]
	v_lshrrev_b16_e32 v4, 8, v2
	v_cmp_ne_u16_e64 s[0:1], 0, v4
	v_mov_b32_e32 v12, 0
	s_and_saveexec_b64 s[10:11], s[0:1]
	s_cbranch_execz .LBB361_365
; %bb.360:                              ;   in Loop: Header=BB361_203 Depth=1
	v_cmp_ne_u16_e64 s[0:1], s20, v4
	v_bfrev_b32_e32 v12, 1
	s_and_saveexec_b64 s[12:13], s[0:1]
	s_cbranch_execz .LBB361_364
; %bb.361:                              ;   in Loop: Header=BB361_203 Depth=1
	v_and_b32_e32 v43, 0x7f, v4
	v_cmp_ne_u32_e64 s[0:1], s21, v43
	v_mov_b32_e32 v12, 0x7f800001
	s_and_saveexec_b64 s[14:15], s[0:1]
	s_cbranch_execz .LBB361_363
; %bb.362:                              ;   in Loop: Header=BB361_203 Depth=1
	v_and_b32_e32 v12, 7, v4
	v_ffbh_u32_e32 v44, v12
	v_min_u32_e32 v47, 32, v44
	v_subrev_u32_e32 v44, 28, v47
	v_lshlrev_b64 v[44:45], v44, v[4:5]
	v_lshrrev_b32_e32 v46, 3, v43
	v_sub_u32_e32 v4, 29, v47
	v_and_b32_e32 v44, 7, v44
	v_cmp_gt_u32_e64 s[0:1], 8, v43
	v_cndmask_b32_e64 v4, v46, v4, s[0:1]
	v_cndmask_b32_e64 v12, v12, v44, s[0:1]
	v_lshlrev_b32_e32 v43, 16, v2
	v_lshlrev_b32_e32 v12, 20, v12
	v_and_b32_e32 v43, 0x80000000, v43
	v_lshl_add_u32 v4, v4, 23, v11
	v_or3_b32 v12, v43, v4, v12
.LBB361_363:                            ;   in Loop: Header=BB361_203 Depth=1
	s_or_b64 exec, exec, s[14:15]
.LBB361_364:                            ;   in Loop: Header=BB361_203 Depth=1
	s_or_b64 exec, exec, s[12:13]
.LBB361_365:                            ;   in Loop: Header=BB361_203 Depth=1
	s_or_b64 exec, exec, s[10:11]
	v_mul_f32_e32 v4, s16, v12
	v_and_b32_e32 v12, 0x7f800000, v4
	v_cmp_ne_u32_e64 s[0:1], s18, v12
                                        ; implicit-def: $vgpr43
	s_and_saveexec_b64 s[10:11], s[0:1]
	s_xor_b64 s[0:1], exec, s[10:11]
; %bb.366:                              ;   in Loop: Header=BB361_203 Depth=1
	v_bfe_u32 v12, v4, 16, 1
	v_add3_u32 v43, v4, v12, s19
                                        ; implicit-def: $vgpr4
; %bb.367:                              ;   in Loop: Header=BB361_203 Depth=1
	s_andn2_saveexec_b64 s[10:11], s[0:1]
; %bb.368:                              ;   in Loop: Header=BB361_203 Depth=1
	v_or_b32_e32 v12, 0x10000, v4
	v_cmp_eq_u32_sdwa s[0:1], v4, v13 src0_sel:WORD_0 src1_sel:DWORD
	v_cndmask_b32_e64 v43, v12, v4, s[0:1]
; %bb.369:                              ;   in Loop: Header=BB361_203 Depth=1
	s_or_b64 exec, exec, s[10:11]
	v_lshrrev_b32_e32 v4, 16, v2
	v_cmp_ne_u16_sdwa s[0:1], v4, v13 src0_sel:BYTE_0 src1_sel:DWORD
	v_mov_b32_e32 v12, 0
	s_and_saveexec_b64 s[10:11], s[0:1]
	s_cbranch_execz .LBB361_375
; %bb.370:                              ;   in Loop: Header=BB361_203 Depth=1
	v_cmp_ne_u16_sdwa s[0:1], v4, s20 src0_sel:BYTE_0 src1_sel:DWORD
	v_bfrev_b32_e32 v12, 1
	s_and_saveexec_b64 s[12:13], s[0:1]
	s_cbranch_execz .LBB361_374
; %bb.371:                              ;   in Loop: Header=BB361_203 Depth=1
	v_bfe_u32 v44, v2, 16, 7
	v_cmp_ne_u32_e64 s[0:1], s21, v44
	v_mov_b32_e32 v12, 0x7f800001
	s_and_saveexec_b64 s[14:15], s[0:1]
	s_cbranch_execz .LBB361_373
; %bb.372:                              ;   in Loop: Header=BB361_203 Depth=1
	v_and_b32_e32 v12, 7, v4
	v_ffbh_u32_e32 v46, v12
	v_min_u32_e32 v48, 32, v46
	v_subrev_u32_e32 v46, 28, v48
	v_lshlrev_b64 v[46:47], v46, v[4:5]
	v_lshrrev_b32_e32 v45, 3, v44
	v_sub_u32_e32 v47, 29, v48
	v_and_b32_e32 v46, 7, v46
	v_cmp_gt_u32_e64 s[0:1], 8, v44
	v_cndmask_b32_e64 v44, v45, v47, s[0:1]
	v_cndmask_b32_e64 v12, v12, v46, s[0:1]
	v_lshlrev_b32_e32 v4, 24, v4
	v_lshlrev_b32_e32 v12, 20, v12
	v_and_b32_e32 v4, 0x80000000, v4
	v_lshl_add_u32 v44, v44, 23, v11
	v_or3_b32 v12, v4, v44, v12
.LBB361_373:                            ;   in Loop: Header=BB361_203 Depth=1
	s_or_b64 exec, exec, s[14:15]
.LBB361_374:                            ;   in Loop: Header=BB361_203 Depth=1
	s_or_b64 exec, exec, s[12:13]
.LBB361_375:                            ;   in Loop: Header=BB361_203 Depth=1
	s_or_b64 exec, exec, s[10:11]
	v_mul_f32_e32 v4, s16, v12
	v_and_b32_e32 v12, 0x7f800000, v4
	v_cmp_ne_u32_e64 s[0:1], s18, v12
                                        ; implicit-def: $vgpr44
	s_and_saveexec_b64 s[10:11], s[0:1]
	s_xor_b64 s[0:1], exec, s[10:11]
; %bb.376:                              ;   in Loop: Header=BB361_203 Depth=1
	v_bfe_u32 v12, v4, 16, 1
	v_add3_u32 v44, v4, v12, s19
                                        ; implicit-def: $vgpr4
; %bb.377:                              ;   in Loop: Header=BB361_203 Depth=1
	s_andn2_saveexec_b64 s[10:11], s[0:1]
; %bb.378:                              ;   in Loop: Header=BB361_203 Depth=1
	v_or_b32_e32 v12, 0x10000, v4
	v_cmp_eq_u32_sdwa s[0:1], v4, v13 src0_sel:WORD_0 src1_sel:DWORD
	v_cndmask_b32_e64 v44, v12, v4, s[0:1]
; %bb.379:                              ;   in Loop: Header=BB361_203 Depth=1
	s_or_b64 exec, exec, s[10:11]
	v_cmp_lt_u32_e64 s[0:1], s5, v2
	v_mov_b32_e32 v12, 0
	s_and_saveexec_b64 s[10:11], s[0:1]
	s_cbranch_execz .LBB361_385
; %bb.380:                              ;   in Loop: Header=BB361_203 Depth=1
	v_lshrrev_b32_e32 v4, 24, v2
	v_cmp_ne_u32_e64 s[0:1], s20, v4
	v_bfrev_b32_e32 v12, 1
	s_and_saveexec_b64 s[12:13], s[0:1]
	s_cbranch_execz .LBB361_384
; %bb.381:                              ;   in Loop: Header=BB361_203 Depth=1
	v_bfe_u32 v45, v2, 24, 7
	v_cmp_ne_u32_e64 s[0:1], s21, v45
	v_mov_b32_e32 v12, 0x7f800001
	s_and_saveexec_b64 s[14:15], s[0:1]
	s_cbranch_execz .LBB361_383
; %bb.382:                              ;   in Loop: Header=BB361_203 Depth=1
	v_and_b32_e32 v12, 7, v4
	v_ffbh_u32_e32 v46, v12
	v_min_u32_e32 v49, 32, v46
	v_subrev_u32_e32 v46, 28, v49
	v_lshlrev_b64 v[46:47], v46, v[4:5]
	v_lshrrev_b32_e32 v48, 3, v45
	v_sub_u32_e32 v47, 29, v49
	v_and_b32_e32 v46, 7, v46
	v_cmp_gt_u32_e64 s[0:1], 8, v45
	v_cndmask_b32_e64 v45, v48, v47, s[0:1]
	v_cndmask_b32_e64 v12, v12, v46, s[0:1]
	v_lshlrev_b32_e32 v4, 24, v4
	v_lshlrev_b32_e32 v12, 20, v12
	v_and_b32_e32 v4, 0x80000000, v4
	v_lshl_add_u32 v45, v45, 23, v11
	v_or3_b32 v12, v4, v45, v12
.LBB361_383:                            ;   in Loop: Header=BB361_203 Depth=1
	s_or_b64 exec, exec, s[14:15]
.LBB361_384:                            ;   in Loop: Header=BB361_203 Depth=1
	s_or_b64 exec, exec, s[12:13]
.LBB361_385:                            ;   in Loop: Header=BB361_203 Depth=1
	s_or_b64 exec, exec, s[10:11]
	v_mul_f32_e32 v4, s16, v12
	v_and_b32_e32 v12, 0x7f800000, v4
	v_cmp_ne_u32_e64 s[0:1], s18, v12
                                        ; implicit-def: $vgpr45
	s_and_saveexec_b64 s[10:11], s[0:1]
	s_xor_b64 s[0:1], exec, s[10:11]
; %bb.386:                              ;   in Loop: Header=BB361_203 Depth=1
	v_bfe_u32 v12, v4, 16, 1
	v_add3_u32 v45, v4, v12, s19
                                        ; implicit-def: $vgpr4
; %bb.387:                              ;   in Loop: Header=BB361_203 Depth=1
	s_andn2_saveexec_b64 s[10:11], s[0:1]
; %bb.388:                              ;   in Loop: Header=BB361_203 Depth=1
	v_or_b32_e32 v12, 0x10000, v4
	v_cmp_eq_u32_sdwa s[0:1], v4, v13 src0_sel:WORD_0 src1_sel:DWORD
	v_cndmask_b32_e64 v45, v12, v4, s[0:1]
; %bb.389:                              ;   in Loop: Header=BB361_203 Depth=1
	s_or_b64 exec, exec, s[10:11]
	v_mov_b32_e32 v12, v3
	v_cmp_ne_u16_sdwa s[0:1], v3, v13 src0_sel:BYTE_0 src1_sel:DWORD
	v_mov_b32_e32 v4, 0
	s_and_saveexec_b64 s[10:11], s[0:1]
	s_cbranch_execz .LBB361_395
; %bb.390:                              ;   in Loop: Header=BB361_203 Depth=1
	v_cmp_ne_u16_sdwa s[0:1], v3, s20 src0_sel:BYTE_0 src1_sel:DWORD
	v_bfrev_b32_e32 v4, 1
	s_and_saveexec_b64 s[12:13], s[0:1]
	s_cbranch_execz .LBB361_394
; %bb.391:                              ;   in Loop: Header=BB361_203 Depth=1
	v_and_b32_e32 v46, 0x7f, v3
	v_cmp_ne_u32_e64 s[0:1], s21, v46
	v_mov_b32_e32 v4, 0x7f800001
	s_and_saveexec_b64 s[14:15], s[0:1]
	s_cbranch_execz .LBB361_393
; %bb.392:                              ;   in Loop: Header=BB361_203 Depth=1
	v_and_b32_e32 v4, 7, v3
	v_ffbh_u32_e32 v4, v4
	v_min_u32_e32 v4, 32, v4
	v_subrev_u32_e32 v48, 28, v4
	v_cmp_gt_u32_e64 s[0:1], 8, v46
	v_lshrrev_b32_e32 v47, 3, v46
	v_sub_u32_e32 v4, 29, v4
	v_cndmask_b32_e64 v46, 0, v48, s[0:1]
	v_cndmask_b32_e64 v4, v47, v4, s[0:1]
	v_lshlrev_b64 v[46:47], v46, v[12:13]
	v_lshlrev_b32_e32 v46, 20, v46
	v_lshlrev_b32_e32 v47, 24, v12
	v_and_b32_e32 v46, 0x700000, v46
	v_and_b32_e32 v47, 0x80000000, v47
	v_lshl_add_u32 v4, v4, 23, v11
	v_or3_b32 v4, v47, v4, v46
.LBB361_393:                            ;   in Loop: Header=BB361_203 Depth=1
	s_or_b64 exec, exec, s[14:15]
.LBB361_394:                            ;   in Loop: Header=BB361_203 Depth=1
	s_or_b64 exec, exec, s[12:13]
.LBB361_395:                            ;   in Loop: Header=BB361_203 Depth=1
	s_or_b64 exec, exec, s[10:11]
	v_mul_f32_e32 v4, s16, v4
	v_and_b32_e32 v46, 0x7f800000, v4
	v_cmp_ne_u32_e64 s[0:1], s18, v46
                                        ; implicit-def: $vgpr46
	s_and_saveexec_b64 s[10:11], s[0:1]
	s_xor_b64 s[0:1], exec, s[10:11]
; %bb.396:                              ;   in Loop: Header=BB361_203 Depth=1
	v_bfe_u32 v46, v4, 16, 1
	v_add3_u32 v46, v4, v46, s19
                                        ; implicit-def: $vgpr4
; %bb.397:                              ;   in Loop: Header=BB361_203 Depth=1
	s_andn2_saveexec_b64 s[10:11], s[0:1]
; %bb.398:                              ;   in Loop: Header=BB361_203 Depth=1
	v_or_b32_e32 v46, 0x10000, v4
	v_cmp_eq_u32_sdwa s[0:1], v4, v13 src0_sel:WORD_0 src1_sel:DWORD
	v_cndmask_b32_e64 v46, v46, v4, s[0:1]
; %bb.399:                              ;   in Loop: Header=BB361_203 Depth=1
	s_or_b64 exec, exec, s[10:11]
	v_lshrrev_b16_e32 v4, 8, v12
	v_cmp_ne_u16_e64 s[0:1], 0, v4
	v_mov_b32_e32 v47, 0
	s_and_saveexec_b64 s[10:11], s[0:1]
	s_cbranch_execz .LBB361_405
; %bb.400:                              ;   in Loop: Header=BB361_203 Depth=1
	v_cmp_ne_u16_e64 s[0:1], s20, v4
	v_bfrev_b32_e32 v47, 1
	s_and_saveexec_b64 s[12:13], s[0:1]
	s_cbranch_execz .LBB361_404
; %bb.401:                              ;   in Loop: Header=BB361_203 Depth=1
	v_and_b32_e32 v48, 0x7f, v4
	v_cmp_ne_u32_e64 s[0:1], s21, v48
	v_mov_b32_e32 v47, 0x7f800001
	s_and_saveexec_b64 s[14:15], s[0:1]
	s_cbranch_execz .LBB361_403
; %bb.402:                              ;   in Loop: Header=BB361_203 Depth=1
	v_and_b32_e32 v47, 7, v4
	v_ffbh_u32_e32 v50, v47
	v_min_u32_e32 v52, 32, v50
	v_subrev_u32_e32 v50, 28, v52
	v_lshlrev_b64 v[50:51], v50, v[4:5]
	v_lshrrev_b32_e32 v49, 3, v48
	v_sub_u32_e32 v4, 29, v52
	v_and_b32_e32 v50, 7, v50
	v_cmp_gt_u32_e64 s[0:1], 8, v48
	v_cndmask_b32_e64 v4, v49, v4, s[0:1]
	v_cndmask_b32_e64 v47, v47, v50, s[0:1]
	v_lshlrev_b32_e32 v12, 16, v12
	v_lshlrev_b32_e32 v47, 20, v47
	v_and_b32_e32 v12, 0x80000000, v12
	v_lshl_add_u32 v4, v4, 23, v11
	v_or3_b32 v47, v12, v4, v47
.LBB361_403:                            ;   in Loop: Header=BB361_203 Depth=1
	s_or_b64 exec, exec, s[14:15]
.LBB361_404:                            ;   in Loop: Header=BB361_203 Depth=1
	s_or_b64 exec, exec, s[12:13]
.LBB361_405:                            ;   in Loop: Header=BB361_203 Depth=1
	s_or_b64 exec, exec, s[10:11]
	v_mul_f32_e32 v4, s16, v47
	v_and_b32_e32 v12, 0x7f800000, v4
	v_cmp_ne_u32_e64 s[0:1], s18, v12
                                        ; implicit-def: $vgpr12
	s_and_saveexec_b64 s[10:11], s[0:1]
	s_xor_b64 s[0:1], exec, s[10:11]
; %bb.406:                              ;   in Loop: Header=BB361_203 Depth=1
	v_bfe_u32 v12, v4, 16, 1
	v_add3_u32 v12, v4, v12, s19
                                        ; implicit-def: $vgpr4
; %bb.407:                              ;   in Loop: Header=BB361_203 Depth=1
	s_andn2_saveexec_b64 s[10:11], s[0:1]
; %bb.408:                              ;   in Loop: Header=BB361_203 Depth=1
	v_or_b32_e32 v12, 0x10000, v4
	v_cmp_eq_u32_sdwa s[0:1], v4, v13 src0_sel:WORD_0 src1_sel:DWORD
	v_cndmask_b32_e64 v12, v12, v4, s[0:1]
; %bb.409:                              ;   in Loop: Header=BB361_203 Depth=1
	s_or_b64 exec, exec, s[10:11]
	v_lshrrev_b32_e32 v4, 16, v3
	v_cmp_ne_u16_sdwa s[0:1], v4, v13 src0_sel:BYTE_0 src1_sel:DWORD
	v_mov_b32_e32 v47, 0
	s_and_saveexec_b64 s[10:11], s[0:1]
	s_cbranch_execz .LBB361_415
; %bb.410:                              ;   in Loop: Header=BB361_203 Depth=1
	v_cmp_ne_u16_sdwa s[0:1], v4, s20 src0_sel:BYTE_0 src1_sel:DWORD
	v_bfrev_b32_e32 v47, 1
	s_and_saveexec_b64 s[12:13], s[0:1]
	s_cbranch_execz .LBB361_414
; %bb.411:                              ;   in Loop: Header=BB361_203 Depth=1
	v_bfe_u32 v48, v3, 16, 7
	v_cmp_ne_u32_e64 s[0:1], s21, v48
	v_mov_b32_e32 v47, 0x7f800001
	s_and_saveexec_b64 s[14:15], s[0:1]
	s_cbranch_execz .LBB361_413
; %bb.412:                              ;   in Loop: Header=BB361_203 Depth=1
	v_and_b32_e32 v47, 7, v4
	v_ffbh_u32_e32 v50, v47
	v_min_u32_e32 v52, 32, v50
	v_subrev_u32_e32 v50, 28, v52
	v_lshlrev_b64 v[50:51], v50, v[4:5]
	v_lshrrev_b32_e32 v49, 3, v48
	v_sub_u32_e32 v51, 29, v52
	v_and_b32_e32 v50, 7, v50
	v_cmp_gt_u32_e64 s[0:1], 8, v48
	v_cndmask_b32_e64 v48, v49, v51, s[0:1]
	v_cndmask_b32_e64 v47, v47, v50, s[0:1]
	v_lshlrev_b32_e32 v4, 24, v4
	v_lshlrev_b32_e32 v47, 20, v47
	v_and_b32_e32 v4, 0x80000000, v4
	v_lshl_add_u32 v48, v48, 23, v11
	v_or3_b32 v47, v4, v48, v47
.LBB361_413:                            ;   in Loop: Header=BB361_203 Depth=1
	s_or_b64 exec, exec, s[14:15]
.LBB361_414:                            ;   in Loop: Header=BB361_203 Depth=1
	s_or_b64 exec, exec, s[12:13]
.LBB361_415:                            ;   in Loop: Header=BB361_203 Depth=1
	s_or_b64 exec, exec, s[10:11]
	v_mul_f32_e32 v47, s16, v47
	v_and_b32_e32 v4, 0x7f800000, v47
	v_cmp_ne_u32_e64 s[0:1], s18, v4
                                        ; implicit-def: $vgpr4
	s_and_saveexec_b64 s[10:11], s[0:1]
	s_xor_b64 s[0:1], exec, s[10:11]
; %bb.416:                              ;   in Loop: Header=BB361_203 Depth=1
	v_bfe_u32 v4, v47, 16, 1
	v_add3_u32 v4, v47, v4, s19
                                        ; implicit-def: $vgpr47
; %bb.417:                              ;   in Loop: Header=BB361_203 Depth=1
	s_andn2_saveexec_b64 s[10:11], s[0:1]
; %bb.418:                              ;   in Loop: Header=BB361_203 Depth=1
	v_or_b32_e32 v4, 0x10000, v47
	v_cmp_eq_u32_sdwa s[0:1], v47, v13 src0_sel:WORD_0 src1_sel:DWORD
	v_cndmask_b32_e64 v4, v4, v47, s[0:1]
; %bb.419:                              ;   in Loop: Header=BB361_203 Depth=1
	s_or_b64 exec, exec, s[10:11]
	v_cmp_lt_u64_e64 s[0:1], s[4:5], v[2:3]
	v_mov_b32_e32 v47, 0
	s_and_saveexec_b64 s[10:11], s[0:1]
	s_cbranch_execz .LBB361_425
; %bb.420:                              ;   in Loop: Header=BB361_203 Depth=1
	v_lshrrev_b32_e32 v2, 24, v3
	v_cmp_ne_u32_e64 s[0:1], s20, v2
	v_bfrev_b32_e32 v47, 1
	s_and_saveexec_b64 s[12:13], s[0:1]
	s_cbranch_execz .LBB361_424
; %bb.421:                              ;   in Loop: Header=BB361_203 Depth=1
	v_bfe_u32 v3, v3, 24, 7
	v_cmp_ne_u32_e64 s[0:1], s21, v3
	v_mov_b32_e32 v47, 0x7f800001
	s_and_saveexec_b64 s[14:15], s[0:1]
	s_cbranch_execz .LBB361_423
; %bb.422:                              ;   in Loop: Header=BB361_203 Depth=1
	v_and_b32_e32 v47, 7, v2
	v_ffbh_u32_e32 v48, v47
	v_min_u32_e32 v51, 32, v48
	v_subrev_u32_e32 v48, 28, v51
	v_lshlrev_b64 v[48:49], v48, v[2:3]
	v_lshrrev_b32_e32 v50, 3, v3
	v_sub_u32_e32 v49, 29, v51
	v_and_b32_e32 v48, 7, v48
	v_cmp_gt_u32_e64 s[0:1], 8, v3
	v_cndmask_b32_e64 v3, v50, v49, s[0:1]
	v_cndmask_b32_e64 v47, v47, v48, s[0:1]
	v_lshlrev_b32_e32 v2, 24, v2
	v_lshlrev_b32_e32 v47, 20, v47
	v_and_b32_e32 v2, 0x80000000, v2
	v_lshl_add_u32 v3, v3, 23, v11
	v_or3_b32 v47, v2, v3, v47
.LBB361_423:                            ;   in Loop: Header=BB361_203 Depth=1
	s_or_b64 exec, exec, s[14:15]
.LBB361_424:                            ;   in Loop: Header=BB361_203 Depth=1
	s_or_b64 exec, exec, s[12:13]
.LBB361_425:                            ;   in Loop: Header=BB361_203 Depth=1
	s_or_b64 exec, exec, s[10:11]
	v_mul_f32_e32 v2, s16, v47
	v_and_b32_e32 v3, 0x7f800000, v2
	v_cmp_ne_u32_e64 s[0:1], s18, v3
                                        ; implicit-def: $vgpr3
	s_and_saveexec_b64 s[10:11], s[0:1]
	s_xor_b64 s[0:1], exec, s[10:11]
; %bb.426:                              ;   in Loop: Header=BB361_203 Depth=1
	v_bfe_u32 v3, v2, 16, 1
	v_add3_u32 v3, v2, v3, s19
                                        ; implicit-def: $vgpr2
; %bb.427:                              ;   in Loop: Header=BB361_203 Depth=1
	s_andn2_saveexec_b64 s[10:11], s[0:1]
; %bb.428:                              ;   in Loop: Header=BB361_203 Depth=1
	v_or_b32_e32 v3, 0x10000, v2
	v_cmp_eq_u32_sdwa s[0:1], v2, v13 src0_sel:WORD_0 src1_sel:DWORD
	v_cndmask_b32_e64 v3, v3, v2, s[0:1]
; %bb.429:                              ;   in Loop: Header=BB361_203 Depth=1
	s_or_b64 exec, exec, s[10:11]
	v_lshrrev_b32_e32 v47, 16, v12
	v_lshrrev_b32_e32 v46, 16, v46
	;; [unrolled: 1-line block ×8, first 2 shown]
	s_and_saveexec_b64 s[0:1], vcc
	s_cbranch_execz .LBB361_431
; %bb.430:                              ;   in Loop: Header=BB361_203 Depth=1
	v_cmp_gt_i32_e32 vcc, s33, v26
	v_cndmask_b32_e32 v2, 0, v2, vcc
	v_cmp_gt_i32_e32 vcc, s33, v32
	v_cndmask_b32_e32 v43, 0, v43, vcc
	;; [unrolled: 2-line block ×8, first 2 shown]
.LBB361_431:                            ;   in Loop: Header=BB361_203 Depth=1
	s_or_b64 exec, exec, s[0:1]
	v_lshlrev_b32_e32 v2, 16, v2
	v_mul_f32_e32 v4, v34, v2
	v_and_b32_e32 v2, 0x7f800000, v4
	v_cmp_ne_u32_e32 vcc, s18, v2
                                        ; implicit-def: $vgpr2
	s_and_saveexec_b64 s[0:1], vcc
	s_xor_b64 s[0:1], exec, s[0:1]
; %bb.432:                              ;   in Loop: Header=BB361_203 Depth=1
	v_bfe_u32 v2, v4, 16, 1
	v_add3_u32 v2, v4, v2, s19
                                        ; implicit-def: $vgpr4
; %bb.433:                              ;   in Loop: Header=BB361_203 Depth=1
	s_andn2_saveexec_b64 s[0:1], s[0:1]
; %bb.434:                              ;   in Loop: Header=BB361_203 Depth=1
	v_or_b32_e32 v2, 0x10000, v4
	v_cmp_eq_u32_sdwa vcc, v4, v13 src0_sel:WORD_0 src1_sel:DWORD
	v_cndmask_b32_e32 v2, v2, v4, vcc
; %bb.435:                              ;   in Loop: Header=BB361_203 Depth=1
	s_or_b64 exec, exec, s[0:1]
	v_lshlrev_b32_e32 v4, 16, v43
	v_mul_f32_e32 v26, v35, v4
	v_and_b32_e32 v4, 0x7f800000, v26
	v_cmp_ne_u32_e32 vcc, s18, v4
                                        ; implicit-def: $vgpr4
	s_and_saveexec_b64 s[0:1], vcc
	s_xor_b64 s[0:1], exec, s[0:1]
; %bb.436:                              ;   in Loop: Header=BB361_203 Depth=1
	v_bfe_u32 v4, v26, 16, 1
	v_add3_u32 v4, v26, v4, s19
                                        ; implicit-def: $vgpr26
; %bb.437:                              ;   in Loop: Header=BB361_203 Depth=1
	s_andn2_saveexec_b64 s[0:1], s[0:1]
; %bb.438:                              ;   in Loop: Header=BB361_203 Depth=1
	v_or_b32_e32 v4, 0x10000, v26
	v_cmp_eq_u32_sdwa vcc, v26, v13 src0_sel:WORD_0 src1_sel:DWORD
	v_cndmask_b32_e32 v4, v4, v26, vcc
; %bb.439:                              ;   in Loop: Header=BB361_203 Depth=1
	s_or_b64 exec, exec, s[0:1]
	v_lshlrev_b32_e32 v26, 16, v44
	v_mul_f32_e32 v27, v36, v26
	v_and_b32_e32 v26, 0x7f800000, v27
	v_cmp_ne_u32_e32 vcc, s18, v26
                                        ; implicit-def: $vgpr26
	s_and_saveexec_b64 s[0:1], vcc
	s_xor_b64 s[0:1], exec, s[0:1]
; %bb.440:                              ;   in Loop: Header=BB361_203 Depth=1
	v_bfe_u32 v26, v27, 16, 1
	v_add3_u32 v26, v27, v26, s19
                                        ; implicit-def: $vgpr27
; %bb.441:                              ;   in Loop: Header=BB361_203 Depth=1
	s_andn2_saveexec_b64 s[0:1], s[0:1]
; %bb.442:                              ;   in Loop: Header=BB361_203 Depth=1
	v_or_b32_e32 v26, 0x10000, v27
	v_cmp_eq_u32_sdwa vcc, v27, v13 src0_sel:WORD_0 src1_sel:DWORD
	v_cndmask_b32_e32 v26, v26, v27, vcc
; %bb.443:                              ;   in Loop: Header=BB361_203 Depth=1
	s_or_b64 exec, exec, s[0:1]
	v_lshlrev_b32_e32 v27, 16, v45
	v_mul_f32_e32 v28, v37, v27
	v_and_b32_e32 v27, 0x7f800000, v28
	v_cmp_ne_u32_e32 vcc, s18, v27
                                        ; implicit-def: $vgpr27
	s_and_saveexec_b64 s[0:1], vcc
	s_xor_b64 s[0:1], exec, s[0:1]
; %bb.444:                              ;   in Loop: Header=BB361_203 Depth=1
	v_bfe_u32 v27, v28, 16, 1
	v_add3_u32 v27, v28, v27, s19
                                        ; implicit-def: $vgpr28
; %bb.445:                              ;   in Loop: Header=BB361_203 Depth=1
	s_andn2_saveexec_b64 s[0:1], s[0:1]
; %bb.446:                              ;   in Loop: Header=BB361_203 Depth=1
	v_or_b32_e32 v27, 0x10000, v28
	v_cmp_eq_u32_sdwa vcc, v28, v13 src0_sel:WORD_0 src1_sel:DWORD
	v_cndmask_b32_e32 v27, v27, v28, vcc
; %bb.447:                              ;   in Loop: Header=BB361_203 Depth=1
	s_or_b64 exec, exec, s[0:1]
	v_lshlrev_b32_e32 v28, 16, v46
	v_mul_f32_e32 v29, v38, v28
	v_and_b32_e32 v28, 0x7f800000, v29
	v_cmp_ne_u32_e32 vcc, s18, v28
                                        ; implicit-def: $vgpr28
	s_and_saveexec_b64 s[0:1], vcc
	s_xor_b64 s[0:1], exec, s[0:1]
; %bb.448:                              ;   in Loop: Header=BB361_203 Depth=1
	v_bfe_u32 v28, v29, 16, 1
	v_add3_u32 v28, v29, v28, s19
                                        ; implicit-def: $vgpr29
; %bb.449:                              ;   in Loop: Header=BB361_203 Depth=1
	s_andn2_saveexec_b64 s[0:1], s[0:1]
; %bb.450:                              ;   in Loop: Header=BB361_203 Depth=1
	v_or_b32_e32 v28, 0x10000, v29
	v_cmp_eq_u32_sdwa vcc, v29, v13 src0_sel:WORD_0 src1_sel:DWORD
	v_cndmask_b32_e32 v28, v28, v29, vcc
; %bb.451:                              ;   in Loop: Header=BB361_203 Depth=1
	s_or_b64 exec, exec, s[0:1]
	v_lshlrev_b32_e32 v29, 16, v47
	v_mul_f32_e32 v30, v39, v29
	v_and_b32_e32 v29, 0x7f800000, v30
	v_cmp_ne_u32_e32 vcc, s18, v29
                                        ; implicit-def: $vgpr29
	s_and_saveexec_b64 s[0:1], vcc
	s_xor_b64 s[0:1], exec, s[0:1]
; %bb.452:                              ;   in Loop: Header=BB361_203 Depth=1
	v_bfe_u32 v29, v30, 16, 1
	v_add3_u32 v29, v30, v29, s19
                                        ; implicit-def: $vgpr30
; %bb.453:                              ;   in Loop: Header=BB361_203 Depth=1
	s_andn2_saveexec_b64 s[0:1], s[0:1]
; %bb.454:                              ;   in Loop: Header=BB361_203 Depth=1
	v_or_b32_e32 v29, 0x10000, v30
	v_cmp_eq_u32_sdwa vcc, v30, v13 src0_sel:WORD_0 src1_sel:DWORD
	v_cndmask_b32_e32 v29, v29, v30, vcc
; %bb.455:                              ;   in Loop: Header=BB361_203 Depth=1
	s_or_b64 exec, exec, s[0:1]
	v_lshlrev_b32_e32 v12, 16, v12
	v_mul_f32_e32 v30, v40, v12
	v_and_b32_e32 v12, 0x7f800000, v30
	v_cmp_ne_u32_e32 vcc, s18, v12
                                        ; implicit-def: $vgpr12
	s_and_saveexec_b64 s[0:1], vcc
	s_xor_b64 s[0:1], exec, s[0:1]
; %bb.456:                              ;   in Loop: Header=BB361_203 Depth=1
	v_bfe_u32 v12, v30, 16, 1
	v_add3_u32 v12, v30, v12, s19
                                        ; implicit-def: $vgpr30
; %bb.457:                              ;   in Loop: Header=BB361_203 Depth=1
	s_andn2_saveexec_b64 s[0:1], s[0:1]
; %bb.458:                              ;   in Loop: Header=BB361_203 Depth=1
	v_or_b32_e32 v12, 0x10000, v30
	v_cmp_eq_u32_sdwa vcc, v30, v13 src0_sel:WORD_0 src1_sel:DWORD
	v_cndmask_b32_e32 v12, v12, v30, vcc
; %bb.459:                              ;   in Loop: Header=BB361_203 Depth=1
	s_or_b64 exec, exec, s[0:1]
	v_lshlrev_b32_e32 v3, 16, v3
	v_mul_f32_e32 v30, v41, v3
	v_and_b32_e32 v3, 0x7f800000, v30
	v_cmp_ne_u32_e32 vcc, s18, v3
                                        ; implicit-def: $vgpr3
	s_and_saveexec_b64 s[0:1], vcc
	s_xor_b64 s[0:1], exec, s[0:1]
; %bb.460:                              ;   in Loop: Header=BB361_203 Depth=1
	v_bfe_u32 v3, v30, 16, 1
	v_add3_u32 v3, v30, v3, s19
                                        ; implicit-def: $vgpr30
; %bb.461:                              ;   in Loop: Header=BB361_203 Depth=1
	s_andn2_saveexec_b64 s[0:1], s[0:1]
	s_cbranch_execz .LBB361_202
; %bb.462:                              ;   in Loop: Header=BB361_203 Depth=1
	v_or_b32_e32 v3, 0x10000, v30
	v_cmp_eq_u32_sdwa vcc, v30, v13 src0_sel:WORD_0 src1_sel:DWORD
	v_cndmask_b32_e32 v3, v3, v30, vcc
	s_branch .LBB361_202
.LBB361_463:
	s_or_b64 exec, exec, s[6:7]
.LBB361_464:
	s_or_b64 exec, exec, s[2:3]
	ds_bpermute_b32 v2, v20, v16
	ds_bpermute_b32 v3, v20, v17
	v_and_b32_e32 v4, 0x3c1, v0
	v_cmp_eq_u32_e32 vcc, 64, v4
	s_waitcnt lgkmcnt(0)
	s_barrier
	v_pk_add_f32 v[2:3], v[16:17], v[2:3]
	s_and_saveexec_b64 s[0:1], vcc
	s_cbranch_execz .LBB361_466
; %bb.465:
	v_mov_b32_e32 v4, 0x90
	v_lshl_add_u32 v1, v1, 1, v4
	ds_write2_b32 v1, v2, v3 offset1:32
.LBB361_466:
	s_or_b64 exec, exec, s[0:1]
	v_cmp_gt_u32_e32 vcc, 64, v0
	s_waitcnt lgkmcnt(0)
	s_barrier
	s_and_saveexec_b64 s[2:3], vcc
	s_cbranch_execz .LBB361_472
; %bb.467:
	v_cmp_eq_u32_e64 s[0:1], 0, v21
	v_lshrrev_b32_e32 v1, 1, v0
	s_and_saveexec_b64 s[4:5], s[0:1]
	s_cbranch_execz .LBB361_469
; %bb.468:
	v_mov_b32_e32 v4, 0x90
	v_lshl_add_u32 v4, v1, 2, v4
	ds_read_b32 v4, v4
	s_waitcnt lgkmcnt(0)
	v_add_f32_e32 v2, v2, v4
.LBB361_469:
	s_or_b64 exec, exec, s[4:5]
	s_and_saveexec_b64 s[4:5], s[0:1]
	s_cbranch_execz .LBB361_471
; %bb.470:
	v_mov_b32_e32 v4, 0x90
	v_lshl_add_u32 v1, v1, 2, v4
	ds_read_b32 v1, v1 offset:128
	s_waitcnt lgkmcnt(0)
	v_add_f32_e32 v3, v3, v1
.LBB361_471:
	s_or_b64 exec, exec, s[4:5]
.LBB361_472:
	s_or_b64 exec, exec, s[2:3]
	s_barrier
	s_and_saveexec_b64 s[0:1], vcc
	s_cbranch_execz .LBB361_483
; %bb.473:
	v_cmp_eq_u32_e32 vcc, 0, v21
	s_and_b64 exec, exec, vcc
	s_cbranch_execz .LBB361_483
; %bb.474:
	s_mov_b32 s0, 0x7f800000
	v_and_b32_e32 v1, 0x7f800000, v2
	v_cmp_ne_u32_e32 vcc, s0, v1
                                        ; implicit-def: $vgpr4
	s_and_saveexec_b64 s[0:1], vcc
	s_xor_b64 s[0:1], exec, s[0:1]
; %bb.475:
	v_bfe_u32 v1, v2, 16, 1
	s_movk_i32 s2, 0x7fff
	v_add3_u32 v4, v2, v1, s2
; %bb.476:
	s_andn2_saveexec_b64 s[0:1], s[0:1]
; %bb.477:
	v_mov_b32_e32 v1, 0
	v_or_b32_e32 v4, 0x10000, v2
	v_cmp_eq_u32_sdwa vcc, v2, v1 src0_sel:WORD_0 src1_sel:DWORD
	v_cndmask_b32_e32 v4, v4, v2, vcc
; %bb.478:
	s_or_b64 exec, exec, s[0:1]
	s_mul_i32 s0, s27, s24
	s_mul_i32 s0, s0, s25
	s_lshl_b32 s0, s0, 6
	s_ashr_i32 s1, s0, 31
	s_lshl_b64 s[0:1], s[0:1], 1
	s_add_u32 s2, s28, s0
	s_mul_i32 s0, s27, s26
	s_addc_u32 s3, s29, s1
	s_ashr_i32 s1, s0, 31
	s_lshl_b64 s[0:1], s[0:1], 1
	s_add_u32 s2, s2, s0
	s_addc_u32 s3, s3, s1
	s_lshl_b32 s0, s8, 6
	s_ashr_i32 s1, s0, 31
	s_lshl_b64 s[0:1], s[0:1], 1
	s_add_u32 s0, s2, s0
	s_addc_u32 s1, s3, s1
	v_and_b32_e32 v2, 0x3fe, v0
	v_mov_b32_e32 v1, s1
	v_add_co_u32_e32 v0, vcc, s0, v2
	v_addc_co_u32_e32 v1, vcc, 0, v1, vcc
	global_store_short_d16_hi v2, v4, s[0:1]
	s_mov_b32 s0, 0x7f800000
	v_and_b32_e32 v2, 0x7f800000, v3
	v_cmp_ne_u32_e32 vcc, s0, v2
                                        ; implicit-def: $vgpr4
	s_and_saveexec_b64 s[0:1], vcc
	s_xor_b64 s[0:1], exec, s[0:1]
; %bb.479:
	v_bfe_u32 v2, v3, 16, 1
	s_movk_i32 s2, 0x7fff
	v_add3_u32 v4, v3, v2, s2
                                        ; implicit-def: $vgpr2_vgpr3
; %bb.480:
	s_andn2_saveexec_b64 s[0:1], s[0:1]
; %bb.481:
	v_mov_b32_e32 v2, 0
	v_or_b32_e32 v4, 0x10000, v3
	v_cmp_eq_u32_sdwa vcc, v3, v2 src0_sel:WORD_0 src1_sel:DWORD
	v_cndmask_b32_e32 v4, v4, v3, vcc
; %bb.482:
	s_or_b64 exec, exec, s[0:1]
	global_store_short_d16_hi v[0:1], v4, off offset:64
.LBB361_483:
	s_endpgm
	.section	.rodata,"a",@progbits
	.p2align	6, 0x0
	.amdhsa_kernel _ZN4vllm25paged_attention_v2_kernelI14__hip_bfloat16hLi64ELi16ELi128ELNS_18Fp8KVCacheDataTypeE1ELb0ELi512EEEvPfS3_PT_PKS4_PKT0_SA_ifPKiSC_iPKfiiiSE_SE_iiiii
		.amdhsa_group_segment_fixed_size 144
		.amdhsa_private_segment_fixed_size 0
		.amdhsa_kernarg_size 400
		.amdhsa_user_sgpr_count 6
		.amdhsa_user_sgpr_private_segment_buffer 1
		.amdhsa_user_sgpr_dispatch_ptr 0
		.amdhsa_user_sgpr_queue_ptr 0
		.amdhsa_user_sgpr_kernarg_segment_ptr 1
		.amdhsa_user_sgpr_dispatch_id 0
		.amdhsa_user_sgpr_flat_scratch_init 0
		.amdhsa_user_sgpr_kernarg_preload_length 0
		.amdhsa_user_sgpr_kernarg_preload_offset 0
		.amdhsa_user_sgpr_private_segment_size 0
		.amdhsa_uses_dynamic_stack 0
		.amdhsa_system_sgpr_private_segment_wavefront_offset 0
		.amdhsa_system_sgpr_workgroup_id_x 1
		.amdhsa_system_sgpr_workgroup_id_y 1
		.amdhsa_system_sgpr_workgroup_id_z 1
		.amdhsa_system_sgpr_workgroup_info 0
		.amdhsa_system_vgpr_workitem_id 0
		.amdhsa_next_free_vgpr 58
		.amdhsa_next_free_sgpr 53
		.amdhsa_accum_offset 60
		.amdhsa_reserve_vcc 1
		.amdhsa_reserve_flat_scratch 0
		.amdhsa_float_round_mode_32 0
		.amdhsa_float_round_mode_16_64 0
		.amdhsa_float_denorm_mode_32 3
		.amdhsa_float_denorm_mode_16_64 3
		.amdhsa_dx10_clamp 1
		.amdhsa_ieee_mode 1
		.amdhsa_fp16_overflow 0
		.amdhsa_tg_split 0
		.amdhsa_exception_fp_ieee_invalid_op 0
		.amdhsa_exception_fp_denorm_src 0
		.amdhsa_exception_fp_ieee_div_zero 0
		.amdhsa_exception_fp_ieee_overflow 0
		.amdhsa_exception_fp_ieee_underflow 0
		.amdhsa_exception_fp_ieee_inexact 0
		.amdhsa_exception_int_div_zero 0
	.end_amdhsa_kernel
	.section	.text._ZN4vllm25paged_attention_v2_kernelI14__hip_bfloat16hLi64ELi16ELi128ELNS_18Fp8KVCacheDataTypeE1ELb0ELi512EEEvPfS3_PT_PKS4_PKT0_SA_ifPKiSC_iPKfiiiSE_SE_iiiii,"axG",@progbits,_ZN4vllm25paged_attention_v2_kernelI14__hip_bfloat16hLi64ELi16ELi128ELNS_18Fp8KVCacheDataTypeE1ELb0ELi512EEEvPfS3_PT_PKS4_PKT0_SA_ifPKiSC_iPKfiiiSE_SE_iiiii,comdat
.Lfunc_end361:
	.size	_ZN4vllm25paged_attention_v2_kernelI14__hip_bfloat16hLi64ELi16ELi128ELNS_18Fp8KVCacheDataTypeE1ELb0ELi512EEEvPfS3_PT_PKS4_PKT0_SA_ifPKiSC_iPKfiiiSE_SE_iiiii, .Lfunc_end361-_ZN4vllm25paged_attention_v2_kernelI14__hip_bfloat16hLi64ELi16ELi128ELNS_18Fp8KVCacheDataTypeE1ELb0ELi512EEEvPfS3_PT_PKS4_PKT0_SA_ifPKiSC_iPKfiiiSE_SE_iiiii
                                        ; -- End function
	.section	.AMDGPU.csdata,"",@progbits
; Kernel info:
; codeLenInByte = 14164
; NumSgprs: 57
; NumVgprs: 58
; NumAgprs: 0
; TotalNumVgprs: 58
; ScratchSize: 0
; MemoryBound: 0
; FloatMode: 240
; IeeeMode: 1
; LDSByteSize: 144 bytes/workgroup (compile time only)
; SGPRBlocks: 7
; VGPRBlocks: 7
; NumSGPRsForWavesPerEU: 57
; NumVGPRsForWavesPerEU: 58
; AccumOffset: 60
; Occupancy: 8
; WaveLimiterHint : 1
; COMPUTE_PGM_RSRC2:SCRATCH_EN: 0
; COMPUTE_PGM_RSRC2:USER_SGPR: 6
; COMPUTE_PGM_RSRC2:TRAP_HANDLER: 0
; COMPUTE_PGM_RSRC2:TGID_X_EN: 1
; COMPUTE_PGM_RSRC2:TGID_Y_EN: 1
; COMPUTE_PGM_RSRC2:TGID_Z_EN: 1
; COMPUTE_PGM_RSRC2:TIDIG_COMP_CNT: 0
; COMPUTE_PGM_RSRC3_GFX90A:ACCUM_OFFSET: 14
; COMPUTE_PGM_RSRC3_GFX90A:TG_SPLIT: 0
	.section	.text._ZN4vllm25paged_attention_v2_kernelI14__hip_bfloat16hLi80ELi16ELi128ELNS_18Fp8KVCacheDataTypeE1ELb0ELi512EEEvPfS3_PT_PKS4_PKT0_SA_ifPKiSC_iPKfiiiSE_SE_iiiii,"axG",@progbits,_ZN4vllm25paged_attention_v2_kernelI14__hip_bfloat16hLi80ELi16ELi128ELNS_18Fp8KVCacheDataTypeE1ELb0ELi512EEEvPfS3_PT_PKS4_PKT0_SA_ifPKiSC_iPKfiiiSE_SE_iiiii,comdat
	.protected	_ZN4vllm25paged_attention_v2_kernelI14__hip_bfloat16hLi80ELi16ELi128ELNS_18Fp8KVCacheDataTypeE1ELb0ELi512EEEvPfS3_PT_PKS4_PKT0_SA_ifPKiSC_iPKfiiiSE_SE_iiiii ; -- Begin function _ZN4vllm25paged_attention_v2_kernelI14__hip_bfloat16hLi80ELi16ELi128ELNS_18Fp8KVCacheDataTypeE1ELb0ELi512EEEvPfS3_PT_PKS4_PKT0_SA_ifPKiSC_iPKfiiiSE_SE_iiiii
	.globl	_ZN4vllm25paged_attention_v2_kernelI14__hip_bfloat16hLi80ELi16ELi128ELNS_18Fp8KVCacheDataTypeE1ELb0ELi512EEEvPfS3_PT_PKS4_PKT0_SA_ifPKiSC_iPKfiiiSE_SE_iiiii
	.p2align	8
	.type	_ZN4vllm25paged_attention_v2_kernelI14__hip_bfloat16hLi80ELi16ELi128ELNS_18Fp8KVCacheDataTypeE1ELb0ELi512EEEvPfS3_PT_PKS4_PKT0_SA_ifPKiSC_iPKfiiiSE_SE_iiiii,@function
_ZN4vllm25paged_attention_v2_kernelI14__hip_bfloat16hLi80ELi16ELi128ELNS_18Fp8KVCacheDataTypeE1ELb0ELi512EEEvPfS3_PT_PKS4_PKT0_SA_ifPKiSC_iPKfiiiSE_SE_iiiii: ; @_ZN4vllm25paged_attention_v2_kernelI14__hip_bfloat16hLi80ELi16ELi128ELNS_18Fp8KVCacheDataTypeE1ELb0ELi512EEEvPfS3_PT_PKS4_PKT0_SA_ifPKiSC_iPKfiiiSE_SE_iiiii
; %bb.0:
	s_load_dwordx2 s[0:1], s[4:5], 0x40
	s_mov_b32 s28, s7
	s_ashr_i32 s29, s7, 31
	s_lshl_b64 s[2:3], s[28:29], 2
	s_waitcnt lgkmcnt(0)
	s_add_u32 s0, s0, s2
	s_addc_u32 s1, s1, s3
	s_load_dword s29, s[0:1], 0x0
	s_lshl_b32 s44, s8, 9
	s_waitcnt lgkmcnt(0)
	s_cmp_ge_i32 s44, s29
	s_cbranch_scc1 .LBB362_650
; %bb.1:
	s_load_dword s9, s[4:5], 0x90
	s_load_dwordx2 s[10:11], s[4:5], 0x30
	s_waitcnt lgkmcnt(0)
	s_abs_i32 s2, s9
	s_abs_i32 s0, s10
	v_cvt_f32_u32_e32 v1, s0
	s_sub_i32 s3, 0, s0
	s_xor_b32 s1, s9, s10
	s_ashr_i32 s1, s1, 31
	v_rcp_iflag_f32_e32 v1, v1
	v_mul_f32_e32 v1, 0x4f7ffffe, v1
	v_cvt_u32_f32_e32 v1, v1
	v_readfirstlane_b32 s7, v1
	s_mul_i32 s3, s3, s7
	s_mul_hi_u32 s3, s7, s3
	s_add_i32 s7, s7, s3
	s_mul_hi_u32 s3, s2, s7
	s_mul_i32 s7, s3, s0
	s_sub_i32 s2, s2, s7
	s_add_i32 s10, s3, 1
	s_sub_i32 s7, s2, s0
	s_cmp_ge_u32 s2, s0
	s_cselect_b32 s3, s10, s3
	s_cselect_b32 s2, s7, s2
	s_add_i32 s7, s3, 1
	s_cmp_ge_u32 s2, s0
	s_cselect_b32 s0, s7, s3
	s_xor_b32 s0, s0, s1
	s_sub_i32 s18, s0, s1
	s_abs_i32 s2, s18
	v_cvt_f32_u32_e32 v1, s2
	s_load_dwordx2 s[0:1], s[4:5], 0x50
	s_sub_i32 s7, 0, s2
	s_abs_i32 s3, s6
	v_rcp_iflag_f32_e32 v1, v1
	s_mov_b32 s10, 0
	v_mul_f32_e32 v1, 0x4f7ffffe, v1
	v_cvt_u32_f32_e32 v1, v1
	v_readfirstlane_b32 s12, v1
	s_mul_i32 s7, s7, s12
	s_mul_hi_u32 s7, s12, s7
	s_add_i32 s12, s12, s7
	s_waitcnt lgkmcnt(0)
	s_cmp_eq_u64 s[0:1], 0
	s_mul_hi_u32 s16, s3, s12
	s_cbranch_scc1 .LBB362_3
; %bb.2:
	s_ashr_i32 s7, s6, 31
	s_lshl_b64 s[12:13], s[6:7], 2
	s_add_u32 s0, s0, s12
	s_addc_u32 s1, s1, s13
	s_load_dword s10, s[0:1], 0x0
.LBB362_3:
	s_load_dwordx4 s[12:15], s[4:5], 0x58
	s_ashr_i32 s17, s6, 31
	s_waitcnt lgkmcnt(0)
	s_ashr_i32 s15, s18, 31
	v_and_b32_e32 v6, 3, v0
	s_mul_i32 s24, s6, 0x50
	v_cmp_gt_u32_e32 vcc, 40, v0
	s_and_saveexec_b64 s[0:1], vcc
	s_cbranch_execz .LBB362_5
; %bb.4:
	s_load_dwordx2 s[18:19], s[4:5], 0x18
	s_mul_i32 s20, s28, s12
	s_ashr_i32 s21, s20, 31
	s_lshl_b64 s[20:21], s[20:21], 1
	v_lshlrev_b32_e32 v1, 2, v0
	s_waitcnt lgkmcnt(0)
	s_add_u32 s7, s18, s20
	s_addc_u32 s12, s19, s21
	s_ashr_i32 s25, s24, 31
	s_lshl_b64 s[18:19], s[24:25], 1
	s_add_u32 s18, s7, s18
	s_addc_u32 s19, s12, s19
	global_load_dword v1, v1, s[18:19]
	v_and_b32_e32 v2, 0x3fc, v0
	v_mad_u32_u24 v2, v6, 40, v2
	s_waitcnt vmcnt(0)
	ds_write_b32 v2, v1
.LBB362_5:
	s_or_b64 exec, exec, s[0:1]
	s_add_i32 s0, s29, 15
	s_ashr_i32 s1, s0, 31
	s_lshr_b32 s1, s1, 28
	s_add_i32 s0, s0, s1
	s_lshl_b32 s7, s8, 5
	s_mul_i32 s1, s16, s2
	s_ashr_i32 s45, s0, 4
	s_add_i32 s0, s7, 32
	s_sub_i32 s1, s3, s1
	s_min_i32 s33, s0, s45
	s_xor_b32 s0, s17, s15
	s_add_i32 s3, s16, 1
	s_sub_i32 s12, s1, s2
	s_cmp_ge_u32 s1, s2
	s_cselect_b32 s3, s3, s16
	s_cselect_b32 s1, s12, s1
	s_add_i32 s12, s3, 1
	s_cmp_ge_u32 s1, s2
	s_load_dwordx2 s[30:31], s[4:5], 0x38
	s_load_dword s2, s[4:5], 0x48
	v_lshrrev_b32_e32 v5, 6, v0
	s_cselect_b32 s1, s12, s3
	s_xor_b32 s1, s1, s0
	v_or_b32_e32 v12, s7, v5
	s_waitcnt lgkmcnt(0)
	s_mul_i32 s34, s28, s2
	s_sub_i32 s12, s1, s0
	s_ashr_i32 s35, s34, 31
	v_cmp_gt_i32_e64 s[0:1], s33, v12
	v_cmp_le_i32_e32 vcc, s33, v12
	v_mbcnt_lo_u32_b32 v7, -1, 0
	s_barrier
	s_waitcnt lgkmcnt(0)
                                        ; implicit-def: $sgpr15
                                        ; implicit-def: $vgpr11
                                        ; implicit-def: $vgpr15
	s_and_saveexec_b64 s[2:3], vcc
	s_xor_b64 s[2:3], exec, s[2:3]
; %bb.6:
	v_mbcnt_hi_u32_b32 v11, -1, v7
	v_and_b32_e32 v1, 64, v11
	v_add_u32_e32 v15, 64, v1
	s_mov_b32 s15, 0xff7fffff
                                        ; implicit-def: $vgpr6
                                        ; implicit-def: $vgpr7
; %bb.7:
	s_or_saveexec_b64 s[38:39], s[2:3]
	s_load_dwordx4 s[20:23], s[4:5], 0x0
	s_load_dwordx2 s[26:27], s[4:5], 0x10
	s_load_dword s25, s[4:5], 0x98
	s_load_dwordx2 s[36:37], s[4:5], 0x28
	s_load_dwordx4 s[16:19], s[4:5], 0x68
	v_mov_b32_e32 v36, s15
	s_mul_i32 s12, s12, s14
	v_ashrrev_i32_e32 v13, 31, v12
	s_xor_b64 exec, exec, s[38:39]
	s_cbranch_execz .LBB362_213
; %bb.8:
	s_load_dwordx2 s[2:3], s[4:5], 0x20
	v_mul_u32_u24_e32 v15, 40, v6
	ds_read2_b64 v[8:11], v15 offset1:1
	ds_read2_b64 v[28:31], v15 offset0:2 offset1:3
	s_ashr_i32 s4, s12, 31
	v_bfe_u32 v14, v0, 2, 4
	s_waitcnt lgkmcnt(0)
	s_add_u32 s2, s2, s12
	v_lshlrev_b32_e32 v2, 4, v14
	s_addc_u32 s3, s3, s4
	v_lshlrev_b32_e32 v22, 16, v11
	v_and_b32_e32 v23, 0xffff0000, v11
	v_mbcnt_hi_u32_b32 v11, -1, v7
	v_mov_b32_e32 v3, s3
	v_add_co_u32_e32 v2, vcc, s2, v2
	v_and_b32_e32 v7, 64, v11
	v_addc_co_u32_e32 v3, vcc, 0, v3, vcc
	v_lshlrev_b32_e32 v16, 16, v8
	v_and_b32_e32 v17, 0xffff0000, v8
	v_lshlrev_b32_e32 v18, 16, v9
	v_and_b32_e32 v19, 0xffff0000, v9
	ds_read_b64 v[8:9], v15 offset:32
	v_add_u32_e32 v15, 64, v7
	v_xor_b32_e32 v7, 2, v11
	v_cmp_lt_i32_e32 vcc, v7, v15
	v_cndmask_b32_e32 v7, v11, v7, vcc
	v_lshlrev_b32_e32 v37, 2, v7
	v_xor_b32_e32 v7, 1, v11
	v_cmp_lt_i32_e32 vcc, v7, v15
	v_lshlrev_b32_e32 v4, 1, v6
	v_cndmask_b32_e32 v7, v11, v7, vcc
	v_cmp_eq_u32_e32 vcc, 0, v6
	v_lshlrev_b32_e32 v6, 4, v5
	s_load_dword s47, s[16:17], 0x0
	s_sub_i32 s48, 1, s29
	v_add3_u32 v39, s44, v6, v14
	v_lshlrev_b32_e32 v6, 2, v14
	s_lshl_b64 s[4:5], s[34:35], 2
	v_lshl_or_b32 v6, v5, 6, v6
	s_add_u32 s4, s30, s4
	v_lshlrev_b32_e32 v38, 2, v7
	v_add_u32_e32 v40, 0xb0, v6
	v_lshlrev_b64 v[6:7], 2, v[12:13]
	s_addc_u32 s5, s31, s5
	s_waitcnt lgkmcnt(0)
	v_lshlrev_b32_e32 v32, 16, v8
	v_and_b32_e32 v33, 0xffff0000, v8
	v_mov_b32_e32 v8, s5
	v_add_co_u32_e64 v6, s[4:5], s4, v6
	s_mov_b32 s46, s13
	v_mov_b32_e32 v1, 0
	v_lshlrev_b32_e32 v20, 16, v10
	v_and_b32_e32 v21, 0xffff0000, v10
	v_lshlrev_b32_e32 v24, 16, v28
	v_and_b32_e32 v25, 0xffff0000, v28
	;; [unrolled: 2-line block ×6, first 2 shown]
	v_cmp_neq_f32_e64 s[2:3], s10, 0
	v_addc_co_u32_e64 v7, s[4:5], v8, v7, s[4:5]
	s_mov_b64 s[14:15], 0
	v_mov_b32_e32 v36, 0xff7fffff
	s_movk_i32 s49, 0x80
	s_movk_i32 s50, 0x7f
	s_mov_b32 s51, 0x7f800000
	s_movk_i32 s52, 0x7fff
	v_bfrev_b32_e32 v41, 60
	v_mov_b32_e32 v42, v12
	s_branch .LBB362_10
.LBB362_9:                              ;   in Loop: Header=BB362_10 Depth=1
	s_or_b64 exec, exec, s[16:17]
	v_add_u32_e32 v42, 2, v42
	v_cmp_le_i32_e64 s[4:5], s33, v42
	s_or_b64 s[14:15], s[4:5], s[14:15]
	v_add_co_u32_e64 v6, s[4:5], 8, v6
	v_add_u32_e32 v39, 32, v39
	v_add_u32_e32 v40, 0x80, v40
	v_addc_co_u32_e64 v7, s[4:5], 0, v7, s[4:5]
	s_andn2_b64 exec, exec, s[14:15]
	s_cbranch_execz .LBB362_212
.LBB362_10:                             ; =>This Inner Loop Header: Depth=1
	global_load_dword v8, v[6:7], off
	s_waitcnt vmcnt(0) lgkmcnt(0)
	v_mad_i64_i32 v[8:9], s[4:5], v8, s46, v[2:3]
	v_add_co_u32_e64 v8, s[4:5], v8, v4
	v_addc_co_u32_e64 v9, s[4:5], 0, v9, s[4:5]
	global_load_ushort v14, v[8:9], off
	s_waitcnt vmcnt(0)
	v_and_b32_e32 v10, 0xffff, v14
	v_cmp_ne_u16_sdwa s[4:5], v14, v1 src0_sel:BYTE_0 src1_sel:DWORD
	v_mov_b32_e32 v14, 0
	s_and_saveexec_b64 s[16:17], s[4:5]
	s_cbranch_execz .LBB362_16
; %bb.11:                               ;   in Loop: Header=BB362_10 Depth=1
	v_cmp_ne_u16_sdwa s[4:5], v10, s49 src0_sel:BYTE_0 src1_sel:DWORD
	v_bfrev_b32_e32 v14, 1
	s_and_saveexec_b64 s[40:41], s[4:5]
	s_cbranch_execz .LBB362_15
; %bb.12:                               ;   in Loop: Header=BB362_10 Depth=1
	v_and_b32_e32 v43, 0x7f, v10
	v_cmp_ne_u32_e64 s[4:5], s50, v43
	v_mov_b32_e32 v14, 0x7f800001
	s_and_saveexec_b64 s[42:43], s[4:5]
	s_cbranch_execz .LBB362_14
; %bb.13:                               ;   in Loop: Header=BB362_10 Depth=1
	v_and_b32_e32 v14, 7, v10
	v_ffbh_u32_e32 v44, v14
	v_min_u32_e32 v47, 32, v44
	v_subrev_u32_e32 v44, 28, v47
	v_lshlrev_b64 v[44:45], v44, v[10:11]
	v_lshrrev_b32_e32 v46, 3, v43
	v_sub_u32_e32 v45, 29, v47
	v_and_b32_e32 v44, 7, v44
	v_cmp_gt_u32_e64 s[4:5], 8, v43
	v_cndmask_b32_e64 v43, v46, v45, s[4:5]
	v_cndmask_b32_e64 v14, v14, v44, s[4:5]
	v_lshlrev_b32_e32 v44, 24, v10
	v_lshlrev_b32_e32 v14, 20, v14
	v_and_b32_e32 v44, 0x80000000, v44
	v_lshl_add_u32 v43, v43, 23, v41
	v_or3_b32 v14, v44, v43, v14
.LBB362_14:                             ;   in Loop: Header=BB362_10 Depth=1
	s_or_b64 exec, exec, s[42:43]
.LBB362_15:                             ;   in Loop: Header=BB362_10 Depth=1
	s_or_b64 exec, exec, s[40:41]
.LBB362_16:                             ;   in Loop: Header=BB362_10 Depth=1
	s_or_b64 exec, exec, s[16:17]
	v_mul_f32_e32 v14, s47, v14
	v_and_b32_e32 v43, 0x7f800000, v14
	v_cmp_ne_u32_e64 s[4:5], s51, v43
                                        ; implicit-def: $vgpr43
	s_and_saveexec_b64 s[16:17], s[4:5]
	s_xor_b64 s[4:5], exec, s[16:17]
; %bb.17:                               ;   in Loop: Header=BB362_10 Depth=1
	v_bfe_u32 v43, v14, 16, 1
	v_add3_u32 v43, v14, v43, s52
                                        ; implicit-def: $vgpr14
; %bb.18:                               ;   in Loop: Header=BB362_10 Depth=1
	s_andn2_saveexec_b64 s[16:17], s[4:5]
; %bb.19:                               ;   in Loop: Header=BB362_10 Depth=1
	v_or_b32_e32 v43, 0x10000, v14
	v_cmp_eq_u32_sdwa s[4:5], v14, v1 src0_sel:WORD_0 src1_sel:DWORD
	v_cndmask_b32_e64 v43, v43, v14, s[4:5]
; %bb.20:                               ;   in Loop: Header=BB362_10 Depth=1
	s_or_b64 exec, exec, s[16:17]
	v_lshrrev_b16_e32 v14, 8, v10
	v_cmp_ne_u16_e64 s[4:5], 0, v14
	v_mov_b32_e32 v44, 0
	s_and_saveexec_b64 s[16:17], s[4:5]
	s_cbranch_execz .LBB362_26
; %bb.21:                               ;   in Loop: Header=BB362_10 Depth=1
	v_cmp_ne_u16_e64 s[4:5], s49, v14
	v_bfrev_b32_e32 v44, 1
	s_and_saveexec_b64 s[40:41], s[4:5]
	s_cbranch_execz .LBB362_25
; %bb.22:                               ;   in Loop: Header=BB362_10 Depth=1
	v_and_b32_e32 v45, 0x7f, v14
	v_cmp_ne_u32_e64 s[4:5], s50, v45
	v_mov_b32_e32 v44, 0x7f800001
	s_and_saveexec_b64 s[42:43], s[4:5]
	s_cbranch_execz .LBB362_24
; %bb.23:                               ;   in Loop: Header=BB362_10 Depth=1
	v_and_b32_e32 v44, 7, v14
	v_ffbh_u32_e32 v46, v44
	v_min_u32_e32 v49, 32, v46
	v_subrev_u32_e32 v46, 28, v49
	v_lshlrev_b64 v[46:47], v46, v[14:15]
	v_lshrrev_b32_e32 v48, 3, v45
	v_sub_u32_e32 v14, 29, v49
	v_and_b32_e32 v46, 7, v46
	v_cmp_gt_u32_e64 s[4:5], 8, v45
	v_cndmask_b32_e64 v14, v48, v14, s[4:5]
	v_cndmask_b32_e64 v44, v44, v46, s[4:5]
	v_lshlrev_b32_e32 v10, 16, v10
	v_lshlrev_b32_e32 v44, 20, v44
	v_and_b32_e32 v10, 0x80000000, v10
	v_lshl_add_u32 v14, v14, 23, v41
	v_or3_b32 v44, v10, v14, v44
.LBB362_24:                             ;   in Loop: Header=BB362_10 Depth=1
	s_or_b64 exec, exec, s[42:43]
.LBB362_25:                             ;   in Loop: Header=BB362_10 Depth=1
	s_or_b64 exec, exec, s[40:41]
.LBB362_26:                             ;   in Loop: Header=BB362_10 Depth=1
	s_or_b64 exec, exec, s[16:17]
	v_mul_f32_e32 v10, s47, v44
	v_and_b32_e32 v14, 0x7f800000, v10
	v_cmp_ne_u32_e64 s[4:5], s51, v14
                                        ; implicit-def: $vgpr44
	s_and_saveexec_b64 s[16:17], s[4:5]
	s_xor_b64 s[4:5], exec, s[16:17]
; %bb.27:                               ;   in Loop: Header=BB362_10 Depth=1
	v_bfe_u32 v14, v10, 16, 1
	v_add3_u32 v44, v10, v14, s52
                                        ; implicit-def: $vgpr10
; %bb.28:                               ;   in Loop: Header=BB362_10 Depth=1
	s_andn2_saveexec_b64 s[16:17], s[4:5]
; %bb.29:                               ;   in Loop: Header=BB362_10 Depth=1
	v_or_b32_e32 v14, 0x10000, v10
	v_cmp_eq_u32_sdwa s[4:5], v10, v1 src0_sel:WORD_0 src1_sel:DWORD
	v_cndmask_b32_e64 v44, v14, v10, s[4:5]
; %bb.30:                               ;   in Loop: Header=BB362_10 Depth=1
	s_or_b64 exec, exec, s[16:17]
	global_load_ushort v14, v[8:9], off offset:8
	s_waitcnt vmcnt(0)
	v_and_b32_e32 v10, 0xffff, v14
	v_cmp_ne_u16_sdwa s[4:5], v14, v1 src0_sel:BYTE_0 src1_sel:DWORD
	v_mov_b32_e32 v14, 0
	s_and_saveexec_b64 s[16:17], s[4:5]
	s_cbranch_execz .LBB362_36
; %bb.31:                               ;   in Loop: Header=BB362_10 Depth=1
	v_cmp_ne_u16_sdwa s[4:5], v10, s49 src0_sel:BYTE_0 src1_sel:DWORD
	v_bfrev_b32_e32 v14, 1
	s_and_saveexec_b64 s[40:41], s[4:5]
	s_cbranch_execz .LBB362_35
; %bb.32:                               ;   in Loop: Header=BB362_10 Depth=1
	v_and_b32_e32 v45, 0x7f, v10
	v_cmp_ne_u32_e64 s[4:5], s50, v45
	v_mov_b32_e32 v14, 0x7f800001
	s_and_saveexec_b64 s[42:43], s[4:5]
	s_cbranch_execz .LBB362_34
; %bb.33:                               ;   in Loop: Header=BB362_10 Depth=1
	v_and_b32_e32 v14, 7, v10
	v_ffbh_u32_e32 v46, v14
	v_min_u32_e32 v49, 32, v46
	v_subrev_u32_e32 v46, 28, v49
	v_lshlrev_b64 v[46:47], v46, v[10:11]
	v_lshrrev_b32_e32 v48, 3, v45
	v_sub_u32_e32 v47, 29, v49
	v_and_b32_e32 v46, 7, v46
	v_cmp_gt_u32_e64 s[4:5], 8, v45
	v_cndmask_b32_e64 v45, v48, v47, s[4:5]
	v_cndmask_b32_e64 v14, v14, v46, s[4:5]
	v_lshlrev_b32_e32 v46, 24, v10
	v_lshlrev_b32_e32 v14, 20, v14
	v_and_b32_e32 v46, 0x80000000, v46
	v_lshl_add_u32 v45, v45, 23, v41
	v_or3_b32 v14, v46, v45, v14
.LBB362_34:                             ;   in Loop: Header=BB362_10 Depth=1
	s_or_b64 exec, exec, s[42:43]
.LBB362_35:                             ;   in Loop: Header=BB362_10 Depth=1
	s_or_b64 exec, exec, s[40:41]
.LBB362_36:                             ;   in Loop: Header=BB362_10 Depth=1
	s_or_b64 exec, exec, s[16:17]
	v_mul_f32_e32 v14, s47, v14
	v_and_b32_e32 v45, 0x7f800000, v14
	v_cmp_ne_u32_e64 s[4:5], s51, v45
                                        ; implicit-def: $vgpr45
	s_and_saveexec_b64 s[16:17], s[4:5]
	s_xor_b64 s[4:5], exec, s[16:17]
; %bb.37:                               ;   in Loop: Header=BB362_10 Depth=1
	v_bfe_u32 v45, v14, 16, 1
	v_add3_u32 v45, v14, v45, s52
                                        ; implicit-def: $vgpr14
; %bb.38:                               ;   in Loop: Header=BB362_10 Depth=1
	s_andn2_saveexec_b64 s[16:17], s[4:5]
; %bb.39:                               ;   in Loop: Header=BB362_10 Depth=1
	v_or_b32_e32 v45, 0x10000, v14
	v_cmp_eq_u32_sdwa s[4:5], v14, v1 src0_sel:WORD_0 src1_sel:DWORD
	v_cndmask_b32_e64 v45, v45, v14, s[4:5]
; %bb.40:                               ;   in Loop: Header=BB362_10 Depth=1
	s_or_b64 exec, exec, s[16:17]
	v_lshrrev_b16_e32 v14, 8, v10
	v_cmp_ne_u16_e64 s[4:5], 0, v14
	v_mov_b32_e32 v46, 0
	s_and_saveexec_b64 s[16:17], s[4:5]
	s_cbranch_execz .LBB362_46
; %bb.41:                               ;   in Loop: Header=BB362_10 Depth=1
	v_cmp_ne_u16_e64 s[4:5], s49, v14
	v_bfrev_b32_e32 v46, 1
	s_and_saveexec_b64 s[40:41], s[4:5]
	s_cbranch_execz .LBB362_45
; %bb.42:                               ;   in Loop: Header=BB362_10 Depth=1
	v_and_b32_e32 v47, 0x7f, v14
	v_cmp_ne_u32_e64 s[4:5], s50, v47
	v_mov_b32_e32 v46, 0x7f800001
	s_and_saveexec_b64 s[42:43], s[4:5]
	s_cbranch_execz .LBB362_44
; %bb.43:                               ;   in Loop: Header=BB362_10 Depth=1
	v_and_b32_e32 v46, 7, v14
	v_ffbh_u32_e32 v48, v46
	v_min_u32_e32 v51, 32, v48
	v_subrev_u32_e32 v48, 28, v51
	v_lshlrev_b64 v[48:49], v48, v[14:15]
	v_lshrrev_b32_e32 v50, 3, v47
	v_sub_u32_e32 v14, 29, v51
	v_and_b32_e32 v48, 7, v48
	v_cmp_gt_u32_e64 s[4:5], 8, v47
	v_cndmask_b32_e64 v14, v50, v14, s[4:5]
	v_cndmask_b32_e64 v46, v46, v48, s[4:5]
	v_lshlrev_b32_e32 v10, 16, v10
	v_lshlrev_b32_e32 v46, 20, v46
	v_and_b32_e32 v10, 0x80000000, v10
	v_lshl_add_u32 v14, v14, 23, v41
	v_or3_b32 v46, v10, v14, v46
.LBB362_44:                             ;   in Loop: Header=BB362_10 Depth=1
	s_or_b64 exec, exec, s[42:43]
.LBB362_45:                             ;   in Loop: Header=BB362_10 Depth=1
	s_or_b64 exec, exec, s[40:41]
.LBB362_46:                             ;   in Loop: Header=BB362_10 Depth=1
	s_or_b64 exec, exec, s[16:17]
	v_mul_f32_e32 v10, s47, v46
	v_and_b32_e32 v14, 0x7f800000, v10
	v_cmp_ne_u32_e64 s[4:5], s51, v14
                                        ; implicit-def: $vgpr46
	s_and_saveexec_b64 s[16:17], s[4:5]
	s_xor_b64 s[4:5], exec, s[16:17]
; %bb.47:                               ;   in Loop: Header=BB362_10 Depth=1
	v_bfe_u32 v14, v10, 16, 1
	v_add3_u32 v46, v10, v14, s52
                                        ; implicit-def: $vgpr10
; %bb.48:                               ;   in Loop: Header=BB362_10 Depth=1
	s_andn2_saveexec_b64 s[16:17], s[4:5]
; %bb.49:                               ;   in Loop: Header=BB362_10 Depth=1
	v_or_b32_e32 v14, 0x10000, v10
	v_cmp_eq_u32_sdwa s[4:5], v10, v1 src0_sel:WORD_0 src1_sel:DWORD
	v_cndmask_b32_e64 v46, v14, v10, s[4:5]
; %bb.50:                               ;   in Loop: Header=BB362_10 Depth=1
	s_or_b64 exec, exec, s[16:17]
	global_load_ushort v14, v[8:9], off offset:256
	s_waitcnt vmcnt(0)
	v_and_b32_e32 v10, 0xffff, v14
	v_cmp_ne_u16_sdwa s[4:5], v14, v1 src0_sel:BYTE_0 src1_sel:DWORD
	v_mov_b32_e32 v14, 0
	s_and_saveexec_b64 s[16:17], s[4:5]
	s_cbranch_execz .LBB362_56
; %bb.51:                               ;   in Loop: Header=BB362_10 Depth=1
	v_cmp_ne_u16_sdwa s[4:5], v10, s49 src0_sel:BYTE_0 src1_sel:DWORD
	v_bfrev_b32_e32 v14, 1
	s_and_saveexec_b64 s[40:41], s[4:5]
	s_cbranch_execz .LBB362_55
; %bb.52:                               ;   in Loop: Header=BB362_10 Depth=1
	v_and_b32_e32 v47, 0x7f, v10
	v_cmp_ne_u32_e64 s[4:5], s50, v47
	v_mov_b32_e32 v14, 0x7f800001
	s_and_saveexec_b64 s[42:43], s[4:5]
	s_cbranch_execz .LBB362_54
; %bb.53:                               ;   in Loop: Header=BB362_10 Depth=1
	v_and_b32_e32 v14, 7, v10
	v_ffbh_u32_e32 v48, v14
	v_min_u32_e32 v51, 32, v48
	v_subrev_u32_e32 v48, 28, v51
	v_lshlrev_b64 v[48:49], v48, v[10:11]
	v_lshrrev_b32_e32 v50, 3, v47
	v_sub_u32_e32 v49, 29, v51
	v_and_b32_e32 v48, 7, v48
	v_cmp_gt_u32_e64 s[4:5], 8, v47
	v_cndmask_b32_e64 v47, v50, v49, s[4:5]
	v_cndmask_b32_e64 v14, v14, v48, s[4:5]
	v_lshlrev_b32_e32 v48, 24, v10
	v_lshlrev_b32_e32 v14, 20, v14
	v_and_b32_e32 v48, 0x80000000, v48
	v_lshl_add_u32 v47, v47, 23, v41
	v_or3_b32 v14, v48, v47, v14
.LBB362_54:                             ;   in Loop: Header=BB362_10 Depth=1
	s_or_b64 exec, exec, s[42:43]
.LBB362_55:                             ;   in Loop: Header=BB362_10 Depth=1
	s_or_b64 exec, exec, s[40:41]
.LBB362_56:                             ;   in Loop: Header=BB362_10 Depth=1
	s_or_b64 exec, exec, s[16:17]
	v_mul_f32_e32 v14, s47, v14
	v_and_b32_e32 v47, 0x7f800000, v14
	v_cmp_ne_u32_e64 s[4:5], s51, v47
                                        ; implicit-def: $vgpr47
	s_and_saveexec_b64 s[16:17], s[4:5]
	s_xor_b64 s[4:5], exec, s[16:17]
; %bb.57:                               ;   in Loop: Header=BB362_10 Depth=1
	v_bfe_u32 v47, v14, 16, 1
	v_add3_u32 v47, v14, v47, s52
                                        ; implicit-def: $vgpr14
; %bb.58:                               ;   in Loop: Header=BB362_10 Depth=1
	s_andn2_saveexec_b64 s[16:17], s[4:5]
; %bb.59:                               ;   in Loop: Header=BB362_10 Depth=1
	v_or_b32_e32 v47, 0x10000, v14
	v_cmp_eq_u32_sdwa s[4:5], v14, v1 src0_sel:WORD_0 src1_sel:DWORD
	v_cndmask_b32_e64 v47, v47, v14, s[4:5]
; %bb.60:                               ;   in Loop: Header=BB362_10 Depth=1
	s_or_b64 exec, exec, s[16:17]
	v_lshrrev_b16_e32 v14, 8, v10
	v_cmp_ne_u16_e64 s[4:5], 0, v14
	v_mov_b32_e32 v48, 0
	s_and_saveexec_b64 s[16:17], s[4:5]
	s_cbranch_execz .LBB362_66
; %bb.61:                               ;   in Loop: Header=BB362_10 Depth=1
	v_cmp_ne_u16_e64 s[4:5], s49, v14
	v_bfrev_b32_e32 v48, 1
	s_and_saveexec_b64 s[40:41], s[4:5]
	s_cbranch_execz .LBB362_65
; %bb.62:                               ;   in Loop: Header=BB362_10 Depth=1
	v_and_b32_e32 v49, 0x7f, v14
	v_cmp_ne_u32_e64 s[4:5], s50, v49
	v_mov_b32_e32 v48, 0x7f800001
	s_and_saveexec_b64 s[42:43], s[4:5]
	s_cbranch_execz .LBB362_64
; %bb.63:                               ;   in Loop: Header=BB362_10 Depth=1
	v_and_b32_e32 v48, 7, v14
	v_ffbh_u32_e32 v50, v48
	v_min_u32_e32 v53, 32, v50
	v_subrev_u32_e32 v50, 28, v53
	v_lshlrev_b64 v[50:51], v50, v[14:15]
	v_lshrrev_b32_e32 v52, 3, v49
	v_sub_u32_e32 v14, 29, v53
	v_and_b32_e32 v50, 7, v50
	v_cmp_gt_u32_e64 s[4:5], 8, v49
	v_cndmask_b32_e64 v14, v52, v14, s[4:5]
	v_cndmask_b32_e64 v48, v48, v50, s[4:5]
	v_lshlrev_b32_e32 v10, 16, v10
	v_lshlrev_b32_e32 v48, 20, v48
	v_and_b32_e32 v10, 0x80000000, v10
	v_lshl_add_u32 v14, v14, 23, v41
	v_or3_b32 v48, v10, v14, v48
.LBB362_64:                             ;   in Loop: Header=BB362_10 Depth=1
	s_or_b64 exec, exec, s[42:43]
.LBB362_65:                             ;   in Loop: Header=BB362_10 Depth=1
	s_or_b64 exec, exec, s[40:41]
.LBB362_66:                             ;   in Loop: Header=BB362_10 Depth=1
	s_or_b64 exec, exec, s[16:17]
	v_mul_f32_e32 v10, s47, v48
	v_and_b32_e32 v14, 0x7f800000, v10
	v_cmp_ne_u32_e64 s[4:5], s51, v14
                                        ; implicit-def: $vgpr48
	s_and_saveexec_b64 s[16:17], s[4:5]
	s_xor_b64 s[4:5], exec, s[16:17]
; %bb.67:                               ;   in Loop: Header=BB362_10 Depth=1
	v_bfe_u32 v14, v10, 16, 1
	v_add3_u32 v48, v10, v14, s52
                                        ; implicit-def: $vgpr10
; %bb.68:                               ;   in Loop: Header=BB362_10 Depth=1
	s_andn2_saveexec_b64 s[16:17], s[4:5]
; %bb.69:                               ;   in Loop: Header=BB362_10 Depth=1
	v_or_b32_e32 v14, 0x10000, v10
	v_cmp_eq_u32_sdwa s[4:5], v10, v1 src0_sel:WORD_0 src1_sel:DWORD
	v_cndmask_b32_e64 v48, v14, v10, s[4:5]
; %bb.70:                               ;   in Loop: Header=BB362_10 Depth=1
	s_or_b64 exec, exec, s[16:17]
	global_load_ushort v14, v[8:9], off offset:264
	s_waitcnt vmcnt(0)
	v_and_b32_e32 v10, 0xffff, v14
	v_cmp_ne_u16_sdwa s[4:5], v14, v1 src0_sel:BYTE_0 src1_sel:DWORD
	v_mov_b32_e32 v14, 0
	s_and_saveexec_b64 s[16:17], s[4:5]
	s_cbranch_execz .LBB362_76
; %bb.71:                               ;   in Loop: Header=BB362_10 Depth=1
	v_cmp_ne_u16_sdwa s[4:5], v10, s49 src0_sel:BYTE_0 src1_sel:DWORD
	v_bfrev_b32_e32 v14, 1
	s_and_saveexec_b64 s[40:41], s[4:5]
	s_cbranch_execz .LBB362_75
; %bb.72:                               ;   in Loop: Header=BB362_10 Depth=1
	v_and_b32_e32 v49, 0x7f, v10
	v_cmp_ne_u32_e64 s[4:5], s50, v49
	v_mov_b32_e32 v14, 0x7f800001
	s_and_saveexec_b64 s[42:43], s[4:5]
	s_cbranch_execz .LBB362_74
; %bb.73:                               ;   in Loop: Header=BB362_10 Depth=1
	v_and_b32_e32 v14, 7, v10
	v_ffbh_u32_e32 v50, v14
	v_min_u32_e32 v53, 32, v50
	v_subrev_u32_e32 v50, 28, v53
	v_lshlrev_b64 v[50:51], v50, v[10:11]
	v_lshrrev_b32_e32 v52, 3, v49
	v_sub_u32_e32 v51, 29, v53
	v_and_b32_e32 v50, 7, v50
	v_cmp_gt_u32_e64 s[4:5], 8, v49
	v_cndmask_b32_e64 v49, v52, v51, s[4:5]
	v_cndmask_b32_e64 v14, v14, v50, s[4:5]
	v_lshlrev_b32_e32 v50, 24, v10
	v_lshlrev_b32_e32 v14, 20, v14
	v_and_b32_e32 v50, 0x80000000, v50
	v_lshl_add_u32 v49, v49, 23, v41
	v_or3_b32 v14, v50, v49, v14
.LBB362_74:                             ;   in Loop: Header=BB362_10 Depth=1
	s_or_b64 exec, exec, s[42:43]
.LBB362_75:                             ;   in Loop: Header=BB362_10 Depth=1
	s_or_b64 exec, exec, s[40:41]
.LBB362_76:                             ;   in Loop: Header=BB362_10 Depth=1
	s_or_b64 exec, exec, s[16:17]
	v_mul_f32_e32 v14, s47, v14
	v_and_b32_e32 v49, 0x7f800000, v14
	v_cmp_ne_u32_e64 s[4:5], s51, v49
                                        ; implicit-def: $vgpr49
	s_and_saveexec_b64 s[16:17], s[4:5]
	s_xor_b64 s[4:5], exec, s[16:17]
; %bb.77:                               ;   in Loop: Header=BB362_10 Depth=1
	v_bfe_u32 v49, v14, 16, 1
	v_add3_u32 v49, v14, v49, s52
                                        ; implicit-def: $vgpr14
; %bb.78:                               ;   in Loop: Header=BB362_10 Depth=1
	s_andn2_saveexec_b64 s[16:17], s[4:5]
; %bb.79:                               ;   in Loop: Header=BB362_10 Depth=1
	v_or_b32_e32 v49, 0x10000, v14
	v_cmp_eq_u32_sdwa s[4:5], v14, v1 src0_sel:WORD_0 src1_sel:DWORD
	v_cndmask_b32_e64 v49, v49, v14, s[4:5]
; %bb.80:                               ;   in Loop: Header=BB362_10 Depth=1
	s_or_b64 exec, exec, s[16:17]
	v_lshrrev_b16_e32 v14, 8, v10
	v_cmp_ne_u16_e64 s[4:5], 0, v14
	v_mov_b32_e32 v50, 0
	s_and_saveexec_b64 s[16:17], s[4:5]
	s_cbranch_execz .LBB362_86
; %bb.81:                               ;   in Loop: Header=BB362_10 Depth=1
	v_cmp_ne_u16_e64 s[4:5], s49, v14
	v_bfrev_b32_e32 v50, 1
	s_and_saveexec_b64 s[40:41], s[4:5]
	s_cbranch_execz .LBB362_85
; %bb.82:                               ;   in Loop: Header=BB362_10 Depth=1
	v_and_b32_e32 v51, 0x7f, v14
	v_cmp_ne_u32_e64 s[4:5], s50, v51
	v_mov_b32_e32 v50, 0x7f800001
	s_and_saveexec_b64 s[42:43], s[4:5]
	s_cbranch_execz .LBB362_84
; %bb.83:                               ;   in Loop: Header=BB362_10 Depth=1
	v_and_b32_e32 v50, 7, v14
	v_ffbh_u32_e32 v52, v50
	v_min_u32_e32 v55, 32, v52
	v_subrev_u32_e32 v52, 28, v55
	v_lshlrev_b64 v[52:53], v52, v[14:15]
	v_lshrrev_b32_e32 v54, 3, v51
	v_sub_u32_e32 v14, 29, v55
	v_and_b32_e32 v52, 7, v52
	v_cmp_gt_u32_e64 s[4:5], 8, v51
	v_cndmask_b32_e64 v14, v54, v14, s[4:5]
	v_cndmask_b32_e64 v50, v50, v52, s[4:5]
	v_lshlrev_b32_e32 v10, 16, v10
	v_lshlrev_b32_e32 v50, 20, v50
	v_and_b32_e32 v10, 0x80000000, v10
	v_lshl_add_u32 v14, v14, 23, v41
	v_or3_b32 v50, v10, v14, v50
.LBB362_84:                             ;   in Loop: Header=BB362_10 Depth=1
	s_or_b64 exec, exec, s[42:43]
.LBB362_85:                             ;   in Loop: Header=BB362_10 Depth=1
	s_or_b64 exec, exec, s[40:41]
.LBB362_86:                             ;   in Loop: Header=BB362_10 Depth=1
	s_or_b64 exec, exec, s[16:17]
	v_mul_f32_e32 v10, s47, v50
	v_and_b32_e32 v14, 0x7f800000, v10
	v_cmp_ne_u32_e64 s[4:5], s51, v14
                                        ; implicit-def: $vgpr50
	s_and_saveexec_b64 s[16:17], s[4:5]
	s_xor_b64 s[4:5], exec, s[16:17]
; %bb.87:                               ;   in Loop: Header=BB362_10 Depth=1
	v_bfe_u32 v14, v10, 16, 1
	v_add3_u32 v50, v10, v14, s52
                                        ; implicit-def: $vgpr10
; %bb.88:                               ;   in Loop: Header=BB362_10 Depth=1
	s_andn2_saveexec_b64 s[16:17], s[4:5]
; %bb.89:                               ;   in Loop: Header=BB362_10 Depth=1
	v_or_b32_e32 v14, 0x10000, v10
	v_cmp_eq_u32_sdwa s[4:5], v10, v1 src0_sel:WORD_0 src1_sel:DWORD
	v_cndmask_b32_e64 v50, v14, v10, s[4:5]
; %bb.90:                               ;   in Loop: Header=BB362_10 Depth=1
	s_or_b64 exec, exec, s[16:17]
	global_load_ushort v14, v[8:9], off offset:512
	s_waitcnt vmcnt(0)
	v_and_b32_e32 v10, 0xffff, v14
	v_cmp_ne_u16_sdwa s[4:5], v14, v1 src0_sel:BYTE_0 src1_sel:DWORD
	v_mov_b32_e32 v14, 0
	s_and_saveexec_b64 s[16:17], s[4:5]
	s_cbranch_execz .LBB362_96
; %bb.91:                               ;   in Loop: Header=BB362_10 Depth=1
	v_cmp_ne_u16_sdwa s[4:5], v10, s49 src0_sel:BYTE_0 src1_sel:DWORD
	v_bfrev_b32_e32 v14, 1
	s_and_saveexec_b64 s[40:41], s[4:5]
	s_cbranch_execz .LBB362_95
; %bb.92:                               ;   in Loop: Header=BB362_10 Depth=1
	v_and_b32_e32 v51, 0x7f, v10
	v_cmp_ne_u32_e64 s[4:5], s50, v51
	v_mov_b32_e32 v14, 0x7f800001
	s_and_saveexec_b64 s[42:43], s[4:5]
	s_cbranch_execz .LBB362_94
; %bb.93:                               ;   in Loop: Header=BB362_10 Depth=1
	v_and_b32_e32 v14, 7, v10
	v_ffbh_u32_e32 v52, v14
	v_min_u32_e32 v55, 32, v52
	v_subrev_u32_e32 v52, 28, v55
	v_lshlrev_b64 v[52:53], v52, v[10:11]
	v_lshrrev_b32_e32 v54, 3, v51
	v_sub_u32_e32 v53, 29, v55
	v_and_b32_e32 v52, 7, v52
	v_cmp_gt_u32_e64 s[4:5], 8, v51
	v_cndmask_b32_e64 v51, v54, v53, s[4:5]
	v_cndmask_b32_e64 v14, v14, v52, s[4:5]
	v_lshlrev_b32_e32 v52, 24, v10
	v_lshlrev_b32_e32 v14, 20, v14
	v_and_b32_e32 v52, 0x80000000, v52
	v_lshl_add_u32 v51, v51, 23, v41
	v_or3_b32 v14, v52, v51, v14
.LBB362_94:                             ;   in Loop: Header=BB362_10 Depth=1
	s_or_b64 exec, exec, s[42:43]
.LBB362_95:                             ;   in Loop: Header=BB362_10 Depth=1
	s_or_b64 exec, exec, s[40:41]
.LBB362_96:                             ;   in Loop: Header=BB362_10 Depth=1
	s_or_b64 exec, exec, s[16:17]
	v_mul_f32_e32 v14, s47, v14
	v_and_b32_e32 v51, 0x7f800000, v14
	v_cmp_ne_u32_e64 s[4:5], s51, v51
                                        ; implicit-def: $vgpr51
	s_and_saveexec_b64 s[16:17], s[4:5]
	s_xor_b64 s[4:5], exec, s[16:17]
; %bb.97:                               ;   in Loop: Header=BB362_10 Depth=1
	v_bfe_u32 v51, v14, 16, 1
	v_add3_u32 v51, v14, v51, s52
                                        ; implicit-def: $vgpr14
; %bb.98:                               ;   in Loop: Header=BB362_10 Depth=1
	s_andn2_saveexec_b64 s[16:17], s[4:5]
; %bb.99:                               ;   in Loop: Header=BB362_10 Depth=1
	v_or_b32_e32 v51, 0x10000, v14
	v_cmp_eq_u32_sdwa s[4:5], v14, v1 src0_sel:WORD_0 src1_sel:DWORD
	v_cndmask_b32_e64 v51, v51, v14, s[4:5]
; %bb.100:                              ;   in Loop: Header=BB362_10 Depth=1
	s_or_b64 exec, exec, s[16:17]
	v_lshrrev_b16_e32 v14, 8, v10
	v_cmp_ne_u16_e64 s[4:5], 0, v14
	v_mov_b32_e32 v52, 0
	s_and_saveexec_b64 s[16:17], s[4:5]
	s_cbranch_execz .LBB362_106
; %bb.101:                              ;   in Loop: Header=BB362_10 Depth=1
	v_cmp_ne_u16_e64 s[4:5], s49, v14
	v_bfrev_b32_e32 v52, 1
	s_and_saveexec_b64 s[40:41], s[4:5]
	s_cbranch_execz .LBB362_105
; %bb.102:                              ;   in Loop: Header=BB362_10 Depth=1
	v_and_b32_e32 v53, 0x7f, v14
	v_cmp_ne_u32_e64 s[4:5], s50, v53
	v_mov_b32_e32 v52, 0x7f800001
	s_and_saveexec_b64 s[42:43], s[4:5]
	s_cbranch_execz .LBB362_104
; %bb.103:                              ;   in Loop: Header=BB362_10 Depth=1
	v_and_b32_e32 v52, 7, v14
	v_ffbh_u32_e32 v54, v52
	v_min_u32_e32 v57, 32, v54
	v_subrev_u32_e32 v54, 28, v57
	v_lshlrev_b64 v[54:55], v54, v[14:15]
	v_lshrrev_b32_e32 v56, 3, v53
	v_sub_u32_e32 v14, 29, v57
	v_and_b32_e32 v54, 7, v54
	v_cmp_gt_u32_e64 s[4:5], 8, v53
	v_cndmask_b32_e64 v14, v56, v14, s[4:5]
	v_cndmask_b32_e64 v52, v52, v54, s[4:5]
	v_lshlrev_b32_e32 v10, 16, v10
	v_lshlrev_b32_e32 v52, 20, v52
	v_and_b32_e32 v10, 0x80000000, v10
	v_lshl_add_u32 v14, v14, 23, v41
	v_or3_b32 v52, v10, v14, v52
.LBB362_104:                            ;   in Loop: Header=BB362_10 Depth=1
	s_or_b64 exec, exec, s[42:43]
.LBB362_105:                            ;   in Loop: Header=BB362_10 Depth=1
	s_or_b64 exec, exec, s[40:41]
.LBB362_106:                            ;   in Loop: Header=BB362_10 Depth=1
	s_or_b64 exec, exec, s[16:17]
	v_mul_f32_e32 v10, s47, v52
	v_and_b32_e32 v14, 0x7f800000, v10
	v_cmp_ne_u32_e64 s[4:5], s51, v14
                                        ; implicit-def: $vgpr52
	s_and_saveexec_b64 s[16:17], s[4:5]
	s_xor_b64 s[4:5], exec, s[16:17]
; %bb.107:                              ;   in Loop: Header=BB362_10 Depth=1
	v_bfe_u32 v14, v10, 16, 1
	v_add3_u32 v52, v10, v14, s52
                                        ; implicit-def: $vgpr10
; %bb.108:                              ;   in Loop: Header=BB362_10 Depth=1
	s_andn2_saveexec_b64 s[16:17], s[4:5]
; %bb.109:                              ;   in Loop: Header=BB362_10 Depth=1
	v_or_b32_e32 v14, 0x10000, v10
	v_cmp_eq_u32_sdwa s[4:5], v10, v1 src0_sel:WORD_0 src1_sel:DWORD
	v_cndmask_b32_e64 v52, v14, v10, s[4:5]
; %bb.110:                              ;   in Loop: Header=BB362_10 Depth=1
	s_or_b64 exec, exec, s[16:17]
	global_load_ushort v14, v[8:9], off offset:520
	s_waitcnt vmcnt(0)
	v_and_b32_e32 v10, 0xffff, v14
	v_cmp_ne_u16_sdwa s[4:5], v14, v1 src0_sel:BYTE_0 src1_sel:DWORD
	v_mov_b32_e32 v14, 0
	s_and_saveexec_b64 s[16:17], s[4:5]
	s_cbranch_execz .LBB362_116
; %bb.111:                              ;   in Loop: Header=BB362_10 Depth=1
	v_cmp_ne_u16_sdwa s[4:5], v10, s49 src0_sel:BYTE_0 src1_sel:DWORD
	v_bfrev_b32_e32 v14, 1
	s_and_saveexec_b64 s[40:41], s[4:5]
	s_cbranch_execz .LBB362_115
; %bb.112:                              ;   in Loop: Header=BB362_10 Depth=1
	v_and_b32_e32 v53, 0x7f, v10
	v_cmp_ne_u32_e64 s[4:5], s50, v53
	v_mov_b32_e32 v14, 0x7f800001
	s_and_saveexec_b64 s[42:43], s[4:5]
	s_cbranch_execz .LBB362_114
; %bb.113:                              ;   in Loop: Header=BB362_10 Depth=1
	v_and_b32_e32 v14, 7, v10
	v_ffbh_u32_e32 v54, v14
	v_min_u32_e32 v57, 32, v54
	v_subrev_u32_e32 v54, 28, v57
	v_lshlrev_b64 v[54:55], v54, v[10:11]
	v_lshrrev_b32_e32 v56, 3, v53
	v_sub_u32_e32 v55, 29, v57
	v_and_b32_e32 v54, 7, v54
	v_cmp_gt_u32_e64 s[4:5], 8, v53
	v_cndmask_b32_e64 v53, v56, v55, s[4:5]
	v_cndmask_b32_e64 v14, v14, v54, s[4:5]
	v_lshlrev_b32_e32 v54, 24, v10
	v_lshlrev_b32_e32 v14, 20, v14
	v_and_b32_e32 v54, 0x80000000, v54
	v_lshl_add_u32 v53, v53, 23, v41
	v_or3_b32 v14, v54, v53, v14
.LBB362_114:                            ;   in Loop: Header=BB362_10 Depth=1
	s_or_b64 exec, exec, s[42:43]
.LBB362_115:                            ;   in Loop: Header=BB362_10 Depth=1
	s_or_b64 exec, exec, s[40:41]
.LBB362_116:                            ;   in Loop: Header=BB362_10 Depth=1
	s_or_b64 exec, exec, s[16:17]
	v_mul_f32_e32 v14, s47, v14
	v_and_b32_e32 v53, 0x7f800000, v14
	v_cmp_ne_u32_e64 s[4:5], s51, v53
                                        ; implicit-def: $vgpr53
	s_and_saveexec_b64 s[16:17], s[4:5]
	s_xor_b64 s[4:5], exec, s[16:17]
; %bb.117:                              ;   in Loop: Header=BB362_10 Depth=1
	v_bfe_u32 v53, v14, 16, 1
	v_add3_u32 v53, v14, v53, s52
                                        ; implicit-def: $vgpr14
; %bb.118:                              ;   in Loop: Header=BB362_10 Depth=1
	s_andn2_saveexec_b64 s[16:17], s[4:5]
; %bb.119:                              ;   in Loop: Header=BB362_10 Depth=1
	v_or_b32_e32 v53, 0x10000, v14
	v_cmp_eq_u32_sdwa s[4:5], v14, v1 src0_sel:WORD_0 src1_sel:DWORD
	v_cndmask_b32_e64 v53, v53, v14, s[4:5]
; %bb.120:                              ;   in Loop: Header=BB362_10 Depth=1
	s_or_b64 exec, exec, s[16:17]
	v_lshrrev_b16_e32 v14, 8, v10
	v_cmp_ne_u16_e64 s[4:5], 0, v14
	v_mov_b32_e32 v54, 0
	s_and_saveexec_b64 s[16:17], s[4:5]
	s_cbranch_execz .LBB362_126
; %bb.121:                              ;   in Loop: Header=BB362_10 Depth=1
	v_cmp_ne_u16_e64 s[4:5], s49, v14
	v_bfrev_b32_e32 v54, 1
	s_and_saveexec_b64 s[40:41], s[4:5]
	s_cbranch_execz .LBB362_125
; %bb.122:                              ;   in Loop: Header=BB362_10 Depth=1
	v_and_b32_e32 v55, 0x7f, v14
	v_cmp_ne_u32_e64 s[4:5], s50, v55
	v_mov_b32_e32 v54, 0x7f800001
	s_and_saveexec_b64 s[42:43], s[4:5]
	s_cbranch_execz .LBB362_124
; %bb.123:                              ;   in Loop: Header=BB362_10 Depth=1
	v_and_b32_e32 v54, 7, v14
	v_ffbh_u32_e32 v56, v54
	v_min_u32_e32 v59, 32, v56
	v_subrev_u32_e32 v56, 28, v59
	v_lshlrev_b64 v[56:57], v56, v[14:15]
	v_lshrrev_b32_e32 v58, 3, v55
	v_sub_u32_e32 v14, 29, v59
	v_and_b32_e32 v56, 7, v56
	v_cmp_gt_u32_e64 s[4:5], 8, v55
	v_cndmask_b32_e64 v14, v58, v14, s[4:5]
	v_cndmask_b32_e64 v54, v54, v56, s[4:5]
	v_lshlrev_b32_e32 v10, 16, v10
	v_lshlrev_b32_e32 v54, 20, v54
	v_and_b32_e32 v10, 0x80000000, v10
	v_lshl_add_u32 v14, v14, 23, v41
	v_or3_b32 v54, v10, v14, v54
.LBB362_124:                            ;   in Loop: Header=BB362_10 Depth=1
	s_or_b64 exec, exec, s[42:43]
.LBB362_125:                            ;   in Loop: Header=BB362_10 Depth=1
	s_or_b64 exec, exec, s[40:41]
.LBB362_126:                            ;   in Loop: Header=BB362_10 Depth=1
	s_or_b64 exec, exec, s[16:17]
	v_mul_f32_e32 v10, s47, v54
	v_and_b32_e32 v14, 0x7f800000, v10
	v_cmp_ne_u32_e64 s[4:5], s51, v14
                                        ; implicit-def: $vgpr54
	s_and_saveexec_b64 s[16:17], s[4:5]
	s_xor_b64 s[4:5], exec, s[16:17]
; %bb.127:                              ;   in Loop: Header=BB362_10 Depth=1
	v_bfe_u32 v14, v10, 16, 1
	v_add3_u32 v54, v10, v14, s52
                                        ; implicit-def: $vgpr10
; %bb.128:                              ;   in Loop: Header=BB362_10 Depth=1
	s_andn2_saveexec_b64 s[16:17], s[4:5]
; %bb.129:                              ;   in Loop: Header=BB362_10 Depth=1
	v_or_b32_e32 v14, 0x10000, v10
	v_cmp_eq_u32_sdwa s[4:5], v10, v1 src0_sel:WORD_0 src1_sel:DWORD
	v_cndmask_b32_e64 v54, v14, v10, s[4:5]
; %bb.130:                              ;   in Loop: Header=BB362_10 Depth=1
	s_or_b64 exec, exec, s[16:17]
	global_load_ushort v14, v[8:9], off offset:768
	s_waitcnt vmcnt(0)
	v_and_b32_e32 v10, 0xffff, v14
	v_cmp_ne_u16_sdwa s[4:5], v14, v1 src0_sel:BYTE_0 src1_sel:DWORD
	v_mov_b32_e32 v14, 0
	s_and_saveexec_b64 s[16:17], s[4:5]
	s_cbranch_execz .LBB362_136
; %bb.131:                              ;   in Loop: Header=BB362_10 Depth=1
	v_cmp_ne_u16_sdwa s[4:5], v10, s49 src0_sel:BYTE_0 src1_sel:DWORD
	v_bfrev_b32_e32 v14, 1
	s_and_saveexec_b64 s[40:41], s[4:5]
	s_cbranch_execz .LBB362_135
; %bb.132:                              ;   in Loop: Header=BB362_10 Depth=1
	v_and_b32_e32 v55, 0x7f, v10
	v_cmp_ne_u32_e64 s[4:5], s50, v55
	v_mov_b32_e32 v14, 0x7f800001
	s_and_saveexec_b64 s[42:43], s[4:5]
	s_cbranch_execz .LBB362_134
; %bb.133:                              ;   in Loop: Header=BB362_10 Depth=1
	v_and_b32_e32 v14, 7, v10
	v_ffbh_u32_e32 v56, v14
	v_min_u32_e32 v59, 32, v56
	v_subrev_u32_e32 v56, 28, v59
	v_lshlrev_b64 v[56:57], v56, v[10:11]
	v_lshrrev_b32_e32 v58, 3, v55
	v_sub_u32_e32 v57, 29, v59
	v_and_b32_e32 v56, 7, v56
	v_cmp_gt_u32_e64 s[4:5], 8, v55
	v_cndmask_b32_e64 v55, v58, v57, s[4:5]
	v_cndmask_b32_e64 v14, v14, v56, s[4:5]
	v_lshlrev_b32_e32 v56, 24, v10
	v_lshlrev_b32_e32 v14, 20, v14
	v_and_b32_e32 v56, 0x80000000, v56
	v_lshl_add_u32 v55, v55, 23, v41
	v_or3_b32 v14, v56, v55, v14
.LBB362_134:                            ;   in Loop: Header=BB362_10 Depth=1
	s_or_b64 exec, exec, s[42:43]
.LBB362_135:                            ;   in Loop: Header=BB362_10 Depth=1
	s_or_b64 exec, exec, s[40:41]
.LBB362_136:                            ;   in Loop: Header=BB362_10 Depth=1
	s_or_b64 exec, exec, s[16:17]
	v_mul_f32_e32 v14, s47, v14
	v_and_b32_e32 v55, 0x7f800000, v14
	v_cmp_ne_u32_e64 s[4:5], s51, v55
                                        ; implicit-def: $vgpr55
	s_and_saveexec_b64 s[16:17], s[4:5]
	s_xor_b64 s[4:5], exec, s[16:17]
; %bb.137:                              ;   in Loop: Header=BB362_10 Depth=1
	v_bfe_u32 v55, v14, 16, 1
	v_add3_u32 v55, v14, v55, s52
                                        ; implicit-def: $vgpr14
; %bb.138:                              ;   in Loop: Header=BB362_10 Depth=1
	s_andn2_saveexec_b64 s[16:17], s[4:5]
; %bb.139:                              ;   in Loop: Header=BB362_10 Depth=1
	v_or_b32_e32 v55, 0x10000, v14
	v_cmp_eq_u32_sdwa s[4:5], v14, v1 src0_sel:WORD_0 src1_sel:DWORD
	v_cndmask_b32_e64 v55, v55, v14, s[4:5]
; %bb.140:                              ;   in Loop: Header=BB362_10 Depth=1
	s_or_b64 exec, exec, s[16:17]
	v_lshrrev_b16_e32 v14, 8, v10
	v_cmp_ne_u16_e64 s[4:5], 0, v14
	v_mov_b32_e32 v56, 0
	s_and_saveexec_b64 s[16:17], s[4:5]
	s_cbranch_execz .LBB362_146
; %bb.141:                              ;   in Loop: Header=BB362_10 Depth=1
	v_cmp_ne_u16_e64 s[4:5], s49, v14
	v_bfrev_b32_e32 v56, 1
	s_and_saveexec_b64 s[40:41], s[4:5]
	s_cbranch_execz .LBB362_145
; %bb.142:                              ;   in Loop: Header=BB362_10 Depth=1
	v_and_b32_e32 v57, 0x7f, v14
	v_cmp_ne_u32_e64 s[4:5], s50, v57
	v_mov_b32_e32 v56, 0x7f800001
	s_and_saveexec_b64 s[42:43], s[4:5]
	s_cbranch_execz .LBB362_144
; %bb.143:                              ;   in Loop: Header=BB362_10 Depth=1
	v_and_b32_e32 v56, 7, v14
	v_ffbh_u32_e32 v58, v56
	v_min_u32_e32 v61, 32, v58
	v_subrev_u32_e32 v58, 28, v61
	v_lshlrev_b64 v[58:59], v58, v[14:15]
	v_lshrrev_b32_e32 v60, 3, v57
	v_sub_u32_e32 v14, 29, v61
	v_and_b32_e32 v58, 7, v58
	v_cmp_gt_u32_e64 s[4:5], 8, v57
	v_cndmask_b32_e64 v14, v60, v14, s[4:5]
	v_cndmask_b32_e64 v56, v56, v58, s[4:5]
	v_lshlrev_b32_e32 v10, 16, v10
	v_lshlrev_b32_e32 v56, 20, v56
	v_and_b32_e32 v10, 0x80000000, v10
	v_lshl_add_u32 v14, v14, 23, v41
	v_or3_b32 v56, v10, v14, v56
.LBB362_144:                            ;   in Loop: Header=BB362_10 Depth=1
	s_or_b64 exec, exec, s[42:43]
.LBB362_145:                            ;   in Loop: Header=BB362_10 Depth=1
	s_or_b64 exec, exec, s[40:41]
.LBB362_146:                            ;   in Loop: Header=BB362_10 Depth=1
	s_or_b64 exec, exec, s[16:17]
	v_mul_f32_e32 v10, s47, v56
	v_and_b32_e32 v14, 0x7f800000, v10
	v_cmp_ne_u32_e64 s[4:5], s51, v14
                                        ; implicit-def: $vgpr56
	s_and_saveexec_b64 s[16:17], s[4:5]
	s_xor_b64 s[4:5], exec, s[16:17]
; %bb.147:                              ;   in Loop: Header=BB362_10 Depth=1
	v_bfe_u32 v14, v10, 16, 1
	v_add3_u32 v56, v10, v14, s52
                                        ; implicit-def: $vgpr10
; %bb.148:                              ;   in Loop: Header=BB362_10 Depth=1
	s_andn2_saveexec_b64 s[16:17], s[4:5]
; %bb.149:                              ;   in Loop: Header=BB362_10 Depth=1
	v_or_b32_e32 v14, 0x10000, v10
	v_cmp_eq_u32_sdwa s[4:5], v10, v1 src0_sel:WORD_0 src1_sel:DWORD
	v_cndmask_b32_e64 v56, v14, v10, s[4:5]
; %bb.150:                              ;   in Loop: Header=BB362_10 Depth=1
	s_or_b64 exec, exec, s[16:17]
	global_load_ushort v14, v[8:9], off offset:776
	s_waitcnt vmcnt(0)
	v_and_b32_e32 v10, 0xffff, v14
	v_cmp_ne_u16_sdwa s[4:5], v14, v1 src0_sel:BYTE_0 src1_sel:DWORD
	v_mov_b32_e32 v14, 0
	s_and_saveexec_b64 s[16:17], s[4:5]
	s_cbranch_execz .LBB362_156
; %bb.151:                              ;   in Loop: Header=BB362_10 Depth=1
	v_cmp_ne_u16_sdwa s[4:5], v10, s49 src0_sel:BYTE_0 src1_sel:DWORD
	v_bfrev_b32_e32 v14, 1
	s_and_saveexec_b64 s[40:41], s[4:5]
	s_cbranch_execz .LBB362_155
; %bb.152:                              ;   in Loop: Header=BB362_10 Depth=1
	v_and_b32_e32 v57, 0x7f, v10
	v_cmp_ne_u32_e64 s[4:5], s50, v57
	v_mov_b32_e32 v14, 0x7f800001
	s_and_saveexec_b64 s[42:43], s[4:5]
	s_cbranch_execz .LBB362_154
; %bb.153:                              ;   in Loop: Header=BB362_10 Depth=1
	v_and_b32_e32 v14, 7, v10
	v_ffbh_u32_e32 v58, v14
	v_min_u32_e32 v61, 32, v58
	v_subrev_u32_e32 v58, 28, v61
	v_lshlrev_b64 v[58:59], v58, v[10:11]
	v_lshrrev_b32_e32 v60, 3, v57
	v_sub_u32_e32 v59, 29, v61
	v_and_b32_e32 v58, 7, v58
	v_cmp_gt_u32_e64 s[4:5], 8, v57
	v_cndmask_b32_e64 v57, v60, v59, s[4:5]
	v_cndmask_b32_e64 v14, v14, v58, s[4:5]
	v_lshlrev_b32_e32 v58, 24, v10
	v_lshlrev_b32_e32 v14, 20, v14
	v_and_b32_e32 v58, 0x80000000, v58
	v_lshl_add_u32 v57, v57, 23, v41
	v_or3_b32 v14, v58, v57, v14
.LBB362_154:                            ;   in Loop: Header=BB362_10 Depth=1
	s_or_b64 exec, exec, s[42:43]
.LBB362_155:                            ;   in Loop: Header=BB362_10 Depth=1
	s_or_b64 exec, exec, s[40:41]
.LBB362_156:                            ;   in Loop: Header=BB362_10 Depth=1
	s_or_b64 exec, exec, s[16:17]
	v_mul_f32_e32 v14, s47, v14
	v_and_b32_e32 v57, 0x7f800000, v14
	v_cmp_ne_u32_e64 s[4:5], s51, v57
                                        ; implicit-def: $vgpr57
	s_and_saveexec_b64 s[16:17], s[4:5]
	s_xor_b64 s[4:5], exec, s[16:17]
; %bb.157:                              ;   in Loop: Header=BB362_10 Depth=1
	v_bfe_u32 v57, v14, 16, 1
	v_add3_u32 v57, v14, v57, s52
                                        ; implicit-def: $vgpr14
; %bb.158:                              ;   in Loop: Header=BB362_10 Depth=1
	s_andn2_saveexec_b64 s[16:17], s[4:5]
; %bb.159:                              ;   in Loop: Header=BB362_10 Depth=1
	v_or_b32_e32 v57, 0x10000, v14
	v_cmp_eq_u32_sdwa s[4:5], v14, v1 src0_sel:WORD_0 src1_sel:DWORD
	v_cndmask_b32_e64 v57, v57, v14, s[4:5]
; %bb.160:                              ;   in Loop: Header=BB362_10 Depth=1
	s_or_b64 exec, exec, s[16:17]
	v_lshrrev_b16_e32 v14, 8, v10
	v_cmp_ne_u16_e64 s[4:5], 0, v14
	v_mov_b32_e32 v58, 0
	s_and_saveexec_b64 s[16:17], s[4:5]
	s_cbranch_execz .LBB362_166
; %bb.161:                              ;   in Loop: Header=BB362_10 Depth=1
	v_cmp_ne_u16_e64 s[4:5], s49, v14
	v_bfrev_b32_e32 v58, 1
	s_and_saveexec_b64 s[40:41], s[4:5]
	s_cbranch_execz .LBB362_165
; %bb.162:                              ;   in Loop: Header=BB362_10 Depth=1
	v_and_b32_e32 v59, 0x7f, v14
	v_cmp_ne_u32_e64 s[4:5], s50, v59
	v_mov_b32_e32 v58, 0x7f800001
	s_and_saveexec_b64 s[42:43], s[4:5]
	s_cbranch_execz .LBB362_164
; %bb.163:                              ;   in Loop: Header=BB362_10 Depth=1
	v_and_b32_e32 v58, 7, v14
	v_ffbh_u32_e32 v60, v58
	v_min_u32_e32 v63, 32, v60
	v_subrev_u32_e32 v60, 28, v63
	v_lshlrev_b64 v[60:61], v60, v[14:15]
	v_lshrrev_b32_e32 v62, 3, v59
	v_sub_u32_e32 v14, 29, v63
	v_and_b32_e32 v60, 7, v60
	v_cmp_gt_u32_e64 s[4:5], 8, v59
	v_cndmask_b32_e64 v14, v62, v14, s[4:5]
	v_cndmask_b32_e64 v58, v58, v60, s[4:5]
	v_lshlrev_b32_e32 v10, 16, v10
	v_lshlrev_b32_e32 v58, 20, v58
	v_and_b32_e32 v10, 0x80000000, v10
	v_lshl_add_u32 v14, v14, 23, v41
	v_or3_b32 v58, v10, v14, v58
.LBB362_164:                            ;   in Loop: Header=BB362_10 Depth=1
	s_or_b64 exec, exec, s[42:43]
.LBB362_165:                            ;   in Loop: Header=BB362_10 Depth=1
	s_or_b64 exec, exec, s[40:41]
.LBB362_166:                            ;   in Loop: Header=BB362_10 Depth=1
	s_or_b64 exec, exec, s[16:17]
	v_mul_f32_e32 v10, s47, v58
	v_and_b32_e32 v14, 0x7f800000, v10
	v_cmp_ne_u32_e64 s[4:5], s51, v14
                                        ; implicit-def: $vgpr58
	s_and_saveexec_b64 s[16:17], s[4:5]
	s_xor_b64 s[4:5], exec, s[16:17]
; %bb.167:                              ;   in Loop: Header=BB362_10 Depth=1
	v_bfe_u32 v14, v10, 16, 1
	v_add3_u32 v58, v10, v14, s52
                                        ; implicit-def: $vgpr10
; %bb.168:                              ;   in Loop: Header=BB362_10 Depth=1
	s_andn2_saveexec_b64 s[16:17], s[4:5]
; %bb.169:                              ;   in Loop: Header=BB362_10 Depth=1
	v_or_b32_e32 v14, 0x10000, v10
	v_cmp_eq_u32_sdwa s[4:5], v10, v1 src0_sel:WORD_0 src1_sel:DWORD
	v_cndmask_b32_e64 v58, v14, v10, s[4:5]
; %bb.170:                              ;   in Loop: Header=BB362_10 Depth=1
	s_or_b64 exec, exec, s[16:17]
	global_load_ushort v14, v[8:9], off offset:1024
	s_waitcnt vmcnt(0)
	v_and_b32_e32 v10, 0xffff, v14
	v_cmp_ne_u16_sdwa s[4:5], v14, v1 src0_sel:BYTE_0 src1_sel:DWORD
	v_mov_b32_e32 v14, 0
	s_and_saveexec_b64 s[16:17], s[4:5]
	s_cbranch_execz .LBB362_176
; %bb.171:                              ;   in Loop: Header=BB362_10 Depth=1
	v_cmp_ne_u16_sdwa s[4:5], v10, s49 src0_sel:BYTE_0 src1_sel:DWORD
	v_bfrev_b32_e32 v14, 1
	s_and_saveexec_b64 s[40:41], s[4:5]
	s_cbranch_execz .LBB362_175
; %bb.172:                              ;   in Loop: Header=BB362_10 Depth=1
	v_and_b32_e32 v59, 0x7f, v10
	v_cmp_ne_u32_e64 s[4:5], s50, v59
	v_mov_b32_e32 v14, 0x7f800001
	s_and_saveexec_b64 s[42:43], s[4:5]
	s_cbranch_execz .LBB362_174
; %bb.173:                              ;   in Loop: Header=BB362_10 Depth=1
	v_and_b32_e32 v14, 7, v10
	v_ffbh_u32_e32 v60, v14
	v_min_u32_e32 v63, 32, v60
	v_subrev_u32_e32 v60, 28, v63
	v_lshlrev_b64 v[60:61], v60, v[10:11]
	v_lshrrev_b32_e32 v62, 3, v59
	v_sub_u32_e32 v61, 29, v63
	v_and_b32_e32 v60, 7, v60
	v_cmp_gt_u32_e64 s[4:5], 8, v59
	v_cndmask_b32_e64 v59, v62, v61, s[4:5]
	v_cndmask_b32_e64 v14, v14, v60, s[4:5]
	v_lshlrev_b32_e32 v60, 24, v10
	v_lshlrev_b32_e32 v14, 20, v14
	v_and_b32_e32 v60, 0x80000000, v60
	v_lshl_add_u32 v59, v59, 23, v41
	v_or3_b32 v14, v60, v59, v14
.LBB362_174:                            ;   in Loop: Header=BB362_10 Depth=1
	s_or_b64 exec, exec, s[42:43]
.LBB362_175:                            ;   in Loop: Header=BB362_10 Depth=1
	s_or_b64 exec, exec, s[40:41]
.LBB362_176:                            ;   in Loop: Header=BB362_10 Depth=1
	s_or_b64 exec, exec, s[16:17]
	v_mul_f32_e32 v14, s47, v14
	v_and_b32_e32 v59, 0x7f800000, v14
	v_cmp_ne_u32_e64 s[4:5], s51, v59
                                        ; implicit-def: $vgpr59
	s_and_saveexec_b64 s[16:17], s[4:5]
	s_xor_b64 s[4:5], exec, s[16:17]
; %bb.177:                              ;   in Loop: Header=BB362_10 Depth=1
	v_bfe_u32 v59, v14, 16, 1
	v_add3_u32 v59, v14, v59, s52
                                        ; implicit-def: $vgpr14
; %bb.178:                              ;   in Loop: Header=BB362_10 Depth=1
	s_andn2_saveexec_b64 s[16:17], s[4:5]
; %bb.179:                              ;   in Loop: Header=BB362_10 Depth=1
	v_or_b32_e32 v59, 0x10000, v14
	v_cmp_eq_u32_sdwa s[4:5], v14, v1 src0_sel:WORD_0 src1_sel:DWORD
	v_cndmask_b32_e64 v59, v59, v14, s[4:5]
; %bb.180:                              ;   in Loop: Header=BB362_10 Depth=1
	s_or_b64 exec, exec, s[16:17]
	v_lshrrev_b16_e32 v14, 8, v10
	v_cmp_ne_u16_e64 s[4:5], 0, v14
	v_mov_b32_e32 v60, 0
	s_and_saveexec_b64 s[16:17], s[4:5]
	s_cbranch_execz .LBB362_186
; %bb.181:                              ;   in Loop: Header=BB362_10 Depth=1
	v_cmp_ne_u16_e64 s[4:5], s49, v14
	v_bfrev_b32_e32 v60, 1
	s_and_saveexec_b64 s[40:41], s[4:5]
	s_cbranch_execz .LBB362_185
; %bb.182:                              ;   in Loop: Header=BB362_10 Depth=1
	v_and_b32_e32 v61, 0x7f, v14
	v_cmp_ne_u32_e64 s[4:5], s50, v61
	v_mov_b32_e32 v60, 0x7f800001
	s_and_saveexec_b64 s[42:43], s[4:5]
	s_cbranch_execz .LBB362_184
; %bb.183:                              ;   in Loop: Header=BB362_10 Depth=1
	v_and_b32_e32 v60, 7, v14
	v_ffbh_u32_e32 v62, v60
	v_min_u32_e32 v65, 32, v62
	v_subrev_u32_e32 v62, 28, v65
	v_lshlrev_b64 v[62:63], v62, v[14:15]
	v_lshrrev_b32_e32 v64, 3, v61
	v_sub_u32_e32 v14, 29, v65
	v_and_b32_e32 v62, 7, v62
	v_cmp_gt_u32_e64 s[4:5], 8, v61
	v_cndmask_b32_e64 v14, v64, v14, s[4:5]
	v_cndmask_b32_e64 v60, v60, v62, s[4:5]
	v_lshlrev_b32_e32 v10, 16, v10
	v_lshlrev_b32_e32 v60, 20, v60
	v_and_b32_e32 v10, 0x80000000, v10
	v_lshl_add_u32 v14, v14, 23, v41
	v_or3_b32 v60, v10, v14, v60
.LBB362_184:                            ;   in Loop: Header=BB362_10 Depth=1
	s_or_b64 exec, exec, s[42:43]
.LBB362_185:                            ;   in Loop: Header=BB362_10 Depth=1
	s_or_b64 exec, exec, s[40:41]
.LBB362_186:                            ;   in Loop: Header=BB362_10 Depth=1
	s_or_b64 exec, exec, s[16:17]
	v_mul_f32_e32 v10, s47, v60
	v_and_b32_e32 v14, 0x7f800000, v10
	v_cmp_ne_u32_e64 s[4:5], s51, v14
                                        ; implicit-def: $vgpr14
	s_and_saveexec_b64 s[16:17], s[4:5]
	s_xor_b64 s[4:5], exec, s[16:17]
; %bb.187:                              ;   in Loop: Header=BB362_10 Depth=1
	v_bfe_u32 v14, v10, 16, 1
	v_add3_u32 v14, v10, v14, s52
                                        ; implicit-def: $vgpr10
; %bb.188:                              ;   in Loop: Header=BB362_10 Depth=1
	s_andn2_saveexec_b64 s[16:17], s[4:5]
; %bb.189:                              ;   in Loop: Header=BB362_10 Depth=1
	v_or_b32_e32 v14, 0x10000, v10
	v_cmp_eq_u32_sdwa s[4:5], v10, v1 src0_sel:WORD_0 src1_sel:DWORD
	v_cndmask_b32_e64 v14, v14, v10, s[4:5]
; %bb.190:                              ;   in Loop: Header=BB362_10 Depth=1
	s_or_b64 exec, exec, s[16:17]
	global_load_ushort v9, v[8:9], off offset:1032
	s_waitcnt vmcnt(0)
	v_and_b32_e32 v8, 0xffff, v9
	v_cmp_ne_u16_sdwa s[4:5], v9, v1 src0_sel:BYTE_0 src1_sel:DWORD
	v_mov_b32_e32 v9, 0
	s_and_saveexec_b64 s[16:17], s[4:5]
	s_cbranch_execz .LBB362_196
; %bb.191:                              ;   in Loop: Header=BB362_10 Depth=1
	v_cmp_ne_u16_sdwa s[4:5], v8, s49 src0_sel:BYTE_0 src1_sel:DWORD
	v_bfrev_b32_e32 v9, 1
	s_and_saveexec_b64 s[40:41], s[4:5]
	s_cbranch_execz .LBB362_195
; %bb.192:                              ;   in Loop: Header=BB362_10 Depth=1
	v_and_b32_e32 v10, 0x7f, v8
	v_cmp_ne_u32_e64 s[4:5], s50, v10
	v_mov_b32_e32 v9, 0x7f800001
	s_and_saveexec_b64 s[42:43], s[4:5]
	s_cbranch_execz .LBB362_194
; %bb.193:                              ;   in Loop: Header=BB362_10 Depth=1
	v_and_b32_e32 v9, 7, v8
	v_ffbh_u32_e32 v60, v9
	v_min_u32_e32 v63, 32, v60
	v_subrev_u32_e32 v60, 28, v63
	v_lshlrev_b64 v[60:61], v60, v[8:9]
	v_lshrrev_b32_e32 v62, 3, v10
	v_sub_u32_e32 v61, 29, v63
	v_and_b32_e32 v60, 7, v60
	v_cmp_gt_u32_e64 s[4:5], 8, v10
	v_cndmask_b32_e64 v10, v62, v61, s[4:5]
	v_cndmask_b32_e64 v9, v9, v60, s[4:5]
	v_lshlrev_b32_e32 v60, 24, v8
	v_lshlrev_b32_e32 v9, 20, v9
	v_and_b32_e32 v60, 0x80000000, v60
	v_lshl_add_u32 v10, v10, 23, v41
	v_or3_b32 v9, v60, v10, v9
.LBB362_194:                            ;   in Loop: Header=BB362_10 Depth=1
	s_or_b64 exec, exec, s[42:43]
.LBB362_195:                            ;   in Loop: Header=BB362_10 Depth=1
	s_or_b64 exec, exec, s[40:41]
.LBB362_196:                            ;   in Loop: Header=BB362_10 Depth=1
	s_or_b64 exec, exec, s[16:17]
	v_mul_f32_e32 v10, s47, v9
	v_and_b32_e32 v9, 0x7f800000, v10
	v_cmp_ne_u32_e64 s[4:5], s51, v9
                                        ; implicit-def: $vgpr9
	s_and_saveexec_b64 s[16:17], s[4:5]
	s_xor_b64 s[4:5], exec, s[16:17]
; %bb.197:                              ;   in Loop: Header=BB362_10 Depth=1
	v_bfe_u32 v9, v10, 16, 1
	v_add3_u32 v9, v10, v9, s52
                                        ; implicit-def: $vgpr10
; %bb.198:                              ;   in Loop: Header=BB362_10 Depth=1
	s_andn2_saveexec_b64 s[16:17], s[4:5]
; %bb.199:                              ;   in Loop: Header=BB362_10 Depth=1
	v_or_b32_e32 v9, 0x10000, v10
	v_cmp_eq_u32_sdwa s[4:5], v10, v1 src0_sel:WORD_0 src1_sel:DWORD
	v_cndmask_b32_e64 v9, v9, v10, s[4:5]
; %bb.200:                              ;   in Loop: Header=BB362_10 Depth=1
	s_or_b64 exec, exec, s[16:17]
	v_lshrrev_b16_e32 v10, 8, v8
	v_cmp_ne_u16_e64 s[4:5], 0, v10
	v_mov_b32_e32 v60, 0
	s_and_saveexec_b64 s[16:17], s[4:5]
	s_cbranch_execz .LBB362_206
; %bb.201:                              ;   in Loop: Header=BB362_10 Depth=1
	v_cmp_ne_u16_e64 s[4:5], s49, v10
	v_bfrev_b32_e32 v60, 1
	s_and_saveexec_b64 s[40:41], s[4:5]
	s_cbranch_execz .LBB362_205
; %bb.202:                              ;   in Loop: Header=BB362_10 Depth=1
	v_and_b32_e32 v61, 0x7f, v10
	v_cmp_ne_u32_e64 s[4:5], s50, v61
	v_mov_b32_e32 v60, 0x7f800001
	s_and_saveexec_b64 s[42:43], s[4:5]
	s_cbranch_execz .LBB362_204
; %bb.203:                              ;   in Loop: Header=BB362_10 Depth=1
	v_and_b32_e32 v60, 7, v10
	v_ffbh_u32_e32 v62, v60
	v_min_u32_e32 v65, 32, v62
	v_subrev_u32_e32 v62, 28, v65
	v_lshlrev_b64 v[62:63], v62, v[10:11]
	v_lshrrev_b32_e32 v64, 3, v61
	v_sub_u32_e32 v10, 29, v65
	v_and_b32_e32 v62, 7, v62
	v_cmp_gt_u32_e64 s[4:5], 8, v61
	v_cndmask_b32_e64 v10, v64, v10, s[4:5]
	v_cndmask_b32_e64 v60, v60, v62, s[4:5]
	v_lshlrev_b32_e32 v8, 16, v8
	v_lshlrev_b32_e32 v60, 20, v60
	v_and_b32_e32 v8, 0x80000000, v8
	v_lshl_add_u32 v10, v10, 23, v41
	v_or3_b32 v60, v8, v10, v60
.LBB362_204:                            ;   in Loop: Header=BB362_10 Depth=1
	s_or_b64 exec, exec, s[42:43]
.LBB362_205:                            ;   in Loop: Header=BB362_10 Depth=1
	s_or_b64 exec, exec, s[40:41]
.LBB362_206:                            ;   in Loop: Header=BB362_10 Depth=1
	s_or_b64 exec, exec, s[16:17]
	v_mul_f32_e32 v10, s47, v60
	v_and_b32_e32 v8, 0x7f800000, v10
	v_cmp_ne_u32_e64 s[4:5], s51, v8
                                        ; implicit-def: $vgpr8
	s_and_saveexec_b64 s[16:17], s[4:5]
	s_xor_b64 s[4:5], exec, s[16:17]
; %bb.207:                              ;   in Loop: Header=BB362_10 Depth=1
	v_bfe_u32 v8, v10, 16, 1
	v_add3_u32 v8, v10, v8, s52
                                        ; implicit-def: $vgpr10
; %bb.208:                              ;   in Loop: Header=BB362_10 Depth=1
	s_andn2_saveexec_b64 s[16:17], s[4:5]
; %bb.209:                              ;   in Loop: Header=BB362_10 Depth=1
	v_or_b32_e32 v8, 0x10000, v10
	v_cmp_eq_u32_sdwa s[4:5], v10, v1 src0_sel:WORD_0 src1_sel:DWORD
	v_cndmask_b32_e64 v8, v8, v10, s[4:5]
; %bb.210:                              ;   in Loop: Header=BB362_10 Depth=1
	s_or_b64 exec, exec, s[16:17]
	v_and_b32_e32 v45, 0xffff0000, v45
	v_and_b32_e32 v46, 0xffff0000, v46
	;; [unrolled: 1-line block ×3, first 2 shown]
	v_mul_f32_e32 v45, v18, v45
	v_and_b32_e32 v44, 0xffff0000, v44
	v_fmac_f32_e32 v45, v16, v43
	v_mul_f32_e32 v43, v19, v46
	v_and_b32_e32 v48, 0xffff0000, v48
	v_and_b32_e32 v47, 0xffff0000, v47
	v_fmac_f32_e32 v43, v17, v44
	v_and_b32_e32 v50, 0xffff0000, v50
	v_and_b32_e32 v49, 0xffff0000, v49
	v_fmac_f32_e32 v45, v20, v47
	v_fmac_f32_e32 v43, v21, v48
	v_and_b32_e32 v52, 0xffff0000, v52
	v_and_b32_e32 v51, 0xffff0000, v51
	v_fmac_f32_e32 v45, v22, v49
	;; [unrolled: 4-line block ×7, first 2 shown]
	v_fmac_f32_e32 v43, v33, v10
	v_fmac_f32_e32 v45, v34, v9
	;; [unrolled: 1-line block ×3, first 2 shown]
	v_add_f32_e32 v8, v45, v43
	ds_bpermute_b32 v9, v37, v8
	s_waitcnt lgkmcnt(0)
	v_add_f32_e32 v8, v8, v9
	ds_bpermute_b32 v9, v38, v8
	s_and_saveexec_b64 s[16:17], vcc
	s_cbranch_execz .LBB362_9
; %bb.211:                              ;   in Loop: Header=BB362_10 Depth=1
	v_add_u32_e32 v10, s48, v39
	v_cvt_f32_i32_e32 v10, v10
	s_waitcnt lgkmcnt(0)
	v_add_f32_e32 v8, v8, v9
	v_cmp_gt_i32_e64 s[4:5], s29, v39
	v_max_f32_e32 v9, v36, v36
	v_mul_f32_e32 v10, s10, v10
	v_cndmask_b32_e64 v10, 0, v10, s[2:3]
	v_fmac_f32_e32 v10, s11, v8
	v_cndmask_b32_e64 v8, 0, v10, s[4:5]
	ds_write_b32 v40, v8
	v_max_f32_e32 v8, v9, v10
	v_cndmask_b32_e64 v36, v36, v8, s[4:5]
	s_branch .LBB362_9
.LBB362_212:
	s_or_b64 exec, exec, s[14:15]
.LBB362_213:
	s_or_b64 exec, exec, s[38:39]
	v_xor_b32_e32 v1, 32, v11
	v_cmp_lt_i32_e32 vcc, v1, v15
	v_cndmask_b32_e32 v1, v11, v1, vcc
	v_lshlrev_b32_e32 v2, 2, v1
	ds_bpermute_b32 v1, v2, v36
	v_xor_b32_e32 v4, 16, v11
	v_max_f32_e32 v3, v36, v36
	v_cmp_lt_i32_e32 vcc, v4, v15
	v_xor_b32_e32 v6, 8, v11
	s_waitcnt lgkmcnt(0)
	v_max_f32_e32 v1, v1, v1
	v_max_f32_e32 v1, v3, v1
	v_cndmask_b32_e32 v3, v11, v4, vcc
	v_lshlrev_b32_e32 v3, 2, v3
	ds_bpermute_b32 v4, v3, v1
	v_cmp_lt_i32_e32 vcc, v6, v15
	v_lshlrev_b32_e32 v7, 2, v5
	s_waitcnt lgkmcnt(0)
	v_max_f32_e32 v4, v4, v4
	v_max_f32_e32 v1, v1, v4
	v_cndmask_b32_e32 v4, v11, v6, vcc
	v_lshlrev_b32_e32 v9, 2, v4
	ds_bpermute_b32 v4, v9, v1
	v_xor_b32_e32 v6, 4, v11
	v_cmp_lt_i32_e32 vcc, v6, v15
	s_waitcnt lgkmcnt(0)
	v_max_f32_e32 v4, v4, v4
	v_max_f32_e32 v1, v1, v4
	v_cndmask_b32_e32 v4, v11, v6, vcc
	v_lshlrev_b32_e32 v10, 2, v4
	ds_bpermute_b32 v6, v10, v1
	v_and_b32_e32 v4, 63, v0
	v_cmp_eq_u32_e32 vcc, 0, v4
	s_and_saveexec_b64 s[2:3], vcc
	s_cbranch_execz .LBB362_215
; %bb.214:
	s_waitcnt lgkmcnt(0)
	v_max_f32_e32 v6, v6, v6
	v_max_f32_e32 v1, v1, v1
	v_max_f32_e32 v1, v1, v6
	ds_write_b32 v7, v1 offset:160
.LBB362_215:
	s_or_b64 exec, exec, s[2:3]
	v_cmp_gt_u32_e64 s[2:3], 2, v4
	s_waitcnt lgkmcnt(0)
	v_mov_b32_e32 v6, 0xff7fffff
	v_lshlrev_b32_e32 v8, 2, v4
	s_barrier
	s_and_saveexec_b64 s[4:5], s[2:3]
	s_cbranch_execz .LBB362_217
; %bb.216:
	ds_read_b32 v6, v8 offset:160
.LBB362_217:
	s_or_b64 exec, exec, s[4:5]
	v_xor_b32_e32 v1, 1, v11
	v_cmp_lt_i32_e64 s[4:5], v1, v15
	v_cndmask_b32_e64 v1, v11, v1, s[4:5]
	v_lshlrev_b32_e32 v1, 2, v1
	s_waitcnt lgkmcnt(0)
	ds_bpermute_b32 v14, v1, v6
	v_max_f32_e32 v6, v6, v6
	s_sub_i32 s4, s33, s7
	s_lshl_b32 s4, s4, 4
	s_add_i32 s4, s4, s44
	s_waitcnt lgkmcnt(0)
	v_max_f32_e32 v14, v14, v14
	v_max_f32_e32 v6, v6, v14
	v_lshlrev_b32_e32 v14, 2, v11
	v_and_b32_e32 v14, 0xffffff00, v14
	ds_bpermute_b32 v6, v14, v6
	s_min_i32 s38, s4, s29
	s_sub_i32 s7, s38, s44
	v_cmp_gt_i32_e64 s[4:5], s7, v0
	v_mov_b32_e32 v16, 0
	s_and_saveexec_b64 s[14:15], s[4:5]
	s_cbranch_execz .LBB362_221
; %bb.218:
	v_mov_b32_e32 v16, 0xb0
	v_lshl_add_u32 v17, v0, 2, v16
	s_mov_b64 s[16:17], 0
	v_mov_b32_e32 v16, 0
	v_mov_b32_e32 v18, v0
.LBB362_219:                            ; =>This Inner Loop Header: Depth=1
	ds_read_b32 v19, v17
	v_add_u32_e32 v18, 0x80, v18
	v_cmp_le_i32_e64 s[10:11], s7, v18
	s_or_b64 s[16:17], s[10:11], s[16:17]
	s_waitcnt lgkmcnt(0)
	v_sub_f32_e32 v19, v19, v6
	v_mul_f32_e32 v19, 0x3fb8aa3b, v19
	v_exp_f32_e32 v19, v19
	ds_write_b32 v17, v19
	v_add_f32_e32 v16, v16, v19
	v_add_u32_e32 v17, 0x200, v17
	s_andn2_b64 exec, exec, s[16:17]
	s_cbranch_execnz .LBB362_219
; %bb.220:
	s_or_b64 exec, exec, s[16:17]
.LBB362_221:
	s_or_b64 exec, exec, s[14:15]
	ds_bpermute_b32 v2, v2, v16
	s_waitcnt lgkmcnt(0)
	v_add_f32_e32 v2, v16, v2
	ds_bpermute_b32 v3, v3, v2
	s_waitcnt lgkmcnt(0)
	v_add_f32_e32 v2, v2, v3
	ds_bpermute_b32 v3, v9, v2
	v_xor_b32_e32 v9, 2, v11
	v_cmp_lt_i32_e64 s[10:11], v9, v15
	v_cndmask_b32_e64 v9, v11, v9, s[10:11]
	s_waitcnt lgkmcnt(0)
	v_add_f32_e32 v2, v2, v3
	ds_bpermute_b32 v3, v10, v2
	s_waitcnt lgkmcnt(0)
	v_add_f32_e32 v2, v2, v3
	v_lshlrev_b32_e32 v3, 2, v9
	ds_bpermute_b32 v3, v3, v2
	s_waitcnt lgkmcnt(0)
	v_add_f32_e32 v2, v2, v3
	ds_bpermute_b32 v3, v1, v2
	s_waitcnt lgkmcnt(0)
	v_add_f32_e32 v2, v2, v3
	s_and_saveexec_b64 s[10:11], vcc
	s_cbranch_execz .LBB362_223
; %bb.222:
	ds_write_b32 v7, v2 offset:168
.LBB362_223:
	s_or_b64 exec, exec, s[10:11]
	s_waitcnt lgkmcnt(0)
	s_barrier
	s_and_saveexec_b64 s[10:11], s[2:3]
	s_cbranch_execz .LBB362_225
; %bb.224:
	ds_read_b32 v2, v8 offset:168
.LBB362_225:
	s_or_b64 exec, exec, s[10:11]
	s_waitcnt lgkmcnt(0)
	ds_bpermute_b32 v3, v1, v2
	s_waitcnt lgkmcnt(0)
	v_add_f32_e32 v2, v2, v3
	ds_bpermute_b32 v7, v14, v2
	s_and_saveexec_b64 s[2:3], s[4:5]
	s_cbranch_execz .LBB362_238
; %bb.226:
	s_waitcnt lgkmcnt(0)
	v_add_f32_e32 v2, 0x358637bd, v7
	v_div_scale_f32 v3, s[4:5], v2, v2, 1.0
	v_rcp_f32_e32 v8, v3
	v_div_scale_f32 v9, vcc, 1.0, v2, 1.0
	s_movk_i32 s4, 0x7f
	v_fma_f32 v10, -v3, v8, 1.0
	v_fmac_f32_e32 v8, v10, v8
	v_mul_f32_e32 v10, v9, v8
	v_fma_f32 v11, -v3, v10, v9
	v_fmac_f32_e32 v10, v11, v8
	v_fma_f32 v3, -v3, v10, v9
	v_div_fmas_f32 v3, v3, v8, v10
	v_div_fixup_f32 v2, v3, v2, 1.0
	v_xad_u32 v3, v0, -1, s38
	v_subrev_u32_e32 v8, s44, v3
	v_cmp_lt_u32_e32 vcc, s4, v8
	s_mov_b64 s[10:11], -1
	v_mov_b32_e32 v3, v0
	s_and_saveexec_b64 s[4:5], vcc
	s_cbranch_execz .LBB362_235
; %bb.227:
	v_lshrrev_b32_e32 v8, 7, v8
	v_add_u32_e32 v10, -1, v8
	v_lshrrev_b32_e32 v9, 1, v10
	v_mov_b32_e32 v3, v2
	v_add_u32_e32 v9, 1, v9
	v_cmp_lt_u32_e32 vcc, 13, v10
	v_mov_b32_e32 v14, 0
	s_and_saveexec_b64 s[10:11], vcc
	s_cbranch_execz .LBB362_231
; %bb.228:
	v_mov_b32_e32 v11, 0xb0
	v_and_b32_e32 v10, -8, v9
	v_lshl_add_u32 v11, v0, 2, v11
	s_mov_b32 s16, 0
	s_mov_b64 s[14:15], 0
.LBB362_229:                            ; =>This Inner Loop Header: Depth=1
	ds_read2st64_b32 v[14:15], v11 offset1:2
	ds_read2st64_b32 v[16:17], v11 offset0:4 offset1:6
	ds_read2st64_b32 v[18:19], v11 offset0:8 offset1:10
	;; [unrolled: 1-line block ×3, first 2 shown]
	v_add_u32_e32 v10, -8, v10
	s_waitcnt lgkmcnt(3)
	v_pk_mul_f32 v[14:15], v[2:3], v[14:15]
	s_waitcnt lgkmcnt(2)
	v_pk_mul_f32 v[16:17], v[2:3], v[16:17]
	ds_write2st64_b32 v11, v14, v15 offset1:2
	ds_write2st64_b32 v11, v16, v17 offset0:4 offset1:6
	ds_read2st64_b32 v[16:17], v11 offset0:16 offset1:18
	s_waitcnt lgkmcnt(4)
	v_pk_mul_f32 v[14:15], v[2:3], v[18:19]
	ds_write2st64_b32 v11, v14, v15 offset0:8 offset1:10
	s_waitcnt lgkmcnt(4)
	v_pk_mul_f32 v[14:15], v[2:3], v[20:21]
	ds_write2st64_b32 v11, v14, v15 offset0:12 offset1:14
	ds_read2st64_b32 v[14:15], v11 offset0:20 offset1:22
	s_waitcnt lgkmcnt(3)
	v_pk_mul_f32 v[16:17], v[2:3], v[16:17]
	ds_read2st64_b32 v[18:19], v11 offset0:24 offset1:26
	ds_write2st64_b32 v11, v16, v17 offset0:16 offset1:18
	ds_read2st64_b32 v[16:17], v11 offset0:28 offset1:30
	s_waitcnt lgkmcnt(3)
	v_pk_mul_f32 v[14:15], v[2:3], v[14:15]
	ds_write2st64_b32 v11, v14, v15 offset0:20 offset1:22
	s_waitcnt lgkmcnt(3)
	v_pk_mul_f32 v[14:15], v[2:3], v[18:19]
	ds_write2st64_b32 v11, v14, v15 offset0:24 offset1:26
	s_waitcnt lgkmcnt(2)
	v_pk_mul_f32 v[14:15], v[2:3], v[16:17]
	s_add_i32 s16, s16, 16
	v_cmp_eq_u32_e32 vcc, 0, v10
	ds_write2st64_b32 v11, v14, v15 offset0:28 offset1:30
	v_add_u32_e32 v11, 0x2000, v11
	s_or_b64 s[14:15], vcc, s[14:15]
	v_mov_b32_e32 v14, s16
	s_andn2_b64 exec, exec, s[14:15]
	s_cbranch_execnz .LBB362_229
; %bb.230:
	s_or_b64 exec, exec, s[14:15]
.LBB362_231:
	s_or_b64 exec, exec, s[10:11]
	v_and_b32_e32 v9, 7, v9
	v_cmp_ne_u32_e32 vcc, 0, v9
	s_and_saveexec_b64 s[10:11], vcc
	s_cbranch_execz .LBB362_234
; %bb.232:
	v_lshlrev_b32_e32 v10, 9, v14
	v_lshlrev_b32_e32 v11, 2, v0
	s_movk_i32 s14, 0xb0
	v_add3_u32 v10, v10, v11, s14
	s_mov_b64 s[14:15], 0
.LBB362_233:                            ; =>This Inner Loop Header: Depth=1
	ds_read2st64_b32 v[14:15], v10 offset1:2
	v_add_u32_e32 v9, -1, v9
	v_cmp_eq_u32_e32 vcc, 0, v9
	s_or_b64 s[14:15], vcc, s[14:15]
	s_waitcnt lgkmcnt(0)
	v_pk_mul_f32 v[14:15], v[2:3], v[14:15]
	ds_write2st64_b32 v10, v14, v15 offset1:2
	v_add_u32_e32 v10, 0x400, v10
	s_andn2_b64 exec, exec, s[14:15]
	s_cbranch_execnz .LBB362_233
.LBB362_234:
	s_or_b64 exec, exec, s[10:11]
	v_add_u32_e32 v8, 1, v8
	v_and_b32_e32 v9, 0x3fffffe, v8
	v_cmp_ne_u32_e32 vcc, v8, v9
	v_lshl_add_u32 v3, v9, 7, v0
	s_orn2_b64 s[10:11], vcc, exec
.LBB362_235:
	s_or_b64 exec, exec, s[4:5]
	s_and_b64 exec, exec, s[10:11]
	s_cbranch_execz .LBB362_238
; %bb.236:
	v_mov_b32_e32 v8, 0xb0
	v_lshl_add_u32 v8, v3, 2, v8
	s_mov_b64 s[4:5], 0
.LBB362_237:                            ; =>This Inner Loop Header: Depth=1
	ds_read_b32 v9, v8
	v_add_u32_e32 v3, 0x80, v3
	v_cmp_le_i32_e32 vcc, s7, v3
	s_or_b64 s[4:5], vcc, s[4:5]
	s_waitcnt lgkmcnt(0)
	v_mul_f32_e32 v9, v2, v9
	ds_write_b32 v8, v9
	v_add_u32_e32 v8, 0x200, v8
	s_andn2_b64 exec, exec, s[4:5]
	s_cbranch_execnz .LBB362_237
.LBB362_238:
	s_or_b64 exec, exec, s[2:3]
	s_mul_i32 s2, s25, s28
	v_cmp_eq_u32_e32 vcc, 0, v0
	s_mul_i32 s4, s2, s9
	s_waitcnt lgkmcnt(0)
	s_barrier
	s_and_saveexec_b64 s[2:3], vcc
	s_cbranch_execz .LBB362_240
; %bb.239:
	s_ashr_i32 s5, s4, 31
	s_lshl_b64 s[10:11], s[4:5], 2
	s_add_u32 s5, s22, s10
	s_mul_i32 s6, s25, s6
	s_addc_u32 s9, s23, s11
	s_ashr_i32 s7, s6, 31
	s_lshl_b64 s[6:7], s[6:7], 2
	s_add_u32 s5, s5, s6
	s_addc_u32 s17, s9, s7
	s_ashr_i32 s9, s8, 31
	s_lshl_b64 s[14:15], s[8:9], 2
	s_add_u32 s16, s5, s14
	s_addc_u32 s17, s17, s15
	s_add_u32 s5, s20, s10
	s_addc_u32 s9, s21, s11
	s_add_u32 s5, s5, s6
	s_addc_u32 s7, s9, s7
	s_add_u32 s6, s5, s14
	v_mov_b32_e32 v2, 0
	s_addc_u32 s7, s7, s15
	global_store_dword v2, v6, s[16:17]
	global_store_dword v2, v7, s[6:7]
.LBB362_240:
	s_or_b64 exec, exec, s[2:3]
	v_mov_b32_e32 v10, 0
	v_lshrrev_b32_e32 v15, 1, v4
	v_and_b32_e32 v11, 1, v0
	v_mov_b32_e32 v21, v10
	v_mov_b32_e32 v20, v10
	s_and_saveexec_b64 s[6:7], s[0:1]
	s_cbranch_execz .LBB362_620
; %bb.241:
	s_ashr_i32 s0, s12, 31
	v_lshlrev_b32_e32 v2, 3, v0
	s_add_u32 s10, s36, s12
	v_and_b32_e32 v2, 8, v2
	s_addc_u32 s11, s37, s0
	v_or_b32_e32 v3, 64, v15
	s_movk_i32 s0, 0x50
	v_cmp_gt_u32_e32 vcc, s0, v3
	v_lshl_or_b32 v18, v3, 4, v2
	v_lshl_add_u32 v3, v5, 4, s44
	s_add_i32 s9, s45, -1
	v_lshl_or_b32 v14, v15, 4, v2
	s_load_dword s28, s[18:19], 0x0
	v_add3_u32 v19, v3, v2, 7
	v_lshlrev_b32_e32 v2, 5, v11
	s_lshl_b64 s[0:1], s[34:35], 2
	v_lshl_or_b32 v2, v5, 6, v2
	s_add_u32 s0, s30, s0
	v_add_u32_e32 v24, 0xb0, v2
	v_lshlrev_b64 v[2:3], 2, v[12:13]
	s_addc_u32 s1, s31, s1
	s_mov_b32 s5, s13
	s_mov_b32 s12, -1
	v_mov_b32_e32 v17, 0
	v_mov_b32_e32 v4, s1
	v_add_co_u32_e64 v22, s[0:1], s0, v2
	s_mov_b32 s13, 0xffffff
	v_addc_co_u32_e64 v23, s[0:1], v4, v3, s[0:1]
	s_mov_b64 s[14:15], 0
	s_mov_b32 s30, 0x7f800000
	s_movk_i32 s31, 0x7fff
	s_movk_i32 s34, 0x80
	;; [unrolled: 1-line block ×3, first 2 shown]
	v_bfrev_b32_e32 v13, 60
	v_mov_b32_e32 v20, v17
	v_mov_b32_e32 v21, v17
	;; [unrolled: 1-line block ×3, first 2 shown]
	s_branch .LBB362_244
.LBB362_242:                            ;   in Loop: Header=BB362_244 Depth=1
	s_or_b64 exec, exec, s[2:3]
	v_and_b32_e32 v26, 0xffff0000, v9
	v_and_b32_e32 v9, 0xffff0000, v4
	v_and_b32_e32 v29, 0xffff0000, v7
	v_and_b32_e32 v28, 0xffff0000, v5
	v_and_b32_e32 v5, 0xffff0000, v6
	v_and_b32_e32 v4, 0xffff0000, v3
	v_and_b32_e32 v27, 0xffff0000, v16
	v_and_b32_e32 v8, 0xffff0000, v8
	v_pk_add_f32 v[2:3], v[4:5], v[28:29]
	v_pk_add_f32 v[4:5], v[8:9], v[26:27]
	v_add_f32_e32 v2, v2, v3
	v_add_f32_e32 v2, v2, v4
	;; [unrolled: 1-line block ×4, first 2 shown]
.LBB362_243:                            ;   in Loop: Header=BB362_244 Depth=1
	s_or_b64 exec, exec, s[16:17]
	v_add_u32_e32 v12, 2, v12
	v_cmp_le_i32_e64 s[0:1], s33, v12
	s_or_b64 s[14:15], s[0:1], s[14:15]
	v_add_co_u32_e64 v22, s[0:1], 8, v22
	v_add_u32_e32 v19, 32, v19
	v_add_u32_e32 v24, 0x80, v24
	v_addc_co_u32_e64 v23, s[0:1], 0, v23, s[0:1]
	s_andn2_b64 exec, exec, s[14:15]
	s_cbranch_execz .LBB362_619
.LBB362_244:                            ; =>This Inner Loop Header: Depth=1
	global_load_dword v16, v[22:23], off
	ds_read2_b64 v[6:9], v24 offset1:1
	ds_read2_b64 v[2:5], v24 offset0:2 offset1:3
                                        ; implicit-def: $vgpr31
	s_waitcnt lgkmcnt(0)
	v_and_b32_e32 v25, 0x7f800000, v6
	v_cmp_ne_u32_e64 s[0:1], s30, v25
	s_and_saveexec_b64 s[2:3], s[0:1]
	s_xor_b64 s[0:1], exec, s[2:3]
; %bb.245:                              ;   in Loop: Header=BB362_244 Depth=1
	v_bfe_u32 v25, v6, 16, 1
	v_add3_u32 v31, v6, v25, s31
; %bb.246:                              ;   in Loop: Header=BB362_244 Depth=1
	s_andn2_saveexec_b64 s[2:3], s[0:1]
; %bb.247:                              ;   in Loop: Header=BB362_244 Depth=1
	v_or_b32_e32 v25, 0x10000, v6
	v_cmp_eq_u32_sdwa s[0:1], v6, v17 src0_sel:WORD_0 src1_sel:DWORD
	v_cndmask_b32_e64 v31, v25, v6, s[0:1]
; %bb.248:                              ;   in Loop: Header=BB362_244 Depth=1
	s_or_b64 exec, exec, s[2:3]
	v_and_b32_e32 v6, 0x7f800000, v7
	v_cmp_ne_u32_e64 s[0:1], s30, v6
                                        ; implicit-def: $vgpr32
	s_and_saveexec_b64 s[2:3], s[0:1]
	s_xor_b64 s[0:1], exec, s[2:3]
; %bb.249:                              ;   in Loop: Header=BB362_244 Depth=1
	v_bfe_u32 v6, v7, 16, 1
	v_add3_u32 v32, v7, v6, s31
; %bb.250:                              ;   in Loop: Header=BB362_244 Depth=1
	s_andn2_saveexec_b64 s[2:3], s[0:1]
; %bb.251:                              ;   in Loop: Header=BB362_244 Depth=1
	v_or_b32_e32 v6, 0x10000, v7
	v_cmp_eq_u32_sdwa s[0:1], v7, v17 src0_sel:WORD_0 src1_sel:DWORD
	v_cndmask_b32_e64 v32, v6, v7, s[0:1]
; %bb.252:                              ;   in Loop: Header=BB362_244 Depth=1
	s_or_b64 exec, exec, s[2:3]
	v_and_b32_e32 v6, 0x7f800000, v8
	v_cmp_ne_u32_e64 s[0:1], s30, v6
                                        ; implicit-def: $vgpr25
	s_and_saveexec_b64 s[2:3], s[0:1]
	s_xor_b64 s[0:1], exec, s[2:3]
; %bb.253:                              ;   in Loop: Header=BB362_244 Depth=1
	v_bfe_u32 v6, v8, 16, 1
	v_add3_u32 v25, v8, v6, s31
; %bb.254:                              ;   in Loop: Header=BB362_244 Depth=1
	s_andn2_saveexec_b64 s[2:3], s[0:1]
; %bb.255:                              ;   in Loop: Header=BB362_244 Depth=1
	v_or_b32_e32 v6, 0x10000, v8
	v_cmp_eq_u32_sdwa s[0:1], v8, v17 src0_sel:WORD_0 src1_sel:DWORD
	v_cndmask_b32_e64 v25, v6, v8, s[0:1]
; %bb.256:                              ;   in Loop: Header=BB362_244 Depth=1
	s_or_b64 exec, exec, s[2:3]
	v_and_b32_e32 v6, 0x7f800000, v9
	v_cmp_ne_u32_e64 s[0:1], s30, v6
                                        ; implicit-def: $vgpr26
	s_and_saveexec_b64 s[2:3], s[0:1]
	s_xor_b64 s[0:1], exec, s[2:3]
; %bb.257:                              ;   in Loop: Header=BB362_244 Depth=1
	v_bfe_u32 v6, v9, 16, 1
	v_add3_u32 v26, v9, v6, s31
                                        ; implicit-def: $vgpr6_vgpr7_vgpr8_vgpr9
; %bb.258:                              ;   in Loop: Header=BB362_244 Depth=1
	s_andn2_saveexec_b64 s[2:3], s[0:1]
; %bb.259:                              ;   in Loop: Header=BB362_244 Depth=1
	v_or_b32_e32 v6, 0x10000, v9
	v_cmp_eq_u32_sdwa s[0:1], v9, v17 src0_sel:WORD_0 src1_sel:DWORD
	v_cndmask_b32_e64 v26, v6, v9, s[0:1]
; %bb.260:                              ;   in Loop: Header=BB362_244 Depth=1
	s_or_b64 exec, exec, s[2:3]
	v_and_b32_e32 v6, 0x7f800000, v2
	v_cmp_ne_u32_e64 s[0:1], s30, v6
                                        ; implicit-def: $vgpr27
	s_and_saveexec_b64 s[2:3], s[0:1]
	s_xor_b64 s[0:1], exec, s[2:3]
; %bb.261:                              ;   in Loop: Header=BB362_244 Depth=1
	v_bfe_u32 v6, v2, 16, 1
	v_add3_u32 v27, v2, v6, s31
; %bb.262:                              ;   in Loop: Header=BB362_244 Depth=1
	s_andn2_saveexec_b64 s[2:3], s[0:1]
; %bb.263:                              ;   in Loop: Header=BB362_244 Depth=1
	v_or_b32_e32 v6, 0x10000, v2
	v_cmp_eq_u32_sdwa s[0:1], v2, v17 src0_sel:WORD_0 src1_sel:DWORD
	v_cndmask_b32_e64 v27, v6, v2, s[0:1]
; %bb.264:                              ;   in Loop: Header=BB362_244 Depth=1
	s_or_b64 exec, exec, s[2:3]
	v_and_b32_e32 v2, 0x7f800000, v3
	v_cmp_ne_u32_e64 s[0:1], s30, v2
                                        ; implicit-def: $vgpr28
	s_and_saveexec_b64 s[2:3], s[0:1]
	s_xor_b64 s[0:1], exec, s[2:3]
; %bb.265:                              ;   in Loop: Header=BB362_244 Depth=1
	v_bfe_u32 v2, v3, 16, 1
	v_add3_u32 v28, v3, v2, s31
; %bb.266:                              ;   in Loop: Header=BB362_244 Depth=1
	s_andn2_saveexec_b64 s[2:3], s[0:1]
; %bb.267:                              ;   in Loop: Header=BB362_244 Depth=1
	v_or_b32_e32 v2, 0x10000, v3
	v_cmp_eq_u32_sdwa s[0:1], v3, v17 src0_sel:WORD_0 src1_sel:DWORD
	v_cndmask_b32_e64 v28, v2, v3, s[0:1]
; %bb.268:                              ;   in Loop: Header=BB362_244 Depth=1
	s_or_b64 exec, exec, s[2:3]
	v_and_b32_e32 v2, 0x7f800000, v4
	v_cmp_ne_u32_e64 s[0:1], s30, v2
                                        ; implicit-def: $vgpr29
	s_and_saveexec_b64 s[2:3], s[0:1]
	s_xor_b64 s[0:1], exec, s[2:3]
; %bb.269:                              ;   in Loop: Header=BB362_244 Depth=1
	v_bfe_u32 v2, v4, 16, 1
	v_add3_u32 v29, v4, v2, s31
; %bb.270:                              ;   in Loop: Header=BB362_244 Depth=1
	s_andn2_saveexec_b64 s[2:3], s[0:1]
; %bb.271:                              ;   in Loop: Header=BB362_244 Depth=1
	v_or_b32_e32 v2, 0x10000, v4
	v_cmp_eq_u32_sdwa s[0:1], v4, v17 src0_sel:WORD_0 src1_sel:DWORD
	v_cndmask_b32_e64 v29, v2, v4, s[0:1]
; %bb.272:                              ;   in Loop: Header=BB362_244 Depth=1
	s_or_b64 exec, exec, s[2:3]
	v_and_b32_e32 v2, 0x7f800000, v5
	v_cmp_ne_u32_e64 s[0:1], s30, v2
                                        ; implicit-def: $vgpr30
	s_and_saveexec_b64 s[2:3], s[0:1]
	s_xor_b64 s[0:1], exec, s[2:3]
; %bb.273:                              ;   in Loop: Header=BB362_244 Depth=1
	v_bfe_u32 v2, v5, 16, 1
	v_add3_u32 v30, v5, v2, s31
                                        ; implicit-def: $vgpr2_vgpr3_vgpr4_vgpr5
; %bb.274:                              ;   in Loop: Header=BB362_244 Depth=1
	s_andn2_saveexec_b64 s[2:3], s[0:1]
; %bb.275:                              ;   in Loop: Header=BB362_244 Depth=1
	v_or_b32_e32 v2, 0x10000, v5
	v_cmp_eq_u32_sdwa s[0:1], v5, v17 src0_sel:WORD_0 src1_sel:DWORD
	v_cndmask_b32_e64 v30, v2, v5, s[0:1]
; %bb.276:                              ;   in Loop: Header=BB362_244 Depth=1
	s_or_b64 exec, exec, s[2:3]
	v_pk_mov_b32 v[2:3], s[10:11], s[10:11] op_sel:[0,1]
	s_waitcnt vmcnt(0)
	v_mad_i64_i32 v[2:3], s[0:1], v16, s5, v[2:3]
	v_add_co_u32_e64 v4, s[0:1], v2, v14
	v_addc_co_u32_e64 v5, s[0:1], 0, v3, s[0:1]
	global_load_dwordx2 v[6:7], v[4:5], off
	v_mov_b32_e32 v8, 0
	s_waitcnt vmcnt(0)
	v_cmp_ne_u16_sdwa s[0:1], v6, v17 src0_sel:BYTE_0 src1_sel:DWORD
	s_and_saveexec_b64 s[2:3], s[0:1]
	s_cbranch_execz .LBB362_282
; %bb.277:                              ;   in Loop: Header=BB362_244 Depth=1
	v_cmp_ne_u16_sdwa s[0:1], v6, s34 src0_sel:BYTE_0 src1_sel:DWORD
	v_bfrev_b32_e32 v8, 1
	s_and_saveexec_b64 s[16:17], s[0:1]
	s_cbranch_execz .LBB362_281
; %bb.278:                              ;   in Loop: Header=BB362_244 Depth=1
	v_and_b32_e32 v9, 0x7f, v6
	v_cmp_ne_u32_e64 s[0:1], s35, v9
	v_mov_b32_e32 v8, 0x7f800001
	s_and_saveexec_b64 s[18:19], s[0:1]
	s_cbranch_execz .LBB362_280
; %bb.279:                              ;   in Loop: Header=BB362_244 Depth=1
	v_and_b32_e32 v8, 7, v6
	v_ffbh_u32_e32 v8, v8
	v_min_u32_e32 v8, 32, v8
	v_lshrrev_b32_e32 v16, 3, v9
	v_subrev_u32_e32 v33, 28, v8
	v_sub_u32_e32 v8, 29, v8
	v_cmp_gt_u32_e64 s[0:1], 8, v9
	v_cndmask_b32_e64 v16, v16, v8, s[0:1]
	v_cndmask_b32_e64 v8, 0, v33, s[0:1]
	v_lshlrev_b64 v[8:9], v8, v[6:7]
	v_lshlrev_b32_e32 v8, 20, v8
	v_lshlrev_b32_e32 v9, 24, v6
	v_and_b32_e32 v8, 0x700000, v8
	v_and_b32_e32 v9, 0x80000000, v9
	v_lshl_add_u32 v16, v16, 23, v13
	v_or3_b32 v8, v9, v16, v8
.LBB362_280:                            ;   in Loop: Header=BB362_244 Depth=1
	s_or_b64 exec, exec, s[18:19]
.LBB362_281:                            ;   in Loop: Header=BB362_244 Depth=1
	s_or_b64 exec, exec, s[16:17]
.LBB362_282:                            ;   in Loop: Header=BB362_244 Depth=1
	s_or_b64 exec, exec, s[2:3]
	v_mul_f32_e32 v8, s28, v8
	v_and_b32_e32 v9, 0x7f800000, v8
	v_cmp_ne_u32_e64 s[0:1], s30, v9
                                        ; implicit-def: $vgpr9
	s_and_saveexec_b64 s[2:3], s[0:1]
	s_xor_b64 s[0:1], exec, s[2:3]
; %bb.283:                              ;   in Loop: Header=BB362_244 Depth=1
	v_bfe_u32 v9, v8, 16, 1
	v_add3_u32 v9, v8, v9, s31
                                        ; implicit-def: $vgpr8
; %bb.284:                              ;   in Loop: Header=BB362_244 Depth=1
	s_andn2_saveexec_b64 s[2:3], s[0:1]
; %bb.285:                              ;   in Loop: Header=BB362_244 Depth=1
	v_or_b32_e32 v9, 0x10000, v8
	v_cmp_eq_u32_sdwa s[0:1], v8, v17 src0_sel:WORD_0 src1_sel:DWORD
	v_cndmask_b32_e64 v9, v9, v8, s[0:1]
; %bb.286:                              ;   in Loop: Header=BB362_244 Depth=1
	s_or_b64 exec, exec, s[2:3]
	v_lshrrev_b16_e32 v8, 8, v6
	v_cmp_ne_u16_e64 s[0:1], 0, v8
	v_mov_b32_e32 v16, 0
	s_and_saveexec_b64 s[2:3], s[0:1]
	s_cbranch_execz .LBB362_292
; %bb.287:                              ;   in Loop: Header=BB362_244 Depth=1
	v_cmp_ne_u16_e64 s[0:1], s34, v8
	v_bfrev_b32_e32 v16, 1
	s_and_saveexec_b64 s[16:17], s[0:1]
	s_cbranch_execz .LBB362_291
; %bb.288:                              ;   in Loop: Header=BB362_244 Depth=1
	v_and_b32_e32 v33, 0x7f, v8
	v_cmp_ne_u32_e64 s[0:1], s35, v33
	v_mov_b32_e32 v16, 0x7f800001
	s_and_saveexec_b64 s[18:19], s[0:1]
	s_cbranch_execz .LBB362_290
; %bb.289:                              ;   in Loop: Header=BB362_244 Depth=1
	v_and_b32_e32 v16, 7, v8
	v_ffbh_u32_e32 v34, v16
	v_min_u32_e32 v37, 32, v34
	v_subrev_u32_e32 v34, 28, v37
	v_lshlrev_b64 v[34:35], v34, v[8:9]
	v_lshrrev_b32_e32 v36, 3, v33
	v_sub_u32_e32 v8, 29, v37
	v_and_b32_e32 v34, 7, v34
	v_cmp_gt_u32_e64 s[0:1], 8, v33
	v_cndmask_b32_e64 v8, v36, v8, s[0:1]
	v_cndmask_b32_e64 v16, v16, v34, s[0:1]
	v_lshlrev_b32_e32 v33, 16, v6
	v_lshlrev_b32_e32 v16, 20, v16
	v_and_b32_e32 v33, 0x80000000, v33
	v_lshl_add_u32 v8, v8, 23, v13
	v_or3_b32 v16, v33, v8, v16
.LBB362_290:                            ;   in Loop: Header=BB362_244 Depth=1
	s_or_b64 exec, exec, s[18:19]
.LBB362_291:                            ;   in Loop: Header=BB362_244 Depth=1
	s_or_b64 exec, exec, s[16:17]
.LBB362_292:                            ;   in Loop: Header=BB362_244 Depth=1
	s_or_b64 exec, exec, s[2:3]
	v_mul_f32_e32 v8, s28, v16
	v_and_b32_e32 v16, 0x7f800000, v8
	v_cmp_ne_u32_e64 s[0:1], s30, v16
                                        ; implicit-def: $vgpr33
	s_and_saveexec_b64 s[2:3], s[0:1]
	s_xor_b64 s[0:1], exec, s[2:3]
; %bb.293:                              ;   in Loop: Header=BB362_244 Depth=1
	v_bfe_u32 v16, v8, 16, 1
	v_add3_u32 v33, v8, v16, s31
                                        ; implicit-def: $vgpr8
; %bb.294:                              ;   in Loop: Header=BB362_244 Depth=1
	s_andn2_saveexec_b64 s[2:3], s[0:1]
; %bb.295:                              ;   in Loop: Header=BB362_244 Depth=1
	v_or_b32_e32 v16, 0x10000, v8
	v_cmp_eq_u32_sdwa s[0:1], v8, v17 src0_sel:WORD_0 src1_sel:DWORD
	v_cndmask_b32_e64 v33, v16, v8, s[0:1]
; %bb.296:                              ;   in Loop: Header=BB362_244 Depth=1
	s_or_b64 exec, exec, s[2:3]
	v_lshrrev_b32_e32 v8, 16, v6
	v_cmp_ne_u16_sdwa s[0:1], v8, v17 src0_sel:BYTE_0 src1_sel:DWORD
	v_mov_b32_e32 v16, 0
	s_and_saveexec_b64 s[2:3], s[0:1]
	s_cbranch_execz .LBB362_302
; %bb.297:                              ;   in Loop: Header=BB362_244 Depth=1
	v_cmp_ne_u16_sdwa s[0:1], v8, s34 src0_sel:BYTE_0 src1_sel:DWORD
	v_bfrev_b32_e32 v16, 1
	s_and_saveexec_b64 s[16:17], s[0:1]
	s_cbranch_execz .LBB362_301
; %bb.298:                              ;   in Loop: Header=BB362_244 Depth=1
	v_bfe_u32 v34, v6, 16, 7
	v_cmp_ne_u32_e64 s[0:1], s35, v34
	v_mov_b32_e32 v16, 0x7f800001
	s_and_saveexec_b64 s[18:19], s[0:1]
	s_cbranch_execz .LBB362_300
; %bb.299:                              ;   in Loop: Header=BB362_244 Depth=1
	v_and_b32_e32 v16, 7, v8
	v_ffbh_u32_e32 v36, v16
	v_min_u32_e32 v38, 32, v36
	v_subrev_u32_e32 v36, 28, v38
	v_lshlrev_b64 v[36:37], v36, v[8:9]
	v_lshrrev_b32_e32 v35, 3, v34
	v_sub_u32_e32 v37, 29, v38
	v_and_b32_e32 v36, 7, v36
	v_cmp_gt_u32_e64 s[0:1], 8, v34
	v_cndmask_b32_e64 v34, v35, v37, s[0:1]
	v_cndmask_b32_e64 v16, v16, v36, s[0:1]
	v_lshlrev_b32_e32 v8, 24, v8
	v_lshlrev_b32_e32 v16, 20, v16
	v_and_b32_e32 v8, 0x80000000, v8
	v_lshl_add_u32 v34, v34, 23, v13
	v_or3_b32 v16, v8, v34, v16
.LBB362_300:                            ;   in Loop: Header=BB362_244 Depth=1
	s_or_b64 exec, exec, s[18:19]
.LBB362_301:                            ;   in Loop: Header=BB362_244 Depth=1
	s_or_b64 exec, exec, s[16:17]
.LBB362_302:                            ;   in Loop: Header=BB362_244 Depth=1
	s_or_b64 exec, exec, s[2:3]
	v_mul_f32_e32 v8, s28, v16
	v_and_b32_e32 v16, 0x7f800000, v8
	v_cmp_ne_u32_e64 s[0:1], s30, v16
                                        ; implicit-def: $vgpr34
	s_and_saveexec_b64 s[2:3], s[0:1]
	s_xor_b64 s[0:1], exec, s[2:3]
; %bb.303:                              ;   in Loop: Header=BB362_244 Depth=1
	v_bfe_u32 v16, v8, 16, 1
	v_add3_u32 v34, v8, v16, s31
                                        ; implicit-def: $vgpr8
; %bb.304:                              ;   in Loop: Header=BB362_244 Depth=1
	s_andn2_saveexec_b64 s[2:3], s[0:1]
; %bb.305:                              ;   in Loop: Header=BB362_244 Depth=1
	v_or_b32_e32 v16, 0x10000, v8
	v_cmp_eq_u32_sdwa s[0:1], v8, v17 src0_sel:WORD_0 src1_sel:DWORD
	v_cndmask_b32_e64 v34, v16, v8, s[0:1]
; %bb.306:                              ;   in Loop: Header=BB362_244 Depth=1
	s_or_b64 exec, exec, s[2:3]
	v_cmp_lt_u32_e64 s[0:1], s13, v6
	v_mov_b32_e32 v16, 0
	s_and_saveexec_b64 s[2:3], s[0:1]
	s_cbranch_execz .LBB362_312
; %bb.307:                              ;   in Loop: Header=BB362_244 Depth=1
	v_lshrrev_b32_e32 v8, 24, v6
	v_cmp_ne_u32_e64 s[0:1], s34, v8
	v_bfrev_b32_e32 v16, 1
	s_and_saveexec_b64 s[16:17], s[0:1]
	s_cbranch_execz .LBB362_311
; %bb.308:                              ;   in Loop: Header=BB362_244 Depth=1
	v_bfe_u32 v35, v6, 24, 7
	v_cmp_ne_u32_e64 s[0:1], s35, v35
	v_mov_b32_e32 v16, 0x7f800001
	s_and_saveexec_b64 s[18:19], s[0:1]
	s_cbranch_execz .LBB362_310
; %bb.309:                              ;   in Loop: Header=BB362_244 Depth=1
	v_and_b32_e32 v16, 7, v8
	v_ffbh_u32_e32 v36, v16
	v_min_u32_e32 v39, 32, v36
	v_subrev_u32_e32 v36, 28, v39
	v_lshlrev_b64 v[36:37], v36, v[8:9]
	v_lshrrev_b32_e32 v38, 3, v35
	v_sub_u32_e32 v37, 29, v39
	v_and_b32_e32 v36, 7, v36
	v_cmp_gt_u32_e64 s[0:1], 8, v35
	v_cndmask_b32_e64 v35, v38, v37, s[0:1]
	v_cndmask_b32_e64 v16, v16, v36, s[0:1]
	v_lshlrev_b32_e32 v8, 24, v8
	v_lshlrev_b32_e32 v16, 20, v16
	v_and_b32_e32 v8, 0x80000000, v8
	v_lshl_add_u32 v35, v35, 23, v13
	v_or3_b32 v16, v8, v35, v16
.LBB362_310:                            ;   in Loop: Header=BB362_244 Depth=1
	s_or_b64 exec, exec, s[18:19]
.LBB362_311:                            ;   in Loop: Header=BB362_244 Depth=1
	s_or_b64 exec, exec, s[16:17]
.LBB362_312:                            ;   in Loop: Header=BB362_244 Depth=1
	s_or_b64 exec, exec, s[2:3]
	v_mul_f32_e32 v8, s28, v16
	v_and_b32_e32 v16, 0x7f800000, v8
	v_cmp_ne_u32_e64 s[0:1], s30, v16
                                        ; implicit-def: $vgpr35
	s_and_saveexec_b64 s[2:3], s[0:1]
	s_xor_b64 s[0:1], exec, s[2:3]
; %bb.313:                              ;   in Loop: Header=BB362_244 Depth=1
	v_bfe_u32 v16, v8, 16, 1
	v_add3_u32 v35, v8, v16, s31
                                        ; implicit-def: $vgpr8
; %bb.314:                              ;   in Loop: Header=BB362_244 Depth=1
	s_andn2_saveexec_b64 s[2:3], s[0:1]
; %bb.315:                              ;   in Loop: Header=BB362_244 Depth=1
	v_or_b32_e32 v16, 0x10000, v8
	v_cmp_eq_u32_sdwa s[0:1], v8, v17 src0_sel:WORD_0 src1_sel:DWORD
	v_cndmask_b32_e64 v35, v16, v8, s[0:1]
; %bb.316:                              ;   in Loop: Header=BB362_244 Depth=1
	s_or_b64 exec, exec, s[2:3]
	v_mov_b32_e32 v16, v7
	v_cmp_ne_u16_sdwa s[0:1], v7, v17 src0_sel:BYTE_0 src1_sel:DWORD
	v_mov_b32_e32 v8, 0
	s_and_saveexec_b64 s[2:3], s[0:1]
	s_cbranch_execz .LBB362_322
; %bb.317:                              ;   in Loop: Header=BB362_244 Depth=1
	v_cmp_ne_u16_sdwa s[0:1], v7, s34 src0_sel:BYTE_0 src1_sel:DWORD
	v_bfrev_b32_e32 v8, 1
	s_and_saveexec_b64 s[16:17], s[0:1]
	s_cbranch_execz .LBB362_321
; %bb.318:                              ;   in Loop: Header=BB362_244 Depth=1
	v_and_b32_e32 v36, 0x7f, v7
	v_cmp_ne_u32_e64 s[0:1], s35, v36
	v_mov_b32_e32 v8, 0x7f800001
	s_and_saveexec_b64 s[18:19], s[0:1]
	s_cbranch_execz .LBB362_320
; %bb.319:                              ;   in Loop: Header=BB362_244 Depth=1
	v_and_b32_e32 v8, 7, v7
	v_ffbh_u32_e32 v8, v8
	v_min_u32_e32 v8, 32, v8
	v_subrev_u32_e32 v38, 28, v8
	v_cmp_gt_u32_e64 s[0:1], 8, v36
	v_lshrrev_b32_e32 v37, 3, v36
	v_sub_u32_e32 v8, 29, v8
	v_cndmask_b32_e64 v36, 0, v38, s[0:1]
	v_cndmask_b32_e64 v8, v37, v8, s[0:1]
	v_lshlrev_b64 v[36:37], v36, v[16:17]
	v_lshlrev_b32_e32 v36, 20, v36
	v_lshlrev_b32_e32 v37, 24, v16
	v_and_b32_e32 v36, 0x700000, v36
	v_and_b32_e32 v37, 0x80000000, v37
	v_lshl_add_u32 v8, v8, 23, v13
	v_or3_b32 v8, v37, v8, v36
.LBB362_320:                            ;   in Loop: Header=BB362_244 Depth=1
	s_or_b64 exec, exec, s[18:19]
.LBB362_321:                            ;   in Loop: Header=BB362_244 Depth=1
	s_or_b64 exec, exec, s[16:17]
.LBB362_322:                            ;   in Loop: Header=BB362_244 Depth=1
	s_or_b64 exec, exec, s[2:3]
	v_mul_f32_e32 v8, s28, v8
	v_and_b32_e32 v36, 0x7f800000, v8
	v_cmp_ne_u32_e64 s[0:1], s30, v36
                                        ; implicit-def: $vgpr36
	s_and_saveexec_b64 s[2:3], s[0:1]
	s_xor_b64 s[0:1], exec, s[2:3]
; %bb.323:                              ;   in Loop: Header=BB362_244 Depth=1
	v_bfe_u32 v36, v8, 16, 1
	v_add3_u32 v36, v8, v36, s31
                                        ; implicit-def: $vgpr8
; %bb.324:                              ;   in Loop: Header=BB362_244 Depth=1
	s_andn2_saveexec_b64 s[2:3], s[0:1]
; %bb.325:                              ;   in Loop: Header=BB362_244 Depth=1
	v_or_b32_e32 v36, 0x10000, v8
	v_cmp_eq_u32_sdwa s[0:1], v8, v17 src0_sel:WORD_0 src1_sel:DWORD
	v_cndmask_b32_e64 v36, v36, v8, s[0:1]
; %bb.326:                              ;   in Loop: Header=BB362_244 Depth=1
	s_or_b64 exec, exec, s[2:3]
	v_lshrrev_b16_e32 v8, 8, v16
	v_cmp_ne_u16_e64 s[0:1], 0, v8
	v_mov_b32_e32 v37, 0
	s_and_saveexec_b64 s[2:3], s[0:1]
	s_cbranch_execz .LBB362_332
; %bb.327:                              ;   in Loop: Header=BB362_244 Depth=1
	v_cmp_ne_u16_e64 s[0:1], s34, v8
	v_bfrev_b32_e32 v37, 1
	s_and_saveexec_b64 s[16:17], s[0:1]
	s_cbranch_execz .LBB362_331
; %bb.328:                              ;   in Loop: Header=BB362_244 Depth=1
	v_and_b32_e32 v38, 0x7f, v8
	v_cmp_ne_u32_e64 s[0:1], s35, v38
	v_mov_b32_e32 v37, 0x7f800001
	s_and_saveexec_b64 s[18:19], s[0:1]
	s_cbranch_execz .LBB362_330
; %bb.329:                              ;   in Loop: Header=BB362_244 Depth=1
	v_and_b32_e32 v37, 7, v8
	v_ffbh_u32_e32 v40, v37
	v_min_u32_e32 v42, 32, v40
	v_subrev_u32_e32 v40, 28, v42
	v_lshlrev_b64 v[40:41], v40, v[8:9]
	v_lshrrev_b32_e32 v39, 3, v38
	v_sub_u32_e32 v8, 29, v42
	v_and_b32_e32 v40, 7, v40
	v_cmp_gt_u32_e64 s[0:1], 8, v38
	v_cndmask_b32_e64 v8, v39, v8, s[0:1]
	v_cndmask_b32_e64 v37, v37, v40, s[0:1]
	v_lshlrev_b32_e32 v16, 16, v16
	v_lshlrev_b32_e32 v37, 20, v37
	v_and_b32_e32 v16, 0x80000000, v16
	v_lshl_add_u32 v8, v8, 23, v13
	v_or3_b32 v37, v16, v8, v37
.LBB362_330:                            ;   in Loop: Header=BB362_244 Depth=1
	s_or_b64 exec, exec, s[18:19]
.LBB362_331:                            ;   in Loop: Header=BB362_244 Depth=1
	s_or_b64 exec, exec, s[16:17]
.LBB362_332:                            ;   in Loop: Header=BB362_244 Depth=1
	s_or_b64 exec, exec, s[2:3]
	v_mul_f32_e32 v8, s28, v37
	v_and_b32_e32 v16, 0x7f800000, v8
	v_cmp_ne_u32_e64 s[0:1], s30, v16
                                        ; implicit-def: $vgpr16
	s_and_saveexec_b64 s[2:3], s[0:1]
	s_xor_b64 s[0:1], exec, s[2:3]
; %bb.333:                              ;   in Loop: Header=BB362_244 Depth=1
	v_bfe_u32 v16, v8, 16, 1
	v_add3_u32 v16, v8, v16, s31
                                        ; implicit-def: $vgpr8
; %bb.334:                              ;   in Loop: Header=BB362_244 Depth=1
	s_andn2_saveexec_b64 s[2:3], s[0:1]
; %bb.335:                              ;   in Loop: Header=BB362_244 Depth=1
	v_or_b32_e32 v16, 0x10000, v8
	v_cmp_eq_u32_sdwa s[0:1], v8, v17 src0_sel:WORD_0 src1_sel:DWORD
	v_cndmask_b32_e64 v16, v16, v8, s[0:1]
; %bb.336:                              ;   in Loop: Header=BB362_244 Depth=1
	s_or_b64 exec, exec, s[2:3]
	v_lshrrev_b32_e32 v8, 16, v7
	v_cmp_ne_u16_sdwa s[0:1], v8, v17 src0_sel:BYTE_0 src1_sel:DWORD
	v_mov_b32_e32 v37, 0
	s_and_saveexec_b64 s[2:3], s[0:1]
	s_cbranch_execz .LBB362_342
; %bb.337:                              ;   in Loop: Header=BB362_244 Depth=1
	v_cmp_ne_u16_sdwa s[0:1], v8, s34 src0_sel:BYTE_0 src1_sel:DWORD
	v_bfrev_b32_e32 v37, 1
	s_and_saveexec_b64 s[16:17], s[0:1]
	s_cbranch_execz .LBB362_341
; %bb.338:                              ;   in Loop: Header=BB362_244 Depth=1
	v_bfe_u32 v38, v7, 16, 7
	v_cmp_ne_u32_e64 s[0:1], s35, v38
	v_mov_b32_e32 v37, 0x7f800001
	s_and_saveexec_b64 s[18:19], s[0:1]
	s_cbranch_execz .LBB362_340
; %bb.339:                              ;   in Loop: Header=BB362_244 Depth=1
	v_and_b32_e32 v37, 7, v8
	v_ffbh_u32_e32 v40, v37
	v_min_u32_e32 v42, 32, v40
	v_subrev_u32_e32 v40, 28, v42
	v_lshlrev_b64 v[40:41], v40, v[8:9]
	v_lshrrev_b32_e32 v39, 3, v38
	v_sub_u32_e32 v41, 29, v42
	v_and_b32_e32 v40, 7, v40
	v_cmp_gt_u32_e64 s[0:1], 8, v38
	v_cndmask_b32_e64 v38, v39, v41, s[0:1]
	v_cndmask_b32_e64 v37, v37, v40, s[0:1]
	v_lshlrev_b32_e32 v8, 24, v8
	v_lshlrev_b32_e32 v37, 20, v37
	v_and_b32_e32 v8, 0x80000000, v8
	v_lshl_add_u32 v38, v38, 23, v13
	v_or3_b32 v37, v8, v38, v37
.LBB362_340:                            ;   in Loop: Header=BB362_244 Depth=1
	s_or_b64 exec, exec, s[18:19]
.LBB362_341:                            ;   in Loop: Header=BB362_244 Depth=1
	s_or_b64 exec, exec, s[16:17]
.LBB362_342:                            ;   in Loop: Header=BB362_244 Depth=1
	s_or_b64 exec, exec, s[2:3]
	v_mul_f32_e32 v37, s28, v37
	v_and_b32_e32 v8, 0x7f800000, v37
	v_cmp_ne_u32_e64 s[0:1], s30, v8
                                        ; implicit-def: $vgpr8
	s_and_saveexec_b64 s[2:3], s[0:1]
	s_xor_b64 s[0:1], exec, s[2:3]
; %bb.343:                              ;   in Loop: Header=BB362_244 Depth=1
	v_bfe_u32 v8, v37, 16, 1
	v_add3_u32 v8, v37, v8, s31
                                        ; implicit-def: $vgpr37
; %bb.344:                              ;   in Loop: Header=BB362_244 Depth=1
	s_andn2_saveexec_b64 s[2:3], s[0:1]
; %bb.345:                              ;   in Loop: Header=BB362_244 Depth=1
	v_or_b32_e32 v8, 0x10000, v37
	v_cmp_eq_u32_sdwa s[0:1], v37, v17 src0_sel:WORD_0 src1_sel:DWORD
	v_cndmask_b32_e64 v8, v8, v37, s[0:1]
; %bb.346:                              ;   in Loop: Header=BB362_244 Depth=1
	s_or_b64 exec, exec, s[2:3]
	v_cmp_lt_u64_e64 s[0:1], s[12:13], v[6:7]
	v_mov_b32_e32 v37, 0
	s_and_saveexec_b64 s[2:3], s[0:1]
	s_cbranch_execz .LBB362_352
; %bb.347:                              ;   in Loop: Header=BB362_244 Depth=1
	v_lshrrev_b32_e32 v6, 24, v7
	v_cmp_ne_u32_e64 s[0:1], s34, v6
	v_bfrev_b32_e32 v37, 1
	s_and_saveexec_b64 s[16:17], s[0:1]
	s_cbranch_execz .LBB362_351
; %bb.348:                              ;   in Loop: Header=BB362_244 Depth=1
	v_bfe_u32 v7, v7, 24, 7
	v_cmp_ne_u32_e64 s[0:1], s35, v7
	v_mov_b32_e32 v37, 0x7f800001
	s_and_saveexec_b64 s[18:19], s[0:1]
	s_cbranch_execz .LBB362_350
; %bb.349:                              ;   in Loop: Header=BB362_244 Depth=1
	v_and_b32_e32 v37, 7, v6
	v_ffbh_u32_e32 v38, v37
	v_min_u32_e32 v41, 32, v38
	v_subrev_u32_e32 v38, 28, v41
	v_lshlrev_b64 v[38:39], v38, v[6:7]
	v_lshrrev_b32_e32 v40, 3, v7
	v_sub_u32_e32 v39, 29, v41
	v_and_b32_e32 v38, 7, v38
	v_cmp_gt_u32_e64 s[0:1], 8, v7
	v_cndmask_b32_e64 v7, v40, v39, s[0:1]
	v_cndmask_b32_e64 v37, v37, v38, s[0:1]
	v_lshlrev_b32_e32 v6, 24, v6
	v_lshlrev_b32_e32 v37, 20, v37
	v_and_b32_e32 v6, 0x80000000, v6
	v_lshl_add_u32 v7, v7, 23, v13
	v_or3_b32 v37, v6, v7, v37
.LBB362_350:                            ;   in Loop: Header=BB362_244 Depth=1
	s_or_b64 exec, exec, s[18:19]
.LBB362_351:                            ;   in Loop: Header=BB362_244 Depth=1
	s_or_b64 exec, exec, s[16:17]
.LBB362_352:                            ;   in Loop: Header=BB362_244 Depth=1
	s_or_b64 exec, exec, s[2:3]
	v_mul_f32_e32 v7, s28, v37
	v_and_b32_e32 v6, 0x7f800000, v7
	v_cmp_ne_u32_e64 s[0:1], s30, v6
                                        ; implicit-def: $vgpr6
	s_and_saveexec_b64 s[2:3], s[0:1]
	s_xor_b64 s[0:1], exec, s[2:3]
; %bb.353:                              ;   in Loop: Header=BB362_244 Depth=1
	v_bfe_u32 v6, v7, 16, 1
	v_add3_u32 v6, v7, v6, s31
                                        ; implicit-def: $vgpr7
; %bb.354:                              ;   in Loop: Header=BB362_244 Depth=1
	s_andn2_saveexec_b64 s[2:3], s[0:1]
; %bb.355:                              ;   in Loop: Header=BB362_244 Depth=1
	v_or_b32_e32 v6, 0x10000, v7
	v_cmp_eq_u32_sdwa s[0:1], v7, v17 src0_sel:WORD_0 src1_sel:DWORD
	v_cndmask_b32_e64 v6, v6, v7, s[0:1]
; %bb.356:                              ;   in Loop: Header=BB362_244 Depth=1
	s_or_b64 exec, exec, s[2:3]
	v_cmp_eq_u32_e64 s[0:1], s9, v12
	v_add_u32_e32 v7, -7, v19
	v_lshrrev_b32_e32 v37, 16, v16
	v_lshrrev_b32_e32 v36, 16, v36
	;; [unrolled: 1-line block ×8, first 2 shown]
	s_and_saveexec_b64 s[16:17], s[0:1]
	s_cbranch_execz .LBB362_358
; %bb.357:                              ;   in Loop: Header=BB362_244 Depth=1
	v_cmp_gt_i32_e64 s[2:3], s29, v7
	v_add_u32_e32 v8, -6, v19
	v_cndmask_b32_e64 v9, 0, v9, s[2:3]
	v_cmp_gt_i32_e64 s[2:3], s29, v8
	v_add_u32_e32 v8, -5, v19
	v_cndmask_b32_e64 v33, 0, v33, s[2:3]
	v_cmp_gt_i32_e64 s[2:3], s29, v8
	v_add_u32_e32 v8, -4, v19
	v_cndmask_b32_e64 v34, 0, v34, s[2:3]
	v_cmp_gt_i32_e64 s[2:3], s29, v8
	v_add_u32_e32 v8, -3, v19
	v_cndmask_b32_e64 v35, 0, v35, s[2:3]
	v_cmp_gt_i32_e64 s[2:3], s29, v8
	v_add_u32_e32 v8, -2, v19
	v_cndmask_b32_e64 v36, 0, v36, s[2:3]
	v_cmp_gt_i32_e64 s[2:3], s29, v8
	v_add_u32_e32 v8, -1, v19
	v_cndmask_b32_e64 v37, 0, v37, s[2:3]
	v_cmp_gt_i32_e64 s[2:3], s29, v8
	v_cndmask_b32_e64 v16, 0, v16, s[2:3]
	v_cmp_gt_i32_e64 s[2:3], s29, v19
	v_cndmask_b32_e64 v6, 0, v6, s[2:3]
.LBB362_358:                            ;   in Loop: Header=BB362_244 Depth=1
	s_or_b64 exec, exec, s[16:17]
	v_and_b32_e32 v8, 0xffff0000, v31
	v_lshlrev_b32_e32 v9, 16, v9
	v_mul_f32_e32 v9, v8, v9
	v_and_b32_e32 v31, 0x7f800000, v9
	v_cmp_ne_u32_e64 s[2:3], s30, v31
                                        ; implicit-def: $vgpr31
	s_and_saveexec_b64 s[16:17], s[2:3]
	s_xor_b64 s[2:3], exec, s[16:17]
; %bb.359:                              ;   in Loop: Header=BB362_244 Depth=1
	v_bfe_u32 v31, v9, 16, 1
	v_add3_u32 v31, v9, v31, s31
                                        ; implicit-def: $vgpr9
; %bb.360:                              ;   in Loop: Header=BB362_244 Depth=1
	s_andn2_saveexec_b64 s[16:17], s[2:3]
; %bb.361:                              ;   in Loop: Header=BB362_244 Depth=1
	v_or_b32_e32 v31, 0x10000, v9
	v_cmp_eq_u32_sdwa s[2:3], v9, v17 src0_sel:WORD_0 src1_sel:DWORD
	v_cndmask_b32_e64 v31, v31, v9, s[2:3]
; %bb.362:                              ;   in Loop: Header=BB362_244 Depth=1
	s_or_b64 exec, exec, s[16:17]
	v_and_b32_e32 v9, 0xffff0000, v32
	v_lshlrev_b32_e32 v32, 16, v33
	v_mul_f32_e32 v33, v9, v32
	v_and_b32_e32 v32, 0x7f800000, v33
	v_cmp_ne_u32_e64 s[2:3], s30, v32
                                        ; implicit-def: $vgpr32
	s_and_saveexec_b64 s[16:17], s[2:3]
	s_xor_b64 s[2:3], exec, s[16:17]
; %bb.363:                              ;   in Loop: Header=BB362_244 Depth=1
	v_bfe_u32 v32, v33, 16, 1
	v_add3_u32 v32, v33, v32, s31
                                        ; implicit-def: $vgpr33
; %bb.364:                              ;   in Loop: Header=BB362_244 Depth=1
	s_andn2_saveexec_b64 s[16:17], s[2:3]
; %bb.365:                              ;   in Loop: Header=BB362_244 Depth=1
	v_or_b32_e32 v32, 0x10000, v33
	v_cmp_eq_u32_sdwa s[2:3], v33, v17 src0_sel:WORD_0 src1_sel:DWORD
	v_cndmask_b32_e64 v32, v32, v33, s[2:3]
; %bb.366:                              ;   in Loop: Header=BB362_244 Depth=1
	s_or_b64 exec, exec, s[16:17]
	v_and_b32_e32 v25, 0xffff0000, v25
	v_lshlrev_b32_e32 v33, 16, v34
	v_mul_f32_e32 v34, v25, v33
	v_and_b32_e32 v33, 0x7f800000, v34
	v_cmp_ne_u32_e64 s[2:3], s30, v33
                                        ; implicit-def: $vgpr33
	s_and_saveexec_b64 s[16:17], s[2:3]
	s_xor_b64 s[2:3], exec, s[16:17]
; %bb.367:                              ;   in Loop: Header=BB362_244 Depth=1
	v_bfe_u32 v33, v34, 16, 1
	v_add3_u32 v33, v34, v33, s31
                                        ; implicit-def: $vgpr34
; %bb.368:                              ;   in Loop: Header=BB362_244 Depth=1
	s_andn2_saveexec_b64 s[16:17], s[2:3]
; %bb.369:                              ;   in Loop: Header=BB362_244 Depth=1
	v_or_b32_e32 v33, 0x10000, v34
	v_cmp_eq_u32_sdwa s[2:3], v34, v17 src0_sel:WORD_0 src1_sel:DWORD
	v_cndmask_b32_e64 v33, v33, v34, s[2:3]
; %bb.370:                              ;   in Loop: Header=BB362_244 Depth=1
	s_or_b64 exec, exec, s[16:17]
	v_and_b32_e32 v26, 0xffff0000, v26
	v_lshlrev_b32_e32 v34, 16, v35
	v_mul_f32_e32 v35, v26, v34
	v_and_b32_e32 v34, 0x7f800000, v35
	v_cmp_ne_u32_e64 s[2:3], s30, v34
                                        ; implicit-def: $vgpr34
	s_and_saveexec_b64 s[16:17], s[2:3]
	s_xor_b64 s[2:3], exec, s[16:17]
; %bb.371:                              ;   in Loop: Header=BB362_244 Depth=1
	v_bfe_u32 v34, v35, 16, 1
	v_add3_u32 v34, v35, v34, s31
                                        ; implicit-def: $vgpr35
; %bb.372:                              ;   in Loop: Header=BB362_244 Depth=1
	s_andn2_saveexec_b64 s[16:17], s[2:3]
; %bb.373:                              ;   in Loop: Header=BB362_244 Depth=1
	v_or_b32_e32 v34, 0x10000, v35
	v_cmp_eq_u32_sdwa s[2:3], v35, v17 src0_sel:WORD_0 src1_sel:DWORD
	v_cndmask_b32_e64 v34, v34, v35, s[2:3]
; %bb.374:                              ;   in Loop: Header=BB362_244 Depth=1
	s_or_b64 exec, exec, s[16:17]
	v_and_b32_e32 v27, 0xffff0000, v27
	v_lshlrev_b32_e32 v35, 16, v36
	v_mul_f32_e32 v36, v27, v35
	v_and_b32_e32 v35, 0x7f800000, v36
	v_cmp_ne_u32_e64 s[2:3], s30, v35
                                        ; implicit-def: $vgpr35
	s_and_saveexec_b64 s[16:17], s[2:3]
	s_xor_b64 s[2:3], exec, s[16:17]
; %bb.375:                              ;   in Loop: Header=BB362_244 Depth=1
	v_bfe_u32 v35, v36, 16, 1
	v_add3_u32 v35, v36, v35, s31
                                        ; implicit-def: $vgpr36
; %bb.376:                              ;   in Loop: Header=BB362_244 Depth=1
	s_andn2_saveexec_b64 s[16:17], s[2:3]
; %bb.377:                              ;   in Loop: Header=BB362_244 Depth=1
	v_or_b32_e32 v35, 0x10000, v36
	v_cmp_eq_u32_sdwa s[2:3], v36, v17 src0_sel:WORD_0 src1_sel:DWORD
	v_cndmask_b32_e64 v35, v35, v36, s[2:3]
; %bb.378:                              ;   in Loop: Header=BB362_244 Depth=1
	s_or_b64 exec, exec, s[16:17]
	v_and_b32_e32 v28, 0xffff0000, v28
	v_lshlrev_b32_e32 v36, 16, v37
	v_mul_f32_e32 v37, v28, v36
	v_and_b32_e32 v36, 0x7f800000, v37
	v_cmp_ne_u32_e64 s[2:3], s30, v36
                                        ; implicit-def: $vgpr36
	s_and_saveexec_b64 s[16:17], s[2:3]
	s_xor_b64 s[2:3], exec, s[16:17]
; %bb.379:                              ;   in Loop: Header=BB362_244 Depth=1
	v_bfe_u32 v36, v37, 16, 1
	v_add3_u32 v36, v37, v36, s31
                                        ; implicit-def: $vgpr37
; %bb.380:                              ;   in Loop: Header=BB362_244 Depth=1
	s_andn2_saveexec_b64 s[16:17], s[2:3]
; %bb.381:                              ;   in Loop: Header=BB362_244 Depth=1
	v_or_b32_e32 v36, 0x10000, v37
	v_cmp_eq_u32_sdwa s[2:3], v37, v17 src0_sel:WORD_0 src1_sel:DWORD
	v_cndmask_b32_e64 v36, v36, v37, s[2:3]
; %bb.382:                              ;   in Loop: Header=BB362_244 Depth=1
	s_or_b64 exec, exec, s[16:17]
	v_and_b32_e32 v29, 0xffff0000, v29
	v_lshlrev_b32_e32 v16, 16, v16
	v_mul_f32_e32 v16, v29, v16
	v_and_b32_e32 v37, 0x7f800000, v16
	v_cmp_ne_u32_e64 s[2:3], s30, v37
                                        ; implicit-def: $vgpr37
	s_and_saveexec_b64 s[16:17], s[2:3]
	s_xor_b64 s[2:3], exec, s[16:17]
; %bb.383:                              ;   in Loop: Header=BB362_244 Depth=1
	v_bfe_u32 v37, v16, 16, 1
	v_add3_u32 v37, v16, v37, s31
                                        ; implicit-def: $vgpr16
; %bb.384:                              ;   in Loop: Header=BB362_244 Depth=1
	s_andn2_saveexec_b64 s[16:17], s[2:3]
; %bb.385:                              ;   in Loop: Header=BB362_244 Depth=1
	v_or_b32_e32 v37, 0x10000, v16
	v_cmp_eq_u32_sdwa s[2:3], v16, v17 src0_sel:WORD_0 src1_sel:DWORD
	v_cndmask_b32_e64 v37, v37, v16, s[2:3]
; %bb.386:                              ;   in Loop: Header=BB362_244 Depth=1
	s_or_b64 exec, exec, s[16:17]
	v_and_b32_e32 v30, 0xffff0000, v30
	v_lshlrev_b32_e32 v6, 16, v6
	v_mul_f32_e32 v6, v30, v6
	v_and_b32_e32 v16, 0x7f800000, v6
	v_cmp_ne_u32_e64 s[2:3], s30, v16
                                        ; implicit-def: $vgpr38
	s_and_saveexec_b64 s[16:17], s[2:3]
	s_xor_b64 s[2:3], exec, s[16:17]
; %bb.387:                              ;   in Loop: Header=BB362_244 Depth=1
	v_bfe_u32 v16, v6, 16, 1
	v_add3_u32 v38, v6, v16, s31
                                        ; implicit-def: $vgpr6
; %bb.388:                              ;   in Loop: Header=BB362_244 Depth=1
	s_andn2_saveexec_b64 s[16:17], s[2:3]
; %bb.389:                              ;   in Loop: Header=BB362_244 Depth=1
	v_or_b32_e32 v16, 0x10000, v6
	v_cmp_eq_u32_sdwa s[2:3], v6, v17 src0_sel:WORD_0 src1_sel:DWORD
	v_cndmask_b32_e64 v38, v16, v6, s[2:3]
; %bb.390:                              ;   in Loop: Header=BB362_244 Depth=1
	s_or_b64 exec, exec, s[16:17]
	global_load_dwordx2 v[4:5], v[4:5], off offset:512
	v_mov_b32_e32 v6, 0
	s_waitcnt vmcnt(0)
	v_cmp_ne_u16_sdwa s[2:3], v4, v17 src0_sel:BYTE_0 src1_sel:DWORD
	s_and_saveexec_b64 s[16:17], s[2:3]
	s_cbranch_execz .LBB362_396
; %bb.391:                              ;   in Loop: Header=BB362_244 Depth=1
	v_cmp_ne_u16_sdwa s[2:3], v4, s34 src0_sel:BYTE_0 src1_sel:DWORD
	v_bfrev_b32_e32 v6, 1
	s_and_saveexec_b64 s[18:19], s[2:3]
	s_cbranch_execz .LBB362_395
; %bb.392:                              ;   in Loop: Header=BB362_244 Depth=1
	v_and_b32_e32 v16, 0x7f, v4
	v_cmp_ne_u32_e64 s[2:3], s35, v16
	v_mov_b32_e32 v6, 0x7f800001
	s_and_saveexec_b64 s[20:21], s[2:3]
	s_cbranch_execz .LBB362_394
; %bb.393:                              ;   in Loop: Header=BB362_244 Depth=1
	v_and_b32_e32 v6, 7, v4
	v_ffbh_u32_e32 v6, v6
	v_min_u32_e32 v6, 32, v6
	v_subrev_u32_e32 v40, 28, v6
	v_cmp_gt_u32_e64 s[2:3], 8, v16
	v_lshrrev_b32_e32 v39, 3, v16
	v_cndmask_b32_e64 v16, 0, v40, s[2:3]
	v_sub_u32_e32 v6, 29, v6
	v_lshlrev_b64 v[40:41], v16, v[4:5]
	v_cndmask_b32_e64 v6, v39, v6, s[2:3]
	v_lshlrev_b32_e32 v16, 20, v40
	v_lshlrev_b32_e32 v39, 24, v4
	v_and_b32_e32 v16, 0x700000, v16
	v_and_b32_e32 v39, 0x80000000, v39
	v_lshl_add_u32 v6, v6, 23, v13
	v_or3_b32 v6, v39, v6, v16
.LBB362_394:                            ;   in Loop: Header=BB362_244 Depth=1
	s_or_b64 exec, exec, s[20:21]
.LBB362_395:                            ;   in Loop: Header=BB362_244 Depth=1
	s_or_b64 exec, exec, s[18:19]
.LBB362_396:                            ;   in Loop: Header=BB362_244 Depth=1
	s_or_b64 exec, exec, s[16:17]
	v_mul_f32_e32 v6, s28, v6
	v_and_b32_e32 v16, 0x7f800000, v6
	v_cmp_ne_u32_e64 s[2:3], s30, v16
                                        ; implicit-def: $vgpr39
	s_and_saveexec_b64 s[16:17], s[2:3]
	s_xor_b64 s[2:3], exec, s[16:17]
; %bb.397:                              ;   in Loop: Header=BB362_244 Depth=1
	v_bfe_u32 v16, v6, 16, 1
	v_add3_u32 v39, v6, v16, s31
                                        ; implicit-def: $vgpr6
; %bb.398:                              ;   in Loop: Header=BB362_244 Depth=1
	s_andn2_saveexec_b64 s[16:17], s[2:3]
; %bb.399:                              ;   in Loop: Header=BB362_244 Depth=1
	v_or_b32_e32 v16, 0x10000, v6
	v_cmp_eq_u32_sdwa s[2:3], v6, v17 src0_sel:WORD_0 src1_sel:DWORD
	v_cndmask_b32_e64 v39, v16, v6, s[2:3]
; %bb.400:                              ;   in Loop: Header=BB362_244 Depth=1
	s_or_b64 exec, exec, s[16:17]
	v_lshrrev_b16_e32 v6, 8, v4
	v_cmp_ne_u16_e64 s[2:3], 0, v6
	v_mov_b32_e32 v16, 0
	s_and_saveexec_b64 s[16:17], s[2:3]
	s_cbranch_execz .LBB362_406
; %bb.401:                              ;   in Loop: Header=BB362_244 Depth=1
	v_cmp_ne_u16_e64 s[2:3], s34, v6
	v_bfrev_b32_e32 v16, 1
	s_and_saveexec_b64 s[18:19], s[2:3]
	s_cbranch_execz .LBB362_405
; %bb.402:                              ;   in Loop: Header=BB362_244 Depth=1
	v_and_b32_e32 v40, 0x7f, v6
	v_cmp_ne_u32_e64 s[2:3], s35, v40
	v_mov_b32_e32 v16, 0x7f800001
	s_and_saveexec_b64 s[20:21], s[2:3]
	s_cbranch_execz .LBB362_404
; %bb.403:                              ;   in Loop: Header=BB362_244 Depth=1
	v_and_b32_e32 v16, 7, v6
	v_ffbh_u32_e32 v42, v16
	v_min_u32_e32 v44, 32, v42
	v_subrev_u32_e32 v42, 28, v44
	v_lshlrev_b64 v[42:43], v42, v[6:7]
	v_lshrrev_b32_e32 v41, 3, v40
	v_sub_u32_e32 v6, 29, v44
	v_and_b32_e32 v42, 7, v42
	v_cmp_gt_u32_e64 s[2:3], 8, v40
	v_cndmask_b32_e64 v6, v41, v6, s[2:3]
	v_cndmask_b32_e64 v16, v16, v42, s[2:3]
	v_lshlrev_b32_e32 v40, 16, v4
	v_lshlrev_b32_e32 v16, 20, v16
	v_and_b32_e32 v40, 0x80000000, v40
	v_lshl_add_u32 v6, v6, 23, v13
	v_or3_b32 v16, v40, v6, v16
.LBB362_404:                            ;   in Loop: Header=BB362_244 Depth=1
	s_or_b64 exec, exec, s[20:21]
.LBB362_405:                            ;   in Loop: Header=BB362_244 Depth=1
	s_or_b64 exec, exec, s[18:19]
.LBB362_406:                            ;   in Loop: Header=BB362_244 Depth=1
	s_or_b64 exec, exec, s[16:17]
	v_mul_f32_e32 v6, s28, v16
	v_and_b32_e32 v16, 0x7f800000, v6
	v_cmp_ne_u32_e64 s[2:3], s30, v16
                                        ; implicit-def: $vgpr40
	s_and_saveexec_b64 s[16:17], s[2:3]
	s_xor_b64 s[2:3], exec, s[16:17]
; %bb.407:                              ;   in Loop: Header=BB362_244 Depth=1
	v_bfe_u32 v16, v6, 16, 1
	v_add3_u32 v40, v6, v16, s31
                                        ; implicit-def: $vgpr6
; %bb.408:                              ;   in Loop: Header=BB362_244 Depth=1
	s_andn2_saveexec_b64 s[16:17], s[2:3]
; %bb.409:                              ;   in Loop: Header=BB362_244 Depth=1
	v_or_b32_e32 v16, 0x10000, v6
	v_cmp_eq_u32_sdwa s[2:3], v6, v17 src0_sel:WORD_0 src1_sel:DWORD
	v_cndmask_b32_e64 v40, v16, v6, s[2:3]
; %bb.410:                              ;   in Loop: Header=BB362_244 Depth=1
	s_or_b64 exec, exec, s[16:17]
	v_lshrrev_b32_e32 v6, 16, v4
	v_cmp_ne_u16_sdwa s[2:3], v6, v17 src0_sel:BYTE_0 src1_sel:DWORD
	v_mov_b32_e32 v16, 0
	s_and_saveexec_b64 s[16:17], s[2:3]
	s_cbranch_execz .LBB362_416
; %bb.411:                              ;   in Loop: Header=BB362_244 Depth=1
	v_cmp_ne_u16_sdwa s[2:3], v6, s34 src0_sel:BYTE_0 src1_sel:DWORD
	v_bfrev_b32_e32 v16, 1
	s_and_saveexec_b64 s[18:19], s[2:3]
	s_cbranch_execz .LBB362_415
; %bb.412:                              ;   in Loop: Header=BB362_244 Depth=1
	v_bfe_u32 v41, v4, 16, 7
	v_cmp_ne_u32_e64 s[2:3], s35, v41
	v_mov_b32_e32 v16, 0x7f800001
	s_and_saveexec_b64 s[20:21], s[2:3]
	s_cbranch_execz .LBB362_414
; %bb.413:                              ;   in Loop: Header=BB362_244 Depth=1
	v_and_b32_e32 v16, 7, v6
	v_ffbh_u32_e32 v42, v16
	v_min_u32_e32 v45, 32, v42
	v_subrev_u32_e32 v42, 28, v45
	v_lshlrev_b64 v[42:43], v42, v[6:7]
	v_lshrrev_b32_e32 v44, 3, v41
	v_sub_u32_e32 v43, 29, v45
	v_and_b32_e32 v42, 7, v42
	v_cmp_gt_u32_e64 s[2:3], 8, v41
	v_cndmask_b32_e64 v41, v44, v43, s[2:3]
	v_cndmask_b32_e64 v16, v16, v42, s[2:3]
	v_lshlrev_b32_e32 v6, 24, v6
	v_lshlrev_b32_e32 v16, 20, v16
	v_and_b32_e32 v6, 0x80000000, v6
	v_lshl_add_u32 v41, v41, 23, v13
	v_or3_b32 v16, v6, v41, v16
.LBB362_414:                            ;   in Loop: Header=BB362_244 Depth=1
	s_or_b64 exec, exec, s[20:21]
.LBB362_415:                            ;   in Loop: Header=BB362_244 Depth=1
	s_or_b64 exec, exec, s[18:19]
.LBB362_416:                            ;   in Loop: Header=BB362_244 Depth=1
	s_or_b64 exec, exec, s[16:17]
	v_mul_f32_e32 v6, s28, v16
	v_and_b32_e32 v16, 0x7f800000, v6
	v_cmp_ne_u32_e64 s[2:3], s30, v16
                                        ; implicit-def: $vgpr41
	s_and_saveexec_b64 s[16:17], s[2:3]
	s_xor_b64 s[2:3], exec, s[16:17]
; %bb.417:                              ;   in Loop: Header=BB362_244 Depth=1
	v_bfe_u32 v16, v6, 16, 1
	v_add3_u32 v41, v6, v16, s31
                                        ; implicit-def: $vgpr6
; %bb.418:                              ;   in Loop: Header=BB362_244 Depth=1
	s_andn2_saveexec_b64 s[16:17], s[2:3]
; %bb.419:                              ;   in Loop: Header=BB362_244 Depth=1
	v_or_b32_e32 v16, 0x10000, v6
	v_cmp_eq_u32_sdwa s[2:3], v6, v17 src0_sel:WORD_0 src1_sel:DWORD
	v_cndmask_b32_e64 v41, v16, v6, s[2:3]
; %bb.420:                              ;   in Loop: Header=BB362_244 Depth=1
	s_or_b64 exec, exec, s[16:17]
	v_cmp_lt_u32_e64 s[2:3], s13, v4
	v_mov_b32_e32 v16, 0
	s_and_saveexec_b64 s[16:17], s[2:3]
	s_cbranch_execz .LBB362_426
; %bb.421:                              ;   in Loop: Header=BB362_244 Depth=1
	v_lshrrev_b32_e32 v6, 24, v4
	v_cmp_ne_u32_e64 s[2:3], s34, v6
	v_bfrev_b32_e32 v16, 1
	s_and_saveexec_b64 s[18:19], s[2:3]
	s_cbranch_execz .LBB362_425
; %bb.422:                              ;   in Loop: Header=BB362_244 Depth=1
	v_bfe_u32 v42, v4, 24, 7
	v_cmp_ne_u32_e64 s[2:3], s35, v42
	v_mov_b32_e32 v16, 0x7f800001
	s_and_saveexec_b64 s[20:21], s[2:3]
	s_cbranch_execz .LBB362_424
; %bb.423:                              ;   in Loop: Header=BB362_244 Depth=1
	v_and_b32_e32 v16, 7, v6
	v_ffbh_u32_e32 v44, v16
	v_min_u32_e32 v46, 32, v44
	v_subrev_u32_e32 v44, 28, v46
	v_lshlrev_b64 v[44:45], v44, v[6:7]
	v_lshrrev_b32_e32 v43, 3, v42
	v_sub_u32_e32 v45, 29, v46
	v_and_b32_e32 v44, 7, v44
	v_cmp_gt_u32_e64 s[2:3], 8, v42
	v_cndmask_b32_e64 v42, v43, v45, s[2:3]
	v_cndmask_b32_e64 v16, v16, v44, s[2:3]
	v_lshlrev_b32_e32 v6, 24, v6
	v_lshlrev_b32_e32 v16, 20, v16
	v_and_b32_e32 v6, 0x80000000, v6
	v_lshl_add_u32 v42, v42, 23, v13
	v_or3_b32 v16, v6, v42, v16
.LBB362_424:                            ;   in Loop: Header=BB362_244 Depth=1
	s_or_b64 exec, exec, s[20:21]
.LBB362_425:                            ;   in Loop: Header=BB362_244 Depth=1
	s_or_b64 exec, exec, s[18:19]
.LBB362_426:                            ;   in Loop: Header=BB362_244 Depth=1
	s_or_b64 exec, exec, s[16:17]
	v_mul_f32_e32 v6, s28, v16
	v_and_b32_e32 v16, 0x7f800000, v6
	v_cmp_ne_u32_e64 s[2:3], s30, v16
                                        ; implicit-def: $vgpr42
	s_and_saveexec_b64 s[16:17], s[2:3]
	s_xor_b64 s[2:3], exec, s[16:17]
; %bb.427:                              ;   in Loop: Header=BB362_244 Depth=1
	v_bfe_u32 v16, v6, 16, 1
	v_add3_u32 v42, v6, v16, s31
                                        ; implicit-def: $vgpr6
; %bb.428:                              ;   in Loop: Header=BB362_244 Depth=1
	s_andn2_saveexec_b64 s[16:17], s[2:3]
; %bb.429:                              ;   in Loop: Header=BB362_244 Depth=1
	v_or_b32_e32 v16, 0x10000, v6
	v_cmp_eq_u32_sdwa s[2:3], v6, v17 src0_sel:WORD_0 src1_sel:DWORD
	v_cndmask_b32_e64 v42, v16, v6, s[2:3]
; %bb.430:                              ;   in Loop: Header=BB362_244 Depth=1
	s_or_b64 exec, exec, s[16:17]
	v_mov_b32_e32 v16, v5
	v_cmp_ne_u16_sdwa s[2:3], v5, v17 src0_sel:BYTE_0 src1_sel:DWORD
	v_mov_b32_e32 v6, 0
	s_and_saveexec_b64 s[16:17], s[2:3]
	s_cbranch_execz .LBB362_436
; %bb.431:                              ;   in Loop: Header=BB362_244 Depth=1
	v_cmp_ne_u16_sdwa s[2:3], v5, s34 src0_sel:BYTE_0 src1_sel:DWORD
	v_bfrev_b32_e32 v6, 1
	s_and_saveexec_b64 s[18:19], s[2:3]
	s_cbranch_execz .LBB362_435
; %bb.432:                              ;   in Loop: Header=BB362_244 Depth=1
	v_and_b32_e32 v43, 0x7f, v5
	v_cmp_ne_u32_e64 s[2:3], s35, v43
	v_mov_b32_e32 v6, 0x7f800001
	s_and_saveexec_b64 s[20:21], s[2:3]
	s_cbranch_execz .LBB362_434
; %bb.433:                              ;   in Loop: Header=BB362_244 Depth=1
	v_and_b32_e32 v6, 7, v5
	v_ffbh_u32_e32 v6, v6
	v_min_u32_e32 v6, 32, v6
	v_subrev_u32_e32 v45, 28, v6
	v_cmp_gt_u32_e64 s[2:3], 8, v43
	v_lshrrev_b32_e32 v44, 3, v43
	v_sub_u32_e32 v6, 29, v6
	v_cndmask_b32_e64 v43, 0, v45, s[2:3]
	v_cndmask_b32_e64 v6, v44, v6, s[2:3]
	v_lshlrev_b64 v[44:45], v43, v[16:17]
	v_lshlrev_b32_e32 v43, 20, v44
	v_lshlrev_b32_e32 v44, 24, v16
	v_and_b32_e32 v43, 0x700000, v43
	v_and_b32_e32 v44, 0x80000000, v44
	v_lshl_add_u32 v6, v6, 23, v13
	v_or3_b32 v6, v44, v6, v43
.LBB362_434:                            ;   in Loop: Header=BB362_244 Depth=1
	s_or_b64 exec, exec, s[20:21]
.LBB362_435:                            ;   in Loop: Header=BB362_244 Depth=1
	s_or_b64 exec, exec, s[18:19]
.LBB362_436:                            ;   in Loop: Header=BB362_244 Depth=1
	s_or_b64 exec, exec, s[16:17]
	v_mul_f32_e32 v6, s28, v6
	v_and_b32_e32 v43, 0x7f800000, v6
	v_cmp_ne_u32_e64 s[2:3], s30, v43
                                        ; implicit-def: $vgpr43
	s_and_saveexec_b64 s[16:17], s[2:3]
	s_xor_b64 s[2:3], exec, s[16:17]
; %bb.437:                              ;   in Loop: Header=BB362_244 Depth=1
	v_bfe_u32 v43, v6, 16, 1
	v_add3_u32 v43, v6, v43, s31
                                        ; implicit-def: $vgpr6
; %bb.438:                              ;   in Loop: Header=BB362_244 Depth=1
	s_andn2_saveexec_b64 s[16:17], s[2:3]
; %bb.439:                              ;   in Loop: Header=BB362_244 Depth=1
	v_or_b32_e32 v43, 0x10000, v6
	v_cmp_eq_u32_sdwa s[2:3], v6, v17 src0_sel:WORD_0 src1_sel:DWORD
	v_cndmask_b32_e64 v43, v43, v6, s[2:3]
; %bb.440:                              ;   in Loop: Header=BB362_244 Depth=1
	s_or_b64 exec, exec, s[16:17]
	v_lshrrev_b16_e32 v6, 8, v16
	v_cmp_ne_u16_e64 s[2:3], 0, v6
	v_mov_b32_e32 v44, 0
	s_and_saveexec_b64 s[16:17], s[2:3]
	s_cbranch_execz .LBB362_446
; %bb.441:                              ;   in Loop: Header=BB362_244 Depth=1
	v_cmp_ne_u16_e64 s[2:3], s34, v6
	v_bfrev_b32_e32 v44, 1
	s_and_saveexec_b64 s[18:19], s[2:3]
	s_cbranch_execz .LBB362_445
; %bb.442:                              ;   in Loop: Header=BB362_244 Depth=1
	v_and_b32_e32 v45, 0x7f, v6
	v_cmp_ne_u32_e64 s[2:3], s35, v45
	v_mov_b32_e32 v44, 0x7f800001
	s_and_saveexec_b64 s[20:21], s[2:3]
	s_cbranch_execz .LBB362_444
; %bb.443:                              ;   in Loop: Header=BB362_244 Depth=1
	v_and_b32_e32 v44, 7, v6
	v_ffbh_u32_e32 v46, v44
	v_min_u32_e32 v49, 32, v46
	v_subrev_u32_e32 v46, 28, v49
	v_lshlrev_b64 v[46:47], v46, v[6:7]
	v_lshrrev_b32_e32 v48, 3, v45
	v_sub_u32_e32 v6, 29, v49
	v_and_b32_e32 v46, 7, v46
	v_cmp_gt_u32_e64 s[2:3], 8, v45
	v_cndmask_b32_e64 v6, v48, v6, s[2:3]
	v_cndmask_b32_e64 v44, v44, v46, s[2:3]
	v_lshlrev_b32_e32 v16, 16, v16
	v_lshlrev_b32_e32 v44, 20, v44
	v_and_b32_e32 v16, 0x80000000, v16
	v_lshl_add_u32 v6, v6, 23, v13
	v_or3_b32 v44, v16, v6, v44
.LBB362_444:                            ;   in Loop: Header=BB362_244 Depth=1
	s_or_b64 exec, exec, s[20:21]
.LBB362_445:                            ;   in Loop: Header=BB362_244 Depth=1
	s_or_b64 exec, exec, s[18:19]
.LBB362_446:                            ;   in Loop: Header=BB362_244 Depth=1
	s_or_b64 exec, exec, s[16:17]
	v_mul_f32_e32 v6, s28, v44
	v_and_b32_e32 v16, 0x7f800000, v6
	v_cmp_ne_u32_e64 s[2:3], s30, v16
                                        ; implicit-def: $vgpr16
	s_and_saveexec_b64 s[16:17], s[2:3]
	s_xor_b64 s[2:3], exec, s[16:17]
; %bb.447:                              ;   in Loop: Header=BB362_244 Depth=1
	v_bfe_u32 v16, v6, 16, 1
	v_add3_u32 v16, v6, v16, s31
                                        ; implicit-def: $vgpr6
; %bb.448:                              ;   in Loop: Header=BB362_244 Depth=1
	s_andn2_saveexec_b64 s[16:17], s[2:3]
; %bb.449:                              ;   in Loop: Header=BB362_244 Depth=1
	v_or_b32_e32 v16, 0x10000, v6
	v_cmp_eq_u32_sdwa s[2:3], v6, v17 src0_sel:WORD_0 src1_sel:DWORD
	v_cndmask_b32_e64 v16, v16, v6, s[2:3]
; %bb.450:                              ;   in Loop: Header=BB362_244 Depth=1
	s_or_b64 exec, exec, s[16:17]
	v_lshrrev_b32_e32 v6, 16, v5
	v_cmp_ne_u16_sdwa s[2:3], v6, v17 src0_sel:BYTE_0 src1_sel:DWORD
	v_mov_b32_e32 v44, 0
	s_and_saveexec_b64 s[16:17], s[2:3]
	s_cbranch_execz .LBB362_456
; %bb.451:                              ;   in Loop: Header=BB362_244 Depth=1
	v_cmp_ne_u16_sdwa s[2:3], v6, s34 src0_sel:BYTE_0 src1_sel:DWORD
	v_bfrev_b32_e32 v44, 1
	s_and_saveexec_b64 s[18:19], s[2:3]
	s_cbranch_execz .LBB362_455
; %bb.452:                              ;   in Loop: Header=BB362_244 Depth=1
	v_bfe_u32 v45, v5, 16, 7
	v_cmp_ne_u32_e64 s[2:3], s35, v45
	v_mov_b32_e32 v44, 0x7f800001
	s_and_saveexec_b64 s[20:21], s[2:3]
	s_cbranch_execz .LBB362_454
; %bb.453:                              ;   in Loop: Header=BB362_244 Depth=1
	v_and_b32_e32 v44, 7, v6
	v_ffbh_u32_e32 v46, v44
	v_min_u32_e32 v49, 32, v46
	v_subrev_u32_e32 v46, 28, v49
	v_lshlrev_b64 v[46:47], v46, v[6:7]
	v_lshrrev_b32_e32 v48, 3, v45
	v_sub_u32_e32 v47, 29, v49
	v_and_b32_e32 v46, 7, v46
	v_cmp_gt_u32_e64 s[2:3], 8, v45
	v_cndmask_b32_e64 v45, v48, v47, s[2:3]
	v_cndmask_b32_e64 v44, v44, v46, s[2:3]
	v_lshlrev_b32_e32 v6, 24, v6
	v_lshlrev_b32_e32 v44, 20, v44
	v_and_b32_e32 v6, 0x80000000, v6
	v_lshl_add_u32 v45, v45, 23, v13
	v_or3_b32 v44, v6, v45, v44
.LBB362_454:                            ;   in Loop: Header=BB362_244 Depth=1
	s_or_b64 exec, exec, s[20:21]
.LBB362_455:                            ;   in Loop: Header=BB362_244 Depth=1
	s_or_b64 exec, exec, s[18:19]
.LBB362_456:                            ;   in Loop: Header=BB362_244 Depth=1
	s_or_b64 exec, exec, s[16:17]
	v_mul_f32_e32 v44, s28, v44
	v_and_b32_e32 v6, 0x7f800000, v44
	v_cmp_ne_u32_e64 s[2:3], s30, v6
                                        ; implicit-def: $vgpr6
	s_and_saveexec_b64 s[16:17], s[2:3]
	s_xor_b64 s[2:3], exec, s[16:17]
; %bb.457:                              ;   in Loop: Header=BB362_244 Depth=1
	v_bfe_u32 v6, v44, 16, 1
	v_add3_u32 v6, v44, v6, s31
                                        ; implicit-def: $vgpr44
; %bb.458:                              ;   in Loop: Header=BB362_244 Depth=1
	s_andn2_saveexec_b64 s[16:17], s[2:3]
; %bb.459:                              ;   in Loop: Header=BB362_244 Depth=1
	v_or_b32_e32 v6, 0x10000, v44
	v_cmp_eq_u32_sdwa s[2:3], v44, v17 src0_sel:WORD_0 src1_sel:DWORD
	v_cndmask_b32_e64 v6, v6, v44, s[2:3]
; %bb.460:                              ;   in Loop: Header=BB362_244 Depth=1
	s_or_b64 exec, exec, s[16:17]
	v_cmp_lt_u64_e64 s[2:3], s[12:13], v[4:5]
	v_mov_b32_e32 v44, 0
	s_and_saveexec_b64 s[16:17], s[2:3]
	s_cbranch_execz .LBB362_466
; %bb.461:                              ;   in Loop: Header=BB362_244 Depth=1
	v_lshrrev_b32_e32 v4, 24, v5
	v_cmp_ne_u32_e64 s[2:3], s34, v4
	v_bfrev_b32_e32 v44, 1
	s_and_saveexec_b64 s[18:19], s[2:3]
	s_cbranch_execz .LBB362_465
; %bb.462:                              ;   in Loop: Header=BB362_244 Depth=1
	v_bfe_u32 v5, v5, 24, 7
	v_cmp_ne_u32_e64 s[2:3], s35, v5
	v_mov_b32_e32 v44, 0x7f800001
	s_and_saveexec_b64 s[20:21], s[2:3]
	s_cbranch_execz .LBB362_464
; %bb.463:                              ;   in Loop: Header=BB362_244 Depth=1
	v_and_b32_e32 v46, 7, v4
	v_ffbh_u32_e32 v44, v46
	v_min_u32_e32 v48, 32, v44
	v_subrev_u32_e32 v44, 28, v48
	v_lshlrev_b64 v[44:45], v44, v[4:5]
	v_lshrrev_b32_e32 v47, 3, v5
	v_sub_u32_e32 v45, 29, v48
	v_and_b32_e32 v44, 7, v44
	v_cmp_gt_u32_e64 s[2:3], 8, v5
	v_cndmask_b32_e64 v5, v47, v45, s[2:3]
	v_cndmask_b32_e64 v44, v46, v44, s[2:3]
	v_lshlrev_b32_e32 v4, 24, v4
	v_lshlrev_b32_e32 v44, 20, v44
	v_and_b32_e32 v4, 0x80000000, v4
	v_lshl_add_u32 v5, v5, 23, v13
	v_or3_b32 v44, v4, v5, v44
.LBB362_464:                            ;   in Loop: Header=BB362_244 Depth=1
	s_or_b64 exec, exec, s[20:21]
.LBB362_465:                            ;   in Loop: Header=BB362_244 Depth=1
	s_or_b64 exec, exec, s[18:19]
.LBB362_466:                            ;   in Loop: Header=BB362_244 Depth=1
	s_or_b64 exec, exec, s[16:17]
	v_mul_f32_e32 v5, s28, v44
	v_and_b32_e32 v4, 0x7f800000, v5
	v_cmp_ne_u32_e64 s[2:3], s30, v4
                                        ; implicit-def: $vgpr4
	s_and_saveexec_b64 s[16:17], s[2:3]
	s_xor_b64 s[2:3], exec, s[16:17]
; %bb.467:                              ;   in Loop: Header=BB362_244 Depth=1
	v_bfe_u32 v4, v5, 16, 1
	v_add3_u32 v4, v5, v4, s31
                                        ; implicit-def: $vgpr5
; %bb.468:                              ;   in Loop: Header=BB362_244 Depth=1
	s_andn2_saveexec_b64 s[16:17], s[2:3]
; %bb.469:                              ;   in Loop: Header=BB362_244 Depth=1
	v_or_b32_e32 v4, 0x10000, v5
	v_cmp_eq_u32_sdwa s[2:3], v5, v17 src0_sel:WORD_0 src1_sel:DWORD
	v_cndmask_b32_e64 v4, v4, v5, s[2:3]
; %bb.470:                              ;   in Loop: Header=BB362_244 Depth=1
	s_or_b64 exec, exec, s[16:17]
	v_lshrrev_b32_e32 v44, 16, v16
	v_lshrrev_b32_e32 v43, 16, v43
	;; [unrolled: 1-line block ×8, first 2 shown]
	s_and_saveexec_b64 s[16:17], s[0:1]
	s_cbranch_execz .LBB362_472
; %bb.471:                              ;   in Loop: Header=BB362_244 Depth=1
	v_cmp_gt_i32_e64 s[2:3], s29, v7
	v_add_u32_e32 v39, -6, v19
	v_cndmask_b32_e64 v5, 0, v5, s[2:3]
	v_cmp_gt_i32_e64 s[2:3], s29, v39
	v_add_u32_e32 v39, -5, v19
	v_cndmask_b32_e64 v16, 0, v16, s[2:3]
	;; [unrolled: 3-line block ×6, first 2 shown]
	v_cmp_gt_i32_e64 s[2:3], s29, v39
	v_cndmask_b32_e64 v6, 0, v6, s[2:3]
	v_cmp_gt_i32_e64 s[2:3], s29, v19
	v_cndmask_b32_e64 v4, 0, v4, s[2:3]
.LBB362_472:                            ;   in Loop: Header=BB362_244 Depth=1
	s_or_b64 exec, exec, s[16:17]
	v_lshlrev_b32_e32 v5, 16, v5
	v_mul_f32_e32 v39, v8, v5
	v_and_b32_e32 v5, 0x7f800000, v39
	v_cmp_ne_u32_e64 s[2:3], s30, v5
                                        ; implicit-def: $vgpr5
	s_and_saveexec_b64 s[16:17], s[2:3]
	s_xor_b64 s[2:3], exec, s[16:17]
; %bb.473:                              ;   in Loop: Header=BB362_244 Depth=1
	v_bfe_u32 v5, v39, 16, 1
	v_add3_u32 v5, v39, v5, s31
                                        ; implicit-def: $vgpr39
; %bb.474:                              ;   in Loop: Header=BB362_244 Depth=1
	s_andn2_saveexec_b64 s[16:17], s[2:3]
; %bb.475:                              ;   in Loop: Header=BB362_244 Depth=1
	v_or_b32_e32 v5, 0x10000, v39
	v_cmp_eq_u32_sdwa s[2:3], v39, v17 src0_sel:WORD_0 src1_sel:DWORD
	v_cndmask_b32_e64 v5, v5, v39, s[2:3]
; %bb.476:                              ;   in Loop: Header=BB362_244 Depth=1
	s_or_b64 exec, exec, s[16:17]
	v_lshlrev_b32_e32 v16, 16, v16
	v_mul_f32_e32 v39, v9, v16
	v_and_b32_e32 v16, 0x7f800000, v39
	v_cmp_ne_u32_e64 s[2:3], s30, v16
                                        ; implicit-def: $vgpr16
	s_and_saveexec_b64 s[16:17], s[2:3]
	s_xor_b64 s[2:3], exec, s[16:17]
; %bb.477:                              ;   in Loop: Header=BB362_244 Depth=1
	v_bfe_u32 v16, v39, 16, 1
	v_add3_u32 v16, v39, v16, s31
                                        ; implicit-def: $vgpr39
; %bb.478:                              ;   in Loop: Header=BB362_244 Depth=1
	s_andn2_saveexec_b64 s[16:17], s[2:3]
; %bb.479:                              ;   in Loop: Header=BB362_244 Depth=1
	v_or_b32_e32 v16, 0x10000, v39
	v_cmp_eq_u32_sdwa s[2:3], v39, v17 src0_sel:WORD_0 src1_sel:DWORD
	v_cndmask_b32_e64 v16, v16, v39, s[2:3]
; %bb.480:                              ;   in Loop: Header=BB362_244 Depth=1
	s_or_b64 exec, exec, s[16:17]
	v_lshlrev_b32_e32 v39, 16, v41
	v_mul_f32_e32 v40, v25, v39
	v_and_b32_e32 v39, 0x7f800000, v40
	v_cmp_ne_u32_e64 s[2:3], s30, v39
                                        ; implicit-def: $vgpr39
	s_and_saveexec_b64 s[16:17], s[2:3]
	s_xor_b64 s[2:3], exec, s[16:17]
; %bb.481:                              ;   in Loop: Header=BB362_244 Depth=1
	v_bfe_u32 v39, v40, 16, 1
	v_add3_u32 v39, v40, v39, s31
                                        ; implicit-def: $vgpr40
; %bb.482:                              ;   in Loop: Header=BB362_244 Depth=1
	s_andn2_saveexec_b64 s[16:17], s[2:3]
; %bb.483:                              ;   in Loop: Header=BB362_244 Depth=1
	v_or_b32_e32 v39, 0x10000, v40
	v_cmp_eq_u32_sdwa s[2:3], v40, v17 src0_sel:WORD_0 src1_sel:DWORD
	v_cndmask_b32_e64 v39, v39, v40, s[2:3]
; %bb.484:                              ;   in Loop: Header=BB362_244 Depth=1
	s_or_b64 exec, exec, s[16:17]
	v_lshlrev_b32_e32 v40, 16, v42
	v_mul_f32_e32 v41, v26, v40
	v_and_b32_e32 v40, 0x7f800000, v41
	v_cmp_ne_u32_e64 s[2:3], s30, v40
                                        ; implicit-def: $vgpr40
	s_and_saveexec_b64 s[16:17], s[2:3]
	s_xor_b64 s[2:3], exec, s[16:17]
; %bb.485:                              ;   in Loop: Header=BB362_244 Depth=1
	v_bfe_u32 v40, v41, 16, 1
	v_add3_u32 v40, v41, v40, s31
                                        ; implicit-def: $vgpr41
; %bb.486:                              ;   in Loop: Header=BB362_244 Depth=1
	s_andn2_saveexec_b64 s[16:17], s[2:3]
; %bb.487:                              ;   in Loop: Header=BB362_244 Depth=1
	v_or_b32_e32 v40, 0x10000, v41
	v_cmp_eq_u32_sdwa s[2:3], v41, v17 src0_sel:WORD_0 src1_sel:DWORD
	v_cndmask_b32_e64 v40, v40, v41, s[2:3]
; %bb.488:                              ;   in Loop: Header=BB362_244 Depth=1
	s_or_b64 exec, exec, s[16:17]
	v_lshlrev_b32_e32 v41, 16, v43
	v_mul_f32_e32 v42, v27, v41
	v_and_b32_e32 v41, 0x7f800000, v42
	v_cmp_ne_u32_e64 s[2:3], s30, v41
                                        ; implicit-def: $vgpr41
	s_and_saveexec_b64 s[16:17], s[2:3]
	s_xor_b64 s[2:3], exec, s[16:17]
; %bb.489:                              ;   in Loop: Header=BB362_244 Depth=1
	v_bfe_u32 v41, v42, 16, 1
	v_add3_u32 v41, v42, v41, s31
                                        ; implicit-def: $vgpr42
; %bb.490:                              ;   in Loop: Header=BB362_244 Depth=1
	s_andn2_saveexec_b64 s[16:17], s[2:3]
; %bb.491:                              ;   in Loop: Header=BB362_244 Depth=1
	v_or_b32_e32 v41, 0x10000, v42
	v_cmp_eq_u32_sdwa s[2:3], v42, v17 src0_sel:WORD_0 src1_sel:DWORD
	v_cndmask_b32_e64 v41, v41, v42, s[2:3]
; %bb.492:                              ;   in Loop: Header=BB362_244 Depth=1
	s_or_b64 exec, exec, s[16:17]
	v_lshlrev_b32_e32 v42, 16, v44
	v_mul_f32_e32 v43, v28, v42
	v_and_b32_e32 v42, 0x7f800000, v43
	v_cmp_ne_u32_e64 s[2:3], s30, v42
                                        ; implicit-def: $vgpr42
	s_and_saveexec_b64 s[16:17], s[2:3]
	s_xor_b64 s[2:3], exec, s[16:17]
; %bb.493:                              ;   in Loop: Header=BB362_244 Depth=1
	v_bfe_u32 v42, v43, 16, 1
	v_add3_u32 v42, v43, v42, s31
                                        ; implicit-def: $vgpr43
; %bb.494:                              ;   in Loop: Header=BB362_244 Depth=1
	s_andn2_saveexec_b64 s[16:17], s[2:3]
; %bb.495:                              ;   in Loop: Header=BB362_244 Depth=1
	v_or_b32_e32 v42, 0x10000, v43
	v_cmp_eq_u32_sdwa s[2:3], v43, v17 src0_sel:WORD_0 src1_sel:DWORD
	v_cndmask_b32_e64 v42, v42, v43, s[2:3]
; %bb.496:                              ;   in Loop: Header=BB362_244 Depth=1
	s_or_b64 exec, exec, s[16:17]
	v_lshlrev_b32_e32 v6, 16, v6
	v_mul_f32_e32 v43, v29, v6
	v_and_b32_e32 v6, 0x7f800000, v43
	v_cmp_ne_u32_e64 s[2:3], s30, v6
                                        ; implicit-def: $vgpr6
	s_and_saveexec_b64 s[16:17], s[2:3]
	s_xor_b64 s[2:3], exec, s[16:17]
; %bb.497:                              ;   in Loop: Header=BB362_244 Depth=1
	v_bfe_u32 v6, v43, 16, 1
	v_add3_u32 v6, v43, v6, s31
                                        ; implicit-def: $vgpr43
; %bb.498:                              ;   in Loop: Header=BB362_244 Depth=1
	s_andn2_saveexec_b64 s[16:17], s[2:3]
; %bb.499:                              ;   in Loop: Header=BB362_244 Depth=1
	v_or_b32_e32 v6, 0x10000, v43
	v_cmp_eq_u32_sdwa s[2:3], v43, v17 src0_sel:WORD_0 src1_sel:DWORD
	v_cndmask_b32_e64 v6, v6, v43, s[2:3]
; %bb.500:                              ;   in Loop: Header=BB362_244 Depth=1
	s_or_b64 exec, exec, s[16:17]
	v_lshlrev_b32_e32 v4, 16, v4
	v_mul_f32_e32 v43, v30, v4
	v_and_b32_e32 v4, 0x7f800000, v43
	v_cmp_ne_u32_e64 s[2:3], s30, v4
                                        ; implicit-def: $vgpr4
	s_and_saveexec_b64 s[16:17], s[2:3]
	s_xor_b64 s[2:3], exec, s[16:17]
; %bb.501:                              ;   in Loop: Header=BB362_244 Depth=1
	v_bfe_u32 v4, v43, 16, 1
	v_add3_u32 v4, v43, v4, s31
                                        ; implicit-def: $vgpr43
; %bb.502:                              ;   in Loop: Header=BB362_244 Depth=1
	s_andn2_saveexec_b64 s[16:17], s[2:3]
; %bb.503:                              ;   in Loop: Header=BB362_244 Depth=1
	v_or_b32_e32 v4, 0x10000, v43
	v_cmp_eq_u32_sdwa s[2:3], v43, v17 src0_sel:WORD_0 src1_sel:DWORD
	v_cndmask_b32_e64 v4, v4, v43, s[2:3]
; %bb.504:                              ;   in Loop: Header=BB362_244 Depth=1
	s_or_b64 exec, exec, s[16:17]
	v_and_b32_e32 v44, 0xffff0000, v36
	v_and_b32_e32 v36, 0xffff0000, v35
	;; [unrolled: 1-line block ×8, first 2 shown]
	v_pk_add_f32 v[32:33], v[32:33], v[34:35]
	v_pk_add_f32 v[34:35], v[36:37], v[44:45]
	v_add_f32_e32 v31, v32, v33
	v_add_f32_e32 v31, v31, v34
	v_and_b32_e32 v37, 0xffff0000, v40
	v_and_b32_e32 v36, 0xffff0000, v16
	v_and_b32_e32 v39, 0xffff0000, v39
	v_and_b32_e32 v38, 0xffff0000, v5
	v_add_f32_e32 v31, v31, v35
	v_and_b32_e32 v33, 0xffff0000, v4
	v_and_b32_e32 v32, 0xffff0000, v42
	;; [unrolled: 1-line block ×4, first 2 shown]
	v_pk_add_f32 v[4:5], v[38:39], v[36:37]
	v_pk_add_f32 v[32:33], v[34:35], v[32:33]
	v_add_f32_e32 v4, v4, v5
	v_add_f32_e32 v4, v4, v32
	;; [unrolled: 1-line block ×5, first 2 shown]
	s_and_saveexec_b64 s[16:17], vcc
	s_cbranch_execz .LBB362_243
; %bb.505:                              ;   in Loop: Header=BB362_244 Depth=1
	v_add_co_u32_e64 v2, s[2:3], v2, v18
	v_addc_co_u32_e64 v3, s[2:3], 0, v3, s[2:3]
	global_load_dwordx2 v[2:3], v[2:3], off
	v_mov_b32_e32 v4, 0
	s_waitcnt vmcnt(0)
	v_cmp_ne_u16_sdwa s[2:3], v2, v17 src0_sel:BYTE_0 src1_sel:DWORD
	s_and_saveexec_b64 s[18:19], s[2:3]
	s_cbranch_execz .LBB362_511
; %bb.506:                              ;   in Loop: Header=BB362_244 Depth=1
	v_cmp_ne_u16_sdwa s[2:3], v2, s34 src0_sel:BYTE_0 src1_sel:DWORD
	v_bfrev_b32_e32 v4, 1
	s_and_saveexec_b64 s[20:21], s[2:3]
	s_cbranch_execz .LBB362_510
; %bb.507:                              ;   in Loop: Header=BB362_244 Depth=1
	v_and_b32_e32 v5, 0x7f, v2
	v_cmp_ne_u32_e64 s[2:3], s35, v5
	v_mov_b32_e32 v4, 0x7f800001
	s_and_saveexec_b64 s[22:23], s[2:3]
	s_cbranch_execz .LBB362_509
; %bb.508:                              ;   in Loop: Header=BB362_244 Depth=1
	v_and_b32_e32 v4, 7, v2
	v_ffbh_u32_e32 v4, v4
	v_min_u32_e32 v4, 32, v4
	v_lshrrev_b32_e32 v6, 3, v5
	v_subrev_u32_e32 v16, 28, v4
	v_sub_u32_e32 v4, 29, v4
	v_cmp_gt_u32_e64 s[2:3], 8, v5
	v_cndmask_b32_e64 v6, v6, v4, s[2:3]
	v_cndmask_b32_e64 v4, 0, v16, s[2:3]
	v_lshlrev_b64 v[4:5], v4, v[2:3]
	v_lshlrev_b32_e32 v4, 20, v4
	v_lshlrev_b32_e32 v5, 24, v2
	v_and_b32_e32 v4, 0x700000, v4
	v_and_b32_e32 v5, 0x80000000, v5
	v_lshl_add_u32 v6, v6, 23, v13
	v_or3_b32 v4, v5, v6, v4
.LBB362_509:                            ;   in Loop: Header=BB362_244 Depth=1
	s_or_b64 exec, exec, s[22:23]
.LBB362_510:                            ;   in Loop: Header=BB362_244 Depth=1
	s_or_b64 exec, exec, s[20:21]
.LBB362_511:                            ;   in Loop: Header=BB362_244 Depth=1
	s_or_b64 exec, exec, s[18:19]
	v_mul_f32_e32 v4, s28, v4
	v_and_b32_e32 v5, 0x7f800000, v4
	v_cmp_ne_u32_e64 s[2:3], s30, v5
                                        ; implicit-def: $vgpr5
	s_and_saveexec_b64 s[18:19], s[2:3]
	s_xor_b64 s[2:3], exec, s[18:19]
; %bb.512:                              ;   in Loop: Header=BB362_244 Depth=1
	v_bfe_u32 v5, v4, 16, 1
	v_add3_u32 v5, v4, v5, s31
                                        ; implicit-def: $vgpr4
; %bb.513:                              ;   in Loop: Header=BB362_244 Depth=1
	s_andn2_saveexec_b64 s[18:19], s[2:3]
; %bb.514:                              ;   in Loop: Header=BB362_244 Depth=1
	v_or_b32_e32 v5, 0x10000, v4
	v_cmp_eq_u32_sdwa s[2:3], v4, v17 src0_sel:WORD_0 src1_sel:DWORD
	v_cndmask_b32_e64 v5, v5, v4, s[2:3]
; %bb.515:                              ;   in Loop: Header=BB362_244 Depth=1
	s_or_b64 exec, exec, s[18:19]
	v_lshrrev_b16_e32 v4, 8, v2
	v_cmp_ne_u16_e64 s[2:3], 0, v4
	v_mov_b32_e32 v6, 0
	s_and_saveexec_b64 s[18:19], s[2:3]
	s_cbranch_execz .LBB362_521
; %bb.516:                              ;   in Loop: Header=BB362_244 Depth=1
	v_cmp_ne_u16_e64 s[2:3], s34, v4
	v_bfrev_b32_e32 v6, 1
	s_and_saveexec_b64 s[20:21], s[2:3]
	s_cbranch_execz .LBB362_520
; %bb.517:                              ;   in Loop: Header=BB362_244 Depth=1
	v_and_b32_e32 v16, 0x7f, v4
	v_cmp_ne_u32_e64 s[2:3], s35, v16
	v_mov_b32_e32 v6, 0x7f800001
	s_and_saveexec_b64 s[22:23], s[2:3]
	s_cbranch_execz .LBB362_519
; %bb.518:                              ;   in Loop: Header=BB362_244 Depth=1
	v_and_b32_e32 v6, 7, v4
	v_ffbh_u32_e32 v32, v6
	v_min_u32_e32 v34, 32, v32
	v_subrev_u32_e32 v32, 28, v34
	v_lshlrev_b64 v[32:33], v32, v[4:5]
	v_lshrrev_b32_e32 v31, 3, v16
	v_sub_u32_e32 v4, 29, v34
	v_and_b32_e32 v32, 7, v32
	v_cmp_gt_u32_e64 s[2:3], 8, v16
	v_cndmask_b32_e64 v4, v31, v4, s[2:3]
	v_cndmask_b32_e64 v6, v6, v32, s[2:3]
	v_lshlrev_b32_e32 v16, 16, v2
	v_lshlrev_b32_e32 v6, 20, v6
	v_and_b32_e32 v16, 0x80000000, v16
	v_lshl_add_u32 v4, v4, 23, v13
	v_or3_b32 v6, v16, v4, v6
.LBB362_519:                            ;   in Loop: Header=BB362_244 Depth=1
	s_or_b64 exec, exec, s[22:23]
.LBB362_520:                            ;   in Loop: Header=BB362_244 Depth=1
	s_or_b64 exec, exec, s[20:21]
.LBB362_521:                            ;   in Loop: Header=BB362_244 Depth=1
	s_or_b64 exec, exec, s[18:19]
	v_mul_f32_e32 v4, s28, v6
	v_and_b32_e32 v6, 0x7f800000, v4
	v_cmp_ne_u32_e64 s[2:3], s30, v6
                                        ; implicit-def: $vgpr6
	s_and_saveexec_b64 s[18:19], s[2:3]
	s_xor_b64 s[2:3], exec, s[18:19]
; %bb.522:                              ;   in Loop: Header=BB362_244 Depth=1
	v_bfe_u32 v6, v4, 16, 1
	v_add3_u32 v6, v4, v6, s31
                                        ; implicit-def: $vgpr4
; %bb.523:                              ;   in Loop: Header=BB362_244 Depth=1
	s_andn2_saveexec_b64 s[18:19], s[2:3]
; %bb.524:                              ;   in Loop: Header=BB362_244 Depth=1
	v_or_b32_e32 v6, 0x10000, v4
	v_cmp_eq_u32_sdwa s[2:3], v4, v17 src0_sel:WORD_0 src1_sel:DWORD
	v_cndmask_b32_e64 v6, v6, v4, s[2:3]
; %bb.525:                              ;   in Loop: Header=BB362_244 Depth=1
	s_or_b64 exec, exec, s[18:19]
	v_lshrrev_b32_e32 v4, 16, v2
	v_cmp_ne_u16_sdwa s[2:3], v4, v17 src0_sel:BYTE_0 src1_sel:DWORD
	v_mov_b32_e32 v16, 0
	s_and_saveexec_b64 s[18:19], s[2:3]
	s_cbranch_execz .LBB362_531
; %bb.526:                              ;   in Loop: Header=BB362_244 Depth=1
	v_cmp_ne_u16_sdwa s[2:3], v4, s34 src0_sel:BYTE_0 src1_sel:DWORD
	v_bfrev_b32_e32 v16, 1
	s_and_saveexec_b64 s[20:21], s[2:3]
	s_cbranch_execz .LBB362_530
; %bb.527:                              ;   in Loop: Header=BB362_244 Depth=1
	v_bfe_u32 v31, v2, 16, 7
	v_cmp_ne_u32_e64 s[2:3], s35, v31
	v_mov_b32_e32 v16, 0x7f800001
	s_and_saveexec_b64 s[22:23], s[2:3]
	s_cbranch_execz .LBB362_529
; %bb.528:                              ;   in Loop: Header=BB362_244 Depth=1
	v_and_b32_e32 v16, 7, v4
	v_ffbh_u32_e32 v32, v16
	v_min_u32_e32 v35, 32, v32
	v_subrev_u32_e32 v32, 28, v35
	v_lshlrev_b64 v[32:33], v32, v[4:5]
	v_lshrrev_b32_e32 v34, 3, v31
	v_sub_u32_e32 v33, 29, v35
	v_and_b32_e32 v32, 7, v32
	v_cmp_gt_u32_e64 s[2:3], 8, v31
	v_cndmask_b32_e64 v31, v34, v33, s[2:3]
	v_cndmask_b32_e64 v16, v16, v32, s[2:3]
	v_lshlrev_b32_e32 v4, 24, v4
	v_lshlrev_b32_e32 v16, 20, v16
	v_and_b32_e32 v4, 0x80000000, v4
	v_lshl_add_u32 v31, v31, 23, v13
	v_or3_b32 v16, v4, v31, v16
.LBB362_529:                            ;   in Loop: Header=BB362_244 Depth=1
	s_or_b64 exec, exec, s[22:23]
.LBB362_530:                            ;   in Loop: Header=BB362_244 Depth=1
	s_or_b64 exec, exec, s[20:21]
.LBB362_531:                            ;   in Loop: Header=BB362_244 Depth=1
	s_or_b64 exec, exec, s[18:19]
	v_mul_f32_e32 v4, s28, v16
	v_and_b32_e32 v16, 0x7f800000, v4
	v_cmp_ne_u32_e64 s[2:3], s30, v16
                                        ; implicit-def: $vgpr31
	s_and_saveexec_b64 s[18:19], s[2:3]
	s_xor_b64 s[2:3], exec, s[18:19]
; %bb.532:                              ;   in Loop: Header=BB362_244 Depth=1
	v_bfe_u32 v16, v4, 16, 1
	v_add3_u32 v31, v4, v16, s31
                                        ; implicit-def: $vgpr4
; %bb.533:                              ;   in Loop: Header=BB362_244 Depth=1
	s_andn2_saveexec_b64 s[18:19], s[2:3]
; %bb.534:                              ;   in Loop: Header=BB362_244 Depth=1
	v_or_b32_e32 v16, 0x10000, v4
	v_cmp_eq_u32_sdwa s[2:3], v4, v17 src0_sel:WORD_0 src1_sel:DWORD
	v_cndmask_b32_e64 v31, v16, v4, s[2:3]
; %bb.535:                              ;   in Loop: Header=BB362_244 Depth=1
	s_or_b64 exec, exec, s[18:19]
	v_cmp_lt_u32_e64 s[2:3], s13, v2
	v_mov_b32_e32 v16, 0
	s_and_saveexec_b64 s[18:19], s[2:3]
	s_cbranch_execz .LBB362_541
; %bb.536:                              ;   in Loop: Header=BB362_244 Depth=1
	v_lshrrev_b32_e32 v4, 24, v2
	v_cmp_ne_u32_e64 s[2:3], s34, v4
	v_bfrev_b32_e32 v16, 1
	s_and_saveexec_b64 s[20:21], s[2:3]
	s_cbranch_execz .LBB362_540
; %bb.537:                              ;   in Loop: Header=BB362_244 Depth=1
	v_bfe_u32 v32, v2, 24, 7
	v_cmp_ne_u32_e64 s[2:3], s35, v32
	v_mov_b32_e32 v16, 0x7f800001
	s_and_saveexec_b64 s[22:23], s[2:3]
	s_cbranch_execz .LBB362_539
; %bb.538:                              ;   in Loop: Header=BB362_244 Depth=1
	v_and_b32_e32 v16, 7, v4
	v_ffbh_u32_e32 v34, v16
	v_min_u32_e32 v36, 32, v34
	v_subrev_u32_e32 v34, 28, v36
	v_lshlrev_b64 v[34:35], v34, v[4:5]
	v_lshrrev_b32_e32 v33, 3, v32
	v_sub_u32_e32 v35, 29, v36
	v_and_b32_e32 v34, 7, v34
	v_cmp_gt_u32_e64 s[2:3], 8, v32
	v_cndmask_b32_e64 v32, v33, v35, s[2:3]
	v_cndmask_b32_e64 v16, v16, v34, s[2:3]
	v_lshlrev_b32_e32 v4, 24, v4
	v_lshlrev_b32_e32 v16, 20, v16
	v_and_b32_e32 v4, 0x80000000, v4
	v_lshl_add_u32 v32, v32, 23, v13
	v_or3_b32 v16, v4, v32, v16
.LBB362_539:                            ;   in Loop: Header=BB362_244 Depth=1
	s_or_b64 exec, exec, s[22:23]
.LBB362_540:                            ;   in Loop: Header=BB362_244 Depth=1
	s_or_b64 exec, exec, s[20:21]
.LBB362_541:                            ;   in Loop: Header=BB362_244 Depth=1
	s_or_b64 exec, exec, s[18:19]
	v_mul_f32_e32 v4, s28, v16
	v_and_b32_e32 v16, 0x7f800000, v4
	v_cmp_ne_u32_e64 s[2:3], s30, v16
                                        ; implicit-def: $vgpr32
	s_and_saveexec_b64 s[18:19], s[2:3]
	s_xor_b64 s[2:3], exec, s[18:19]
; %bb.542:                              ;   in Loop: Header=BB362_244 Depth=1
	v_bfe_u32 v16, v4, 16, 1
	v_add3_u32 v32, v4, v16, s31
                                        ; implicit-def: $vgpr4
; %bb.543:                              ;   in Loop: Header=BB362_244 Depth=1
	s_andn2_saveexec_b64 s[18:19], s[2:3]
; %bb.544:                              ;   in Loop: Header=BB362_244 Depth=1
	v_or_b32_e32 v16, 0x10000, v4
	v_cmp_eq_u32_sdwa s[2:3], v4, v17 src0_sel:WORD_0 src1_sel:DWORD
	v_cndmask_b32_e64 v32, v16, v4, s[2:3]
; %bb.545:                              ;   in Loop: Header=BB362_244 Depth=1
	s_or_b64 exec, exec, s[18:19]
	v_mov_b32_e32 v16, v3
	v_cmp_ne_u16_sdwa s[2:3], v3, v17 src0_sel:BYTE_0 src1_sel:DWORD
	v_mov_b32_e32 v4, 0
	s_and_saveexec_b64 s[18:19], s[2:3]
	s_cbranch_execz .LBB362_551
; %bb.546:                              ;   in Loop: Header=BB362_244 Depth=1
	v_cmp_ne_u16_sdwa s[2:3], v3, s34 src0_sel:BYTE_0 src1_sel:DWORD
	v_bfrev_b32_e32 v4, 1
	s_and_saveexec_b64 s[20:21], s[2:3]
	s_cbranch_execz .LBB362_550
; %bb.547:                              ;   in Loop: Header=BB362_244 Depth=1
	v_and_b32_e32 v33, 0x7f, v3
	v_cmp_ne_u32_e64 s[2:3], s35, v33
	v_mov_b32_e32 v4, 0x7f800001
	s_and_saveexec_b64 s[22:23], s[2:3]
	s_cbranch_execz .LBB362_549
; %bb.548:                              ;   in Loop: Header=BB362_244 Depth=1
	v_and_b32_e32 v4, 7, v3
	v_ffbh_u32_e32 v4, v4
	v_min_u32_e32 v4, 32, v4
	v_subrev_u32_e32 v35, 28, v4
	v_cmp_gt_u32_e64 s[2:3], 8, v33
	v_lshrrev_b32_e32 v34, 3, v33
	v_sub_u32_e32 v4, 29, v4
	v_cndmask_b32_e64 v33, 0, v35, s[2:3]
	v_cndmask_b32_e64 v4, v34, v4, s[2:3]
	v_lshlrev_b64 v[34:35], v33, v[16:17]
	v_lshlrev_b32_e32 v33, 20, v34
	v_lshlrev_b32_e32 v34, 24, v16
	v_and_b32_e32 v33, 0x700000, v33
	v_and_b32_e32 v34, 0x80000000, v34
	v_lshl_add_u32 v4, v4, 23, v13
	v_or3_b32 v4, v34, v4, v33
.LBB362_549:                            ;   in Loop: Header=BB362_244 Depth=1
	s_or_b64 exec, exec, s[22:23]
.LBB362_550:                            ;   in Loop: Header=BB362_244 Depth=1
	s_or_b64 exec, exec, s[20:21]
.LBB362_551:                            ;   in Loop: Header=BB362_244 Depth=1
	s_or_b64 exec, exec, s[18:19]
	v_mul_f32_e32 v4, s28, v4
	v_and_b32_e32 v33, 0x7f800000, v4
	v_cmp_ne_u32_e64 s[2:3], s30, v33
                                        ; implicit-def: $vgpr33
	s_and_saveexec_b64 s[18:19], s[2:3]
	s_xor_b64 s[2:3], exec, s[18:19]
; %bb.552:                              ;   in Loop: Header=BB362_244 Depth=1
	v_bfe_u32 v33, v4, 16, 1
	v_add3_u32 v33, v4, v33, s31
                                        ; implicit-def: $vgpr4
; %bb.553:                              ;   in Loop: Header=BB362_244 Depth=1
	s_andn2_saveexec_b64 s[18:19], s[2:3]
; %bb.554:                              ;   in Loop: Header=BB362_244 Depth=1
	v_or_b32_e32 v33, 0x10000, v4
	v_cmp_eq_u32_sdwa s[2:3], v4, v17 src0_sel:WORD_0 src1_sel:DWORD
	v_cndmask_b32_e64 v33, v33, v4, s[2:3]
; %bb.555:                              ;   in Loop: Header=BB362_244 Depth=1
	s_or_b64 exec, exec, s[18:19]
	v_lshrrev_b16_e32 v4, 8, v16
	v_cmp_ne_u16_e64 s[2:3], 0, v4
	v_mov_b32_e32 v34, 0
	s_and_saveexec_b64 s[18:19], s[2:3]
	s_cbranch_execz .LBB362_561
; %bb.556:                              ;   in Loop: Header=BB362_244 Depth=1
	v_cmp_ne_u16_e64 s[2:3], s34, v4
	v_bfrev_b32_e32 v34, 1
	s_and_saveexec_b64 s[20:21], s[2:3]
	s_cbranch_execz .LBB362_560
; %bb.557:                              ;   in Loop: Header=BB362_244 Depth=1
	v_and_b32_e32 v35, 0x7f, v4
	v_cmp_ne_u32_e64 s[2:3], s35, v35
	v_mov_b32_e32 v34, 0x7f800001
	s_and_saveexec_b64 s[22:23], s[2:3]
	s_cbranch_execz .LBB362_559
; %bb.558:                              ;   in Loop: Header=BB362_244 Depth=1
	v_and_b32_e32 v34, 7, v4
	v_ffbh_u32_e32 v36, v34
	v_min_u32_e32 v39, 32, v36
	v_subrev_u32_e32 v36, 28, v39
	v_lshlrev_b64 v[36:37], v36, v[4:5]
	v_lshrrev_b32_e32 v38, 3, v35
	v_sub_u32_e32 v4, 29, v39
	v_and_b32_e32 v36, 7, v36
	v_cmp_gt_u32_e64 s[2:3], 8, v35
	v_cndmask_b32_e64 v4, v38, v4, s[2:3]
	v_cndmask_b32_e64 v34, v34, v36, s[2:3]
	v_lshlrev_b32_e32 v16, 16, v16
	v_lshlrev_b32_e32 v34, 20, v34
	v_and_b32_e32 v16, 0x80000000, v16
	v_lshl_add_u32 v4, v4, 23, v13
	v_or3_b32 v34, v16, v4, v34
.LBB362_559:                            ;   in Loop: Header=BB362_244 Depth=1
	s_or_b64 exec, exec, s[22:23]
.LBB362_560:                            ;   in Loop: Header=BB362_244 Depth=1
	s_or_b64 exec, exec, s[20:21]
.LBB362_561:                            ;   in Loop: Header=BB362_244 Depth=1
	s_or_b64 exec, exec, s[18:19]
	v_mul_f32_e32 v4, s28, v34
	v_and_b32_e32 v16, 0x7f800000, v4
	v_cmp_ne_u32_e64 s[2:3], s30, v16
                                        ; implicit-def: $vgpr16
	s_and_saveexec_b64 s[18:19], s[2:3]
	s_xor_b64 s[2:3], exec, s[18:19]
; %bb.562:                              ;   in Loop: Header=BB362_244 Depth=1
	v_bfe_u32 v16, v4, 16, 1
	v_add3_u32 v16, v4, v16, s31
                                        ; implicit-def: $vgpr4
; %bb.563:                              ;   in Loop: Header=BB362_244 Depth=1
	s_andn2_saveexec_b64 s[18:19], s[2:3]
; %bb.564:                              ;   in Loop: Header=BB362_244 Depth=1
	v_or_b32_e32 v16, 0x10000, v4
	v_cmp_eq_u32_sdwa s[2:3], v4, v17 src0_sel:WORD_0 src1_sel:DWORD
	v_cndmask_b32_e64 v16, v16, v4, s[2:3]
; %bb.565:                              ;   in Loop: Header=BB362_244 Depth=1
	s_or_b64 exec, exec, s[18:19]
	v_lshrrev_b32_e32 v4, 16, v3
	v_cmp_ne_u16_sdwa s[2:3], v4, v17 src0_sel:BYTE_0 src1_sel:DWORD
	v_mov_b32_e32 v34, 0
	s_and_saveexec_b64 s[18:19], s[2:3]
	s_cbranch_execz .LBB362_571
; %bb.566:                              ;   in Loop: Header=BB362_244 Depth=1
	v_cmp_ne_u16_sdwa s[2:3], v4, s34 src0_sel:BYTE_0 src1_sel:DWORD
	v_bfrev_b32_e32 v34, 1
	s_and_saveexec_b64 s[20:21], s[2:3]
	s_cbranch_execz .LBB362_570
; %bb.567:                              ;   in Loop: Header=BB362_244 Depth=1
	v_bfe_u32 v35, v3, 16, 7
	v_cmp_ne_u32_e64 s[2:3], s35, v35
	v_mov_b32_e32 v34, 0x7f800001
	s_and_saveexec_b64 s[22:23], s[2:3]
	s_cbranch_execz .LBB362_569
; %bb.568:                              ;   in Loop: Header=BB362_244 Depth=1
	v_and_b32_e32 v34, 7, v4
	v_ffbh_u32_e32 v36, v34
	v_min_u32_e32 v39, 32, v36
	v_subrev_u32_e32 v36, 28, v39
	v_lshlrev_b64 v[36:37], v36, v[4:5]
	v_lshrrev_b32_e32 v38, 3, v35
	v_sub_u32_e32 v37, 29, v39
	v_and_b32_e32 v36, 7, v36
	v_cmp_gt_u32_e64 s[2:3], 8, v35
	v_cndmask_b32_e64 v35, v38, v37, s[2:3]
	v_cndmask_b32_e64 v34, v34, v36, s[2:3]
	v_lshlrev_b32_e32 v4, 24, v4
	v_lshlrev_b32_e32 v34, 20, v34
	v_and_b32_e32 v4, 0x80000000, v4
	v_lshl_add_u32 v35, v35, 23, v13
	v_or3_b32 v34, v4, v35, v34
.LBB362_569:                            ;   in Loop: Header=BB362_244 Depth=1
	s_or_b64 exec, exec, s[22:23]
.LBB362_570:                            ;   in Loop: Header=BB362_244 Depth=1
	s_or_b64 exec, exec, s[20:21]
.LBB362_571:                            ;   in Loop: Header=BB362_244 Depth=1
	s_or_b64 exec, exec, s[18:19]
	v_mul_f32_e32 v34, s28, v34
	v_and_b32_e32 v4, 0x7f800000, v34
	v_cmp_ne_u32_e64 s[2:3], s30, v4
                                        ; implicit-def: $vgpr4
	s_and_saveexec_b64 s[18:19], s[2:3]
	s_xor_b64 s[2:3], exec, s[18:19]
; %bb.572:                              ;   in Loop: Header=BB362_244 Depth=1
	v_bfe_u32 v4, v34, 16, 1
	v_add3_u32 v4, v34, v4, s31
                                        ; implicit-def: $vgpr34
; %bb.573:                              ;   in Loop: Header=BB362_244 Depth=1
	s_andn2_saveexec_b64 s[18:19], s[2:3]
; %bb.574:                              ;   in Loop: Header=BB362_244 Depth=1
	v_or_b32_e32 v4, 0x10000, v34
	v_cmp_eq_u32_sdwa s[2:3], v34, v17 src0_sel:WORD_0 src1_sel:DWORD
	v_cndmask_b32_e64 v4, v4, v34, s[2:3]
; %bb.575:                              ;   in Loop: Header=BB362_244 Depth=1
	s_or_b64 exec, exec, s[18:19]
	v_cmp_lt_u64_e64 s[2:3], s[12:13], v[2:3]
	v_mov_b32_e32 v34, 0
	s_and_saveexec_b64 s[18:19], s[2:3]
	s_cbranch_execz .LBB362_581
; %bb.576:                              ;   in Loop: Header=BB362_244 Depth=1
	v_lshrrev_b32_e32 v2, 24, v3
	v_cmp_ne_u32_e64 s[2:3], s34, v2
	v_bfrev_b32_e32 v34, 1
	s_and_saveexec_b64 s[20:21], s[2:3]
	s_cbranch_execz .LBB362_580
; %bb.577:                              ;   in Loop: Header=BB362_244 Depth=1
	v_bfe_u32 v3, v3, 24, 7
	v_cmp_ne_u32_e64 s[2:3], s35, v3
	v_mov_b32_e32 v34, 0x7f800001
	s_and_saveexec_b64 s[22:23], s[2:3]
	s_cbranch_execz .LBB362_579
; %bb.578:                              ;   in Loop: Header=BB362_244 Depth=1
	v_and_b32_e32 v36, 7, v2
	v_ffbh_u32_e32 v34, v36
	v_min_u32_e32 v38, 32, v34
	v_subrev_u32_e32 v34, 28, v38
	v_lshlrev_b64 v[34:35], v34, v[2:3]
	v_lshrrev_b32_e32 v37, 3, v3
	v_sub_u32_e32 v35, 29, v38
	v_and_b32_e32 v34, 7, v34
	v_cmp_gt_u32_e64 s[2:3], 8, v3
	v_cndmask_b32_e64 v3, v37, v35, s[2:3]
	v_cndmask_b32_e64 v34, v36, v34, s[2:3]
	v_lshlrev_b32_e32 v2, 24, v2
	v_lshlrev_b32_e32 v34, 20, v34
	v_and_b32_e32 v2, 0x80000000, v2
	v_lshl_add_u32 v3, v3, 23, v13
	v_or3_b32 v34, v2, v3, v34
.LBB362_579:                            ;   in Loop: Header=BB362_244 Depth=1
	s_or_b64 exec, exec, s[22:23]
.LBB362_580:                            ;   in Loop: Header=BB362_244 Depth=1
	s_or_b64 exec, exec, s[20:21]
.LBB362_581:                            ;   in Loop: Header=BB362_244 Depth=1
	s_or_b64 exec, exec, s[18:19]
	v_mul_f32_e32 v3, s28, v34
	v_and_b32_e32 v2, 0x7f800000, v3
	v_cmp_ne_u32_e64 s[2:3], s30, v2
                                        ; implicit-def: $vgpr2
	s_and_saveexec_b64 s[18:19], s[2:3]
	s_xor_b64 s[2:3], exec, s[18:19]
; %bb.582:                              ;   in Loop: Header=BB362_244 Depth=1
	v_bfe_u32 v2, v3, 16, 1
	v_add3_u32 v2, v3, v2, s31
                                        ; implicit-def: $vgpr3
; %bb.583:                              ;   in Loop: Header=BB362_244 Depth=1
	s_andn2_saveexec_b64 s[18:19], s[2:3]
; %bb.584:                              ;   in Loop: Header=BB362_244 Depth=1
	v_or_b32_e32 v2, 0x10000, v3
	v_cmp_eq_u32_sdwa s[2:3], v3, v17 src0_sel:WORD_0 src1_sel:DWORD
	v_cndmask_b32_e64 v2, v2, v3, s[2:3]
; %bb.585:                              ;   in Loop: Header=BB362_244 Depth=1
	s_or_b64 exec, exec, s[18:19]
	v_lshrrev_b32_e32 v16, 16, v16
	v_lshrrev_b32_e32 v33, 16, v33
	;; [unrolled: 1-line block ×8, first 2 shown]
	s_and_saveexec_b64 s[2:3], s[0:1]
	s_cbranch_execz .LBB362_587
; %bb.586:                              ;   in Loop: Header=BB362_244 Depth=1
	v_cmp_gt_i32_e64 s[0:1], s29, v7
	v_add_u32_e32 v5, -6, v19
	v_cndmask_b32_e64 v3, 0, v3, s[0:1]
	v_cmp_gt_i32_e64 s[0:1], s29, v5
	v_add_u32_e32 v5, -5, v19
	v_cndmask_b32_e64 v6, 0, v6, s[0:1]
	;; [unrolled: 3-line block ×6, first 2 shown]
	v_cmp_gt_i32_e64 s[0:1], s29, v5
	v_cndmask_b32_e64 v4, 0, v4, s[0:1]
	v_cmp_gt_i32_e64 s[0:1], s29, v19
	v_cndmask_b32_e64 v2, 0, v2, s[0:1]
.LBB362_587:                            ;   in Loop: Header=BB362_244 Depth=1
	s_or_b64 exec, exec, s[2:3]
	v_lshlrev_b32_e32 v3, 16, v3
	v_mul_f32_e32 v5, v8, v3
	v_and_b32_e32 v3, 0x7f800000, v5
	v_cmp_ne_u32_e64 s[0:1], s30, v3
                                        ; implicit-def: $vgpr3
	s_and_saveexec_b64 s[2:3], s[0:1]
	s_xor_b64 s[0:1], exec, s[2:3]
; %bb.588:                              ;   in Loop: Header=BB362_244 Depth=1
	v_bfe_u32 v3, v5, 16, 1
	v_add3_u32 v3, v5, v3, s31
                                        ; implicit-def: $vgpr5
; %bb.589:                              ;   in Loop: Header=BB362_244 Depth=1
	s_andn2_saveexec_b64 s[2:3], s[0:1]
; %bb.590:                              ;   in Loop: Header=BB362_244 Depth=1
	v_or_b32_e32 v3, 0x10000, v5
	v_cmp_eq_u32_sdwa s[0:1], v5, v17 src0_sel:WORD_0 src1_sel:DWORD
	v_cndmask_b32_e64 v3, v3, v5, s[0:1]
; %bb.591:                              ;   in Loop: Header=BB362_244 Depth=1
	s_or_b64 exec, exec, s[2:3]
	v_lshlrev_b32_e32 v5, 16, v6
	v_mul_f32_e32 v6, v9, v5
	v_and_b32_e32 v5, 0x7f800000, v6
	v_cmp_ne_u32_e64 s[0:1], s30, v5
                                        ; implicit-def: $vgpr5
	s_and_saveexec_b64 s[2:3], s[0:1]
	s_xor_b64 s[0:1], exec, s[2:3]
; %bb.592:                              ;   in Loop: Header=BB362_244 Depth=1
	v_bfe_u32 v5, v6, 16, 1
	v_add3_u32 v5, v6, v5, s31
                                        ; implicit-def: $vgpr6
; %bb.593:                              ;   in Loop: Header=BB362_244 Depth=1
	s_andn2_saveexec_b64 s[2:3], s[0:1]
; %bb.594:                              ;   in Loop: Header=BB362_244 Depth=1
	v_or_b32_e32 v5, 0x10000, v6
	v_cmp_eq_u32_sdwa s[0:1], v6, v17 src0_sel:WORD_0 src1_sel:DWORD
	v_cndmask_b32_e64 v5, v5, v6, s[0:1]
; %bb.595:                              ;   in Loop: Header=BB362_244 Depth=1
	s_or_b64 exec, exec, s[2:3]
	v_lshlrev_b32_e32 v6, 16, v31
	v_mul_f32_e32 v7, v25, v6
	v_and_b32_e32 v6, 0x7f800000, v7
	v_cmp_ne_u32_e64 s[0:1], s30, v6
                                        ; implicit-def: $vgpr6
	s_and_saveexec_b64 s[2:3], s[0:1]
	s_xor_b64 s[0:1], exec, s[2:3]
; %bb.596:                              ;   in Loop: Header=BB362_244 Depth=1
	v_bfe_u32 v6, v7, 16, 1
	v_add3_u32 v6, v7, v6, s31
                                        ; implicit-def: $vgpr7
; %bb.597:                              ;   in Loop: Header=BB362_244 Depth=1
	s_andn2_saveexec_b64 s[2:3], s[0:1]
; %bb.598:                              ;   in Loop: Header=BB362_244 Depth=1
	v_or_b32_e32 v6, 0x10000, v7
	v_cmp_eq_u32_sdwa s[0:1], v7, v17 src0_sel:WORD_0 src1_sel:DWORD
	v_cndmask_b32_e64 v6, v6, v7, s[0:1]
; %bb.599:                              ;   in Loop: Header=BB362_244 Depth=1
	s_or_b64 exec, exec, s[2:3]
	v_lshlrev_b32_e32 v7, 16, v32
	v_mul_f32_e32 v8, v26, v7
	v_and_b32_e32 v7, 0x7f800000, v8
	v_cmp_ne_u32_e64 s[0:1], s30, v7
                                        ; implicit-def: $vgpr7
	s_and_saveexec_b64 s[2:3], s[0:1]
	s_xor_b64 s[0:1], exec, s[2:3]
; %bb.600:                              ;   in Loop: Header=BB362_244 Depth=1
	v_bfe_u32 v7, v8, 16, 1
	v_add3_u32 v7, v8, v7, s31
                                        ; implicit-def: $vgpr8
; %bb.601:                              ;   in Loop: Header=BB362_244 Depth=1
	s_andn2_saveexec_b64 s[2:3], s[0:1]
; %bb.602:                              ;   in Loop: Header=BB362_244 Depth=1
	v_or_b32_e32 v7, 0x10000, v8
	v_cmp_eq_u32_sdwa s[0:1], v8, v17 src0_sel:WORD_0 src1_sel:DWORD
	v_cndmask_b32_e64 v7, v7, v8, s[0:1]
; %bb.603:                              ;   in Loop: Header=BB362_244 Depth=1
	s_or_b64 exec, exec, s[2:3]
	v_lshlrev_b32_e32 v8, 16, v33
	v_mul_f32_e32 v9, v27, v8
	v_and_b32_e32 v8, 0x7f800000, v9
	v_cmp_ne_u32_e64 s[0:1], s30, v8
                                        ; implicit-def: $vgpr8
	s_and_saveexec_b64 s[2:3], s[0:1]
	s_xor_b64 s[0:1], exec, s[2:3]
; %bb.604:                              ;   in Loop: Header=BB362_244 Depth=1
	v_bfe_u32 v8, v9, 16, 1
	v_add3_u32 v8, v9, v8, s31
                                        ; implicit-def: $vgpr9
; %bb.605:                              ;   in Loop: Header=BB362_244 Depth=1
	s_andn2_saveexec_b64 s[2:3], s[0:1]
; %bb.606:                              ;   in Loop: Header=BB362_244 Depth=1
	v_or_b32_e32 v8, 0x10000, v9
	v_cmp_eq_u32_sdwa s[0:1], v9, v17 src0_sel:WORD_0 src1_sel:DWORD
	v_cndmask_b32_e64 v8, v8, v9, s[0:1]
; %bb.607:                              ;   in Loop: Header=BB362_244 Depth=1
	s_or_b64 exec, exec, s[2:3]
	v_lshlrev_b32_e32 v9, 16, v16
	v_mul_f32_e32 v16, v28, v9
	v_and_b32_e32 v9, 0x7f800000, v16
	v_cmp_ne_u32_e64 s[0:1], s30, v9
                                        ; implicit-def: $vgpr9
	s_and_saveexec_b64 s[2:3], s[0:1]
	s_xor_b64 s[0:1], exec, s[2:3]
; %bb.608:                              ;   in Loop: Header=BB362_244 Depth=1
	v_bfe_u32 v9, v16, 16, 1
	v_add3_u32 v9, v16, v9, s31
                                        ; implicit-def: $vgpr16
; %bb.609:                              ;   in Loop: Header=BB362_244 Depth=1
	s_andn2_saveexec_b64 s[2:3], s[0:1]
; %bb.610:                              ;   in Loop: Header=BB362_244 Depth=1
	v_or_b32_e32 v9, 0x10000, v16
	v_cmp_eq_u32_sdwa s[0:1], v16, v17 src0_sel:WORD_0 src1_sel:DWORD
	v_cndmask_b32_e64 v9, v9, v16, s[0:1]
; %bb.611:                              ;   in Loop: Header=BB362_244 Depth=1
	s_or_b64 exec, exec, s[2:3]
	v_lshlrev_b32_e32 v4, 16, v4
	v_mul_f32_e32 v16, v29, v4
	v_and_b32_e32 v4, 0x7f800000, v16
	v_cmp_ne_u32_e64 s[0:1], s30, v4
                                        ; implicit-def: $vgpr4
	s_and_saveexec_b64 s[2:3], s[0:1]
	s_xor_b64 s[0:1], exec, s[2:3]
; %bb.612:                              ;   in Loop: Header=BB362_244 Depth=1
	v_bfe_u32 v4, v16, 16, 1
	v_add3_u32 v4, v16, v4, s31
                                        ; implicit-def: $vgpr16
; %bb.613:                              ;   in Loop: Header=BB362_244 Depth=1
	s_andn2_saveexec_b64 s[2:3], s[0:1]
; %bb.614:                              ;   in Loop: Header=BB362_244 Depth=1
	v_or_b32_e32 v4, 0x10000, v16
	v_cmp_eq_u32_sdwa s[0:1], v16, v17 src0_sel:WORD_0 src1_sel:DWORD
	v_cndmask_b32_e64 v4, v4, v16, s[0:1]
; %bb.615:                              ;   in Loop: Header=BB362_244 Depth=1
	s_or_b64 exec, exec, s[2:3]
	v_lshlrev_b32_e32 v2, 16, v2
	v_mul_f32_e32 v2, v30, v2
	v_and_b32_e32 v16, 0x7f800000, v2
	v_cmp_ne_u32_e64 s[0:1], s30, v16
                                        ; implicit-def: $vgpr16
	s_and_saveexec_b64 s[2:3], s[0:1]
	s_xor_b64 s[0:1], exec, s[2:3]
; %bb.616:                              ;   in Loop: Header=BB362_244 Depth=1
	v_bfe_u32 v16, v2, 16, 1
	v_add3_u32 v16, v2, v16, s31
                                        ; implicit-def: $vgpr2
; %bb.617:                              ;   in Loop: Header=BB362_244 Depth=1
	s_andn2_saveexec_b64 s[2:3], s[0:1]
	s_cbranch_execz .LBB362_242
; %bb.618:                              ;   in Loop: Header=BB362_244 Depth=1
	v_or_b32_e32 v16, 0x10000, v2
	v_cmp_eq_u32_sdwa s[0:1], v2, v17 src0_sel:WORD_0 src1_sel:DWORD
	v_cndmask_b32_e64 v16, v16, v2, s[0:1]
	s_branch .LBB362_242
.LBB362_619:
	s_or_b64 exec, exec, s[14:15]
.LBB362_620:
	s_or_b64 exec, exec, s[6:7]
	ds_bpermute_b32 v2, v1, v20
	ds_bpermute_b32 v3, v1, v21
	;; [unrolled: 1-line block ×3, first 2 shown]
	s_waitcnt lgkmcnt(0)
	s_barrier
	v_pk_add_f32 v[4:5], v[20:21], v[2:3]
	v_add_f32_e32 v2, v10, v1
	v_and_b32_e32 v1, 0x3c0, v0
	v_cmp_eq_u32_e32 vcc, 64, v1
	s_and_saveexec_b64 s[2:3], vcc
	s_cbranch_execz .LBB362_625
; %bb.621:
	v_cmp_eq_u32_e32 vcc, 0, v11
	s_and_saveexec_b64 s[0:1], vcc
	s_cbranch_execz .LBB362_623
; %bb.622:
	v_mov_b32_e32 v1, 0xb0
	v_lshl_add_u32 v1, v15, 2, v1
	ds_write2_b32 v1, v4, v5 offset1:32
.LBB362_623:
	s_or_b64 exec, exec, s[0:1]
	v_or_b32_e32 v1, 64, v15
	s_movk_i32 s0, 0x50
	v_cmp_gt_u32_e64 s[0:1], s0, v1
	s_and_b64 s[0:1], vcc, s[0:1]
	s_and_b64 exec, exec, s[0:1]
	s_cbranch_execz .LBB362_625
; %bb.624:
	v_mov_b32_e32 v1, 0xb0
	v_lshl_add_u32 v1, v15, 2, v1
	ds_write_b32 v1, v2 offset:256
.LBB362_625:
	s_or_b64 exec, exec, s[2:3]
	v_cmp_gt_u32_e32 vcc, 64, v0
	v_cmp_lt_u32_e64 s[0:1], 63, v0
	s_waitcnt lgkmcnt(0)
	s_barrier
	s_and_saveexec_b64 s[2:3], s[0:1]
	s_xor_b64 s[0:1], exec, s[2:3]
	s_or_saveexec_b64 s[6:7], s[0:1]
	v_lshrrev_b32_e32 v3, 1, v0
	s_xor_b64 exec, exec, s[6:7]
	s_cbranch_execz .LBB362_633
; %bb.626:
	v_cmp_eq_u32_e64 s[0:1], 0, v11
	s_and_saveexec_b64 s[2:3], s[0:1]
	s_cbranch_execz .LBB362_628
; %bb.627:
	v_mov_b32_e32 v0, 0xb0
	v_lshl_add_u32 v0, v3, 2, v0
	ds_read_b32 v0, v0
	s_waitcnt lgkmcnt(0)
	v_add_f32_e32 v4, v4, v0
.LBB362_628:
	s_or_b64 exec, exec, s[2:3]
	s_and_saveexec_b64 s[2:3], s[0:1]
	s_cbranch_execz .LBB362_630
; %bb.629:
	v_mov_b32_e32 v0, 0xb0
	v_lshl_add_u32 v0, v3, 2, v0
	ds_read_b32 v0, v0 offset:128
	s_waitcnt lgkmcnt(0)
	v_add_f32_e32 v5, v5, v0
.LBB362_630:
	s_or_b64 exec, exec, s[2:3]
	v_or_b32_e32 v0, 64, v3
	s_movk_i32 s2, 0x50
	v_cmp_gt_u32_e64 s[2:3], s2, v0
	s_and_b64 s[2:3], s[0:1], s[2:3]
	s_and_saveexec_b64 s[0:1], s[2:3]
	s_cbranch_execz .LBB362_632
; %bb.631:
	v_mov_b32_e32 v0, 0xb0
	v_lshl_add_u32 v0, v3, 2, v0
	ds_read_b32 v0, v0 offset:256
	s_waitcnt lgkmcnt(0)
	v_add_f32_e32 v2, v2, v0
.LBB362_632:
	s_or_b64 exec, exec, s[0:1]
.LBB362_633:
	s_or_b64 exec, exec, s[6:7]
	s_barrier
	s_and_saveexec_b64 s[0:1], vcc
	s_cbranch_execz .LBB362_650
; %bb.634:
	s_mul_i32 s0, s4, 0x50
	s_ashr_i32 s1, s0, 31
	s_lshl_b64 s[0:1], s[0:1], 1
	s_add_u32 s2, s26, s0
	s_mul_i32 s0, s25, s24
	s_addc_u32 s3, s27, s1
	s_ashr_i32 s1, s0, 31
	s_lshl_b64 s[0:1], s[0:1], 1
	s_add_u32 s2, s2, s0
	s_mul_i32 s0, s8, 0x50
	s_addc_u32 s3, s3, s1
	s_ashr_i32 s1, s0, 31
	s_lshl_b64 s[0:1], s[0:1], 1
	s_add_u32 s2, s2, s0
	s_addc_u32 s3, s3, s1
	v_cmp_eq_u32_e32 vcc, 0, v11
	s_and_saveexec_b64 s[4:5], vcc
	s_cbranch_execz .LBB362_644
; %bb.635:
	s_mov_b32 s0, 0x7f800000
	v_and_b32_e32 v0, 0x7f800000, v4
	v_cmp_ne_u32_e64 s[0:1], s0, v0
                                        ; implicit-def: $vgpr6
	s_and_saveexec_b64 s[6:7], s[0:1]
	s_xor_b64 s[0:1], exec, s[6:7]
; %bb.636:
	v_bfe_u32 v0, v4, 16, 1
	s_movk_i32 s6, 0x7fff
	v_add3_u32 v6, v4, v0, s6
; %bb.637:
	s_andn2_saveexec_b64 s[6:7], s[0:1]
; %bb.638:
	v_mov_b32_e32 v0, 0
	v_or_b32_e32 v1, 0x10000, v4
	v_cmp_eq_u32_sdwa s[0:1], v4, v0 src0_sel:WORD_0 src1_sel:DWORD
	v_cndmask_b32_e64 v6, v1, v4, s[0:1]
; %bb.639:
	s_or_b64 exec, exec, s[6:7]
	v_lshlrev_b32_e32 v4, 1, v3
	v_mov_b32_e32 v1, s3
	v_add_co_u32_e64 v0, s[0:1], s2, v4
	v_addc_co_u32_e64 v1, s[0:1], 0, v1, s[0:1]
	global_store_short_d16_hi v4, v6, s[2:3]
	s_mov_b32 s0, 0x7f800000
	v_and_b32_e32 v4, 0x7f800000, v5
	v_cmp_ne_u32_e64 s[0:1], s0, v4
                                        ; implicit-def: $vgpr7
	s_and_saveexec_b64 s[6:7], s[0:1]
	s_xor_b64 s[0:1], exec, s[6:7]
; %bb.640:
	v_bfe_u32 v4, v5, 16, 1
	s_movk_i32 s6, 0x7fff
	v_add3_u32 v7, v5, v4, s6
                                        ; implicit-def: $vgpr4_vgpr5_vgpr6
; %bb.641:
	s_andn2_saveexec_b64 s[6:7], s[0:1]
; %bb.642:
	v_mov_b32_e32 v4, 0
	v_or_b32_e32 v6, 0x10000, v5
	v_cmp_eq_u32_sdwa s[0:1], v5, v4 src0_sel:WORD_0 src1_sel:DWORD
	v_cndmask_b32_e64 v7, v6, v5, s[0:1]
; %bb.643:
	s_or_b64 exec, exec, s[6:7]
	global_store_short_d16_hi v[0:1], v7, off offset:64
.LBB362_644:
	s_or_b64 exec, exec, s[4:5]
	v_or_b32_e32 v0, 64, v3
	s_movk_i32 s0, 0x50
	v_cmp_gt_u32_e64 s[0:1], s0, v0
	s_and_b64 s[0:1], vcc, s[0:1]
	s_and_b64 exec, exec, s[0:1]
	s_cbranch_execz .LBB362_650
; %bb.645:
	s_mov_b32 s0, 0x7f800000
	v_and_b32_e32 v0, 0x7f800000, v2
	v_cmp_ne_u32_e32 vcc, s0, v0
                                        ; implicit-def: $vgpr0
	s_and_saveexec_b64 s[0:1], vcc
	s_xor_b64 s[0:1], exec, s[0:1]
; %bb.646:
	v_bfe_u32 v0, v2, 16, 1
	s_movk_i32 s4, 0x7fff
	v_add3_u32 v0, v2, v0, s4
                                        ; implicit-def: $vgpr2
; %bb.647:
	s_andn2_saveexec_b64 s[0:1], s[0:1]
; %bb.648:
	v_mov_b32_e32 v0, 0
	v_or_b32_e32 v1, 0x10000, v2
	v_cmp_eq_u32_sdwa vcc, v2, v0 src0_sel:WORD_0 src1_sel:DWORD
	v_cndmask_b32_e32 v0, v1, v2, vcc
; %bb.649:
	s_or_b64 exec, exec, s[0:1]
	v_lshlrev_b32_e32 v1, 1, v3
	global_store_short_d16_hi v1, v0, s[2:3] offset:128
.LBB362_650:
	s_endpgm
	.section	.rodata,"a",@progbits
	.p2align	6, 0x0
	.amdhsa_kernel _ZN4vllm25paged_attention_v2_kernelI14__hip_bfloat16hLi80ELi16ELi128ELNS_18Fp8KVCacheDataTypeE1ELb0ELi512EEEvPfS3_PT_PKS4_PKT0_SA_ifPKiSC_iPKfiiiSE_SE_iiiii
		.amdhsa_group_segment_fixed_size 176
		.amdhsa_private_segment_fixed_size 0
		.amdhsa_kernarg_size 400
		.amdhsa_user_sgpr_count 6
		.amdhsa_user_sgpr_private_segment_buffer 1
		.amdhsa_user_sgpr_dispatch_ptr 0
		.amdhsa_user_sgpr_queue_ptr 0
		.amdhsa_user_sgpr_kernarg_segment_ptr 1
		.amdhsa_user_sgpr_dispatch_id 0
		.amdhsa_user_sgpr_flat_scratch_init 0
		.amdhsa_user_sgpr_kernarg_preload_length 0
		.amdhsa_user_sgpr_kernarg_preload_offset 0
		.amdhsa_user_sgpr_private_segment_size 0
		.amdhsa_uses_dynamic_stack 0
		.amdhsa_system_sgpr_private_segment_wavefront_offset 0
		.amdhsa_system_sgpr_workgroup_id_x 1
		.amdhsa_system_sgpr_workgroup_id_y 1
		.amdhsa_system_sgpr_workgroup_id_z 1
		.amdhsa_system_sgpr_workgroup_info 0
		.amdhsa_system_vgpr_workitem_id 0
		.amdhsa_next_free_vgpr 66
		.amdhsa_next_free_sgpr 53
		.amdhsa_accum_offset 68
		.amdhsa_reserve_vcc 1
		.amdhsa_reserve_flat_scratch 0
		.amdhsa_float_round_mode_32 0
		.amdhsa_float_round_mode_16_64 0
		.amdhsa_float_denorm_mode_32 3
		.amdhsa_float_denorm_mode_16_64 3
		.amdhsa_dx10_clamp 1
		.amdhsa_ieee_mode 1
		.amdhsa_fp16_overflow 0
		.amdhsa_tg_split 0
		.amdhsa_exception_fp_ieee_invalid_op 0
		.amdhsa_exception_fp_denorm_src 0
		.amdhsa_exception_fp_ieee_div_zero 0
		.amdhsa_exception_fp_ieee_overflow 0
		.amdhsa_exception_fp_ieee_underflow 0
		.amdhsa_exception_fp_ieee_inexact 0
		.amdhsa_exception_int_div_zero 0
	.end_amdhsa_kernel
	.section	.text._ZN4vllm25paged_attention_v2_kernelI14__hip_bfloat16hLi80ELi16ELi128ELNS_18Fp8KVCacheDataTypeE1ELb0ELi512EEEvPfS3_PT_PKS4_PKT0_SA_ifPKiSC_iPKfiiiSE_SE_iiiii,"axG",@progbits,_ZN4vllm25paged_attention_v2_kernelI14__hip_bfloat16hLi80ELi16ELi128ELNS_18Fp8KVCacheDataTypeE1ELb0ELi512EEEvPfS3_PT_PKS4_PKT0_SA_ifPKiSC_iPKfiiiSE_SE_iiiii,comdat
.Lfunc_end362:
	.size	_ZN4vllm25paged_attention_v2_kernelI14__hip_bfloat16hLi80ELi16ELi128ELNS_18Fp8KVCacheDataTypeE1ELb0ELi512EEEvPfS3_PT_PKS4_PKT0_SA_ifPKiSC_iPKfiiiSE_SE_iiiii, .Lfunc_end362-_ZN4vllm25paged_attention_v2_kernelI14__hip_bfloat16hLi80ELi16ELi128ELNS_18Fp8KVCacheDataTypeE1ELb0ELi512EEEvPfS3_PT_PKS4_PKT0_SA_ifPKiSC_iPKfiiiSE_SE_iiiii
                                        ; -- End function
	.section	.AMDGPU.csdata,"",@progbits
; Kernel info:
; codeLenInByte = 19088
; NumSgprs: 57
; NumVgprs: 66
; NumAgprs: 0
; TotalNumVgprs: 66
; ScratchSize: 0
; MemoryBound: 0
; FloatMode: 240
; IeeeMode: 1
; LDSByteSize: 176 bytes/workgroup (compile time only)
; SGPRBlocks: 7
; VGPRBlocks: 8
; NumSGPRsForWavesPerEU: 57
; NumVGPRsForWavesPerEU: 66
; AccumOffset: 68
; Occupancy: 7
; WaveLimiterHint : 1
; COMPUTE_PGM_RSRC2:SCRATCH_EN: 0
; COMPUTE_PGM_RSRC2:USER_SGPR: 6
; COMPUTE_PGM_RSRC2:TRAP_HANDLER: 0
; COMPUTE_PGM_RSRC2:TGID_X_EN: 1
; COMPUTE_PGM_RSRC2:TGID_Y_EN: 1
; COMPUTE_PGM_RSRC2:TGID_Z_EN: 1
; COMPUTE_PGM_RSRC2:TIDIG_COMP_CNT: 0
; COMPUTE_PGM_RSRC3_GFX90A:ACCUM_OFFSET: 16
; COMPUTE_PGM_RSRC3_GFX90A:TG_SPLIT: 0
	.section	.text._ZN4vllm25paged_attention_v2_kernelI14__hip_bfloat16hLi96ELi16ELi128ELNS_18Fp8KVCacheDataTypeE1ELb0ELi512EEEvPfS3_PT_PKS4_PKT0_SA_ifPKiSC_iPKfiiiSE_SE_iiiii,"axG",@progbits,_ZN4vllm25paged_attention_v2_kernelI14__hip_bfloat16hLi96ELi16ELi128ELNS_18Fp8KVCacheDataTypeE1ELb0ELi512EEEvPfS3_PT_PKS4_PKT0_SA_ifPKiSC_iPKfiiiSE_SE_iiiii,comdat
	.protected	_ZN4vllm25paged_attention_v2_kernelI14__hip_bfloat16hLi96ELi16ELi128ELNS_18Fp8KVCacheDataTypeE1ELb0ELi512EEEvPfS3_PT_PKS4_PKT0_SA_ifPKiSC_iPKfiiiSE_SE_iiiii ; -- Begin function _ZN4vllm25paged_attention_v2_kernelI14__hip_bfloat16hLi96ELi16ELi128ELNS_18Fp8KVCacheDataTypeE1ELb0ELi512EEEvPfS3_PT_PKS4_PKT0_SA_ifPKiSC_iPKfiiiSE_SE_iiiii
	.globl	_ZN4vllm25paged_attention_v2_kernelI14__hip_bfloat16hLi96ELi16ELi128ELNS_18Fp8KVCacheDataTypeE1ELb0ELi512EEEvPfS3_PT_PKS4_PKT0_SA_ifPKiSC_iPKfiiiSE_SE_iiiii
	.p2align	8
	.type	_ZN4vllm25paged_attention_v2_kernelI14__hip_bfloat16hLi96ELi16ELi128ELNS_18Fp8KVCacheDataTypeE1ELb0ELi512EEEvPfS3_PT_PKS4_PKT0_SA_ifPKiSC_iPKfiiiSE_SE_iiiii,@function
_ZN4vllm25paged_attention_v2_kernelI14__hip_bfloat16hLi96ELi16ELi128ELNS_18Fp8KVCacheDataTypeE1ELb0ELi512EEEvPfS3_PT_PKS4_PKT0_SA_ifPKiSC_iPKfiiiSE_SE_iiiii: ; @_ZN4vllm25paged_attention_v2_kernelI14__hip_bfloat16hLi96ELi16ELi128ELNS_18Fp8KVCacheDataTypeE1ELb0ELi512EEEvPfS3_PT_PKS4_PKT0_SA_ifPKiSC_iPKfiiiSE_SE_iiiii
; %bb.0:
	s_load_dwordx2 s[0:1], s[4:5], 0x40
	s_mov_b32 s24, s7
	s_ashr_i32 s25, s7, 31
	s_lshl_b64 s[2:3], s[24:25], 2
	s_waitcnt lgkmcnt(0)
	s_add_u32 s0, s0, s2
	s_addc_u32 s1, s1, s3
	s_load_dword s33, s[0:1], 0x0
	s_lshl_b32 s45, s8, 9
	s_waitcnt lgkmcnt(0)
	s_cmp_ge_i32 s45, s33
	s_cbranch_scc1 .LBB363_681
; %bb.1:
	s_load_dword s25, s[4:5], 0x90
	s_load_dwordx2 s[10:11], s[4:5], 0x30
	s_waitcnt lgkmcnt(0)
	s_abs_i32 s2, s25
	s_abs_i32 s0, s10
	v_cvt_f32_u32_e32 v1, s0
	s_sub_i32 s3, 0, s0
	s_xor_b32 s1, s25, s10
	s_ashr_i32 s1, s1, 31
	v_rcp_iflag_f32_e32 v1, v1
	s_mov_b32 s10, 0
	v_mul_f32_e32 v1, 0x4f7ffffe, v1
	v_cvt_u32_f32_e32 v1, v1
	v_readfirstlane_b32 s7, v1
	s_mul_i32 s3, s3, s7
	s_mul_hi_u32 s3, s7, s3
	s_add_i32 s7, s7, s3
	s_mul_hi_u32 s3, s2, s7
	s_mul_i32 s7, s3, s0
	s_sub_i32 s2, s2, s7
	s_add_i32 s9, s3, 1
	s_sub_i32 s7, s2, s0
	s_cmp_ge_u32 s2, s0
	s_cselect_b32 s3, s9, s3
	s_cselect_b32 s2, s7, s2
	s_add_i32 s7, s3, 1
	s_cmp_ge_u32 s2, s0
	s_cselect_b32 s0, s7, s3
	s_xor_b32 s0, s0, s1
	s_sub_i32 s9, s0, s1
	s_abs_i32 s2, s9
	v_cvt_f32_u32_e32 v1, s2
	s_load_dwordx2 s[0:1], s[4:5], 0x50
	s_sub_i32 s7, 0, s2
	s_abs_i32 s3, s6
	v_rcp_iflag_f32_e32 v1, v1
	v_mul_f32_e32 v1, 0x4f7ffffe, v1
	v_cvt_u32_f32_e32 v1, v1
	v_readfirstlane_b32 s12, v1
	s_mul_i32 s7, s7, s12
	s_mul_hi_u32 s7, s12, s7
	s_add_i32 s12, s12, s7
	s_waitcnt lgkmcnt(0)
	s_cmp_eq_u64 s[0:1], 0
	s_mul_hi_u32 s16, s3, s12
	s_cbranch_scc1 .LBB363_3
; %bb.2:
	s_ashr_i32 s7, s6, 31
	s_lshl_b64 s[12:13], s[6:7], 2
	s_add_u32 s0, s0, s12
	s_addc_u32 s1, s1, s13
	s_load_dword s10, s[0:1], 0x0
.LBB363_3:
	s_load_dwordx4 s[12:15], s[4:5], 0x58
	s_ashr_i32 s17, s6, 31
	s_waitcnt lgkmcnt(0)
	s_ashr_i32 s15, s9, 31
	v_and_b32_e32 v6, 3, v0
	s_mul_i32 s26, s6, 0x60
	v_cmp_gt_u32_e32 vcc, 48, v0
	s_and_saveexec_b64 s[0:1], vcc
	s_cbranch_execz .LBB363_5
; %bb.4:
	s_load_dwordx2 s[18:19], s[4:5], 0x18
	s_mul_i32 s20, s24, s12
	s_ashr_i32 s21, s20, 31
	s_lshl_b64 s[20:21], s[20:21], 1
	v_lshlrev_b32_e32 v1, 2, v0
	s_waitcnt lgkmcnt(0)
	s_add_u32 s7, s18, s20
	s_addc_u32 s9, s19, s21
	s_ashr_i32 s27, s26, 31
	s_lshl_b64 s[18:19], s[26:27], 1
	s_add_u32 s18, s7, s18
	s_addc_u32 s19, s9, s19
	global_load_dword v1, v1, s[18:19]
	v_and_b32_e32 v2, 0x3fc, v0
	v_mad_u32_u24 v2, v6, 48, v2
	s_waitcnt vmcnt(0)
	ds_write_b32 v2, v1
.LBB363_5:
	s_or_b64 exec, exec, s[0:1]
	s_add_i32 s0, s33, 15
	s_ashr_i32 s1, s0, 31
	s_lshr_b32 s1, s1, 28
	s_add_i32 s0, s0, s1
	s_lshl_b32 s9, s8, 5
	s_mul_i32 s1, s16, s2
	s_ashr_i32 s7, s0, 4
	s_add_i32 s0, s9, 32
	s_sub_i32 s1, s3, s1
	s_min_i32 s44, s0, s7
	s_xor_b32 s0, s17, s15
	s_add_i32 s3, s16, 1
	s_sub_i32 s12, s1, s2
	s_cmp_ge_u32 s1, s2
	s_cselect_b32 s3, s3, s16
	s_cselect_b32 s1, s12, s1
	s_add_i32 s12, s3, 1
	s_cmp_ge_u32 s1, s2
	s_load_dwordx2 s[30:31], s[4:5], 0x38
	s_load_dword s2, s[4:5], 0x48
	v_lshrrev_b32_e32 v5, 6, v0
	s_cselect_b32 s1, s12, s3
	s_xor_b32 s1, s1, s0
	v_or_b32_e32 v10, s9, v5
	s_waitcnt lgkmcnt(0)
	s_mul_i32 s34, s24, s2
	s_sub_i32 s12, s1, s0
	s_ashr_i32 s35, s34, 31
	v_cmp_gt_i32_e64 s[0:1], s44, v10
	v_cmp_le_i32_e32 vcc, s44, v10
	v_mbcnt_lo_u32_b32 v7, -1, 0
	s_barrier
	s_waitcnt lgkmcnt(0)
                                        ; implicit-def: $sgpr15
                                        ; implicit-def: $vgpr13
                                        ; implicit-def: $vgpr15
	s_and_saveexec_b64 s[2:3], vcc
	s_xor_b64 s[2:3], exec, s[2:3]
; %bb.6:
	v_mbcnt_hi_u32_b32 v13, -1, v7
	v_and_b32_e32 v1, 64, v13
	v_add_u32_e32 v15, 64, v1
	s_mov_b32 s15, 0xff7fffff
                                        ; implicit-def: $vgpr6
                                        ; implicit-def: $vgpr7
; %bb.7:
	s_or_saveexec_b64 s[38:39], s[2:3]
	s_load_dwordx4 s[20:23], s[4:5], 0x0
	s_load_dwordx2 s[28:29], s[4:5], 0x10
	s_load_dword s27, s[4:5], 0x98
	s_load_dwordx2 s[36:37], s[4:5], 0x28
	s_load_dwordx4 s[16:19], s[4:5], 0x68
	v_mov_b32_e32 v40, s15
	s_mul_i32 s12, s12, s14
	v_ashrrev_i32_e32 v11, 31, v10
	s_xor_b64 exec, exec, s[38:39]
	s_cbranch_execz .LBB363_253
; %bb.8:
	s_load_dwordx2 s[2:3], s[4:5], 0x20
	v_mul_u32_u24_e32 v9, 48, v6
	ds_read_b128 v[12:15], v9
	s_ashr_i32 s4, s12, 31
	v_bfe_u32 v8, v0, 2, 4
	s_waitcnt lgkmcnt(0)
	s_add_u32 s2, s2, s12
	v_lshlrev_b32_e32 v2, 4, v8
	s_addc_u32 s3, s3, s4
	v_lshlrev_b32_e32 v18, 16, v13
	v_and_b32_e32 v19, 0xffff0000, v13
	v_mbcnt_hi_u32_b32 v13, -1, v7
	v_mov_b32_e32 v3, s3
	v_add_co_u32_e32 v2, vcc, s2, v2
	v_and_b32_e32 v7, 64, v13
	v_addc_co_u32_e32 v3, vcc, 0, v3, vcc
	v_lshlrev_b32_e32 v22, 16, v15
	v_and_b32_e32 v23, 0xffff0000, v15
	v_add_u32_e32 v15, 64, v7
	v_xor_b32_e32 v7, 2, v13
	v_cmp_lt_i32_e32 vcc, v7, v15
	v_cndmask_b32_e32 v7, v13, v7, vcc
	v_lshlrev_b32_e32 v41, 2, v7
	v_xor_b32_e32 v7, 1, v13
	v_cmp_lt_i32_e32 vcc, v7, v15
	v_lshlrev_b32_e32 v4, 1, v6
	ds_read_b128 v[28:31], v9 offset:16
	ds_read_b128 v[36:39], v9 offset:32
	v_cndmask_b32_e32 v7, v13, v7, vcc
	v_cmp_eq_u32_e32 vcc, 0, v6
	v_lshlrev_b32_e32 v6, 4, v5
	s_load_dword s47, s[16:17], 0x0
	s_sub_i32 s48, 1, s33
	v_add3_u32 v43, s45, v6, v8
	v_lshlrev_b32_e32 v6, 2, v8
	s_lshl_b64 s[4:5], s[34:35], 2
	v_lshl_or_b32 v6, v5, 6, v6
	s_add_u32 s4, s30, s4
	v_lshlrev_b32_e32 v42, 2, v7
	v_add_u32_e32 v44, 0xd0, v6
	v_lshlrev_b64 v[6:7], 2, v[10:11]
	s_addc_u32 s5, s31, s5
	v_mov_b32_e32 v8, s5
	v_add_co_u32_e64 v6, s[4:5], s4, v6
	s_mov_b32 s46, s13
	v_mov_b32_e32 v1, 0
	v_lshlrev_b32_e32 v16, 16, v12
	v_and_b32_e32 v17, 0xffff0000, v12
	v_lshlrev_b32_e32 v20, 16, v14
	v_and_b32_e32 v21, 0xffff0000, v14
	s_waitcnt lgkmcnt(0)
	v_lshlrev_b32_e32 v24, 16, v28
	v_and_b32_e32 v25, 0xffff0000, v28
	v_lshlrev_b32_e32 v26, 16, v29
	v_and_b32_e32 v27, 0xffff0000, v29
	;; [unrolled: 2-line block ×8, first 2 shown]
	v_cmp_neq_f32_e64 s[2:3], s10, 0
	v_addc_co_u32_e64 v7, s[4:5], v8, v7, s[4:5]
	s_mov_b64 s[14:15], 0
	v_mov_b32_e32 v40, 0xff7fffff
	s_movk_i32 s49, 0x80
	s_movk_i32 s50, 0x7f
	s_mov_b32 s51, 0x7f800000
	s_movk_i32 s52, 0x7fff
	v_bfrev_b32_e32 v45, 60
	v_mov_b32_e32 v46, v10
	s_branch .LBB363_10
.LBB363_9:                              ;   in Loop: Header=BB363_10 Depth=1
	s_or_b64 exec, exec, s[16:17]
	v_add_u32_e32 v46, 2, v46
	v_cmp_le_i32_e64 s[4:5], s44, v46
	s_or_b64 s[14:15], s[4:5], s[14:15]
	v_add_co_u32_e64 v6, s[4:5], 8, v6
	v_add_u32_e32 v43, 32, v43
	v_add_u32_e32 v44, 0x80, v44
	v_addc_co_u32_e64 v7, s[4:5], 0, v7, s[4:5]
	s_andn2_b64 exec, exec, s[14:15]
	s_cbranch_execz .LBB363_252
.LBB363_10:                             ; =>This Inner Loop Header: Depth=1
	global_load_dword v8, v[6:7], off
	s_waitcnt vmcnt(0) lgkmcnt(0)
	v_mad_i64_i32 v[8:9], s[4:5], v8, s46, v[2:3]
	v_add_co_u32_e64 v8, s[4:5], v8, v4
	v_addc_co_u32_e64 v9, s[4:5], 0, v9, s[4:5]
	global_load_ushort v14, v[8:9], off
	s_waitcnt vmcnt(0)
	v_and_b32_e32 v12, 0xffff, v14
	v_cmp_ne_u16_sdwa s[4:5], v14, v1 src0_sel:BYTE_0 src1_sel:DWORD
	v_mov_b32_e32 v14, 0
	s_and_saveexec_b64 s[16:17], s[4:5]
	s_cbranch_execz .LBB363_16
; %bb.11:                               ;   in Loop: Header=BB363_10 Depth=1
	v_cmp_ne_u16_sdwa s[4:5], v12, s49 src0_sel:BYTE_0 src1_sel:DWORD
	v_bfrev_b32_e32 v14, 1
	s_and_saveexec_b64 s[40:41], s[4:5]
	s_cbranch_execz .LBB363_15
; %bb.12:                               ;   in Loop: Header=BB363_10 Depth=1
	v_and_b32_e32 v47, 0x7f, v12
	v_cmp_ne_u32_e64 s[4:5], s50, v47
	v_mov_b32_e32 v14, 0x7f800001
	s_and_saveexec_b64 s[42:43], s[4:5]
	s_cbranch_execz .LBB363_14
; %bb.13:                               ;   in Loop: Header=BB363_10 Depth=1
	v_and_b32_e32 v14, 7, v12
	v_ffbh_u32_e32 v48, v14
	v_min_u32_e32 v51, 32, v48
	v_subrev_u32_e32 v48, 28, v51
	v_lshlrev_b64 v[48:49], v48, v[12:13]
	v_lshrrev_b32_e32 v50, 3, v47
	v_sub_u32_e32 v49, 29, v51
	v_and_b32_e32 v48, 7, v48
	v_cmp_gt_u32_e64 s[4:5], 8, v47
	v_cndmask_b32_e64 v47, v50, v49, s[4:5]
	v_cndmask_b32_e64 v14, v14, v48, s[4:5]
	v_lshlrev_b32_e32 v48, 24, v12
	v_lshlrev_b32_e32 v14, 20, v14
	v_and_b32_e32 v48, 0x80000000, v48
	v_lshl_add_u32 v47, v47, 23, v45
	v_or3_b32 v14, v48, v47, v14
.LBB363_14:                             ;   in Loop: Header=BB363_10 Depth=1
	s_or_b64 exec, exec, s[42:43]
.LBB363_15:                             ;   in Loop: Header=BB363_10 Depth=1
	s_or_b64 exec, exec, s[40:41]
.LBB363_16:                             ;   in Loop: Header=BB363_10 Depth=1
	s_or_b64 exec, exec, s[16:17]
	v_mul_f32_e32 v14, s47, v14
	v_and_b32_e32 v47, 0x7f800000, v14
	v_cmp_ne_u32_e64 s[4:5], s51, v47
                                        ; implicit-def: $vgpr47
	s_and_saveexec_b64 s[16:17], s[4:5]
	s_xor_b64 s[4:5], exec, s[16:17]
; %bb.17:                               ;   in Loop: Header=BB363_10 Depth=1
	v_bfe_u32 v47, v14, 16, 1
	v_add3_u32 v47, v14, v47, s52
                                        ; implicit-def: $vgpr14
; %bb.18:                               ;   in Loop: Header=BB363_10 Depth=1
	s_andn2_saveexec_b64 s[16:17], s[4:5]
; %bb.19:                               ;   in Loop: Header=BB363_10 Depth=1
	v_or_b32_e32 v47, 0x10000, v14
	v_cmp_eq_u32_sdwa s[4:5], v14, v1 src0_sel:WORD_0 src1_sel:DWORD
	v_cndmask_b32_e64 v47, v47, v14, s[4:5]
; %bb.20:                               ;   in Loop: Header=BB363_10 Depth=1
	s_or_b64 exec, exec, s[16:17]
	v_lshrrev_b16_e32 v14, 8, v12
	v_cmp_ne_u16_e64 s[4:5], 0, v14
	v_mov_b32_e32 v48, 0
	s_and_saveexec_b64 s[16:17], s[4:5]
	s_cbranch_execz .LBB363_26
; %bb.21:                               ;   in Loop: Header=BB363_10 Depth=1
	v_cmp_ne_u16_e64 s[4:5], s49, v14
	v_bfrev_b32_e32 v48, 1
	s_and_saveexec_b64 s[40:41], s[4:5]
	s_cbranch_execz .LBB363_25
; %bb.22:                               ;   in Loop: Header=BB363_10 Depth=1
	v_and_b32_e32 v49, 0x7f, v14
	v_cmp_ne_u32_e64 s[4:5], s50, v49
	v_mov_b32_e32 v48, 0x7f800001
	s_and_saveexec_b64 s[42:43], s[4:5]
	s_cbranch_execz .LBB363_24
; %bb.23:                               ;   in Loop: Header=BB363_10 Depth=1
	v_and_b32_e32 v48, 7, v14
	v_ffbh_u32_e32 v50, v48
	v_min_u32_e32 v53, 32, v50
	v_subrev_u32_e32 v50, 28, v53
	v_lshlrev_b64 v[50:51], v50, v[14:15]
	v_lshrrev_b32_e32 v52, 3, v49
	v_sub_u32_e32 v14, 29, v53
	v_and_b32_e32 v50, 7, v50
	v_cmp_gt_u32_e64 s[4:5], 8, v49
	v_cndmask_b32_e64 v14, v52, v14, s[4:5]
	v_cndmask_b32_e64 v48, v48, v50, s[4:5]
	v_lshlrev_b32_e32 v12, 16, v12
	v_lshlrev_b32_e32 v48, 20, v48
	v_and_b32_e32 v12, 0x80000000, v12
	v_lshl_add_u32 v14, v14, 23, v45
	v_or3_b32 v48, v12, v14, v48
.LBB363_24:                             ;   in Loop: Header=BB363_10 Depth=1
	s_or_b64 exec, exec, s[42:43]
.LBB363_25:                             ;   in Loop: Header=BB363_10 Depth=1
	s_or_b64 exec, exec, s[40:41]
.LBB363_26:                             ;   in Loop: Header=BB363_10 Depth=1
	s_or_b64 exec, exec, s[16:17]
	v_mul_f32_e32 v12, s47, v48
	v_and_b32_e32 v14, 0x7f800000, v12
	v_cmp_ne_u32_e64 s[4:5], s51, v14
                                        ; implicit-def: $vgpr48
	s_and_saveexec_b64 s[16:17], s[4:5]
	s_xor_b64 s[4:5], exec, s[16:17]
; %bb.27:                               ;   in Loop: Header=BB363_10 Depth=1
	v_bfe_u32 v14, v12, 16, 1
	v_add3_u32 v48, v12, v14, s52
                                        ; implicit-def: $vgpr12
; %bb.28:                               ;   in Loop: Header=BB363_10 Depth=1
	s_andn2_saveexec_b64 s[16:17], s[4:5]
; %bb.29:                               ;   in Loop: Header=BB363_10 Depth=1
	v_or_b32_e32 v14, 0x10000, v12
	v_cmp_eq_u32_sdwa s[4:5], v12, v1 src0_sel:WORD_0 src1_sel:DWORD
	v_cndmask_b32_e64 v48, v14, v12, s[4:5]
; %bb.30:                               ;   in Loop: Header=BB363_10 Depth=1
	s_or_b64 exec, exec, s[16:17]
	global_load_ushort v14, v[8:9], off offset:8
	s_waitcnt vmcnt(0)
	v_and_b32_e32 v12, 0xffff, v14
	v_cmp_ne_u16_sdwa s[4:5], v14, v1 src0_sel:BYTE_0 src1_sel:DWORD
	v_mov_b32_e32 v14, 0
	s_and_saveexec_b64 s[16:17], s[4:5]
	s_cbranch_execz .LBB363_36
; %bb.31:                               ;   in Loop: Header=BB363_10 Depth=1
	v_cmp_ne_u16_sdwa s[4:5], v12, s49 src0_sel:BYTE_0 src1_sel:DWORD
	v_bfrev_b32_e32 v14, 1
	s_and_saveexec_b64 s[40:41], s[4:5]
	s_cbranch_execz .LBB363_35
; %bb.32:                               ;   in Loop: Header=BB363_10 Depth=1
	v_and_b32_e32 v49, 0x7f, v12
	v_cmp_ne_u32_e64 s[4:5], s50, v49
	v_mov_b32_e32 v14, 0x7f800001
	s_and_saveexec_b64 s[42:43], s[4:5]
	s_cbranch_execz .LBB363_34
; %bb.33:                               ;   in Loop: Header=BB363_10 Depth=1
	v_and_b32_e32 v14, 7, v12
	v_ffbh_u32_e32 v50, v14
	v_min_u32_e32 v53, 32, v50
	v_subrev_u32_e32 v50, 28, v53
	v_lshlrev_b64 v[50:51], v50, v[12:13]
	v_lshrrev_b32_e32 v52, 3, v49
	v_sub_u32_e32 v51, 29, v53
	v_and_b32_e32 v50, 7, v50
	v_cmp_gt_u32_e64 s[4:5], 8, v49
	v_cndmask_b32_e64 v49, v52, v51, s[4:5]
	v_cndmask_b32_e64 v14, v14, v50, s[4:5]
	v_lshlrev_b32_e32 v50, 24, v12
	v_lshlrev_b32_e32 v14, 20, v14
	v_and_b32_e32 v50, 0x80000000, v50
	v_lshl_add_u32 v49, v49, 23, v45
	v_or3_b32 v14, v50, v49, v14
.LBB363_34:                             ;   in Loop: Header=BB363_10 Depth=1
	s_or_b64 exec, exec, s[42:43]
.LBB363_35:                             ;   in Loop: Header=BB363_10 Depth=1
	s_or_b64 exec, exec, s[40:41]
.LBB363_36:                             ;   in Loop: Header=BB363_10 Depth=1
	s_or_b64 exec, exec, s[16:17]
	v_mul_f32_e32 v14, s47, v14
	v_and_b32_e32 v49, 0x7f800000, v14
	v_cmp_ne_u32_e64 s[4:5], s51, v49
                                        ; implicit-def: $vgpr49
	s_and_saveexec_b64 s[16:17], s[4:5]
	s_xor_b64 s[4:5], exec, s[16:17]
; %bb.37:                               ;   in Loop: Header=BB363_10 Depth=1
	v_bfe_u32 v49, v14, 16, 1
	v_add3_u32 v49, v14, v49, s52
                                        ; implicit-def: $vgpr14
; %bb.38:                               ;   in Loop: Header=BB363_10 Depth=1
	s_andn2_saveexec_b64 s[16:17], s[4:5]
; %bb.39:                               ;   in Loop: Header=BB363_10 Depth=1
	v_or_b32_e32 v49, 0x10000, v14
	v_cmp_eq_u32_sdwa s[4:5], v14, v1 src0_sel:WORD_0 src1_sel:DWORD
	v_cndmask_b32_e64 v49, v49, v14, s[4:5]
; %bb.40:                               ;   in Loop: Header=BB363_10 Depth=1
	s_or_b64 exec, exec, s[16:17]
	v_lshrrev_b16_e32 v14, 8, v12
	v_cmp_ne_u16_e64 s[4:5], 0, v14
	v_mov_b32_e32 v50, 0
	s_and_saveexec_b64 s[16:17], s[4:5]
	s_cbranch_execz .LBB363_46
; %bb.41:                               ;   in Loop: Header=BB363_10 Depth=1
	v_cmp_ne_u16_e64 s[4:5], s49, v14
	v_bfrev_b32_e32 v50, 1
	s_and_saveexec_b64 s[40:41], s[4:5]
	s_cbranch_execz .LBB363_45
; %bb.42:                               ;   in Loop: Header=BB363_10 Depth=1
	v_and_b32_e32 v51, 0x7f, v14
	v_cmp_ne_u32_e64 s[4:5], s50, v51
	v_mov_b32_e32 v50, 0x7f800001
	s_and_saveexec_b64 s[42:43], s[4:5]
	s_cbranch_execz .LBB363_44
; %bb.43:                               ;   in Loop: Header=BB363_10 Depth=1
	v_and_b32_e32 v50, 7, v14
	v_ffbh_u32_e32 v52, v50
	v_min_u32_e32 v55, 32, v52
	v_subrev_u32_e32 v52, 28, v55
	v_lshlrev_b64 v[52:53], v52, v[14:15]
	v_lshrrev_b32_e32 v54, 3, v51
	v_sub_u32_e32 v14, 29, v55
	v_and_b32_e32 v52, 7, v52
	v_cmp_gt_u32_e64 s[4:5], 8, v51
	v_cndmask_b32_e64 v14, v54, v14, s[4:5]
	v_cndmask_b32_e64 v50, v50, v52, s[4:5]
	v_lshlrev_b32_e32 v12, 16, v12
	v_lshlrev_b32_e32 v50, 20, v50
	v_and_b32_e32 v12, 0x80000000, v12
	v_lshl_add_u32 v14, v14, 23, v45
	v_or3_b32 v50, v12, v14, v50
.LBB363_44:                             ;   in Loop: Header=BB363_10 Depth=1
	s_or_b64 exec, exec, s[42:43]
.LBB363_45:                             ;   in Loop: Header=BB363_10 Depth=1
	s_or_b64 exec, exec, s[40:41]
.LBB363_46:                             ;   in Loop: Header=BB363_10 Depth=1
	s_or_b64 exec, exec, s[16:17]
	v_mul_f32_e32 v12, s47, v50
	v_and_b32_e32 v14, 0x7f800000, v12
	v_cmp_ne_u32_e64 s[4:5], s51, v14
                                        ; implicit-def: $vgpr50
	s_and_saveexec_b64 s[16:17], s[4:5]
	s_xor_b64 s[4:5], exec, s[16:17]
; %bb.47:                               ;   in Loop: Header=BB363_10 Depth=1
	v_bfe_u32 v14, v12, 16, 1
	v_add3_u32 v50, v12, v14, s52
                                        ; implicit-def: $vgpr12
; %bb.48:                               ;   in Loop: Header=BB363_10 Depth=1
	s_andn2_saveexec_b64 s[16:17], s[4:5]
; %bb.49:                               ;   in Loop: Header=BB363_10 Depth=1
	v_or_b32_e32 v14, 0x10000, v12
	v_cmp_eq_u32_sdwa s[4:5], v12, v1 src0_sel:WORD_0 src1_sel:DWORD
	v_cndmask_b32_e64 v50, v14, v12, s[4:5]
; %bb.50:                               ;   in Loop: Header=BB363_10 Depth=1
	s_or_b64 exec, exec, s[16:17]
	global_load_ushort v14, v[8:9], off offset:256
	s_waitcnt vmcnt(0)
	v_and_b32_e32 v12, 0xffff, v14
	v_cmp_ne_u16_sdwa s[4:5], v14, v1 src0_sel:BYTE_0 src1_sel:DWORD
	v_mov_b32_e32 v14, 0
	s_and_saveexec_b64 s[16:17], s[4:5]
	s_cbranch_execz .LBB363_56
; %bb.51:                               ;   in Loop: Header=BB363_10 Depth=1
	v_cmp_ne_u16_sdwa s[4:5], v12, s49 src0_sel:BYTE_0 src1_sel:DWORD
	v_bfrev_b32_e32 v14, 1
	s_and_saveexec_b64 s[40:41], s[4:5]
	s_cbranch_execz .LBB363_55
; %bb.52:                               ;   in Loop: Header=BB363_10 Depth=1
	v_and_b32_e32 v51, 0x7f, v12
	v_cmp_ne_u32_e64 s[4:5], s50, v51
	v_mov_b32_e32 v14, 0x7f800001
	s_and_saveexec_b64 s[42:43], s[4:5]
	s_cbranch_execz .LBB363_54
; %bb.53:                               ;   in Loop: Header=BB363_10 Depth=1
	v_and_b32_e32 v14, 7, v12
	v_ffbh_u32_e32 v52, v14
	v_min_u32_e32 v55, 32, v52
	v_subrev_u32_e32 v52, 28, v55
	v_lshlrev_b64 v[52:53], v52, v[12:13]
	v_lshrrev_b32_e32 v54, 3, v51
	v_sub_u32_e32 v53, 29, v55
	v_and_b32_e32 v52, 7, v52
	v_cmp_gt_u32_e64 s[4:5], 8, v51
	v_cndmask_b32_e64 v51, v54, v53, s[4:5]
	v_cndmask_b32_e64 v14, v14, v52, s[4:5]
	v_lshlrev_b32_e32 v52, 24, v12
	v_lshlrev_b32_e32 v14, 20, v14
	v_and_b32_e32 v52, 0x80000000, v52
	v_lshl_add_u32 v51, v51, 23, v45
	v_or3_b32 v14, v52, v51, v14
.LBB363_54:                             ;   in Loop: Header=BB363_10 Depth=1
	s_or_b64 exec, exec, s[42:43]
.LBB363_55:                             ;   in Loop: Header=BB363_10 Depth=1
	s_or_b64 exec, exec, s[40:41]
.LBB363_56:                             ;   in Loop: Header=BB363_10 Depth=1
	s_or_b64 exec, exec, s[16:17]
	v_mul_f32_e32 v14, s47, v14
	v_and_b32_e32 v51, 0x7f800000, v14
	v_cmp_ne_u32_e64 s[4:5], s51, v51
                                        ; implicit-def: $vgpr51
	s_and_saveexec_b64 s[16:17], s[4:5]
	s_xor_b64 s[4:5], exec, s[16:17]
; %bb.57:                               ;   in Loop: Header=BB363_10 Depth=1
	v_bfe_u32 v51, v14, 16, 1
	v_add3_u32 v51, v14, v51, s52
                                        ; implicit-def: $vgpr14
; %bb.58:                               ;   in Loop: Header=BB363_10 Depth=1
	s_andn2_saveexec_b64 s[16:17], s[4:5]
; %bb.59:                               ;   in Loop: Header=BB363_10 Depth=1
	v_or_b32_e32 v51, 0x10000, v14
	v_cmp_eq_u32_sdwa s[4:5], v14, v1 src0_sel:WORD_0 src1_sel:DWORD
	v_cndmask_b32_e64 v51, v51, v14, s[4:5]
; %bb.60:                               ;   in Loop: Header=BB363_10 Depth=1
	s_or_b64 exec, exec, s[16:17]
	v_lshrrev_b16_e32 v14, 8, v12
	v_cmp_ne_u16_e64 s[4:5], 0, v14
	v_mov_b32_e32 v52, 0
	s_and_saveexec_b64 s[16:17], s[4:5]
	s_cbranch_execz .LBB363_66
; %bb.61:                               ;   in Loop: Header=BB363_10 Depth=1
	v_cmp_ne_u16_e64 s[4:5], s49, v14
	v_bfrev_b32_e32 v52, 1
	s_and_saveexec_b64 s[40:41], s[4:5]
	s_cbranch_execz .LBB363_65
; %bb.62:                               ;   in Loop: Header=BB363_10 Depth=1
	v_and_b32_e32 v53, 0x7f, v14
	v_cmp_ne_u32_e64 s[4:5], s50, v53
	v_mov_b32_e32 v52, 0x7f800001
	s_and_saveexec_b64 s[42:43], s[4:5]
	s_cbranch_execz .LBB363_64
; %bb.63:                               ;   in Loop: Header=BB363_10 Depth=1
	v_and_b32_e32 v52, 7, v14
	v_ffbh_u32_e32 v54, v52
	v_min_u32_e32 v57, 32, v54
	v_subrev_u32_e32 v54, 28, v57
	v_lshlrev_b64 v[54:55], v54, v[14:15]
	v_lshrrev_b32_e32 v56, 3, v53
	v_sub_u32_e32 v14, 29, v57
	v_and_b32_e32 v54, 7, v54
	v_cmp_gt_u32_e64 s[4:5], 8, v53
	v_cndmask_b32_e64 v14, v56, v14, s[4:5]
	v_cndmask_b32_e64 v52, v52, v54, s[4:5]
	v_lshlrev_b32_e32 v12, 16, v12
	v_lshlrev_b32_e32 v52, 20, v52
	v_and_b32_e32 v12, 0x80000000, v12
	v_lshl_add_u32 v14, v14, 23, v45
	v_or3_b32 v52, v12, v14, v52
.LBB363_64:                             ;   in Loop: Header=BB363_10 Depth=1
	s_or_b64 exec, exec, s[42:43]
.LBB363_65:                             ;   in Loop: Header=BB363_10 Depth=1
	s_or_b64 exec, exec, s[40:41]
.LBB363_66:                             ;   in Loop: Header=BB363_10 Depth=1
	s_or_b64 exec, exec, s[16:17]
	v_mul_f32_e32 v12, s47, v52
	v_and_b32_e32 v14, 0x7f800000, v12
	v_cmp_ne_u32_e64 s[4:5], s51, v14
                                        ; implicit-def: $vgpr52
	s_and_saveexec_b64 s[16:17], s[4:5]
	s_xor_b64 s[4:5], exec, s[16:17]
; %bb.67:                               ;   in Loop: Header=BB363_10 Depth=1
	v_bfe_u32 v14, v12, 16, 1
	v_add3_u32 v52, v12, v14, s52
                                        ; implicit-def: $vgpr12
; %bb.68:                               ;   in Loop: Header=BB363_10 Depth=1
	s_andn2_saveexec_b64 s[16:17], s[4:5]
; %bb.69:                               ;   in Loop: Header=BB363_10 Depth=1
	v_or_b32_e32 v14, 0x10000, v12
	v_cmp_eq_u32_sdwa s[4:5], v12, v1 src0_sel:WORD_0 src1_sel:DWORD
	v_cndmask_b32_e64 v52, v14, v12, s[4:5]
; %bb.70:                               ;   in Loop: Header=BB363_10 Depth=1
	s_or_b64 exec, exec, s[16:17]
	global_load_ushort v14, v[8:9], off offset:264
	s_waitcnt vmcnt(0)
	v_and_b32_e32 v12, 0xffff, v14
	v_cmp_ne_u16_sdwa s[4:5], v14, v1 src0_sel:BYTE_0 src1_sel:DWORD
	v_mov_b32_e32 v14, 0
	s_and_saveexec_b64 s[16:17], s[4:5]
	s_cbranch_execz .LBB363_76
; %bb.71:                               ;   in Loop: Header=BB363_10 Depth=1
	v_cmp_ne_u16_sdwa s[4:5], v12, s49 src0_sel:BYTE_0 src1_sel:DWORD
	v_bfrev_b32_e32 v14, 1
	s_and_saveexec_b64 s[40:41], s[4:5]
	s_cbranch_execz .LBB363_75
; %bb.72:                               ;   in Loop: Header=BB363_10 Depth=1
	v_and_b32_e32 v53, 0x7f, v12
	v_cmp_ne_u32_e64 s[4:5], s50, v53
	v_mov_b32_e32 v14, 0x7f800001
	s_and_saveexec_b64 s[42:43], s[4:5]
	s_cbranch_execz .LBB363_74
; %bb.73:                               ;   in Loop: Header=BB363_10 Depth=1
	v_and_b32_e32 v14, 7, v12
	v_ffbh_u32_e32 v54, v14
	v_min_u32_e32 v57, 32, v54
	v_subrev_u32_e32 v54, 28, v57
	v_lshlrev_b64 v[54:55], v54, v[12:13]
	v_lshrrev_b32_e32 v56, 3, v53
	v_sub_u32_e32 v55, 29, v57
	v_and_b32_e32 v54, 7, v54
	v_cmp_gt_u32_e64 s[4:5], 8, v53
	v_cndmask_b32_e64 v53, v56, v55, s[4:5]
	v_cndmask_b32_e64 v14, v14, v54, s[4:5]
	v_lshlrev_b32_e32 v54, 24, v12
	v_lshlrev_b32_e32 v14, 20, v14
	v_and_b32_e32 v54, 0x80000000, v54
	v_lshl_add_u32 v53, v53, 23, v45
	v_or3_b32 v14, v54, v53, v14
.LBB363_74:                             ;   in Loop: Header=BB363_10 Depth=1
	s_or_b64 exec, exec, s[42:43]
.LBB363_75:                             ;   in Loop: Header=BB363_10 Depth=1
	s_or_b64 exec, exec, s[40:41]
.LBB363_76:                             ;   in Loop: Header=BB363_10 Depth=1
	s_or_b64 exec, exec, s[16:17]
	v_mul_f32_e32 v14, s47, v14
	v_and_b32_e32 v53, 0x7f800000, v14
	v_cmp_ne_u32_e64 s[4:5], s51, v53
                                        ; implicit-def: $vgpr53
	s_and_saveexec_b64 s[16:17], s[4:5]
	s_xor_b64 s[4:5], exec, s[16:17]
; %bb.77:                               ;   in Loop: Header=BB363_10 Depth=1
	v_bfe_u32 v53, v14, 16, 1
	v_add3_u32 v53, v14, v53, s52
                                        ; implicit-def: $vgpr14
; %bb.78:                               ;   in Loop: Header=BB363_10 Depth=1
	s_andn2_saveexec_b64 s[16:17], s[4:5]
; %bb.79:                               ;   in Loop: Header=BB363_10 Depth=1
	v_or_b32_e32 v53, 0x10000, v14
	v_cmp_eq_u32_sdwa s[4:5], v14, v1 src0_sel:WORD_0 src1_sel:DWORD
	v_cndmask_b32_e64 v53, v53, v14, s[4:5]
; %bb.80:                               ;   in Loop: Header=BB363_10 Depth=1
	s_or_b64 exec, exec, s[16:17]
	v_lshrrev_b16_e32 v14, 8, v12
	v_cmp_ne_u16_e64 s[4:5], 0, v14
	v_mov_b32_e32 v54, 0
	s_and_saveexec_b64 s[16:17], s[4:5]
	s_cbranch_execz .LBB363_86
; %bb.81:                               ;   in Loop: Header=BB363_10 Depth=1
	v_cmp_ne_u16_e64 s[4:5], s49, v14
	v_bfrev_b32_e32 v54, 1
	s_and_saveexec_b64 s[40:41], s[4:5]
	s_cbranch_execz .LBB363_85
; %bb.82:                               ;   in Loop: Header=BB363_10 Depth=1
	v_and_b32_e32 v55, 0x7f, v14
	v_cmp_ne_u32_e64 s[4:5], s50, v55
	v_mov_b32_e32 v54, 0x7f800001
	s_and_saveexec_b64 s[42:43], s[4:5]
	s_cbranch_execz .LBB363_84
; %bb.83:                               ;   in Loop: Header=BB363_10 Depth=1
	v_and_b32_e32 v54, 7, v14
	v_ffbh_u32_e32 v56, v54
	v_min_u32_e32 v59, 32, v56
	v_subrev_u32_e32 v56, 28, v59
	v_lshlrev_b64 v[56:57], v56, v[14:15]
	v_lshrrev_b32_e32 v58, 3, v55
	v_sub_u32_e32 v14, 29, v59
	v_and_b32_e32 v56, 7, v56
	v_cmp_gt_u32_e64 s[4:5], 8, v55
	v_cndmask_b32_e64 v14, v58, v14, s[4:5]
	v_cndmask_b32_e64 v54, v54, v56, s[4:5]
	v_lshlrev_b32_e32 v12, 16, v12
	v_lshlrev_b32_e32 v54, 20, v54
	v_and_b32_e32 v12, 0x80000000, v12
	v_lshl_add_u32 v14, v14, 23, v45
	v_or3_b32 v54, v12, v14, v54
.LBB363_84:                             ;   in Loop: Header=BB363_10 Depth=1
	s_or_b64 exec, exec, s[42:43]
.LBB363_85:                             ;   in Loop: Header=BB363_10 Depth=1
	s_or_b64 exec, exec, s[40:41]
.LBB363_86:                             ;   in Loop: Header=BB363_10 Depth=1
	s_or_b64 exec, exec, s[16:17]
	v_mul_f32_e32 v12, s47, v54
	v_and_b32_e32 v14, 0x7f800000, v12
	v_cmp_ne_u32_e64 s[4:5], s51, v14
                                        ; implicit-def: $vgpr54
	s_and_saveexec_b64 s[16:17], s[4:5]
	s_xor_b64 s[4:5], exec, s[16:17]
; %bb.87:                               ;   in Loop: Header=BB363_10 Depth=1
	v_bfe_u32 v14, v12, 16, 1
	v_add3_u32 v54, v12, v14, s52
                                        ; implicit-def: $vgpr12
; %bb.88:                               ;   in Loop: Header=BB363_10 Depth=1
	s_andn2_saveexec_b64 s[16:17], s[4:5]
; %bb.89:                               ;   in Loop: Header=BB363_10 Depth=1
	v_or_b32_e32 v14, 0x10000, v12
	v_cmp_eq_u32_sdwa s[4:5], v12, v1 src0_sel:WORD_0 src1_sel:DWORD
	v_cndmask_b32_e64 v54, v14, v12, s[4:5]
; %bb.90:                               ;   in Loop: Header=BB363_10 Depth=1
	s_or_b64 exec, exec, s[16:17]
	global_load_ushort v14, v[8:9], off offset:512
	s_waitcnt vmcnt(0)
	v_and_b32_e32 v12, 0xffff, v14
	v_cmp_ne_u16_sdwa s[4:5], v14, v1 src0_sel:BYTE_0 src1_sel:DWORD
	v_mov_b32_e32 v14, 0
	s_and_saveexec_b64 s[16:17], s[4:5]
	s_cbranch_execz .LBB363_96
; %bb.91:                               ;   in Loop: Header=BB363_10 Depth=1
	v_cmp_ne_u16_sdwa s[4:5], v12, s49 src0_sel:BYTE_0 src1_sel:DWORD
	v_bfrev_b32_e32 v14, 1
	s_and_saveexec_b64 s[40:41], s[4:5]
	s_cbranch_execz .LBB363_95
; %bb.92:                               ;   in Loop: Header=BB363_10 Depth=1
	v_and_b32_e32 v55, 0x7f, v12
	v_cmp_ne_u32_e64 s[4:5], s50, v55
	v_mov_b32_e32 v14, 0x7f800001
	s_and_saveexec_b64 s[42:43], s[4:5]
	s_cbranch_execz .LBB363_94
; %bb.93:                               ;   in Loop: Header=BB363_10 Depth=1
	v_and_b32_e32 v14, 7, v12
	v_ffbh_u32_e32 v56, v14
	v_min_u32_e32 v59, 32, v56
	v_subrev_u32_e32 v56, 28, v59
	v_lshlrev_b64 v[56:57], v56, v[12:13]
	v_lshrrev_b32_e32 v58, 3, v55
	v_sub_u32_e32 v57, 29, v59
	v_and_b32_e32 v56, 7, v56
	v_cmp_gt_u32_e64 s[4:5], 8, v55
	v_cndmask_b32_e64 v55, v58, v57, s[4:5]
	v_cndmask_b32_e64 v14, v14, v56, s[4:5]
	v_lshlrev_b32_e32 v56, 24, v12
	v_lshlrev_b32_e32 v14, 20, v14
	v_and_b32_e32 v56, 0x80000000, v56
	v_lshl_add_u32 v55, v55, 23, v45
	v_or3_b32 v14, v56, v55, v14
.LBB363_94:                             ;   in Loop: Header=BB363_10 Depth=1
	s_or_b64 exec, exec, s[42:43]
.LBB363_95:                             ;   in Loop: Header=BB363_10 Depth=1
	s_or_b64 exec, exec, s[40:41]
.LBB363_96:                             ;   in Loop: Header=BB363_10 Depth=1
	s_or_b64 exec, exec, s[16:17]
	v_mul_f32_e32 v14, s47, v14
	v_and_b32_e32 v55, 0x7f800000, v14
	v_cmp_ne_u32_e64 s[4:5], s51, v55
                                        ; implicit-def: $vgpr55
	s_and_saveexec_b64 s[16:17], s[4:5]
	s_xor_b64 s[4:5], exec, s[16:17]
; %bb.97:                               ;   in Loop: Header=BB363_10 Depth=1
	v_bfe_u32 v55, v14, 16, 1
	v_add3_u32 v55, v14, v55, s52
                                        ; implicit-def: $vgpr14
; %bb.98:                               ;   in Loop: Header=BB363_10 Depth=1
	s_andn2_saveexec_b64 s[16:17], s[4:5]
; %bb.99:                               ;   in Loop: Header=BB363_10 Depth=1
	v_or_b32_e32 v55, 0x10000, v14
	v_cmp_eq_u32_sdwa s[4:5], v14, v1 src0_sel:WORD_0 src1_sel:DWORD
	v_cndmask_b32_e64 v55, v55, v14, s[4:5]
; %bb.100:                              ;   in Loop: Header=BB363_10 Depth=1
	s_or_b64 exec, exec, s[16:17]
	v_lshrrev_b16_e32 v14, 8, v12
	v_cmp_ne_u16_e64 s[4:5], 0, v14
	v_mov_b32_e32 v56, 0
	s_and_saveexec_b64 s[16:17], s[4:5]
	s_cbranch_execz .LBB363_106
; %bb.101:                              ;   in Loop: Header=BB363_10 Depth=1
	v_cmp_ne_u16_e64 s[4:5], s49, v14
	v_bfrev_b32_e32 v56, 1
	s_and_saveexec_b64 s[40:41], s[4:5]
	s_cbranch_execz .LBB363_105
; %bb.102:                              ;   in Loop: Header=BB363_10 Depth=1
	v_and_b32_e32 v57, 0x7f, v14
	v_cmp_ne_u32_e64 s[4:5], s50, v57
	v_mov_b32_e32 v56, 0x7f800001
	s_and_saveexec_b64 s[42:43], s[4:5]
	s_cbranch_execz .LBB363_104
; %bb.103:                              ;   in Loop: Header=BB363_10 Depth=1
	v_and_b32_e32 v56, 7, v14
	v_ffbh_u32_e32 v58, v56
	v_min_u32_e32 v61, 32, v58
	v_subrev_u32_e32 v58, 28, v61
	v_lshlrev_b64 v[58:59], v58, v[14:15]
	v_lshrrev_b32_e32 v60, 3, v57
	v_sub_u32_e32 v14, 29, v61
	v_and_b32_e32 v58, 7, v58
	v_cmp_gt_u32_e64 s[4:5], 8, v57
	v_cndmask_b32_e64 v14, v60, v14, s[4:5]
	v_cndmask_b32_e64 v56, v56, v58, s[4:5]
	v_lshlrev_b32_e32 v12, 16, v12
	v_lshlrev_b32_e32 v56, 20, v56
	v_and_b32_e32 v12, 0x80000000, v12
	v_lshl_add_u32 v14, v14, 23, v45
	v_or3_b32 v56, v12, v14, v56
.LBB363_104:                            ;   in Loop: Header=BB363_10 Depth=1
	s_or_b64 exec, exec, s[42:43]
.LBB363_105:                            ;   in Loop: Header=BB363_10 Depth=1
	s_or_b64 exec, exec, s[40:41]
.LBB363_106:                            ;   in Loop: Header=BB363_10 Depth=1
	s_or_b64 exec, exec, s[16:17]
	v_mul_f32_e32 v12, s47, v56
	v_and_b32_e32 v14, 0x7f800000, v12
	v_cmp_ne_u32_e64 s[4:5], s51, v14
                                        ; implicit-def: $vgpr56
	s_and_saveexec_b64 s[16:17], s[4:5]
	s_xor_b64 s[4:5], exec, s[16:17]
; %bb.107:                              ;   in Loop: Header=BB363_10 Depth=1
	v_bfe_u32 v14, v12, 16, 1
	v_add3_u32 v56, v12, v14, s52
                                        ; implicit-def: $vgpr12
; %bb.108:                              ;   in Loop: Header=BB363_10 Depth=1
	s_andn2_saveexec_b64 s[16:17], s[4:5]
; %bb.109:                              ;   in Loop: Header=BB363_10 Depth=1
	v_or_b32_e32 v14, 0x10000, v12
	v_cmp_eq_u32_sdwa s[4:5], v12, v1 src0_sel:WORD_0 src1_sel:DWORD
	v_cndmask_b32_e64 v56, v14, v12, s[4:5]
; %bb.110:                              ;   in Loop: Header=BB363_10 Depth=1
	s_or_b64 exec, exec, s[16:17]
	global_load_ushort v14, v[8:9], off offset:520
	s_waitcnt vmcnt(0)
	v_and_b32_e32 v12, 0xffff, v14
	v_cmp_ne_u16_sdwa s[4:5], v14, v1 src0_sel:BYTE_0 src1_sel:DWORD
	v_mov_b32_e32 v14, 0
	s_and_saveexec_b64 s[16:17], s[4:5]
	s_cbranch_execz .LBB363_116
; %bb.111:                              ;   in Loop: Header=BB363_10 Depth=1
	v_cmp_ne_u16_sdwa s[4:5], v12, s49 src0_sel:BYTE_0 src1_sel:DWORD
	v_bfrev_b32_e32 v14, 1
	s_and_saveexec_b64 s[40:41], s[4:5]
	s_cbranch_execz .LBB363_115
; %bb.112:                              ;   in Loop: Header=BB363_10 Depth=1
	v_and_b32_e32 v57, 0x7f, v12
	v_cmp_ne_u32_e64 s[4:5], s50, v57
	v_mov_b32_e32 v14, 0x7f800001
	s_and_saveexec_b64 s[42:43], s[4:5]
	s_cbranch_execz .LBB363_114
; %bb.113:                              ;   in Loop: Header=BB363_10 Depth=1
	v_and_b32_e32 v14, 7, v12
	v_ffbh_u32_e32 v58, v14
	v_min_u32_e32 v61, 32, v58
	v_subrev_u32_e32 v58, 28, v61
	v_lshlrev_b64 v[58:59], v58, v[12:13]
	v_lshrrev_b32_e32 v60, 3, v57
	v_sub_u32_e32 v59, 29, v61
	v_and_b32_e32 v58, 7, v58
	v_cmp_gt_u32_e64 s[4:5], 8, v57
	v_cndmask_b32_e64 v57, v60, v59, s[4:5]
	v_cndmask_b32_e64 v14, v14, v58, s[4:5]
	v_lshlrev_b32_e32 v58, 24, v12
	v_lshlrev_b32_e32 v14, 20, v14
	v_and_b32_e32 v58, 0x80000000, v58
	v_lshl_add_u32 v57, v57, 23, v45
	v_or3_b32 v14, v58, v57, v14
.LBB363_114:                            ;   in Loop: Header=BB363_10 Depth=1
	s_or_b64 exec, exec, s[42:43]
.LBB363_115:                            ;   in Loop: Header=BB363_10 Depth=1
	s_or_b64 exec, exec, s[40:41]
.LBB363_116:                            ;   in Loop: Header=BB363_10 Depth=1
	s_or_b64 exec, exec, s[16:17]
	v_mul_f32_e32 v14, s47, v14
	v_and_b32_e32 v57, 0x7f800000, v14
	v_cmp_ne_u32_e64 s[4:5], s51, v57
                                        ; implicit-def: $vgpr57
	s_and_saveexec_b64 s[16:17], s[4:5]
	s_xor_b64 s[4:5], exec, s[16:17]
; %bb.117:                              ;   in Loop: Header=BB363_10 Depth=1
	v_bfe_u32 v57, v14, 16, 1
	v_add3_u32 v57, v14, v57, s52
                                        ; implicit-def: $vgpr14
; %bb.118:                              ;   in Loop: Header=BB363_10 Depth=1
	s_andn2_saveexec_b64 s[16:17], s[4:5]
; %bb.119:                              ;   in Loop: Header=BB363_10 Depth=1
	v_or_b32_e32 v57, 0x10000, v14
	v_cmp_eq_u32_sdwa s[4:5], v14, v1 src0_sel:WORD_0 src1_sel:DWORD
	v_cndmask_b32_e64 v57, v57, v14, s[4:5]
; %bb.120:                              ;   in Loop: Header=BB363_10 Depth=1
	s_or_b64 exec, exec, s[16:17]
	v_lshrrev_b16_e32 v14, 8, v12
	v_cmp_ne_u16_e64 s[4:5], 0, v14
	v_mov_b32_e32 v58, 0
	s_and_saveexec_b64 s[16:17], s[4:5]
	s_cbranch_execz .LBB363_126
; %bb.121:                              ;   in Loop: Header=BB363_10 Depth=1
	v_cmp_ne_u16_e64 s[4:5], s49, v14
	v_bfrev_b32_e32 v58, 1
	s_and_saveexec_b64 s[40:41], s[4:5]
	s_cbranch_execz .LBB363_125
; %bb.122:                              ;   in Loop: Header=BB363_10 Depth=1
	v_and_b32_e32 v59, 0x7f, v14
	v_cmp_ne_u32_e64 s[4:5], s50, v59
	v_mov_b32_e32 v58, 0x7f800001
	s_and_saveexec_b64 s[42:43], s[4:5]
	s_cbranch_execz .LBB363_124
; %bb.123:                              ;   in Loop: Header=BB363_10 Depth=1
	v_and_b32_e32 v58, 7, v14
	v_ffbh_u32_e32 v60, v58
	v_min_u32_e32 v63, 32, v60
	v_subrev_u32_e32 v60, 28, v63
	v_lshlrev_b64 v[60:61], v60, v[14:15]
	v_lshrrev_b32_e32 v62, 3, v59
	v_sub_u32_e32 v14, 29, v63
	v_and_b32_e32 v60, 7, v60
	v_cmp_gt_u32_e64 s[4:5], 8, v59
	v_cndmask_b32_e64 v14, v62, v14, s[4:5]
	v_cndmask_b32_e64 v58, v58, v60, s[4:5]
	v_lshlrev_b32_e32 v12, 16, v12
	v_lshlrev_b32_e32 v58, 20, v58
	v_and_b32_e32 v12, 0x80000000, v12
	v_lshl_add_u32 v14, v14, 23, v45
	v_or3_b32 v58, v12, v14, v58
.LBB363_124:                            ;   in Loop: Header=BB363_10 Depth=1
	s_or_b64 exec, exec, s[42:43]
.LBB363_125:                            ;   in Loop: Header=BB363_10 Depth=1
	s_or_b64 exec, exec, s[40:41]
.LBB363_126:                            ;   in Loop: Header=BB363_10 Depth=1
	s_or_b64 exec, exec, s[16:17]
	v_mul_f32_e32 v12, s47, v58
	v_and_b32_e32 v14, 0x7f800000, v12
	v_cmp_ne_u32_e64 s[4:5], s51, v14
                                        ; implicit-def: $vgpr58
	s_and_saveexec_b64 s[16:17], s[4:5]
	s_xor_b64 s[4:5], exec, s[16:17]
; %bb.127:                              ;   in Loop: Header=BB363_10 Depth=1
	v_bfe_u32 v14, v12, 16, 1
	v_add3_u32 v58, v12, v14, s52
                                        ; implicit-def: $vgpr12
; %bb.128:                              ;   in Loop: Header=BB363_10 Depth=1
	s_andn2_saveexec_b64 s[16:17], s[4:5]
; %bb.129:                              ;   in Loop: Header=BB363_10 Depth=1
	v_or_b32_e32 v14, 0x10000, v12
	v_cmp_eq_u32_sdwa s[4:5], v12, v1 src0_sel:WORD_0 src1_sel:DWORD
	v_cndmask_b32_e64 v58, v14, v12, s[4:5]
; %bb.130:                              ;   in Loop: Header=BB363_10 Depth=1
	s_or_b64 exec, exec, s[16:17]
	global_load_ushort v14, v[8:9], off offset:768
	s_waitcnt vmcnt(0)
	v_and_b32_e32 v12, 0xffff, v14
	v_cmp_ne_u16_sdwa s[4:5], v14, v1 src0_sel:BYTE_0 src1_sel:DWORD
	v_mov_b32_e32 v14, 0
	s_and_saveexec_b64 s[16:17], s[4:5]
	s_cbranch_execz .LBB363_136
; %bb.131:                              ;   in Loop: Header=BB363_10 Depth=1
	v_cmp_ne_u16_sdwa s[4:5], v12, s49 src0_sel:BYTE_0 src1_sel:DWORD
	v_bfrev_b32_e32 v14, 1
	s_and_saveexec_b64 s[40:41], s[4:5]
	s_cbranch_execz .LBB363_135
; %bb.132:                              ;   in Loop: Header=BB363_10 Depth=1
	v_and_b32_e32 v59, 0x7f, v12
	v_cmp_ne_u32_e64 s[4:5], s50, v59
	v_mov_b32_e32 v14, 0x7f800001
	s_and_saveexec_b64 s[42:43], s[4:5]
	s_cbranch_execz .LBB363_134
; %bb.133:                              ;   in Loop: Header=BB363_10 Depth=1
	v_and_b32_e32 v14, 7, v12
	v_ffbh_u32_e32 v60, v14
	v_min_u32_e32 v63, 32, v60
	v_subrev_u32_e32 v60, 28, v63
	v_lshlrev_b64 v[60:61], v60, v[12:13]
	v_lshrrev_b32_e32 v62, 3, v59
	v_sub_u32_e32 v61, 29, v63
	v_and_b32_e32 v60, 7, v60
	v_cmp_gt_u32_e64 s[4:5], 8, v59
	v_cndmask_b32_e64 v59, v62, v61, s[4:5]
	v_cndmask_b32_e64 v14, v14, v60, s[4:5]
	v_lshlrev_b32_e32 v60, 24, v12
	v_lshlrev_b32_e32 v14, 20, v14
	v_and_b32_e32 v60, 0x80000000, v60
	v_lshl_add_u32 v59, v59, 23, v45
	v_or3_b32 v14, v60, v59, v14
.LBB363_134:                            ;   in Loop: Header=BB363_10 Depth=1
	s_or_b64 exec, exec, s[42:43]
.LBB363_135:                            ;   in Loop: Header=BB363_10 Depth=1
	s_or_b64 exec, exec, s[40:41]
.LBB363_136:                            ;   in Loop: Header=BB363_10 Depth=1
	s_or_b64 exec, exec, s[16:17]
	v_mul_f32_e32 v14, s47, v14
	v_and_b32_e32 v59, 0x7f800000, v14
	v_cmp_ne_u32_e64 s[4:5], s51, v59
                                        ; implicit-def: $vgpr59
	s_and_saveexec_b64 s[16:17], s[4:5]
	s_xor_b64 s[4:5], exec, s[16:17]
; %bb.137:                              ;   in Loop: Header=BB363_10 Depth=1
	v_bfe_u32 v59, v14, 16, 1
	v_add3_u32 v59, v14, v59, s52
                                        ; implicit-def: $vgpr14
; %bb.138:                              ;   in Loop: Header=BB363_10 Depth=1
	s_andn2_saveexec_b64 s[16:17], s[4:5]
; %bb.139:                              ;   in Loop: Header=BB363_10 Depth=1
	v_or_b32_e32 v59, 0x10000, v14
	v_cmp_eq_u32_sdwa s[4:5], v14, v1 src0_sel:WORD_0 src1_sel:DWORD
	v_cndmask_b32_e64 v59, v59, v14, s[4:5]
; %bb.140:                              ;   in Loop: Header=BB363_10 Depth=1
	s_or_b64 exec, exec, s[16:17]
	v_lshrrev_b16_e32 v14, 8, v12
	v_cmp_ne_u16_e64 s[4:5], 0, v14
	v_mov_b32_e32 v60, 0
	s_and_saveexec_b64 s[16:17], s[4:5]
	s_cbranch_execz .LBB363_146
; %bb.141:                              ;   in Loop: Header=BB363_10 Depth=1
	v_cmp_ne_u16_e64 s[4:5], s49, v14
	v_bfrev_b32_e32 v60, 1
	s_and_saveexec_b64 s[40:41], s[4:5]
	s_cbranch_execz .LBB363_145
; %bb.142:                              ;   in Loop: Header=BB363_10 Depth=1
	v_and_b32_e32 v61, 0x7f, v14
	v_cmp_ne_u32_e64 s[4:5], s50, v61
	v_mov_b32_e32 v60, 0x7f800001
	s_and_saveexec_b64 s[42:43], s[4:5]
	s_cbranch_execz .LBB363_144
; %bb.143:                              ;   in Loop: Header=BB363_10 Depth=1
	v_and_b32_e32 v60, 7, v14
	v_ffbh_u32_e32 v62, v60
	v_min_u32_e32 v65, 32, v62
	v_subrev_u32_e32 v62, 28, v65
	v_lshlrev_b64 v[62:63], v62, v[14:15]
	v_lshrrev_b32_e32 v64, 3, v61
	v_sub_u32_e32 v14, 29, v65
	v_and_b32_e32 v62, 7, v62
	v_cmp_gt_u32_e64 s[4:5], 8, v61
	v_cndmask_b32_e64 v14, v64, v14, s[4:5]
	v_cndmask_b32_e64 v60, v60, v62, s[4:5]
	v_lshlrev_b32_e32 v12, 16, v12
	v_lshlrev_b32_e32 v60, 20, v60
	v_and_b32_e32 v12, 0x80000000, v12
	v_lshl_add_u32 v14, v14, 23, v45
	v_or3_b32 v60, v12, v14, v60
.LBB363_144:                            ;   in Loop: Header=BB363_10 Depth=1
	s_or_b64 exec, exec, s[42:43]
.LBB363_145:                            ;   in Loop: Header=BB363_10 Depth=1
	s_or_b64 exec, exec, s[40:41]
.LBB363_146:                            ;   in Loop: Header=BB363_10 Depth=1
	s_or_b64 exec, exec, s[16:17]
	v_mul_f32_e32 v12, s47, v60
	v_and_b32_e32 v14, 0x7f800000, v12
	v_cmp_ne_u32_e64 s[4:5], s51, v14
                                        ; implicit-def: $vgpr60
	s_and_saveexec_b64 s[16:17], s[4:5]
	s_xor_b64 s[4:5], exec, s[16:17]
; %bb.147:                              ;   in Loop: Header=BB363_10 Depth=1
	v_bfe_u32 v14, v12, 16, 1
	v_add3_u32 v60, v12, v14, s52
                                        ; implicit-def: $vgpr12
; %bb.148:                              ;   in Loop: Header=BB363_10 Depth=1
	s_andn2_saveexec_b64 s[16:17], s[4:5]
; %bb.149:                              ;   in Loop: Header=BB363_10 Depth=1
	v_or_b32_e32 v14, 0x10000, v12
	v_cmp_eq_u32_sdwa s[4:5], v12, v1 src0_sel:WORD_0 src1_sel:DWORD
	v_cndmask_b32_e64 v60, v14, v12, s[4:5]
; %bb.150:                              ;   in Loop: Header=BB363_10 Depth=1
	s_or_b64 exec, exec, s[16:17]
	global_load_ushort v14, v[8:9], off offset:776
	s_waitcnt vmcnt(0)
	v_and_b32_e32 v12, 0xffff, v14
	v_cmp_ne_u16_sdwa s[4:5], v14, v1 src0_sel:BYTE_0 src1_sel:DWORD
	v_mov_b32_e32 v14, 0
	s_and_saveexec_b64 s[16:17], s[4:5]
	s_cbranch_execz .LBB363_156
; %bb.151:                              ;   in Loop: Header=BB363_10 Depth=1
	v_cmp_ne_u16_sdwa s[4:5], v12, s49 src0_sel:BYTE_0 src1_sel:DWORD
	v_bfrev_b32_e32 v14, 1
	s_and_saveexec_b64 s[40:41], s[4:5]
	s_cbranch_execz .LBB363_155
; %bb.152:                              ;   in Loop: Header=BB363_10 Depth=1
	v_and_b32_e32 v61, 0x7f, v12
	v_cmp_ne_u32_e64 s[4:5], s50, v61
	v_mov_b32_e32 v14, 0x7f800001
	s_and_saveexec_b64 s[42:43], s[4:5]
	s_cbranch_execz .LBB363_154
; %bb.153:                              ;   in Loop: Header=BB363_10 Depth=1
	v_and_b32_e32 v14, 7, v12
	v_ffbh_u32_e32 v62, v14
	v_min_u32_e32 v65, 32, v62
	v_subrev_u32_e32 v62, 28, v65
	v_lshlrev_b64 v[62:63], v62, v[12:13]
	v_lshrrev_b32_e32 v64, 3, v61
	v_sub_u32_e32 v63, 29, v65
	v_and_b32_e32 v62, 7, v62
	v_cmp_gt_u32_e64 s[4:5], 8, v61
	v_cndmask_b32_e64 v61, v64, v63, s[4:5]
	v_cndmask_b32_e64 v14, v14, v62, s[4:5]
	v_lshlrev_b32_e32 v62, 24, v12
	v_lshlrev_b32_e32 v14, 20, v14
	v_and_b32_e32 v62, 0x80000000, v62
	v_lshl_add_u32 v61, v61, 23, v45
	v_or3_b32 v14, v62, v61, v14
.LBB363_154:                            ;   in Loop: Header=BB363_10 Depth=1
	s_or_b64 exec, exec, s[42:43]
.LBB363_155:                            ;   in Loop: Header=BB363_10 Depth=1
	s_or_b64 exec, exec, s[40:41]
.LBB363_156:                            ;   in Loop: Header=BB363_10 Depth=1
	s_or_b64 exec, exec, s[16:17]
	v_mul_f32_e32 v14, s47, v14
	v_and_b32_e32 v61, 0x7f800000, v14
	v_cmp_ne_u32_e64 s[4:5], s51, v61
                                        ; implicit-def: $vgpr61
	s_and_saveexec_b64 s[16:17], s[4:5]
	s_xor_b64 s[4:5], exec, s[16:17]
; %bb.157:                              ;   in Loop: Header=BB363_10 Depth=1
	v_bfe_u32 v61, v14, 16, 1
	v_add3_u32 v61, v14, v61, s52
                                        ; implicit-def: $vgpr14
; %bb.158:                              ;   in Loop: Header=BB363_10 Depth=1
	s_andn2_saveexec_b64 s[16:17], s[4:5]
; %bb.159:                              ;   in Loop: Header=BB363_10 Depth=1
	v_or_b32_e32 v61, 0x10000, v14
	v_cmp_eq_u32_sdwa s[4:5], v14, v1 src0_sel:WORD_0 src1_sel:DWORD
	v_cndmask_b32_e64 v61, v61, v14, s[4:5]
; %bb.160:                              ;   in Loop: Header=BB363_10 Depth=1
	s_or_b64 exec, exec, s[16:17]
	v_lshrrev_b16_e32 v14, 8, v12
	v_cmp_ne_u16_e64 s[4:5], 0, v14
	v_mov_b32_e32 v62, 0
	s_and_saveexec_b64 s[16:17], s[4:5]
	s_cbranch_execz .LBB363_166
; %bb.161:                              ;   in Loop: Header=BB363_10 Depth=1
	v_cmp_ne_u16_e64 s[4:5], s49, v14
	v_bfrev_b32_e32 v62, 1
	s_and_saveexec_b64 s[40:41], s[4:5]
	s_cbranch_execz .LBB363_165
; %bb.162:                              ;   in Loop: Header=BB363_10 Depth=1
	v_and_b32_e32 v63, 0x7f, v14
	v_cmp_ne_u32_e64 s[4:5], s50, v63
	v_mov_b32_e32 v62, 0x7f800001
	s_and_saveexec_b64 s[42:43], s[4:5]
	s_cbranch_execz .LBB363_164
; %bb.163:                              ;   in Loop: Header=BB363_10 Depth=1
	v_and_b32_e32 v62, 7, v14
	v_ffbh_u32_e32 v64, v62
	v_min_u32_e32 v67, 32, v64
	v_subrev_u32_e32 v64, 28, v67
	v_lshlrev_b64 v[64:65], v64, v[14:15]
	v_lshrrev_b32_e32 v66, 3, v63
	v_sub_u32_e32 v14, 29, v67
	v_and_b32_e32 v64, 7, v64
	v_cmp_gt_u32_e64 s[4:5], 8, v63
	v_cndmask_b32_e64 v14, v66, v14, s[4:5]
	v_cndmask_b32_e64 v62, v62, v64, s[4:5]
	v_lshlrev_b32_e32 v12, 16, v12
	v_lshlrev_b32_e32 v62, 20, v62
	v_and_b32_e32 v12, 0x80000000, v12
	v_lshl_add_u32 v14, v14, 23, v45
	v_or3_b32 v62, v12, v14, v62
.LBB363_164:                            ;   in Loop: Header=BB363_10 Depth=1
	s_or_b64 exec, exec, s[42:43]
.LBB363_165:                            ;   in Loop: Header=BB363_10 Depth=1
	s_or_b64 exec, exec, s[40:41]
.LBB363_166:                            ;   in Loop: Header=BB363_10 Depth=1
	s_or_b64 exec, exec, s[16:17]
	v_mul_f32_e32 v12, s47, v62
	v_and_b32_e32 v14, 0x7f800000, v12
	v_cmp_ne_u32_e64 s[4:5], s51, v14
                                        ; implicit-def: $vgpr62
	s_and_saveexec_b64 s[16:17], s[4:5]
	s_xor_b64 s[4:5], exec, s[16:17]
; %bb.167:                              ;   in Loop: Header=BB363_10 Depth=1
	v_bfe_u32 v14, v12, 16, 1
	v_add3_u32 v62, v12, v14, s52
                                        ; implicit-def: $vgpr12
; %bb.168:                              ;   in Loop: Header=BB363_10 Depth=1
	s_andn2_saveexec_b64 s[16:17], s[4:5]
; %bb.169:                              ;   in Loop: Header=BB363_10 Depth=1
	v_or_b32_e32 v14, 0x10000, v12
	v_cmp_eq_u32_sdwa s[4:5], v12, v1 src0_sel:WORD_0 src1_sel:DWORD
	v_cndmask_b32_e64 v62, v14, v12, s[4:5]
; %bb.170:                              ;   in Loop: Header=BB363_10 Depth=1
	s_or_b64 exec, exec, s[16:17]
	global_load_ushort v14, v[8:9], off offset:1024
	s_waitcnt vmcnt(0)
	v_and_b32_e32 v12, 0xffff, v14
	v_cmp_ne_u16_sdwa s[4:5], v14, v1 src0_sel:BYTE_0 src1_sel:DWORD
	v_mov_b32_e32 v14, 0
	s_and_saveexec_b64 s[16:17], s[4:5]
	s_cbranch_execz .LBB363_176
; %bb.171:                              ;   in Loop: Header=BB363_10 Depth=1
	v_cmp_ne_u16_sdwa s[4:5], v12, s49 src0_sel:BYTE_0 src1_sel:DWORD
	v_bfrev_b32_e32 v14, 1
	s_and_saveexec_b64 s[40:41], s[4:5]
	s_cbranch_execz .LBB363_175
; %bb.172:                              ;   in Loop: Header=BB363_10 Depth=1
	v_and_b32_e32 v63, 0x7f, v12
	v_cmp_ne_u32_e64 s[4:5], s50, v63
	v_mov_b32_e32 v14, 0x7f800001
	s_and_saveexec_b64 s[42:43], s[4:5]
	s_cbranch_execz .LBB363_174
; %bb.173:                              ;   in Loop: Header=BB363_10 Depth=1
	v_and_b32_e32 v14, 7, v12
	v_ffbh_u32_e32 v64, v14
	v_min_u32_e32 v67, 32, v64
	v_subrev_u32_e32 v64, 28, v67
	v_lshlrev_b64 v[64:65], v64, v[12:13]
	v_lshrrev_b32_e32 v66, 3, v63
	v_sub_u32_e32 v65, 29, v67
	v_and_b32_e32 v64, 7, v64
	v_cmp_gt_u32_e64 s[4:5], 8, v63
	v_cndmask_b32_e64 v63, v66, v65, s[4:5]
	v_cndmask_b32_e64 v14, v14, v64, s[4:5]
	v_lshlrev_b32_e32 v64, 24, v12
	v_lshlrev_b32_e32 v14, 20, v14
	v_and_b32_e32 v64, 0x80000000, v64
	v_lshl_add_u32 v63, v63, 23, v45
	v_or3_b32 v14, v64, v63, v14
.LBB363_174:                            ;   in Loop: Header=BB363_10 Depth=1
	s_or_b64 exec, exec, s[42:43]
.LBB363_175:                            ;   in Loop: Header=BB363_10 Depth=1
	s_or_b64 exec, exec, s[40:41]
.LBB363_176:                            ;   in Loop: Header=BB363_10 Depth=1
	s_or_b64 exec, exec, s[16:17]
	v_mul_f32_e32 v14, s47, v14
	v_and_b32_e32 v63, 0x7f800000, v14
	v_cmp_ne_u32_e64 s[4:5], s51, v63
                                        ; implicit-def: $vgpr63
	s_and_saveexec_b64 s[16:17], s[4:5]
	s_xor_b64 s[4:5], exec, s[16:17]
; %bb.177:                              ;   in Loop: Header=BB363_10 Depth=1
	v_bfe_u32 v63, v14, 16, 1
	v_add3_u32 v63, v14, v63, s52
                                        ; implicit-def: $vgpr14
; %bb.178:                              ;   in Loop: Header=BB363_10 Depth=1
	s_andn2_saveexec_b64 s[16:17], s[4:5]
; %bb.179:                              ;   in Loop: Header=BB363_10 Depth=1
	v_or_b32_e32 v63, 0x10000, v14
	v_cmp_eq_u32_sdwa s[4:5], v14, v1 src0_sel:WORD_0 src1_sel:DWORD
	v_cndmask_b32_e64 v63, v63, v14, s[4:5]
; %bb.180:                              ;   in Loop: Header=BB363_10 Depth=1
	s_or_b64 exec, exec, s[16:17]
	v_lshrrev_b16_e32 v14, 8, v12
	v_cmp_ne_u16_e64 s[4:5], 0, v14
	v_mov_b32_e32 v64, 0
	s_and_saveexec_b64 s[16:17], s[4:5]
	s_cbranch_execz .LBB363_186
; %bb.181:                              ;   in Loop: Header=BB363_10 Depth=1
	v_cmp_ne_u16_e64 s[4:5], s49, v14
	v_bfrev_b32_e32 v64, 1
	s_and_saveexec_b64 s[40:41], s[4:5]
	s_cbranch_execz .LBB363_185
; %bb.182:                              ;   in Loop: Header=BB363_10 Depth=1
	v_and_b32_e32 v65, 0x7f, v14
	v_cmp_ne_u32_e64 s[4:5], s50, v65
	v_mov_b32_e32 v64, 0x7f800001
	s_and_saveexec_b64 s[42:43], s[4:5]
	s_cbranch_execz .LBB363_184
; %bb.183:                              ;   in Loop: Header=BB363_10 Depth=1
	v_and_b32_e32 v64, 7, v14
	v_ffbh_u32_e32 v66, v64
	v_min_u32_e32 v69, 32, v66
	v_subrev_u32_e32 v66, 28, v69
	v_lshlrev_b64 v[66:67], v66, v[14:15]
	v_lshrrev_b32_e32 v68, 3, v65
	v_sub_u32_e32 v14, 29, v69
	v_and_b32_e32 v66, 7, v66
	v_cmp_gt_u32_e64 s[4:5], 8, v65
	v_cndmask_b32_e64 v14, v68, v14, s[4:5]
	v_cndmask_b32_e64 v64, v64, v66, s[4:5]
	v_lshlrev_b32_e32 v12, 16, v12
	v_lshlrev_b32_e32 v64, 20, v64
	v_and_b32_e32 v12, 0x80000000, v12
	v_lshl_add_u32 v14, v14, 23, v45
	v_or3_b32 v64, v12, v14, v64
.LBB363_184:                            ;   in Loop: Header=BB363_10 Depth=1
	s_or_b64 exec, exec, s[42:43]
.LBB363_185:                            ;   in Loop: Header=BB363_10 Depth=1
	s_or_b64 exec, exec, s[40:41]
.LBB363_186:                            ;   in Loop: Header=BB363_10 Depth=1
	s_or_b64 exec, exec, s[16:17]
	v_mul_f32_e32 v12, s47, v64
	v_and_b32_e32 v14, 0x7f800000, v12
	v_cmp_ne_u32_e64 s[4:5], s51, v14
                                        ; implicit-def: $vgpr64
	s_and_saveexec_b64 s[16:17], s[4:5]
	s_xor_b64 s[4:5], exec, s[16:17]
; %bb.187:                              ;   in Loop: Header=BB363_10 Depth=1
	v_bfe_u32 v14, v12, 16, 1
	v_add3_u32 v64, v12, v14, s52
                                        ; implicit-def: $vgpr12
; %bb.188:                              ;   in Loop: Header=BB363_10 Depth=1
	s_andn2_saveexec_b64 s[16:17], s[4:5]
; %bb.189:                              ;   in Loop: Header=BB363_10 Depth=1
	v_or_b32_e32 v14, 0x10000, v12
	v_cmp_eq_u32_sdwa s[4:5], v12, v1 src0_sel:WORD_0 src1_sel:DWORD
	v_cndmask_b32_e64 v64, v14, v12, s[4:5]
; %bb.190:                              ;   in Loop: Header=BB363_10 Depth=1
	s_or_b64 exec, exec, s[16:17]
	global_load_ushort v14, v[8:9], off offset:1032
	s_waitcnt vmcnt(0)
	v_and_b32_e32 v12, 0xffff, v14
	v_cmp_ne_u16_sdwa s[4:5], v14, v1 src0_sel:BYTE_0 src1_sel:DWORD
	v_mov_b32_e32 v14, 0
	s_and_saveexec_b64 s[16:17], s[4:5]
	s_cbranch_execz .LBB363_196
; %bb.191:                              ;   in Loop: Header=BB363_10 Depth=1
	v_cmp_ne_u16_sdwa s[4:5], v12, s49 src0_sel:BYTE_0 src1_sel:DWORD
	v_bfrev_b32_e32 v14, 1
	s_and_saveexec_b64 s[40:41], s[4:5]
	s_cbranch_execz .LBB363_195
; %bb.192:                              ;   in Loop: Header=BB363_10 Depth=1
	v_and_b32_e32 v65, 0x7f, v12
	v_cmp_ne_u32_e64 s[4:5], s50, v65
	v_mov_b32_e32 v14, 0x7f800001
	s_and_saveexec_b64 s[42:43], s[4:5]
	s_cbranch_execz .LBB363_194
; %bb.193:                              ;   in Loop: Header=BB363_10 Depth=1
	v_and_b32_e32 v14, 7, v12
	v_ffbh_u32_e32 v66, v14
	v_min_u32_e32 v69, 32, v66
	v_subrev_u32_e32 v66, 28, v69
	v_lshlrev_b64 v[66:67], v66, v[12:13]
	v_lshrrev_b32_e32 v68, 3, v65
	v_sub_u32_e32 v67, 29, v69
	v_and_b32_e32 v66, 7, v66
	v_cmp_gt_u32_e64 s[4:5], 8, v65
	v_cndmask_b32_e64 v65, v68, v67, s[4:5]
	v_cndmask_b32_e64 v14, v14, v66, s[4:5]
	v_lshlrev_b32_e32 v66, 24, v12
	v_lshlrev_b32_e32 v14, 20, v14
	v_and_b32_e32 v66, 0x80000000, v66
	v_lshl_add_u32 v65, v65, 23, v45
	v_or3_b32 v14, v66, v65, v14
.LBB363_194:                            ;   in Loop: Header=BB363_10 Depth=1
	s_or_b64 exec, exec, s[42:43]
.LBB363_195:                            ;   in Loop: Header=BB363_10 Depth=1
	s_or_b64 exec, exec, s[40:41]
.LBB363_196:                            ;   in Loop: Header=BB363_10 Depth=1
	s_or_b64 exec, exec, s[16:17]
	v_mul_f32_e32 v14, s47, v14
	v_and_b32_e32 v65, 0x7f800000, v14
	v_cmp_ne_u32_e64 s[4:5], s51, v65
                                        ; implicit-def: $vgpr65
	s_and_saveexec_b64 s[16:17], s[4:5]
	s_xor_b64 s[4:5], exec, s[16:17]
; %bb.197:                              ;   in Loop: Header=BB363_10 Depth=1
	v_bfe_u32 v65, v14, 16, 1
	v_add3_u32 v65, v14, v65, s52
                                        ; implicit-def: $vgpr14
; %bb.198:                              ;   in Loop: Header=BB363_10 Depth=1
	s_andn2_saveexec_b64 s[16:17], s[4:5]
; %bb.199:                              ;   in Loop: Header=BB363_10 Depth=1
	v_or_b32_e32 v65, 0x10000, v14
	v_cmp_eq_u32_sdwa s[4:5], v14, v1 src0_sel:WORD_0 src1_sel:DWORD
	v_cndmask_b32_e64 v65, v65, v14, s[4:5]
; %bb.200:                              ;   in Loop: Header=BB363_10 Depth=1
	s_or_b64 exec, exec, s[16:17]
	v_lshrrev_b16_e32 v14, 8, v12
	v_cmp_ne_u16_e64 s[4:5], 0, v14
	v_mov_b32_e32 v66, 0
	s_and_saveexec_b64 s[16:17], s[4:5]
	s_cbranch_execz .LBB363_206
; %bb.201:                              ;   in Loop: Header=BB363_10 Depth=1
	v_cmp_ne_u16_e64 s[4:5], s49, v14
	v_bfrev_b32_e32 v66, 1
	s_and_saveexec_b64 s[40:41], s[4:5]
	s_cbranch_execz .LBB363_205
; %bb.202:                              ;   in Loop: Header=BB363_10 Depth=1
	v_and_b32_e32 v67, 0x7f, v14
	v_cmp_ne_u32_e64 s[4:5], s50, v67
	v_mov_b32_e32 v66, 0x7f800001
	s_and_saveexec_b64 s[42:43], s[4:5]
	s_cbranch_execz .LBB363_204
; %bb.203:                              ;   in Loop: Header=BB363_10 Depth=1
	v_and_b32_e32 v66, 7, v14
	v_ffbh_u32_e32 v68, v66
	v_min_u32_e32 v71, 32, v68
	v_subrev_u32_e32 v68, 28, v71
	v_lshlrev_b64 v[68:69], v68, v[14:15]
	v_lshrrev_b32_e32 v70, 3, v67
	v_sub_u32_e32 v14, 29, v71
	v_and_b32_e32 v68, 7, v68
	v_cmp_gt_u32_e64 s[4:5], 8, v67
	v_cndmask_b32_e64 v14, v70, v14, s[4:5]
	v_cndmask_b32_e64 v66, v66, v68, s[4:5]
	v_lshlrev_b32_e32 v12, 16, v12
	v_lshlrev_b32_e32 v66, 20, v66
	v_and_b32_e32 v12, 0x80000000, v12
	v_lshl_add_u32 v14, v14, 23, v45
	v_or3_b32 v66, v12, v14, v66
.LBB363_204:                            ;   in Loop: Header=BB363_10 Depth=1
	s_or_b64 exec, exec, s[42:43]
.LBB363_205:                            ;   in Loop: Header=BB363_10 Depth=1
	s_or_b64 exec, exec, s[40:41]
.LBB363_206:                            ;   in Loop: Header=BB363_10 Depth=1
	s_or_b64 exec, exec, s[16:17]
	v_mul_f32_e32 v12, s47, v66
	v_and_b32_e32 v14, 0x7f800000, v12
	v_cmp_ne_u32_e64 s[4:5], s51, v14
                                        ; implicit-def: $vgpr66
	s_and_saveexec_b64 s[16:17], s[4:5]
	s_xor_b64 s[4:5], exec, s[16:17]
; %bb.207:                              ;   in Loop: Header=BB363_10 Depth=1
	v_bfe_u32 v14, v12, 16, 1
	v_add3_u32 v66, v12, v14, s52
                                        ; implicit-def: $vgpr12
; %bb.208:                              ;   in Loop: Header=BB363_10 Depth=1
	s_andn2_saveexec_b64 s[16:17], s[4:5]
; %bb.209:                              ;   in Loop: Header=BB363_10 Depth=1
	v_or_b32_e32 v14, 0x10000, v12
	v_cmp_eq_u32_sdwa s[4:5], v12, v1 src0_sel:WORD_0 src1_sel:DWORD
	v_cndmask_b32_e64 v66, v14, v12, s[4:5]
; %bb.210:                              ;   in Loop: Header=BB363_10 Depth=1
	s_or_b64 exec, exec, s[16:17]
	global_load_ushort v14, v[8:9], off offset:1280
	s_waitcnt vmcnt(0)
	v_and_b32_e32 v12, 0xffff, v14
	v_cmp_ne_u16_sdwa s[4:5], v14, v1 src0_sel:BYTE_0 src1_sel:DWORD
	v_mov_b32_e32 v14, 0
	s_and_saveexec_b64 s[16:17], s[4:5]
	s_cbranch_execz .LBB363_216
; %bb.211:                              ;   in Loop: Header=BB363_10 Depth=1
	v_cmp_ne_u16_sdwa s[4:5], v12, s49 src0_sel:BYTE_0 src1_sel:DWORD
	v_bfrev_b32_e32 v14, 1
	s_and_saveexec_b64 s[40:41], s[4:5]
	s_cbranch_execz .LBB363_215
; %bb.212:                              ;   in Loop: Header=BB363_10 Depth=1
	v_and_b32_e32 v67, 0x7f, v12
	v_cmp_ne_u32_e64 s[4:5], s50, v67
	v_mov_b32_e32 v14, 0x7f800001
	s_and_saveexec_b64 s[42:43], s[4:5]
	s_cbranch_execz .LBB363_214
; %bb.213:                              ;   in Loop: Header=BB363_10 Depth=1
	v_and_b32_e32 v14, 7, v12
	v_ffbh_u32_e32 v68, v14
	v_min_u32_e32 v71, 32, v68
	v_subrev_u32_e32 v68, 28, v71
	v_lshlrev_b64 v[68:69], v68, v[12:13]
	v_lshrrev_b32_e32 v70, 3, v67
	v_sub_u32_e32 v69, 29, v71
	v_and_b32_e32 v68, 7, v68
	v_cmp_gt_u32_e64 s[4:5], 8, v67
	v_cndmask_b32_e64 v67, v70, v69, s[4:5]
	v_cndmask_b32_e64 v14, v14, v68, s[4:5]
	v_lshlrev_b32_e32 v68, 24, v12
	v_lshlrev_b32_e32 v14, 20, v14
	v_and_b32_e32 v68, 0x80000000, v68
	v_lshl_add_u32 v67, v67, 23, v45
	v_or3_b32 v14, v68, v67, v14
.LBB363_214:                            ;   in Loop: Header=BB363_10 Depth=1
	s_or_b64 exec, exec, s[42:43]
.LBB363_215:                            ;   in Loop: Header=BB363_10 Depth=1
	s_or_b64 exec, exec, s[40:41]
.LBB363_216:                            ;   in Loop: Header=BB363_10 Depth=1
	s_or_b64 exec, exec, s[16:17]
	v_mul_f32_e32 v14, s47, v14
	v_and_b32_e32 v67, 0x7f800000, v14
	v_cmp_ne_u32_e64 s[4:5], s51, v67
                                        ; implicit-def: $vgpr67
	s_and_saveexec_b64 s[16:17], s[4:5]
	s_xor_b64 s[4:5], exec, s[16:17]
; %bb.217:                              ;   in Loop: Header=BB363_10 Depth=1
	v_bfe_u32 v67, v14, 16, 1
	v_add3_u32 v67, v14, v67, s52
                                        ; implicit-def: $vgpr14
; %bb.218:                              ;   in Loop: Header=BB363_10 Depth=1
	s_andn2_saveexec_b64 s[16:17], s[4:5]
; %bb.219:                              ;   in Loop: Header=BB363_10 Depth=1
	v_or_b32_e32 v67, 0x10000, v14
	v_cmp_eq_u32_sdwa s[4:5], v14, v1 src0_sel:WORD_0 src1_sel:DWORD
	v_cndmask_b32_e64 v67, v67, v14, s[4:5]
; %bb.220:                              ;   in Loop: Header=BB363_10 Depth=1
	s_or_b64 exec, exec, s[16:17]
	v_lshrrev_b16_e32 v14, 8, v12
	v_cmp_ne_u16_e64 s[4:5], 0, v14
	v_mov_b32_e32 v68, 0
	s_and_saveexec_b64 s[16:17], s[4:5]
	s_cbranch_execz .LBB363_226
; %bb.221:                              ;   in Loop: Header=BB363_10 Depth=1
	v_cmp_ne_u16_e64 s[4:5], s49, v14
	v_bfrev_b32_e32 v68, 1
	s_and_saveexec_b64 s[40:41], s[4:5]
	s_cbranch_execz .LBB363_225
; %bb.222:                              ;   in Loop: Header=BB363_10 Depth=1
	v_and_b32_e32 v69, 0x7f, v14
	v_cmp_ne_u32_e64 s[4:5], s50, v69
	v_mov_b32_e32 v68, 0x7f800001
	s_and_saveexec_b64 s[42:43], s[4:5]
	s_cbranch_execz .LBB363_224
; %bb.223:                              ;   in Loop: Header=BB363_10 Depth=1
	v_and_b32_e32 v68, 7, v14
	v_ffbh_u32_e32 v70, v68
	v_min_u32_e32 v73, 32, v70
	v_subrev_u32_e32 v70, 28, v73
	v_lshlrev_b64 v[70:71], v70, v[14:15]
	v_lshrrev_b32_e32 v72, 3, v69
	v_sub_u32_e32 v14, 29, v73
	v_and_b32_e32 v70, 7, v70
	v_cmp_gt_u32_e64 s[4:5], 8, v69
	v_cndmask_b32_e64 v14, v72, v14, s[4:5]
	v_cndmask_b32_e64 v68, v68, v70, s[4:5]
	v_lshlrev_b32_e32 v12, 16, v12
	v_lshlrev_b32_e32 v68, 20, v68
	v_and_b32_e32 v12, 0x80000000, v12
	v_lshl_add_u32 v14, v14, 23, v45
	v_or3_b32 v68, v12, v14, v68
.LBB363_224:                            ;   in Loop: Header=BB363_10 Depth=1
	s_or_b64 exec, exec, s[42:43]
.LBB363_225:                            ;   in Loop: Header=BB363_10 Depth=1
	s_or_b64 exec, exec, s[40:41]
.LBB363_226:                            ;   in Loop: Header=BB363_10 Depth=1
	s_or_b64 exec, exec, s[16:17]
	v_mul_f32_e32 v12, s47, v68
	v_and_b32_e32 v14, 0x7f800000, v12
	v_cmp_ne_u32_e64 s[4:5], s51, v14
                                        ; implicit-def: $vgpr14
	s_and_saveexec_b64 s[16:17], s[4:5]
	s_xor_b64 s[4:5], exec, s[16:17]
; %bb.227:                              ;   in Loop: Header=BB363_10 Depth=1
	v_bfe_u32 v14, v12, 16, 1
	v_add3_u32 v14, v12, v14, s52
                                        ; implicit-def: $vgpr12
; %bb.228:                              ;   in Loop: Header=BB363_10 Depth=1
	s_andn2_saveexec_b64 s[16:17], s[4:5]
; %bb.229:                              ;   in Loop: Header=BB363_10 Depth=1
	v_or_b32_e32 v14, 0x10000, v12
	v_cmp_eq_u32_sdwa s[4:5], v12, v1 src0_sel:WORD_0 src1_sel:DWORD
	v_cndmask_b32_e64 v14, v14, v12, s[4:5]
; %bb.230:                              ;   in Loop: Header=BB363_10 Depth=1
	s_or_b64 exec, exec, s[16:17]
	global_load_ushort v9, v[8:9], off offset:1288
	s_waitcnt vmcnt(0)
	v_and_b32_e32 v8, 0xffff, v9
	v_cmp_ne_u16_sdwa s[4:5], v9, v1 src0_sel:BYTE_0 src1_sel:DWORD
	v_mov_b32_e32 v9, 0
	s_and_saveexec_b64 s[16:17], s[4:5]
	s_cbranch_execz .LBB363_236
; %bb.231:                              ;   in Loop: Header=BB363_10 Depth=1
	v_cmp_ne_u16_sdwa s[4:5], v8, s49 src0_sel:BYTE_0 src1_sel:DWORD
	v_bfrev_b32_e32 v9, 1
	s_and_saveexec_b64 s[40:41], s[4:5]
	s_cbranch_execz .LBB363_235
; %bb.232:                              ;   in Loop: Header=BB363_10 Depth=1
	v_and_b32_e32 v12, 0x7f, v8
	v_cmp_ne_u32_e64 s[4:5], s50, v12
	v_mov_b32_e32 v9, 0x7f800001
	s_and_saveexec_b64 s[42:43], s[4:5]
	s_cbranch_execz .LBB363_234
; %bb.233:                              ;   in Loop: Header=BB363_10 Depth=1
	v_and_b32_e32 v9, 7, v8
	v_ffbh_u32_e32 v68, v9
	v_min_u32_e32 v71, 32, v68
	v_subrev_u32_e32 v68, 28, v71
	v_lshlrev_b64 v[68:69], v68, v[8:9]
	v_lshrrev_b32_e32 v70, 3, v12
	v_sub_u32_e32 v69, 29, v71
	v_and_b32_e32 v68, 7, v68
	v_cmp_gt_u32_e64 s[4:5], 8, v12
	v_cndmask_b32_e64 v12, v70, v69, s[4:5]
	v_cndmask_b32_e64 v9, v9, v68, s[4:5]
	v_lshlrev_b32_e32 v68, 24, v8
	v_lshlrev_b32_e32 v9, 20, v9
	v_and_b32_e32 v68, 0x80000000, v68
	v_lshl_add_u32 v12, v12, 23, v45
	v_or3_b32 v9, v68, v12, v9
.LBB363_234:                            ;   in Loop: Header=BB363_10 Depth=1
	s_or_b64 exec, exec, s[42:43]
.LBB363_235:                            ;   in Loop: Header=BB363_10 Depth=1
	s_or_b64 exec, exec, s[40:41]
.LBB363_236:                            ;   in Loop: Header=BB363_10 Depth=1
	s_or_b64 exec, exec, s[16:17]
	v_mul_f32_e32 v12, s47, v9
	v_and_b32_e32 v9, 0x7f800000, v12
	v_cmp_ne_u32_e64 s[4:5], s51, v9
                                        ; implicit-def: $vgpr9
	s_and_saveexec_b64 s[16:17], s[4:5]
	s_xor_b64 s[4:5], exec, s[16:17]
; %bb.237:                              ;   in Loop: Header=BB363_10 Depth=1
	v_bfe_u32 v9, v12, 16, 1
	v_add3_u32 v9, v12, v9, s52
                                        ; implicit-def: $vgpr12
; %bb.238:                              ;   in Loop: Header=BB363_10 Depth=1
	s_andn2_saveexec_b64 s[16:17], s[4:5]
; %bb.239:                              ;   in Loop: Header=BB363_10 Depth=1
	v_or_b32_e32 v9, 0x10000, v12
	v_cmp_eq_u32_sdwa s[4:5], v12, v1 src0_sel:WORD_0 src1_sel:DWORD
	v_cndmask_b32_e64 v9, v9, v12, s[4:5]
; %bb.240:                              ;   in Loop: Header=BB363_10 Depth=1
	s_or_b64 exec, exec, s[16:17]
	v_lshrrev_b16_e32 v12, 8, v8
	v_cmp_ne_u16_e64 s[4:5], 0, v12
	v_mov_b32_e32 v68, 0
	s_and_saveexec_b64 s[16:17], s[4:5]
	s_cbranch_execz .LBB363_246
; %bb.241:                              ;   in Loop: Header=BB363_10 Depth=1
	v_cmp_ne_u16_e64 s[4:5], s49, v12
	v_bfrev_b32_e32 v68, 1
	s_and_saveexec_b64 s[40:41], s[4:5]
	s_cbranch_execz .LBB363_245
; %bb.242:                              ;   in Loop: Header=BB363_10 Depth=1
	v_and_b32_e32 v69, 0x7f, v12
	v_cmp_ne_u32_e64 s[4:5], s50, v69
	v_mov_b32_e32 v68, 0x7f800001
	s_and_saveexec_b64 s[42:43], s[4:5]
	s_cbranch_execz .LBB363_244
; %bb.243:                              ;   in Loop: Header=BB363_10 Depth=1
	v_and_b32_e32 v68, 7, v12
	v_ffbh_u32_e32 v70, v68
	v_min_u32_e32 v73, 32, v70
	v_subrev_u32_e32 v70, 28, v73
	v_lshlrev_b64 v[70:71], v70, v[12:13]
	v_lshrrev_b32_e32 v72, 3, v69
	v_sub_u32_e32 v12, 29, v73
	v_and_b32_e32 v70, 7, v70
	v_cmp_gt_u32_e64 s[4:5], 8, v69
	v_cndmask_b32_e64 v12, v72, v12, s[4:5]
	v_cndmask_b32_e64 v68, v68, v70, s[4:5]
	v_lshlrev_b32_e32 v8, 16, v8
	v_lshlrev_b32_e32 v68, 20, v68
	v_and_b32_e32 v8, 0x80000000, v8
	v_lshl_add_u32 v12, v12, 23, v45
	v_or3_b32 v68, v8, v12, v68
.LBB363_244:                            ;   in Loop: Header=BB363_10 Depth=1
	s_or_b64 exec, exec, s[42:43]
.LBB363_245:                            ;   in Loop: Header=BB363_10 Depth=1
	s_or_b64 exec, exec, s[40:41]
.LBB363_246:                            ;   in Loop: Header=BB363_10 Depth=1
	s_or_b64 exec, exec, s[16:17]
	v_mul_f32_e32 v12, s47, v68
	v_and_b32_e32 v8, 0x7f800000, v12
	v_cmp_ne_u32_e64 s[4:5], s51, v8
                                        ; implicit-def: $vgpr8
	s_and_saveexec_b64 s[16:17], s[4:5]
	s_xor_b64 s[4:5], exec, s[16:17]
; %bb.247:                              ;   in Loop: Header=BB363_10 Depth=1
	v_bfe_u32 v8, v12, 16, 1
	v_add3_u32 v8, v12, v8, s52
                                        ; implicit-def: $vgpr12
; %bb.248:                              ;   in Loop: Header=BB363_10 Depth=1
	s_andn2_saveexec_b64 s[16:17], s[4:5]
; %bb.249:                              ;   in Loop: Header=BB363_10 Depth=1
	v_or_b32_e32 v8, 0x10000, v12
	v_cmp_eq_u32_sdwa s[4:5], v12, v1 src0_sel:WORD_0 src1_sel:DWORD
	v_cndmask_b32_e64 v8, v8, v12, s[4:5]
; %bb.250:                              ;   in Loop: Header=BB363_10 Depth=1
	s_or_b64 exec, exec, s[16:17]
	v_and_b32_e32 v49, 0xffff0000, v49
	v_and_b32_e32 v50, 0xffff0000, v50
	;; [unrolled: 1-line block ×3, first 2 shown]
	v_mul_f32_e32 v49, v18, v49
	v_and_b32_e32 v48, 0xffff0000, v48
	v_fmac_f32_e32 v49, v16, v47
	v_mul_f32_e32 v47, v19, v50
	v_and_b32_e32 v52, 0xffff0000, v52
	v_and_b32_e32 v51, 0xffff0000, v51
	v_fmac_f32_e32 v47, v17, v48
	v_and_b32_e32 v54, 0xffff0000, v54
	v_and_b32_e32 v53, 0xffff0000, v53
	v_fmac_f32_e32 v49, v20, v51
	v_fmac_f32_e32 v47, v21, v52
	v_and_b32_e32 v56, 0xffff0000, v56
	v_and_b32_e32 v55, 0xffff0000, v55
	v_fmac_f32_e32 v49, v22, v53
	;; [unrolled: 4-line block ×9, first 2 shown]
	v_fmac_f32_e32 v47, v37, v12
	v_fmac_f32_e32 v49, v38, v9
	;; [unrolled: 1-line block ×3, first 2 shown]
	v_add_f32_e32 v8, v49, v47
	ds_bpermute_b32 v9, v41, v8
	s_waitcnt lgkmcnt(0)
	v_add_f32_e32 v8, v8, v9
	ds_bpermute_b32 v9, v42, v8
	s_and_saveexec_b64 s[16:17], vcc
	s_cbranch_execz .LBB363_9
; %bb.251:                              ;   in Loop: Header=BB363_10 Depth=1
	v_add_u32_e32 v12, s48, v43
	v_cvt_f32_i32_e32 v12, v12
	s_waitcnt lgkmcnt(0)
	v_add_f32_e32 v8, v8, v9
	v_cmp_gt_i32_e64 s[4:5], s33, v43
	v_max_f32_e32 v9, v40, v40
	v_mul_f32_e32 v12, s10, v12
	v_cndmask_b32_e64 v12, 0, v12, s[2:3]
	v_fmac_f32_e32 v12, s11, v8
	v_cndmask_b32_e64 v8, 0, v12, s[4:5]
	ds_write_b32 v44, v8
	v_max_f32_e32 v8, v9, v12
	v_cndmask_b32_e64 v40, v40, v8, s[4:5]
	s_branch .LBB363_9
.LBB363_252:
	s_or_b64 exec, exec, s[14:15]
.LBB363_253:
	s_or_b64 exec, exec, s[38:39]
	v_xor_b32_e32 v1, 32, v13
	v_cmp_lt_i32_e32 vcc, v1, v15
	v_cndmask_b32_e32 v1, v13, v1, vcc
	v_lshlrev_b32_e32 v2, 2, v1
	ds_bpermute_b32 v1, v2, v40
	v_xor_b32_e32 v4, 16, v13
	v_max_f32_e32 v3, v40, v40
	v_cmp_lt_i32_e32 vcc, v4, v15
	v_xor_b32_e32 v6, 8, v13
	s_waitcnt lgkmcnt(0)
	v_max_f32_e32 v1, v1, v1
	v_max_f32_e32 v1, v3, v1
	v_cndmask_b32_e32 v3, v13, v4, vcc
	v_lshlrev_b32_e32 v3, 2, v3
	ds_bpermute_b32 v4, v3, v1
	v_cmp_lt_i32_e32 vcc, v6, v15
	s_waitcnt lgkmcnt(0)
	v_max_f32_e32 v4, v4, v4
	v_max_f32_e32 v1, v1, v4
	v_cndmask_b32_e32 v4, v13, v6, vcc
	v_lshlrev_b32_e32 v8, 2, v4
	ds_bpermute_b32 v4, v8, v1
	v_xor_b32_e32 v6, 4, v13
	v_cmp_lt_i32_e32 vcc, v6, v15
	s_waitcnt lgkmcnt(0)
	v_max_f32_e32 v4, v4, v4
	v_max_f32_e32 v4, v1, v4
	v_cndmask_b32_e32 v1, v13, v6, vcc
	v_lshlrev_b32_e32 v9, 2, v1
	ds_bpermute_b32 v7, v9, v4
	v_and_b32_e32 v1, 63, v0
	v_cmp_eq_u32_e32 vcc, 0, v1
	v_lshlrev_b32_e32 v6, 2, v5
	s_and_saveexec_b64 s[2:3], vcc
	s_cbranch_execz .LBB363_255
; %bb.254:
	s_waitcnt lgkmcnt(0)
	v_max_f32_e32 v7, v7, v7
	v_max_f32_e32 v4, v4, v4
	v_max_f32_e32 v4, v4, v7
	ds_write_b32 v6, v4 offset:192
.LBB363_255:
	s_or_b64 exec, exec, s[2:3]
	v_cmp_gt_u32_e64 s[2:3], 2, v1
	v_mov_b32_e32 v4, 0xff7fffff
	s_waitcnt lgkmcnt(0)
	v_lshlrev_b32_e32 v7, 2, v1
	s_barrier
	s_and_saveexec_b64 s[4:5], s[2:3]
	s_cbranch_execz .LBB363_257
; %bb.256:
	ds_read_b32 v4, v7 offset:192
.LBB363_257:
	s_or_b64 exec, exec, s[4:5]
	v_xor_b32_e32 v12, 1, v13
	v_cmp_lt_i32_e64 s[4:5], v12, v15
	v_cndmask_b32_e64 v12, v13, v12, s[4:5]
	v_lshlrev_b32_e32 v20, 2, v12
	s_waitcnt lgkmcnt(0)
	ds_bpermute_b32 v12, v20, v4
	v_max_f32_e32 v4, v4, v4
	s_sub_i32 s4, s44, s9
	s_lshl_b32 s4, s4, 4
	s_add_i32 s4, s4, s45
	s_waitcnt lgkmcnt(0)
	v_max_f32_e32 v12, v12, v12
	v_max_f32_e32 v4, v4, v12
	v_lshlrev_b32_e32 v12, 2, v13
	v_and_b32_e32 v12, 0xffffff00, v12
	ds_bpermute_b32 v4, v12, v4
	s_min_i32 s38, s4, s33
	s_sub_i32 s9, s38, s45
	v_cmp_gt_i32_e64 s[4:5], s9, v0
	v_mov_b32_e32 v14, 0
	s_and_saveexec_b64 s[14:15], s[4:5]
	s_cbranch_execz .LBB363_261
; %bb.258:
	v_mov_b32_e32 v14, 0xd0
	v_lshl_add_u32 v16, v0, 2, v14
	s_mov_b64 s[16:17], 0
	v_mov_b32_e32 v14, 0
	v_mov_b32_e32 v17, v0
.LBB363_259:                            ; =>This Inner Loop Header: Depth=1
	ds_read_b32 v18, v16
	v_add_u32_e32 v17, 0x80, v17
	v_cmp_le_i32_e64 s[10:11], s9, v17
	s_or_b64 s[16:17], s[10:11], s[16:17]
	s_waitcnt lgkmcnt(0)
	v_sub_f32_e32 v18, v18, v4
	v_mul_f32_e32 v18, 0x3fb8aa3b, v18
	v_exp_f32_e32 v18, v18
	ds_write_b32 v16, v18
	v_add_f32_e32 v14, v14, v18
	v_add_u32_e32 v16, 0x200, v16
	s_andn2_b64 exec, exec, s[16:17]
	s_cbranch_execnz .LBB363_259
; %bb.260:
	s_or_b64 exec, exec, s[16:17]
.LBB363_261:
	s_or_b64 exec, exec, s[14:15]
	ds_bpermute_b32 v2, v2, v14
	s_waitcnt lgkmcnt(0)
	v_add_f32_e32 v2, v14, v2
	ds_bpermute_b32 v3, v3, v2
	s_waitcnt lgkmcnt(0)
	v_add_f32_e32 v2, v2, v3
	ds_bpermute_b32 v3, v8, v2
	v_xor_b32_e32 v8, 2, v13
	v_cmp_lt_i32_e64 s[10:11], v8, v15
	v_cndmask_b32_e64 v8, v13, v8, s[10:11]
	s_waitcnt lgkmcnt(0)
	v_add_f32_e32 v2, v2, v3
	ds_bpermute_b32 v3, v9, v2
	s_waitcnt lgkmcnt(0)
	v_add_f32_e32 v2, v2, v3
	v_lshlrev_b32_e32 v3, 2, v8
	ds_bpermute_b32 v3, v3, v2
	s_waitcnt lgkmcnt(0)
	v_add_f32_e32 v2, v2, v3
	ds_bpermute_b32 v3, v20, v2
	s_waitcnt lgkmcnt(0)
	v_add_f32_e32 v2, v2, v3
	s_and_saveexec_b64 s[10:11], vcc
	s_cbranch_execz .LBB363_263
; %bb.262:
	ds_write_b32 v6, v2 offset:200
.LBB363_263:
	s_or_b64 exec, exec, s[10:11]
	s_waitcnt lgkmcnt(0)
	s_barrier
	s_and_saveexec_b64 s[10:11], s[2:3]
	s_cbranch_execz .LBB363_265
; %bb.264:
	ds_read_b32 v2, v7 offset:200
.LBB363_265:
	s_or_b64 exec, exec, s[10:11]
	s_waitcnt lgkmcnt(0)
	ds_bpermute_b32 v3, v20, v2
	s_waitcnt lgkmcnt(0)
	v_add_f32_e32 v2, v2, v3
	ds_bpermute_b32 v6, v12, v2
	s_and_saveexec_b64 s[2:3], s[4:5]
	s_cbranch_execz .LBB363_278
; %bb.266:
	s_waitcnt lgkmcnt(0)
	v_add_f32_e32 v2, 0x358637bd, v6
	v_div_scale_f32 v3, s[4:5], v2, v2, 1.0
	v_rcp_f32_e32 v7, v3
	v_div_scale_f32 v8, vcc, 1.0, v2, 1.0
	s_movk_i32 s4, 0x7f
	v_fma_f32 v9, -v3, v7, 1.0
	v_fmac_f32_e32 v7, v9, v7
	v_mul_f32_e32 v9, v8, v7
	v_fma_f32 v12, -v3, v9, v8
	v_fmac_f32_e32 v9, v12, v7
	v_fma_f32 v3, -v3, v9, v8
	v_div_fmas_f32 v3, v3, v7, v9
	v_div_fixup_f32 v2, v3, v2, 1.0
	v_xad_u32 v3, v0, -1, s38
	v_subrev_u32_e32 v7, s45, v3
	v_cmp_lt_u32_e32 vcc, s4, v7
	s_mov_b64 s[10:11], -1
	v_mov_b32_e32 v3, v0
	s_and_saveexec_b64 s[4:5], vcc
	s_cbranch_execz .LBB363_275
; %bb.267:
	v_lshrrev_b32_e32 v7, 7, v7
	v_add_u32_e32 v9, -1, v7
	v_lshrrev_b32_e32 v8, 1, v9
	v_mov_b32_e32 v3, v2
	v_add_u32_e32 v8, 1, v8
	v_cmp_lt_u32_e32 vcc, 13, v9
	v_mov_b32_e32 v13, 0
	s_and_saveexec_b64 s[10:11], vcc
	s_cbranch_execz .LBB363_271
; %bb.268:
	v_mov_b32_e32 v12, 0xd0
	v_and_b32_e32 v9, -8, v8
	v_lshl_add_u32 v12, v0, 2, v12
	s_mov_b32 s16, 0
	s_mov_b64 s[14:15], 0
.LBB363_269:                            ; =>This Inner Loop Header: Depth=1
	ds_read2st64_b32 v[14:15], v12 offset1:2
	ds_read2st64_b32 v[16:17], v12 offset0:4 offset1:6
	ds_read2st64_b32 v[18:19], v12 offset0:8 offset1:10
	;; [unrolled: 1-line block ×3, first 2 shown]
	v_add_u32_e32 v9, -8, v9
	s_waitcnt lgkmcnt(3)
	v_pk_mul_f32 v[14:15], v[2:3], v[14:15]
	s_waitcnt lgkmcnt(2)
	v_pk_mul_f32 v[16:17], v[2:3], v[16:17]
	ds_write2st64_b32 v12, v14, v15 offset1:2
	ds_write2st64_b32 v12, v16, v17 offset0:4 offset1:6
	ds_read2st64_b32 v[16:17], v12 offset0:16 offset1:18
	s_waitcnt lgkmcnt(4)
	v_pk_mul_f32 v[14:15], v[2:3], v[18:19]
	ds_write2st64_b32 v12, v14, v15 offset0:8 offset1:10
	s_waitcnt lgkmcnt(4)
	v_pk_mul_f32 v[14:15], v[2:3], v[22:23]
	ds_write2st64_b32 v12, v14, v15 offset0:12 offset1:14
	ds_read2st64_b32 v[14:15], v12 offset0:20 offset1:22
	s_waitcnt lgkmcnt(3)
	v_pk_mul_f32 v[16:17], v[2:3], v[16:17]
	ds_read2st64_b32 v[18:19], v12 offset0:24 offset1:26
	ds_write2st64_b32 v12, v16, v17 offset0:16 offset1:18
	ds_read2st64_b32 v[16:17], v12 offset0:28 offset1:30
	s_waitcnt lgkmcnt(3)
	v_pk_mul_f32 v[14:15], v[2:3], v[14:15]
	ds_write2st64_b32 v12, v14, v15 offset0:20 offset1:22
	s_waitcnt lgkmcnt(3)
	v_pk_mul_f32 v[14:15], v[2:3], v[18:19]
	ds_write2st64_b32 v12, v14, v15 offset0:24 offset1:26
	s_waitcnt lgkmcnt(2)
	v_pk_mul_f32 v[14:15], v[2:3], v[16:17]
	s_add_i32 s16, s16, 16
	v_cmp_eq_u32_e32 vcc, 0, v9
	ds_write2st64_b32 v12, v14, v15 offset0:28 offset1:30
	v_add_u32_e32 v12, 0x2000, v12
	s_or_b64 s[14:15], vcc, s[14:15]
	v_mov_b32_e32 v13, s16
	s_andn2_b64 exec, exec, s[14:15]
	s_cbranch_execnz .LBB363_269
; %bb.270:
	s_or_b64 exec, exec, s[14:15]
.LBB363_271:
	s_or_b64 exec, exec, s[10:11]
	v_and_b32_e32 v8, 7, v8
	v_cmp_ne_u32_e32 vcc, 0, v8
	s_and_saveexec_b64 s[10:11], vcc
	s_cbranch_execz .LBB363_274
; %bb.272:
	v_lshlrev_b32_e32 v9, 9, v13
	v_lshlrev_b32_e32 v12, 2, v0
	s_movk_i32 s14, 0xd0
	v_add3_u32 v9, v9, v12, s14
	s_mov_b64 s[14:15], 0
.LBB363_273:                            ; =>This Inner Loop Header: Depth=1
	ds_read2st64_b32 v[12:13], v9 offset1:2
	v_add_u32_e32 v8, -1, v8
	v_cmp_eq_u32_e32 vcc, 0, v8
	s_or_b64 s[14:15], vcc, s[14:15]
	s_waitcnt lgkmcnt(0)
	v_pk_mul_f32 v[12:13], v[2:3], v[12:13]
	ds_write2st64_b32 v9, v12, v13 offset1:2
	v_add_u32_e32 v9, 0x400, v9
	s_andn2_b64 exec, exec, s[14:15]
	s_cbranch_execnz .LBB363_273
.LBB363_274:
	s_or_b64 exec, exec, s[10:11]
	v_add_u32_e32 v7, 1, v7
	v_and_b32_e32 v8, 0x3fffffe, v7
	v_cmp_ne_u32_e32 vcc, v7, v8
	v_lshl_add_u32 v3, v8, 7, v0
	s_orn2_b64 s[10:11], vcc, exec
.LBB363_275:
	s_or_b64 exec, exec, s[4:5]
	s_and_b64 exec, exec, s[10:11]
	s_cbranch_execz .LBB363_278
; %bb.276:
	v_mov_b32_e32 v7, 0xd0
	v_lshl_add_u32 v7, v3, 2, v7
	s_mov_b64 s[4:5], 0
.LBB363_277:                            ; =>This Inner Loop Header: Depth=1
	ds_read_b32 v8, v7
	v_add_u32_e32 v3, 0x80, v3
	v_cmp_le_i32_e32 vcc, s9, v3
	s_or_b64 s[4:5], vcc, s[4:5]
	s_waitcnt lgkmcnt(0)
	v_mul_f32_e32 v8, v2, v8
	ds_write_b32 v7, v8
	v_add_u32_e32 v7, 0x200, v7
	s_andn2_b64 exec, exec, s[4:5]
	s_cbranch_execnz .LBB363_277
.LBB363_278:
	s_or_b64 exec, exec, s[2:3]
	v_cmp_eq_u32_e32 vcc, 0, v0
	s_waitcnt lgkmcnt(0)
	s_barrier
	s_and_saveexec_b64 s[2:3], vcc
	s_cbranch_execz .LBB363_280
; %bb.279:
	s_mul_i32 s4, s27, s24
	s_mul_i32 s4, s4, s25
	s_ashr_i32 s5, s4, 31
	s_lshl_b64 s[4:5], s[4:5], 2
	s_add_u32 s9, s22, s4
	s_mul_i32 s10, s27, s6
	s_addc_u32 s14, s23, s5
	s_ashr_i32 s11, s10, 31
	s_lshl_b64 s[10:11], s[10:11], 2
	s_add_u32 s6, s9, s10
	s_addc_u32 s17, s14, s11
	s_ashr_i32 s9, s8, 31
	s_lshl_b64 s[14:15], s[8:9], 2
	s_add_u32 s16, s6, s14
	s_addc_u32 s17, s17, s15
	s_add_u32 s4, s20, s4
	s_addc_u32 s5, s21, s5
	;; [unrolled: 2-line block ×3, first 2 shown]
	s_add_u32 s4, s4, s14
	v_mov_b32_e32 v2, 0
	s_addc_u32 s5, s5, s15
	global_store_dword v2, v4, s[16:17]
	global_store_dword v2, v6, s[4:5]
.LBB363_280:
	s_or_b64 exec, exec, s[2:3]
	v_mov_b32_e32 v22, 0
	v_and_b32_e32 v21, 1, v0
	v_mov_b32_e32 v17, 0
	v_mov_b32_e32 v16, 0
	s_and_saveexec_b64 s[2:3], s[0:1]
	s_cbranch_execz .LBB363_658
; %bb.281:
	v_lshlrev_b32_e32 v2, 3, v0
	s_ashr_i32 s0, s12, 31
	v_and_b32_e32 v3, 8, v2
	s_add_u32 s1, s36, s12
	v_and_b32_e32 v2, 0x1f8, v2
	s_addc_u32 s0, s37, s0
	v_add_co_u32_e32 v14, vcc, s1, v2
	v_lshl_add_u32 v2, v5, 4, s45
	s_load_dword s16, s[18:19], 0x0
	s_add_i32 s17, s7, -1
	v_mov_b32_e32 v4, s0
	v_add3_u32 v23, v2, v3, 7
	v_lshlrev_b32_e32 v2, 5, v21
	s_lshl_b64 s[0:1], s[34:35], 2
	v_lshl_or_b32 v2, v5, 6, v2
	s_add_u32 s0, s30, s0
	v_addc_co_u32_e32 v15, vcc, 0, v4, vcc
	v_add_u32_e32 v24, 0xd0, v2
	v_lshlrev_b64 v[2:3], 2, v[10:11]
	s_addc_u32 s1, s31, s1
	s_mov_b32 s4, -1
	v_mov_b32_e32 v4, s1
	v_add_co_u32_e32 v18, vcc, s0, v2
	s_mov_b32 s9, s13
	s_mov_b32 s5, 0xffffff
	v_mov_b32_e32 v13, 0
	v_addc_co_u32_e32 v19, vcc, v4, v3, vcc
	s_mov_b64 s[6:7], 0
	s_mov_b32 s18, 0x7f800000
	s_movk_i32 s19, 0x7fff
	s_movk_i32 s20, 0x80
	;; [unrolled: 1-line block ×3, first 2 shown]
	v_bfrev_b32_e32 v11, 60
	v_mov_b32_e32 v16, 0
	v_mov_b32_e32 v17, 0
	;; [unrolled: 1-line block ×3, first 2 shown]
	s_branch .LBB363_283
.LBB363_282:                            ;   in Loop: Header=BB363_283 Depth=1
	s_or_b64 exec, exec, s[0:1]
	v_and_b32_e32 v35, 0xffff0000, v36
	v_and_b32_e32 v37, 0xffff0000, v25
	;; [unrolled: 1-line block ×8, first 2 shown]
	v_pk_add_f32 v[8:9], v[8:9], v[36:37]
	v_pk_add_f32 v[26:27], v[26:27], v[34:35]
	v_add_f32_e32 v7, v8, v9
	v_add_f32_e32 v7, v7, v26
	v_add_f32_e32 v7, v7, v27
	v_add_f32_e32 v16, v16, v7
	v_and_b32_e32 v7, 0xffff0000, v46
	v_and_b32_e32 v6, 0xffff0000, v6
	;; [unrolled: 1-line block ×8, first 2 shown]
	v_pk_add_f32 v[6:7], v[34:35], v[6:7]
	v_pk_add_f32 v[8:9], v[26:27], v[8:9]
	v_add_f32_e32 v5, v6, v7
	v_add_f32_e32 v5, v5, v8
	;; [unrolled: 1-line block ×4, first 2 shown]
	v_and_b32_e32 v7, 0xffff0000, v3
	v_and_b32_e32 v5, 0xffff0000, v30
	;; [unrolled: 1-line block ×8, first 2 shown]
	v_pk_add_f32 v[2:3], v[2:3], v[4:5]
	v_pk_add_f32 v[4:5], v[8:9], v[6:7]
	v_add_f32_e32 v2, v2, v3
	v_add_u32_e32 v10, 2, v10
	v_add_f32_e32 v2, v2, v4
	v_cmp_le_i32_e32 vcc, s44, v10
	v_add_f32_e32 v2, v2, v5
	s_or_b64 s[6:7], vcc, s[6:7]
	v_add_co_u32_e32 v18, vcc, 8, v18
	v_add_f32_e32 v22, v22, v2
	v_add_u32_e32 v23, 32, v23
	v_add_u32_e32 v24, 0x80, v24
	v_addc_co_u32_e32 v19, vcc, 0, v19, vcc
	s_andn2_b64 exec, exec, s[6:7]
	s_cbranch_execz .LBB363_657
.LBB363_283:                            ; =>This Inner Loop Header: Depth=1
	global_load_dword v12, v[18:19], off
	ds_read2_b64 v[6:9], v24 offset1:1
	ds_read2_b64 v[2:5], v24 offset0:2 offset1:3
                                        ; implicit-def: $vgpr37
	s_waitcnt lgkmcnt(0)
	v_and_b32_e32 v25, 0x7f800000, v6
	v_cmp_ne_u32_e32 vcc, s18, v25
	s_and_saveexec_b64 s[0:1], vcc
	s_xor_b64 s[0:1], exec, s[0:1]
; %bb.284:                              ;   in Loop: Header=BB363_283 Depth=1
	v_bfe_u32 v25, v6, 16, 1
	v_add3_u32 v37, v6, v25, s19
; %bb.285:                              ;   in Loop: Header=BB363_283 Depth=1
	s_andn2_saveexec_b64 s[0:1], s[0:1]
; %bb.286:                              ;   in Loop: Header=BB363_283 Depth=1
	v_or_b32_e32 v25, 0x10000, v6
	v_cmp_eq_u32_sdwa vcc, v6, v13 src0_sel:WORD_0 src1_sel:DWORD
	v_cndmask_b32_e32 v37, v25, v6, vcc
; %bb.287:                              ;   in Loop: Header=BB363_283 Depth=1
	s_or_b64 exec, exec, s[0:1]
	v_and_b32_e32 v6, 0x7f800000, v7
	v_cmp_ne_u32_e32 vcc, s18, v6
                                        ; implicit-def: $vgpr38
	s_and_saveexec_b64 s[0:1], vcc
	s_xor_b64 s[0:1], exec, s[0:1]
; %bb.288:                              ;   in Loop: Header=BB363_283 Depth=1
	v_bfe_u32 v6, v7, 16, 1
	v_add3_u32 v38, v7, v6, s19
; %bb.289:                              ;   in Loop: Header=BB363_283 Depth=1
	s_andn2_saveexec_b64 s[0:1], s[0:1]
; %bb.290:                              ;   in Loop: Header=BB363_283 Depth=1
	v_or_b32_e32 v6, 0x10000, v7
	v_cmp_eq_u32_sdwa vcc, v7, v13 src0_sel:WORD_0 src1_sel:DWORD
	v_cndmask_b32_e32 v38, v6, v7, vcc
; %bb.291:                              ;   in Loop: Header=BB363_283 Depth=1
	s_or_b64 exec, exec, s[0:1]
	v_and_b32_e32 v6, 0x7f800000, v8
	v_cmp_ne_u32_e32 vcc, s18, v6
                                        ; implicit-def: $vgpr39
	s_and_saveexec_b64 s[0:1], vcc
	s_xor_b64 s[0:1], exec, s[0:1]
; %bb.292:                              ;   in Loop: Header=BB363_283 Depth=1
	v_bfe_u32 v6, v8, 16, 1
	v_add3_u32 v39, v8, v6, s19
; %bb.293:                              ;   in Loop: Header=BB363_283 Depth=1
	s_andn2_saveexec_b64 s[0:1], s[0:1]
; %bb.294:                              ;   in Loop: Header=BB363_283 Depth=1
	v_or_b32_e32 v6, 0x10000, v8
	v_cmp_eq_u32_sdwa vcc, v8, v13 src0_sel:WORD_0 src1_sel:DWORD
	v_cndmask_b32_e32 v39, v6, v8, vcc
; %bb.295:                              ;   in Loop: Header=BB363_283 Depth=1
	s_or_b64 exec, exec, s[0:1]
	v_and_b32_e32 v6, 0x7f800000, v9
	v_cmp_ne_u32_e32 vcc, s18, v6
                                        ; implicit-def: $vgpr25
	s_and_saveexec_b64 s[0:1], vcc
	s_xor_b64 s[0:1], exec, s[0:1]
; %bb.296:                              ;   in Loop: Header=BB363_283 Depth=1
	v_bfe_u32 v6, v9, 16, 1
	v_add3_u32 v25, v9, v6, s19
                                        ; implicit-def: $vgpr6_vgpr7_vgpr8_vgpr9
; %bb.297:                              ;   in Loop: Header=BB363_283 Depth=1
	s_andn2_saveexec_b64 s[0:1], s[0:1]
; %bb.298:                              ;   in Loop: Header=BB363_283 Depth=1
	v_or_b32_e32 v6, 0x10000, v9
	v_cmp_eq_u32_sdwa vcc, v9, v13 src0_sel:WORD_0 src1_sel:DWORD
	v_cndmask_b32_e32 v25, v6, v9, vcc
; %bb.299:                              ;   in Loop: Header=BB363_283 Depth=1
	s_or_b64 exec, exec, s[0:1]
	v_and_b32_e32 v6, 0x7f800000, v2
	v_cmp_ne_u32_e32 vcc, s18, v6
                                        ; implicit-def: $vgpr26
	s_and_saveexec_b64 s[0:1], vcc
	s_xor_b64 s[0:1], exec, s[0:1]
; %bb.300:                              ;   in Loop: Header=BB363_283 Depth=1
	v_bfe_u32 v6, v2, 16, 1
	v_add3_u32 v26, v2, v6, s19
; %bb.301:                              ;   in Loop: Header=BB363_283 Depth=1
	s_andn2_saveexec_b64 s[0:1], s[0:1]
; %bb.302:                              ;   in Loop: Header=BB363_283 Depth=1
	v_or_b32_e32 v6, 0x10000, v2
	v_cmp_eq_u32_sdwa vcc, v2, v13 src0_sel:WORD_0 src1_sel:DWORD
	v_cndmask_b32_e32 v26, v6, v2, vcc
; %bb.303:                              ;   in Loop: Header=BB363_283 Depth=1
	s_or_b64 exec, exec, s[0:1]
	v_and_b32_e32 v2, 0x7f800000, v3
	v_cmp_ne_u32_e32 vcc, s18, v2
                                        ; implicit-def: $vgpr27
	s_and_saveexec_b64 s[0:1], vcc
	s_xor_b64 s[0:1], exec, s[0:1]
; %bb.304:                              ;   in Loop: Header=BB363_283 Depth=1
	v_bfe_u32 v2, v3, 16, 1
	v_add3_u32 v27, v3, v2, s19
; %bb.305:                              ;   in Loop: Header=BB363_283 Depth=1
	s_andn2_saveexec_b64 s[0:1], s[0:1]
; %bb.306:                              ;   in Loop: Header=BB363_283 Depth=1
	v_or_b32_e32 v2, 0x10000, v3
	v_cmp_eq_u32_sdwa vcc, v3, v13 src0_sel:WORD_0 src1_sel:DWORD
	v_cndmask_b32_e32 v27, v2, v3, vcc
; %bb.307:                              ;   in Loop: Header=BB363_283 Depth=1
	s_or_b64 exec, exec, s[0:1]
	v_and_b32_e32 v2, 0x7f800000, v4
	v_cmp_ne_u32_e32 vcc, s18, v2
                                        ; implicit-def: $vgpr28
	s_and_saveexec_b64 s[0:1], vcc
	s_xor_b64 s[0:1], exec, s[0:1]
; %bb.308:                              ;   in Loop: Header=BB363_283 Depth=1
	v_bfe_u32 v2, v4, 16, 1
	v_add3_u32 v28, v4, v2, s19
; %bb.309:                              ;   in Loop: Header=BB363_283 Depth=1
	s_andn2_saveexec_b64 s[0:1], s[0:1]
; %bb.310:                              ;   in Loop: Header=BB363_283 Depth=1
	v_or_b32_e32 v2, 0x10000, v4
	v_cmp_eq_u32_sdwa vcc, v4, v13 src0_sel:WORD_0 src1_sel:DWORD
	v_cndmask_b32_e32 v28, v2, v4, vcc
; %bb.311:                              ;   in Loop: Header=BB363_283 Depth=1
	s_or_b64 exec, exec, s[0:1]
	v_and_b32_e32 v2, 0x7f800000, v5
	v_cmp_ne_u32_e32 vcc, s18, v2
                                        ; implicit-def: $vgpr36
	s_and_saveexec_b64 s[0:1], vcc
	s_xor_b64 s[0:1], exec, s[0:1]
; %bb.312:                              ;   in Loop: Header=BB363_283 Depth=1
	v_bfe_u32 v2, v5, 16, 1
	v_add3_u32 v36, v5, v2, s19
                                        ; implicit-def: $vgpr2_vgpr3_vgpr4_vgpr5
; %bb.313:                              ;   in Loop: Header=BB363_283 Depth=1
	s_andn2_saveexec_b64 s[0:1], s[0:1]
; %bb.314:                              ;   in Loop: Header=BB363_283 Depth=1
	v_or_b32_e32 v2, 0x10000, v5
	v_cmp_eq_u32_sdwa vcc, v5, v13 src0_sel:WORD_0 src1_sel:DWORD
	v_cndmask_b32_e32 v36, v2, v5, vcc
; %bb.315:                              ;   in Loop: Header=BB363_283 Depth=1
	s_or_b64 exec, exec, s[0:1]
	s_waitcnt vmcnt(0)
	v_mad_i64_i32 v[2:3], s[0:1], v12, s9, v[14:15]
	global_load_dwordx2 v[4:5], v[2:3], off
	v_mov_b32_e32 v6, 0
	s_waitcnt vmcnt(0)
	v_cmp_ne_u16_sdwa s[10:11], v4, v13 src0_sel:BYTE_0 src1_sel:DWORD
	s_and_saveexec_b64 s[0:1], s[10:11]
	s_cbranch_execz .LBB363_321
; %bb.316:                              ;   in Loop: Header=BB363_283 Depth=1
	v_cmp_ne_u16_sdwa s[12:13], v4, s20 src0_sel:BYTE_0 src1_sel:DWORD
	v_bfrev_b32_e32 v6, 1
	s_and_saveexec_b64 s[10:11], s[12:13]
	s_cbranch_execz .LBB363_320
; %bb.317:                              ;   in Loop: Header=BB363_283 Depth=1
	v_and_b32_e32 v7, 0x7f, v4
	v_cmp_ne_u32_e32 vcc, s21, v7
	v_mov_b32_e32 v6, 0x7f800001
	s_and_saveexec_b64 s[12:13], vcc
	s_cbranch_execz .LBB363_319
; %bb.318:                              ;   in Loop: Header=BB363_283 Depth=1
	v_and_b32_e32 v6, 7, v4
	v_ffbh_u32_e32 v6, v6
	v_min_u32_e32 v6, 32, v6
	v_lshrrev_b32_e32 v8, 3, v7
	v_subrev_u32_e32 v9, 28, v6
	v_sub_u32_e32 v6, 29, v6
	v_cmp_gt_u32_e32 vcc, 8, v7
	v_cndmask_b32_e32 v8, v8, v6, vcc
	v_cndmask_b32_e32 v6, 0, v9, vcc
	v_lshlrev_b64 v[6:7], v6, v[4:5]
	v_lshlrev_b32_e32 v6, 20, v6
	v_lshlrev_b32_e32 v7, 24, v4
	v_and_b32_e32 v6, 0x700000, v6
	v_and_b32_e32 v7, 0x80000000, v7
	v_lshl_add_u32 v8, v8, 23, v11
	v_or3_b32 v6, v7, v8, v6
.LBB363_319:                            ;   in Loop: Header=BB363_283 Depth=1
	s_or_b64 exec, exec, s[12:13]
.LBB363_320:                            ;   in Loop: Header=BB363_283 Depth=1
	s_or_b64 exec, exec, s[10:11]
.LBB363_321:                            ;   in Loop: Header=BB363_283 Depth=1
	s_or_b64 exec, exec, s[0:1]
	v_mul_f32_e32 v6, s16, v6
	v_and_b32_e32 v7, 0x7f800000, v6
	v_cmp_ne_u32_e32 vcc, s18, v7
                                        ; implicit-def: $vgpr7
	s_and_saveexec_b64 s[0:1], vcc
	s_xor_b64 s[0:1], exec, s[0:1]
; %bb.322:                              ;   in Loop: Header=BB363_283 Depth=1
	v_bfe_u32 v7, v6, 16, 1
	v_add3_u32 v7, v6, v7, s19
                                        ; implicit-def: $vgpr6
; %bb.323:                              ;   in Loop: Header=BB363_283 Depth=1
	s_andn2_saveexec_b64 s[0:1], s[0:1]
; %bb.324:                              ;   in Loop: Header=BB363_283 Depth=1
	v_or_b32_e32 v7, 0x10000, v6
	v_cmp_eq_u32_sdwa vcc, v6, v13 src0_sel:WORD_0 src1_sel:DWORD
	v_cndmask_b32_e32 v7, v7, v6, vcc
; %bb.325:                              ;   in Loop: Header=BB363_283 Depth=1
	s_or_b64 exec, exec, s[0:1]
	v_lshrrev_b16_e32 v6, 8, v4
	v_cmp_ne_u16_e32 vcc, 0, v6
	v_mov_b32_e32 v8, 0
	s_and_saveexec_b64 s[0:1], vcc
	s_cbranch_execz .LBB363_331
; %bb.326:                              ;   in Loop: Header=BB363_283 Depth=1
	v_cmp_ne_u16_e32 vcc, s20, v6
	v_bfrev_b32_e32 v8, 1
	s_and_saveexec_b64 s[10:11], vcc
	s_cbranch_execz .LBB363_330
; %bb.327:                              ;   in Loop: Header=BB363_283 Depth=1
	v_and_b32_e32 v9, 0x7f, v6
	v_cmp_ne_u32_e32 vcc, s21, v9
	v_mov_b32_e32 v8, 0x7f800001
	s_and_saveexec_b64 s[12:13], vcc
	s_cbranch_execz .LBB363_329
; %bb.328:                              ;   in Loop: Header=BB363_283 Depth=1
	v_and_b32_e32 v8, 7, v6
	v_ffbh_u32_e32 v29, v8
	v_min_u32_e32 v29, 32, v29
	v_subrev_u32_e32 v30, 28, v29
	v_lshlrev_b64 v[30:31], v30, v[6:7]
	v_lshrrev_b32_e32 v12, 3, v9
	v_sub_u32_e32 v6, 29, v29
	v_and_b32_e32 v29, 7, v30
	v_cmp_gt_u32_e32 vcc, 8, v9
	v_cndmask_b32_e32 v6, v12, v6, vcc
	v_cndmask_b32_e32 v8, v8, v29, vcc
	v_lshlrev_b32_e32 v9, 16, v4
	v_lshlrev_b32_e32 v8, 20, v8
	v_and_b32_e32 v9, 0x80000000, v9
	v_lshl_add_u32 v6, v6, 23, v11
	v_or3_b32 v8, v9, v6, v8
.LBB363_329:                            ;   in Loop: Header=BB363_283 Depth=1
	s_or_b64 exec, exec, s[12:13]
.LBB363_330:                            ;   in Loop: Header=BB363_283 Depth=1
	s_or_b64 exec, exec, s[10:11]
.LBB363_331:                            ;   in Loop: Header=BB363_283 Depth=1
	s_or_b64 exec, exec, s[0:1]
	v_mul_f32_e32 v6, s16, v8
	v_and_b32_e32 v8, 0x7f800000, v6
	v_cmp_ne_u32_e32 vcc, s18, v8
                                        ; implicit-def: $vgpr8
	s_and_saveexec_b64 s[0:1], vcc
	s_xor_b64 s[0:1], exec, s[0:1]
; %bb.332:                              ;   in Loop: Header=BB363_283 Depth=1
	v_bfe_u32 v8, v6, 16, 1
	v_add3_u32 v8, v6, v8, s19
                                        ; implicit-def: $vgpr6
; %bb.333:                              ;   in Loop: Header=BB363_283 Depth=1
	s_andn2_saveexec_b64 s[0:1], s[0:1]
; %bb.334:                              ;   in Loop: Header=BB363_283 Depth=1
	v_or_b32_e32 v8, 0x10000, v6
	v_cmp_eq_u32_sdwa vcc, v6, v13 src0_sel:WORD_0 src1_sel:DWORD
	v_cndmask_b32_e32 v8, v8, v6, vcc
; %bb.335:                              ;   in Loop: Header=BB363_283 Depth=1
	s_or_b64 exec, exec, s[0:1]
	v_lshrrev_b32_e32 v6, 16, v4
	v_cmp_ne_u16_sdwa s[10:11], v6, v13 src0_sel:BYTE_0 src1_sel:DWORD
	v_mov_b32_e32 v9, 0
	s_and_saveexec_b64 s[0:1], s[10:11]
	s_cbranch_execz .LBB363_341
; %bb.336:                              ;   in Loop: Header=BB363_283 Depth=1
	v_cmp_ne_u16_sdwa s[12:13], v6, s20 src0_sel:BYTE_0 src1_sel:DWORD
	v_bfrev_b32_e32 v9, 1
	s_and_saveexec_b64 s[10:11], s[12:13]
	s_cbranch_execz .LBB363_340
; %bb.337:                              ;   in Loop: Header=BB363_283 Depth=1
	v_bfe_u32 v12, v4, 16, 7
	v_cmp_ne_u32_e32 vcc, s21, v12
	v_mov_b32_e32 v9, 0x7f800001
	s_and_saveexec_b64 s[12:13], vcc
	s_cbranch_execz .LBB363_339
; %bb.338:                              ;   in Loop: Header=BB363_283 Depth=1
	v_and_b32_e32 v9, 7, v6
	v_ffbh_u32_e32 v30, v9
	v_min_u32_e32 v32, 32, v30
	v_subrev_u32_e32 v30, 28, v32
	v_lshlrev_b64 v[30:31], v30, v[6:7]
	v_lshrrev_b32_e32 v29, 3, v12
	v_sub_u32_e32 v31, 29, v32
	v_and_b32_e32 v30, 7, v30
	v_cmp_gt_u32_e32 vcc, 8, v12
	v_cndmask_b32_e32 v12, v29, v31, vcc
	v_cndmask_b32_e32 v9, v9, v30, vcc
	v_lshlrev_b32_e32 v6, 24, v6
	v_lshlrev_b32_e32 v9, 20, v9
	v_and_b32_e32 v6, 0x80000000, v6
	v_lshl_add_u32 v12, v12, 23, v11
	v_or3_b32 v9, v6, v12, v9
.LBB363_339:                            ;   in Loop: Header=BB363_283 Depth=1
	s_or_b64 exec, exec, s[12:13]
.LBB363_340:                            ;   in Loop: Header=BB363_283 Depth=1
	s_or_b64 exec, exec, s[10:11]
.LBB363_341:                            ;   in Loop: Header=BB363_283 Depth=1
	s_or_b64 exec, exec, s[0:1]
	v_mul_f32_e32 v6, s16, v9
	v_and_b32_e32 v9, 0x7f800000, v6
	v_cmp_ne_u32_e32 vcc, s18, v9
                                        ; implicit-def: $vgpr9
	s_and_saveexec_b64 s[0:1], vcc
	s_xor_b64 s[0:1], exec, s[0:1]
; %bb.342:                              ;   in Loop: Header=BB363_283 Depth=1
	v_bfe_u32 v9, v6, 16, 1
	v_add3_u32 v9, v6, v9, s19
                                        ; implicit-def: $vgpr6
; %bb.343:                              ;   in Loop: Header=BB363_283 Depth=1
	s_andn2_saveexec_b64 s[0:1], s[0:1]
; %bb.344:                              ;   in Loop: Header=BB363_283 Depth=1
	v_or_b32_e32 v9, 0x10000, v6
	v_cmp_eq_u32_sdwa vcc, v6, v13 src0_sel:WORD_0 src1_sel:DWORD
	v_cndmask_b32_e32 v9, v9, v6, vcc
; %bb.345:                              ;   in Loop: Header=BB363_283 Depth=1
	s_or_b64 exec, exec, s[0:1]
	v_cmp_lt_u32_e32 vcc, s5, v4
	v_mov_b32_e32 v12, 0
	s_and_saveexec_b64 s[0:1], vcc
	s_cbranch_execz .LBB363_351
; %bb.346:                              ;   in Loop: Header=BB363_283 Depth=1
	v_lshrrev_b32_e32 v6, 24, v4
	v_cmp_ne_u32_e32 vcc, s20, v6
	v_bfrev_b32_e32 v12, 1
	s_and_saveexec_b64 s[10:11], vcc
	s_cbranch_execz .LBB363_350
; %bb.347:                              ;   in Loop: Header=BB363_283 Depth=1
	v_bfe_u32 v29, v4, 24, 7
	v_cmp_ne_u32_e32 vcc, s21, v29
	v_mov_b32_e32 v12, 0x7f800001
	s_and_saveexec_b64 s[12:13], vcc
	s_cbranch_execz .LBB363_349
; %bb.348:                              ;   in Loop: Header=BB363_283 Depth=1
	v_and_b32_e32 v12, 7, v6
	v_ffbh_u32_e32 v30, v12
	v_min_u32_e32 v33, 32, v30
	v_subrev_u32_e32 v30, 28, v33
	v_lshlrev_b64 v[30:31], v30, v[6:7]
	v_lshrrev_b32_e32 v32, 3, v29
	v_sub_u32_e32 v31, 29, v33
	v_and_b32_e32 v30, 7, v30
	v_cmp_gt_u32_e32 vcc, 8, v29
	v_cndmask_b32_e32 v29, v32, v31, vcc
	v_cndmask_b32_e32 v12, v12, v30, vcc
	v_lshlrev_b32_e32 v6, 24, v6
	v_lshlrev_b32_e32 v12, 20, v12
	v_and_b32_e32 v6, 0x80000000, v6
	v_lshl_add_u32 v29, v29, 23, v11
	v_or3_b32 v12, v6, v29, v12
.LBB363_349:                            ;   in Loop: Header=BB363_283 Depth=1
	s_or_b64 exec, exec, s[12:13]
.LBB363_350:                            ;   in Loop: Header=BB363_283 Depth=1
	s_or_b64 exec, exec, s[10:11]
.LBB363_351:                            ;   in Loop: Header=BB363_283 Depth=1
	s_or_b64 exec, exec, s[0:1]
	v_mul_f32_e32 v6, s16, v12
	v_and_b32_e32 v12, 0x7f800000, v6
	v_cmp_ne_u32_e32 vcc, s18, v12
                                        ; implicit-def: $vgpr30
	s_and_saveexec_b64 s[0:1], vcc
	s_xor_b64 s[0:1], exec, s[0:1]
; %bb.352:                              ;   in Loop: Header=BB363_283 Depth=1
	v_bfe_u32 v12, v6, 16, 1
	v_add3_u32 v30, v6, v12, s19
                                        ; implicit-def: $vgpr6
; %bb.353:                              ;   in Loop: Header=BB363_283 Depth=1
	s_andn2_saveexec_b64 s[0:1], s[0:1]
; %bb.354:                              ;   in Loop: Header=BB363_283 Depth=1
	v_or_b32_e32 v12, 0x10000, v6
	v_cmp_eq_u32_sdwa vcc, v6, v13 src0_sel:WORD_0 src1_sel:DWORD
	v_cndmask_b32_e32 v30, v12, v6, vcc
; %bb.355:                              ;   in Loop: Header=BB363_283 Depth=1
	s_or_b64 exec, exec, s[0:1]
	v_mov_b32_e32 v12, v5
	v_cmp_ne_u16_sdwa s[10:11], v5, v13 src0_sel:BYTE_0 src1_sel:DWORD
	v_mov_b32_e32 v6, 0
	s_and_saveexec_b64 s[0:1], s[10:11]
	s_cbranch_execz .LBB363_361
; %bb.356:                              ;   in Loop: Header=BB363_283 Depth=1
	v_cmp_ne_u16_sdwa s[12:13], v5, s20 src0_sel:BYTE_0 src1_sel:DWORD
	v_bfrev_b32_e32 v6, 1
	s_and_saveexec_b64 s[10:11], s[12:13]
	s_cbranch_execz .LBB363_360
; %bb.357:                              ;   in Loop: Header=BB363_283 Depth=1
	v_and_b32_e32 v29, 0x7f, v5
	v_cmp_ne_u32_e32 vcc, s21, v29
	v_mov_b32_e32 v6, 0x7f800001
	s_and_saveexec_b64 s[12:13], vcc
	s_cbranch_execz .LBB363_359
; %bb.358:                              ;   in Loop: Header=BB363_283 Depth=1
	v_and_b32_e32 v6, 7, v5
	v_ffbh_u32_e32 v6, v6
	v_min_u32_e32 v6, 32, v6
	v_subrev_u32_e32 v32, 28, v6
	v_cmp_gt_u32_e32 vcc, 8, v29
	v_lshrrev_b32_e32 v31, 3, v29
	v_cndmask_b32_e32 v29, 0, v32, vcc
	v_sub_u32_e32 v6, 29, v6
	v_lshlrev_b64 v[32:33], v29, v[12:13]
	v_cndmask_b32_e32 v6, v31, v6, vcc
	v_lshlrev_b32_e32 v29, 20, v32
	v_lshlrev_b32_e32 v31, 24, v12
	v_and_b32_e32 v29, 0x700000, v29
	v_and_b32_e32 v31, 0x80000000, v31
	v_lshl_add_u32 v6, v6, 23, v11
	v_or3_b32 v6, v31, v6, v29
.LBB363_359:                            ;   in Loop: Header=BB363_283 Depth=1
	s_or_b64 exec, exec, s[12:13]
.LBB363_360:                            ;   in Loop: Header=BB363_283 Depth=1
	s_or_b64 exec, exec, s[10:11]
.LBB363_361:                            ;   in Loop: Header=BB363_283 Depth=1
	s_or_b64 exec, exec, s[0:1]
	v_mul_f32_e32 v6, s16, v6
	v_and_b32_e32 v29, 0x7f800000, v6
	v_cmp_ne_u32_e32 vcc, s18, v29
                                        ; implicit-def: $vgpr31
	s_and_saveexec_b64 s[0:1], vcc
	s_xor_b64 s[0:1], exec, s[0:1]
; %bb.362:                              ;   in Loop: Header=BB363_283 Depth=1
	v_bfe_u32 v29, v6, 16, 1
	v_add3_u32 v31, v6, v29, s19
                                        ; implicit-def: $vgpr6
; %bb.363:                              ;   in Loop: Header=BB363_283 Depth=1
	s_andn2_saveexec_b64 s[0:1], s[0:1]
; %bb.364:                              ;   in Loop: Header=BB363_283 Depth=1
	v_or_b32_e32 v29, 0x10000, v6
	v_cmp_eq_u32_sdwa vcc, v6, v13 src0_sel:WORD_0 src1_sel:DWORD
	v_cndmask_b32_e32 v31, v29, v6, vcc
; %bb.365:                              ;   in Loop: Header=BB363_283 Depth=1
	s_or_b64 exec, exec, s[0:1]
	v_lshrrev_b16_e32 v6, 8, v12
	v_cmp_ne_u16_e32 vcc, 0, v6
	v_mov_b32_e32 v29, 0
	s_and_saveexec_b64 s[0:1], vcc
	s_cbranch_execz .LBB363_371
; %bb.366:                              ;   in Loop: Header=BB363_283 Depth=1
	v_cmp_ne_u16_e32 vcc, s20, v6
	v_bfrev_b32_e32 v29, 1
	s_and_saveexec_b64 s[10:11], vcc
	s_cbranch_execz .LBB363_370
; %bb.367:                              ;   in Loop: Header=BB363_283 Depth=1
	v_and_b32_e32 v32, 0x7f, v6
	v_cmp_ne_u32_e32 vcc, s21, v32
	v_mov_b32_e32 v29, 0x7f800001
	s_and_saveexec_b64 s[12:13], vcc
	s_cbranch_execz .LBB363_369
; %bb.368:                              ;   in Loop: Header=BB363_283 Depth=1
	v_and_b32_e32 v29, 7, v6
	v_ffbh_u32_e32 v34, v29
	v_min_u32_e32 v40, 32, v34
	v_subrev_u32_e32 v34, 28, v40
	v_lshlrev_b64 v[34:35], v34, v[6:7]
	v_lshrrev_b32_e32 v33, 3, v32
	v_sub_u32_e32 v6, 29, v40
	v_and_b32_e32 v34, 7, v34
	v_cmp_gt_u32_e32 vcc, 8, v32
	v_cndmask_b32_e32 v6, v33, v6, vcc
	v_cndmask_b32_e32 v29, v29, v34, vcc
	v_lshlrev_b32_e32 v12, 16, v12
	v_lshlrev_b32_e32 v29, 20, v29
	v_and_b32_e32 v12, 0x80000000, v12
	v_lshl_add_u32 v6, v6, 23, v11
	v_or3_b32 v29, v12, v6, v29
.LBB363_369:                            ;   in Loop: Header=BB363_283 Depth=1
	s_or_b64 exec, exec, s[12:13]
.LBB363_370:                            ;   in Loop: Header=BB363_283 Depth=1
	s_or_b64 exec, exec, s[10:11]
.LBB363_371:                            ;   in Loop: Header=BB363_283 Depth=1
	s_or_b64 exec, exec, s[0:1]
	v_mul_f32_e32 v6, s16, v29
	v_and_b32_e32 v12, 0x7f800000, v6
	v_cmp_ne_u32_e32 vcc, s18, v12
                                        ; implicit-def: $vgpr12
	s_and_saveexec_b64 s[0:1], vcc
	s_xor_b64 s[0:1], exec, s[0:1]
; %bb.372:                              ;   in Loop: Header=BB363_283 Depth=1
	v_bfe_u32 v12, v6, 16, 1
	v_add3_u32 v12, v6, v12, s19
                                        ; implicit-def: $vgpr6
; %bb.373:                              ;   in Loop: Header=BB363_283 Depth=1
	s_andn2_saveexec_b64 s[0:1], s[0:1]
; %bb.374:                              ;   in Loop: Header=BB363_283 Depth=1
	v_or_b32_e32 v12, 0x10000, v6
	v_cmp_eq_u32_sdwa vcc, v6, v13 src0_sel:WORD_0 src1_sel:DWORD
	v_cndmask_b32_e32 v12, v12, v6, vcc
; %bb.375:                              ;   in Loop: Header=BB363_283 Depth=1
	s_or_b64 exec, exec, s[0:1]
	v_lshrrev_b32_e32 v6, 16, v5
	v_cmp_ne_u16_sdwa s[10:11], v6, v13 src0_sel:BYTE_0 src1_sel:DWORD
	v_mov_b32_e32 v29, 0
	s_and_saveexec_b64 s[0:1], s[10:11]
	s_cbranch_execz .LBB363_381
; %bb.376:                              ;   in Loop: Header=BB363_283 Depth=1
	v_cmp_ne_u16_sdwa s[12:13], v6, s20 src0_sel:BYTE_0 src1_sel:DWORD
	v_bfrev_b32_e32 v29, 1
	s_and_saveexec_b64 s[10:11], s[12:13]
	s_cbranch_execz .LBB363_380
; %bb.377:                              ;   in Loop: Header=BB363_283 Depth=1
	v_bfe_u32 v32, v5, 16, 7
	v_cmp_ne_u32_e32 vcc, s21, v32
	v_mov_b32_e32 v29, 0x7f800001
	s_and_saveexec_b64 s[12:13], vcc
	s_cbranch_execz .LBB363_379
; %bb.378:                              ;   in Loop: Header=BB363_283 Depth=1
	v_and_b32_e32 v29, 7, v6
	v_ffbh_u32_e32 v34, v29
	v_min_u32_e32 v40, 32, v34
	v_subrev_u32_e32 v34, 28, v40
	v_lshlrev_b64 v[34:35], v34, v[6:7]
	v_lshrrev_b32_e32 v33, 3, v32
	v_sub_u32_e32 v35, 29, v40
	v_and_b32_e32 v34, 7, v34
	v_cmp_gt_u32_e32 vcc, 8, v32
	v_cndmask_b32_e32 v32, v33, v35, vcc
	v_cndmask_b32_e32 v29, v29, v34, vcc
	v_lshlrev_b32_e32 v6, 24, v6
	v_lshlrev_b32_e32 v29, 20, v29
	v_and_b32_e32 v6, 0x80000000, v6
	v_lshl_add_u32 v32, v32, 23, v11
	v_or3_b32 v29, v6, v32, v29
.LBB363_379:                            ;   in Loop: Header=BB363_283 Depth=1
	s_or_b64 exec, exec, s[12:13]
.LBB363_380:                            ;   in Loop: Header=BB363_283 Depth=1
	s_or_b64 exec, exec, s[10:11]
.LBB363_381:                            ;   in Loop: Header=BB363_283 Depth=1
	s_or_b64 exec, exec, s[0:1]
	v_mul_f32_e32 v6, s16, v29
	v_and_b32_e32 v29, 0x7f800000, v6
	v_cmp_ne_u32_e32 vcc, s18, v29
                                        ; implicit-def: $vgpr32
	s_and_saveexec_b64 s[0:1], vcc
	s_xor_b64 s[0:1], exec, s[0:1]
; %bb.382:                              ;   in Loop: Header=BB363_283 Depth=1
	v_bfe_u32 v29, v6, 16, 1
	v_add3_u32 v32, v6, v29, s19
                                        ; implicit-def: $vgpr6
; %bb.383:                              ;   in Loop: Header=BB363_283 Depth=1
	s_andn2_saveexec_b64 s[0:1], s[0:1]
; %bb.384:                              ;   in Loop: Header=BB363_283 Depth=1
	v_or_b32_e32 v29, 0x10000, v6
	v_cmp_eq_u32_sdwa vcc, v6, v13 src0_sel:WORD_0 src1_sel:DWORD
	v_cndmask_b32_e32 v32, v29, v6, vcc
; %bb.385:                              ;   in Loop: Header=BB363_283 Depth=1
	s_or_b64 exec, exec, s[0:1]
	v_cmp_lt_u64_e32 vcc, s[4:5], v[4:5]
	v_mov_b32_e32 v6, 0
	s_and_saveexec_b64 s[0:1], vcc
	s_cbranch_execz .LBB363_391
; %bb.386:                              ;   in Loop: Header=BB363_283 Depth=1
	v_lshrrev_b32_e32 v4, 24, v5
	v_cmp_ne_u32_e32 vcc, s20, v4
	v_bfrev_b32_e32 v6, 1
	s_and_saveexec_b64 s[10:11], vcc
	s_cbranch_execz .LBB363_390
; %bb.387:                              ;   in Loop: Header=BB363_283 Depth=1
	v_bfe_u32 v5, v5, 24, 7
	v_cmp_ne_u32_e32 vcc, s21, v5
	v_mov_b32_e32 v6, 0x7f800001
	s_and_saveexec_b64 s[12:13], vcc
	s_cbranch_execz .LBB363_389
; %bb.388:                              ;   in Loop: Header=BB363_283 Depth=1
	v_and_b32_e32 v6, 7, v4
	v_ffbh_u32_e32 v33, v6
	v_min_u32_e32 v33, 32, v33
	v_subrev_u32_e32 v34, 28, v33
	v_lshlrev_b64 v[34:35], v34, v[4:5]
	v_lshrrev_b32_e32 v29, 3, v5
	v_sub_u32_e32 v33, 29, v33
	v_and_b32_e32 v34, 7, v34
	v_cmp_gt_u32_e32 vcc, 8, v5
	v_cndmask_b32_e32 v5, v29, v33, vcc
	v_cndmask_b32_e32 v6, v6, v34, vcc
	v_lshlrev_b32_e32 v4, 24, v4
	v_lshlrev_b32_e32 v6, 20, v6
	v_and_b32_e32 v4, 0x80000000, v4
	v_lshl_add_u32 v5, v5, 23, v11
	v_or3_b32 v6, v4, v5, v6
.LBB363_389:                            ;   in Loop: Header=BB363_283 Depth=1
	s_or_b64 exec, exec, s[12:13]
.LBB363_390:                            ;   in Loop: Header=BB363_283 Depth=1
	s_or_b64 exec, exec, s[10:11]
.LBB363_391:                            ;   in Loop: Header=BB363_283 Depth=1
	s_or_b64 exec, exec, s[0:1]
	v_mul_f32_e32 v5, s16, v6
	v_and_b32_e32 v4, 0x7f800000, v5
	v_cmp_ne_u32_e32 vcc, s18, v4
                                        ; implicit-def: $vgpr4
	s_and_saveexec_b64 s[0:1], vcc
	s_xor_b64 s[0:1], exec, s[0:1]
; %bb.392:                              ;   in Loop: Header=BB363_283 Depth=1
	v_bfe_u32 v4, v5, 16, 1
	v_add3_u32 v4, v5, v4, s19
                                        ; implicit-def: $vgpr5
; %bb.393:                              ;   in Loop: Header=BB363_283 Depth=1
	s_andn2_saveexec_b64 s[0:1], s[0:1]
; %bb.394:                              ;   in Loop: Header=BB363_283 Depth=1
	v_or_b32_e32 v4, 0x10000, v5
	v_cmp_eq_u32_sdwa vcc, v5, v13 src0_sel:WORD_0 src1_sel:DWORD
	v_cndmask_b32_e32 v4, v4, v5, vcc
; %bb.395:                              ;   in Loop: Header=BB363_283 Depth=1
	s_or_b64 exec, exec, s[0:1]
	v_cmp_eq_u32_e32 vcc, s17, v10
	v_add_u32_e32 v29, -7, v23
	v_lshrrev_b32_e32 v6, 16, v12
	v_lshrrev_b32_e32 v12, 16, v31
	;; [unrolled: 1-line block ×8, first 2 shown]
	v_add_u32_e32 v35, -6, v23
	v_add_u32_e32 v34, -5, v23
	;; [unrolled: 1-line block ×6, first 2 shown]
	s_and_saveexec_b64 s[10:11], vcc
	s_cbranch_execz .LBB363_397
; %bb.396:                              ;   in Loop: Header=BB363_283 Depth=1
	v_cmp_gt_i32_e64 s[0:1], s33, v29
	v_cndmask_b32_e64 v7, 0, v7, s[0:1]
	v_cmp_gt_i32_e64 s[0:1], s33, v35
	v_cndmask_b32_e64 v8, 0, v8, s[0:1]
	;; [unrolled: 2-line block ×8, first 2 shown]
.LBB363_397:                            ;   in Loop: Header=BB363_283 Depth=1
	s_or_b64 exec, exec, s[10:11]
	v_and_b32_e32 v37, 0xffff0000, v37
	v_lshlrev_b32_e32 v7, 16, v7
	v_mul_f32_e32 v40, v37, v7
	v_and_b32_e32 v7, 0x7f800000, v40
	v_cmp_ne_u32_e64 s[0:1], s18, v7
                                        ; implicit-def: $vgpr7
	s_and_saveexec_b64 s[10:11], s[0:1]
	s_xor_b64 s[0:1], exec, s[10:11]
; %bb.398:                              ;   in Loop: Header=BB363_283 Depth=1
	v_bfe_u32 v7, v40, 16, 1
	v_add3_u32 v7, v40, v7, s19
                                        ; implicit-def: $vgpr40
; %bb.399:                              ;   in Loop: Header=BB363_283 Depth=1
	s_andn2_saveexec_b64 s[10:11], s[0:1]
; %bb.400:                              ;   in Loop: Header=BB363_283 Depth=1
	v_or_b32_e32 v7, 0x10000, v40
	v_cmp_eq_u32_sdwa s[0:1], v40, v13 src0_sel:WORD_0 src1_sel:DWORD
	v_cndmask_b32_e64 v7, v7, v40, s[0:1]
; %bb.401:                              ;   in Loop: Header=BB363_283 Depth=1
	s_or_b64 exec, exec, s[10:11]
	v_and_b32_e32 v38, 0xffff0000, v38
	v_lshlrev_b32_e32 v8, 16, v8
	v_mul_f32_e32 v40, v38, v8
	v_and_b32_e32 v8, 0x7f800000, v40
	v_cmp_ne_u32_e64 s[0:1], s18, v8
                                        ; implicit-def: $vgpr8
	s_and_saveexec_b64 s[10:11], s[0:1]
	s_xor_b64 s[0:1], exec, s[10:11]
; %bb.402:                              ;   in Loop: Header=BB363_283 Depth=1
	v_bfe_u32 v8, v40, 16, 1
	v_add3_u32 v8, v40, v8, s19
                                        ; implicit-def: $vgpr40
; %bb.403:                              ;   in Loop: Header=BB363_283 Depth=1
	s_andn2_saveexec_b64 s[10:11], s[0:1]
; %bb.404:                              ;   in Loop: Header=BB363_283 Depth=1
	v_or_b32_e32 v8, 0x10000, v40
	v_cmp_eq_u32_sdwa s[0:1], v40, v13 src0_sel:WORD_0 src1_sel:DWORD
	v_cndmask_b32_e64 v8, v8, v40, s[0:1]
; %bb.405:                              ;   in Loop: Header=BB363_283 Depth=1
	s_or_b64 exec, exec, s[10:11]
	v_and_b32_e32 v39, 0xffff0000, v39
	v_lshlrev_b32_e32 v9, 16, v9
	v_mul_f32_e32 v40, v39, v9
	v_and_b32_e32 v9, 0x7f800000, v40
	v_cmp_ne_u32_e64 s[0:1], s18, v9
                                        ; implicit-def: $vgpr9
	s_and_saveexec_b64 s[10:11], s[0:1]
	s_xor_b64 s[0:1], exec, s[10:11]
; %bb.406:                              ;   in Loop: Header=BB363_283 Depth=1
	v_bfe_u32 v9, v40, 16, 1
	v_add3_u32 v9, v40, v9, s19
                                        ; implicit-def: $vgpr40
; %bb.407:                              ;   in Loop: Header=BB363_283 Depth=1
	s_andn2_saveexec_b64 s[10:11], s[0:1]
; %bb.408:                              ;   in Loop: Header=BB363_283 Depth=1
	v_or_b32_e32 v9, 0x10000, v40
	v_cmp_eq_u32_sdwa s[0:1], v40, v13 src0_sel:WORD_0 src1_sel:DWORD
	v_cndmask_b32_e64 v9, v9, v40, s[0:1]
; %bb.409:                              ;   in Loop: Header=BB363_283 Depth=1
	s_or_b64 exec, exec, s[10:11]
	v_and_b32_e32 v40, 0xffff0000, v25
	v_lshlrev_b32_e32 v25, 16, v41
	v_mul_f32_e32 v41, v40, v25
	v_and_b32_e32 v25, 0x7f800000, v41
	v_cmp_ne_u32_e64 s[0:1], s18, v25
                                        ; implicit-def: $vgpr25
	s_and_saveexec_b64 s[10:11], s[0:1]
	s_xor_b64 s[0:1], exec, s[10:11]
; %bb.410:                              ;   in Loop: Header=BB363_283 Depth=1
	v_bfe_u32 v25, v41, 16, 1
	v_add3_u32 v25, v41, v25, s19
                                        ; implicit-def: $vgpr41
; %bb.411:                              ;   in Loop: Header=BB363_283 Depth=1
	s_andn2_saveexec_b64 s[10:11], s[0:1]
; %bb.412:                              ;   in Loop: Header=BB363_283 Depth=1
	v_or_b32_e32 v25, 0x10000, v41
	v_cmp_eq_u32_sdwa s[0:1], v41, v13 src0_sel:WORD_0 src1_sel:DWORD
	v_cndmask_b32_e64 v25, v25, v41, s[0:1]
; %bb.413:                              ;   in Loop: Header=BB363_283 Depth=1
	s_or_b64 exec, exec, s[10:11]
	v_and_b32_e32 v41, 0xffff0000, v26
	v_lshlrev_b32_e32 v12, 16, v12
	v_mul_f32_e32 v12, v41, v12
	v_and_b32_e32 v26, 0x7f800000, v12
	v_cmp_ne_u32_e64 s[0:1], s18, v26
                                        ; implicit-def: $vgpr26
	s_and_saveexec_b64 s[10:11], s[0:1]
	s_xor_b64 s[0:1], exec, s[10:11]
; %bb.414:                              ;   in Loop: Header=BB363_283 Depth=1
	v_bfe_u32 v26, v12, 16, 1
	v_add3_u32 v26, v12, v26, s19
                                        ; implicit-def: $vgpr12
; %bb.415:                              ;   in Loop: Header=BB363_283 Depth=1
	s_andn2_saveexec_b64 s[10:11], s[0:1]
; %bb.416:                              ;   in Loop: Header=BB363_283 Depth=1
	v_or_b32_e32 v26, 0x10000, v12
	v_cmp_eq_u32_sdwa s[0:1], v12, v13 src0_sel:WORD_0 src1_sel:DWORD
	v_cndmask_b32_e64 v26, v26, v12, s[0:1]
; %bb.417:                              ;   in Loop: Header=BB363_283 Depth=1
	s_or_b64 exec, exec, s[10:11]
	v_and_b32_e32 v42, 0xffff0000, v27
	v_lshlrev_b32_e32 v6, 16, v6
	v_mul_f32_e32 v6, v42, v6
	v_and_b32_e32 v12, 0x7f800000, v6
	v_cmp_ne_u32_e64 s[0:1], s18, v12
                                        ; implicit-def: $vgpr27
	s_and_saveexec_b64 s[10:11], s[0:1]
	s_xor_b64 s[0:1], exec, s[10:11]
; %bb.418:                              ;   in Loop: Header=BB363_283 Depth=1
	v_bfe_u32 v12, v6, 16, 1
	v_add3_u32 v27, v6, v12, s19
                                        ; implicit-def: $vgpr6
; %bb.419:                              ;   in Loop: Header=BB363_283 Depth=1
	s_andn2_saveexec_b64 s[10:11], s[0:1]
; %bb.420:                              ;   in Loop: Header=BB363_283 Depth=1
	v_or_b32_e32 v12, 0x10000, v6
	v_cmp_eq_u32_sdwa s[0:1], v6, v13 src0_sel:WORD_0 src1_sel:DWORD
	v_cndmask_b32_e64 v27, v12, v6, s[0:1]
; %bb.421:                              ;   in Loop: Header=BB363_283 Depth=1
	s_or_b64 exec, exec, s[10:11]
	v_and_b32_e32 v43, 0xffff0000, v28
	v_lshlrev_b32_e32 v5, 16, v5
	v_mul_f32_e32 v5, v43, v5
	v_and_b32_e32 v6, 0x7f800000, v5
	v_cmp_ne_u32_e64 s[0:1], s18, v6
                                        ; implicit-def: $vgpr28
	s_and_saveexec_b64 s[10:11], s[0:1]
	s_xor_b64 s[0:1], exec, s[10:11]
; %bb.422:                              ;   in Loop: Header=BB363_283 Depth=1
	v_bfe_u32 v6, v5, 16, 1
	v_add3_u32 v28, v5, v6, s19
                                        ; implicit-def: $vgpr5
; %bb.423:                              ;   in Loop: Header=BB363_283 Depth=1
	s_andn2_saveexec_b64 s[10:11], s[0:1]
; %bb.424:                              ;   in Loop: Header=BB363_283 Depth=1
	v_or_b32_e32 v6, 0x10000, v5
	v_cmp_eq_u32_sdwa s[0:1], v5, v13 src0_sel:WORD_0 src1_sel:DWORD
	v_cndmask_b32_e64 v28, v6, v5, s[0:1]
; %bb.425:                              ;   in Loop: Header=BB363_283 Depth=1
	s_or_b64 exec, exec, s[10:11]
	v_and_b32_e32 v44, 0xffff0000, v36
	v_lshlrev_b32_e32 v4, 16, v4
	v_mul_f32_e32 v4, v44, v4
	v_and_b32_e32 v5, 0x7f800000, v4
	v_cmp_ne_u32_e64 s[0:1], s18, v5
                                        ; implicit-def: $vgpr36
	s_and_saveexec_b64 s[10:11], s[0:1]
	s_xor_b64 s[0:1], exec, s[10:11]
; %bb.426:                              ;   in Loop: Header=BB363_283 Depth=1
	v_bfe_u32 v5, v4, 16, 1
	v_add3_u32 v36, v4, v5, s19
                                        ; implicit-def: $vgpr4
; %bb.427:                              ;   in Loop: Header=BB363_283 Depth=1
	s_andn2_saveexec_b64 s[10:11], s[0:1]
; %bb.428:                              ;   in Loop: Header=BB363_283 Depth=1
	v_or_b32_e32 v5, 0x10000, v4
	v_cmp_eq_u32_sdwa s[0:1], v4, v13 src0_sel:WORD_0 src1_sel:DWORD
	v_cndmask_b32_e64 v36, v5, v4, s[0:1]
; %bb.429:                              ;   in Loop: Header=BB363_283 Depth=1
	s_or_b64 exec, exec, s[10:11]
	global_load_dwordx2 v[4:5], v[2:3], off offset:512
	v_mov_b32_e32 v6, 0
	s_waitcnt vmcnt(0)
	v_cmp_ne_u16_sdwa s[0:1], v4, v13 src0_sel:BYTE_0 src1_sel:DWORD
	s_and_saveexec_b64 s[10:11], s[0:1]
	s_cbranch_execz .LBB363_435
; %bb.430:                              ;   in Loop: Header=BB363_283 Depth=1
	v_cmp_ne_u16_sdwa s[0:1], v4, s20 src0_sel:BYTE_0 src1_sel:DWORD
	v_bfrev_b32_e32 v6, 1
	s_and_saveexec_b64 s[12:13], s[0:1]
	s_cbranch_execz .LBB363_434
; %bb.431:                              ;   in Loop: Header=BB363_283 Depth=1
	v_and_b32_e32 v12, 0x7f, v4
	v_cmp_ne_u32_e64 s[0:1], s21, v12
	v_mov_b32_e32 v6, 0x7f800001
	s_and_saveexec_b64 s[14:15], s[0:1]
	s_cbranch_execz .LBB363_433
; %bb.432:                              ;   in Loop: Header=BB363_283 Depth=1
	v_and_b32_e32 v6, 7, v4
	v_ffbh_u32_e32 v6, v6
	v_min_u32_e32 v6, 32, v6
	v_subrev_u32_e32 v46, 28, v6
	v_cmp_gt_u32_e64 s[0:1], 8, v12
	v_lshrrev_b32_e32 v45, 3, v12
	v_cndmask_b32_e64 v12, 0, v46, s[0:1]
	v_sub_u32_e32 v6, 29, v6
	v_lshlrev_b64 v[46:47], v12, v[4:5]
	v_cndmask_b32_e64 v6, v45, v6, s[0:1]
	v_lshlrev_b32_e32 v12, 20, v46
	v_lshlrev_b32_e32 v45, 24, v4
	v_and_b32_e32 v12, 0x700000, v12
	v_and_b32_e32 v45, 0x80000000, v45
	v_lshl_add_u32 v6, v6, 23, v11
	v_or3_b32 v6, v45, v6, v12
.LBB363_433:                            ;   in Loop: Header=BB363_283 Depth=1
	s_or_b64 exec, exec, s[14:15]
.LBB363_434:                            ;   in Loop: Header=BB363_283 Depth=1
	s_or_b64 exec, exec, s[12:13]
.LBB363_435:                            ;   in Loop: Header=BB363_283 Depth=1
	s_or_b64 exec, exec, s[10:11]
	v_mul_f32_e32 v6, s16, v6
	v_and_b32_e32 v12, 0x7f800000, v6
	v_cmp_ne_u32_e64 s[0:1], s18, v12
                                        ; implicit-def: $vgpr45
	s_and_saveexec_b64 s[10:11], s[0:1]
	s_xor_b64 s[0:1], exec, s[10:11]
; %bb.436:                              ;   in Loop: Header=BB363_283 Depth=1
	v_bfe_u32 v12, v6, 16, 1
	v_add3_u32 v45, v6, v12, s19
                                        ; implicit-def: $vgpr6
; %bb.437:                              ;   in Loop: Header=BB363_283 Depth=1
	s_andn2_saveexec_b64 s[10:11], s[0:1]
; %bb.438:                              ;   in Loop: Header=BB363_283 Depth=1
	v_or_b32_e32 v12, 0x10000, v6
	v_cmp_eq_u32_sdwa s[0:1], v6, v13 src0_sel:WORD_0 src1_sel:DWORD
	v_cndmask_b32_e64 v45, v12, v6, s[0:1]
; %bb.439:                              ;   in Loop: Header=BB363_283 Depth=1
	s_or_b64 exec, exec, s[10:11]
	v_lshrrev_b16_e32 v6, 8, v4
	v_cmp_ne_u16_e64 s[0:1], 0, v6
	v_mov_b32_e32 v12, 0
	s_and_saveexec_b64 s[10:11], s[0:1]
	s_cbranch_execz .LBB363_445
; %bb.440:                              ;   in Loop: Header=BB363_283 Depth=1
	v_cmp_ne_u16_e64 s[0:1], s20, v6
	v_bfrev_b32_e32 v12, 1
	s_and_saveexec_b64 s[12:13], s[0:1]
	s_cbranch_execz .LBB363_444
; %bb.441:                              ;   in Loop: Header=BB363_283 Depth=1
	v_and_b32_e32 v46, 0x7f, v6
	v_cmp_ne_u32_e64 s[0:1], s21, v46
	v_mov_b32_e32 v12, 0x7f800001
	s_and_saveexec_b64 s[14:15], s[0:1]
	s_cbranch_execz .LBB363_443
; %bb.442:                              ;   in Loop: Header=BB363_283 Depth=1
	v_and_b32_e32 v12, 7, v6
	v_ffbh_u32_e32 v48, v12
	v_min_u32_e32 v50, 32, v48
	v_subrev_u32_e32 v48, 28, v50
	v_lshlrev_b64 v[48:49], v48, v[6:7]
	v_lshrrev_b32_e32 v47, 3, v46
	v_sub_u32_e32 v6, 29, v50
	v_and_b32_e32 v48, 7, v48
	v_cmp_gt_u32_e64 s[0:1], 8, v46
	v_cndmask_b32_e64 v6, v47, v6, s[0:1]
	v_cndmask_b32_e64 v12, v12, v48, s[0:1]
	v_lshlrev_b32_e32 v46, 16, v4
	v_lshlrev_b32_e32 v12, 20, v12
	v_and_b32_e32 v46, 0x80000000, v46
	v_lshl_add_u32 v6, v6, 23, v11
	v_or3_b32 v12, v46, v6, v12
.LBB363_443:                            ;   in Loop: Header=BB363_283 Depth=1
	s_or_b64 exec, exec, s[14:15]
.LBB363_444:                            ;   in Loop: Header=BB363_283 Depth=1
	s_or_b64 exec, exec, s[12:13]
.LBB363_445:                            ;   in Loop: Header=BB363_283 Depth=1
	s_or_b64 exec, exec, s[10:11]
	v_mul_f32_e32 v6, s16, v12
	v_and_b32_e32 v12, 0x7f800000, v6
	v_cmp_ne_u32_e64 s[0:1], s18, v12
                                        ; implicit-def: $vgpr46
	s_and_saveexec_b64 s[10:11], s[0:1]
	s_xor_b64 s[0:1], exec, s[10:11]
; %bb.446:                              ;   in Loop: Header=BB363_283 Depth=1
	v_bfe_u32 v12, v6, 16, 1
	v_add3_u32 v46, v6, v12, s19
                                        ; implicit-def: $vgpr6
; %bb.447:                              ;   in Loop: Header=BB363_283 Depth=1
	s_andn2_saveexec_b64 s[10:11], s[0:1]
; %bb.448:                              ;   in Loop: Header=BB363_283 Depth=1
	v_or_b32_e32 v12, 0x10000, v6
	v_cmp_eq_u32_sdwa s[0:1], v6, v13 src0_sel:WORD_0 src1_sel:DWORD
	v_cndmask_b32_e64 v46, v12, v6, s[0:1]
; %bb.449:                              ;   in Loop: Header=BB363_283 Depth=1
	s_or_b64 exec, exec, s[10:11]
	v_lshrrev_b32_e32 v6, 16, v4
	v_cmp_ne_u16_sdwa s[0:1], v6, v13 src0_sel:BYTE_0 src1_sel:DWORD
	v_mov_b32_e32 v12, 0
	s_and_saveexec_b64 s[10:11], s[0:1]
	s_cbranch_execz .LBB363_455
; %bb.450:                              ;   in Loop: Header=BB363_283 Depth=1
	v_cmp_ne_u16_sdwa s[0:1], v6, s20 src0_sel:BYTE_0 src1_sel:DWORD
	v_bfrev_b32_e32 v12, 1
	s_and_saveexec_b64 s[12:13], s[0:1]
	s_cbranch_execz .LBB363_454
; %bb.451:                              ;   in Loop: Header=BB363_283 Depth=1
	v_bfe_u32 v47, v4, 16, 7
	v_cmp_ne_u32_e64 s[0:1], s21, v47
	v_mov_b32_e32 v12, 0x7f800001
	s_and_saveexec_b64 s[14:15], s[0:1]
	s_cbranch_execz .LBB363_453
; %bb.452:                              ;   in Loop: Header=BB363_283 Depth=1
	v_and_b32_e32 v12, 7, v6
	v_ffbh_u32_e32 v48, v12
	v_min_u32_e32 v51, 32, v48
	v_subrev_u32_e32 v48, 28, v51
	v_lshlrev_b64 v[48:49], v48, v[6:7]
	v_lshrrev_b32_e32 v50, 3, v47
	v_sub_u32_e32 v49, 29, v51
	v_and_b32_e32 v48, 7, v48
	v_cmp_gt_u32_e64 s[0:1], 8, v47
	v_cndmask_b32_e64 v47, v50, v49, s[0:1]
	v_cndmask_b32_e64 v12, v12, v48, s[0:1]
	v_lshlrev_b32_e32 v6, 24, v6
	v_lshlrev_b32_e32 v12, 20, v12
	v_and_b32_e32 v6, 0x80000000, v6
	v_lshl_add_u32 v47, v47, 23, v11
	v_or3_b32 v12, v6, v47, v12
.LBB363_453:                            ;   in Loop: Header=BB363_283 Depth=1
	s_or_b64 exec, exec, s[14:15]
.LBB363_454:                            ;   in Loop: Header=BB363_283 Depth=1
	s_or_b64 exec, exec, s[12:13]
.LBB363_455:                            ;   in Loop: Header=BB363_283 Depth=1
	s_or_b64 exec, exec, s[10:11]
	v_mul_f32_e32 v6, s16, v12
	v_and_b32_e32 v12, 0x7f800000, v6
	v_cmp_ne_u32_e64 s[0:1], s18, v12
                                        ; implicit-def: $vgpr47
	s_and_saveexec_b64 s[10:11], s[0:1]
	s_xor_b64 s[0:1], exec, s[10:11]
; %bb.456:                              ;   in Loop: Header=BB363_283 Depth=1
	v_bfe_u32 v12, v6, 16, 1
	v_add3_u32 v47, v6, v12, s19
                                        ; implicit-def: $vgpr6
; %bb.457:                              ;   in Loop: Header=BB363_283 Depth=1
	s_andn2_saveexec_b64 s[10:11], s[0:1]
; %bb.458:                              ;   in Loop: Header=BB363_283 Depth=1
	v_or_b32_e32 v12, 0x10000, v6
	v_cmp_eq_u32_sdwa s[0:1], v6, v13 src0_sel:WORD_0 src1_sel:DWORD
	v_cndmask_b32_e64 v47, v12, v6, s[0:1]
; %bb.459:                              ;   in Loop: Header=BB363_283 Depth=1
	s_or_b64 exec, exec, s[10:11]
	v_cmp_lt_u32_e64 s[0:1], s5, v4
	v_mov_b32_e32 v12, 0
	s_and_saveexec_b64 s[10:11], s[0:1]
	s_cbranch_execz .LBB363_465
; %bb.460:                              ;   in Loop: Header=BB363_283 Depth=1
	v_lshrrev_b32_e32 v6, 24, v4
	v_cmp_ne_u32_e64 s[0:1], s20, v6
	v_bfrev_b32_e32 v12, 1
	s_and_saveexec_b64 s[12:13], s[0:1]
	s_cbranch_execz .LBB363_464
; %bb.461:                              ;   in Loop: Header=BB363_283 Depth=1
	v_bfe_u32 v48, v4, 24, 7
	v_cmp_ne_u32_e64 s[0:1], s21, v48
	v_mov_b32_e32 v12, 0x7f800001
	s_and_saveexec_b64 s[14:15], s[0:1]
	s_cbranch_execz .LBB363_463
; %bb.462:                              ;   in Loop: Header=BB363_283 Depth=1
	v_and_b32_e32 v12, 7, v6
	v_ffbh_u32_e32 v50, v12
	v_min_u32_e32 v52, 32, v50
	v_subrev_u32_e32 v50, 28, v52
	v_lshlrev_b64 v[50:51], v50, v[6:7]
	v_lshrrev_b32_e32 v49, 3, v48
	v_sub_u32_e32 v51, 29, v52
	v_and_b32_e32 v50, 7, v50
	v_cmp_gt_u32_e64 s[0:1], 8, v48
	v_cndmask_b32_e64 v48, v49, v51, s[0:1]
	v_cndmask_b32_e64 v12, v12, v50, s[0:1]
	v_lshlrev_b32_e32 v6, 24, v6
	v_lshlrev_b32_e32 v12, 20, v12
	v_and_b32_e32 v6, 0x80000000, v6
	v_lshl_add_u32 v48, v48, 23, v11
	v_or3_b32 v12, v6, v48, v12
.LBB363_463:                            ;   in Loop: Header=BB363_283 Depth=1
	s_or_b64 exec, exec, s[14:15]
.LBB363_464:                            ;   in Loop: Header=BB363_283 Depth=1
	s_or_b64 exec, exec, s[12:13]
.LBB363_465:                            ;   in Loop: Header=BB363_283 Depth=1
	s_or_b64 exec, exec, s[10:11]
	v_mul_f32_e32 v6, s16, v12
	v_and_b32_e32 v12, 0x7f800000, v6
	v_cmp_ne_u32_e64 s[0:1], s18, v12
                                        ; implicit-def: $vgpr48
	s_and_saveexec_b64 s[10:11], s[0:1]
	s_xor_b64 s[0:1], exec, s[10:11]
; %bb.466:                              ;   in Loop: Header=BB363_283 Depth=1
	v_bfe_u32 v12, v6, 16, 1
	v_add3_u32 v48, v6, v12, s19
                                        ; implicit-def: $vgpr6
; %bb.467:                              ;   in Loop: Header=BB363_283 Depth=1
	s_andn2_saveexec_b64 s[10:11], s[0:1]
; %bb.468:                              ;   in Loop: Header=BB363_283 Depth=1
	v_or_b32_e32 v12, 0x10000, v6
	v_cmp_eq_u32_sdwa s[0:1], v6, v13 src0_sel:WORD_0 src1_sel:DWORD
	v_cndmask_b32_e64 v48, v12, v6, s[0:1]
; %bb.469:                              ;   in Loop: Header=BB363_283 Depth=1
	s_or_b64 exec, exec, s[10:11]
	v_mov_b32_e32 v12, v5
	v_cmp_ne_u16_sdwa s[0:1], v5, v13 src0_sel:BYTE_0 src1_sel:DWORD
	v_mov_b32_e32 v6, 0
	s_and_saveexec_b64 s[10:11], s[0:1]
	s_cbranch_execz .LBB363_475
; %bb.470:                              ;   in Loop: Header=BB363_283 Depth=1
	v_cmp_ne_u16_sdwa s[0:1], v5, s20 src0_sel:BYTE_0 src1_sel:DWORD
	v_bfrev_b32_e32 v6, 1
	s_and_saveexec_b64 s[12:13], s[0:1]
	s_cbranch_execz .LBB363_474
; %bb.471:                              ;   in Loop: Header=BB363_283 Depth=1
	v_and_b32_e32 v49, 0x7f, v5
	v_cmp_ne_u32_e64 s[0:1], s21, v49
	v_mov_b32_e32 v6, 0x7f800001
	s_and_saveexec_b64 s[14:15], s[0:1]
	s_cbranch_execz .LBB363_473
; %bb.472:                              ;   in Loop: Header=BB363_283 Depth=1
	v_and_b32_e32 v6, 7, v5
	v_ffbh_u32_e32 v6, v6
	v_min_u32_e32 v6, 32, v6
	v_subrev_u32_e32 v51, 28, v6
	v_cmp_gt_u32_e64 s[0:1], 8, v49
	v_lshrrev_b32_e32 v50, 3, v49
	v_sub_u32_e32 v6, 29, v6
	v_cndmask_b32_e64 v49, 0, v51, s[0:1]
	v_cndmask_b32_e64 v6, v50, v6, s[0:1]
	v_lshlrev_b64 v[50:51], v49, v[12:13]
	v_lshlrev_b32_e32 v49, 20, v50
	v_lshlrev_b32_e32 v50, 24, v12
	v_and_b32_e32 v49, 0x700000, v49
	v_and_b32_e32 v50, 0x80000000, v50
	v_lshl_add_u32 v6, v6, 23, v11
	v_or3_b32 v6, v50, v6, v49
.LBB363_473:                            ;   in Loop: Header=BB363_283 Depth=1
	s_or_b64 exec, exec, s[14:15]
.LBB363_474:                            ;   in Loop: Header=BB363_283 Depth=1
	s_or_b64 exec, exec, s[12:13]
.LBB363_475:                            ;   in Loop: Header=BB363_283 Depth=1
	s_or_b64 exec, exec, s[10:11]
	v_mul_f32_e32 v6, s16, v6
	v_and_b32_e32 v49, 0x7f800000, v6
	v_cmp_ne_u32_e64 s[0:1], s18, v49
                                        ; implicit-def: $vgpr49
	s_and_saveexec_b64 s[10:11], s[0:1]
	s_xor_b64 s[0:1], exec, s[10:11]
; %bb.476:                              ;   in Loop: Header=BB363_283 Depth=1
	v_bfe_u32 v49, v6, 16, 1
	v_add3_u32 v49, v6, v49, s19
                                        ; implicit-def: $vgpr6
; %bb.477:                              ;   in Loop: Header=BB363_283 Depth=1
	s_andn2_saveexec_b64 s[10:11], s[0:1]
; %bb.478:                              ;   in Loop: Header=BB363_283 Depth=1
	v_or_b32_e32 v49, 0x10000, v6
	v_cmp_eq_u32_sdwa s[0:1], v6, v13 src0_sel:WORD_0 src1_sel:DWORD
	v_cndmask_b32_e64 v49, v49, v6, s[0:1]
; %bb.479:                              ;   in Loop: Header=BB363_283 Depth=1
	s_or_b64 exec, exec, s[10:11]
	v_lshrrev_b16_e32 v6, 8, v12
	v_cmp_ne_u16_e64 s[0:1], 0, v6
	v_mov_b32_e32 v50, 0
	s_and_saveexec_b64 s[10:11], s[0:1]
	s_cbranch_execz .LBB363_485
; %bb.480:                              ;   in Loop: Header=BB363_283 Depth=1
	v_cmp_ne_u16_e64 s[0:1], s20, v6
	v_bfrev_b32_e32 v50, 1
	s_and_saveexec_b64 s[12:13], s[0:1]
	s_cbranch_execz .LBB363_484
; %bb.481:                              ;   in Loop: Header=BB363_283 Depth=1
	v_and_b32_e32 v51, 0x7f, v6
	v_cmp_ne_u32_e64 s[0:1], s21, v51
	v_mov_b32_e32 v50, 0x7f800001
	s_and_saveexec_b64 s[14:15], s[0:1]
	s_cbranch_execz .LBB363_483
; %bb.482:                              ;   in Loop: Header=BB363_283 Depth=1
	v_and_b32_e32 v50, 7, v6
	v_ffbh_u32_e32 v52, v50
	v_min_u32_e32 v55, 32, v52
	v_subrev_u32_e32 v52, 28, v55
	v_lshlrev_b64 v[52:53], v52, v[6:7]
	v_lshrrev_b32_e32 v54, 3, v51
	v_sub_u32_e32 v6, 29, v55
	v_and_b32_e32 v52, 7, v52
	v_cmp_gt_u32_e64 s[0:1], 8, v51
	v_cndmask_b32_e64 v6, v54, v6, s[0:1]
	v_cndmask_b32_e64 v50, v50, v52, s[0:1]
	v_lshlrev_b32_e32 v12, 16, v12
	v_lshlrev_b32_e32 v50, 20, v50
	v_and_b32_e32 v12, 0x80000000, v12
	v_lshl_add_u32 v6, v6, 23, v11
	v_or3_b32 v50, v12, v6, v50
.LBB363_483:                            ;   in Loop: Header=BB363_283 Depth=1
	s_or_b64 exec, exec, s[14:15]
.LBB363_484:                            ;   in Loop: Header=BB363_283 Depth=1
	s_or_b64 exec, exec, s[12:13]
.LBB363_485:                            ;   in Loop: Header=BB363_283 Depth=1
	s_or_b64 exec, exec, s[10:11]
	v_mul_f32_e32 v6, s16, v50
	v_and_b32_e32 v12, 0x7f800000, v6
	v_cmp_ne_u32_e64 s[0:1], s18, v12
                                        ; implicit-def: $vgpr12
	s_and_saveexec_b64 s[10:11], s[0:1]
	s_xor_b64 s[0:1], exec, s[10:11]
; %bb.486:                              ;   in Loop: Header=BB363_283 Depth=1
	v_bfe_u32 v12, v6, 16, 1
	v_add3_u32 v12, v6, v12, s19
                                        ; implicit-def: $vgpr6
; %bb.487:                              ;   in Loop: Header=BB363_283 Depth=1
	s_andn2_saveexec_b64 s[10:11], s[0:1]
; %bb.488:                              ;   in Loop: Header=BB363_283 Depth=1
	v_or_b32_e32 v12, 0x10000, v6
	v_cmp_eq_u32_sdwa s[0:1], v6, v13 src0_sel:WORD_0 src1_sel:DWORD
	v_cndmask_b32_e64 v12, v12, v6, s[0:1]
; %bb.489:                              ;   in Loop: Header=BB363_283 Depth=1
	s_or_b64 exec, exec, s[10:11]
	v_lshrrev_b32_e32 v6, 16, v5
	v_cmp_ne_u16_sdwa s[0:1], v6, v13 src0_sel:BYTE_0 src1_sel:DWORD
	v_mov_b32_e32 v50, 0
	s_and_saveexec_b64 s[10:11], s[0:1]
	s_cbranch_execz .LBB363_495
; %bb.490:                              ;   in Loop: Header=BB363_283 Depth=1
	v_cmp_ne_u16_sdwa s[0:1], v6, s20 src0_sel:BYTE_0 src1_sel:DWORD
	v_bfrev_b32_e32 v50, 1
	s_and_saveexec_b64 s[12:13], s[0:1]
	s_cbranch_execz .LBB363_494
; %bb.491:                              ;   in Loop: Header=BB363_283 Depth=1
	v_bfe_u32 v51, v5, 16, 7
	v_cmp_ne_u32_e64 s[0:1], s21, v51
	v_mov_b32_e32 v50, 0x7f800001
	s_and_saveexec_b64 s[14:15], s[0:1]
	s_cbranch_execz .LBB363_493
; %bb.492:                              ;   in Loop: Header=BB363_283 Depth=1
	v_and_b32_e32 v50, 7, v6
	v_ffbh_u32_e32 v52, v50
	v_min_u32_e32 v55, 32, v52
	v_subrev_u32_e32 v52, 28, v55
	v_lshlrev_b64 v[52:53], v52, v[6:7]
	v_lshrrev_b32_e32 v54, 3, v51
	v_sub_u32_e32 v53, 29, v55
	v_and_b32_e32 v52, 7, v52
	v_cmp_gt_u32_e64 s[0:1], 8, v51
	v_cndmask_b32_e64 v51, v54, v53, s[0:1]
	v_cndmask_b32_e64 v50, v50, v52, s[0:1]
	v_lshlrev_b32_e32 v6, 24, v6
	v_lshlrev_b32_e32 v50, 20, v50
	v_and_b32_e32 v6, 0x80000000, v6
	v_lshl_add_u32 v51, v51, 23, v11
	v_or3_b32 v50, v6, v51, v50
.LBB363_493:                            ;   in Loop: Header=BB363_283 Depth=1
	s_or_b64 exec, exec, s[14:15]
.LBB363_494:                            ;   in Loop: Header=BB363_283 Depth=1
	s_or_b64 exec, exec, s[12:13]
.LBB363_495:                            ;   in Loop: Header=BB363_283 Depth=1
	s_or_b64 exec, exec, s[10:11]
	v_mul_f32_e32 v50, s16, v50
	v_and_b32_e32 v6, 0x7f800000, v50
	v_cmp_ne_u32_e64 s[0:1], s18, v6
                                        ; implicit-def: $vgpr6
	s_and_saveexec_b64 s[10:11], s[0:1]
	s_xor_b64 s[0:1], exec, s[10:11]
; %bb.496:                              ;   in Loop: Header=BB363_283 Depth=1
	v_bfe_u32 v6, v50, 16, 1
	v_add3_u32 v6, v50, v6, s19
                                        ; implicit-def: $vgpr50
; %bb.497:                              ;   in Loop: Header=BB363_283 Depth=1
	s_andn2_saveexec_b64 s[10:11], s[0:1]
; %bb.498:                              ;   in Loop: Header=BB363_283 Depth=1
	v_or_b32_e32 v6, 0x10000, v50
	v_cmp_eq_u32_sdwa s[0:1], v50, v13 src0_sel:WORD_0 src1_sel:DWORD
	v_cndmask_b32_e64 v6, v6, v50, s[0:1]
; %bb.499:                              ;   in Loop: Header=BB363_283 Depth=1
	s_or_b64 exec, exec, s[10:11]
	v_cmp_lt_u64_e64 s[0:1], s[4:5], v[4:5]
	v_mov_b32_e32 v50, 0
	s_and_saveexec_b64 s[10:11], s[0:1]
	s_cbranch_execz .LBB363_505
; %bb.500:                              ;   in Loop: Header=BB363_283 Depth=1
	v_lshrrev_b32_e32 v4, 24, v5
	v_cmp_ne_u32_e64 s[0:1], s20, v4
	v_bfrev_b32_e32 v50, 1
	s_and_saveexec_b64 s[12:13], s[0:1]
	s_cbranch_execz .LBB363_504
; %bb.501:                              ;   in Loop: Header=BB363_283 Depth=1
	v_bfe_u32 v5, v5, 24, 7
	v_cmp_ne_u32_e64 s[0:1], s21, v5
	v_mov_b32_e32 v50, 0x7f800001
	s_and_saveexec_b64 s[14:15], s[0:1]
	s_cbranch_execz .LBB363_503
; %bb.502:                              ;   in Loop: Header=BB363_283 Depth=1
	v_and_b32_e32 v52, 7, v4
	v_ffbh_u32_e32 v50, v52
	v_min_u32_e32 v54, 32, v50
	v_subrev_u32_e32 v50, 28, v54
	v_lshlrev_b64 v[50:51], v50, v[4:5]
	v_lshrrev_b32_e32 v53, 3, v5
	v_sub_u32_e32 v51, 29, v54
	v_and_b32_e32 v50, 7, v50
	v_cmp_gt_u32_e64 s[0:1], 8, v5
	v_cndmask_b32_e64 v5, v53, v51, s[0:1]
	v_cndmask_b32_e64 v50, v52, v50, s[0:1]
	v_lshlrev_b32_e32 v4, 24, v4
	v_lshlrev_b32_e32 v50, 20, v50
	v_and_b32_e32 v4, 0x80000000, v4
	v_lshl_add_u32 v5, v5, 23, v11
	v_or3_b32 v50, v4, v5, v50
.LBB363_503:                            ;   in Loop: Header=BB363_283 Depth=1
	s_or_b64 exec, exec, s[14:15]
.LBB363_504:                            ;   in Loop: Header=BB363_283 Depth=1
	s_or_b64 exec, exec, s[12:13]
.LBB363_505:                            ;   in Loop: Header=BB363_283 Depth=1
	s_or_b64 exec, exec, s[10:11]
	v_mul_f32_e32 v5, s16, v50
	v_and_b32_e32 v4, 0x7f800000, v5
	v_cmp_ne_u32_e64 s[0:1], s18, v4
                                        ; implicit-def: $vgpr4
	s_and_saveexec_b64 s[10:11], s[0:1]
	s_xor_b64 s[0:1], exec, s[10:11]
; %bb.506:                              ;   in Loop: Header=BB363_283 Depth=1
	v_bfe_u32 v4, v5, 16, 1
	v_add3_u32 v4, v5, v4, s19
                                        ; implicit-def: $vgpr5
; %bb.507:                              ;   in Loop: Header=BB363_283 Depth=1
	s_andn2_saveexec_b64 s[10:11], s[0:1]
; %bb.508:                              ;   in Loop: Header=BB363_283 Depth=1
	v_or_b32_e32 v4, 0x10000, v5
	v_cmp_eq_u32_sdwa s[0:1], v5, v13 src0_sel:WORD_0 src1_sel:DWORD
	v_cndmask_b32_e64 v4, v4, v5, s[0:1]
; %bb.509:                              ;   in Loop: Header=BB363_283 Depth=1
	s_or_b64 exec, exec, s[10:11]
	v_lshrrev_b32_e32 v50, 16, v12
	v_lshrrev_b32_e32 v49, 16, v49
	;; [unrolled: 1-line block ×8, first 2 shown]
	s_and_saveexec_b64 s[10:11], vcc
	s_cbranch_execz .LBB363_511
; %bb.510:                              ;   in Loop: Header=BB363_283 Depth=1
	v_cmp_gt_i32_e64 s[0:1], s33, v29
	v_cndmask_b32_e64 v5, 0, v5, s[0:1]
	v_cmp_gt_i32_e64 s[0:1], s33, v35
	v_cndmask_b32_e64 v46, 0, v46, s[0:1]
	;; [unrolled: 2-line block ×8, first 2 shown]
.LBB363_511:                            ;   in Loop: Header=BB363_283 Depth=1
	s_or_b64 exec, exec, s[10:11]
	v_lshlrev_b32_e32 v5, 16, v5
	v_mul_f32_e32 v6, v37, v5
	v_and_b32_e32 v5, 0x7f800000, v6
	v_cmp_ne_u32_e64 s[0:1], s18, v5
                                        ; implicit-def: $vgpr5
	s_and_saveexec_b64 s[10:11], s[0:1]
	s_xor_b64 s[0:1], exec, s[10:11]
; %bb.512:                              ;   in Loop: Header=BB363_283 Depth=1
	v_bfe_u32 v5, v6, 16, 1
	v_add3_u32 v5, v6, v5, s19
                                        ; implicit-def: $vgpr6
; %bb.513:                              ;   in Loop: Header=BB363_283 Depth=1
	s_andn2_saveexec_b64 s[10:11], s[0:1]
; %bb.514:                              ;   in Loop: Header=BB363_283 Depth=1
	v_or_b32_e32 v5, 0x10000, v6
	v_cmp_eq_u32_sdwa s[0:1], v6, v13 src0_sel:WORD_0 src1_sel:DWORD
	v_cndmask_b32_e64 v5, v5, v6, s[0:1]
; %bb.515:                              ;   in Loop: Header=BB363_283 Depth=1
	s_or_b64 exec, exec, s[10:11]
	v_lshlrev_b32_e32 v6, 16, v46
	v_mul_f32_e32 v45, v38, v6
	v_and_b32_e32 v6, 0x7f800000, v45
	v_cmp_ne_u32_e64 s[0:1], s18, v6
                                        ; implicit-def: $vgpr6
	s_and_saveexec_b64 s[10:11], s[0:1]
	s_xor_b64 s[0:1], exec, s[10:11]
; %bb.516:                              ;   in Loop: Header=BB363_283 Depth=1
	v_bfe_u32 v6, v45, 16, 1
	v_add3_u32 v6, v45, v6, s19
                                        ; implicit-def: $vgpr45
; %bb.517:                              ;   in Loop: Header=BB363_283 Depth=1
	s_andn2_saveexec_b64 s[10:11], s[0:1]
; %bb.518:                              ;   in Loop: Header=BB363_283 Depth=1
	v_or_b32_e32 v6, 0x10000, v45
	v_cmp_eq_u32_sdwa s[0:1], v45, v13 src0_sel:WORD_0 src1_sel:DWORD
	v_cndmask_b32_e64 v6, v6, v45, s[0:1]
; %bb.519:                              ;   in Loop: Header=BB363_283 Depth=1
	s_or_b64 exec, exec, s[10:11]
	v_lshlrev_b32_e32 v45, 16, v47
	v_mul_f32_e32 v46, v39, v45
	v_and_b32_e32 v45, 0x7f800000, v46
	v_cmp_ne_u32_e64 s[0:1], s18, v45
                                        ; implicit-def: $vgpr45
	s_and_saveexec_b64 s[10:11], s[0:1]
	s_xor_b64 s[0:1], exec, s[10:11]
; %bb.520:                              ;   in Loop: Header=BB363_283 Depth=1
	v_bfe_u32 v45, v46, 16, 1
	v_add3_u32 v45, v46, v45, s19
                                        ; implicit-def: $vgpr46
; %bb.521:                              ;   in Loop: Header=BB363_283 Depth=1
	s_andn2_saveexec_b64 s[10:11], s[0:1]
; %bb.522:                              ;   in Loop: Header=BB363_283 Depth=1
	v_or_b32_e32 v45, 0x10000, v46
	v_cmp_eq_u32_sdwa s[0:1], v46, v13 src0_sel:WORD_0 src1_sel:DWORD
	v_cndmask_b32_e64 v45, v45, v46, s[0:1]
; %bb.523:                              ;   in Loop: Header=BB363_283 Depth=1
	s_or_b64 exec, exec, s[10:11]
	v_lshlrev_b32_e32 v46, 16, v48
	v_mul_f32_e32 v47, v40, v46
	v_and_b32_e32 v46, 0x7f800000, v47
	v_cmp_ne_u32_e64 s[0:1], s18, v46
                                        ; implicit-def: $vgpr46
	s_and_saveexec_b64 s[10:11], s[0:1]
	s_xor_b64 s[0:1], exec, s[10:11]
; %bb.524:                              ;   in Loop: Header=BB363_283 Depth=1
	v_bfe_u32 v46, v47, 16, 1
	v_add3_u32 v46, v47, v46, s19
                                        ; implicit-def: $vgpr47
; %bb.525:                              ;   in Loop: Header=BB363_283 Depth=1
	s_andn2_saveexec_b64 s[10:11], s[0:1]
; %bb.526:                              ;   in Loop: Header=BB363_283 Depth=1
	v_or_b32_e32 v46, 0x10000, v47
	v_cmp_eq_u32_sdwa s[0:1], v47, v13 src0_sel:WORD_0 src1_sel:DWORD
	v_cndmask_b32_e64 v46, v46, v47, s[0:1]
; %bb.527:                              ;   in Loop: Header=BB363_283 Depth=1
	s_or_b64 exec, exec, s[10:11]
	v_lshlrev_b32_e32 v47, 16, v49
	v_mul_f32_e32 v48, v41, v47
	v_and_b32_e32 v47, 0x7f800000, v48
	v_cmp_ne_u32_e64 s[0:1], s18, v47
                                        ; implicit-def: $vgpr47
	s_and_saveexec_b64 s[10:11], s[0:1]
	s_xor_b64 s[0:1], exec, s[10:11]
; %bb.528:                              ;   in Loop: Header=BB363_283 Depth=1
	v_bfe_u32 v47, v48, 16, 1
	v_add3_u32 v47, v48, v47, s19
                                        ; implicit-def: $vgpr48
; %bb.529:                              ;   in Loop: Header=BB363_283 Depth=1
	s_andn2_saveexec_b64 s[10:11], s[0:1]
; %bb.530:                              ;   in Loop: Header=BB363_283 Depth=1
	v_or_b32_e32 v47, 0x10000, v48
	v_cmp_eq_u32_sdwa s[0:1], v48, v13 src0_sel:WORD_0 src1_sel:DWORD
	v_cndmask_b32_e64 v47, v47, v48, s[0:1]
; %bb.531:                              ;   in Loop: Header=BB363_283 Depth=1
	s_or_b64 exec, exec, s[10:11]
	v_lshlrev_b32_e32 v48, 16, v50
	v_mul_f32_e32 v49, v42, v48
	v_and_b32_e32 v48, 0x7f800000, v49
	v_cmp_ne_u32_e64 s[0:1], s18, v48
                                        ; implicit-def: $vgpr48
	s_and_saveexec_b64 s[10:11], s[0:1]
	s_xor_b64 s[0:1], exec, s[10:11]
; %bb.532:                              ;   in Loop: Header=BB363_283 Depth=1
	v_bfe_u32 v48, v49, 16, 1
	v_add3_u32 v48, v49, v48, s19
                                        ; implicit-def: $vgpr49
; %bb.533:                              ;   in Loop: Header=BB363_283 Depth=1
	s_andn2_saveexec_b64 s[10:11], s[0:1]
; %bb.534:                              ;   in Loop: Header=BB363_283 Depth=1
	v_or_b32_e32 v48, 0x10000, v49
	v_cmp_eq_u32_sdwa s[0:1], v49, v13 src0_sel:WORD_0 src1_sel:DWORD
	v_cndmask_b32_e64 v48, v48, v49, s[0:1]
; %bb.535:                              ;   in Loop: Header=BB363_283 Depth=1
	s_or_b64 exec, exec, s[10:11]
	v_lshlrev_b32_e32 v12, 16, v12
	v_mul_f32_e32 v12, v43, v12
	v_and_b32_e32 v49, 0x7f800000, v12
	v_cmp_ne_u32_e64 s[0:1], s18, v49
                                        ; implicit-def: $vgpr49
	s_and_saveexec_b64 s[10:11], s[0:1]
	s_xor_b64 s[0:1], exec, s[10:11]
; %bb.536:                              ;   in Loop: Header=BB363_283 Depth=1
	v_bfe_u32 v49, v12, 16, 1
	v_add3_u32 v49, v12, v49, s19
                                        ; implicit-def: $vgpr12
; %bb.537:                              ;   in Loop: Header=BB363_283 Depth=1
	s_andn2_saveexec_b64 s[10:11], s[0:1]
; %bb.538:                              ;   in Loop: Header=BB363_283 Depth=1
	v_or_b32_e32 v49, 0x10000, v12
	v_cmp_eq_u32_sdwa s[0:1], v12, v13 src0_sel:WORD_0 src1_sel:DWORD
	v_cndmask_b32_e64 v49, v49, v12, s[0:1]
; %bb.539:                              ;   in Loop: Header=BB363_283 Depth=1
	s_or_b64 exec, exec, s[10:11]
	v_lshlrev_b32_e32 v4, 16, v4
	v_mul_f32_e32 v4, v44, v4
	v_and_b32_e32 v12, 0x7f800000, v4
	v_cmp_ne_u32_e64 s[0:1], s18, v12
                                        ; implicit-def: $vgpr50
	s_and_saveexec_b64 s[10:11], s[0:1]
	s_xor_b64 s[0:1], exec, s[10:11]
; %bb.540:                              ;   in Loop: Header=BB363_283 Depth=1
	v_bfe_u32 v12, v4, 16, 1
	v_add3_u32 v50, v4, v12, s19
                                        ; implicit-def: $vgpr4
; %bb.541:                              ;   in Loop: Header=BB363_283 Depth=1
	s_andn2_saveexec_b64 s[10:11], s[0:1]
; %bb.542:                              ;   in Loop: Header=BB363_283 Depth=1
	v_or_b32_e32 v12, 0x10000, v4
	v_cmp_eq_u32_sdwa s[0:1], v4, v13 src0_sel:WORD_0 src1_sel:DWORD
	v_cndmask_b32_e64 v50, v12, v4, s[0:1]
; %bb.543:                              ;   in Loop: Header=BB363_283 Depth=1
	s_or_b64 exec, exec, s[10:11]
	global_load_dwordx2 v[2:3], v[2:3], off offset:1024
	v_mov_b32_e32 v4, 0
	s_waitcnt vmcnt(0)
	v_cmp_ne_u16_sdwa s[0:1], v2, v13 src0_sel:BYTE_0 src1_sel:DWORD
	s_and_saveexec_b64 s[10:11], s[0:1]
	s_cbranch_execz .LBB363_549
; %bb.544:                              ;   in Loop: Header=BB363_283 Depth=1
	v_cmp_ne_u16_sdwa s[0:1], v2, s20 src0_sel:BYTE_0 src1_sel:DWORD
	v_bfrev_b32_e32 v4, 1
	s_and_saveexec_b64 s[12:13], s[0:1]
	s_cbranch_execz .LBB363_548
; %bb.545:                              ;   in Loop: Header=BB363_283 Depth=1
	v_and_b32_e32 v12, 0x7f, v2
	v_cmp_ne_u32_e64 s[0:1], s21, v12
	v_mov_b32_e32 v4, 0x7f800001
	s_and_saveexec_b64 s[14:15], s[0:1]
	s_cbranch_execz .LBB363_547
; %bb.546:                              ;   in Loop: Header=BB363_283 Depth=1
	v_and_b32_e32 v4, 7, v2
	v_ffbh_u32_e32 v4, v4
	v_min_u32_e32 v4, 32, v4
	v_subrev_u32_e32 v52, 28, v4
	v_cmp_gt_u32_e64 s[0:1], 8, v12
	v_lshrrev_b32_e32 v51, 3, v12
	v_cndmask_b32_e64 v12, 0, v52, s[0:1]
	v_sub_u32_e32 v4, 29, v4
	v_lshlrev_b64 v[52:53], v12, v[2:3]
	v_cndmask_b32_e64 v4, v51, v4, s[0:1]
	v_lshlrev_b32_e32 v12, 20, v52
	v_lshlrev_b32_e32 v51, 24, v2
	v_and_b32_e32 v12, 0x700000, v12
	v_and_b32_e32 v51, 0x80000000, v51
	v_lshl_add_u32 v4, v4, 23, v11
	v_or3_b32 v4, v51, v4, v12
.LBB363_547:                            ;   in Loop: Header=BB363_283 Depth=1
	s_or_b64 exec, exec, s[14:15]
.LBB363_548:                            ;   in Loop: Header=BB363_283 Depth=1
	s_or_b64 exec, exec, s[12:13]
.LBB363_549:                            ;   in Loop: Header=BB363_283 Depth=1
	s_or_b64 exec, exec, s[10:11]
	v_mul_f32_e32 v4, s16, v4
	v_and_b32_e32 v12, 0x7f800000, v4
	v_cmp_ne_u32_e64 s[0:1], s18, v12
                                        ; implicit-def: $vgpr51
	s_and_saveexec_b64 s[10:11], s[0:1]
	s_xor_b64 s[0:1], exec, s[10:11]
; %bb.550:                              ;   in Loop: Header=BB363_283 Depth=1
	v_bfe_u32 v12, v4, 16, 1
	v_add3_u32 v51, v4, v12, s19
                                        ; implicit-def: $vgpr4
; %bb.551:                              ;   in Loop: Header=BB363_283 Depth=1
	s_andn2_saveexec_b64 s[10:11], s[0:1]
; %bb.552:                              ;   in Loop: Header=BB363_283 Depth=1
	v_or_b32_e32 v12, 0x10000, v4
	v_cmp_eq_u32_sdwa s[0:1], v4, v13 src0_sel:WORD_0 src1_sel:DWORD
	v_cndmask_b32_e64 v51, v12, v4, s[0:1]
; %bb.553:                              ;   in Loop: Header=BB363_283 Depth=1
	s_or_b64 exec, exec, s[10:11]
	v_lshrrev_b16_e32 v4, 8, v2
	v_cmp_ne_u16_e64 s[0:1], 0, v4
	v_mov_b32_e32 v12, 0
	s_and_saveexec_b64 s[10:11], s[0:1]
	s_cbranch_execz .LBB363_559
; %bb.554:                              ;   in Loop: Header=BB363_283 Depth=1
	v_cmp_ne_u16_e64 s[0:1], s20, v4
	v_bfrev_b32_e32 v12, 1
	s_and_saveexec_b64 s[12:13], s[0:1]
	s_cbranch_execz .LBB363_558
; %bb.555:                              ;   in Loop: Header=BB363_283 Depth=1
	v_and_b32_e32 v52, 0x7f, v4
	v_cmp_ne_u32_e64 s[0:1], s21, v52
	v_mov_b32_e32 v12, 0x7f800001
	s_and_saveexec_b64 s[14:15], s[0:1]
	s_cbranch_execz .LBB363_557
; %bb.556:                              ;   in Loop: Header=BB363_283 Depth=1
	v_and_b32_e32 v12, 7, v4
	v_ffbh_u32_e32 v54, v12
	v_min_u32_e32 v56, 32, v54
	v_subrev_u32_e32 v54, 28, v56
	v_lshlrev_b64 v[54:55], v54, v[4:5]
	v_lshrrev_b32_e32 v53, 3, v52
	v_sub_u32_e32 v4, 29, v56
	v_and_b32_e32 v54, 7, v54
	v_cmp_gt_u32_e64 s[0:1], 8, v52
	v_cndmask_b32_e64 v4, v53, v4, s[0:1]
	v_cndmask_b32_e64 v12, v12, v54, s[0:1]
	v_lshlrev_b32_e32 v52, 16, v2
	v_lshlrev_b32_e32 v12, 20, v12
	v_and_b32_e32 v52, 0x80000000, v52
	v_lshl_add_u32 v4, v4, 23, v11
	v_or3_b32 v12, v52, v4, v12
.LBB363_557:                            ;   in Loop: Header=BB363_283 Depth=1
	s_or_b64 exec, exec, s[14:15]
.LBB363_558:                            ;   in Loop: Header=BB363_283 Depth=1
	s_or_b64 exec, exec, s[12:13]
.LBB363_559:                            ;   in Loop: Header=BB363_283 Depth=1
	s_or_b64 exec, exec, s[10:11]
	v_mul_f32_e32 v4, s16, v12
	v_and_b32_e32 v12, 0x7f800000, v4
	v_cmp_ne_u32_e64 s[0:1], s18, v12
                                        ; implicit-def: $vgpr52
	s_and_saveexec_b64 s[10:11], s[0:1]
	s_xor_b64 s[0:1], exec, s[10:11]
; %bb.560:                              ;   in Loop: Header=BB363_283 Depth=1
	v_bfe_u32 v12, v4, 16, 1
	v_add3_u32 v52, v4, v12, s19
                                        ; implicit-def: $vgpr4
; %bb.561:                              ;   in Loop: Header=BB363_283 Depth=1
	s_andn2_saveexec_b64 s[10:11], s[0:1]
; %bb.562:                              ;   in Loop: Header=BB363_283 Depth=1
	v_or_b32_e32 v12, 0x10000, v4
	v_cmp_eq_u32_sdwa s[0:1], v4, v13 src0_sel:WORD_0 src1_sel:DWORD
	v_cndmask_b32_e64 v52, v12, v4, s[0:1]
; %bb.563:                              ;   in Loop: Header=BB363_283 Depth=1
	s_or_b64 exec, exec, s[10:11]
	v_lshrrev_b32_e32 v4, 16, v2
	v_cmp_ne_u16_sdwa s[0:1], v4, v13 src0_sel:BYTE_0 src1_sel:DWORD
	v_mov_b32_e32 v12, 0
	s_and_saveexec_b64 s[10:11], s[0:1]
	s_cbranch_execz .LBB363_569
; %bb.564:                              ;   in Loop: Header=BB363_283 Depth=1
	v_cmp_ne_u16_sdwa s[0:1], v4, s20 src0_sel:BYTE_0 src1_sel:DWORD
	v_bfrev_b32_e32 v12, 1
	s_and_saveexec_b64 s[12:13], s[0:1]
	s_cbranch_execz .LBB363_568
; %bb.565:                              ;   in Loop: Header=BB363_283 Depth=1
	v_bfe_u32 v53, v2, 16, 7
	v_cmp_ne_u32_e64 s[0:1], s21, v53
	v_mov_b32_e32 v12, 0x7f800001
	s_and_saveexec_b64 s[14:15], s[0:1]
	s_cbranch_execz .LBB363_567
; %bb.566:                              ;   in Loop: Header=BB363_283 Depth=1
	v_and_b32_e32 v12, 7, v4
	v_ffbh_u32_e32 v54, v12
	v_min_u32_e32 v57, 32, v54
	v_subrev_u32_e32 v54, 28, v57
	v_lshlrev_b64 v[54:55], v54, v[4:5]
	v_lshrrev_b32_e32 v56, 3, v53
	v_sub_u32_e32 v55, 29, v57
	v_and_b32_e32 v54, 7, v54
	v_cmp_gt_u32_e64 s[0:1], 8, v53
	v_cndmask_b32_e64 v53, v56, v55, s[0:1]
	v_cndmask_b32_e64 v12, v12, v54, s[0:1]
	v_lshlrev_b32_e32 v4, 24, v4
	v_lshlrev_b32_e32 v12, 20, v12
	v_and_b32_e32 v4, 0x80000000, v4
	v_lshl_add_u32 v53, v53, 23, v11
	v_or3_b32 v12, v4, v53, v12
.LBB363_567:                            ;   in Loop: Header=BB363_283 Depth=1
	s_or_b64 exec, exec, s[14:15]
.LBB363_568:                            ;   in Loop: Header=BB363_283 Depth=1
	s_or_b64 exec, exec, s[12:13]
.LBB363_569:                            ;   in Loop: Header=BB363_283 Depth=1
	s_or_b64 exec, exec, s[10:11]
	v_mul_f32_e32 v4, s16, v12
	v_and_b32_e32 v12, 0x7f800000, v4
	v_cmp_ne_u32_e64 s[0:1], s18, v12
                                        ; implicit-def: $vgpr53
	s_and_saveexec_b64 s[10:11], s[0:1]
	s_xor_b64 s[0:1], exec, s[10:11]
; %bb.570:                              ;   in Loop: Header=BB363_283 Depth=1
	v_bfe_u32 v12, v4, 16, 1
	v_add3_u32 v53, v4, v12, s19
                                        ; implicit-def: $vgpr4
; %bb.571:                              ;   in Loop: Header=BB363_283 Depth=1
	s_andn2_saveexec_b64 s[10:11], s[0:1]
; %bb.572:                              ;   in Loop: Header=BB363_283 Depth=1
	v_or_b32_e32 v12, 0x10000, v4
	v_cmp_eq_u32_sdwa s[0:1], v4, v13 src0_sel:WORD_0 src1_sel:DWORD
	v_cndmask_b32_e64 v53, v12, v4, s[0:1]
; %bb.573:                              ;   in Loop: Header=BB363_283 Depth=1
	s_or_b64 exec, exec, s[10:11]
	v_cmp_lt_u32_e64 s[0:1], s5, v2
	v_mov_b32_e32 v12, 0
	s_and_saveexec_b64 s[10:11], s[0:1]
	s_cbranch_execz .LBB363_579
; %bb.574:                              ;   in Loop: Header=BB363_283 Depth=1
	v_lshrrev_b32_e32 v4, 24, v2
	v_cmp_ne_u32_e64 s[0:1], s20, v4
	v_bfrev_b32_e32 v12, 1
	s_and_saveexec_b64 s[12:13], s[0:1]
	s_cbranch_execz .LBB363_578
; %bb.575:                              ;   in Loop: Header=BB363_283 Depth=1
	v_bfe_u32 v54, v2, 24, 7
	v_cmp_ne_u32_e64 s[0:1], s21, v54
	v_mov_b32_e32 v12, 0x7f800001
	s_and_saveexec_b64 s[14:15], s[0:1]
	s_cbranch_execz .LBB363_577
; %bb.576:                              ;   in Loop: Header=BB363_283 Depth=1
	v_and_b32_e32 v12, 7, v4
	v_ffbh_u32_e32 v56, v12
	v_min_u32_e32 v58, 32, v56
	v_subrev_u32_e32 v56, 28, v58
	v_lshlrev_b64 v[56:57], v56, v[4:5]
	v_lshrrev_b32_e32 v55, 3, v54
	v_sub_u32_e32 v57, 29, v58
	v_and_b32_e32 v56, 7, v56
	v_cmp_gt_u32_e64 s[0:1], 8, v54
	v_cndmask_b32_e64 v54, v55, v57, s[0:1]
	v_cndmask_b32_e64 v12, v12, v56, s[0:1]
	v_lshlrev_b32_e32 v4, 24, v4
	v_lshlrev_b32_e32 v12, 20, v12
	v_and_b32_e32 v4, 0x80000000, v4
	v_lshl_add_u32 v54, v54, 23, v11
	v_or3_b32 v12, v4, v54, v12
.LBB363_577:                            ;   in Loop: Header=BB363_283 Depth=1
	s_or_b64 exec, exec, s[14:15]
.LBB363_578:                            ;   in Loop: Header=BB363_283 Depth=1
	s_or_b64 exec, exec, s[12:13]
.LBB363_579:                            ;   in Loop: Header=BB363_283 Depth=1
	s_or_b64 exec, exec, s[10:11]
	v_mul_f32_e32 v4, s16, v12
	v_and_b32_e32 v12, 0x7f800000, v4
	v_cmp_ne_u32_e64 s[0:1], s18, v12
                                        ; implicit-def: $vgpr54
	s_and_saveexec_b64 s[10:11], s[0:1]
	s_xor_b64 s[0:1], exec, s[10:11]
; %bb.580:                              ;   in Loop: Header=BB363_283 Depth=1
	v_bfe_u32 v12, v4, 16, 1
	v_add3_u32 v54, v4, v12, s19
                                        ; implicit-def: $vgpr4
; %bb.581:                              ;   in Loop: Header=BB363_283 Depth=1
	s_andn2_saveexec_b64 s[10:11], s[0:1]
; %bb.582:                              ;   in Loop: Header=BB363_283 Depth=1
	v_or_b32_e32 v12, 0x10000, v4
	v_cmp_eq_u32_sdwa s[0:1], v4, v13 src0_sel:WORD_0 src1_sel:DWORD
	v_cndmask_b32_e64 v54, v12, v4, s[0:1]
; %bb.583:                              ;   in Loop: Header=BB363_283 Depth=1
	s_or_b64 exec, exec, s[10:11]
	v_mov_b32_e32 v12, v3
	v_cmp_ne_u16_sdwa s[0:1], v3, v13 src0_sel:BYTE_0 src1_sel:DWORD
	v_mov_b32_e32 v4, 0
	s_and_saveexec_b64 s[10:11], s[0:1]
	s_cbranch_execz .LBB363_589
; %bb.584:                              ;   in Loop: Header=BB363_283 Depth=1
	v_cmp_ne_u16_sdwa s[0:1], v3, s20 src0_sel:BYTE_0 src1_sel:DWORD
	v_bfrev_b32_e32 v4, 1
	s_and_saveexec_b64 s[12:13], s[0:1]
	s_cbranch_execz .LBB363_588
; %bb.585:                              ;   in Loop: Header=BB363_283 Depth=1
	v_and_b32_e32 v55, 0x7f, v3
	v_cmp_ne_u32_e64 s[0:1], s21, v55
	v_mov_b32_e32 v4, 0x7f800001
	s_and_saveexec_b64 s[14:15], s[0:1]
	s_cbranch_execz .LBB363_587
; %bb.586:                              ;   in Loop: Header=BB363_283 Depth=1
	v_and_b32_e32 v4, 7, v3
	v_ffbh_u32_e32 v4, v4
	v_min_u32_e32 v4, 32, v4
	v_subrev_u32_e32 v57, 28, v4
	v_cmp_gt_u32_e64 s[0:1], 8, v55
	v_lshrrev_b32_e32 v56, 3, v55
	v_sub_u32_e32 v4, 29, v4
	v_cndmask_b32_e64 v55, 0, v57, s[0:1]
	v_cndmask_b32_e64 v4, v56, v4, s[0:1]
	v_lshlrev_b64 v[56:57], v55, v[12:13]
	v_lshlrev_b32_e32 v55, 20, v56
	v_lshlrev_b32_e32 v56, 24, v12
	v_and_b32_e32 v55, 0x700000, v55
	v_and_b32_e32 v56, 0x80000000, v56
	v_lshl_add_u32 v4, v4, 23, v11
	v_or3_b32 v4, v56, v4, v55
.LBB363_587:                            ;   in Loop: Header=BB363_283 Depth=1
	s_or_b64 exec, exec, s[14:15]
.LBB363_588:                            ;   in Loop: Header=BB363_283 Depth=1
	s_or_b64 exec, exec, s[12:13]
.LBB363_589:                            ;   in Loop: Header=BB363_283 Depth=1
	s_or_b64 exec, exec, s[10:11]
	v_mul_f32_e32 v4, s16, v4
	v_and_b32_e32 v55, 0x7f800000, v4
	v_cmp_ne_u32_e64 s[0:1], s18, v55
                                        ; implicit-def: $vgpr55
	s_and_saveexec_b64 s[10:11], s[0:1]
	s_xor_b64 s[0:1], exec, s[10:11]
; %bb.590:                              ;   in Loop: Header=BB363_283 Depth=1
	v_bfe_u32 v55, v4, 16, 1
	v_add3_u32 v55, v4, v55, s19
                                        ; implicit-def: $vgpr4
; %bb.591:                              ;   in Loop: Header=BB363_283 Depth=1
	s_andn2_saveexec_b64 s[10:11], s[0:1]
; %bb.592:                              ;   in Loop: Header=BB363_283 Depth=1
	v_or_b32_e32 v55, 0x10000, v4
	v_cmp_eq_u32_sdwa s[0:1], v4, v13 src0_sel:WORD_0 src1_sel:DWORD
	v_cndmask_b32_e64 v55, v55, v4, s[0:1]
; %bb.593:                              ;   in Loop: Header=BB363_283 Depth=1
	s_or_b64 exec, exec, s[10:11]
	v_lshrrev_b16_e32 v4, 8, v12
	v_cmp_ne_u16_e64 s[0:1], 0, v4
	v_mov_b32_e32 v56, 0
	s_and_saveexec_b64 s[10:11], s[0:1]
	s_cbranch_execz .LBB363_599
; %bb.594:                              ;   in Loop: Header=BB363_283 Depth=1
	v_cmp_ne_u16_e64 s[0:1], s20, v4
	v_bfrev_b32_e32 v56, 1
	s_and_saveexec_b64 s[12:13], s[0:1]
	s_cbranch_execz .LBB363_598
; %bb.595:                              ;   in Loop: Header=BB363_283 Depth=1
	v_and_b32_e32 v57, 0x7f, v4
	v_cmp_ne_u32_e64 s[0:1], s21, v57
	v_mov_b32_e32 v56, 0x7f800001
	s_and_saveexec_b64 s[14:15], s[0:1]
	s_cbranch_execz .LBB363_597
; %bb.596:                              ;   in Loop: Header=BB363_283 Depth=1
	v_and_b32_e32 v56, 7, v4
	v_ffbh_u32_e32 v58, v56
	v_min_u32_e32 v61, 32, v58
	v_subrev_u32_e32 v58, 28, v61
	v_lshlrev_b64 v[58:59], v58, v[4:5]
	v_lshrrev_b32_e32 v60, 3, v57
	v_sub_u32_e32 v4, 29, v61
	v_and_b32_e32 v58, 7, v58
	v_cmp_gt_u32_e64 s[0:1], 8, v57
	v_cndmask_b32_e64 v4, v60, v4, s[0:1]
	v_cndmask_b32_e64 v56, v56, v58, s[0:1]
	v_lshlrev_b32_e32 v12, 16, v12
	v_lshlrev_b32_e32 v56, 20, v56
	v_and_b32_e32 v12, 0x80000000, v12
	v_lshl_add_u32 v4, v4, 23, v11
	v_or3_b32 v56, v12, v4, v56
.LBB363_597:                            ;   in Loop: Header=BB363_283 Depth=1
	s_or_b64 exec, exec, s[14:15]
.LBB363_598:                            ;   in Loop: Header=BB363_283 Depth=1
	s_or_b64 exec, exec, s[12:13]
.LBB363_599:                            ;   in Loop: Header=BB363_283 Depth=1
	s_or_b64 exec, exec, s[10:11]
	v_mul_f32_e32 v4, s16, v56
	v_and_b32_e32 v12, 0x7f800000, v4
	v_cmp_ne_u32_e64 s[0:1], s18, v12
                                        ; implicit-def: $vgpr12
	s_and_saveexec_b64 s[10:11], s[0:1]
	s_xor_b64 s[0:1], exec, s[10:11]
; %bb.600:                              ;   in Loop: Header=BB363_283 Depth=1
	v_bfe_u32 v12, v4, 16, 1
	v_add3_u32 v12, v4, v12, s19
                                        ; implicit-def: $vgpr4
; %bb.601:                              ;   in Loop: Header=BB363_283 Depth=1
	s_andn2_saveexec_b64 s[10:11], s[0:1]
; %bb.602:                              ;   in Loop: Header=BB363_283 Depth=1
	v_or_b32_e32 v12, 0x10000, v4
	v_cmp_eq_u32_sdwa s[0:1], v4, v13 src0_sel:WORD_0 src1_sel:DWORD
	v_cndmask_b32_e64 v12, v12, v4, s[0:1]
; %bb.603:                              ;   in Loop: Header=BB363_283 Depth=1
	s_or_b64 exec, exec, s[10:11]
	v_lshrrev_b32_e32 v4, 16, v3
	v_cmp_ne_u16_sdwa s[0:1], v4, v13 src0_sel:BYTE_0 src1_sel:DWORD
	v_mov_b32_e32 v56, 0
	s_and_saveexec_b64 s[10:11], s[0:1]
	s_cbranch_execz .LBB363_609
; %bb.604:                              ;   in Loop: Header=BB363_283 Depth=1
	v_cmp_ne_u16_sdwa s[0:1], v4, s20 src0_sel:BYTE_0 src1_sel:DWORD
	v_bfrev_b32_e32 v56, 1
	s_and_saveexec_b64 s[12:13], s[0:1]
	s_cbranch_execz .LBB363_608
; %bb.605:                              ;   in Loop: Header=BB363_283 Depth=1
	v_bfe_u32 v57, v3, 16, 7
	v_cmp_ne_u32_e64 s[0:1], s21, v57
	v_mov_b32_e32 v56, 0x7f800001
	s_and_saveexec_b64 s[14:15], s[0:1]
	s_cbranch_execz .LBB363_607
; %bb.606:                              ;   in Loop: Header=BB363_283 Depth=1
	v_and_b32_e32 v56, 7, v4
	v_ffbh_u32_e32 v58, v56
	v_min_u32_e32 v61, 32, v58
	v_subrev_u32_e32 v58, 28, v61
	v_lshlrev_b64 v[58:59], v58, v[4:5]
	v_lshrrev_b32_e32 v60, 3, v57
	v_sub_u32_e32 v59, 29, v61
	v_and_b32_e32 v58, 7, v58
	v_cmp_gt_u32_e64 s[0:1], 8, v57
	v_cndmask_b32_e64 v57, v60, v59, s[0:1]
	v_cndmask_b32_e64 v56, v56, v58, s[0:1]
	v_lshlrev_b32_e32 v4, 24, v4
	v_lshlrev_b32_e32 v56, 20, v56
	v_and_b32_e32 v4, 0x80000000, v4
	v_lshl_add_u32 v57, v57, 23, v11
	v_or3_b32 v56, v4, v57, v56
.LBB363_607:                            ;   in Loop: Header=BB363_283 Depth=1
	s_or_b64 exec, exec, s[14:15]
.LBB363_608:                            ;   in Loop: Header=BB363_283 Depth=1
	s_or_b64 exec, exec, s[12:13]
.LBB363_609:                            ;   in Loop: Header=BB363_283 Depth=1
	s_or_b64 exec, exec, s[10:11]
	v_mul_f32_e32 v56, s16, v56
	v_and_b32_e32 v4, 0x7f800000, v56
	v_cmp_ne_u32_e64 s[0:1], s18, v4
                                        ; implicit-def: $vgpr4
	s_and_saveexec_b64 s[10:11], s[0:1]
	s_xor_b64 s[0:1], exec, s[10:11]
; %bb.610:                              ;   in Loop: Header=BB363_283 Depth=1
	v_bfe_u32 v4, v56, 16, 1
	v_add3_u32 v4, v56, v4, s19
                                        ; implicit-def: $vgpr56
; %bb.611:                              ;   in Loop: Header=BB363_283 Depth=1
	s_andn2_saveexec_b64 s[10:11], s[0:1]
; %bb.612:                              ;   in Loop: Header=BB363_283 Depth=1
	v_or_b32_e32 v4, 0x10000, v56
	v_cmp_eq_u32_sdwa s[0:1], v56, v13 src0_sel:WORD_0 src1_sel:DWORD
	v_cndmask_b32_e64 v4, v4, v56, s[0:1]
; %bb.613:                              ;   in Loop: Header=BB363_283 Depth=1
	s_or_b64 exec, exec, s[10:11]
	v_cmp_lt_u64_e64 s[0:1], s[4:5], v[2:3]
	v_mov_b32_e32 v56, 0
	s_and_saveexec_b64 s[10:11], s[0:1]
	s_cbranch_execz .LBB363_619
; %bb.614:                              ;   in Loop: Header=BB363_283 Depth=1
	v_lshrrev_b32_e32 v2, 24, v3
	v_cmp_ne_u32_e64 s[0:1], s20, v2
	v_bfrev_b32_e32 v56, 1
	s_and_saveexec_b64 s[12:13], s[0:1]
	s_cbranch_execz .LBB363_618
; %bb.615:                              ;   in Loop: Header=BB363_283 Depth=1
	v_bfe_u32 v3, v3, 24, 7
	v_cmp_ne_u32_e64 s[0:1], s21, v3
	v_mov_b32_e32 v56, 0x7f800001
	s_and_saveexec_b64 s[14:15], s[0:1]
	s_cbranch_execz .LBB363_617
; %bb.616:                              ;   in Loop: Header=BB363_283 Depth=1
	v_and_b32_e32 v58, 7, v2
	v_ffbh_u32_e32 v56, v58
	v_min_u32_e32 v60, 32, v56
	v_subrev_u32_e32 v56, 28, v60
	v_lshlrev_b64 v[56:57], v56, v[2:3]
	v_lshrrev_b32_e32 v59, 3, v3
	v_sub_u32_e32 v57, 29, v60
	v_and_b32_e32 v56, 7, v56
	v_cmp_gt_u32_e64 s[0:1], 8, v3
	v_cndmask_b32_e64 v3, v59, v57, s[0:1]
	v_cndmask_b32_e64 v56, v58, v56, s[0:1]
	v_lshlrev_b32_e32 v2, 24, v2
	v_lshlrev_b32_e32 v56, 20, v56
	v_and_b32_e32 v2, 0x80000000, v2
	v_lshl_add_u32 v3, v3, 23, v11
	v_or3_b32 v56, v2, v3, v56
.LBB363_617:                            ;   in Loop: Header=BB363_283 Depth=1
	s_or_b64 exec, exec, s[14:15]
.LBB363_618:                            ;   in Loop: Header=BB363_283 Depth=1
	s_or_b64 exec, exec, s[12:13]
.LBB363_619:                            ;   in Loop: Header=BB363_283 Depth=1
	s_or_b64 exec, exec, s[10:11]
	v_mul_f32_e32 v2, s16, v56
	v_and_b32_e32 v3, 0x7f800000, v2
	v_cmp_ne_u32_e64 s[0:1], s18, v3
                                        ; implicit-def: $vgpr3
	s_and_saveexec_b64 s[10:11], s[0:1]
	s_xor_b64 s[0:1], exec, s[10:11]
; %bb.620:                              ;   in Loop: Header=BB363_283 Depth=1
	v_bfe_u32 v3, v2, 16, 1
	v_add3_u32 v3, v2, v3, s19
                                        ; implicit-def: $vgpr2
; %bb.621:                              ;   in Loop: Header=BB363_283 Depth=1
	s_andn2_saveexec_b64 s[10:11], s[0:1]
; %bb.622:                              ;   in Loop: Header=BB363_283 Depth=1
	v_or_b32_e32 v3, 0x10000, v2
	v_cmp_eq_u32_sdwa s[0:1], v2, v13 src0_sel:WORD_0 src1_sel:DWORD
	v_cndmask_b32_e64 v3, v3, v2, s[0:1]
; %bb.623:                              ;   in Loop: Header=BB363_283 Depth=1
	s_or_b64 exec, exec, s[10:11]
	v_lshrrev_b32_e32 v56, 16, v12
	v_lshrrev_b32_e32 v55, 16, v55
	;; [unrolled: 1-line block ×8, first 2 shown]
	s_and_saveexec_b64 s[0:1], vcc
	s_cbranch_execz .LBB363_625
; %bb.624:                              ;   in Loop: Header=BB363_283 Depth=1
	v_cmp_gt_i32_e32 vcc, s33, v29
	v_cndmask_b32_e32 v2, 0, v2, vcc
	v_cmp_gt_i32_e32 vcc, s33, v35
	v_cndmask_b32_e32 v52, 0, v52, vcc
	;; [unrolled: 2-line block ×8, first 2 shown]
.LBB363_625:                            ;   in Loop: Header=BB363_283 Depth=1
	s_or_b64 exec, exec, s[0:1]
	v_lshlrev_b32_e32 v2, 16, v2
	v_mul_f32_e32 v4, v37, v2
	v_and_b32_e32 v2, 0x7f800000, v4
	v_cmp_ne_u32_e32 vcc, s18, v2
                                        ; implicit-def: $vgpr2
	s_and_saveexec_b64 s[0:1], vcc
	s_xor_b64 s[0:1], exec, s[0:1]
; %bb.626:                              ;   in Loop: Header=BB363_283 Depth=1
	v_bfe_u32 v2, v4, 16, 1
	v_add3_u32 v2, v4, v2, s19
                                        ; implicit-def: $vgpr4
; %bb.627:                              ;   in Loop: Header=BB363_283 Depth=1
	s_andn2_saveexec_b64 s[0:1], s[0:1]
; %bb.628:                              ;   in Loop: Header=BB363_283 Depth=1
	v_or_b32_e32 v2, 0x10000, v4
	v_cmp_eq_u32_sdwa vcc, v4, v13 src0_sel:WORD_0 src1_sel:DWORD
	v_cndmask_b32_e32 v2, v2, v4, vcc
; %bb.629:                              ;   in Loop: Header=BB363_283 Depth=1
	s_or_b64 exec, exec, s[0:1]
	v_lshlrev_b32_e32 v4, 16, v52
	v_mul_f32_e32 v29, v38, v4
	v_and_b32_e32 v4, 0x7f800000, v29
	v_cmp_ne_u32_e32 vcc, s18, v4
                                        ; implicit-def: $vgpr4
	s_and_saveexec_b64 s[0:1], vcc
	s_xor_b64 s[0:1], exec, s[0:1]
; %bb.630:                              ;   in Loop: Header=BB363_283 Depth=1
	v_bfe_u32 v4, v29, 16, 1
	v_add3_u32 v4, v29, v4, s19
                                        ; implicit-def: $vgpr29
; %bb.631:                              ;   in Loop: Header=BB363_283 Depth=1
	s_andn2_saveexec_b64 s[0:1], s[0:1]
; %bb.632:                              ;   in Loop: Header=BB363_283 Depth=1
	v_or_b32_e32 v4, 0x10000, v29
	v_cmp_eq_u32_sdwa vcc, v29, v13 src0_sel:WORD_0 src1_sel:DWORD
	v_cndmask_b32_e32 v4, v4, v29, vcc
; %bb.633:                              ;   in Loop: Header=BB363_283 Depth=1
	s_or_b64 exec, exec, s[0:1]
	v_lshlrev_b32_e32 v29, 16, v53
	v_mul_f32_e32 v30, v39, v29
	v_and_b32_e32 v29, 0x7f800000, v30
	v_cmp_ne_u32_e32 vcc, s18, v29
                                        ; implicit-def: $vgpr29
	s_and_saveexec_b64 s[0:1], vcc
	s_xor_b64 s[0:1], exec, s[0:1]
; %bb.634:                              ;   in Loop: Header=BB363_283 Depth=1
	v_bfe_u32 v29, v30, 16, 1
	v_add3_u32 v29, v30, v29, s19
                                        ; implicit-def: $vgpr30
; %bb.635:                              ;   in Loop: Header=BB363_283 Depth=1
	s_andn2_saveexec_b64 s[0:1], s[0:1]
; %bb.636:                              ;   in Loop: Header=BB363_283 Depth=1
	v_or_b32_e32 v29, 0x10000, v30
	v_cmp_eq_u32_sdwa vcc, v30, v13 src0_sel:WORD_0 src1_sel:DWORD
	v_cndmask_b32_e32 v29, v29, v30, vcc
; %bb.637:                              ;   in Loop: Header=BB363_283 Depth=1
	s_or_b64 exec, exec, s[0:1]
	v_lshlrev_b32_e32 v30, 16, v54
	v_mul_f32_e32 v31, v40, v30
	v_and_b32_e32 v30, 0x7f800000, v31
	v_cmp_ne_u32_e32 vcc, s18, v30
                                        ; implicit-def: $vgpr30
	s_and_saveexec_b64 s[0:1], vcc
	s_xor_b64 s[0:1], exec, s[0:1]
; %bb.638:                              ;   in Loop: Header=BB363_283 Depth=1
	v_bfe_u32 v30, v31, 16, 1
	v_add3_u32 v30, v31, v30, s19
                                        ; implicit-def: $vgpr31
; %bb.639:                              ;   in Loop: Header=BB363_283 Depth=1
	s_andn2_saveexec_b64 s[0:1], s[0:1]
; %bb.640:                              ;   in Loop: Header=BB363_283 Depth=1
	v_or_b32_e32 v30, 0x10000, v31
	v_cmp_eq_u32_sdwa vcc, v31, v13 src0_sel:WORD_0 src1_sel:DWORD
	v_cndmask_b32_e32 v30, v30, v31, vcc
; %bb.641:                              ;   in Loop: Header=BB363_283 Depth=1
	s_or_b64 exec, exec, s[0:1]
	v_lshlrev_b32_e32 v31, 16, v55
	v_mul_f32_e32 v32, v41, v31
	v_and_b32_e32 v31, 0x7f800000, v32
	v_cmp_ne_u32_e32 vcc, s18, v31
                                        ; implicit-def: $vgpr31
	s_and_saveexec_b64 s[0:1], vcc
	s_xor_b64 s[0:1], exec, s[0:1]
; %bb.642:                              ;   in Loop: Header=BB363_283 Depth=1
	v_bfe_u32 v31, v32, 16, 1
	v_add3_u32 v31, v32, v31, s19
                                        ; implicit-def: $vgpr32
; %bb.643:                              ;   in Loop: Header=BB363_283 Depth=1
	s_andn2_saveexec_b64 s[0:1], s[0:1]
; %bb.644:                              ;   in Loop: Header=BB363_283 Depth=1
	v_or_b32_e32 v31, 0x10000, v32
	v_cmp_eq_u32_sdwa vcc, v32, v13 src0_sel:WORD_0 src1_sel:DWORD
	v_cndmask_b32_e32 v31, v31, v32, vcc
; %bb.645:                              ;   in Loop: Header=BB363_283 Depth=1
	s_or_b64 exec, exec, s[0:1]
	v_lshlrev_b32_e32 v32, 16, v56
	v_mul_f32_e32 v33, v42, v32
	v_and_b32_e32 v32, 0x7f800000, v33
	v_cmp_ne_u32_e32 vcc, s18, v32
                                        ; implicit-def: $vgpr32
	s_and_saveexec_b64 s[0:1], vcc
	s_xor_b64 s[0:1], exec, s[0:1]
; %bb.646:                              ;   in Loop: Header=BB363_283 Depth=1
	v_bfe_u32 v32, v33, 16, 1
	v_add3_u32 v32, v33, v32, s19
                                        ; implicit-def: $vgpr33
; %bb.647:                              ;   in Loop: Header=BB363_283 Depth=1
	s_andn2_saveexec_b64 s[0:1], s[0:1]
; %bb.648:                              ;   in Loop: Header=BB363_283 Depth=1
	v_or_b32_e32 v32, 0x10000, v33
	v_cmp_eq_u32_sdwa vcc, v33, v13 src0_sel:WORD_0 src1_sel:DWORD
	v_cndmask_b32_e32 v32, v32, v33, vcc
; %bb.649:                              ;   in Loop: Header=BB363_283 Depth=1
	s_or_b64 exec, exec, s[0:1]
	v_lshlrev_b32_e32 v12, 16, v12
	v_mul_f32_e32 v33, v43, v12
	v_and_b32_e32 v12, 0x7f800000, v33
	v_cmp_ne_u32_e32 vcc, s18, v12
                                        ; implicit-def: $vgpr12
	s_and_saveexec_b64 s[0:1], vcc
	s_xor_b64 s[0:1], exec, s[0:1]
; %bb.650:                              ;   in Loop: Header=BB363_283 Depth=1
	v_bfe_u32 v12, v33, 16, 1
	v_add3_u32 v12, v33, v12, s19
                                        ; implicit-def: $vgpr33
; %bb.651:                              ;   in Loop: Header=BB363_283 Depth=1
	s_andn2_saveexec_b64 s[0:1], s[0:1]
; %bb.652:                              ;   in Loop: Header=BB363_283 Depth=1
	v_or_b32_e32 v12, 0x10000, v33
	v_cmp_eq_u32_sdwa vcc, v33, v13 src0_sel:WORD_0 src1_sel:DWORD
	v_cndmask_b32_e32 v12, v12, v33, vcc
; %bb.653:                              ;   in Loop: Header=BB363_283 Depth=1
	s_or_b64 exec, exec, s[0:1]
	v_lshlrev_b32_e32 v3, 16, v3
	v_mul_f32_e32 v33, v44, v3
	v_and_b32_e32 v3, 0x7f800000, v33
	v_cmp_ne_u32_e32 vcc, s18, v3
                                        ; implicit-def: $vgpr3
	s_and_saveexec_b64 s[0:1], vcc
	s_xor_b64 s[0:1], exec, s[0:1]
; %bb.654:                              ;   in Loop: Header=BB363_283 Depth=1
	v_bfe_u32 v3, v33, 16, 1
	v_add3_u32 v3, v33, v3, s19
                                        ; implicit-def: $vgpr33
; %bb.655:                              ;   in Loop: Header=BB363_283 Depth=1
	s_andn2_saveexec_b64 s[0:1], s[0:1]
	s_cbranch_execz .LBB363_282
; %bb.656:                              ;   in Loop: Header=BB363_283 Depth=1
	v_or_b32_e32 v3, 0x10000, v33
	v_cmp_eq_u32_sdwa vcc, v33, v13 src0_sel:WORD_0 src1_sel:DWORD
	v_cndmask_b32_e32 v3, v3, v33, vcc
	s_branch .LBB363_282
.LBB363_657:
	s_or_b64 exec, exec, s[6:7]
.LBB363_658:
	s_or_b64 exec, exec, s[2:3]
	ds_bpermute_b32 v2, v20, v16
	ds_bpermute_b32 v3, v20, v17
	;; [unrolled: 1-line block ×3, first 2 shown]
	s_waitcnt lgkmcnt(0)
	s_barrier
	v_pk_add_f32 v[4:5], v[16:17], v[2:3]
	v_and_b32_e32 v3, 0x3c1, v0
	v_add_f32_e32 v2, v22, v6
	v_cmp_eq_u32_e32 vcc, 64, v3
	s_and_saveexec_b64 s[0:1], vcc
	s_cbranch_execz .LBB363_660
; %bb.659:
	v_mov_b32_e32 v3, 0xd0
	v_lshl_add_u32 v1, v1, 1, v3
	ds_write2_b32 v1, v4, v5 offset1:32
	ds_write_b32 v1, v2 offset:256
.LBB363_660:
	s_or_b64 exec, exec, s[0:1]
	v_cmp_gt_u32_e32 vcc, 64, v0
	v_cmp_lt_u32_e64 s[0:1], 63, v0
	s_waitcnt lgkmcnt(0)
	s_barrier
	s_and_saveexec_b64 s[2:3], s[0:1]
	s_xor_b64 s[0:1], exec, s[2:3]
	s_andn2_saveexec_b64 s[2:3], s[0:1]
	s_cbranch_execz .LBB363_666
; %bb.661:
	v_cmp_eq_u32_e64 s[0:1], 0, v21
	v_lshrrev_b32_e32 v1, 1, v0
	s_and_saveexec_b64 s[4:5], s[0:1]
	s_cbranch_execnz .LBB363_682
; %bb.662:
	s_or_b64 exec, exec, s[4:5]
	s_and_saveexec_b64 s[4:5], s[0:1]
	s_cbranch_execnz .LBB363_683
.LBB363_663:
	s_or_b64 exec, exec, s[4:5]
	s_and_saveexec_b64 s[4:5], s[0:1]
	s_cbranch_execz .LBB363_665
.LBB363_664:
	v_mov_b32_e32 v3, 0xd0
	v_lshl_add_u32 v1, v1, 2, v3
	ds_read_b32 v1, v1 offset:256
	s_waitcnt lgkmcnt(0)
	v_add_f32_e32 v2, v2, v1
.LBB363_665:
	s_or_b64 exec, exec, s[4:5]
.LBB363_666:
	s_or_b64 exec, exec, s[2:3]
	s_barrier
	s_and_saveexec_b64 s[0:1], vcc
	s_cbranch_execz .LBB363_681
; %bb.667:
	v_cmp_eq_u32_e32 vcc, 0, v21
	s_and_b64 exec, exec, vcc
	s_cbranch_execz .LBB363_681
; %bb.668:
	s_mov_b32 s0, 0x7f800000
	v_and_b32_e32 v1, 0x7f800000, v4
	v_cmp_ne_u32_e32 vcc, s0, v1
                                        ; implicit-def: $vgpr3
	s_and_saveexec_b64 s[0:1], vcc
	s_xor_b64 s[0:1], exec, s[0:1]
; %bb.669:
	v_bfe_u32 v1, v4, 16, 1
	s_movk_i32 s2, 0x7fff
	v_add3_u32 v3, v4, v1, s2
; %bb.670:
	s_andn2_saveexec_b64 s[0:1], s[0:1]
; %bb.671:
	v_mov_b32_e32 v1, 0
	v_or_b32_e32 v3, 0x10000, v4
	v_cmp_eq_u32_sdwa vcc, v4, v1 src0_sel:WORD_0 src1_sel:DWORD
	v_cndmask_b32_e32 v3, v3, v4, vcc
; %bb.672:
	s_or_b64 exec, exec, s[0:1]
	s_mul_i32 s0, s27, s24
	s_mul_i32 s0, s0, s25
	s_mulk_i32 s0, 0x60
	s_ashr_i32 s1, s0, 31
	s_lshl_b64 s[0:1], s[0:1], 1
	s_add_u32 s2, s28, s0
	s_mul_i32 s0, s27, s26
	s_addc_u32 s3, s29, s1
	s_ashr_i32 s1, s0, 31
	s_lshl_b64 s[0:1], s[0:1], 1
	s_add_u32 s2, s2, s0
	s_mul_i32 s0, s8, 0x60
	s_addc_u32 s3, s3, s1
	s_ashr_i32 s1, s0, 31
	s_lshl_b64 s[0:1], s[0:1], 1
	s_add_u32 s0, s2, s0
	s_addc_u32 s1, s3, s1
	v_and_b32_e32 v4, 0x3fe, v0
	v_mov_b32_e32 v1, s1
	v_add_co_u32_e32 v0, vcc, s0, v4
	v_addc_co_u32_e32 v1, vcc, 0, v1, vcc
	global_store_short_d16_hi v4, v3, s[0:1]
	s_mov_b32 s0, 0x7f800000
	v_and_b32_e32 v3, 0x7f800000, v5
	v_cmp_ne_u32_e32 vcc, s0, v3
                                        ; implicit-def: $vgpr3
	s_and_saveexec_b64 s[0:1], vcc
	s_xor_b64 s[0:1], exec, s[0:1]
; %bb.673:
	v_bfe_u32 v3, v5, 16, 1
	s_movk_i32 s2, 0x7fff
	v_add3_u32 v3, v5, v3, s2
                                        ; implicit-def: $vgpr4_vgpr5_vgpr6
; %bb.674:
	s_andn2_saveexec_b64 s[0:1], s[0:1]
; %bb.675:
	v_mov_b32_e32 v3, 0
	v_or_b32_e32 v4, 0x10000, v5
	v_cmp_eq_u32_sdwa vcc, v5, v3 src0_sel:WORD_0 src1_sel:DWORD
	v_cndmask_b32_e32 v3, v4, v5, vcc
; %bb.676:
	s_or_b64 exec, exec, s[0:1]
	global_store_short_d16_hi v[0:1], v3, off offset:64
	s_mov_b32 s0, 0x7f800000
	v_and_b32_e32 v3, 0x7f800000, v2
	v_cmp_ne_u32_e32 vcc, s0, v3
                                        ; implicit-def: $vgpr3
	s_and_saveexec_b64 s[0:1], vcc
	s_xor_b64 s[0:1], exec, s[0:1]
; %bb.677:
	v_bfe_u32 v3, v2, 16, 1
	s_movk_i32 s2, 0x7fff
	v_add3_u32 v3, v2, v3, s2
                                        ; implicit-def: $vgpr2
; %bb.678:
	s_andn2_saveexec_b64 s[0:1], s[0:1]
; %bb.679:
	v_mov_b32_e32 v3, 0
	v_or_b32_e32 v4, 0x10000, v2
	v_cmp_eq_u32_sdwa vcc, v2, v3 src0_sel:WORD_0 src1_sel:DWORD
	v_cndmask_b32_e32 v3, v4, v2, vcc
; %bb.680:
	s_or_b64 exec, exec, s[0:1]
	global_store_short_d16_hi v[0:1], v3, off offset:128
.LBB363_681:
	s_endpgm
.LBB363_682:
	v_mov_b32_e32 v3, 0xd0
	v_lshl_add_u32 v3, v1, 2, v3
	ds_read_b32 v3, v3
	s_waitcnt lgkmcnt(0)
	v_add_f32_e32 v4, v4, v3
	s_or_b64 exec, exec, s[4:5]
	s_and_saveexec_b64 s[4:5], s[0:1]
	s_cbranch_execz .LBB363_663
.LBB363_683:
	v_mov_b32_e32 v3, 0xd0
	v_lshl_add_u32 v3, v1, 2, v3
	ds_read_b32 v3, v3 offset:128
	s_waitcnt lgkmcnt(0)
	v_add_f32_e32 v5, v5, v3
	s_or_b64 exec, exec, s[4:5]
	s_and_saveexec_b64 s[4:5], s[0:1]
	s_cbranch_execnz .LBB363_664
	s_branch .LBB363_665
	.section	.rodata,"a",@progbits
	.p2align	6, 0x0
	.amdhsa_kernel _ZN4vllm25paged_attention_v2_kernelI14__hip_bfloat16hLi96ELi16ELi128ELNS_18Fp8KVCacheDataTypeE1ELb0ELi512EEEvPfS3_PT_PKS4_PKT0_SA_ifPKiSC_iPKfiiiSE_SE_iiiii
		.amdhsa_group_segment_fixed_size 208
		.amdhsa_private_segment_fixed_size 0
		.amdhsa_kernarg_size 400
		.amdhsa_user_sgpr_count 6
		.amdhsa_user_sgpr_private_segment_buffer 1
		.amdhsa_user_sgpr_dispatch_ptr 0
		.amdhsa_user_sgpr_queue_ptr 0
		.amdhsa_user_sgpr_kernarg_segment_ptr 1
		.amdhsa_user_sgpr_dispatch_id 0
		.amdhsa_user_sgpr_flat_scratch_init 0
		.amdhsa_user_sgpr_kernarg_preload_length 0
		.amdhsa_user_sgpr_kernarg_preload_offset 0
		.amdhsa_user_sgpr_private_segment_size 0
		.amdhsa_uses_dynamic_stack 0
		.amdhsa_system_sgpr_private_segment_wavefront_offset 0
		.amdhsa_system_sgpr_workgroup_id_x 1
		.amdhsa_system_sgpr_workgroup_id_y 1
		.amdhsa_system_sgpr_workgroup_id_z 1
		.amdhsa_system_sgpr_workgroup_info 0
		.amdhsa_system_vgpr_workitem_id 0
		.amdhsa_next_free_vgpr 74
		.amdhsa_next_free_sgpr 53
		.amdhsa_accum_offset 76
		.amdhsa_reserve_vcc 1
		.amdhsa_reserve_flat_scratch 0
		.amdhsa_float_round_mode_32 0
		.amdhsa_float_round_mode_16_64 0
		.amdhsa_float_denorm_mode_32 3
		.amdhsa_float_denorm_mode_16_64 3
		.amdhsa_dx10_clamp 1
		.amdhsa_ieee_mode 1
		.amdhsa_fp16_overflow 0
		.amdhsa_tg_split 0
		.amdhsa_exception_fp_ieee_invalid_op 0
		.amdhsa_exception_fp_denorm_src 0
		.amdhsa_exception_fp_ieee_div_zero 0
		.amdhsa_exception_fp_ieee_overflow 0
		.amdhsa_exception_fp_ieee_underflow 0
		.amdhsa_exception_fp_ieee_inexact 0
		.amdhsa_exception_int_div_zero 0
	.end_amdhsa_kernel
	.section	.text._ZN4vllm25paged_attention_v2_kernelI14__hip_bfloat16hLi96ELi16ELi128ELNS_18Fp8KVCacheDataTypeE1ELb0ELi512EEEvPfS3_PT_PKS4_PKT0_SA_ifPKiSC_iPKfiiiSE_SE_iiiii,"axG",@progbits,_ZN4vllm25paged_attention_v2_kernelI14__hip_bfloat16hLi96ELi16ELi128ELNS_18Fp8KVCacheDataTypeE1ELb0ELi512EEEvPfS3_PT_PKS4_PKT0_SA_ifPKiSC_iPKfiiiSE_SE_iiiii,comdat
.Lfunc_end363:
	.size	_ZN4vllm25paged_attention_v2_kernelI14__hip_bfloat16hLi96ELi16ELi128ELNS_18Fp8KVCacheDataTypeE1ELb0ELi512EEEvPfS3_PT_PKS4_PKT0_SA_ifPKiSC_iPKfiiiSE_SE_iiiii, .Lfunc_end363-_ZN4vllm25paged_attention_v2_kernelI14__hip_bfloat16hLi96ELi16ELi128ELNS_18Fp8KVCacheDataTypeE1ELb0ELi512EEEvPfS3_PT_PKS4_PKT0_SA_ifPKiSC_iPKfiiiSE_SE_iiiii
                                        ; -- End function
	.section	.AMDGPU.csdata,"",@progbits
; Kernel info:
; codeLenInByte = 19556
; NumSgprs: 57
; NumVgprs: 74
; NumAgprs: 0
; TotalNumVgprs: 74
; ScratchSize: 0
; MemoryBound: 0
; FloatMode: 240
; IeeeMode: 1
; LDSByteSize: 208 bytes/workgroup (compile time only)
; SGPRBlocks: 7
; VGPRBlocks: 9
; NumSGPRsForWavesPerEU: 57
; NumVGPRsForWavesPerEU: 74
; AccumOffset: 76
; Occupancy: 6
; WaveLimiterHint : 1
; COMPUTE_PGM_RSRC2:SCRATCH_EN: 0
; COMPUTE_PGM_RSRC2:USER_SGPR: 6
; COMPUTE_PGM_RSRC2:TRAP_HANDLER: 0
; COMPUTE_PGM_RSRC2:TGID_X_EN: 1
; COMPUTE_PGM_RSRC2:TGID_Y_EN: 1
; COMPUTE_PGM_RSRC2:TGID_Z_EN: 1
; COMPUTE_PGM_RSRC2:TIDIG_COMP_CNT: 0
; COMPUTE_PGM_RSRC3_GFX90A:ACCUM_OFFSET: 18
; COMPUTE_PGM_RSRC3_GFX90A:TG_SPLIT: 0
	.section	.text._ZN4vllm25paged_attention_v2_kernelI14__hip_bfloat16hLi112ELi16ELi128ELNS_18Fp8KVCacheDataTypeE1ELb0ELi512EEEvPfS3_PT_PKS4_PKT0_SA_ifPKiSC_iPKfiiiSE_SE_iiiii,"axG",@progbits,_ZN4vllm25paged_attention_v2_kernelI14__hip_bfloat16hLi112ELi16ELi128ELNS_18Fp8KVCacheDataTypeE1ELb0ELi512EEEvPfS3_PT_PKS4_PKT0_SA_ifPKiSC_iPKfiiiSE_SE_iiiii,comdat
	.protected	_ZN4vllm25paged_attention_v2_kernelI14__hip_bfloat16hLi112ELi16ELi128ELNS_18Fp8KVCacheDataTypeE1ELb0ELi512EEEvPfS3_PT_PKS4_PKT0_SA_ifPKiSC_iPKfiiiSE_SE_iiiii ; -- Begin function _ZN4vllm25paged_attention_v2_kernelI14__hip_bfloat16hLi112ELi16ELi128ELNS_18Fp8KVCacheDataTypeE1ELb0ELi512EEEvPfS3_PT_PKS4_PKT0_SA_ifPKiSC_iPKfiiiSE_SE_iiiii
	.globl	_ZN4vllm25paged_attention_v2_kernelI14__hip_bfloat16hLi112ELi16ELi128ELNS_18Fp8KVCacheDataTypeE1ELb0ELi512EEEvPfS3_PT_PKS4_PKT0_SA_ifPKiSC_iPKfiiiSE_SE_iiiii
	.p2align	8
	.type	_ZN4vllm25paged_attention_v2_kernelI14__hip_bfloat16hLi112ELi16ELi128ELNS_18Fp8KVCacheDataTypeE1ELb0ELi512EEEvPfS3_PT_PKS4_PKT0_SA_ifPKiSC_iPKfiiiSE_SE_iiiii,@function
_ZN4vllm25paged_attention_v2_kernelI14__hip_bfloat16hLi112ELi16ELi128ELNS_18Fp8KVCacheDataTypeE1ELb0ELi512EEEvPfS3_PT_PKS4_PKT0_SA_ifPKiSC_iPKfiiiSE_SE_iiiii: ; @_ZN4vllm25paged_attention_v2_kernelI14__hip_bfloat16hLi112ELi16ELi128ELNS_18Fp8KVCacheDataTypeE1ELb0ELi512EEEvPfS3_PT_PKS4_PKT0_SA_ifPKiSC_iPKfiiiSE_SE_iiiii
; %bb.0:
	s_load_dwordx2 s[0:1], s[4:5], 0x40
	s_mov_b32 s28, s7
	s_ashr_i32 s29, s7, 31
	s_lshl_b64 s[2:3], s[28:29], 2
	s_waitcnt lgkmcnt(0)
	s_add_u32 s0, s0, s2
	s_addc_u32 s1, s1, s3
	s_load_dword s29, s[0:1], 0x0
	s_lshl_b32 s44, s8, 9
	s_waitcnt lgkmcnt(0)
	s_cmp_ge_i32 s44, s29
	s_cbranch_scc1 .LBB364_848
; %bb.1:
	s_load_dword s9, s[4:5], 0x90
	s_load_dwordx2 s[10:11], s[4:5], 0x30
	s_waitcnt lgkmcnt(0)
	s_abs_i32 s2, s9
	s_abs_i32 s0, s10
	v_cvt_f32_u32_e32 v1, s0
	s_sub_i32 s3, 0, s0
	s_xor_b32 s1, s9, s10
	s_ashr_i32 s1, s1, 31
	v_rcp_iflag_f32_e32 v1, v1
	v_mul_f32_e32 v1, 0x4f7ffffe, v1
	v_cvt_u32_f32_e32 v1, v1
	v_readfirstlane_b32 s7, v1
	s_mul_i32 s3, s3, s7
	s_mul_hi_u32 s3, s7, s3
	s_add_i32 s7, s7, s3
	s_mul_hi_u32 s3, s2, s7
	s_mul_i32 s7, s3, s0
	s_sub_i32 s2, s2, s7
	s_add_i32 s10, s3, 1
	s_sub_i32 s7, s2, s0
	s_cmp_ge_u32 s2, s0
	s_cselect_b32 s3, s10, s3
	s_cselect_b32 s2, s7, s2
	s_add_i32 s7, s3, 1
	s_cmp_ge_u32 s2, s0
	s_cselect_b32 s0, s7, s3
	s_xor_b32 s0, s0, s1
	s_sub_i32 s18, s0, s1
	s_abs_i32 s2, s18
	v_cvt_f32_u32_e32 v1, s2
	s_load_dwordx2 s[0:1], s[4:5], 0x50
	s_sub_i32 s7, 0, s2
	s_abs_i32 s3, s6
	v_rcp_iflag_f32_e32 v1, v1
	s_mov_b32 s10, 0
	v_mul_f32_e32 v1, 0x4f7ffffe, v1
	v_cvt_u32_f32_e32 v1, v1
	v_readfirstlane_b32 s12, v1
	s_mul_i32 s7, s7, s12
	s_mul_hi_u32 s7, s12, s7
	s_add_i32 s12, s12, s7
	s_waitcnt lgkmcnt(0)
	s_cmp_eq_u64 s[0:1], 0
	s_mul_hi_u32 s16, s3, s12
	s_cbranch_scc1 .LBB364_3
; %bb.2:
	s_ashr_i32 s7, s6, 31
	s_lshl_b64 s[12:13], s[6:7], 2
	s_add_u32 s0, s0, s12
	s_addc_u32 s1, s1, s13
	s_load_dword s10, s[0:1], 0x0
.LBB364_3:
	s_load_dwordx4 s[12:15], s[4:5], 0x58
	s_ashr_i32 s17, s6, 31
	s_waitcnt lgkmcnt(0)
	s_ashr_i32 s15, s18, 31
	v_and_b32_e32 v6, 3, v0
	s_mul_i32 s24, s6, 0x70
	v_cmp_gt_u32_e32 vcc, 56, v0
	s_and_saveexec_b64 s[0:1], vcc
	s_cbranch_execz .LBB364_5
; %bb.4:
	s_load_dwordx2 s[18:19], s[4:5], 0x18
	s_mul_i32 s20, s28, s12
	s_ashr_i32 s21, s20, 31
	s_lshl_b64 s[20:21], s[20:21], 1
	v_lshlrev_b32_e32 v1, 2, v0
	s_waitcnt lgkmcnt(0)
	s_add_u32 s7, s18, s20
	s_addc_u32 s12, s19, s21
	s_ashr_i32 s25, s24, 31
	s_lshl_b64 s[18:19], s[24:25], 1
	s_add_u32 s18, s7, s18
	s_addc_u32 s19, s12, s19
	global_load_dword v1, v1, s[18:19]
	v_and_b32_e32 v2, 0x3fc, v0
	v_mad_u32_u24 v2, v6, 56, v2
	s_waitcnt vmcnt(0)
	ds_write_b32 v2, v1
.LBB364_5:
	s_or_b64 exec, exec, s[0:1]
	s_add_i32 s0, s29, 15
	s_ashr_i32 s1, s0, 31
	s_lshr_b32 s1, s1, 28
	s_add_i32 s0, s0, s1
	s_lshl_b32 s7, s8, 5
	s_mul_i32 s1, s16, s2
	s_ashr_i32 s45, s0, 4
	s_add_i32 s0, s7, 32
	s_sub_i32 s1, s3, s1
	s_min_i32 s33, s0, s45
	s_xor_b32 s0, s17, s15
	s_add_i32 s3, s16, 1
	s_sub_i32 s12, s1, s2
	s_cmp_ge_u32 s1, s2
	s_cselect_b32 s3, s3, s16
	s_cselect_b32 s1, s12, s1
	s_add_i32 s12, s3, 1
	s_cmp_ge_u32 s1, s2
	s_load_dwordx2 s[30:31], s[4:5], 0x38
	s_load_dword s2, s[4:5], 0x48
	v_lshrrev_b32_e32 v5, 6, v0
	s_cselect_b32 s1, s12, s3
	s_xor_b32 s1, s1, s0
	v_or_b32_e32 v10, s7, v5
	s_waitcnt lgkmcnt(0)
	s_mul_i32 s34, s28, s2
	s_sub_i32 s12, s1, s0
	s_ashr_i32 s35, s34, 31
	v_cmp_gt_i32_e64 s[0:1], s33, v10
	v_cmp_le_i32_e32 vcc, s33, v10
	v_mbcnt_lo_u32_b32 v7, -1, 0
	s_barrier
	s_waitcnt lgkmcnt(0)
                                        ; implicit-def: $sgpr15
                                        ; implicit-def: $vgpr13
                                        ; implicit-def: $vgpr15
	s_and_saveexec_b64 s[2:3], vcc
	s_xor_b64 s[2:3], exec, s[2:3]
; %bb.6:
	v_mbcnt_hi_u32_b32 v13, -1, v7
	v_and_b32_e32 v1, 64, v13
	v_add_u32_e32 v15, 64, v1
	s_mov_b32 s15, 0xff7fffff
                                        ; implicit-def: $vgpr6
                                        ; implicit-def: $vgpr7
; %bb.7:
	s_or_saveexec_b64 s[38:39], s[2:3]
	s_load_dwordx4 s[20:23], s[4:5], 0x0
	s_load_dwordx2 s[26:27], s[4:5], 0x10
	s_load_dword s25, s[4:5], 0x98
	s_load_dwordx2 s[36:37], s[4:5], 0x28
	s_load_dwordx4 s[16:19], s[4:5], 0x68
	v_mov_b32_e32 v44, s15
	s_mul_i32 s12, s12, s14
	v_ashrrev_i32_e32 v11, 31, v10
	s_xor_b64 exec, exec, s[38:39]
	s_cbranch_execz .LBB364_293
; %bb.8:
	v_mul_u32_u24_e32 v8, 56, v6
	ds_read2_b64 v[12:15], v8 offset1:1
	ds_read2_b64 v[28:31], v8 offset0:2 offset1:3
	s_load_dwordx2 s[2:3], s[4:5], 0x20
	s_ashr_i32 s4, s12, 31
	v_bfe_u32 v44, v0, 2, 4
	s_waitcnt lgkmcnt(0)
	v_lshlrev_b32_e32 v16, 16, v12
	v_and_b32_e32 v17, 0xffff0000, v12
	v_lshlrev_b32_e32 v18, 16, v13
	v_and_b32_e32 v19, 0xffff0000, v13
	;; [unrolled: 2-line block ×4, first 2 shown]
	ds_read2_b64 v[12:15], v8 offset0:4 offset1:5
	s_add_u32 s2, s2, s12
	v_lshlrev_b32_e32 v2, 4, v44
	s_addc_u32 s3, s3, s4
	v_mov_b32_e32 v3, s3
	s_waitcnt lgkmcnt(0)
	v_lshlrev_b32_e32 v34, 16, v13
	v_and_b32_e32 v35, 0xffff0000, v13
	v_mbcnt_hi_u32_b32 v13, -1, v7
	v_add_co_u32_e32 v2, vcc, s2, v2
	v_and_b32_e32 v7, 64, v13
	v_addc_co_u32_e32 v3, vcc, 0, v3, vcc
	v_lshlrev_b32_e32 v38, 16, v15
	v_and_b32_e32 v39, 0xffff0000, v15
	v_add_u32_e32 v15, 64, v7
	v_xor_b32_e32 v7, 2, v13
	v_cmp_lt_i32_e32 vcc, v7, v15
	v_cndmask_b32_e32 v7, v13, v7, vcc
	v_lshlrev_b32_e32 v45, 2, v7
	v_xor_b32_e32 v7, 1, v13
	ds_read_b64 v[8:9], v8 offset:48
	v_cmp_lt_i32_e32 vcc, v7, v15
	v_lshlrev_b32_e32 v4, 1, v6
	v_cndmask_b32_e32 v7, v13, v7, vcc
	v_cmp_eq_u32_e32 vcc, 0, v6
	v_lshlrev_b32_e32 v6, 4, v5
	s_load_dword s47, s[16:17], 0x0
	s_sub_i32 s48, 1, s29
	v_add3_u32 v47, s44, v6, v44
	v_lshlrev_b32_e32 v6, 2, v44
	s_lshl_b64 s[4:5], s[34:35], 2
	v_lshl_or_b32 v6, v5, 6, v6
	s_add_u32 s4, s30, s4
	v_lshlrev_b32_e32 v46, 2, v7
	v_add_u32_e32 v48, 0xf0, v6
	v_lshlrev_b64 v[6:7], 2, v[10:11]
	s_addc_u32 s5, s31, s5
	s_waitcnt lgkmcnt(0)
	v_lshlrev_b32_e32 v40, 16, v8
	v_and_b32_e32 v41, 0xffff0000, v8
	v_mov_b32_e32 v8, s5
	v_add_co_u32_e64 v6, s[4:5], s4, v6
	s_mov_b32 s46, s13
	v_mov_b32_e32 v1, 0
	v_lshlrev_b32_e32 v24, 16, v28
	v_and_b32_e32 v25, 0xffff0000, v28
	v_lshlrev_b32_e32 v26, 16, v29
	v_and_b32_e32 v27, 0xffff0000, v29
	;; [unrolled: 2-line block ×7, first 2 shown]
	v_cmp_neq_f32_e64 s[2:3], s10, 0
	v_addc_co_u32_e64 v7, s[4:5], v8, v7, s[4:5]
	s_mov_b64 s[14:15], 0
	v_mov_b32_e32 v44, 0xff7fffff
	s_movk_i32 s49, 0x80
	s_movk_i32 s50, 0x7f
	s_mov_b32 s51, 0x7f800000
	s_movk_i32 s52, 0x7fff
	v_bfrev_b32_e32 v49, 60
	v_mov_b32_e32 v50, v10
	s_branch .LBB364_10
.LBB364_9:                              ;   in Loop: Header=BB364_10 Depth=1
	s_or_b64 exec, exec, s[16:17]
	v_add_u32_e32 v50, 2, v50
	v_cmp_le_i32_e64 s[4:5], s33, v50
	s_or_b64 s[14:15], s[4:5], s[14:15]
	v_add_co_u32_e64 v6, s[4:5], 8, v6
	v_add_u32_e32 v47, 32, v47
	v_add_u32_e32 v48, 0x80, v48
	v_addc_co_u32_e64 v7, s[4:5], 0, v7, s[4:5]
	s_andn2_b64 exec, exec, s[14:15]
	s_cbranch_execz .LBB364_292
.LBB364_10:                             ; =>This Inner Loop Header: Depth=1
	global_load_dword v8, v[6:7], off
	s_waitcnt vmcnt(0) lgkmcnt(0)
	v_mad_i64_i32 v[8:9], s[4:5], v8, s46, v[2:3]
	v_add_co_u32_e64 v8, s[4:5], v8, v4
	v_addc_co_u32_e64 v9, s[4:5], 0, v9, s[4:5]
	global_load_ushort v14, v[8:9], off
	s_waitcnt vmcnt(0)
	v_and_b32_e32 v12, 0xffff, v14
	v_cmp_ne_u16_sdwa s[4:5], v14, v1 src0_sel:BYTE_0 src1_sel:DWORD
	v_mov_b32_e32 v14, 0
	s_and_saveexec_b64 s[16:17], s[4:5]
	s_cbranch_execz .LBB364_16
; %bb.11:                               ;   in Loop: Header=BB364_10 Depth=1
	v_cmp_ne_u16_sdwa s[4:5], v12, s49 src0_sel:BYTE_0 src1_sel:DWORD
	v_bfrev_b32_e32 v14, 1
	s_and_saveexec_b64 s[40:41], s[4:5]
	s_cbranch_execz .LBB364_15
; %bb.12:                               ;   in Loop: Header=BB364_10 Depth=1
	v_and_b32_e32 v51, 0x7f, v12
	v_cmp_ne_u32_e64 s[4:5], s50, v51
	v_mov_b32_e32 v14, 0x7f800001
	s_and_saveexec_b64 s[42:43], s[4:5]
	s_cbranch_execz .LBB364_14
; %bb.13:                               ;   in Loop: Header=BB364_10 Depth=1
	v_and_b32_e32 v14, 7, v12
	v_ffbh_u32_e32 v52, v14
	v_min_u32_e32 v55, 32, v52
	v_subrev_u32_e32 v52, 28, v55
	v_lshlrev_b64 v[52:53], v52, v[12:13]
	v_lshrrev_b32_e32 v54, 3, v51
	v_sub_u32_e32 v53, 29, v55
	v_and_b32_e32 v52, 7, v52
	v_cmp_gt_u32_e64 s[4:5], 8, v51
	v_cndmask_b32_e64 v51, v54, v53, s[4:5]
	v_cndmask_b32_e64 v14, v14, v52, s[4:5]
	v_lshlrev_b32_e32 v52, 24, v12
	v_lshlrev_b32_e32 v14, 20, v14
	v_and_b32_e32 v52, 0x80000000, v52
	v_lshl_add_u32 v51, v51, 23, v49
	v_or3_b32 v14, v52, v51, v14
.LBB364_14:                             ;   in Loop: Header=BB364_10 Depth=1
	s_or_b64 exec, exec, s[42:43]
.LBB364_15:                             ;   in Loop: Header=BB364_10 Depth=1
	s_or_b64 exec, exec, s[40:41]
.LBB364_16:                             ;   in Loop: Header=BB364_10 Depth=1
	s_or_b64 exec, exec, s[16:17]
	v_mul_f32_e32 v14, s47, v14
	v_and_b32_e32 v51, 0x7f800000, v14
	v_cmp_ne_u32_e64 s[4:5], s51, v51
                                        ; implicit-def: $vgpr51
	s_and_saveexec_b64 s[16:17], s[4:5]
	s_xor_b64 s[4:5], exec, s[16:17]
; %bb.17:                               ;   in Loop: Header=BB364_10 Depth=1
	v_bfe_u32 v51, v14, 16, 1
	v_add3_u32 v51, v14, v51, s52
                                        ; implicit-def: $vgpr14
; %bb.18:                               ;   in Loop: Header=BB364_10 Depth=1
	s_andn2_saveexec_b64 s[16:17], s[4:5]
; %bb.19:                               ;   in Loop: Header=BB364_10 Depth=1
	v_or_b32_e32 v51, 0x10000, v14
	v_cmp_eq_u32_sdwa s[4:5], v14, v1 src0_sel:WORD_0 src1_sel:DWORD
	v_cndmask_b32_e64 v51, v51, v14, s[4:5]
; %bb.20:                               ;   in Loop: Header=BB364_10 Depth=1
	s_or_b64 exec, exec, s[16:17]
	v_lshrrev_b16_e32 v14, 8, v12
	v_cmp_ne_u16_e64 s[4:5], 0, v14
	v_mov_b32_e32 v52, 0
	s_and_saveexec_b64 s[16:17], s[4:5]
	s_cbranch_execz .LBB364_26
; %bb.21:                               ;   in Loop: Header=BB364_10 Depth=1
	v_cmp_ne_u16_e64 s[4:5], s49, v14
	v_bfrev_b32_e32 v52, 1
	s_and_saveexec_b64 s[40:41], s[4:5]
	s_cbranch_execz .LBB364_25
; %bb.22:                               ;   in Loop: Header=BB364_10 Depth=1
	v_and_b32_e32 v53, 0x7f, v14
	v_cmp_ne_u32_e64 s[4:5], s50, v53
	v_mov_b32_e32 v52, 0x7f800001
	s_and_saveexec_b64 s[42:43], s[4:5]
	s_cbranch_execz .LBB364_24
; %bb.23:                               ;   in Loop: Header=BB364_10 Depth=1
	v_and_b32_e32 v52, 7, v14
	v_ffbh_u32_e32 v54, v52
	v_min_u32_e32 v57, 32, v54
	v_subrev_u32_e32 v54, 28, v57
	v_lshlrev_b64 v[54:55], v54, v[14:15]
	v_lshrrev_b32_e32 v56, 3, v53
	v_sub_u32_e32 v14, 29, v57
	v_and_b32_e32 v54, 7, v54
	v_cmp_gt_u32_e64 s[4:5], 8, v53
	v_cndmask_b32_e64 v14, v56, v14, s[4:5]
	v_cndmask_b32_e64 v52, v52, v54, s[4:5]
	v_lshlrev_b32_e32 v12, 16, v12
	v_lshlrev_b32_e32 v52, 20, v52
	v_and_b32_e32 v12, 0x80000000, v12
	v_lshl_add_u32 v14, v14, 23, v49
	v_or3_b32 v52, v12, v14, v52
.LBB364_24:                             ;   in Loop: Header=BB364_10 Depth=1
	s_or_b64 exec, exec, s[42:43]
.LBB364_25:                             ;   in Loop: Header=BB364_10 Depth=1
	s_or_b64 exec, exec, s[40:41]
.LBB364_26:                             ;   in Loop: Header=BB364_10 Depth=1
	s_or_b64 exec, exec, s[16:17]
	v_mul_f32_e32 v12, s47, v52
	v_and_b32_e32 v14, 0x7f800000, v12
	v_cmp_ne_u32_e64 s[4:5], s51, v14
                                        ; implicit-def: $vgpr52
	s_and_saveexec_b64 s[16:17], s[4:5]
	s_xor_b64 s[4:5], exec, s[16:17]
; %bb.27:                               ;   in Loop: Header=BB364_10 Depth=1
	v_bfe_u32 v14, v12, 16, 1
	v_add3_u32 v52, v12, v14, s52
                                        ; implicit-def: $vgpr12
; %bb.28:                               ;   in Loop: Header=BB364_10 Depth=1
	s_andn2_saveexec_b64 s[16:17], s[4:5]
; %bb.29:                               ;   in Loop: Header=BB364_10 Depth=1
	v_or_b32_e32 v14, 0x10000, v12
	v_cmp_eq_u32_sdwa s[4:5], v12, v1 src0_sel:WORD_0 src1_sel:DWORD
	v_cndmask_b32_e64 v52, v14, v12, s[4:5]
; %bb.30:                               ;   in Loop: Header=BB364_10 Depth=1
	s_or_b64 exec, exec, s[16:17]
	global_load_ushort v14, v[8:9], off offset:8
	s_waitcnt vmcnt(0)
	v_and_b32_e32 v12, 0xffff, v14
	v_cmp_ne_u16_sdwa s[4:5], v14, v1 src0_sel:BYTE_0 src1_sel:DWORD
	v_mov_b32_e32 v14, 0
	s_and_saveexec_b64 s[16:17], s[4:5]
	s_cbranch_execz .LBB364_36
; %bb.31:                               ;   in Loop: Header=BB364_10 Depth=1
	v_cmp_ne_u16_sdwa s[4:5], v12, s49 src0_sel:BYTE_0 src1_sel:DWORD
	v_bfrev_b32_e32 v14, 1
	s_and_saveexec_b64 s[40:41], s[4:5]
	s_cbranch_execz .LBB364_35
; %bb.32:                               ;   in Loop: Header=BB364_10 Depth=1
	v_and_b32_e32 v53, 0x7f, v12
	v_cmp_ne_u32_e64 s[4:5], s50, v53
	v_mov_b32_e32 v14, 0x7f800001
	s_and_saveexec_b64 s[42:43], s[4:5]
	s_cbranch_execz .LBB364_34
; %bb.33:                               ;   in Loop: Header=BB364_10 Depth=1
	v_and_b32_e32 v14, 7, v12
	v_ffbh_u32_e32 v54, v14
	v_min_u32_e32 v57, 32, v54
	v_subrev_u32_e32 v54, 28, v57
	v_lshlrev_b64 v[54:55], v54, v[12:13]
	v_lshrrev_b32_e32 v56, 3, v53
	v_sub_u32_e32 v55, 29, v57
	v_and_b32_e32 v54, 7, v54
	v_cmp_gt_u32_e64 s[4:5], 8, v53
	v_cndmask_b32_e64 v53, v56, v55, s[4:5]
	v_cndmask_b32_e64 v14, v14, v54, s[4:5]
	v_lshlrev_b32_e32 v54, 24, v12
	v_lshlrev_b32_e32 v14, 20, v14
	v_and_b32_e32 v54, 0x80000000, v54
	v_lshl_add_u32 v53, v53, 23, v49
	v_or3_b32 v14, v54, v53, v14
.LBB364_34:                             ;   in Loop: Header=BB364_10 Depth=1
	s_or_b64 exec, exec, s[42:43]
.LBB364_35:                             ;   in Loop: Header=BB364_10 Depth=1
	s_or_b64 exec, exec, s[40:41]
.LBB364_36:                             ;   in Loop: Header=BB364_10 Depth=1
	s_or_b64 exec, exec, s[16:17]
	v_mul_f32_e32 v14, s47, v14
	v_and_b32_e32 v53, 0x7f800000, v14
	v_cmp_ne_u32_e64 s[4:5], s51, v53
                                        ; implicit-def: $vgpr53
	s_and_saveexec_b64 s[16:17], s[4:5]
	s_xor_b64 s[4:5], exec, s[16:17]
; %bb.37:                               ;   in Loop: Header=BB364_10 Depth=1
	v_bfe_u32 v53, v14, 16, 1
	v_add3_u32 v53, v14, v53, s52
                                        ; implicit-def: $vgpr14
; %bb.38:                               ;   in Loop: Header=BB364_10 Depth=1
	s_andn2_saveexec_b64 s[16:17], s[4:5]
; %bb.39:                               ;   in Loop: Header=BB364_10 Depth=1
	v_or_b32_e32 v53, 0x10000, v14
	v_cmp_eq_u32_sdwa s[4:5], v14, v1 src0_sel:WORD_0 src1_sel:DWORD
	v_cndmask_b32_e64 v53, v53, v14, s[4:5]
; %bb.40:                               ;   in Loop: Header=BB364_10 Depth=1
	s_or_b64 exec, exec, s[16:17]
	v_lshrrev_b16_e32 v14, 8, v12
	v_cmp_ne_u16_e64 s[4:5], 0, v14
	v_mov_b32_e32 v54, 0
	s_and_saveexec_b64 s[16:17], s[4:5]
	s_cbranch_execz .LBB364_46
; %bb.41:                               ;   in Loop: Header=BB364_10 Depth=1
	v_cmp_ne_u16_e64 s[4:5], s49, v14
	v_bfrev_b32_e32 v54, 1
	s_and_saveexec_b64 s[40:41], s[4:5]
	s_cbranch_execz .LBB364_45
; %bb.42:                               ;   in Loop: Header=BB364_10 Depth=1
	v_and_b32_e32 v55, 0x7f, v14
	v_cmp_ne_u32_e64 s[4:5], s50, v55
	v_mov_b32_e32 v54, 0x7f800001
	s_and_saveexec_b64 s[42:43], s[4:5]
	s_cbranch_execz .LBB364_44
; %bb.43:                               ;   in Loop: Header=BB364_10 Depth=1
	v_and_b32_e32 v54, 7, v14
	v_ffbh_u32_e32 v56, v54
	v_min_u32_e32 v59, 32, v56
	v_subrev_u32_e32 v56, 28, v59
	v_lshlrev_b64 v[56:57], v56, v[14:15]
	v_lshrrev_b32_e32 v58, 3, v55
	v_sub_u32_e32 v14, 29, v59
	v_and_b32_e32 v56, 7, v56
	v_cmp_gt_u32_e64 s[4:5], 8, v55
	v_cndmask_b32_e64 v14, v58, v14, s[4:5]
	v_cndmask_b32_e64 v54, v54, v56, s[4:5]
	v_lshlrev_b32_e32 v12, 16, v12
	v_lshlrev_b32_e32 v54, 20, v54
	v_and_b32_e32 v12, 0x80000000, v12
	v_lshl_add_u32 v14, v14, 23, v49
	v_or3_b32 v54, v12, v14, v54
.LBB364_44:                             ;   in Loop: Header=BB364_10 Depth=1
	s_or_b64 exec, exec, s[42:43]
.LBB364_45:                             ;   in Loop: Header=BB364_10 Depth=1
	s_or_b64 exec, exec, s[40:41]
.LBB364_46:                             ;   in Loop: Header=BB364_10 Depth=1
	s_or_b64 exec, exec, s[16:17]
	v_mul_f32_e32 v12, s47, v54
	v_and_b32_e32 v14, 0x7f800000, v12
	v_cmp_ne_u32_e64 s[4:5], s51, v14
                                        ; implicit-def: $vgpr54
	s_and_saveexec_b64 s[16:17], s[4:5]
	s_xor_b64 s[4:5], exec, s[16:17]
; %bb.47:                               ;   in Loop: Header=BB364_10 Depth=1
	v_bfe_u32 v14, v12, 16, 1
	v_add3_u32 v54, v12, v14, s52
                                        ; implicit-def: $vgpr12
; %bb.48:                               ;   in Loop: Header=BB364_10 Depth=1
	s_andn2_saveexec_b64 s[16:17], s[4:5]
; %bb.49:                               ;   in Loop: Header=BB364_10 Depth=1
	v_or_b32_e32 v14, 0x10000, v12
	v_cmp_eq_u32_sdwa s[4:5], v12, v1 src0_sel:WORD_0 src1_sel:DWORD
	v_cndmask_b32_e64 v54, v14, v12, s[4:5]
; %bb.50:                               ;   in Loop: Header=BB364_10 Depth=1
	s_or_b64 exec, exec, s[16:17]
	global_load_ushort v14, v[8:9], off offset:256
	s_waitcnt vmcnt(0)
	v_and_b32_e32 v12, 0xffff, v14
	v_cmp_ne_u16_sdwa s[4:5], v14, v1 src0_sel:BYTE_0 src1_sel:DWORD
	v_mov_b32_e32 v14, 0
	s_and_saveexec_b64 s[16:17], s[4:5]
	s_cbranch_execz .LBB364_56
; %bb.51:                               ;   in Loop: Header=BB364_10 Depth=1
	v_cmp_ne_u16_sdwa s[4:5], v12, s49 src0_sel:BYTE_0 src1_sel:DWORD
	v_bfrev_b32_e32 v14, 1
	s_and_saveexec_b64 s[40:41], s[4:5]
	s_cbranch_execz .LBB364_55
; %bb.52:                               ;   in Loop: Header=BB364_10 Depth=1
	v_and_b32_e32 v55, 0x7f, v12
	v_cmp_ne_u32_e64 s[4:5], s50, v55
	v_mov_b32_e32 v14, 0x7f800001
	s_and_saveexec_b64 s[42:43], s[4:5]
	s_cbranch_execz .LBB364_54
; %bb.53:                               ;   in Loop: Header=BB364_10 Depth=1
	v_and_b32_e32 v14, 7, v12
	v_ffbh_u32_e32 v56, v14
	v_min_u32_e32 v59, 32, v56
	v_subrev_u32_e32 v56, 28, v59
	v_lshlrev_b64 v[56:57], v56, v[12:13]
	v_lshrrev_b32_e32 v58, 3, v55
	v_sub_u32_e32 v57, 29, v59
	v_and_b32_e32 v56, 7, v56
	v_cmp_gt_u32_e64 s[4:5], 8, v55
	v_cndmask_b32_e64 v55, v58, v57, s[4:5]
	v_cndmask_b32_e64 v14, v14, v56, s[4:5]
	v_lshlrev_b32_e32 v56, 24, v12
	v_lshlrev_b32_e32 v14, 20, v14
	v_and_b32_e32 v56, 0x80000000, v56
	v_lshl_add_u32 v55, v55, 23, v49
	v_or3_b32 v14, v56, v55, v14
.LBB364_54:                             ;   in Loop: Header=BB364_10 Depth=1
	s_or_b64 exec, exec, s[42:43]
.LBB364_55:                             ;   in Loop: Header=BB364_10 Depth=1
	s_or_b64 exec, exec, s[40:41]
.LBB364_56:                             ;   in Loop: Header=BB364_10 Depth=1
	s_or_b64 exec, exec, s[16:17]
	v_mul_f32_e32 v14, s47, v14
	v_and_b32_e32 v55, 0x7f800000, v14
	v_cmp_ne_u32_e64 s[4:5], s51, v55
                                        ; implicit-def: $vgpr55
	s_and_saveexec_b64 s[16:17], s[4:5]
	s_xor_b64 s[4:5], exec, s[16:17]
; %bb.57:                               ;   in Loop: Header=BB364_10 Depth=1
	v_bfe_u32 v55, v14, 16, 1
	v_add3_u32 v55, v14, v55, s52
                                        ; implicit-def: $vgpr14
; %bb.58:                               ;   in Loop: Header=BB364_10 Depth=1
	s_andn2_saveexec_b64 s[16:17], s[4:5]
; %bb.59:                               ;   in Loop: Header=BB364_10 Depth=1
	v_or_b32_e32 v55, 0x10000, v14
	v_cmp_eq_u32_sdwa s[4:5], v14, v1 src0_sel:WORD_0 src1_sel:DWORD
	v_cndmask_b32_e64 v55, v55, v14, s[4:5]
; %bb.60:                               ;   in Loop: Header=BB364_10 Depth=1
	s_or_b64 exec, exec, s[16:17]
	v_lshrrev_b16_e32 v14, 8, v12
	v_cmp_ne_u16_e64 s[4:5], 0, v14
	v_mov_b32_e32 v56, 0
	s_and_saveexec_b64 s[16:17], s[4:5]
	s_cbranch_execz .LBB364_66
; %bb.61:                               ;   in Loop: Header=BB364_10 Depth=1
	v_cmp_ne_u16_e64 s[4:5], s49, v14
	v_bfrev_b32_e32 v56, 1
	s_and_saveexec_b64 s[40:41], s[4:5]
	s_cbranch_execz .LBB364_65
; %bb.62:                               ;   in Loop: Header=BB364_10 Depth=1
	v_and_b32_e32 v57, 0x7f, v14
	v_cmp_ne_u32_e64 s[4:5], s50, v57
	v_mov_b32_e32 v56, 0x7f800001
	s_and_saveexec_b64 s[42:43], s[4:5]
	s_cbranch_execz .LBB364_64
; %bb.63:                               ;   in Loop: Header=BB364_10 Depth=1
	v_and_b32_e32 v56, 7, v14
	v_ffbh_u32_e32 v58, v56
	v_min_u32_e32 v61, 32, v58
	v_subrev_u32_e32 v58, 28, v61
	v_lshlrev_b64 v[58:59], v58, v[14:15]
	v_lshrrev_b32_e32 v60, 3, v57
	v_sub_u32_e32 v14, 29, v61
	v_and_b32_e32 v58, 7, v58
	v_cmp_gt_u32_e64 s[4:5], 8, v57
	v_cndmask_b32_e64 v14, v60, v14, s[4:5]
	v_cndmask_b32_e64 v56, v56, v58, s[4:5]
	v_lshlrev_b32_e32 v12, 16, v12
	v_lshlrev_b32_e32 v56, 20, v56
	v_and_b32_e32 v12, 0x80000000, v12
	v_lshl_add_u32 v14, v14, 23, v49
	v_or3_b32 v56, v12, v14, v56
.LBB364_64:                             ;   in Loop: Header=BB364_10 Depth=1
	s_or_b64 exec, exec, s[42:43]
.LBB364_65:                             ;   in Loop: Header=BB364_10 Depth=1
	s_or_b64 exec, exec, s[40:41]
.LBB364_66:                             ;   in Loop: Header=BB364_10 Depth=1
	s_or_b64 exec, exec, s[16:17]
	v_mul_f32_e32 v12, s47, v56
	v_and_b32_e32 v14, 0x7f800000, v12
	v_cmp_ne_u32_e64 s[4:5], s51, v14
                                        ; implicit-def: $vgpr56
	s_and_saveexec_b64 s[16:17], s[4:5]
	s_xor_b64 s[4:5], exec, s[16:17]
; %bb.67:                               ;   in Loop: Header=BB364_10 Depth=1
	v_bfe_u32 v14, v12, 16, 1
	v_add3_u32 v56, v12, v14, s52
                                        ; implicit-def: $vgpr12
; %bb.68:                               ;   in Loop: Header=BB364_10 Depth=1
	s_andn2_saveexec_b64 s[16:17], s[4:5]
; %bb.69:                               ;   in Loop: Header=BB364_10 Depth=1
	v_or_b32_e32 v14, 0x10000, v12
	v_cmp_eq_u32_sdwa s[4:5], v12, v1 src0_sel:WORD_0 src1_sel:DWORD
	v_cndmask_b32_e64 v56, v14, v12, s[4:5]
; %bb.70:                               ;   in Loop: Header=BB364_10 Depth=1
	s_or_b64 exec, exec, s[16:17]
	global_load_ushort v14, v[8:9], off offset:264
	s_waitcnt vmcnt(0)
	v_and_b32_e32 v12, 0xffff, v14
	v_cmp_ne_u16_sdwa s[4:5], v14, v1 src0_sel:BYTE_0 src1_sel:DWORD
	v_mov_b32_e32 v14, 0
	s_and_saveexec_b64 s[16:17], s[4:5]
	s_cbranch_execz .LBB364_76
; %bb.71:                               ;   in Loop: Header=BB364_10 Depth=1
	v_cmp_ne_u16_sdwa s[4:5], v12, s49 src0_sel:BYTE_0 src1_sel:DWORD
	v_bfrev_b32_e32 v14, 1
	s_and_saveexec_b64 s[40:41], s[4:5]
	s_cbranch_execz .LBB364_75
; %bb.72:                               ;   in Loop: Header=BB364_10 Depth=1
	v_and_b32_e32 v57, 0x7f, v12
	v_cmp_ne_u32_e64 s[4:5], s50, v57
	v_mov_b32_e32 v14, 0x7f800001
	s_and_saveexec_b64 s[42:43], s[4:5]
	s_cbranch_execz .LBB364_74
; %bb.73:                               ;   in Loop: Header=BB364_10 Depth=1
	v_and_b32_e32 v14, 7, v12
	v_ffbh_u32_e32 v58, v14
	v_min_u32_e32 v61, 32, v58
	v_subrev_u32_e32 v58, 28, v61
	v_lshlrev_b64 v[58:59], v58, v[12:13]
	v_lshrrev_b32_e32 v60, 3, v57
	v_sub_u32_e32 v59, 29, v61
	v_and_b32_e32 v58, 7, v58
	v_cmp_gt_u32_e64 s[4:5], 8, v57
	v_cndmask_b32_e64 v57, v60, v59, s[4:5]
	v_cndmask_b32_e64 v14, v14, v58, s[4:5]
	v_lshlrev_b32_e32 v58, 24, v12
	v_lshlrev_b32_e32 v14, 20, v14
	v_and_b32_e32 v58, 0x80000000, v58
	v_lshl_add_u32 v57, v57, 23, v49
	v_or3_b32 v14, v58, v57, v14
.LBB364_74:                             ;   in Loop: Header=BB364_10 Depth=1
	s_or_b64 exec, exec, s[42:43]
.LBB364_75:                             ;   in Loop: Header=BB364_10 Depth=1
	s_or_b64 exec, exec, s[40:41]
.LBB364_76:                             ;   in Loop: Header=BB364_10 Depth=1
	s_or_b64 exec, exec, s[16:17]
	v_mul_f32_e32 v14, s47, v14
	v_and_b32_e32 v57, 0x7f800000, v14
	v_cmp_ne_u32_e64 s[4:5], s51, v57
                                        ; implicit-def: $vgpr57
	s_and_saveexec_b64 s[16:17], s[4:5]
	s_xor_b64 s[4:5], exec, s[16:17]
; %bb.77:                               ;   in Loop: Header=BB364_10 Depth=1
	v_bfe_u32 v57, v14, 16, 1
	v_add3_u32 v57, v14, v57, s52
                                        ; implicit-def: $vgpr14
; %bb.78:                               ;   in Loop: Header=BB364_10 Depth=1
	s_andn2_saveexec_b64 s[16:17], s[4:5]
; %bb.79:                               ;   in Loop: Header=BB364_10 Depth=1
	v_or_b32_e32 v57, 0x10000, v14
	v_cmp_eq_u32_sdwa s[4:5], v14, v1 src0_sel:WORD_0 src1_sel:DWORD
	v_cndmask_b32_e64 v57, v57, v14, s[4:5]
; %bb.80:                               ;   in Loop: Header=BB364_10 Depth=1
	s_or_b64 exec, exec, s[16:17]
	v_lshrrev_b16_e32 v14, 8, v12
	v_cmp_ne_u16_e64 s[4:5], 0, v14
	v_mov_b32_e32 v58, 0
	s_and_saveexec_b64 s[16:17], s[4:5]
	s_cbranch_execz .LBB364_86
; %bb.81:                               ;   in Loop: Header=BB364_10 Depth=1
	v_cmp_ne_u16_e64 s[4:5], s49, v14
	v_bfrev_b32_e32 v58, 1
	s_and_saveexec_b64 s[40:41], s[4:5]
	s_cbranch_execz .LBB364_85
; %bb.82:                               ;   in Loop: Header=BB364_10 Depth=1
	v_and_b32_e32 v59, 0x7f, v14
	v_cmp_ne_u32_e64 s[4:5], s50, v59
	v_mov_b32_e32 v58, 0x7f800001
	s_and_saveexec_b64 s[42:43], s[4:5]
	s_cbranch_execz .LBB364_84
; %bb.83:                               ;   in Loop: Header=BB364_10 Depth=1
	v_and_b32_e32 v58, 7, v14
	v_ffbh_u32_e32 v60, v58
	v_min_u32_e32 v63, 32, v60
	v_subrev_u32_e32 v60, 28, v63
	v_lshlrev_b64 v[60:61], v60, v[14:15]
	v_lshrrev_b32_e32 v62, 3, v59
	v_sub_u32_e32 v14, 29, v63
	v_and_b32_e32 v60, 7, v60
	v_cmp_gt_u32_e64 s[4:5], 8, v59
	v_cndmask_b32_e64 v14, v62, v14, s[4:5]
	v_cndmask_b32_e64 v58, v58, v60, s[4:5]
	v_lshlrev_b32_e32 v12, 16, v12
	v_lshlrev_b32_e32 v58, 20, v58
	v_and_b32_e32 v12, 0x80000000, v12
	v_lshl_add_u32 v14, v14, 23, v49
	v_or3_b32 v58, v12, v14, v58
.LBB364_84:                             ;   in Loop: Header=BB364_10 Depth=1
	s_or_b64 exec, exec, s[42:43]
.LBB364_85:                             ;   in Loop: Header=BB364_10 Depth=1
	s_or_b64 exec, exec, s[40:41]
.LBB364_86:                             ;   in Loop: Header=BB364_10 Depth=1
	s_or_b64 exec, exec, s[16:17]
	v_mul_f32_e32 v12, s47, v58
	v_and_b32_e32 v14, 0x7f800000, v12
	v_cmp_ne_u32_e64 s[4:5], s51, v14
                                        ; implicit-def: $vgpr58
	s_and_saveexec_b64 s[16:17], s[4:5]
	s_xor_b64 s[4:5], exec, s[16:17]
; %bb.87:                               ;   in Loop: Header=BB364_10 Depth=1
	v_bfe_u32 v14, v12, 16, 1
	v_add3_u32 v58, v12, v14, s52
                                        ; implicit-def: $vgpr12
; %bb.88:                               ;   in Loop: Header=BB364_10 Depth=1
	s_andn2_saveexec_b64 s[16:17], s[4:5]
; %bb.89:                               ;   in Loop: Header=BB364_10 Depth=1
	v_or_b32_e32 v14, 0x10000, v12
	v_cmp_eq_u32_sdwa s[4:5], v12, v1 src0_sel:WORD_0 src1_sel:DWORD
	v_cndmask_b32_e64 v58, v14, v12, s[4:5]
; %bb.90:                               ;   in Loop: Header=BB364_10 Depth=1
	s_or_b64 exec, exec, s[16:17]
	global_load_ushort v14, v[8:9], off offset:512
	s_waitcnt vmcnt(0)
	v_and_b32_e32 v12, 0xffff, v14
	v_cmp_ne_u16_sdwa s[4:5], v14, v1 src0_sel:BYTE_0 src1_sel:DWORD
	v_mov_b32_e32 v14, 0
	s_and_saveexec_b64 s[16:17], s[4:5]
	s_cbranch_execz .LBB364_96
; %bb.91:                               ;   in Loop: Header=BB364_10 Depth=1
	v_cmp_ne_u16_sdwa s[4:5], v12, s49 src0_sel:BYTE_0 src1_sel:DWORD
	v_bfrev_b32_e32 v14, 1
	s_and_saveexec_b64 s[40:41], s[4:5]
	s_cbranch_execz .LBB364_95
; %bb.92:                               ;   in Loop: Header=BB364_10 Depth=1
	v_and_b32_e32 v59, 0x7f, v12
	v_cmp_ne_u32_e64 s[4:5], s50, v59
	v_mov_b32_e32 v14, 0x7f800001
	s_and_saveexec_b64 s[42:43], s[4:5]
	s_cbranch_execz .LBB364_94
; %bb.93:                               ;   in Loop: Header=BB364_10 Depth=1
	v_and_b32_e32 v14, 7, v12
	v_ffbh_u32_e32 v60, v14
	v_min_u32_e32 v63, 32, v60
	v_subrev_u32_e32 v60, 28, v63
	v_lshlrev_b64 v[60:61], v60, v[12:13]
	v_lshrrev_b32_e32 v62, 3, v59
	v_sub_u32_e32 v61, 29, v63
	v_and_b32_e32 v60, 7, v60
	v_cmp_gt_u32_e64 s[4:5], 8, v59
	v_cndmask_b32_e64 v59, v62, v61, s[4:5]
	v_cndmask_b32_e64 v14, v14, v60, s[4:5]
	v_lshlrev_b32_e32 v60, 24, v12
	v_lshlrev_b32_e32 v14, 20, v14
	v_and_b32_e32 v60, 0x80000000, v60
	v_lshl_add_u32 v59, v59, 23, v49
	v_or3_b32 v14, v60, v59, v14
.LBB364_94:                             ;   in Loop: Header=BB364_10 Depth=1
	s_or_b64 exec, exec, s[42:43]
.LBB364_95:                             ;   in Loop: Header=BB364_10 Depth=1
	s_or_b64 exec, exec, s[40:41]
.LBB364_96:                             ;   in Loop: Header=BB364_10 Depth=1
	s_or_b64 exec, exec, s[16:17]
	v_mul_f32_e32 v14, s47, v14
	v_and_b32_e32 v59, 0x7f800000, v14
	v_cmp_ne_u32_e64 s[4:5], s51, v59
                                        ; implicit-def: $vgpr59
	s_and_saveexec_b64 s[16:17], s[4:5]
	s_xor_b64 s[4:5], exec, s[16:17]
; %bb.97:                               ;   in Loop: Header=BB364_10 Depth=1
	v_bfe_u32 v59, v14, 16, 1
	v_add3_u32 v59, v14, v59, s52
                                        ; implicit-def: $vgpr14
; %bb.98:                               ;   in Loop: Header=BB364_10 Depth=1
	s_andn2_saveexec_b64 s[16:17], s[4:5]
; %bb.99:                               ;   in Loop: Header=BB364_10 Depth=1
	v_or_b32_e32 v59, 0x10000, v14
	v_cmp_eq_u32_sdwa s[4:5], v14, v1 src0_sel:WORD_0 src1_sel:DWORD
	v_cndmask_b32_e64 v59, v59, v14, s[4:5]
; %bb.100:                              ;   in Loop: Header=BB364_10 Depth=1
	s_or_b64 exec, exec, s[16:17]
	v_lshrrev_b16_e32 v14, 8, v12
	v_cmp_ne_u16_e64 s[4:5], 0, v14
	v_mov_b32_e32 v60, 0
	s_and_saveexec_b64 s[16:17], s[4:5]
	s_cbranch_execz .LBB364_106
; %bb.101:                              ;   in Loop: Header=BB364_10 Depth=1
	v_cmp_ne_u16_e64 s[4:5], s49, v14
	v_bfrev_b32_e32 v60, 1
	s_and_saveexec_b64 s[40:41], s[4:5]
	s_cbranch_execz .LBB364_105
; %bb.102:                              ;   in Loop: Header=BB364_10 Depth=1
	v_and_b32_e32 v61, 0x7f, v14
	v_cmp_ne_u32_e64 s[4:5], s50, v61
	v_mov_b32_e32 v60, 0x7f800001
	s_and_saveexec_b64 s[42:43], s[4:5]
	s_cbranch_execz .LBB364_104
; %bb.103:                              ;   in Loop: Header=BB364_10 Depth=1
	v_and_b32_e32 v60, 7, v14
	v_ffbh_u32_e32 v62, v60
	v_min_u32_e32 v65, 32, v62
	v_subrev_u32_e32 v62, 28, v65
	v_lshlrev_b64 v[62:63], v62, v[14:15]
	v_lshrrev_b32_e32 v64, 3, v61
	v_sub_u32_e32 v14, 29, v65
	v_and_b32_e32 v62, 7, v62
	v_cmp_gt_u32_e64 s[4:5], 8, v61
	v_cndmask_b32_e64 v14, v64, v14, s[4:5]
	v_cndmask_b32_e64 v60, v60, v62, s[4:5]
	v_lshlrev_b32_e32 v12, 16, v12
	v_lshlrev_b32_e32 v60, 20, v60
	v_and_b32_e32 v12, 0x80000000, v12
	v_lshl_add_u32 v14, v14, 23, v49
	v_or3_b32 v60, v12, v14, v60
.LBB364_104:                            ;   in Loop: Header=BB364_10 Depth=1
	s_or_b64 exec, exec, s[42:43]
.LBB364_105:                            ;   in Loop: Header=BB364_10 Depth=1
	s_or_b64 exec, exec, s[40:41]
.LBB364_106:                            ;   in Loop: Header=BB364_10 Depth=1
	s_or_b64 exec, exec, s[16:17]
	v_mul_f32_e32 v12, s47, v60
	v_and_b32_e32 v14, 0x7f800000, v12
	v_cmp_ne_u32_e64 s[4:5], s51, v14
                                        ; implicit-def: $vgpr60
	s_and_saveexec_b64 s[16:17], s[4:5]
	s_xor_b64 s[4:5], exec, s[16:17]
; %bb.107:                              ;   in Loop: Header=BB364_10 Depth=1
	v_bfe_u32 v14, v12, 16, 1
	v_add3_u32 v60, v12, v14, s52
                                        ; implicit-def: $vgpr12
; %bb.108:                              ;   in Loop: Header=BB364_10 Depth=1
	s_andn2_saveexec_b64 s[16:17], s[4:5]
; %bb.109:                              ;   in Loop: Header=BB364_10 Depth=1
	v_or_b32_e32 v14, 0x10000, v12
	v_cmp_eq_u32_sdwa s[4:5], v12, v1 src0_sel:WORD_0 src1_sel:DWORD
	v_cndmask_b32_e64 v60, v14, v12, s[4:5]
; %bb.110:                              ;   in Loop: Header=BB364_10 Depth=1
	s_or_b64 exec, exec, s[16:17]
	global_load_ushort v14, v[8:9], off offset:520
	s_waitcnt vmcnt(0)
	v_and_b32_e32 v12, 0xffff, v14
	v_cmp_ne_u16_sdwa s[4:5], v14, v1 src0_sel:BYTE_0 src1_sel:DWORD
	v_mov_b32_e32 v14, 0
	s_and_saveexec_b64 s[16:17], s[4:5]
	s_cbranch_execz .LBB364_116
; %bb.111:                              ;   in Loop: Header=BB364_10 Depth=1
	v_cmp_ne_u16_sdwa s[4:5], v12, s49 src0_sel:BYTE_0 src1_sel:DWORD
	v_bfrev_b32_e32 v14, 1
	s_and_saveexec_b64 s[40:41], s[4:5]
	s_cbranch_execz .LBB364_115
; %bb.112:                              ;   in Loop: Header=BB364_10 Depth=1
	v_and_b32_e32 v61, 0x7f, v12
	v_cmp_ne_u32_e64 s[4:5], s50, v61
	v_mov_b32_e32 v14, 0x7f800001
	s_and_saveexec_b64 s[42:43], s[4:5]
	s_cbranch_execz .LBB364_114
; %bb.113:                              ;   in Loop: Header=BB364_10 Depth=1
	v_and_b32_e32 v14, 7, v12
	v_ffbh_u32_e32 v62, v14
	v_min_u32_e32 v65, 32, v62
	v_subrev_u32_e32 v62, 28, v65
	v_lshlrev_b64 v[62:63], v62, v[12:13]
	v_lshrrev_b32_e32 v64, 3, v61
	v_sub_u32_e32 v63, 29, v65
	v_and_b32_e32 v62, 7, v62
	v_cmp_gt_u32_e64 s[4:5], 8, v61
	v_cndmask_b32_e64 v61, v64, v63, s[4:5]
	v_cndmask_b32_e64 v14, v14, v62, s[4:5]
	v_lshlrev_b32_e32 v62, 24, v12
	v_lshlrev_b32_e32 v14, 20, v14
	v_and_b32_e32 v62, 0x80000000, v62
	v_lshl_add_u32 v61, v61, 23, v49
	v_or3_b32 v14, v62, v61, v14
.LBB364_114:                            ;   in Loop: Header=BB364_10 Depth=1
	s_or_b64 exec, exec, s[42:43]
.LBB364_115:                            ;   in Loop: Header=BB364_10 Depth=1
	s_or_b64 exec, exec, s[40:41]
.LBB364_116:                            ;   in Loop: Header=BB364_10 Depth=1
	s_or_b64 exec, exec, s[16:17]
	v_mul_f32_e32 v14, s47, v14
	v_and_b32_e32 v61, 0x7f800000, v14
	v_cmp_ne_u32_e64 s[4:5], s51, v61
                                        ; implicit-def: $vgpr61
	s_and_saveexec_b64 s[16:17], s[4:5]
	s_xor_b64 s[4:5], exec, s[16:17]
; %bb.117:                              ;   in Loop: Header=BB364_10 Depth=1
	v_bfe_u32 v61, v14, 16, 1
	v_add3_u32 v61, v14, v61, s52
                                        ; implicit-def: $vgpr14
; %bb.118:                              ;   in Loop: Header=BB364_10 Depth=1
	s_andn2_saveexec_b64 s[16:17], s[4:5]
; %bb.119:                              ;   in Loop: Header=BB364_10 Depth=1
	v_or_b32_e32 v61, 0x10000, v14
	v_cmp_eq_u32_sdwa s[4:5], v14, v1 src0_sel:WORD_0 src1_sel:DWORD
	v_cndmask_b32_e64 v61, v61, v14, s[4:5]
; %bb.120:                              ;   in Loop: Header=BB364_10 Depth=1
	s_or_b64 exec, exec, s[16:17]
	v_lshrrev_b16_e32 v14, 8, v12
	v_cmp_ne_u16_e64 s[4:5], 0, v14
	v_mov_b32_e32 v62, 0
	s_and_saveexec_b64 s[16:17], s[4:5]
	s_cbranch_execz .LBB364_126
; %bb.121:                              ;   in Loop: Header=BB364_10 Depth=1
	v_cmp_ne_u16_e64 s[4:5], s49, v14
	v_bfrev_b32_e32 v62, 1
	s_and_saveexec_b64 s[40:41], s[4:5]
	s_cbranch_execz .LBB364_125
; %bb.122:                              ;   in Loop: Header=BB364_10 Depth=1
	v_and_b32_e32 v63, 0x7f, v14
	v_cmp_ne_u32_e64 s[4:5], s50, v63
	v_mov_b32_e32 v62, 0x7f800001
	s_and_saveexec_b64 s[42:43], s[4:5]
	s_cbranch_execz .LBB364_124
; %bb.123:                              ;   in Loop: Header=BB364_10 Depth=1
	v_and_b32_e32 v62, 7, v14
	v_ffbh_u32_e32 v64, v62
	v_min_u32_e32 v67, 32, v64
	v_subrev_u32_e32 v64, 28, v67
	v_lshlrev_b64 v[64:65], v64, v[14:15]
	v_lshrrev_b32_e32 v66, 3, v63
	v_sub_u32_e32 v14, 29, v67
	v_and_b32_e32 v64, 7, v64
	v_cmp_gt_u32_e64 s[4:5], 8, v63
	v_cndmask_b32_e64 v14, v66, v14, s[4:5]
	v_cndmask_b32_e64 v62, v62, v64, s[4:5]
	v_lshlrev_b32_e32 v12, 16, v12
	v_lshlrev_b32_e32 v62, 20, v62
	v_and_b32_e32 v12, 0x80000000, v12
	v_lshl_add_u32 v14, v14, 23, v49
	v_or3_b32 v62, v12, v14, v62
.LBB364_124:                            ;   in Loop: Header=BB364_10 Depth=1
	s_or_b64 exec, exec, s[42:43]
.LBB364_125:                            ;   in Loop: Header=BB364_10 Depth=1
	s_or_b64 exec, exec, s[40:41]
.LBB364_126:                            ;   in Loop: Header=BB364_10 Depth=1
	s_or_b64 exec, exec, s[16:17]
	v_mul_f32_e32 v12, s47, v62
	v_and_b32_e32 v14, 0x7f800000, v12
	v_cmp_ne_u32_e64 s[4:5], s51, v14
                                        ; implicit-def: $vgpr62
	s_and_saveexec_b64 s[16:17], s[4:5]
	s_xor_b64 s[4:5], exec, s[16:17]
; %bb.127:                              ;   in Loop: Header=BB364_10 Depth=1
	v_bfe_u32 v14, v12, 16, 1
	v_add3_u32 v62, v12, v14, s52
                                        ; implicit-def: $vgpr12
; %bb.128:                              ;   in Loop: Header=BB364_10 Depth=1
	s_andn2_saveexec_b64 s[16:17], s[4:5]
; %bb.129:                              ;   in Loop: Header=BB364_10 Depth=1
	v_or_b32_e32 v14, 0x10000, v12
	v_cmp_eq_u32_sdwa s[4:5], v12, v1 src0_sel:WORD_0 src1_sel:DWORD
	v_cndmask_b32_e64 v62, v14, v12, s[4:5]
; %bb.130:                              ;   in Loop: Header=BB364_10 Depth=1
	s_or_b64 exec, exec, s[16:17]
	global_load_ushort v14, v[8:9], off offset:768
	s_waitcnt vmcnt(0)
	v_and_b32_e32 v12, 0xffff, v14
	v_cmp_ne_u16_sdwa s[4:5], v14, v1 src0_sel:BYTE_0 src1_sel:DWORD
	v_mov_b32_e32 v14, 0
	s_and_saveexec_b64 s[16:17], s[4:5]
	s_cbranch_execz .LBB364_136
; %bb.131:                              ;   in Loop: Header=BB364_10 Depth=1
	v_cmp_ne_u16_sdwa s[4:5], v12, s49 src0_sel:BYTE_0 src1_sel:DWORD
	v_bfrev_b32_e32 v14, 1
	s_and_saveexec_b64 s[40:41], s[4:5]
	s_cbranch_execz .LBB364_135
; %bb.132:                              ;   in Loop: Header=BB364_10 Depth=1
	v_and_b32_e32 v63, 0x7f, v12
	v_cmp_ne_u32_e64 s[4:5], s50, v63
	v_mov_b32_e32 v14, 0x7f800001
	s_and_saveexec_b64 s[42:43], s[4:5]
	s_cbranch_execz .LBB364_134
; %bb.133:                              ;   in Loop: Header=BB364_10 Depth=1
	v_and_b32_e32 v14, 7, v12
	v_ffbh_u32_e32 v64, v14
	v_min_u32_e32 v67, 32, v64
	v_subrev_u32_e32 v64, 28, v67
	v_lshlrev_b64 v[64:65], v64, v[12:13]
	v_lshrrev_b32_e32 v66, 3, v63
	v_sub_u32_e32 v65, 29, v67
	v_and_b32_e32 v64, 7, v64
	v_cmp_gt_u32_e64 s[4:5], 8, v63
	v_cndmask_b32_e64 v63, v66, v65, s[4:5]
	v_cndmask_b32_e64 v14, v14, v64, s[4:5]
	v_lshlrev_b32_e32 v64, 24, v12
	v_lshlrev_b32_e32 v14, 20, v14
	v_and_b32_e32 v64, 0x80000000, v64
	v_lshl_add_u32 v63, v63, 23, v49
	v_or3_b32 v14, v64, v63, v14
.LBB364_134:                            ;   in Loop: Header=BB364_10 Depth=1
	s_or_b64 exec, exec, s[42:43]
.LBB364_135:                            ;   in Loop: Header=BB364_10 Depth=1
	s_or_b64 exec, exec, s[40:41]
.LBB364_136:                            ;   in Loop: Header=BB364_10 Depth=1
	s_or_b64 exec, exec, s[16:17]
	v_mul_f32_e32 v14, s47, v14
	v_and_b32_e32 v63, 0x7f800000, v14
	v_cmp_ne_u32_e64 s[4:5], s51, v63
                                        ; implicit-def: $vgpr63
	s_and_saveexec_b64 s[16:17], s[4:5]
	s_xor_b64 s[4:5], exec, s[16:17]
; %bb.137:                              ;   in Loop: Header=BB364_10 Depth=1
	v_bfe_u32 v63, v14, 16, 1
	v_add3_u32 v63, v14, v63, s52
                                        ; implicit-def: $vgpr14
; %bb.138:                              ;   in Loop: Header=BB364_10 Depth=1
	s_andn2_saveexec_b64 s[16:17], s[4:5]
; %bb.139:                              ;   in Loop: Header=BB364_10 Depth=1
	v_or_b32_e32 v63, 0x10000, v14
	v_cmp_eq_u32_sdwa s[4:5], v14, v1 src0_sel:WORD_0 src1_sel:DWORD
	v_cndmask_b32_e64 v63, v63, v14, s[4:5]
; %bb.140:                              ;   in Loop: Header=BB364_10 Depth=1
	s_or_b64 exec, exec, s[16:17]
	v_lshrrev_b16_e32 v14, 8, v12
	v_cmp_ne_u16_e64 s[4:5], 0, v14
	v_mov_b32_e32 v64, 0
	s_and_saveexec_b64 s[16:17], s[4:5]
	s_cbranch_execz .LBB364_146
; %bb.141:                              ;   in Loop: Header=BB364_10 Depth=1
	v_cmp_ne_u16_e64 s[4:5], s49, v14
	v_bfrev_b32_e32 v64, 1
	s_and_saveexec_b64 s[40:41], s[4:5]
	s_cbranch_execz .LBB364_145
; %bb.142:                              ;   in Loop: Header=BB364_10 Depth=1
	v_and_b32_e32 v65, 0x7f, v14
	v_cmp_ne_u32_e64 s[4:5], s50, v65
	v_mov_b32_e32 v64, 0x7f800001
	s_and_saveexec_b64 s[42:43], s[4:5]
	s_cbranch_execz .LBB364_144
; %bb.143:                              ;   in Loop: Header=BB364_10 Depth=1
	v_and_b32_e32 v64, 7, v14
	v_ffbh_u32_e32 v66, v64
	v_min_u32_e32 v69, 32, v66
	v_subrev_u32_e32 v66, 28, v69
	v_lshlrev_b64 v[66:67], v66, v[14:15]
	v_lshrrev_b32_e32 v68, 3, v65
	v_sub_u32_e32 v14, 29, v69
	v_and_b32_e32 v66, 7, v66
	v_cmp_gt_u32_e64 s[4:5], 8, v65
	v_cndmask_b32_e64 v14, v68, v14, s[4:5]
	v_cndmask_b32_e64 v64, v64, v66, s[4:5]
	v_lshlrev_b32_e32 v12, 16, v12
	v_lshlrev_b32_e32 v64, 20, v64
	v_and_b32_e32 v12, 0x80000000, v12
	v_lshl_add_u32 v14, v14, 23, v49
	v_or3_b32 v64, v12, v14, v64
.LBB364_144:                            ;   in Loop: Header=BB364_10 Depth=1
	s_or_b64 exec, exec, s[42:43]
.LBB364_145:                            ;   in Loop: Header=BB364_10 Depth=1
	s_or_b64 exec, exec, s[40:41]
.LBB364_146:                            ;   in Loop: Header=BB364_10 Depth=1
	s_or_b64 exec, exec, s[16:17]
	v_mul_f32_e32 v12, s47, v64
	v_and_b32_e32 v14, 0x7f800000, v12
	v_cmp_ne_u32_e64 s[4:5], s51, v14
                                        ; implicit-def: $vgpr64
	s_and_saveexec_b64 s[16:17], s[4:5]
	s_xor_b64 s[4:5], exec, s[16:17]
; %bb.147:                              ;   in Loop: Header=BB364_10 Depth=1
	v_bfe_u32 v14, v12, 16, 1
	v_add3_u32 v64, v12, v14, s52
                                        ; implicit-def: $vgpr12
; %bb.148:                              ;   in Loop: Header=BB364_10 Depth=1
	s_andn2_saveexec_b64 s[16:17], s[4:5]
; %bb.149:                              ;   in Loop: Header=BB364_10 Depth=1
	v_or_b32_e32 v14, 0x10000, v12
	v_cmp_eq_u32_sdwa s[4:5], v12, v1 src0_sel:WORD_0 src1_sel:DWORD
	v_cndmask_b32_e64 v64, v14, v12, s[4:5]
; %bb.150:                              ;   in Loop: Header=BB364_10 Depth=1
	s_or_b64 exec, exec, s[16:17]
	global_load_ushort v14, v[8:9], off offset:776
	s_waitcnt vmcnt(0)
	v_and_b32_e32 v12, 0xffff, v14
	v_cmp_ne_u16_sdwa s[4:5], v14, v1 src0_sel:BYTE_0 src1_sel:DWORD
	v_mov_b32_e32 v14, 0
	s_and_saveexec_b64 s[16:17], s[4:5]
	s_cbranch_execz .LBB364_156
; %bb.151:                              ;   in Loop: Header=BB364_10 Depth=1
	v_cmp_ne_u16_sdwa s[4:5], v12, s49 src0_sel:BYTE_0 src1_sel:DWORD
	v_bfrev_b32_e32 v14, 1
	s_and_saveexec_b64 s[40:41], s[4:5]
	s_cbranch_execz .LBB364_155
; %bb.152:                              ;   in Loop: Header=BB364_10 Depth=1
	v_and_b32_e32 v65, 0x7f, v12
	v_cmp_ne_u32_e64 s[4:5], s50, v65
	v_mov_b32_e32 v14, 0x7f800001
	s_and_saveexec_b64 s[42:43], s[4:5]
	s_cbranch_execz .LBB364_154
; %bb.153:                              ;   in Loop: Header=BB364_10 Depth=1
	v_and_b32_e32 v14, 7, v12
	v_ffbh_u32_e32 v66, v14
	v_min_u32_e32 v69, 32, v66
	v_subrev_u32_e32 v66, 28, v69
	v_lshlrev_b64 v[66:67], v66, v[12:13]
	v_lshrrev_b32_e32 v68, 3, v65
	v_sub_u32_e32 v67, 29, v69
	v_and_b32_e32 v66, 7, v66
	v_cmp_gt_u32_e64 s[4:5], 8, v65
	v_cndmask_b32_e64 v65, v68, v67, s[4:5]
	v_cndmask_b32_e64 v14, v14, v66, s[4:5]
	v_lshlrev_b32_e32 v66, 24, v12
	v_lshlrev_b32_e32 v14, 20, v14
	v_and_b32_e32 v66, 0x80000000, v66
	v_lshl_add_u32 v65, v65, 23, v49
	v_or3_b32 v14, v66, v65, v14
.LBB364_154:                            ;   in Loop: Header=BB364_10 Depth=1
	s_or_b64 exec, exec, s[42:43]
.LBB364_155:                            ;   in Loop: Header=BB364_10 Depth=1
	s_or_b64 exec, exec, s[40:41]
.LBB364_156:                            ;   in Loop: Header=BB364_10 Depth=1
	s_or_b64 exec, exec, s[16:17]
	v_mul_f32_e32 v14, s47, v14
	v_and_b32_e32 v65, 0x7f800000, v14
	v_cmp_ne_u32_e64 s[4:5], s51, v65
                                        ; implicit-def: $vgpr65
	s_and_saveexec_b64 s[16:17], s[4:5]
	s_xor_b64 s[4:5], exec, s[16:17]
; %bb.157:                              ;   in Loop: Header=BB364_10 Depth=1
	v_bfe_u32 v65, v14, 16, 1
	v_add3_u32 v65, v14, v65, s52
                                        ; implicit-def: $vgpr14
; %bb.158:                              ;   in Loop: Header=BB364_10 Depth=1
	s_andn2_saveexec_b64 s[16:17], s[4:5]
; %bb.159:                              ;   in Loop: Header=BB364_10 Depth=1
	v_or_b32_e32 v65, 0x10000, v14
	v_cmp_eq_u32_sdwa s[4:5], v14, v1 src0_sel:WORD_0 src1_sel:DWORD
	v_cndmask_b32_e64 v65, v65, v14, s[4:5]
; %bb.160:                              ;   in Loop: Header=BB364_10 Depth=1
	s_or_b64 exec, exec, s[16:17]
	v_lshrrev_b16_e32 v14, 8, v12
	v_cmp_ne_u16_e64 s[4:5], 0, v14
	v_mov_b32_e32 v66, 0
	s_and_saveexec_b64 s[16:17], s[4:5]
	s_cbranch_execz .LBB364_166
; %bb.161:                              ;   in Loop: Header=BB364_10 Depth=1
	v_cmp_ne_u16_e64 s[4:5], s49, v14
	v_bfrev_b32_e32 v66, 1
	s_and_saveexec_b64 s[40:41], s[4:5]
	s_cbranch_execz .LBB364_165
; %bb.162:                              ;   in Loop: Header=BB364_10 Depth=1
	v_and_b32_e32 v67, 0x7f, v14
	v_cmp_ne_u32_e64 s[4:5], s50, v67
	v_mov_b32_e32 v66, 0x7f800001
	s_and_saveexec_b64 s[42:43], s[4:5]
	s_cbranch_execz .LBB364_164
; %bb.163:                              ;   in Loop: Header=BB364_10 Depth=1
	v_and_b32_e32 v66, 7, v14
	v_ffbh_u32_e32 v68, v66
	v_min_u32_e32 v71, 32, v68
	v_subrev_u32_e32 v68, 28, v71
	v_lshlrev_b64 v[68:69], v68, v[14:15]
	v_lshrrev_b32_e32 v70, 3, v67
	v_sub_u32_e32 v14, 29, v71
	v_and_b32_e32 v68, 7, v68
	v_cmp_gt_u32_e64 s[4:5], 8, v67
	v_cndmask_b32_e64 v14, v70, v14, s[4:5]
	v_cndmask_b32_e64 v66, v66, v68, s[4:5]
	v_lshlrev_b32_e32 v12, 16, v12
	v_lshlrev_b32_e32 v66, 20, v66
	v_and_b32_e32 v12, 0x80000000, v12
	v_lshl_add_u32 v14, v14, 23, v49
	v_or3_b32 v66, v12, v14, v66
.LBB364_164:                            ;   in Loop: Header=BB364_10 Depth=1
	s_or_b64 exec, exec, s[42:43]
.LBB364_165:                            ;   in Loop: Header=BB364_10 Depth=1
	s_or_b64 exec, exec, s[40:41]
.LBB364_166:                            ;   in Loop: Header=BB364_10 Depth=1
	s_or_b64 exec, exec, s[16:17]
	v_mul_f32_e32 v12, s47, v66
	v_and_b32_e32 v14, 0x7f800000, v12
	v_cmp_ne_u32_e64 s[4:5], s51, v14
                                        ; implicit-def: $vgpr66
	s_and_saveexec_b64 s[16:17], s[4:5]
	s_xor_b64 s[4:5], exec, s[16:17]
; %bb.167:                              ;   in Loop: Header=BB364_10 Depth=1
	v_bfe_u32 v14, v12, 16, 1
	v_add3_u32 v66, v12, v14, s52
                                        ; implicit-def: $vgpr12
; %bb.168:                              ;   in Loop: Header=BB364_10 Depth=1
	s_andn2_saveexec_b64 s[16:17], s[4:5]
; %bb.169:                              ;   in Loop: Header=BB364_10 Depth=1
	v_or_b32_e32 v14, 0x10000, v12
	v_cmp_eq_u32_sdwa s[4:5], v12, v1 src0_sel:WORD_0 src1_sel:DWORD
	v_cndmask_b32_e64 v66, v14, v12, s[4:5]
; %bb.170:                              ;   in Loop: Header=BB364_10 Depth=1
	s_or_b64 exec, exec, s[16:17]
	global_load_ushort v14, v[8:9], off offset:1024
	s_waitcnt vmcnt(0)
	v_and_b32_e32 v12, 0xffff, v14
	v_cmp_ne_u16_sdwa s[4:5], v14, v1 src0_sel:BYTE_0 src1_sel:DWORD
	v_mov_b32_e32 v14, 0
	s_and_saveexec_b64 s[16:17], s[4:5]
	s_cbranch_execz .LBB364_176
; %bb.171:                              ;   in Loop: Header=BB364_10 Depth=1
	v_cmp_ne_u16_sdwa s[4:5], v12, s49 src0_sel:BYTE_0 src1_sel:DWORD
	v_bfrev_b32_e32 v14, 1
	s_and_saveexec_b64 s[40:41], s[4:5]
	s_cbranch_execz .LBB364_175
; %bb.172:                              ;   in Loop: Header=BB364_10 Depth=1
	v_and_b32_e32 v67, 0x7f, v12
	v_cmp_ne_u32_e64 s[4:5], s50, v67
	v_mov_b32_e32 v14, 0x7f800001
	s_and_saveexec_b64 s[42:43], s[4:5]
	s_cbranch_execz .LBB364_174
; %bb.173:                              ;   in Loop: Header=BB364_10 Depth=1
	v_and_b32_e32 v14, 7, v12
	v_ffbh_u32_e32 v68, v14
	v_min_u32_e32 v71, 32, v68
	v_subrev_u32_e32 v68, 28, v71
	v_lshlrev_b64 v[68:69], v68, v[12:13]
	v_lshrrev_b32_e32 v70, 3, v67
	v_sub_u32_e32 v69, 29, v71
	v_and_b32_e32 v68, 7, v68
	v_cmp_gt_u32_e64 s[4:5], 8, v67
	v_cndmask_b32_e64 v67, v70, v69, s[4:5]
	v_cndmask_b32_e64 v14, v14, v68, s[4:5]
	v_lshlrev_b32_e32 v68, 24, v12
	v_lshlrev_b32_e32 v14, 20, v14
	v_and_b32_e32 v68, 0x80000000, v68
	v_lshl_add_u32 v67, v67, 23, v49
	v_or3_b32 v14, v68, v67, v14
.LBB364_174:                            ;   in Loop: Header=BB364_10 Depth=1
	s_or_b64 exec, exec, s[42:43]
.LBB364_175:                            ;   in Loop: Header=BB364_10 Depth=1
	s_or_b64 exec, exec, s[40:41]
.LBB364_176:                            ;   in Loop: Header=BB364_10 Depth=1
	s_or_b64 exec, exec, s[16:17]
	v_mul_f32_e32 v14, s47, v14
	v_and_b32_e32 v67, 0x7f800000, v14
	v_cmp_ne_u32_e64 s[4:5], s51, v67
                                        ; implicit-def: $vgpr67
	s_and_saveexec_b64 s[16:17], s[4:5]
	s_xor_b64 s[4:5], exec, s[16:17]
; %bb.177:                              ;   in Loop: Header=BB364_10 Depth=1
	v_bfe_u32 v67, v14, 16, 1
	v_add3_u32 v67, v14, v67, s52
                                        ; implicit-def: $vgpr14
; %bb.178:                              ;   in Loop: Header=BB364_10 Depth=1
	s_andn2_saveexec_b64 s[16:17], s[4:5]
; %bb.179:                              ;   in Loop: Header=BB364_10 Depth=1
	v_or_b32_e32 v67, 0x10000, v14
	v_cmp_eq_u32_sdwa s[4:5], v14, v1 src0_sel:WORD_0 src1_sel:DWORD
	v_cndmask_b32_e64 v67, v67, v14, s[4:5]
; %bb.180:                              ;   in Loop: Header=BB364_10 Depth=1
	s_or_b64 exec, exec, s[16:17]
	v_lshrrev_b16_e32 v14, 8, v12
	v_cmp_ne_u16_e64 s[4:5], 0, v14
	v_mov_b32_e32 v68, 0
	s_and_saveexec_b64 s[16:17], s[4:5]
	s_cbranch_execz .LBB364_186
; %bb.181:                              ;   in Loop: Header=BB364_10 Depth=1
	v_cmp_ne_u16_e64 s[4:5], s49, v14
	v_bfrev_b32_e32 v68, 1
	s_and_saveexec_b64 s[40:41], s[4:5]
	s_cbranch_execz .LBB364_185
; %bb.182:                              ;   in Loop: Header=BB364_10 Depth=1
	v_and_b32_e32 v69, 0x7f, v14
	v_cmp_ne_u32_e64 s[4:5], s50, v69
	v_mov_b32_e32 v68, 0x7f800001
	s_and_saveexec_b64 s[42:43], s[4:5]
	s_cbranch_execz .LBB364_184
; %bb.183:                              ;   in Loop: Header=BB364_10 Depth=1
	v_and_b32_e32 v68, 7, v14
	v_ffbh_u32_e32 v70, v68
	v_min_u32_e32 v73, 32, v70
	v_subrev_u32_e32 v70, 28, v73
	v_lshlrev_b64 v[70:71], v70, v[14:15]
	v_lshrrev_b32_e32 v72, 3, v69
	v_sub_u32_e32 v14, 29, v73
	v_and_b32_e32 v70, 7, v70
	v_cmp_gt_u32_e64 s[4:5], 8, v69
	v_cndmask_b32_e64 v14, v72, v14, s[4:5]
	v_cndmask_b32_e64 v68, v68, v70, s[4:5]
	v_lshlrev_b32_e32 v12, 16, v12
	v_lshlrev_b32_e32 v68, 20, v68
	v_and_b32_e32 v12, 0x80000000, v12
	v_lshl_add_u32 v14, v14, 23, v49
	v_or3_b32 v68, v12, v14, v68
.LBB364_184:                            ;   in Loop: Header=BB364_10 Depth=1
	s_or_b64 exec, exec, s[42:43]
.LBB364_185:                            ;   in Loop: Header=BB364_10 Depth=1
	s_or_b64 exec, exec, s[40:41]
.LBB364_186:                            ;   in Loop: Header=BB364_10 Depth=1
	s_or_b64 exec, exec, s[16:17]
	v_mul_f32_e32 v12, s47, v68
	v_and_b32_e32 v14, 0x7f800000, v12
	v_cmp_ne_u32_e64 s[4:5], s51, v14
                                        ; implicit-def: $vgpr68
	s_and_saveexec_b64 s[16:17], s[4:5]
	s_xor_b64 s[4:5], exec, s[16:17]
; %bb.187:                              ;   in Loop: Header=BB364_10 Depth=1
	v_bfe_u32 v14, v12, 16, 1
	v_add3_u32 v68, v12, v14, s52
                                        ; implicit-def: $vgpr12
; %bb.188:                              ;   in Loop: Header=BB364_10 Depth=1
	s_andn2_saveexec_b64 s[16:17], s[4:5]
; %bb.189:                              ;   in Loop: Header=BB364_10 Depth=1
	v_or_b32_e32 v14, 0x10000, v12
	v_cmp_eq_u32_sdwa s[4:5], v12, v1 src0_sel:WORD_0 src1_sel:DWORD
	v_cndmask_b32_e64 v68, v14, v12, s[4:5]
; %bb.190:                              ;   in Loop: Header=BB364_10 Depth=1
	s_or_b64 exec, exec, s[16:17]
	global_load_ushort v14, v[8:9], off offset:1032
	s_waitcnt vmcnt(0)
	v_and_b32_e32 v12, 0xffff, v14
	v_cmp_ne_u16_sdwa s[4:5], v14, v1 src0_sel:BYTE_0 src1_sel:DWORD
	v_mov_b32_e32 v14, 0
	s_and_saveexec_b64 s[16:17], s[4:5]
	s_cbranch_execz .LBB364_196
; %bb.191:                              ;   in Loop: Header=BB364_10 Depth=1
	v_cmp_ne_u16_sdwa s[4:5], v12, s49 src0_sel:BYTE_0 src1_sel:DWORD
	v_bfrev_b32_e32 v14, 1
	s_and_saveexec_b64 s[40:41], s[4:5]
	s_cbranch_execz .LBB364_195
; %bb.192:                              ;   in Loop: Header=BB364_10 Depth=1
	v_and_b32_e32 v69, 0x7f, v12
	v_cmp_ne_u32_e64 s[4:5], s50, v69
	v_mov_b32_e32 v14, 0x7f800001
	s_and_saveexec_b64 s[42:43], s[4:5]
	s_cbranch_execz .LBB364_194
; %bb.193:                              ;   in Loop: Header=BB364_10 Depth=1
	v_and_b32_e32 v14, 7, v12
	v_ffbh_u32_e32 v70, v14
	v_min_u32_e32 v73, 32, v70
	v_subrev_u32_e32 v70, 28, v73
	v_lshlrev_b64 v[70:71], v70, v[12:13]
	v_lshrrev_b32_e32 v72, 3, v69
	v_sub_u32_e32 v71, 29, v73
	v_and_b32_e32 v70, 7, v70
	v_cmp_gt_u32_e64 s[4:5], 8, v69
	v_cndmask_b32_e64 v69, v72, v71, s[4:5]
	v_cndmask_b32_e64 v14, v14, v70, s[4:5]
	v_lshlrev_b32_e32 v70, 24, v12
	v_lshlrev_b32_e32 v14, 20, v14
	v_and_b32_e32 v70, 0x80000000, v70
	v_lshl_add_u32 v69, v69, 23, v49
	v_or3_b32 v14, v70, v69, v14
.LBB364_194:                            ;   in Loop: Header=BB364_10 Depth=1
	s_or_b64 exec, exec, s[42:43]
.LBB364_195:                            ;   in Loop: Header=BB364_10 Depth=1
	s_or_b64 exec, exec, s[40:41]
.LBB364_196:                            ;   in Loop: Header=BB364_10 Depth=1
	s_or_b64 exec, exec, s[16:17]
	v_mul_f32_e32 v14, s47, v14
	v_and_b32_e32 v69, 0x7f800000, v14
	v_cmp_ne_u32_e64 s[4:5], s51, v69
                                        ; implicit-def: $vgpr69
	s_and_saveexec_b64 s[16:17], s[4:5]
	s_xor_b64 s[4:5], exec, s[16:17]
; %bb.197:                              ;   in Loop: Header=BB364_10 Depth=1
	v_bfe_u32 v69, v14, 16, 1
	v_add3_u32 v69, v14, v69, s52
                                        ; implicit-def: $vgpr14
; %bb.198:                              ;   in Loop: Header=BB364_10 Depth=1
	s_andn2_saveexec_b64 s[16:17], s[4:5]
; %bb.199:                              ;   in Loop: Header=BB364_10 Depth=1
	v_or_b32_e32 v69, 0x10000, v14
	v_cmp_eq_u32_sdwa s[4:5], v14, v1 src0_sel:WORD_0 src1_sel:DWORD
	v_cndmask_b32_e64 v69, v69, v14, s[4:5]
; %bb.200:                              ;   in Loop: Header=BB364_10 Depth=1
	s_or_b64 exec, exec, s[16:17]
	v_lshrrev_b16_e32 v14, 8, v12
	v_cmp_ne_u16_e64 s[4:5], 0, v14
	v_mov_b32_e32 v70, 0
	s_and_saveexec_b64 s[16:17], s[4:5]
	s_cbranch_execz .LBB364_206
; %bb.201:                              ;   in Loop: Header=BB364_10 Depth=1
	v_cmp_ne_u16_e64 s[4:5], s49, v14
	v_bfrev_b32_e32 v70, 1
	s_and_saveexec_b64 s[40:41], s[4:5]
	s_cbranch_execz .LBB364_205
; %bb.202:                              ;   in Loop: Header=BB364_10 Depth=1
	v_and_b32_e32 v71, 0x7f, v14
	v_cmp_ne_u32_e64 s[4:5], s50, v71
	v_mov_b32_e32 v70, 0x7f800001
	s_and_saveexec_b64 s[42:43], s[4:5]
	s_cbranch_execz .LBB364_204
; %bb.203:                              ;   in Loop: Header=BB364_10 Depth=1
	v_and_b32_e32 v70, 7, v14
	v_ffbh_u32_e32 v72, v70
	v_min_u32_e32 v75, 32, v72
	v_subrev_u32_e32 v72, 28, v75
	v_lshlrev_b64 v[72:73], v72, v[14:15]
	v_lshrrev_b32_e32 v74, 3, v71
	v_sub_u32_e32 v14, 29, v75
	v_and_b32_e32 v72, 7, v72
	v_cmp_gt_u32_e64 s[4:5], 8, v71
	v_cndmask_b32_e64 v14, v74, v14, s[4:5]
	v_cndmask_b32_e64 v70, v70, v72, s[4:5]
	v_lshlrev_b32_e32 v12, 16, v12
	v_lshlrev_b32_e32 v70, 20, v70
	v_and_b32_e32 v12, 0x80000000, v12
	v_lshl_add_u32 v14, v14, 23, v49
	v_or3_b32 v70, v12, v14, v70
.LBB364_204:                            ;   in Loop: Header=BB364_10 Depth=1
	s_or_b64 exec, exec, s[42:43]
.LBB364_205:                            ;   in Loop: Header=BB364_10 Depth=1
	s_or_b64 exec, exec, s[40:41]
.LBB364_206:                            ;   in Loop: Header=BB364_10 Depth=1
	s_or_b64 exec, exec, s[16:17]
	v_mul_f32_e32 v12, s47, v70
	v_and_b32_e32 v14, 0x7f800000, v12
	v_cmp_ne_u32_e64 s[4:5], s51, v14
                                        ; implicit-def: $vgpr70
	s_and_saveexec_b64 s[16:17], s[4:5]
	s_xor_b64 s[4:5], exec, s[16:17]
; %bb.207:                              ;   in Loop: Header=BB364_10 Depth=1
	v_bfe_u32 v14, v12, 16, 1
	v_add3_u32 v70, v12, v14, s52
                                        ; implicit-def: $vgpr12
; %bb.208:                              ;   in Loop: Header=BB364_10 Depth=1
	s_andn2_saveexec_b64 s[16:17], s[4:5]
; %bb.209:                              ;   in Loop: Header=BB364_10 Depth=1
	v_or_b32_e32 v14, 0x10000, v12
	v_cmp_eq_u32_sdwa s[4:5], v12, v1 src0_sel:WORD_0 src1_sel:DWORD
	v_cndmask_b32_e64 v70, v14, v12, s[4:5]
; %bb.210:                              ;   in Loop: Header=BB364_10 Depth=1
	s_or_b64 exec, exec, s[16:17]
	global_load_ushort v14, v[8:9], off offset:1280
	s_waitcnt vmcnt(0)
	v_and_b32_e32 v12, 0xffff, v14
	v_cmp_ne_u16_sdwa s[4:5], v14, v1 src0_sel:BYTE_0 src1_sel:DWORD
	v_mov_b32_e32 v14, 0
	s_and_saveexec_b64 s[16:17], s[4:5]
	s_cbranch_execz .LBB364_216
; %bb.211:                              ;   in Loop: Header=BB364_10 Depth=1
	v_cmp_ne_u16_sdwa s[4:5], v12, s49 src0_sel:BYTE_0 src1_sel:DWORD
	v_bfrev_b32_e32 v14, 1
	s_and_saveexec_b64 s[40:41], s[4:5]
	s_cbranch_execz .LBB364_215
; %bb.212:                              ;   in Loop: Header=BB364_10 Depth=1
	v_and_b32_e32 v71, 0x7f, v12
	v_cmp_ne_u32_e64 s[4:5], s50, v71
	v_mov_b32_e32 v14, 0x7f800001
	s_and_saveexec_b64 s[42:43], s[4:5]
	s_cbranch_execz .LBB364_214
; %bb.213:                              ;   in Loop: Header=BB364_10 Depth=1
	v_and_b32_e32 v14, 7, v12
	v_ffbh_u32_e32 v72, v14
	v_min_u32_e32 v75, 32, v72
	v_subrev_u32_e32 v72, 28, v75
	v_lshlrev_b64 v[72:73], v72, v[12:13]
	v_lshrrev_b32_e32 v74, 3, v71
	v_sub_u32_e32 v73, 29, v75
	v_and_b32_e32 v72, 7, v72
	v_cmp_gt_u32_e64 s[4:5], 8, v71
	v_cndmask_b32_e64 v71, v74, v73, s[4:5]
	v_cndmask_b32_e64 v14, v14, v72, s[4:5]
	v_lshlrev_b32_e32 v72, 24, v12
	v_lshlrev_b32_e32 v14, 20, v14
	v_and_b32_e32 v72, 0x80000000, v72
	v_lshl_add_u32 v71, v71, 23, v49
	v_or3_b32 v14, v72, v71, v14
.LBB364_214:                            ;   in Loop: Header=BB364_10 Depth=1
	s_or_b64 exec, exec, s[42:43]
.LBB364_215:                            ;   in Loop: Header=BB364_10 Depth=1
	s_or_b64 exec, exec, s[40:41]
.LBB364_216:                            ;   in Loop: Header=BB364_10 Depth=1
	s_or_b64 exec, exec, s[16:17]
	v_mul_f32_e32 v14, s47, v14
	v_and_b32_e32 v71, 0x7f800000, v14
	v_cmp_ne_u32_e64 s[4:5], s51, v71
                                        ; implicit-def: $vgpr71
	s_and_saveexec_b64 s[16:17], s[4:5]
	s_xor_b64 s[4:5], exec, s[16:17]
; %bb.217:                              ;   in Loop: Header=BB364_10 Depth=1
	v_bfe_u32 v71, v14, 16, 1
	v_add3_u32 v71, v14, v71, s52
                                        ; implicit-def: $vgpr14
; %bb.218:                              ;   in Loop: Header=BB364_10 Depth=1
	s_andn2_saveexec_b64 s[16:17], s[4:5]
; %bb.219:                              ;   in Loop: Header=BB364_10 Depth=1
	v_or_b32_e32 v71, 0x10000, v14
	v_cmp_eq_u32_sdwa s[4:5], v14, v1 src0_sel:WORD_0 src1_sel:DWORD
	v_cndmask_b32_e64 v71, v71, v14, s[4:5]
; %bb.220:                              ;   in Loop: Header=BB364_10 Depth=1
	s_or_b64 exec, exec, s[16:17]
	v_lshrrev_b16_e32 v14, 8, v12
	v_cmp_ne_u16_e64 s[4:5], 0, v14
	v_mov_b32_e32 v72, 0
	s_and_saveexec_b64 s[16:17], s[4:5]
	s_cbranch_execz .LBB364_226
; %bb.221:                              ;   in Loop: Header=BB364_10 Depth=1
	v_cmp_ne_u16_e64 s[4:5], s49, v14
	v_bfrev_b32_e32 v72, 1
	s_and_saveexec_b64 s[40:41], s[4:5]
	s_cbranch_execz .LBB364_225
; %bb.222:                              ;   in Loop: Header=BB364_10 Depth=1
	v_and_b32_e32 v73, 0x7f, v14
	v_cmp_ne_u32_e64 s[4:5], s50, v73
	v_mov_b32_e32 v72, 0x7f800001
	s_and_saveexec_b64 s[42:43], s[4:5]
	s_cbranch_execz .LBB364_224
; %bb.223:                              ;   in Loop: Header=BB364_10 Depth=1
	v_and_b32_e32 v72, 7, v14
	v_ffbh_u32_e32 v74, v72
	v_min_u32_e32 v77, 32, v74
	v_subrev_u32_e32 v74, 28, v77
	v_lshlrev_b64 v[74:75], v74, v[14:15]
	v_lshrrev_b32_e32 v76, 3, v73
	v_sub_u32_e32 v14, 29, v77
	v_and_b32_e32 v74, 7, v74
	v_cmp_gt_u32_e64 s[4:5], 8, v73
	v_cndmask_b32_e64 v14, v76, v14, s[4:5]
	v_cndmask_b32_e64 v72, v72, v74, s[4:5]
	v_lshlrev_b32_e32 v12, 16, v12
	v_lshlrev_b32_e32 v72, 20, v72
	v_and_b32_e32 v12, 0x80000000, v12
	v_lshl_add_u32 v14, v14, 23, v49
	v_or3_b32 v72, v12, v14, v72
.LBB364_224:                            ;   in Loop: Header=BB364_10 Depth=1
	s_or_b64 exec, exec, s[42:43]
.LBB364_225:                            ;   in Loop: Header=BB364_10 Depth=1
	s_or_b64 exec, exec, s[40:41]
.LBB364_226:                            ;   in Loop: Header=BB364_10 Depth=1
	s_or_b64 exec, exec, s[16:17]
	v_mul_f32_e32 v12, s47, v72
	v_and_b32_e32 v14, 0x7f800000, v12
	v_cmp_ne_u32_e64 s[4:5], s51, v14
                                        ; implicit-def: $vgpr72
	s_and_saveexec_b64 s[16:17], s[4:5]
	s_xor_b64 s[4:5], exec, s[16:17]
; %bb.227:                              ;   in Loop: Header=BB364_10 Depth=1
	v_bfe_u32 v14, v12, 16, 1
	v_add3_u32 v72, v12, v14, s52
                                        ; implicit-def: $vgpr12
; %bb.228:                              ;   in Loop: Header=BB364_10 Depth=1
	s_andn2_saveexec_b64 s[16:17], s[4:5]
; %bb.229:                              ;   in Loop: Header=BB364_10 Depth=1
	v_or_b32_e32 v14, 0x10000, v12
	v_cmp_eq_u32_sdwa s[4:5], v12, v1 src0_sel:WORD_0 src1_sel:DWORD
	v_cndmask_b32_e64 v72, v14, v12, s[4:5]
; %bb.230:                              ;   in Loop: Header=BB364_10 Depth=1
	s_or_b64 exec, exec, s[16:17]
	global_load_ushort v14, v[8:9], off offset:1288
	s_waitcnt vmcnt(0)
	v_and_b32_e32 v12, 0xffff, v14
	v_cmp_ne_u16_sdwa s[4:5], v14, v1 src0_sel:BYTE_0 src1_sel:DWORD
	v_mov_b32_e32 v14, 0
	s_and_saveexec_b64 s[16:17], s[4:5]
	s_cbranch_execz .LBB364_236
; %bb.231:                              ;   in Loop: Header=BB364_10 Depth=1
	v_cmp_ne_u16_sdwa s[4:5], v12, s49 src0_sel:BYTE_0 src1_sel:DWORD
	v_bfrev_b32_e32 v14, 1
	s_and_saveexec_b64 s[40:41], s[4:5]
	s_cbranch_execz .LBB364_235
; %bb.232:                              ;   in Loop: Header=BB364_10 Depth=1
	v_and_b32_e32 v73, 0x7f, v12
	v_cmp_ne_u32_e64 s[4:5], s50, v73
	v_mov_b32_e32 v14, 0x7f800001
	s_and_saveexec_b64 s[42:43], s[4:5]
	s_cbranch_execz .LBB364_234
; %bb.233:                              ;   in Loop: Header=BB364_10 Depth=1
	v_and_b32_e32 v14, 7, v12
	v_ffbh_u32_e32 v74, v14
	v_min_u32_e32 v77, 32, v74
	v_subrev_u32_e32 v74, 28, v77
	v_lshlrev_b64 v[74:75], v74, v[12:13]
	v_lshrrev_b32_e32 v76, 3, v73
	v_sub_u32_e32 v75, 29, v77
	v_and_b32_e32 v74, 7, v74
	v_cmp_gt_u32_e64 s[4:5], 8, v73
	v_cndmask_b32_e64 v73, v76, v75, s[4:5]
	v_cndmask_b32_e64 v14, v14, v74, s[4:5]
	v_lshlrev_b32_e32 v74, 24, v12
	v_lshlrev_b32_e32 v14, 20, v14
	v_and_b32_e32 v74, 0x80000000, v74
	v_lshl_add_u32 v73, v73, 23, v49
	v_or3_b32 v14, v74, v73, v14
.LBB364_234:                            ;   in Loop: Header=BB364_10 Depth=1
	s_or_b64 exec, exec, s[42:43]
.LBB364_235:                            ;   in Loop: Header=BB364_10 Depth=1
	s_or_b64 exec, exec, s[40:41]
.LBB364_236:                            ;   in Loop: Header=BB364_10 Depth=1
	s_or_b64 exec, exec, s[16:17]
	v_mul_f32_e32 v14, s47, v14
	v_and_b32_e32 v73, 0x7f800000, v14
	v_cmp_ne_u32_e64 s[4:5], s51, v73
                                        ; implicit-def: $vgpr73
	s_and_saveexec_b64 s[16:17], s[4:5]
	s_xor_b64 s[4:5], exec, s[16:17]
; %bb.237:                              ;   in Loop: Header=BB364_10 Depth=1
	v_bfe_u32 v73, v14, 16, 1
	v_add3_u32 v73, v14, v73, s52
                                        ; implicit-def: $vgpr14
; %bb.238:                              ;   in Loop: Header=BB364_10 Depth=1
	s_andn2_saveexec_b64 s[16:17], s[4:5]
; %bb.239:                              ;   in Loop: Header=BB364_10 Depth=1
	v_or_b32_e32 v73, 0x10000, v14
	v_cmp_eq_u32_sdwa s[4:5], v14, v1 src0_sel:WORD_0 src1_sel:DWORD
	v_cndmask_b32_e64 v73, v73, v14, s[4:5]
; %bb.240:                              ;   in Loop: Header=BB364_10 Depth=1
	s_or_b64 exec, exec, s[16:17]
	v_lshrrev_b16_e32 v14, 8, v12
	v_cmp_ne_u16_e64 s[4:5], 0, v14
	v_mov_b32_e32 v74, 0
	s_and_saveexec_b64 s[16:17], s[4:5]
	s_cbranch_execz .LBB364_246
; %bb.241:                              ;   in Loop: Header=BB364_10 Depth=1
	v_cmp_ne_u16_e64 s[4:5], s49, v14
	v_bfrev_b32_e32 v74, 1
	s_and_saveexec_b64 s[40:41], s[4:5]
	s_cbranch_execz .LBB364_245
; %bb.242:                              ;   in Loop: Header=BB364_10 Depth=1
	v_and_b32_e32 v75, 0x7f, v14
	v_cmp_ne_u32_e64 s[4:5], s50, v75
	v_mov_b32_e32 v74, 0x7f800001
	s_and_saveexec_b64 s[42:43], s[4:5]
	s_cbranch_execz .LBB364_244
; %bb.243:                              ;   in Loop: Header=BB364_10 Depth=1
	v_and_b32_e32 v74, 7, v14
	v_ffbh_u32_e32 v76, v74
	v_min_u32_e32 v79, 32, v76
	v_subrev_u32_e32 v76, 28, v79
	v_lshlrev_b64 v[76:77], v76, v[14:15]
	v_lshrrev_b32_e32 v78, 3, v75
	v_sub_u32_e32 v14, 29, v79
	v_and_b32_e32 v76, 7, v76
	v_cmp_gt_u32_e64 s[4:5], 8, v75
	v_cndmask_b32_e64 v14, v78, v14, s[4:5]
	v_cndmask_b32_e64 v74, v74, v76, s[4:5]
	v_lshlrev_b32_e32 v12, 16, v12
	v_lshlrev_b32_e32 v74, 20, v74
	v_and_b32_e32 v12, 0x80000000, v12
	v_lshl_add_u32 v14, v14, 23, v49
	v_or3_b32 v74, v12, v14, v74
.LBB364_244:                            ;   in Loop: Header=BB364_10 Depth=1
	s_or_b64 exec, exec, s[42:43]
.LBB364_245:                            ;   in Loop: Header=BB364_10 Depth=1
	s_or_b64 exec, exec, s[40:41]
.LBB364_246:                            ;   in Loop: Header=BB364_10 Depth=1
	s_or_b64 exec, exec, s[16:17]
	v_mul_f32_e32 v12, s47, v74
	v_and_b32_e32 v14, 0x7f800000, v12
	v_cmp_ne_u32_e64 s[4:5], s51, v14
                                        ; implicit-def: $vgpr74
	s_and_saveexec_b64 s[16:17], s[4:5]
	s_xor_b64 s[4:5], exec, s[16:17]
; %bb.247:                              ;   in Loop: Header=BB364_10 Depth=1
	v_bfe_u32 v14, v12, 16, 1
	v_add3_u32 v74, v12, v14, s52
                                        ; implicit-def: $vgpr12
; %bb.248:                              ;   in Loop: Header=BB364_10 Depth=1
	s_andn2_saveexec_b64 s[16:17], s[4:5]
; %bb.249:                              ;   in Loop: Header=BB364_10 Depth=1
	v_or_b32_e32 v14, 0x10000, v12
	v_cmp_eq_u32_sdwa s[4:5], v12, v1 src0_sel:WORD_0 src1_sel:DWORD
	v_cndmask_b32_e64 v74, v14, v12, s[4:5]
; %bb.250:                              ;   in Loop: Header=BB364_10 Depth=1
	s_or_b64 exec, exec, s[16:17]
	global_load_ushort v14, v[8:9], off offset:1536
	s_waitcnt vmcnt(0)
	v_and_b32_e32 v12, 0xffff, v14
	v_cmp_ne_u16_sdwa s[4:5], v14, v1 src0_sel:BYTE_0 src1_sel:DWORD
	v_mov_b32_e32 v14, 0
	s_and_saveexec_b64 s[16:17], s[4:5]
	s_cbranch_execz .LBB364_256
; %bb.251:                              ;   in Loop: Header=BB364_10 Depth=1
	v_cmp_ne_u16_sdwa s[4:5], v12, s49 src0_sel:BYTE_0 src1_sel:DWORD
	v_bfrev_b32_e32 v14, 1
	s_and_saveexec_b64 s[40:41], s[4:5]
	s_cbranch_execz .LBB364_255
; %bb.252:                              ;   in Loop: Header=BB364_10 Depth=1
	v_and_b32_e32 v75, 0x7f, v12
	v_cmp_ne_u32_e64 s[4:5], s50, v75
	v_mov_b32_e32 v14, 0x7f800001
	s_and_saveexec_b64 s[42:43], s[4:5]
	s_cbranch_execz .LBB364_254
; %bb.253:                              ;   in Loop: Header=BB364_10 Depth=1
	v_and_b32_e32 v14, 7, v12
	v_ffbh_u32_e32 v76, v14
	v_min_u32_e32 v79, 32, v76
	v_subrev_u32_e32 v76, 28, v79
	v_lshlrev_b64 v[76:77], v76, v[12:13]
	v_lshrrev_b32_e32 v78, 3, v75
	v_sub_u32_e32 v77, 29, v79
	v_and_b32_e32 v76, 7, v76
	v_cmp_gt_u32_e64 s[4:5], 8, v75
	v_cndmask_b32_e64 v75, v78, v77, s[4:5]
	v_cndmask_b32_e64 v14, v14, v76, s[4:5]
	v_lshlrev_b32_e32 v76, 24, v12
	v_lshlrev_b32_e32 v14, 20, v14
	v_and_b32_e32 v76, 0x80000000, v76
	v_lshl_add_u32 v75, v75, 23, v49
	v_or3_b32 v14, v76, v75, v14
.LBB364_254:                            ;   in Loop: Header=BB364_10 Depth=1
	s_or_b64 exec, exec, s[42:43]
.LBB364_255:                            ;   in Loop: Header=BB364_10 Depth=1
	s_or_b64 exec, exec, s[40:41]
.LBB364_256:                            ;   in Loop: Header=BB364_10 Depth=1
	s_or_b64 exec, exec, s[16:17]
	v_mul_f32_e32 v14, s47, v14
	v_and_b32_e32 v75, 0x7f800000, v14
	v_cmp_ne_u32_e64 s[4:5], s51, v75
                                        ; implicit-def: $vgpr75
	s_and_saveexec_b64 s[16:17], s[4:5]
	s_xor_b64 s[4:5], exec, s[16:17]
; %bb.257:                              ;   in Loop: Header=BB364_10 Depth=1
	v_bfe_u32 v75, v14, 16, 1
	v_add3_u32 v75, v14, v75, s52
                                        ; implicit-def: $vgpr14
; %bb.258:                              ;   in Loop: Header=BB364_10 Depth=1
	s_andn2_saveexec_b64 s[16:17], s[4:5]
; %bb.259:                              ;   in Loop: Header=BB364_10 Depth=1
	v_or_b32_e32 v75, 0x10000, v14
	v_cmp_eq_u32_sdwa s[4:5], v14, v1 src0_sel:WORD_0 src1_sel:DWORD
	v_cndmask_b32_e64 v75, v75, v14, s[4:5]
; %bb.260:                              ;   in Loop: Header=BB364_10 Depth=1
	s_or_b64 exec, exec, s[16:17]
	v_lshrrev_b16_e32 v14, 8, v12
	v_cmp_ne_u16_e64 s[4:5], 0, v14
	v_mov_b32_e32 v76, 0
	s_and_saveexec_b64 s[16:17], s[4:5]
	s_cbranch_execz .LBB364_266
; %bb.261:                              ;   in Loop: Header=BB364_10 Depth=1
	v_cmp_ne_u16_e64 s[4:5], s49, v14
	v_bfrev_b32_e32 v76, 1
	s_and_saveexec_b64 s[40:41], s[4:5]
	s_cbranch_execz .LBB364_265
; %bb.262:                              ;   in Loop: Header=BB364_10 Depth=1
	v_and_b32_e32 v77, 0x7f, v14
	v_cmp_ne_u32_e64 s[4:5], s50, v77
	v_mov_b32_e32 v76, 0x7f800001
	s_and_saveexec_b64 s[42:43], s[4:5]
	s_cbranch_execz .LBB364_264
; %bb.263:                              ;   in Loop: Header=BB364_10 Depth=1
	v_and_b32_e32 v76, 7, v14
	v_ffbh_u32_e32 v78, v76
	v_min_u32_e32 v81, 32, v78
	v_subrev_u32_e32 v78, 28, v81
	v_lshlrev_b64 v[78:79], v78, v[14:15]
	v_lshrrev_b32_e32 v80, 3, v77
	v_sub_u32_e32 v14, 29, v81
	v_and_b32_e32 v78, 7, v78
	v_cmp_gt_u32_e64 s[4:5], 8, v77
	v_cndmask_b32_e64 v14, v80, v14, s[4:5]
	v_cndmask_b32_e64 v76, v76, v78, s[4:5]
	v_lshlrev_b32_e32 v12, 16, v12
	v_lshlrev_b32_e32 v76, 20, v76
	v_and_b32_e32 v12, 0x80000000, v12
	v_lshl_add_u32 v14, v14, 23, v49
	v_or3_b32 v76, v12, v14, v76
.LBB364_264:                            ;   in Loop: Header=BB364_10 Depth=1
	s_or_b64 exec, exec, s[42:43]
.LBB364_265:                            ;   in Loop: Header=BB364_10 Depth=1
	s_or_b64 exec, exec, s[40:41]
.LBB364_266:                            ;   in Loop: Header=BB364_10 Depth=1
	s_or_b64 exec, exec, s[16:17]
	v_mul_f32_e32 v12, s47, v76
	v_and_b32_e32 v14, 0x7f800000, v12
	v_cmp_ne_u32_e64 s[4:5], s51, v14
                                        ; implicit-def: $vgpr14
	s_and_saveexec_b64 s[16:17], s[4:5]
	s_xor_b64 s[4:5], exec, s[16:17]
; %bb.267:                              ;   in Loop: Header=BB364_10 Depth=1
	v_bfe_u32 v14, v12, 16, 1
	v_add3_u32 v14, v12, v14, s52
                                        ; implicit-def: $vgpr12
; %bb.268:                              ;   in Loop: Header=BB364_10 Depth=1
	s_andn2_saveexec_b64 s[16:17], s[4:5]
; %bb.269:                              ;   in Loop: Header=BB364_10 Depth=1
	v_or_b32_e32 v14, 0x10000, v12
	v_cmp_eq_u32_sdwa s[4:5], v12, v1 src0_sel:WORD_0 src1_sel:DWORD
	v_cndmask_b32_e64 v14, v14, v12, s[4:5]
; %bb.270:                              ;   in Loop: Header=BB364_10 Depth=1
	s_or_b64 exec, exec, s[16:17]
	global_load_ushort v9, v[8:9], off offset:1544
	s_waitcnt vmcnt(0)
	v_and_b32_e32 v8, 0xffff, v9
	v_cmp_ne_u16_sdwa s[4:5], v9, v1 src0_sel:BYTE_0 src1_sel:DWORD
	v_mov_b32_e32 v9, 0
	s_and_saveexec_b64 s[16:17], s[4:5]
	s_cbranch_execz .LBB364_276
; %bb.271:                              ;   in Loop: Header=BB364_10 Depth=1
	v_cmp_ne_u16_sdwa s[4:5], v8, s49 src0_sel:BYTE_0 src1_sel:DWORD
	v_bfrev_b32_e32 v9, 1
	s_and_saveexec_b64 s[40:41], s[4:5]
	s_cbranch_execz .LBB364_275
; %bb.272:                              ;   in Loop: Header=BB364_10 Depth=1
	v_and_b32_e32 v12, 0x7f, v8
	v_cmp_ne_u32_e64 s[4:5], s50, v12
	v_mov_b32_e32 v9, 0x7f800001
	s_and_saveexec_b64 s[42:43], s[4:5]
	s_cbranch_execz .LBB364_274
; %bb.273:                              ;   in Loop: Header=BB364_10 Depth=1
	v_and_b32_e32 v9, 7, v8
	v_ffbh_u32_e32 v76, v9
	v_min_u32_e32 v79, 32, v76
	v_subrev_u32_e32 v76, 28, v79
	v_lshlrev_b64 v[76:77], v76, v[8:9]
	v_lshrrev_b32_e32 v78, 3, v12
	v_sub_u32_e32 v77, 29, v79
	v_and_b32_e32 v76, 7, v76
	v_cmp_gt_u32_e64 s[4:5], 8, v12
	v_cndmask_b32_e64 v12, v78, v77, s[4:5]
	v_cndmask_b32_e64 v9, v9, v76, s[4:5]
	v_lshlrev_b32_e32 v76, 24, v8
	v_lshlrev_b32_e32 v9, 20, v9
	v_and_b32_e32 v76, 0x80000000, v76
	v_lshl_add_u32 v12, v12, 23, v49
	v_or3_b32 v9, v76, v12, v9
.LBB364_274:                            ;   in Loop: Header=BB364_10 Depth=1
	s_or_b64 exec, exec, s[42:43]
.LBB364_275:                            ;   in Loop: Header=BB364_10 Depth=1
	s_or_b64 exec, exec, s[40:41]
.LBB364_276:                            ;   in Loop: Header=BB364_10 Depth=1
	s_or_b64 exec, exec, s[16:17]
	v_mul_f32_e32 v12, s47, v9
	v_and_b32_e32 v9, 0x7f800000, v12
	v_cmp_ne_u32_e64 s[4:5], s51, v9
                                        ; implicit-def: $vgpr9
	s_and_saveexec_b64 s[16:17], s[4:5]
	s_xor_b64 s[4:5], exec, s[16:17]
; %bb.277:                              ;   in Loop: Header=BB364_10 Depth=1
	v_bfe_u32 v9, v12, 16, 1
	v_add3_u32 v9, v12, v9, s52
                                        ; implicit-def: $vgpr12
; %bb.278:                              ;   in Loop: Header=BB364_10 Depth=1
	s_andn2_saveexec_b64 s[16:17], s[4:5]
; %bb.279:                              ;   in Loop: Header=BB364_10 Depth=1
	v_or_b32_e32 v9, 0x10000, v12
	v_cmp_eq_u32_sdwa s[4:5], v12, v1 src0_sel:WORD_0 src1_sel:DWORD
	v_cndmask_b32_e64 v9, v9, v12, s[4:5]
; %bb.280:                              ;   in Loop: Header=BB364_10 Depth=1
	s_or_b64 exec, exec, s[16:17]
	v_lshrrev_b16_e32 v12, 8, v8
	v_cmp_ne_u16_e64 s[4:5], 0, v12
	v_mov_b32_e32 v76, 0
	s_and_saveexec_b64 s[16:17], s[4:5]
	s_cbranch_execz .LBB364_286
; %bb.281:                              ;   in Loop: Header=BB364_10 Depth=1
	v_cmp_ne_u16_e64 s[4:5], s49, v12
	v_bfrev_b32_e32 v76, 1
	s_and_saveexec_b64 s[40:41], s[4:5]
	s_cbranch_execz .LBB364_285
; %bb.282:                              ;   in Loop: Header=BB364_10 Depth=1
	v_and_b32_e32 v77, 0x7f, v12
	v_cmp_ne_u32_e64 s[4:5], s50, v77
	v_mov_b32_e32 v76, 0x7f800001
	s_and_saveexec_b64 s[42:43], s[4:5]
	s_cbranch_execz .LBB364_284
; %bb.283:                              ;   in Loop: Header=BB364_10 Depth=1
	v_and_b32_e32 v76, 7, v12
	v_ffbh_u32_e32 v78, v76
	v_min_u32_e32 v81, 32, v78
	v_subrev_u32_e32 v78, 28, v81
	v_lshlrev_b64 v[78:79], v78, v[12:13]
	v_lshrrev_b32_e32 v80, 3, v77
	v_sub_u32_e32 v12, 29, v81
	v_and_b32_e32 v78, 7, v78
	v_cmp_gt_u32_e64 s[4:5], 8, v77
	v_cndmask_b32_e64 v12, v80, v12, s[4:5]
	v_cndmask_b32_e64 v76, v76, v78, s[4:5]
	v_lshlrev_b32_e32 v8, 16, v8
	v_lshlrev_b32_e32 v76, 20, v76
	v_and_b32_e32 v8, 0x80000000, v8
	v_lshl_add_u32 v12, v12, 23, v49
	v_or3_b32 v76, v8, v12, v76
.LBB364_284:                            ;   in Loop: Header=BB364_10 Depth=1
	s_or_b64 exec, exec, s[42:43]
.LBB364_285:                            ;   in Loop: Header=BB364_10 Depth=1
	s_or_b64 exec, exec, s[40:41]
.LBB364_286:                            ;   in Loop: Header=BB364_10 Depth=1
	s_or_b64 exec, exec, s[16:17]
	v_mul_f32_e32 v12, s47, v76
	v_and_b32_e32 v8, 0x7f800000, v12
	v_cmp_ne_u32_e64 s[4:5], s51, v8
                                        ; implicit-def: $vgpr8
	s_and_saveexec_b64 s[16:17], s[4:5]
	s_xor_b64 s[4:5], exec, s[16:17]
; %bb.287:                              ;   in Loop: Header=BB364_10 Depth=1
	v_bfe_u32 v8, v12, 16, 1
	v_add3_u32 v8, v12, v8, s52
                                        ; implicit-def: $vgpr12
; %bb.288:                              ;   in Loop: Header=BB364_10 Depth=1
	s_andn2_saveexec_b64 s[16:17], s[4:5]
; %bb.289:                              ;   in Loop: Header=BB364_10 Depth=1
	v_or_b32_e32 v8, 0x10000, v12
	v_cmp_eq_u32_sdwa s[4:5], v12, v1 src0_sel:WORD_0 src1_sel:DWORD
	v_cndmask_b32_e64 v8, v8, v12, s[4:5]
; %bb.290:                              ;   in Loop: Header=BB364_10 Depth=1
	s_or_b64 exec, exec, s[16:17]
	v_and_b32_e32 v53, 0xffff0000, v53
	v_and_b32_e32 v54, 0xffff0000, v54
	;; [unrolled: 1-line block ×3, first 2 shown]
	v_mul_f32_e32 v53, v18, v53
	v_and_b32_e32 v52, 0xffff0000, v52
	v_fmac_f32_e32 v53, v16, v51
	v_mul_f32_e32 v51, v19, v54
	v_and_b32_e32 v56, 0xffff0000, v56
	v_and_b32_e32 v55, 0xffff0000, v55
	v_fmac_f32_e32 v51, v17, v52
	v_and_b32_e32 v58, 0xffff0000, v58
	v_and_b32_e32 v57, 0xffff0000, v57
	v_fmac_f32_e32 v53, v20, v55
	v_fmac_f32_e32 v51, v21, v56
	v_and_b32_e32 v60, 0xffff0000, v60
	v_and_b32_e32 v59, 0xffff0000, v59
	v_fmac_f32_e32 v53, v22, v57
	;; [unrolled: 4-line block ×11, first 2 shown]
	v_fmac_f32_e32 v51, v41, v12
	v_fmac_f32_e32 v53, v42, v9
	v_fmac_f32_e32 v51, v43, v8
	v_add_f32_e32 v8, v53, v51
	ds_bpermute_b32 v9, v45, v8
	s_waitcnt lgkmcnt(0)
	v_add_f32_e32 v8, v8, v9
	ds_bpermute_b32 v9, v46, v8
	s_and_saveexec_b64 s[16:17], vcc
	s_cbranch_execz .LBB364_9
; %bb.291:                              ;   in Loop: Header=BB364_10 Depth=1
	v_add_u32_e32 v12, s48, v47
	v_cvt_f32_i32_e32 v12, v12
	s_waitcnt lgkmcnt(0)
	v_add_f32_e32 v8, v8, v9
	v_cmp_gt_i32_e64 s[4:5], s29, v47
	v_max_f32_e32 v9, v44, v44
	v_mul_f32_e32 v12, s10, v12
	v_cndmask_b32_e64 v12, 0, v12, s[2:3]
	v_fmac_f32_e32 v12, s11, v8
	v_cndmask_b32_e64 v8, 0, v12, s[4:5]
	ds_write_b32 v48, v8
	v_max_f32_e32 v8, v9, v12
	v_cndmask_b32_e64 v44, v44, v8, s[4:5]
	s_branch .LBB364_9
.LBB364_292:
	s_or_b64 exec, exec, s[14:15]
.LBB364_293:
	s_or_b64 exec, exec, s[38:39]
	v_xor_b32_e32 v1, 32, v13
	v_cmp_lt_i32_e32 vcc, v1, v15
	v_cndmask_b32_e32 v1, v13, v1, vcc
	v_lshlrev_b32_e32 v2, 2, v1
	ds_bpermute_b32 v1, v2, v44
	v_xor_b32_e32 v4, 16, v13
	v_max_f32_e32 v3, v44, v44
	v_cmp_lt_i32_e32 vcc, v4, v15
	v_xor_b32_e32 v6, 8, v13
	s_waitcnt lgkmcnt(0)
	v_max_f32_e32 v1, v1, v1
	v_max_f32_e32 v1, v3, v1
	v_cndmask_b32_e32 v3, v13, v4, vcc
	v_lshlrev_b32_e32 v3, 2, v3
	ds_bpermute_b32 v4, v3, v1
	v_cmp_lt_i32_e32 vcc, v6, v15
	v_lshlrev_b32_e32 v7, 2, v5
	s_waitcnt lgkmcnt(0)
	v_max_f32_e32 v4, v4, v4
	v_max_f32_e32 v1, v1, v4
	v_cndmask_b32_e32 v4, v13, v6, vcc
	v_lshlrev_b32_e32 v9, 2, v4
	ds_bpermute_b32 v4, v9, v1
	v_xor_b32_e32 v6, 4, v13
	v_cmp_lt_i32_e32 vcc, v6, v15
	s_waitcnt lgkmcnt(0)
	v_max_f32_e32 v4, v4, v4
	v_max_f32_e32 v1, v1, v4
	v_cndmask_b32_e32 v4, v13, v6, vcc
	v_lshlrev_b32_e32 v12, 2, v4
	ds_bpermute_b32 v6, v12, v1
	v_and_b32_e32 v4, 63, v0
	v_cmp_eq_u32_e32 vcc, 0, v4
	s_and_saveexec_b64 s[2:3], vcc
	s_cbranch_execz .LBB364_295
; %bb.294:
	s_waitcnt lgkmcnt(0)
	v_max_f32_e32 v6, v6, v6
	v_max_f32_e32 v1, v1, v1
	;; [unrolled: 1-line block ×3, first 2 shown]
	ds_write_b32 v7, v1 offset:224
.LBB364_295:
	s_or_b64 exec, exec, s[2:3]
	v_cmp_gt_u32_e64 s[2:3], 2, v4
	s_waitcnt lgkmcnt(0)
	v_mov_b32_e32 v6, 0xff7fffff
	v_lshlrev_b32_e32 v8, 2, v4
	s_barrier
	s_and_saveexec_b64 s[4:5], s[2:3]
	s_cbranch_execz .LBB364_297
; %bb.296:
	ds_read_b32 v6, v8 offset:224
.LBB364_297:
	s_or_b64 exec, exec, s[4:5]
	v_xor_b32_e32 v1, 1, v13
	v_cmp_lt_i32_e64 s[4:5], v1, v15
	v_cndmask_b32_e64 v1, v13, v1, s[4:5]
	v_lshlrev_b32_e32 v1, 2, v1
	s_waitcnt lgkmcnt(0)
	ds_bpermute_b32 v14, v1, v6
	v_max_f32_e32 v6, v6, v6
	s_sub_i32 s4, s33, s7
	s_lshl_b32 s4, s4, 4
	s_add_i32 s4, s4, s44
	s_waitcnt lgkmcnt(0)
	v_max_f32_e32 v14, v14, v14
	v_max_f32_e32 v6, v6, v14
	v_lshlrev_b32_e32 v14, 2, v13
	v_and_b32_e32 v14, 0xffffff00, v14
	ds_bpermute_b32 v6, v14, v6
	s_min_i32 s38, s4, s29
	s_sub_i32 s7, s38, s44
	v_cmp_gt_i32_e64 s[4:5], s7, v0
	v_mov_b32_e32 v16, 0
	s_and_saveexec_b64 s[14:15], s[4:5]
	s_cbranch_execz .LBB364_301
; %bb.298:
	v_mov_b32_e32 v16, 0xf0
	v_lshl_add_u32 v17, v0, 2, v16
	s_mov_b64 s[16:17], 0
	v_mov_b32_e32 v16, 0
	v_mov_b32_e32 v18, v0
.LBB364_299:                            ; =>This Inner Loop Header: Depth=1
	ds_read_b32 v19, v17
	v_add_u32_e32 v18, 0x80, v18
	v_cmp_le_i32_e64 s[10:11], s7, v18
	s_or_b64 s[16:17], s[10:11], s[16:17]
	s_waitcnt lgkmcnt(0)
	v_sub_f32_e32 v19, v19, v6
	v_mul_f32_e32 v19, 0x3fb8aa3b, v19
	v_exp_f32_e32 v19, v19
	ds_write_b32 v17, v19
	v_add_f32_e32 v16, v16, v19
	v_add_u32_e32 v17, 0x200, v17
	s_andn2_b64 exec, exec, s[16:17]
	s_cbranch_execnz .LBB364_299
; %bb.300:
	s_or_b64 exec, exec, s[16:17]
.LBB364_301:
	s_or_b64 exec, exec, s[14:15]
	ds_bpermute_b32 v2, v2, v16
	s_waitcnt lgkmcnt(0)
	v_add_f32_e32 v2, v16, v2
	ds_bpermute_b32 v3, v3, v2
	s_waitcnt lgkmcnt(0)
	v_add_f32_e32 v2, v2, v3
	ds_bpermute_b32 v3, v9, v2
	v_xor_b32_e32 v9, 2, v13
	v_cmp_lt_i32_e64 s[10:11], v9, v15
	v_cndmask_b32_e64 v9, v13, v9, s[10:11]
	s_waitcnt lgkmcnt(0)
	v_add_f32_e32 v2, v2, v3
	ds_bpermute_b32 v3, v12, v2
	s_waitcnt lgkmcnt(0)
	v_add_f32_e32 v2, v2, v3
	v_lshlrev_b32_e32 v3, 2, v9
	ds_bpermute_b32 v3, v3, v2
	s_waitcnt lgkmcnt(0)
	v_add_f32_e32 v2, v2, v3
	ds_bpermute_b32 v3, v1, v2
	s_waitcnt lgkmcnt(0)
	v_add_f32_e32 v2, v2, v3
	s_and_saveexec_b64 s[10:11], vcc
	s_cbranch_execz .LBB364_303
; %bb.302:
	ds_write_b32 v7, v2 offset:232
.LBB364_303:
	s_or_b64 exec, exec, s[10:11]
	s_waitcnt lgkmcnt(0)
	s_barrier
	s_and_saveexec_b64 s[10:11], s[2:3]
	s_cbranch_execz .LBB364_305
; %bb.304:
	ds_read_b32 v2, v8 offset:232
.LBB364_305:
	s_or_b64 exec, exec, s[10:11]
	s_waitcnt lgkmcnt(0)
	ds_bpermute_b32 v3, v1, v2
	s_waitcnt lgkmcnt(0)
	v_add_f32_e32 v2, v2, v3
	ds_bpermute_b32 v7, v14, v2
	s_and_saveexec_b64 s[2:3], s[4:5]
	s_cbranch_execz .LBB364_318
; %bb.306:
	s_waitcnt lgkmcnt(0)
	v_add_f32_e32 v2, 0x358637bd, v7
	v_div_scale_f32 v3, s[4:5], v2, v2, 1.0
	v_rcp_f32_e32 v8, v3
	v_div_scale_f32 v9, vcc, 1.0, v2, 1.0
	s_movk_i32 s4, 0x7f
	v_fma_f32 v12, -v3, v8, 1.0
	v_fmac_f32_e32 v8, v12, v8
	v_mul_f32_e32 v12, v9, v8
	v_fma_f32 v13, -v3, v12, v9
	v_fmac_f32_e32 v12, v13, v8
	v_fma_f32 v3, -v3, v12, v9
	v_div_fmas_f32 v3, v3, v8, v12
	v_div_fixup_f32 v2, v3, v2, 1.0
	v_xad_u32 v3, v0, -1, s38
	v_subrev_u32_e32 v8, s44, v3
	v_cmp_lt_u32_e32 vcc, s4, v8
	s_mov_b64 s[10:11], -1
	v_mov_b32_e32 v3, v0
	s_and_saveexec_b64 s[4:5], vcc
	s_cbranch_execz .LBB364_315
; %bb.307:
	v_lshrrev_b32_e32 v8, 7, v8
	v_add_u32_e32 v12, -1, v8
	v_lshrrev_b32_e32 v9, 1, v12
	v_mov_b32_e32 v3, v2
	v_add_u32_e32 v9, 1, v9
	v_cmp_lt_u32_e32 vcc, 13, v12
	v_mov_b32_e32 v14, 0
	s_and_saveexec_b64 s[10:11], vcc
	s_cbranch_execz .LBB364_311
; %bb.308:
	v_mov_b32_e32 v13, 0xf0
	v_and_b32_e32 v12, -8, v9
	v_lshl_add_u32 v13, v0, 2, v13
	s_mov_b32 s16, 0
	s_mov_b64 s[14:15], 0
.LBB364_309:                            ; =>This Inner Loop Header: Depth=1
	ds_read2st64_b32 v[14:15], v13 offset1:2
	ds_read2st64_b32 v[16:17], v13 offset0:4 offset1:6
	ds_read2st64_b32 v[18:19], v13 offset0:8 offset1:10
	;; [unrolled: 1-line block ×3, first 2 shown]
	v_add_u32_e32 v12, -8, v12
	s_waitcnt lgkmcnt(3)
	v_pk_mul_f32 v[14:15], v[2:3], v[14:15]
	s_waitcnt lgkmcnt(2)
	v_pk_mul_f32 v[16:17], v[2:3], v[16:17]
	ds_write2st64_b32 v13, v14, v15 offset1:2
	ds_write2st64_b32 v13, v16, v17 offset0:4 offset1:6
	ds_read2st64_b32 v[16:17], v13 offset0:16 offset1:18
	s_waitcnt lgkmcnt(4)
	v_pk_mul_f32 v[14:15], v[2:3], v[18:19]
	ds_write2st64_b32 v13, v14, v15 offset0:8 offset1:10
	s_waitcnt lgkmcnt(4)
	v_pk_mul_f32 v[14:15], v[2:3], v[20:21]
	ds_write2st64_b32 v13, v14, v15 offset0:12 offset1:14
	ds_read2st64_b32 v[14:15], v13 offset0:20 offset1:22
	s_waitcnt lgkmcnt(3)
	v_pk_mul_f32 v[16:17], v[2:3], v[16:17]
	ds_read2st64_b32 v[18:19], v13 offset0:24 offset1:26
	ds_write2st64_b32 v13, v16, v17 offset0:16 offset1:18
	ds_read2st64_b32 v[16:17], v13 offset0:28 offset1:30
	s_waitcnt lgkmcnt(3)
	v_pk_mul_f32 v[14:15], v[2:3], v[14:15]
	ds_write2st64_b32 v13, v14, v15 offset0:20 offset1:22
	s_waitcnt lgkmcnt(3)
	v_pk_mul_f32 v[14:15], v[2:3], v[18:19]
	ds_write2st64_b32 v13, v14, v15 offset0:24 offset1:26
	s_waitcnt lgkmcnt(2)
	v_pk_mul_f32 v[14:15], v[2:3], v[16:17]
	s_add_i32 s16, s16, 16
	v_cmp_eq_u32_e32 vcc, 0, v12
	ds_write2st64_b32 v13, v14, v15 offset0:28 offset1:30
	v_add_u32_e32 v13, 0x2000, v13
	s_or_b64 s[14:15], vcc, s[14:15]
	v_mov_b32_e32 v14, s16
	s_andn2_b64 exec, exec, s[14:15]
	s_cbranch_execnz .LBB364_309
; %bb.310:
	s_or_b64 exec, exec, s[14:15]
.LBB364_311:
	s_or_b64 exec, exec, s[10:11]
	v_and_b32_e32 v9, 7, v9
	v_cmp_ne_u32_e32 vcc, 0, v9
	s_and_saveexec_b64 s[10:11], vcc
	s_cbranch_execz .LBB364_314
; %bb.312:
	v_lshlrev_b32_e32 v12, 9, v14
	v_lshlrev_b32_e32 v13, 2, v0
	s_movk_i32 s14, 0xf0
	v_add3_u32 v12, v12, v13, s14
	s_mov_b64 s[14:15], 0
.LBB364_313:                            ; =>This Inner Loop Header: Depth=1
	ds_read2st64_b32 v[14:15], v12 offset1:2
	v_add_u32_e32 v9, -1, v9
	v_cmp_eq_u32_e32 vcc, 0, v9
	s_or_b64 s[14:15], vcc, s[14:15]
	s_waitcnt lgkmcnt(0)
	v_pk_mul_f32 v[14:15], v[2:3], v[14:15]
	ds_write2st64_b32 v12, v14, v15 offset1:2
	v_add_u32_e32 v12, 0x400, v12
	s_andn2_b64 exec, exec, s[14:15]
	s_cbranch_execnz .LBB364_313
.LBB364_314:
	s_or_b64 exec, exec, s[10:11]
	v_add_u32_e32 v8, 1, v8
	v_and_b32_e32 v9, 0x3fffffe, v8
	v_cmp_ne_u32_e32 vcc, v8, v9
	v_lshl_add_u32 v3, v9, 7, v0
	s_orn2_b64 s[10:11], vcc, exec
.LBB364_315:
	s_or_b64 exec, exec, s[4:5]
	s_and_b64 exec, exec, s[10:11]
	s_cbranch_execz .LBB364_318
; %bb.316:
	v_mov_b32_e32 v8, 0xf0
	v_lshl_add_u32 v8, v3, 2, v8
	s_mov_b64 s[4:5], 0
.LBB364_317:                            ; =>This Inner Loop Header: Depth=1
	ds_read_b32 v9, v8
	v_add_u32_e32 v3, 0x80, v3
	v_cmp_le_i32_e32 vcc, s7, v3
	s_or_b64 s[4:5], vcc, s[4:5]
	s_waitcnt lgkmcnt(0)
	v_mul_f32_e32 v9, v2, v9
	ds_write_b32 v8, v9
	v_add_u32_e32 v8, 0x200, v8
	s_andn2_b64 exec, exec, s[4:5]
	s_cbranch_execnz .LBB364_317
.LBB364_318:
	s_or_b64 exec, exec, s[2:3]
	s_mul_i32 s2, s25, s28
	v_cmp_eq_u32_e32 vcc, 0, v0
	s_mul_i32 s4, s2, s9
	s_waitcnt lgkmcnt(0)
	s_barrier
	s_and_saveexec_b64 s[2:3], vcc
	s_cbranch_execz .LBB364_320
; %bb.319:
	s_ashr_i32 s5, s4, 31
	s_lshl_b64 s[10:11], s[4:5], 2
	s_add_u32 s5, s22, s10
	s_mul_i32 s6, s25, s6
	s_addc_u32 s9, s23, s11
	s_ashr_i32 s7, s6, 31
	s_lshl_b64 s[6:7], s[6:7], 2
	s_add_u32 s5, s5, s6
	s_addc_u32 s17, s9, s7
	s_ashr_i32 s9, s8, 31
	s_lshl_b64 s[14:15], s[8:9], 2
	s_add_u32 s16, s5, s14
	s_addc_u32 s17, s17, s15
	s_add_u32 s5, s20, s10
	s_addc_u32 s9, s21, s11
	;; [unrolled: 2-line block ×3, first 2 shown]
	s_add_u32 s6, s5, s14
	v_mov_b32_e32 v2, 0
	s_addc_u32 s7, s7, s15
	global_store_dword v2, v6, s[16:17]
	global_store_dword v2, v7, s[6:7]
.LBB364_320:
	s_or_b64 exec, exec, s[2:3]
	v_mov_b32_e32 v17, 0
	v_lshrrev_b32_e32 v19, 1, v4
	v_and_b32_e32 v13, 1, v0
	v_mov_b32_e32 v16, 0
	v_mov_b32_e32 v21, 0
	;; [unrolled: 1-line block ×3, first 2 shown]
	s_and_saveexec_b64 s[6:7], s[0:1]
	s_cbranch_execz .LBB364_814
; %bb.321:
	s_ashr_i32 s0, s12, 31
	v_lshlrev_b32_e32 v2, 3, v0
	s_add_u32 s10, s36, s12
	v_and_b32_e32 v2, 8, v2
	s_addc_u32 s11, s37, s0
	v_or_b32_e32 v3, 0x60, v19
	s_movk_i32 s0, 0x70
	v_cmp_gt_u32_e32 vcc, s0, v3
	v_lshl_or_b32 v18, v3, 4, v2
	v_lshl_add_u32 v3, v5, 4, s44
	s_add_i32 s9, s45, -1
	v_lshl_or_b32 v12, v19, 4, v2
	s_load_dword s28, s[18:19], 0x0
	v_add3_u32 v24, v3, v2, 7
	v_lshlrev_b32_e32 v2, 5, v13
	s_lshl_b64 s[0:1], s[34:35], 2
	v_lshl_or_b32 v2, v5, 6, v2
	s_add_u32 s0, s30, s0
	v_add_u32_e32 v25, 0xf0, v2
	v_lshlrev_b64 v[2:3], 2, v[10:11]
	s_addc_u32 s1, s31, s1
	s_mov_b32 s5, s13
	s_mov_b32 s12, -1
	v_mov_b32_e32 v4, s1
	v_add_co_u32_e64 v22, s[0:1], s0, v2
	s_mov_b32 s13, 0xffffff
	v_mov_b32_e32 v15, 0
	v_addc_co_u32_e64 v23, s[0:1], v4, v3, s[0:1]
	s_mov_b64 s[14:15], 0
	s_mov_b32 s30, 0x7f800000
	s_movk_i32 s31, 0x7fff
	s_movk_i32 s34, 0x80
	;; [unrolled: 1-line block ×3, first 2 shown]
	v_bfrev_b32_e32 v11, 60
	v_mov_b32_e32 v20, 0
	v_mov_b32_e32 v21, 0
	;; [unrolled: 1-line block ×4, first 2 shown]
	s_branch .LBB364_324
.LBB364_322:                            ;   in Loop: Header=BB364_324 Depth=1
	s_or_b64 exec, exec, s[2:3]
	v_and_b32_e32 v38, 0xffff0000, v35
	v_and_b32_e32 v35, 0xffff0000, v34
	;; [unrolled: 1-line block ×8, first 2 shown]
	v_pk_add_f32 v[2:3], v[40:41], v[34:35]
	v_pk_add_f32 v[34:35], v[38:39], v[36:37]
	v_add_f32_e32 v2, v2, v3
	v_add_f32_e32 v2, v2, v34
	;; [unrolled: 1-line block ×4, first 2 shown]
.LBB364_323:                            ;   in Loop: Header=BB364_324 Depth=1
	s_or_b64 exec, exec, s[16:17]
	v_and_b32_e32 v2, 0xffff0000, v30
	v_and_b32_e32 v30, 0xffff0000, v29
	;; [unrolled: 1-line block ×8, first 2 shown]
	v_pk_add_f32 v[26:27], v[26:27], v[28:29]
	v_pk_add_f32 v[2:3], v[30:31], v[2:3]
	v_add_f32_e32 v4, v26, v27
	v_add_f32_e32 v2, v4, v2
	;; [unrolled: 1-line block ×3, first 2 shown]
	v_and_b32_e32 v9, 0xffff0000, v43
	v_and_b32_e32 v8, 0xffff0000, v8
	;; [unrolled: 1-line block ×4, first 2 shown]
	v_add_f32_e32 v20, v20, v2
	v_and_b32_e32 v3, 0xffff0000, v47
	v_and_b32_e32 v2, 0xffff0000, v45
	;; [unrolled: 1-line block ×4, first 2 shown]
	v_pk_add_f32 v[8:9], v[28:29], v[8:9]
	v_pk_add_f32 v[2:3], v[26:27], v[2:3]
	v_add_f32_e32 v4, v8, v9
	v_add_f32_e32 v2, v4, v2
	;; [unrolled: 1-line block ×3, first 2 shown]
	v_and_b32_e32 v7, 0xffff0000, v49
	v_and_b32_e32 v6, 0xffff0000, v6
	;; [unrolled: 1-line block ×4, first 2 shown]
	v_add_f32_e32 v21, v21, v2
	v_and_b32_e32 v3, 0xffff0000, v53
	v_and_b32_e32 v2, 0xffff0000, v51
	;; [unrolled: 1-line block ×4, first 2 shown]
	v_pk_add_f32 v[4:5], v[26:27], v[6:7]
	v_pk_add_f32 v[2:3], v[8:9], v[2:3]
	v_add_f32_e32 v4, v4, v5
	v_add_u32_e32 v10, 2, v10
	v_add_f32_e32 v2, v4, v2
	v_cmp_le_i32_e64 s[0:1], s33, v10
	v_add_f32_e32 v2, v2, v3
	s_or_b64 s[14:15], s[0:1], s[14:15]
	v_add_co_u32_e64 v22, s[0:1], 8, v22
	v_add_f32_e32 v16, v16, v2
	v_add_u32_e32 v24, 32, v24
	v_add_u32_e32 v25, 0x80, v25
	v_addc_co_u32_e64 v23, s[0:1], 0, v23, s[0:1]
	s_andn2_b64 exec, exec, s[14:15]
	s_cbranch_execz .LBB364_813
.LBB364_324:                            ; =>This Inner Loop Header: Depth=1
	global_load_dword v14, v[22:23], off
	ds_read2_b64 v[6:9], v25 offset1:1
	ds_read2_b64 v[2:5], v25 offset0:2 offset1:3
                                        ; implicit-def: $vgpr34
	s_waitcnt lgkmcnt(0)
	v_and_b32_e32 v26, 0x7f800000, v6
	v_cmp_ne_u32_e64 s[0:1], s30, v26
	s_and_saveexec_b64 s[2:3], s[0:1]
	s_xor_b64 s[0:1], exec, s[2:3]
; %bb.325:                              ;   in Loop: Header=BB364_324 Depth=1
	v_bfe_u32 v26, v6, 16, 1
	v_add3_u32 v34, v6, v26, s31
; %bb.326:                              ;   in Loop: Header=BB364_324 Depth=1
	s_andn2_saveexec_b64 s[2:3], s[0:1]
; %bb.327:                              ;   in Loop: Header=BB364_324 Depth=1
	v_or_b32_e32 v26, 0x10000, v6
	v_cmp_eq_u32_sdwa s[0:1], v6, v15 src0_sel:WORD_0 src1_sel:DWORD
	v_cndmask_b32_e64 v34, v26, v6, s[0:1]
; %bb.328:                              ;   in Loop: Header=BB364_324 Depth=1
	s_or_b64 exec, exec, s[2:3]
	v_and_b32_e32 v6, 0x7f800000, v7
	v_cmp_ne_u32_e64 s[0:1], s30, v6
                                        ; implicit-def: $vgpr26
	s_and_saveexec_b64 s[2:3], s[0:1]
	s_xor_b64 s[0:1], exec, s[2:3]
; %bb.329:                              ;   in Loop: Header=BB364_324 Depth=1
	v_bfe_u32 v6, v7, 16, 1
	v_add3_u32 v26, v7, v6, s31
; %bb.330:                              ;   in Loop: Header=BB364_324 Depth=1
	s_andn2_saveexec_b64 s[2:3], s[0:1]
; %bb.331:                              ;   in Loop: Header=BB364_324 Depth=1
	v_or_b32_e32 v6, 0x10000, v7
	v_cmp_eq_u32_sdwa s[0:1], v7, v15 src0_sel:WORD_0 src1_sel:DWORD
	v_cndmask_b32_e64 v26, v6, v7, s[0:1]
; %bb.332:                              ;   in Loop: Header=BB364_324 Depth=1
	s_or_b64 exec, exec, s[2:3]
	v_and_b32_e32 v6, 0x7f800000, v8
	v_cmp_ne_u32_e64 s[0:1], s30, v6
                                        ; implicit-def: $vgpr27
	s_and_saveexec_b64 s[2:3], s[0:1]
	s_xor_b64 s[0:1], exec, s[2:3]
; %bb.333:                              ;   in Loop: Header=BB364_324 Depth=1
	v_bfe_u32 v6, v8, 16, 1
	v_add3_u32 v27, v8, v6, s31
; %bb.334:                              ;   in Loop: Header=BB364_324 Depth=1
	s_andn2_saveexec_b64 s[2:3], s[0:1]
; %bb.335:                              ;   in Loop: Header=BB364_324 Depth=1
	v_or_b32_e32 v6, 0x10000, v8
	v_cmp_eq_u32_sdwa s[0:1], v8, v15 src0_sel:WORD_0 src1_sel:DWORD
	v_cndmask_b32_e64 v27, v6, v8, s[0:1]
; %bb.336:                              ;   in Loop: Header=BB364_324 Depth=1
	s_or_b64 exec, exec, s[2:3]
	v_and_b32_e32 v6, 0x7f800000, v9
	v_cmp_ne_u32_e64 s[0:1], s30, v6
                                        ; implicit-def: $vgpr28
	s_and_saveexec_b64 s[2:3], s[0:1]
	s_xor_b64 s[0:1], exec, s[2:3]
; %bb.337:                              ;   in Loop: Header=BB364_324 Depth=1
	v_bfe_u32 v6, v9, 16, 1
	v_add3_u32 v28, v9, v6, s31
                                        ; implicit-def: $vgpr6_vgpr7_vgpr8_vgpr9
; %bb.338:                              ;   in Loop: Header=BB364_324 Depth=1
	s_andn2_saveexec_b64 s[2:3], s[0:1]
; %bb.339:                              ;   in Loop: Header=BB364_324 Depth=1
	v_or_b32_e32 v6, 0x10000, v9
	v_cmp_eq_u32_sdwa s[0:1], v9, v15 src0_sel:WORD_0 src1_sel:DWORD
	v_cndmask_b32_e64 v28, v6, v9, s[0:1]
; %bb.340:                              ;   in Loop: Header=BB364_324 Depth=1
	s_or_b64 exec, exec, s[2:3]
	v_and_b32_e32 v6, 0x7f800000, v2
	v_cmp_ne_u32_e64 s[0:1], s30, v6
                                        ; implicit-def: $vgpr29
	s_and_saveexec_b64 s[2:3], s[0:1]
	s_xor_b64 s[0:1], exec, s[2:3]
; %bb.341:                              ;   in Loop: Header=BB364_324 Depth=1
	v_bfe_u32 v6, v2, 16, 1
	v_add3_u32 v29, v2, v6, s31
; %bb.342:                              ;   in Loop: Header=BB364_324 Depth=1
	s_andn2_saveexec_b64 s[2:3], s[0:1]
; %bb.343:                              ;   in Loop: Header=BB364_324 Depth=1
	v_or_b32_e32 v6, 0x10000, v2
	v_cmp_eq_u32_sdwa s[0:1], v2, v15 src0_sel:WORD_0 src1_sel:DWORD
	v_cndmask_b32_e64 v29, v6, v2, s[0:1]
; %bb.344:                              ;   in Loop: Header=BB364_324 Depth=1
	s_or_b64 exec, exec, s[2:3]
	v_and_b32_e32 v2, 0x7f800000, v3
	v_cmp_ne_u32_e64 s[0:1], s30, v2
                                        ; implicit-def: $vgpr30
	s_and_saveexec_b64 s[2:3], s[0:1]
	s_xor_b64 s[0:1], exec, s[2:3]
; %bb.345:                              ;   in Loop: Header=BB364_324 Depth=1
	v_bfe_u32 v2, v3, 16, 1
	v_add3_u32 v30, v3, v2, s31
; %bb.346:                              ;   in Loop: Header=BB364_324 Depth=1
	s_andn2_saveexec_b64 s[2:3], s[0:1]
; %bb.347:                              ;   in Loop: Header=BB364_324 Depth=1
	v_or_b32_e32 v2, 0x10000, v3
	v_cmp_eq_u32_sdwa s[0:1], v3, v15 src0_sel:WORD_0 src1_sel:DWORD
	v_cndmask_b32_e64 v30, v2, v3, s[0:1]
; %bb.348:                              ;   in Loop: Header=BB364_324 Depth=1
	s_or_b64 exec, exec, s[2:3]
	v_and_b32_e32 v2, 0x7f800000, v4
	v_cmp_ne_u32_e64 s[0:1], s30, v2
                                        ; implicit-def: $vgpr31
	s_and_saveexec_b64 s[2:3], s[0:1]
	s_xor_b64 s[0:1], exec, s[2:3]
; %bb.349:                              ;   in Loop: Header=BB364_324 Depth=1
	v_bfe_u32 v2, v4, 16, 1
	v_add3_u32 v31, v4, v2, s31
; %bb.350:                              ;   in Loop: Header=BB364_324 Depth=1
	s_andn2_saveexec_b64 s[2:3], s[0:1]
; %bb.351:                              ;   in Loop: Header=BB364_324 Depth=1
	v_or_b32_e32 v2, 0x10000, v4
	v_cmp_eq_u32_sdwa s[0:1], v4, v15 src0_sel:WORD_0 src1_sel:DWORD
	v_cndmask_b32_e64 v31, v2, v4, s[0:1]
; %bb.352:                              ;   in Loop: Header=BB364_324 Depth=1
	s_or_b64 exec, exec, s[2:3]
	v_and_b32_e32 v2, 0x7f800000, v5
	v_cmp_ne_u32_e64 s[0:1], s30, v2
                                        ; implicit-def: $vgpr32
	s_and_saveexec_b64 s[2:3], s[0:1]
	s_xor_b64 s[0:1], exec, s[2:3]
; %bb.353:                              ;   in Loop: Header=BB364_324 Depth=1
	v_bfe_u32 v2, v5, 16, 1
	v_add3_u32 v32, v5, v2, s31
                                        ; implicit-def: $vgpr2_vgpr3_vgpr4_vgpr5
; %bb.354:                              ;   in Loop: Header=BB364_324 Depth=1
	s_andn2_saveexec_b64 s[2:3], s[0:1]
; %bb.355:                              ;   in Loop: Header=BB364_324 Depth=1
	v_or_b32_e32 v2, 0x10000, v5
	v_cmp_eq_u32_sdwa s[0:1], v5, v15 src0_sel:WORD_0 src1_sel:DWORD
	v_cndmask_b32_e64 v32, v2, v5, s[0:1]
; %bb.356:                              ;   in Loop: Header=BB364_324 Depth=1
	s_or_b64 exec, exec, s[2:3]
	v_pk_mov_b32 v[2:3], s[10:11], s[10:11] op_sel:[0,1]
	s_waitcnt vmcnt(0)
	v_mad_i64_i32 v[2:3], s[0:1], v14, s5, v[2:3]
	v_add_co_u32_e64 v4, s[0:1], v2, v12
	v_addc_co_u32_e64 v5, s[0:1], 0, v3, s[0:1]
	global_load_dwordx2 v[6:7], v[4:5], off
	v_mov_b32_e32 v8, 0
	s_waitcnt vmcnt(0)
	v_cmp_ne_u16_sdwa s[0:1], v6, v15 src0_sel:BYTE_0 src1_sel:DWORD
	s_and_saveexec_b64 s[2:3], s[0:1]
	s_cbranch_execz .LBB364_362
; %bb.357:                              ;   in Loop: Header=BB364_324 Depth=1
	v_cmp_ne_u16_sdwa s[0:1], v6, s34 src0_sel:BYTE_0 src1_sel:DWORD
	v_bfrev_b32_e32 v8, 1
	s_and_saveexec_b64 s[16:17], s[0:1]
	s_cbranch_execz .LBB364_361
; %bb.358:                              ;   in Loop: Header=BB364_324 Depth=1
	v_and_b32_e32 v9, 0x7f, v6
	v_cmp_ne_u32_e64 s[0:1], s35, v9
	v_mov_b32_e32 v8, 0x7f800001
	s_and_saveexec_b64 s[18:19], s[0:1]
	s_cbranch_execz .LBB364_360
; %bb.359:                              ;   in Loop: Header=BB364_324 Depth=1
	v_and_b32_e32 v8, 7, v6
	v_ffbh_u32_e32 v8, v8
	v_min_u32_e32 v8, 32, v8
	v_lshrrev_b32_e32 v14, 3, v9
	v_subrev_u32_e32 v33, 28, v8
	v_sub_u32_e32 v8, 29, v8
	v_cmp_gt_u32_e64 s[0:1], 8, v9
	v_cndmask_b32_e64 v14, v14, v8, s[0:1]
	v_cndmask_b32_e64 v8, 0, v33, s[0:1]
	v_lshlrev_b64 v[8:9], v8, v[6:7]
	v_lshlrev_b32_e32 v8, 20, v8
	v_lshlrev_b32_e32 v9, 24, v6
	v_and_b32_e32 v8, 0x700000, v8
	v_and_b32_e32 v9, 0x80000000, v9
	v_lshl_add_u32 v14, v14, 23, v11
	v_or3_b32 v8, v9, v14, v8
.LBB364_360:                            ;   in Loop: Header=BB364_324 Depth=1
	s_or_b64 exec, exec, s[18:19]
.LBB364_361:                            ;   in Loop: Header=BB364_324 Depth=1
	s_or_b64 exec, exec, s[16:17]
.LBB364_362:                            ;   in Loop: Header=BB364_324 Depth=1
	s_or_b64 exec, exec, s[2:3]
	v_mul_f32_e32 v8, s28, v8
	v_and_b32_e32 v9, 0x7f800000, v8
	v_cmp_ne_u32_e64 s[0:1], s30, v9
                                        ; implicit-def: $vgpr9
	s_and_saveexec_b64 s[2:3], s[0:1]
	s_xor_b64 s[0:1], exec, s[2:3]
; %bb.363:                              ;   in Loop: Header=BB364_324 Depth=1
	v_bfe_u32 v9, v8, 16, 1
	v_add3_u32 v9, v8, v9, s31
                                        ; implicit-def: $vgpr8
; %bb.364:                              ;   in Loop: Header=BB364_324 Depth=1
	s_andn2_saveexec_b64 s[2:3], s[0:1]
; %bb.365:                              ;   in Loop: Header=BB364_324 Depth=1
	v_or_b32_e32 v9, 0x10000, v8
	v_cmp_eq_u32_sdwa s[0:1], v8, v15 src0_sel:WORD_0 src1_sel:DWORD
	v_cndmask_b32_e64 v9, v9, v8, s[0:1]
; %bb.366:                              ;   in Loop: Header=BB364_324 Depth=1
	s_or_b64 exec, exec, s[2:3]
	v_lshrrev_b16_e32 v8, 8, v6
	v_cmp_ne_u16_e64 s[0:1], 0, v8
	v_mov_b32_e32 v14, 0
	s_and_saveexec_b64 s[2:3], s[0:1]
	s_cbranch_execz .LBB364_372
; %bb.367:                              ;   in Loop: Header=BB364_324 Depth=1
	v_cmp_ne_u16_e64 s[0:1], s34, v8
	v_bfrev_b32_e32 v14, 1
	s_and_saveexec_b64 s[16:17], s[0:1]
	s_cbranch_execz .LBB364_371
; %bb.368:                              ;   in Loop: Header=BB364_324 Depth=1
	v_and_b32_e32 v33, 0x7f, v8
	v_cmp_ne_u32_e64 s[0:1], s35, v33
	v_mov_b32_e32 v14, 0x7f800001
	s_and_saveexec_b64 s[18:19], s[0:1]
	s_cbranch_execz .LBB364_370
; %bb.369:                              ;   in Loop: Header=BB364_324 Depth=1
	v_and_b32_e32 v14, 7, v8
	v_ffbh_u32_e32 v36, v14
	v_min_u32_e32 v38, 32, v36
	v_subrev_u32_e32 v36, 28, v38
	v_lshlrev_b64 v[36:37], v36, v[8:9]
	v_lshrrev_b32_e32 v35, 3, v33
	v_sub_u32_e32 v8, 29, v38
	v_and_b32_e32 v36, 7, v36
	v_cmp_gt_u32_e64 s[0:1], 8, v33
	v_cndmask_b32_e64 v8, v35, v8, s[0:1]
	v_cndmask_b32_e64 v14, v14, v36, s[0:1]
	v_lshlrev_b32_e32 v33, 16, v6
	v_lshlrev_b32_e32 v14, 20, v14
	v_and_b32_e32 v33, 0x80000000, v33
	v_lshl_add_u32 v8, v8, 23, v11
	v_or3_b32 v14, v33, v8, v14
.LBB364_370:                            ;   in Loop: Header=BB364_324 Depth=1
	s_or_b64 exec, exec, s[18:19]
.LBB364_371:                            ;   in Loop: Header=BB364_324 Depth=1
	s_or_b64 exec, exec, s[16:17]
.LBB364_372:                            ;   in Loop: Header=BB364_324 Depth=1
	s_or_b64 exec, exec, s[2:3]
	v_mul_f32_e32 v8, s28, v14
	v_and_b32_e32 v14, 0x7f800000, v8
	v_cmp_ne_u32_e64 s[0:1], s30, v14
                                        ; implicit-def: $vgpr35
	s_and_saveexec_b64 s[2:3], s[0:1]
	s_xor_b64 s[0:1], exec, s[2:3]
; %bb.373:                              ;   in Loop: Header=BB364_324 Depth=1
	v_bfe_u32 v14, v8, 16, 1
	v_add3_u32 v35, v8, v14, s31
                                        ; implicit-def: $vgpr8
; %bb.374:                              ;   in Loop: Header=BB364_324 Depth=1
	s_andn2_saveexec_b64 s[2:3], s[0:1]
; %bb.375:                              ;   in Loop: Header=BB364_324 Depth=1
	v_or_b32_e32 v14, 0x10000, v8
	v_cmp_eq_u32_sdwa s[0:1], v8, v15 src0_sel:WORD_0 src1_sel:DWORD
	v_cndmask_b32_e64 v35, v14, v8, s[0:1]
; %bb.376:                              ;   in Loop: Header=BB364_324 Depth=1
	s_or_b64 exec, exec, s[2:3]
	v_lshrrev_b32_e32 v8, 16, v6
	v_cmp_ne_u16_sdwa s[0:1], v8, v15 src0_sel:BYTE_0 src1_sel:DWORD
	v_mov_b32_e32 v14, 0
	s_and_saveexec_b64 s[2:3], s[0:1]
	s_cbranch_execz .LBB364_382
; %bb.377:                              ;   in Loop: Header=BB364_324 Depth=1
	v_cmp_ne_u16_sdwa s[0:1], v8, s34 src0_sel:BYTE_0 src1_sel:DWORD
	v_bfrev_b32_e32 v14, 1
	s_and_saveexec_b64 s[16:17], s[0:1]
	s_cbranch_execz .LBB364_381
; %bb.378:                              ;   in Loop: Header=BB364_324 Depth=1
	v_bfe_u32 v33, v6, 16, 7
	v_cmp_ne_u32_e64 s[0:1], s35, v33
	v_mov_b32_e32 v14, 0x7f800001
	s_and_saveexec_b64 s[18:19], s[0:1]
	s_cbranch_execz .LBB364_380
; %bb.379:                              ;   in Loop: Header=BB364_324 Depth=1
	v_and_b32_e32 v14, 7, v8
	v_ffbh_u32_e32 v36, v14
	v_min_u32_e32 v39, 32, v36
	v_subrev_u32_e32 v36, 28, v39
	v_lshlrev_b64 v[36:37], v36, v[8:9]
	v_lshrrev_b32_e32 v38, 3, v33
	v_sub_u32_e32 v37, 29, v39
	v_and_b32_e32 v36, 7, v36
	v_cmp_gt_u32_e64 s[0:1], 8, v33
	v_cndmask_b32_e64 v33, v38, v37, s[0:1]
	v_cndmask_b32_e64 v14, v14, v36, s[0:1]
	v_lshlrev_b32_e32 v8, 24, v8
	v_lshlrev_b32_e32 v14, 20, v14
	v_and_b32_e32 v8, 0x80000000, v8
	v_lshl_add_u32 v33, v33, 23, v11
	v_or3_b32 v14, v8, v33, v14
.LBB364_380:                            ;   in Loop: Header=BB364_324 Depth=1
	s_or_b64 exec, exec, s[18:19]
.LBB364_381:                            ;   in Loop: Header=BB364_324 Depth=1
	s_or_b64 exec, exec, s[16:17]
.LBB364_382:                            ;   in Loop: Header=BB364_324 Depth=1
	s_or_b64 exec, exec, s[2:3]
	v_mul_f32_e32 v8, s28, v14
	v_and_b32_e32 v14, 0x7f800000, v8
	v_cmp_ne_u32_e64 s[0:1], s30, v14
                                        ; implicit-def: $vgpr36
	s_and_saveexec_b64 s[2:3], s[0:1]
	s_xor_b64 s[0:1], exec, s[2:3]
; %bb.383:                              ;   in Loop: Header=BB364_324 Depth=1
	v_bfe_u32 v14, v8, 16, 1
	v_add3_u32 v36, v8, v14, s31
                                        ; implicit-def: $vgpr8
; %bb.384:                              ;   in Loop: Header=BB364_324 Depth=1
	s_andn2_saveexec_b64 s[2:3], s[0:1]
; %bb.385:                              ;   in Loop: Header=BB364_324 Depth=1
	v_or_b32_e32 v14, 0x10000, v8
	v_cmp_eq_u32_sdwa s[0:1], v8, v15 src0_sel:WORD_0 src1_sel:DWORD
	v_cndmask_b32_e64 v36, v14, v8, s[0:1]
; %bb.386:                              ;   in Loop: Header=BB364_324 Depth=1
	s_or_b64 exec, exec, s[2:3]
	v_cmp_lt_u32_e64 s[0:1], s13, v6
	v_mov_b32_e32 v14, 0
	s_and_saveexec_b64 s[2:3], s[0:1]
	s_cbranch_execz .LBB364_392
; %bb.387:                              ;   in Loop: Header=BB364_324 Depth=1
	v_lshrrev_b32_e32 v8, 24, v6
	v_cmp_ne_u32_e64 s[0:1], s34, v8
	v_bfrev_b32_e32 v14, 1
	s_and_saveexec_b64 s[16:17], s[0:1]
	s_cbranch_execz .LBB364_391
; %bb.388:                              ;   in Loop: Header=BB364_324 Depth=1
	v_bfe_u32 v33, v6, 24, 7
	v_cmp_ne_u32_e64 s[0:1], s35, v33
	v_mov_b32_e32 v14, 0x7f800001
	s_and_saveexec_b64 s[18:19], s[0:1]
	s_cbranch_execz .LBB364_390
; %bb.389:                              ;   in Loop: Header=BB364_324 Depth=1
	v_and_b32_e32 v14, 7, v8
	v_ffbh_u32_e32 v38, v14
	v_min_u32_e32 v40, 32, v38
	v_subrev_u32_e32 v38, 28, v40
	v_lshlrev_b64 v[38:39], v38, v[8:9]
	v_lshrrev_b32_e32 v37, 3, v33
	v_sub_u32_e32 v39, 29, v40
	v_and_b32_e32 v38, 7, v38
	v_cmp_gt_u32_e64 s[0:1], 8, v33
	v_cndmask_b32_e64 v33, v37, v39, s[0:1]
	v_cndmask_b32_e64 v14, v14, v38, s[0:1]
	v_lshlrev_b32_e32 v8, 24, v8
	v_lshlrev_b32_e32 v14, 20, v14
	v_and_b32_e32 v8, 0x80000000, v8
	v_lshl_add_u32 v33, v33, 23, v11
	v_or3_b32 v14, v8, v33, v14
.LBB364_390:                            ;   in Loop: Header=BB364_324 Depth=1
	s_or_b64 exec, exec, s[18:19]
.LBB364_391:                            ;   in Loop: Header=BB364_324 Depth=1
	s_or_b64 exec, exec, s[16:17]
.LBB364_392:                            ;   in Loop: Header=BB364_324 Depth=1
	s_or_b64 exec, exec, s[2:3]
	v_mul_f32_e32 v8, s28, v14
	v_and_b32_e32 v14, 0x7f800000, v8
	v_cmp_ne_u32_e64 s[0:1], s30, v14
                                        ; implicit-def: $vgpr37
	s_and_saveexec_b64 s[2:3], s[0:1]
	s_xor_b64 s[0:1], exec, s[2:3]
; %bb.393:                              ;   in Loop: Header=BB364_324 Depth=1
	v_bfe_u32 v14, v8, 16, 1
	v_add3_u32 v37, v8, v14, s31
                                        ; implicit-def: $vgpr8
; %bb.394:                              ;   in Loop: Header=BB364_324 Depth=1
	s_andn2_saveexec_b64 s[2:3], s[0:1]
; %bb.395:                              ;   in Loop: Header=BB364_324 Depth=1
	v_or_b32_e32 v14, 0x10000, v8
	v_cmp_eq_u32_sdwa s[0:1], v8, v15 src0_sel:WORD_0 src1_sel:DWORD
	v_cndmask_b32_e64 v37, v14, v8, s[0:1]
; %bb.396:                              ;   in Loop: Header=BB364_324 Depth=1
	s_or_b64 exec, exec, s[2:3]
	v_mov_b32_e32 v14, v7
	v_cmp_ne_u16_sdwa s[0:1], v7, v15 src0_sel:BYTE_0 src1_sel:DWORD
	v_mov_b32_e32 v8, 0
	s_and_saveexec_b64 s[2:3], s[0:1]
	s_cbranch_execz .LBB364_402
; %bb.397:                              ;   in Loop: Header=BB364_324 Depth=1
	v_cmp_ne_u16_sdwa s[0:1], v7, s34 src0_sel:BYTE_0 src1_sel:DWORD
	v_bfrev_b32_e32 v8, 1
	s_and_saveexec_b64 s[16:17], s[0:1]
	s_cbranch_execz .LBB364_401
; %bb.398:                              ;   in Loop: Header=BB364_324 Depth=1
	v_and_b32_e32 v33, 0x7f, v7
	v_cmp_ne_u32_e64 s[0:1], s35, v33
	v_mov_b32_e32 v8, 0x7f800001
	s_and_saveexec_b64 s[18:19], s[0:1]
	s_cbranch_execz .LBB364_400
; %bb.399:                              ;   in Loop: Header=BB364_324 Depth=1
	v_and_b32_e32 v8, 7, v7
	v_ffbh_u32_e32 v8, v8
	v_min_u32_e32 v8, 32, v8
	v_subrev_u32_e32 v39, 28, v8
	v_cmp_gt_u32_e64 s[0:1], 8, v33
	v_lshrrev_b32_e32 v38, 3, v33
	v_sub_u32_e32 v8, 29, v8
	v_cndmask_b32_e64 v33, 0, v39, s[0:1]
	v_cndmask_b32_e64 v8, v38, v8, s[0:1]
	v_lshlrev_b64 v[38:39], v33, v[14:15]
	v_lshlrev_b32_e32 v33, 20, v38
	v_lshlrev_b32_e32 v38, 24, v14
	v_and_b32_e32 v33, 0x700000, v33
	v_and_b32_e32 v38, 0x80000000, v38
	v_lshl_add_u32 v8, v8, 23, v11
	v_or3_b32 v8, v38, v8, v33
.LBB364_400:                            ;   in Loop: Header=BB364_324 Depth=1
	s_or_b64 exec, exec, s[18:19]
.LBB364_401:                            ;   in Loop: Header=BB364_324 Depth=1
	s_or_b64 exec, exec, s[16:17]
.LBB364_402:                            ;   in Loop: Header=BB364_324 Depth=1
	s_or_b64 exec, exec, s[2:3]
	v_mul_f32_e32 v8, s28, v8
	v_and_b32_e32 v33, 0x7f800000, v8
	v_cmp_ne_u32_e64 s[0:1], s30, v33
                                        ; implicit-def: $vgpr38
	s_and_saveexec_b64 s[2:3], s[0:1]
	s_xor_b64 s[0:1], exec, s[2:3]
; %bb.403:                              ;   in Loop: Header=BB364_324 Depth=1
	v_bfe_u32 v33, v8, 16, 1
	v_add3_u32 v38, v8, v33, s31
                                        ; implicit-def: $vgpr8
; %bb.404:                              ;   in Loop: Header=BB364_324 Depth=1
	s_andn2_saveexec_b64 s[2:3], s[0:1]
; %bb.405:                              ;   in Loop: Header=BB364_324 Depth=1
	v_or_b32_e32 v33, 0x10000, v8
	v_cmp_eq_u32_sdwa s[0:1], v8, v15 src0_sel:WORD_0 src1_sel:DWORD
	v_cndmask_b32_e64 v38, v33, v8, s[0:1]
; %bb.406:                              ;   in Loop: Header=BB364_324 Depth=1
	s_or_b64 exec, exec, s[2:3]
	v_lshrrev_b16_e32 v8, 8, v14
	v_cmp_ne_u16_e64 s[0:1], 0, v8
	v_mov_b32_e32 v33, 0
	s_and_saveexec_b64 s[2:3], s[0:1]
	s_cbranch_execz .LBB364_412
; %bb.407:                              ;   in Loop: Header=BB364_324 Depth=1
	v_cmp_ne_u16_e64 s[0:1], s34, v8
	v_bfrev_b32_e32 v33, 1
	s_and_saveexec_b64 s[16:17], s[0:1]
	s_cbranch_execz .LBB364_411
; %bb.408:                              ;   in Loop: Header=BB364_324 Depth=1
	v_and_b32_e32 v39, 0x7f, v8
	v_cmp_ne_u32_e64 s[0:1], s35, v39
	v_mov_b32_e32 v33, 0x7f800001
	s_and_saveexec_b64 s[18:19], s[0:1]
	s_cbranch_execz .LBB364_410
; %bb.409:                              ;   in Loop: Header=BB364_324 Depth=1
	v_and_b32_e32 v33, 7, v8
	v_ffbh_u32_e32 v40, v33
	v_min_u32_e32 v43, 32, v40
	v_subrev_u32_e32 v40, 28, v43
	v_lshlrev_b64 v[40:41], v40, v[8:9]
	v_lshrrev_b32_e32 v42, 3, v39
	v_sub_u32_e32 v8, 29, v43
	v_and_b32_e32 v40, 7, v40
	v_cmp_gt_u32_e64 s[0:1], 8, v39
	v_cndmask_b32_e64 v8, v42, v8, s[0:1]
	v_cndmask_b32_e64 v33, v33, v40, s[0:1]
	v_lshlrev_b32_e32 v14, 16, v14
	v_lshlrev_b32_e32 v33, 20, v33
	v_and_b32_e32 v14, 0x80000000, v14
	v_lshl_add_u32 v8, v8, 23, v11
	v_or3_b32 v33, v14, v8, v33
.LBB364_410:                            ;   in Loop: Header=BB364_324 Depth=1
	s_or_b64 exec, exec, s[18:19]
.LBB364_411:                            ;   in Loop: Header=BB364_324 Depth=1
	s_or_b64 exec, exec, s[16:17]
.LBB364_412:                            ;   in Loop: Header=BB364_324 Depth=1
	s_or_b64 exec, exec, s[2:3]
	v_mul_f32_e32 v8, s28, v33
	v_and_b32_e32 v14, 0x7f800000, v8
	v_cmp_ne_u32_e64 s[0:1], s30, v14
                                        ; implicit-def: $vgpr14
	s_and_saveexec_b64 s[2:3], s[0:1]
	s_xor_b64 s[0:1], exec, s[2:3]
; %bb.413:                              ;   in Loop: Header=BB364_324 Depth=1
	v_bfe_u32 v14, v8, 16, 1
	v_add3_u32 v14, v8, v14, s31
                                        ; implicit-def: $vgpr8
; %bb.414:                              ;   in Loop: Header=BB364_324 Depth=1
	s_andn2_saveexec_b64 s[2:3], s[0:1]
; %bb.415:                              ;   in Loop: Header=BB364_324 Depth=1
	v_or_b32_e32 v14, 0x10000, v8
	v_cmp_eq_u32_sdwa s[0:1], v8, v15 src0_sel:WORD_0 src1_sel:DWORD
	v_cndmask_b32_e64 v14, v14, v8, s[0:1]
; %bb.416:                              ;   in Loop: Header=BB364_324 Depth=1
	s_or_b64 exec, exec, s[2:3]
	v_lshrrev_b32_e32 v8, 16, v7
	v_cmp_ne_u16_sdwa s[0:1], v8, v15 src0_sel:BYTE_0 src1_sel:DWORD
	v_mov_b32_e32 v33, 0
	s_and_saveexec_b64 s[2:3], s[0:1]
	s_cbranch_execz .LBB364_422
; %bb.417:                              ;   in Loop: Header=BB364_324 Depth=1
	v_cmp_ne_u16_sdwa s[0:1], v8, s34 src0_sel:BYTE_0 src1_sel:DWORD
	v_bfrev_b32_e32 v33, 1
	s_and_saveexec_b64 s[16:17], s[0:1]
	s_cbranch_execz .LBB364_421
; %bb.418:                              ;   in Loop: Header=BB364_324 Depth=1
	v_bfe_u32 v39, v7, 16, 7
	v_cmp_ne_u32_e64 s[0:1], s35, v39
	v_mov_b32_e32 v33, 0x7f800001
	s_and_saveexec_b64 s[18:19], s[0:1]
	s_cbranch_execz .LBB364_420
; %bb.419:                              ;   in Loop: Header=BB364_324 Depth=1
	v_and_b32_e32 v33, 7, v8
	v_ffbh_u32_e32 v40, v33
	v_min_u32_e32 v43, 32, v40
	v_subrev_u32_e32 v40, 28, v43
	v_lshlrev_b64 v[40:41], v40, v[8:9]
	v_lshrrev_b32_e32 v42, 3, v39
	v_sub_u32_e32 v41, 29, v43
	v_and_b32_e32 v40, 7, v40
	v_cmp_gt_u32_e64 s[0:1], 8, v39
	v_cndmask_b32_e64 v39, v42, v41, s[0:1]
	v_cndmask_b32_e64 v33, v33, v40, s[0:1]
	v_lshlrev_b32_e32 v8, 24, v8
	v_lshlrev_b32_e32 v33, 20, v33
	v_and_b32_e32 v8, 0x80000000, v8
	v_lshl_add_u32 v39, v39, 23, v11
	v_or3_b32 v33, v8, v39, v33
.LBB364_420:                            ;   in Loop: Header=BB364_324 Depth=1
	s_or_b64 exec, exec, s[18:19]
.LBB364_421:                            ;   in Loop: Header=BB364_324 Depth=1
	s_or_b64 exec, exec, s[16:17]
.LBB364_422:                            ;   in Loop: Header=BB364_324 Depth=1
	s_or_b64 exec, exec, s[2:3]
	v_mul_f32_e32 v8, s28, v33
	v_and_b32_e32 v33, 0x7f800000, v8
	v_cmp_ne_u32_e64 s[0:1], s30, v33
                                        ; implicit-def: $vgpr39
	s_and_saveexec_b64 s[2:3], s[0:1]
	s_xor_b64 s[0:1], exec, s[2:3]
; %bb.423:                              ;   in Loop: Header=BB364_324 Depth=1
	v_bfe_u32 v33, v8, 16, 1
	v_add3_u32 v39, v8, v33, s31
                                        ; implicit-def: $vgpr8
; %bb.424:                              ;   in Loop: Header=BB364_324 Depth=1
	s_andn2_saveexec_b64 s[2:3], s[0:1]
; %bb.425:                              ;   in Loop: Header=BB364_324 Depth=1
	v_or_b32_e32 v33, 0x10000, v8
	v_cmp_eq_u32_sdwa s[0:1], v8, v15 src0_sel:WORD_0 src1_sel:DWORD
	v_cndmask_b32_e64 v39, v33, v8, s[0:1]
; %bb.426:                              ;   in Loop: Header=BB364_324 Depth=1
	s_or_b64 exec, exec, s[2:3]
	v_cmp_lt_u64_e64 s[0:1], s[12:13], v[6:7]
	v_mov_b32_e32 v8, 0
	s_and_saveexec_b64 s[2:3], s[0:1]
	s_cbranch_execz .LBB364_432
; %bb.427:                              ;   in Loop: Header=BB364_324 Depth=1
	v_lshrrev_b32_e32 v6, 24, v7
	v_cmp_ne_u32_e64 s[0:1], s34, v6
	v_bfrev_b32_e32 v8, 1
	s_and_saveexec_b64 s[16:17], s[0:1]
	s_cbranch_execz .LBB364_431
; %bb.428:                              ;   in Loop: Header=BB364_324 Depth=1
	v_bfe_u32 v7, v7, 24, 7
	v_cmp_ne_u32_e64 s[0:1], s35, v7
	v_mov_b32_e32 v8, 0x7f800001
	s_and_saveexec_b64 s[18:19], s[0:1]
	s_cbranch_execz .LBB364_430
; %bb.429:                              ;   in Loop: Header=BB364_324 Depth=1
	v_and_b32_e32 v8, 7, v6
	v_ffbh_u32_e32 v40, v8
	v_min_u32_e32 v42, 32, v40
	v_subrev_u32_e32 v40, 28, v42
	v_lshlrev_b64 v[40:41], v40, v[6:7]
	v_lshrrev_b32_e32 v33, 3, v7
	v_sub_u32_e32 v41, 29, v42
	v_and_b32_e32 v40, 7, v40
	v_cmp_gt_u32_e64 s[0:1], 8, v7
	v_cndmask_b32_e64 v7, v33, v41, s[0:1]
	v_cndmask_b32_e64 v8, v8, v40, s[0:1]
	v_lshlrev_b32_e32 v6, 24, v6
	v_lshlrev_b32_e32 v8, 20, v8
	v_and_b32_e32 v6, 0x80000000, v6
	v_lshl_add_u32 v7, v7, 23, v11
	v_or3_b32 v8, v6, v7, v8
.LBB364_430:                            ;   in Loop: Header=BB364_324 Depth=1
	s_or_b64 exec, exec, s[18:19]
.LBB364_431:                            ;   in Loop: Header=BB364_324 Depth=1
	s_or_b64 exec, exec, s[16:17]
.LBB364_432:                            ;   in Loop: Header=BB364_324 Depth=1
	s_or_b64 exec, exec, s[2:3]
	v_mul_f32_e32 v7, s28, v8
	v_and_b32_e32 v6, 0x7f800000, v7
	v_cmp_ne_u32_e64 s[0:1], s30, v6
                                        ; implicit-def: $vgpr6
	s_and_saveexec_b64 s[2:3], s[0:1]
	s_xor_b64 s[0:1], exec, s[2:3]
; %bb.433:                              ;   in Loop: Header=BB364_324 Depth=1
	v_bfe_u32 v6, v7, 16, 1
	v_add3_u32 v6, v7, v6, s31
                                        ; implicit-def: $vgpr7
; %bb.434:                              ;   in Loop: Header=BB364_324 Depth=1
	s_andn2_saveexec_b64 s[2:3], s[0:1]
; %bb.435:                              ;   in Loop: Header=BB364_324 Depth=1
	v_or_b32_e32 v6, 0x10000, v7
	v_cmp_eq_u32_sdwa s[0:1], v7, v15 src0_sel:WORD_0 src1_sel:DWORD
	v_cndmask_b32_e64 v6, v6, v7, s[0:1]
; %bb.436:                              ;   in Loop: Header=BB364_324 Depth=1
	s_or_b64 exec, exec, s[2:3]
	v_cmp_eq_u32_e64 s[0:1], s9, v10
	v_add_u32_e32 v33, -7, v24
	v_lshrrev_b32_e32 v8, 16, v14
	v_lshrrev_b32_e32 v14, 16, v38
	;; [unrolled: 1-line block ×8, first 2 shown]
	s_and_saveexec_b64 s[16:17], s[0:1]
	s_cbranch_execz .LBB364_438
; %bb.437:                              ;   in Loop: Header=BB364_324 Depth=1
	v_cmp_gt_i32_e64 s[2:3], s29, v33
	v_add_u32_e32 v35, -6, v24
	v_cndmask_b32_e64 v9, 0, v9, s[2:3]
	v_cmp_gt_i32_e64 s[2:3], s29, v35
	v_add_u32_e32 v35, -5, v24
	v_cndmask_b32_e64 v36, 0, v36, s[2:3]
	;; [unrolled: 3-line block ×6, first 2 shown]
	v_cmp_gt_i32_e64 s[2:3], s29, v35
	v_cndmask_b32_e64 v7, 0, v7, s[2:3]
	v_cmp_gt_i32_e64 s[2:3], s29, v24
	v_cndmask_b32_e64 v6, 0, v6, s[2:3]
.LBB364_438:                            ;   in Loop: Header=BB364_324 Depth=1
	s_or_b64 exec, exec, s[16:17]
	v_and_b32_e32 v34, 0xffff0000, v34
	v_lshlrev_b32_e32 v9, 16, v9
	v_mul_f32_e32 v35, v34, v9
	v_and_b32_e32 v9, 0x7f800000, v35
	v_cmp_ne_u32_e64 s[2:3], s30, v9
                                        ; implicit-def: $vgpr9
	s_and_saveexec_b64 s[16:17], s[2:3]
	s_xor_b64 s[2:3], exec, s[16:17]
; %bb.439:                              ;   in Loop: Header=BB364_324 Depth=1
	v_bfe_u32 v9, v35, 16, 1
	v_add3_u32 v9, v35, v9, s31
                                        ; implicit-def: $vgpr35
; %bb.440:                              ;   in Loop: Header=BB364_324 Depth=1
	s_andn2_saveexec_b64 s[16:17], s[2:3]
; %bb.441:                              ;   in Loop: Header=BB364_324 Depth=1
	v_or_b32_e32 v9, 0x10000, v35
	v_cmp_eq_u32_sdwa s[2:3], v35, v15 src0_sel:WORD_0 src1_sel:DWORD
	v_cndmask_b32_e64 v9, v9, v35, s[2:3]
; %bb.442:                              ;   in Loop: Header=BB364_324 Depth=1
	s_or_b64 exec, exec, s[16:17]
	v_and_b32_e32 v35, 0xffff0000, v26
	v_lshlrev_b32_e32 v26, 16, v36
	v_mul_f32_e32 v36, v35, v26
	v_and_b32_e32 v26, 0x7f800000, v36
	v_cmp_ne_u32_e64 s[2:3], s30, v26
                                        ; implicit-def: $vgpr26
	s_and_saveexec_b64 s[16:17], s[2:3]
	s_xor_b64 s[2:3], exec, s[16:17]
; %bb.443:                              ;   in Loop: Header=BB364_324 Depth=1
	v_bfe_u32 v26, v36, 16, 1
	v_add3_u32 v26, v36, v26, s31
                                        ; implicit-def: $vgpr36
; %bb.444:                              ;   in Loop: Header=BB364_324 Depth=1
	s_andn2_saveexec_b64 s[16:17], s[2:3]
; %bb.445:                              ;   in Loop: Header=BB364_324 Depth=1
	v_or_b32_e32 v26, 0x10000, v36
	v_cmp_eq_u32_sdwa s[2:3], v36, v15 src0_sel:WORD_0 src1_sel:DWORD
	v_cndmask_b32_e64 v26, v26, v36, s[2:3]
; %bb.446:                              ;   in Loop: Header=BB364_324 Depth=1
	s_or_b64 exec, exec, s[16:17]
	v_and_b32_e32 v36, 0xffff0000, v27
	v_lshlrev_b32_e32 v27, 16, v37
	v_mul_f32_e32 v37, v36, v27
	v_and_b32_e32 v27, 0x7f800000, v37
	v_cmp_ne_u32_e64 s[2:3], s30, v27
                                        ; implicit-def: $vgpr27
	s_and_saveexec_b64 s[16:17], s[2:3]
	s_xor_b64 s[2:3], exec, s[16:17]
; %bb.447:                              ;   in Loop: Header=BB364_324 Depth=1
	v_bfe_u32 v27, v37, 16, 1
	v_add3_u32 v27, v37, v27, s31
                                        ; implicit-def: $vgpr37
; %bb.448:                              ;   in Loop: Header=BB364_324 Depth=1
	s_andn2_saveexec_b64 s[16:17], s[2:3]
; %bb.449:                              ;   in Loop: Header=BB364_324 Depth=1
	v_or_b32_e32 v27, 0x10000, v37
	v_cmp_eq_u32_sdwa s[2:3], v37, v15 src0_sel:WORD_0 src1_sel:DWORD
	v_cndmask_b32_e64 v27, v27, v37, s[2:3]
; %bb.450:                              ;   in Loop: Header=BB364_324 Depth=1
	s_or_b64 exec, exec, s[16:17]
	v_and_b32_e32 v37, 0xffff0000, v28
	v_lshlrev_b32_e32 v28, 16, v38
	v_mul_f32_e32 v38, v37, v28
	v_and_b32_e32 v28, 0x7f800000, v38
	v_cmp_ne_u32_e64 s[2:3], s30, v28
                                        ; implicit-def: $vgpr28
	s_and_saveexec_b64 s[16:17], s[2:3]
	s_xor_b64 s[2:3], exec, s[16:17]
; %bb.451:                              ;   in Loop: Header=BB364_324 Depth=1
	v_bfe_u32 v28, v38, 16, 1
	v_add3_u32 v28, v38, v28, s31
                                        ; implicit-def: $vgpr38
; %bb.452:                              ;   in Loop: Header=BB364_324 Depth=1
	s_andn2_saveexec_b64 s[16:17], s[2:3]
; %bb.453:                              ;   in Loop: Header=BB364_324 Depth=1
	v_or_b32_e32 v28, 0x10000, v38
	v_cmp_eq_u32_sdwa s[2:3], v38, v15 src0_sel:WORD_0 src1_sel:DWORD
	v_cndmask_b32_e64 v28, v28, v38, s[2:3]
; %bb.454:                              ;   in Loop: Header=BB364_324 Depth=1
	s_or_b64 exec, exec, s[16:17]
	v_and_b32_e32 v38, 0xffff0000, v29
	v_lshlrev_b32_e32 v14, 16, v14
	v_mul_f32_e32 v14, v38, v14
	v_and_b32_e32 v29, 0x7f800000, v14
	v_cmp_ne_u32_e64 s[2:3], s30, v29
                                        ; implicit-def: $vgpr29
	s_and_saveexec_b64 s[16:17], s[2:3]
	s_xor_b64 s[2:3], exec, s[16:17]
; %bb.455:                              ;   in Loop: Header=BB364_324 Depth=1
	v_bfe_u32 v29, v14, 16, 1
	v_add3_u32 v29, v14, v29, s31
                                        ; implicit-def: $vgpr14
; %bb.456:                              ;   in Loop: Header=BB364_324 Depth=1
	s_andn2_saveexec_b64 s[16:17], s[2:3]
; %bb.457:                              ;   in Loop: Header=BB364_324 Depth=1
	v_or_b32_e32 v29, 0x10000, v14
	v_cmp_eq_u32_sdwa s[2:3], v14, v15 src0_sel:WORD_0 src1_sel:DWORD
	v_cndmask_b32_e64 v29, v29, v14, s[2:3]
; %bb.458:                              ;   in Loop: Header=BB364_324 Depth=1
	s_or_b64 exec, exec, s[16:17]
	v_and_b32_e32 v39, 0xffff0000, v30
	v_lshlrev_b32_e32 v8, 16, v8
	v_mul_f32_e32 v8, v39, v8
	v_and_b32_e32 v14, 0x7f800000, v8
	v_cmp_ne_u32_e64 s[2:3], s30, v14
                                        ; implicit-def: $vgpr30
	s_and_saveexec_b64 s[16:17], s[2:3]
	s_xor_b64 s[2:3], exec, s[16:17]
; %bb.459:                              ;   in Loop: Header=BB364_324 Depth=1
	v_bfe_u32 v14, v8, 16, 1
	v_add3_u32 v30, v8, v14, s31
                                        ; implicit-def: $vgpr8
; %bb.460:                              ;   in Loop: Header=BB364_324 Depth=1
	s_andn2_saveexec_b64 s[16:17], s[2:3]
; %bb.461:                              ;   in Loop: Header=BB364_324 Depth=1
	v_or_b32_e32 v14, 0x10000, v8
	v_cmp_eq_u32_sdwa s[2:3], v8, v15 src0_sel:WORD_0 src1_sel:DWORD
	v_cndmask_b32_e64 v30, v14, v8, s[2:3]
; %bb.462:                              ;   in Loop: Header=BB364_324 Depth=1
	s_or_b64 exec, exec, s[16:17]
	v_and_b32_e32 v40, 0xffff0000, v31
	v_lshlrev_b32_e32 v7, 16, v7
	v_mul_f32_e32 v7, v40, v7
	v_and_b32_e32 v8, 0x7f800000, v7
	v_cmp_ne_u32_e64 s[2:3], s30, v8
                                        ; implicit-def: $vgpr31
	s_and_saveexec_b64 s[16:17], s[2:3]
	s_xor_b64 s[2:3], exec, s[16:17]
; %bb.463:                              ;   in Loop: Header=BB364_324 Depth=1
	v_bfe_u32 v8, v7, 16, 1
	v_add3_u32 v31, v7, v8, s31
                                        ; implicit-def: $vgpr7
; %bb.464:                              ;   in Loop: Header=BB364_324 Depth=1
	s_andn2_saveexec_b64 s[16:17], s[2:3]
; %bb.465:                              ;   in Loop: Header=BB364_324 Depth=1
	v_or_b32_e32 v8, 0x10000, v7
	v_cmp_eq_u32_sdwa s[2:3], v7, v15 src0_sel:WORD_0 src1_sel:DWORD
	v_cndmask_b32_e64 v31, v8, v7, s[2:3]
; %bb.466:                              ;   in Loop: Header=BB364_324 Depth=1
	s_or_b64 exec, exec, s[16:17]
	v_and_b32_e32 v41, 0xffff0000, v32
	v_lshlrev_b32_e32 v6, 16, v6
	v_mul_f32_e32 v6, v41, v6
	v_and_b32_e32 v7, 0x7f800000, v6
	v_cmp_ne_u32_e64 s[2:3], s30, v7
                                        ; implicit-def: $vgpr32
	s_and_saveexec_b64 s[16:17], s[2:3]
	s_xor_b64 s[2:3], exec, s[16:17]
; %bb.467:                              ;   in Loop: Header=BB364_324 Depth=1
	v_bfe_u32 v7, v6, 16, 1
	v_add3_u32 v32, v6, v7, s31
                                        ; implicit-def: $vgpr6
; %bb.468:                              ;   in Loop: Header=BB364_324 Depth=1
	s_andn2_saveexec_b64 s[16:17], s[2:3]
; %bb.469:                              ;   in Loop: Header=BB364_324 Depth=1
	v_or_b32_e32 v7, 0x10000, v6
	v_cmp_eq_u32_sdwa s[2:3], v6, v15 src0_sel:WORD_0 src1_sel:DWORD
	v_cndmask_b32_e64 v32, v7, v6, s[2:3]
; %bb.470:                              ;   in Loop: Header=BB364_324 Depth=1
	s_or_b64 exec, exec, s[16:17]
	global_load_dwordx2 v[6:7], v[4:5], off offset:512
	v_mov_b32_e32 v8, 0
	s_waitcnt vmcnt(0)
	v_cmp_ne_u16_sdwa s[2:3], v6, v15 src0_sel:BYTE_0 src1_sel:DWORD
	s_and_saveexec_b64 s[16:17], s[2:3]
	s_cbranch_execz .LBB364_476
; %bb.471:                              ;   in Loop: Header=BB364_324 Depth=1
	v_cmp_ne_u16_sdwa s[2:3], v6, s34 src0_sel:BYTE_0 src1_sel:DWORD
	v_bfrev_b32_e32 v8, 1
	s_and_saveexec_b64 s[18:19], s[2:3]
	s_cbranch_execz .LBB364_475
; %bb.472:                              ;   in Loop: Header=BB364_324 Depth=1
	v_and_b32_e32 v14, 0x7f, v6
	v_cmp_ne_u32_e64 s[2:3], s35, v14
	v_mov_b32_e32 v8, 0x7f800001
	s_and_saveexec_b64 s[20:21], s[2:3]
	s_cbranch_execz .LBB364_474
; %bb.473:                              ;   in Loop: Header=BB364_324 Depth=1
	v_and_b32_e32 v8, 7, v6
	v_ffbh_u32_e32 v8, v8
	v_min_u32_e32 v8, 32, v8
	v_subrev_u32_e32 v43, 28, v8
	v_cmp_gt_u32_e64 s[2:3], 8, v14
	v_lshrrev_b32_e32 v42, 3, v14
	v_sub_u32_e32 v8, 29, v8
	v_cndmask_b32_e64 v14, 0, v43, s[2:3]
	v_cndmask_b32_e64 v8, v42, v8, s[2:3]
	v_lshlrev_b64 v[42:43], v14, v[6:7]
	v_lshlrev_b32_e32 v14, 20, v42
	v_lshlrev_b32_e32 v42, 24, v6
	v_and_b32_e32 v14, 0x700000, v14
	v_and_b32_e32 v42, 0x80000000, v42
	v_lshl_add_u32 v8, v8, 23, v11
	v_or3_b32 v8, v42, v8, v14
.LBB364_474:                            ;   in Loop: Header=BB364_324 Depth=1
	s_or_b64 exec, exec, s[20:21]
.LBB364_475:                            ;   in Loop: Header=BB364_324 Depth=1
	s_or_b64 exec, exec, s[18:19]
.LBB364_476:                            ;   in Loop: Header=BB364_324 Depth=1
	s_or_b64 exec, exec, s[16:17]
	v_mul_f32_e32 v8, s28, v8
	v_and_b32_e32 v14, 0x7f800000, v8
	v_cmp_ne_u32_e64 s[2:3], s30, v14
                                        ; implicit-def: $vgpr42
	s_and_saveexec_b64 s[16:17], s[2:3]
	s_xor_b64 s[2:3], exec, s[16:17]
; %bb.477:                              ;   in Loop: Header=BB364_324 Depth=1
	v_bfe_u32 v14, v8, 16, 1
	v_add3_u32 v42, v8, v14, s31
                                        ; implicit-def: $vgpr8
; %bb.478:                              ;   in Loop: Header=BB364_324 Depth=1
	s_andn2_saveexec_b64 s[16:17], s[2:3]
; %bb.479:                              ;   in Loop: Header=BB364_324 Depth=1
	v_or_b32_e32 v14, 0x10000, v8
	v_cmp_eq_u32_sdwa s[2:3], v8, v15 src0_sel:WORD_0 src1_sel:DWORD
	v_cndmask_b32_e64 v42, v14, v8, s[2:3]
; %bb.480:                              ;   in Loop: Header=BB364_324 Depth=1
	s_or_b64 exec, exec, s[16:17]
	v_lshrrev_b16_e32 v8, 8, v6
	v_cmp_ne_u16_e64 s[2:3], 0, v8
	v_mov_b32_e32 v14, 0
	s_and_saveexec_b64 s[16:17], s[2:3]
	s_cbranch_execz .LBB364_486
; %bb.481:                              ;   in Loop: Header=BB364_324 Depth=1
	v_cmp_ne_u16_e64 s[2:3], s34, v8
	v_bfrev_b32_e32 v14, 1
	s_and_saveexec_b64 s[18:19], s[2:3]
	s_cbranch_execz .LBB364_485
; %bb.482:                              ;   in Loop: Header=BB364_324 Depth=1
	v_and_b32_e32 v43, 0x7f, v8
	v_cmp_ne_u32_e64 s[2:3], s35, v43
	v_mov_b32_e32 v14, 0x7f800001
	s_and_saveexec_b64 s[20:21], s[2:3]
	s_cbranch_execz .LBB364_484
; %bb.483:                              ;   in Loop: Header=BB364_324 Depth=1
	v_and_b32_e32 v14, 7, v8
	v_ffbh_u32_e32 v44, v14
	v_min_u32_e32 v47, 32, v44
	v_subrev_u32_e32 v44, 28, v47
	v_lshlrev_b64 v[44:45], v44, v[8:9]
	v_lshrrev_b32_e32 v46, 3, v43
	v_sub_u32_e32 v8, 29, v47
	v_and_b32_e32 v44, 7, v44
	v_cmp_gt_u32_e64 s[2:3], 8, v43
	v_cndmask_b32_e64 v8, v46, v8, s[2:3]
	v_cndmask_b32_e64 v14, v14, v44, s[2:3]
	v_lshlrev_b32_e32 v43, 16, v6
	v_lshlrev_b32_e32 v14, 20, v14
	v_and_b32_e32 v43, 0x80000000, v43
	v_lshl_add_u32 v8, v8, 23, v11
	v_or3_b32 v14, v43, v8, v14
.LBB364_484:                            ;   in Loop: Header=BB364_324 Depth=1
	s_or_b64 exec, exec, s[20:21]
.LBB364_485:                            ;   in Loop: Header=BB364_324 Depth=1
	s_or_b64 exec, exec, s[18:19]
.LBB364_486:                            ;   in Loop: Header=BB364_324 Depth=1
	s_or_b64 exec, exec, s[16:17]
	v_mul_f32_e32 v8, s28, v14
	v_and_b32_e32 v14, 0x7f800000, v8
	v_cmp_ne_u32_e64 s[2:3], s30, v14
                                        ; implicit-def: $vgpr43
	s_and_saveexec_b64 s[16:17], s[2:3]
	s_xor_b64 s[2:3], exec, s[16:17]
; %bb.487:                              ;   in Loop: Header=BB364_324 Depth=1
	v_bfe_u32 v14, v8, 16, 1
	v_add3_u32 v43, v8, v14, s31
                                        ; implicit-def: $vgpr8
; %bb.488:                              ;   in Loop: Header=BB364_324 Depth=1
	s_andn2_saveexec_b64 s[16:17], s[2:3]
; %bb.489:                              ;   in Loop: Header=BB364_324 Depth=1
	v_or_b32_e32 v14, 0x10000, v8
	v_cmp_eq_u32_sdwa s[2:3], v8, v15 src0_sel:WORD_0 src1_sel:DWORD
	v_cndmask_b32_e64 v43, v14, v8, s[2:3]
; %bb.490:                              ;   in Loop: Header=BB364_324 Depth=1
	s_or_b64 exec, exec, s[16:17]
	v_lshrrev_b32_e32 v8, 16, v6
	v_cmp_ne_u16_sdwa s[2:3], v8, v15 src0_sel:BYTE_0 src1_sel:DWORD
	v_mov_b32_e32 v14, 0
	s_and_saveexec_b64 s[16:17], s[2:3]
	s_cbranch_execz .LBB364_496
; %bb.491:                              ;   in Loop: Header=BB364_324 Depth=1
	v_cmp_ne_u16_sdwa s[2:3], v8, s34 src0_sel:BYTE_0 src1_sel:DWORD
	v_bfrev_b32_e32 v14, 1
	s_and_saveexec_b64 s[18:19], s[2:3]
	s_cbranch_execz .LBB364_495
; %bb.492:                              ;   in Loop: Header=BB364_324 Depth=1
	v_bfe_u32 v44, v6, 16, 7
	v_cmp_ne_u32_e64 s[2:3], s35, v44
	v_mov_b32_e32 v14, 0x7f800001
	s_and_saveexec_b64 s[20:21], s[2:3]
	s_cbranch_execz .LBB364_494
; %bb.493:                              ;   in Loop: Header=BB364_324 Depth=1
	v_and_b32_e32 v14, 7, v8
	v_ffbh_u32_e32 v46, v14
	v_min_u32_e32 v48, 32, v46
	v_subrev_u32_e32 v46, 28, v48
	v_lshlrev_b64 v[46:47], v46, v[8:9]
	v_lshrrev_b32_e32 v45, 3, v44
	v_sub_u32_e32 v47, 29, v48
	v_and_b32_e32 v46, 7, v46
	v_cmp_gt_u32_e64 s[2:3], 8, v44
	v_cndmask_b32_e64 v44, v45, v47, s[2:3]
	v_cndmask_b32_e64 v14, v14, v46, s[2:3]
	v_lshlrev_b32_e32 v8, 24, v8
	v_lshlrev_b32_e32 v14, 20, v14
	v_and_b32_e32 v8, 0x80000000, v8
	v_lshl_add_u32 v44, v44, 23, v11
	v_or3_b32 v14, v8, v44, v14
.LBB364_494:                            ;   in Loop: Header=BB364_324 Depth=1
	s_or_b64 exec, exec, s[20:21]
.LBB364_495:                            ;   in Loop: Header=BB364_324 Depth=1
	s_or_b64 exec, exec, s[18:19]
.LBB364_496:                            ;   in Loop: Header=BB364_324 Depth=1
	s_or_b64 exec, exec, s[16:17]
	v_mul_f32_e32 v8, s28, v14
	v_and_b32_e32 v14, 0x7f800000, v8
	v_cmp_ne_u32_e64 s[2:3], s30, v14
                                        ; implicit-def: $vgpr44
	s_and_saveexec_b64 s[16:17], s[2:3]
	s_xor_b64 s[2:3], exec, s[16:17]
; %bb.497:                              ;   in Loop: Header=BB364_324 Depth=1
	v_bfe_u32 v14, v8, 16, 1
	v_add3_u32 v44, v8, v14, s31
                                        ; implicit-def: $vgpr8
; %bb.498:                              ;   in Loop: Header=BB364_324 Depth=1
	s_andn2_saveexec_b64 s[16:17], s[2:3]
; %bb.499:                              ;   in Loop: Header=BB364_324 Depth=1
	v_or_b32_e32 v14, 0x10000, v8
	v_cmp_eq_u32_sdwa s[2:3], v8, v15 src0_sel:WORD_0 src1_sel:DWORD
	v_cndmask_b32_e64 v44, v14, v8, s[2:3]
; %bb.500:                              ;   in Loop: Header=BB364_324 Depth=1
	s_or_b64 exec, exec, s[16:17]
	v_cmp_lt_u32_e64 s[2:3], s13, v6
	v_mov_b32_e32 v14, 0
	s_and_saveexec_b64 s[16:17], s[2:3]
	s_cbranch_execz .LBB364_506
; %bb.501:                              ;   in Loop: Header=BB364_324 Depth=1
	v_lshrrev_b32_e32 v8, 24, v6
	v_cmp_ne_u32_e64 s[2:3], s34, v8
	v_bfrev_b32_e32 v14, 1
	s_and_saveexec_b64 s[18:19], s[2:3]
	s_cbranch_execz .LBB364_505
; %bb.502:                              ;   in Loop: Header=BB364_324 Depth=1
	v_bfe_u32 v45, v6, 24, 7
	v_cmp_ne_u32_e64 s[2:3], s35, v45
	v_mov_b32_e32 v14, 0x7f800001
	s_and_saveexec_b64 s[20:21], s[2:3]
	s_cbranch_execz .LBB364_504
; %bb.503:                              ;   in Loop: Header=BB364_324 Depth=1
	v_and_b32_e32 v14, 7, v8
	v_ffbh_u32_e32 v46, v14
	v_min_u32_e32 v49, 32, v46
	v_subrev_u32_e32 v46, 28, v49
	v_lshlrev_b64 v[46:47], v46, v[8:9]
	v_lshrrev_b32_e32 v48, 3, v45
	v_sub_u32_e32 v47, 29, v49
	v_and_b32_e32 v46, 7, v46
	v_cmp_gt_u32_e64 s[2:3], 8, v45
	v_cndmask_b32_e64 v45, v48, v47, s[2:3]
	v_cndmask_b32_e64 v14, v14, v46, s[2:3]
	v_lshlrev_b32_e32 v8, 24, v8
	v_lshlrev_b32_e32 v14, 20, v14
	v_and_b32_e32 v8, 0x80000000, v8
	v_lshl_add_u32 v45, v45, 23, v11
	v_or3_b32 v14, v8, v45, v14
.LBB364_504:                            ;   in Loop: Header=BB364_324 Depth=1
	s_or_b64 exec, exec, s[20:21]
.LBB364_505:                            ;   in Loop: Header=BB364_324 Depth=1
	s_or_b64 exec, exec, s[18:19]
.LBB364_506:                            ;   in Loop: Header=BB364_324 Depth=1
	s_or_b64 exec, exec, s[16:17]
	v_mul_f32_e32 v8, s28, v14
	v_and_b32_e32 v14, 0x7f800000, v8
	v_cmp_ne_u32_e64 s[2:3], s30, v14
                                        ; implicit-def: $vgpr45
	s_and_saveexec_b64 s[16:17], s[2:3]
	s_xor_b64 s[2:3], exec, s[16:17]
; %bb.507:                              ;   in Loop: Header=BB364_324 Depth=1
	v_bfe_u32 v14, v8, 16, 1
	v_add3_u32 v45, v8, v14, s31
                                        ; implicit-def: $vgpr8
; %bb.508:                              ;   in Loop: Header=BB364_324 Depth=1
	s_andn2_saveexec_b64 s[16:17], s[2:3]
; %bb.509:                              ;   in Loop: Header=BB364_324 Depth=1
	v_or_b32_e32 v14, 0x10000, v8
	v_cmp_eq_u32_sdwa s[2:3], v8, v15 src0_sel:WORD_0 src1_sel:DWORD
	v_cndmask_b32_e64 v45, v14, v8, s[2:3]
; %bb.510:                              ;   in Loop: Header=BB364_324 Depth=1
	s_or_b64 exec, exec, s[16:17]
	v_mov_b32_e32 v14, v7
	v_cmp_ne_u16_sdwa s[2:3], v7, v15 src0_sel:BYTE_0 src1_sel:DWORD
	v_mov_b32_e32 v8, 0
	s_and_saveexec_b64 s[16:17], s[2:3]
	s_cbranch_execz .LBB364_516
; %bb.511:                              ;   in Loop: Header=BB364_324 Depth=1
	v_cmp_ne_u16_sdwa s[2:3], v7, s34 src0_sel:BYTE_0 src1_sel:DWORD
	v_bfrev_b32_e32 v8, 1
	s_and_saveexec_b64 s[18:19], s[2:3]
	s_cbranch_execz .LBB364_515
; %bb.512:                              ;   in Loop: Header=BB364_324 Depth=1
	v_and_b32_e32 v46, 0x7f, v7
	v_cmp_ne_u32_e64 s[2:3], s35, v46
	v_mov_b32_e32 v8, 0x7f800001
	s_and_saveexec_b64 s[20:21], s[2:3]
	s_cbranch_execz .LBB364_514
; %bb.513:                              ;   in Loop: Header=BB364_324 Depth=1
	v_and_b32_e32 v8, 7, v7
	v_ffbh_u32_e32 v8, v8
	v_min_u32_e32 v8, 32, v8
	v_subrev_u32_e32 v48, 28, v8
	v_cmp_gt_u32_e64 s[2:3], 8, v46
	v_lshrrev_b32_e32 v47, 3, v46
	v_sub_u32_e32 v8, 29, v8
	v_cndmask_b32_e64 v46, 0, v48, s[2:3]
	v_cndmask_b32_e64 v8, v47, v8, s[2:3]
	v_lshlrev_b64 v[46:47], v46, v[14:15]
	v_lshlrev_b32_e32 v46, 20, v46
	v_lshlrev_b32_e32 v47, 24, v14
	v_and_b32_e32 v46, 0x700000, v46
	v_and_b32_e32 v47, 0x80000000, v47
	v_lshl_add_u32 v8, v8, 23, v11
	v_or3_b32 v8, v47, v8, v46
.LBB364_514:                            ;   in Loop: Header=BB364_324 Depth=1
	s_or_b64 exec, exec, s[20:21]
.LBB364_515:                            ;   in Loop: Header=BB364_324 Depth=1
	s_or_b64 exec, exec, s[18:19]
.LBB364_516:                            ;   in Loop: Header=BB364_324 Depth=1
	s_or_b64 exec, exec, s[16:17]
	v_mul_f32_e32 v8, s28, v8
	v_and_b32_e32 v46, 0x7f800000, v8
	v_cmp_ne_u32_e64 s[2:3], s30, v46
                                        ; implicit-def: $vgpr46
	s_and_saveexec_b64 s[16:17], s[2:3]
	s_xor_b64 s[2:3], exec, s[16:17]
; %bb.517:                              ;   in Loop: Header=BB364_324 Depth=1
	v_bfe_u32 v46, v8, 16, 1
	v_add3_u32 v46, v8, v46, s31
                                        ; implicit-def: $vgpr8
; %bb.518:                              ;   in Loop: Header=BB364_324 Depth=1
	s_andn2_saveexec_b64 s[16:17], s[2:3]
; %bb.519:                              ;   in Loop: Header=BB364_324 Depth=1
	v_or_b32_e32 v46, 0x10000, v8
	v_cmp_eq_u32_sdwa s[2:3], v8, v15 src0_sel:WORD_0 src1_sel:DWORD
	v_cndmask_b32_e64 v46, v46, v8, s[2:3]
; %bb.520:                              ;   in Loop: Header=BB364_324 Depth=1
	s_or_b64 exec, exec, s[16:17]
	v_lshrrev_b16_e32 v8, 8, v14
	v_cmp_ne_u16_e64 s[2:3], 0, v8
	v_mov_b32_e32 v47, 0
	s_and_saveexec_b64 s[16:17], s[2:3]
	s_cbranch_execz .LBB364_526
; %bb.521:                              ;   in Loop: Header=BB364_324 Depth=1
	v_cmp_ne_u16_e64 s[2:3], s34, v8
	v_bfrev_b32_e32 v47, 1
	s_and_saveexec_b64 s[18:19], s[2:3]
	s_cbranch_execz .LBB364_525
; %bb.522:                              ;   in Loop: Header=BB364_324 Depth=1
	v_and_b32_e32 v48, 0x7f, v8
	v_cmp_ne_u32_e64 s[2:3], s35, v48
	v_mov_b32_e32 v47, 0x7f800001
	s_and_saveexec_b64 s[20:21], s[2:3]
	s_cbranch_execz .LBB364_524
; %bb.523:                              ;   in Loop: Header=BB364_324 Depth=1
	v_and_b32_e32 v47, 7, v8
	v_ffbh_u32_e32 v50, v47
	v_min_u32_e32 v52, 32, v50
	v_subrev_u32_e32 v50, 28, v52
	v_lshlrev_b64 v[50:51], v50, v[8:9]
	v_lshrrev_b32_e32 v49, 3, v48
	v_sub_u32_e32 v8, 29, v52
	v_and_b32_e32 v50, 7, v50
	v_cmp_gt_u32_e64 s[2:3], 8, v48
	v_cndmask_b32_e64 v8, v49, v8, s[2:3]
	v_cndmask_b32_e64 v47, v47, v50, s[2:3]
	v_lshlrev_b32_e32 v14, 16, v14
	v_lshlrev_b32_e32 v47, 20, v47
	v_and_b32_e32 v14, 0x80000000, v14
	v_lshl_add_u32 v8, v8, 23, v11
	v_or3_b32 v47, v14, v8, v47
.LBB364_524:                            ;   in Loop: Header=BB364_324 Depth=1
	s_or_b64 exec, exec, s[20:21]
.LBB364_525:                            ;   in Loop: Header=BB364_324 Depth=1
	s_or_b64 exec, exec, s[18:19]
.LBB364_526:                            ;   in Loop: Header=BB364_324 Depth=1
	s_or_b64 exec, exec, s[16:17]
	v_mul_f32_e32 v8, s28, v47
	v_and_b32_e32 v14, 0x7f800000, v8
	v_cmp_ne_u32_e64 s[2:3], s30, v14
                                        ; implicit-def: $vgpr14
	s_and_saveexec_b64 s[16:17], s[2:3]
	s_xor_b64 s[2:3], exec, s[16:17]
; %bb.527:                              ;   in Loop: Header=BB364_324 Depth=1
	v_bfe_u32 v14, v8, 16, 1
	v_add3_u32 v14, v8, v14, s31
                                        ; implicit-def: $vgpr8
; %bb.528:                              ;   in Loop: Header=BB364_324 Depth=1
	s_andn2_saveexec_b64 s[16:17], s[2:3]
; %bb.529:                              ;   in Loop: Header=BB364_324 Depth=1
	v_or_b32_e32 v14, 0x10000, v8
	v_cmp_eq_u32_sdwa s[2:3], v8, v15 src0_sel:WORD_0 src1_sel:DWORD
	v_cndmask_b32_e64 v14, v14, v8, s[2:3]
; %bb.530:                              ;   in Loop: Header=BB364_324 Depth=1
	s_or_b64 exec, exec, s[16:17]
	v_lshrrev_b32_e32 v8, 16, v7
	v_cmp_ne_u16_sdwa s[2:3], v8, v15 src0_sel:BYTE_0 src1_sel:DWORD
	v_mov_b32_e32 v47, 0
	s_and_saveexec_b64 s[16:17], s[2:3]
	s_cbranch_execz .LBB364_536
; %bb.531:                              ;   in Loop: Header=BB364_324 Depth=1
	v_cmp_ne_u16_sdwa s[2:3], v8, s34 src0_sel:BYTE_0 src1_sel:DWORD
	v_bfrev_b32_e32 v47, 1
	s_and_saveexec_b64 s[18:19], s[2:3]
	s_cbranch_execz .LBB364_535
; %bb.532:                              ;   in Loop: Header=BB364_324 Depth=1
	v_bfe_u32 v48, v7, 16, 7
	v_cmp_ne_u32_e64 s[2:3], s35, v48
	v_mov_b32_e32 v47, 0x7f800001
	s_and_saveexec_b64 s[20:21], s[2:3]
	s_cbranch_execz .LBB364_534
; %bb.533:                              ;   in Loop: Header=BB364_324 Depth=1
	v_and_b32_e32 v47, 7, v8
	v_ffbh_u32_e32 v50, v47
	v_min_u32_e32 v52, 32, v50
	v_subrev_u32_e32 v50, 28, v52
	v_lshlrev_b64 v[50:51], v50, v[8:9]
	v_lshrrev_b32_e32 v49, 3, v48
	v_sub_u32_e32 v51, 29, v52
	v_and_b32_e32 v50, 7, v50
	v_cmp_gt_u32_e64 s[2:3], 8, v48
	v_cndmask_b32_e64 v48, v49, v51, s[2:3]
	v_cndmask_b32_e64 v47, v47, v50, s[2:3]
	v_lshlrev_b32_e32 v8, 24, v8
	v_lshlrev_b32_e32 v47, 20, v47
	v_and_b32_e32 v8, 0x80000000, v8
	v_lshl_add_u32 v48, v48, 23, v11
	v_or3_b32 v47, v8, v48, v47
.LBB364_534:                            ;   in Loop: Header=BB364_324 Depth=1
	s_or_b64 exec, exec, s[20:21]
.LBB364_535:                            ;   in Loop: Header=BB364_324 Depth=1
	s_or_b64 exec, exec, s[18:19]
.LBB364_536:                            ;   in Loop: Header=BB364_324 Depth=1
	s_or_b64 exec, exec, s[16:17]
	v_mul_f32_e32 v47, s28, v47
	v_and_b32_e32 v8, 0x7f800000, v47
	v_cmp_ne_u32_e64 s[2:3], s30, v8
                                        ; implicit-def: $vgpr8
	s_and_saveexec_b64 s[16:17], s[2:3]
	s_xor_b64 s[2:3], exec, s[16:17]
; %bb.537:                              ;   in Loop: Header=BB364_324 Depth=1
	v_bfe_u32 v8, v47, 16, 1
	v_add3_u32 v8, v47, v8, s31
                                        ; implicit-def: $vgpr47
; %bb.538:                              ;   in Loop: Header=BB364_324 Depth=1
	s_andn2_saveexec_b64 s[16:17], s[2:3]
; %bb.539:                              ;   in Loop: Header=BB364_324 Depth=1
	v_or_b32_e32 v8, 0x10000, v47
	v_cmp_eq_u32_sdwa s[2:3], v47, v15 src0_sel:WORD_0 src1_sel:DWORD
	v_cndmask_b32_e64 v8, v8, v47, s[2:3]
; %bb.540:                              ;   in Loop: Header=BB364_324 Depth=1
	s_or_b64 exec, exec, s[16:17]
	v_cmp_lt_u64_e64 s[2:3], s[12:13], v[6:7]
	v_mov_b32_e32 v47, 0
	s_and_saveexec_b64 s[16:17], s[2:3]
	s_cbranch_execz .LBB364_546
; %bb.541:                              ;   in Loop: Header=BB364_324 Depth=1
	v_lshrrev_b32_e32 v6, 24, v7
	v_cmp_ne_u32_e64 s[2:3], s34, v6
	v_bfrev_b32_e32 v47, 1
	s_and_saveexec_b64 s[18:19], s[2:3]
	s_cbranch_execz .LBB364_545
; %bb.542:                              ;   in Loop: Header=BB364_324 Depth=1
	v_bfe_u32 v7, v7, 24, 7
	v_cmp_ne_u32_e64 s[2:3], s35, v7
	v_mov_b32_e32 v47, 0x7f800001
	s_and_saveexec_b64 s[20:21], s[2:3]
	s_cbranch_execz .LBB364_544
; %bb.543:                              ;   in Loop: Header=BB364_324 Depth=1
	v_and_b32_e32 v47, 7, v6
	v_ffbh_u32_e32 v48, v47
	v_min_u32_e32 v51, 32, v48
	v_subrev_u32_e32 v48, 28, v51
	v_lshlrev_b64 v[48:49], v48, v[6:7]
	v_lshrrev_b32_e32 v50, 3, v7
	v_sub_u32_e32 v49, 29, v51
	v_and_b32_e32 v48, 7, v48
	v_cmp_gt_u32_e64 s[2:3], 8, v7
	v_cndmask_b32_e64 v7, v50, v49, s[2:3]
	v_cndmask_b32_e64 v47, v47, v48, s[2:3]
	v_lshlrev_b32_e32 v6, 24, v6
	v_lshlrev_b32_e32 v47, 20, v47
	v_and_b32_e32 v6, 0x80000000, v6
	v_lshl_add_u32 v7, v7, 23, v11
	v_or3_b32 v47, v6, v7, v47
.LBB364_544:                            ;   in Loop: Header=BB364_324 Depth=1
	s_or_b64 exec, exec, s[20:21]
.LBB364_545:                            ;   in Loop: Header=BB364_324 Depth=1
	s_or_b64 exec, exec, s[18:19]
.LBB364_546:                            ;   in Loop: Header=BB364_324 Depth=1
	s_or_b64 exec, exec, s[16:17]
	v_mul_f32_e32 v7, s28, v47
	v_and_b32_e32 v6, 0x7f800000, v7
	v_cmp_ne_u32_e64 s[2:3], s30, v6
                                        ; implicit-def: $vgpr6
	s_and_saveexec_b64 s[16:17], s[2:3]
	s_xor_b64 s[2:3], exec, s[16:17]
; %bb.547:                              ;   in Loop: Header=BB364_324 Depth=1
	v_bfe_u32 v6, v7, 16, 1
	v_add3_u32 v6, v7, v6, s31
                                        ; implicit-def: $vgpr7
; %bb.548:                              ;   in Loop: Header=BB364_324 Depth=1
	s_andn2_saveexec_b64 s[16:17], s[2:3]
; %bb.549:                              ;   in Loop: Header=BB364_324 Depth=1
	v_or_b32_e32 v6, 0x10000, v7
	v_cmp_eq_u32_sdwa s[2:3], v7, v15 src0_sel:WORD_0 src1_sel:DWORD
	v_cndmask_b32_e64 v6, v6, v7, s[2:3]
; %bb.550:                              ;   in Loop: Header=BB364_324 Depth=1
	s_or_b64 exec, exec, s[16:17]
	v_lshrrev_b32_e32 v47, 16, v14
	v_lshrrev_b32_e32 v46, 16, v46
	;; [unrolled: 1-line block ×8, first 2 shown]
	s_and_saveexec_b64 s[16:17], s[0:1]
	s_cbranch_execz .LBB364_552
; %bb.551:                              ;   in Loop: Header=BB364_324 Depth=1
	v_cmp_gt_i32_e64 s[2:3], s29, v33
	v_add_u32_e32 v8, -6, v24
	v_cndmask_b32_e64 v7, 0, v7, s[2:3]
	v_cmp_gt_i32_e64 s[2:3], s29, v8
	v_add_u32_e32 v8, -5, v24
	v_cndmask_b32_e64 v43, 0, v43, s[2:3]
	;; [unrolled: 3-line block ×6, first 2 shown]
	v_cmp_gt_i32_e64 s[2:3], s29, v8
	v_cndmask_b32_e64 v14, 0, v14, s[2:3]
	v_cmp_gt_i32_e64 s[2:3], s29, v24
	v_cndmask_b32_e64 v6, 0, v6, s[2:3]
.LBB364_552:                            ;   in Loop: Header=BB364_324 Depth=1
	s_or_b64 exec, exec, s[16:17]
	v_lshlrev_b32_e32 v7, 16, v7
	v_mul_f32_e32 v8, v34, v7
	v_and_b32_e32 v7, 0x7f800000, v8
	v_cmp_ne_u32_e64 s[2:3], s30, v7
                                        ; implicit-def: $vgpr7
	s_and_saveexec_b64 s[16:17], s[2:3]
	s_xor_b64 s[2:3], exec, s[16:17]
; %bb.553:                              ;   in Loop: Header=BB364_324 Depth=1
	v_bfe_u32 v7, v8, 16, 1
	v_add3_u32 v7, v8, v7, s31
                                        ; implicit-def: $vgpr8
; %bb.554:                              ;   in Loop: Header=BB364_324 Depth=1
	s_andn2_saveexec_b64 s[16:17], s[2:3]
; %bb.555:                              ;   in Loop: Header=BB364_324 Depth=1
	v_or_b32_e32 v7, 0x10000, v8
	v_cmp_eq_u32_sdwa s[2:3], v8, v15 src0_sel:WORD_0 src1_sel:DWORD
	v_cndmask_b32_e64 v7, v7, v8, s[2:3]
; %bb.556:                              ;   in Loop: Header=BB364_324 Depth=1
	s_or_b64 exec, exec, s[16:17]
	v_lshlrev_b32_e32 v8, 16, v43
	v_mul_f32_e32 v42, v35, v8
	v_and_b32_e32 v8, 0x7f800000, v42
	v_cmp_ne_u32_e64 s[2:3], s30, v8
                                        ; implicit-def: $vgpr8
	s_and_saveexec_b64 s[16:17], s[2:3]
	s_xor_b64 s[2:3], exec, s[16:17]
; %bb.557:                              ;   in Loop: Header=BB364_324 Depth=1
	v_bfe_u32 v8, v42, 16, 1
	v_add3_u32 v8, v42, v8, s31
                                        ; implicit-def: $vgpr42
; %bb.558:                              ;   in Loop: Header=BB364_324 Depth=1
	s_andn2_saveexec_b64 s[16:17], s[2:3]
; %bb.559:                              ;   in Loop: Header=BB364_324 Depth=1
	v_or_b32_e32 v8, 0x10000, v42
	v_cmp_eq_u32_sdwa s[2:3], v42, v15 src0_sel:WORD_0 src1_sel:DWORD
	v_cndmask_b32_e64 v8, v8, v42, s[2:3]
; %bb.560:                              ;   in Loop: Header=BB364_324 Depth=1
	s_or_b64 exec, exec, s[16:17]
	v_lshlrev_b32_e32 v42, 16, v44
	v_mul_f32_e32 v43, v36, v42
	v_and_b32_e32 v42, 0x7f800000, v43
	v_cmp_ne_u32_e64 s[2:3], s30, v42
                                        ; implicit-def: $vgpr42
	s_and_saveexec_b64 s[16:17], s[2:3]
	s_xor_b64 s[2:3], exec, s[16:17]
; %bb.561:                              ;   in Loop: Header=BB364_324 Depth=1
	v_bfe_u32 v42, v43, 16, 1
	v_add3_u32 v42, v43, v42, s31
                                        ; implicit-def: $vgpr43
; %bb.562:                              ;   in Loop: Header=BB364_324 Depth=1
	s_andn2_saveexec_b64 s[16:17], s[2:3]
; %bb.563:                              ;   in Loop: Header=BB364_324 Depth=1
	v_or_b32_e32 v42, 0x10000, v43
	v_cmp_eq_u32_sdwa s[2:3], v43, v15 src0_sel:WORD_0 src1_sel:DWORD
	v_cndmask_b32_e64 v42, v42, v43, s[2:3]
; %bb.564:                              ;   in Loop: Header=BB364_324 Depth=1
	s_or_b64 exec, exec, s[16:17]
	v_lshlrev_b32_e32 v43, 16, v45
	v_mul_f32_e32 v44, v37, v43
	v_and_b32_e32 v43, 0x7f800000, v44
	v_cmp_ne_u32_e64 s[2:3], s30, v43
                                        ; implicit-def: $vgpr43
	s_and_saveexec_b64 s[16:17], s[2:3]
	s_xor_b64 s[2:3], exec, s[16:17]
; %bb.565:                              ;   in Loop: Header=BB364_324 Depth=1
	v_bfe_u32 v43, v44, 16, 1
	v_add3_u32 v43, v44, v43, s31
                                        ; implicit-def: $vgpr44
; %bb.566:                              ;   in Loop: Header=BB364_324 Depth=1
	s_andn2_saveexec_b64 s[16:17], s[2:3]
; %bb.567:                              ;   in Loop: Header=BB364_324 Depth=1
	v_or_b32_e32 v43, 0x10000, v44
	v_cmp_eq_u32_sdwa s[2:3], v44, v15 src0_sel:WORD_0 src1_sel:DWORD
	v_cndmask_b32_e64 v43, v43, v44, s[2:3]
; %bb.568:                              ;   in Loop: Header=BB364_324 Depth=1
	s_or_b64 exec, exec, s[16:17]
	v_lshlrev_b32_e32 v44, 16, v46
	v_mul_f32_e32 v45, v38, v44
	v_and_b32_e32 v44, 0x7f800000, v45
	v_cmp_ne_u32_e64 s[2:3], s30, v44
                                        ; implicit-def: $vgpr44
	s_and_saveexec_b64 s[16:17], s[2:3]
	s_xor_b64 s[2:3], exec, s[16:17]
; %bb.569:                              ;   in Loop: Header=BB364_324 Depth=1
	v_bfe_u32 v44, v45, 16, 1
	v_add3_u32 v44, v45, v44, s31
                                        ; implicit-def: $vgpr45
; %bb.570:                              ;   in Loop: Header=BB364_324 Depth=1
	s_andn2_saveexec_b64 s[16:17], s[2:3]
; %bb.571:                              ;   in Loop: Header=BB364_324 Depth=1
	v_or_b32_e32 v44, 0x10000, v45
	v_cmp_eq_u32_sdwa s[2:3], v45, v15 src0_sel:WORD_0 src1_sel:DWORD
	v_cndmask_b32_e64 v44, v44, v45, s[2:3]
; %bb.572:                              ;   in Loop: Header=BB364_324 Depth=1
	s_or_b64 exec, exec, s[16:17]
	v_lshlrev_b32_e32 v45, 16, v47
	v_mul_f32_e32 v46, v39, v45
	v_and_b32_e32 v45, 0x7f800000, v46
	v_cmp_ne_u32_e64 s[2:3], s30, v45
                                        ; implicit-def: $vgpr45
	s_and_saveexec_b64 s[16:17], s[2:3]
	s_xor_b64 s[2:3], exec, s[16:17]
; %bb.573:                              ;   in Loop: Header=BB364_324 Depth=1
	v_bfe_u32 v45, v46, 16, 1
	v_add3_u32 v45, v46, v45, s31
                                        ; implicit-def: $vgpr46
; %bb.574:                              ;   in Loop: Header=BB364_324 Depth=1
	s_andn2_saveexec_b64 s[16:17], s[2:3]
; %bb.575:                              ;   in Loop: Header=BB364_324 Depth=1
	v_or_b32_e32 v45, 0x10000, v46
	v_cmp_eq_u32_sdwa s[2:3], v46, v15 src0_sel:WORD_0 src1_sel:DWORD
	v_cndmask_b32_e64 v45, v45, v46, s[2:3]
; %bb.576:                              ;   in Loop: Header=BB364_324 Depth=1
	s_or_b64 exec, exec, s[16:17]
	v_lshlrev_b32_e32 v14, 16, v14
	v_mul_f32_e32 v14, v40, v14
	v_and_b32_e32 v46, 0x7f800000, v14
	v_cmp_ne_u32_e64 s[2:3], s30, v46
                                        ; implicit-def: $vgpr46
	s_and_saveexec_b64 s[16:17], s[2:3]
	s_xor_b64 s[2:3], exec, s[16:17]
; %bb.577:                              ;   in Loop: Header=BB364_324 Depth=1
	v_bfe_u32 v46, v14, 16, 1
	v_add3_u32 v46, v14, v46, s31
                                        ; implicit-def: $vgpr14
; %bb.578:                              ;   in Loop: Header=BB364_324 Depth=1
	s_andn2_saveexec_b64 s[16:17], s[2:3]
; %bb.579:                              ;   in Loop: Header=BB364_324 Depth=1
	v_or_b32_e32 v46, 0x10000, v14
	v_cmp_eq_u32_sdwa s[2:3], v14, v15 src0_sel:WORD_0 src1_sel:DWORD
	v_cndmask_b32_e64 v46, v46, v14, s[2:3]
; %bb.580:                              ;   in Loop: Header=BB364_324 Depth=1
	s_or_b64 exec, exec, s[16:17]
	v_lshlrev_b32_e32 v6, 16, v6
	v_mul_f32_e32 v6, v41, v6
	v_and_b32_e32 v14, 0x7f800000, v6
	v_cmp_ne_u32_e64 s[2:3], s30, v14
                                        ; implicit-def: $vgpr47
	s_and_saveexec_b64 s[16:17], s[2:3]
	s_xor_b64 s[2:3], exec, s[16:17]
; %bb.581:                              ;   in Loop: Header=BB364_324 Depth=1
	v_bfe_u32 v14, v6, 16, 1
	v_add3_u32 v47, v6, v14, s31
                                        ; implicit-def: $vgpr6
; %bb.582:                              ;   in Loop: Header=BB364_324 Depth=1
	s_andn2_saveexec_b64 s[16:17], s[2:3]
; %bb.583:                              ;   in Loop: Header=BB364_324 Depth=1
	v_or_b32_e32 v14, 0x10000, v6
	v_cmp_eq_u32_sdwa s[2:3], v6, v15 src0_sel:WORD_0 src1_sel:DWORD
	v_cndmask_b32_e64 v47, v14, v6, s[2:3]
; %bb.584:                              ;   in Loop: Header=BB364_324 Depth=1
	s_or_b64 exec, exec, s[16:17]
	global_load_dwordx2 v[4:5], v[4:5], off offset:1024
	v_mov_b32_e32 v6, 0
	s_waitcnt vmcnt(0)
	v_cmp_ne_u16_sdwa s[2:3], v4, v15 src0_sel:BYTE_0 src1_sel:DWORD
	s_and_saveexec_b64 s[16:17], s[2:3]
	s_cbranch_execz .LBB364_590
; %bb.585:                              ;   in Loop: Header=BB364_324 Depth=1
	v_cmp_ne_u16_sdwa s[2:3], v4, s34 src0_sel:BYTE_0 src1_sel:DWORD
	v_bfrev_b32_e32 v6, 1
	s_and_saveexec_b64 s[18:19], s[2:3]
	s_cbranch_execz .LBB364_589
; %bb.586:                              ;   in Loop: Header=BB364_324 Depth=1
	v_and_b32_e32 v14, 0x7f, v4
	v_cmp_ne_u32_e64 s[2:3], s35, v14
	v_mov_b32_e32 v6, 0x7f800001
	s_and_saveexec_b64 s[20:21], s[2:3]
	s_cbranch_execz .LBB364_588
; %bb.587:                              ;   in Loop: Header=BB364_324 Depth=1
	v_and_b32_e32 v6, 7, v4
	v_ffbh_u32_e32 v6, v6
	v_min_u32_e32 v6, 32, v6
	v_subrev_u32_e32 v49, 28, v6
	v_cmp_gt_u32_e64 s[2:3], 8, v14
	v_lshrrev_b32_e32 v48, 3, v14
	v_sub_u32_e32 v6, 29, v6
	v_cndmask_b32_e64 v14, 0, v49, s[2:3]
	v_cndmask_b32_e64 v6, v48, v6, s[2:3]
	v_lshlrev_b64 v[48:49], v14, v[4:5]
	v_lshlrev_b32_e32 v14, 20, v48
	v_lshlrev_b32_e32 v48, 24, v4
	v_and_b32_e32 v14, 0x700000, v14
	v_and_b32_e32 v48, 0x80000000, v48
	v_lshl_add_u32 v6, v6, 23, v11
	v_or3_b32 v6, v48, v6, v14
.LBB364_588:                            ;   in Loop: Header=BB364_324 Depth=1
	s_or_b64 exec, exec, s[20:21]
.LBB364_589:                            ;   in Loop: Header=BB364_324 Depth=1
	s_or_b64 exec, exec, s[18:19]
.LBB364_590:                            ;   in Loop: Header=BB364_324 Depth=1
	s_or_b64 exec, exec, s[16:17]
	v_mul_f32_e32 v6, s28, v6
	v_and_b32_e32 v14, 0x7f800000, v6
	v_cmp_ne_u32_e64 s[2:3], s30, v14
                                        ; implicit-def: $vgpr48
	s_and_saveexec_b64 s[16:17], s[2:3]
	s_xor_b64 s[2:3], exec, s[16:17]
; %bb.591:                              ;   in Loop: Header=BB364_324 Depth=1
	v_bfe_u32 v14, v6, 16, 1
	v_add3_u32 v48, v6, v14, s31
                                        ; implicit-def: $vgpr6
; %bb.592:                              ;   in Loop: Header=BB364_324 Depth=1
	s_andn2_saveexec_b64 s[16:17], s[2:3]
; %bb.593:                              ;   in Loop: Header=BB364_324 Depth=1
	v_or_b32_e32 v14, 0x10000, v6
	v_cmp_eq_u32_sdwa s[2:3], v6, v15 src0_sel:WORD_0 src1_sel:DWORD
	v_cndmask_b32_e64 v48, v14, v6, s[2:3]
; %bb.594:                              ;   in Loop: Header=BB364_324 Depth=1
	s_or_b64 exec, exec, s[16:17]
	v_lshrrev_b16_e32 v6, 8, v4
	v_cmp_ne_u16_e64 s[2:3], 0, v6
	v_mov_b32_e32 v14, 0
	s_and_saveexec_b64 s[16:17], s[2:3]
	s_cbranch_execz .LBB364_600
; %bb.595:                              ;   in Loop: Header=BB364_324 Depth=1
	v_cmp_ne_u16_e64 s[2:3], s34, v6
	v_bfrev_b32_e32 v14, 1
	s_and_saveexec_b64 s[18:19], s[2:3]
	s_cbranch_execz .LBB364_599
; %bb.596:                              ;   in Loop: Header=BB364_324 Depth=1
	v_and_b32_e32 v49, 0x7f, v6
	v_cmp_ne_u32_e64 s[2:3], s35, v49
	v_mov_b32_e32 v14, 0x7f800001
	s_and_saveexec_b64 s[20:21], s[2:3]
	s_cbranch_execz .LBB364_598
; %bb.597:                              ;   in Loop: Header=BB364_324 Depth=1
	v_and_b32_e32 v14, 7, v6
	v_ffbh_u32_e32 v50, v14
	v_min_u32_e32 v53, 32, v50
	v_subrev_u32_e32 v50, 28, v53
	v_lshlrev_b64 v[50:51], v50, v[6:7]
	v_lshrrev_b32_e32 v52, 3, v49
	v_sub_u32_e32 v6, 29, v53
	v_and_b32_e32 v50, 7, v50
	v_cmp_gt_u32_e64 s[2:3], 8, v49
	v_cndmask_b32_e64 v6, v52, v6, s[2:3]
	v_cndmask_b32_e64 v14, v14, v50, s[2:3]
	v_lshlrev_b32_e32 v49, 16, v4
	v_lshlrev_b32_e32 v14, 20, v14
	v_and_b32_e32 v49, 0x80000000, v49
	v_lshl_add_u32 v6, v6, 23, v11
	v_or3_b32 v14, v49, v6, v14
.LBB364_598:                            ;   in Loop: Header=BB364_324 Depth=1
	s_or_b64 exec, exec, s[20:21]
.LBB364_599:                            ;   in Loop: Header=BB364_324 Depth=1
	s_or_b64 exec, exec, s[18:19]
.LBB364_600:                            ;   in Loop: Header=BB364_324 Depth=1
	s_or_b64 exec, exec, s[16:17]
	v_mul_f32_e32 v6, s28, v14
	v_and_b32_e32 v14, 0x7f800000, v6
	v_cmp_ne_u32_e64 s[2:3], s30, v14
                                        ; implicit-def: $vgpr49
	s_and_saveexec_b64 s[16:17], s[2:3]
	s_xor_b64 s[2:3], exec, s[16:17]
; %bb.601:                              ;   in Loop: Header=BB364_324 Depth=1
	v_bfe_u32 v14, v6, 16, 1
	v_add3_u32 v49, v6, v14, s31
                                        ; implicit-def: $vgpr6
; %bb.602:                              ;   in Loop: Header=BB364_324 Depth=1
	s_andn2_saveexec_b64 s[16:17], s[2:3]
; %bb.603:                              ;   in Loop: Header=BB364_324 Depth=1
	v_or_b32_e32 v14, 0x10000, v6
	v_cmp_eq_u32_sdwa s[2:3], v6, v15 src0_sel:WORD_0 src1_sel:DWORD
	v_cndmask_b32_e64 v49, v14, v6, s[2:3]
; %bb.604:                              ;   in Loop: Header=BB364_324 Depth=1
	s_or_b64 exec, exec, s[16:17]
	v_lshrrev_b32_e32 v6, 16, v4
	v_cmp_ne_u16_sdwa s[2:3], v6, v15 src0_sel:BYTE_0 src1_sel:DWORD
	v_mov_b32_e32 v14, 0
	s_and_saveexec_b64 s[16:17], s[2:3]
	s_cbranch_execz .LBB364_610
; %bb.605:                              ;   in Loop: Header=BB364_324 Depth=1
	v_cmp_ne_u16_sdwa s[2:3], v6, s34 src0_sel:BYTE_0 src1_sel:DWORD
	v_bfrev_b32_e32 v14, 1
	s_and_saveexec_b64 s[18:19], s[2:3]
	s_cbranch_execz .LBB364_609
; %bb.606:                              ;   in Loop: Header=BB364_324 Depth=1
	v_bfe_u32 v50, v4, 16, 7
	v_cmp_ne_u32_e64 s[2:3], s35, v50
	v_mov_b32_e32 v14, 0x7f800001
	s_and_saveexec_b64 s[20:21], s[2:3]
	s_cbranch_execz .LBB364_608
; %bb.607:                              ;   in Loop: Header=BB364_324 Depth=1
	v_and_b32_e32 v14, 7, v6
	v_ffbh_u32_e32 v52, v14
	v_min_u32_e32 v54, 32, v52
	v_subrev_u32_e32 v52, 28, v54
	v_lshlrev_b64 v[52:53], v52, v[6:7]
	v_lshrrev_b32_e32 v51, 3, v50
	v_sub_u32_e32 v53, 29, v54
	v_and_b32_e32 v52, 7, v52
	v_cmp_gt_u32_e64 s[2:3], 8, v50
	v_cndmask_b32_e64 v50, v51, v53, s[2:3]
	v_cndmask_b32_e64 v14, v14, v52, s[2:3]
	v_lshlrev_b32_e32 v6, 24, v6
	v_lshlrev_b32_e32 v14, 20, v14
	v_and_b32_e32 v6, 0x80000000, v6
	v_lshl_add_u32 v50, v50, 23, v11
	v_or3_b32 v14, v6, v50, v14
.LBB364_608:                            ;   in Loop: Header=BB364_324 Depth=1
	s_or_b64 exec, exec, s[20:21]
.LBB364_609:                            ;   in Loop: Header=BB364_324 Depth=1
	s_or_b64 exec, exec, s[18:19]
.LBB364_610:                            ;   in Loop: Header=BB364_324 Depth=1
	s_or_b64 exec, exec, s[16:17]
	v_mul_f32_e32 v6, s28, v14
	v_and_b32_e32 v14, 0x7f800000, v6
	v_cmp_ne_u32_e64 s[2:3], s30, v14
                                        ; implicit-def: $vgpr50
	s_and_saveexec_b64 s[16:17], s[2:3]
	s_xor_b64 s[2:3], exec, s[16:17]
; %bb.611:                              ;   in Loop: Header=BB364_324 Depth=1
	v_bfe_u32 v14, v6, 16, 1
	v_add3_u32 v50, v6, v14, s31
                                        ; implicit-def: $vgpr6
; %bb.612:                              ;   in Loop: Header=BB364_324 Depth=1
	s_andn2_saveexec_b64 s[16:17], s[2:3]
; %bb.613:                              ;   in Loop: Header=BB364_324 Depth=1
	v_or_b32_e32 v14, 0x10000, v6
	v_cmp_eq_u32_sdwa s[2:3], v6, v15 src0_sel:WORD_0 src1_sel:DWORD
	v_cndmask_b32_e64 v50, v14, v6, s[2:3]
; %bb.614:                              ;   in Loop: Header=BB364_324 Depth=1
	s_or_b64 exec, exec, s[16:17]
	v_cmp_lt_u32_e64 s[2:3], s13, v4
	v_mov_b32_e32 v14, 0
	s_and_saveexec_b64 s[16:17], s[2:3]
	s_cbranch_execz .LBB364_620
; %bb.615:                              ;   in Loop: Header=BB364_324 Depth=1
	v_lshrrev_b32_e32 v6, 24, v4
	v_cmp_ne_u32_e64 s[2:3], s34, v6
	v_bfrev_b32_e32 v14, 1
	s_and_saveexec_b64 s[18:19], s[2:3]
	s_cbranch_execz .LBB364_619
; %bb.616:                              ;   in Loop: Header=BB364_324 Depth=1
	v_bfe_u32 v51, v4, 24, 7
	v_cmp_ne_u32_e64 s[2:3], s35, v51
	v_mov_b32_e32 v14, 0x7f800001
	s_and_saveexec_b64 s[20:21], s[2:3]
	s_cbranch_execz .LBB364_618
; %bb.617:                              ;   in Loop: Header=BB364_324 Depth=1
	v_and_b32_e32 v14, 7, v6
	v_ffbh_u32_e32 v52, v14
	v_min_u32_e32 v55, 32, v52
	v_subrev_u32_e32 v52, 28, v55
	v_lshlrev_b64 v[52:53], v52, v[6:7]
	v_lshrrev_b32_e32 v54, 3, v51
	v_sub_u32_e32 v53, 29, v55
	v_and_b32_e32 v52, 7, v52
	v_cmp_gt_u32_e64 s[2:3], 8, v51
	v_cndmask_b32_e64 v51, v54, v53, s[2:3]
	v_cndmask_b32_e64 v14, v14, v52, s[2:3]
	v_lshlrev_b32_e32 v6, 24, v6
	v_lshlrev_b32_e32 v14, 20, v14
	v_and_b32_e32 v6, 0x80000000, v6
	v_lshl_add_u32 v51, v51, 23, v11
	v_or3_b32 v14, v6, v51, v14
.LBB364_618:                            ;   in Loop: Header=BB364_324 Depth=1
	s_or_b64 exec, exec, s[20:21]
.LBB364_619:                            ;   in Loop: Header=BB364_324 Depth=1
	s_or_b64 exec, exec, s[18:19]
.LBB364_620:                            ;   in Loop: Header=BB364_324 Depth=1
	s_or_b64 exec, exec, s[16:17]
	v_mul_f32_e32 v6, s28, v14
	v_and_b32_e32 v14, 0x7f800000, v6
	v_cmp_ne_u32_e64 s[2:3], s30, v14
                                        ; implicit-def: $vgpr51
	s_and_saveexec_b64 s[16:17], s[2:3]
	s_xor_b64 s[2:3], exec, s[16:17]
; %bb.621:                              ;   in Loop: Header=BB364_324 Depth=1
	v_bfe_u32 v14, v6, 16, 1
	v_add3_u32 v51, v6, v14, s31
                                        ; implicit-def: $vgpr6
; %bb.622:                              ;   in Loop: Header=BB364_324 Depth=1
	s_andn2_saveexec_b64 s[16:17], s[2:3]
; %bb.623:                              ;   in Loop: Header=BB364_324 Depth=1
	v_or_b32_e32 v14, 0x10000, v6
	v_cmp_eq_u32_sdwa s[2:3], v6, v15 src0_sel:WORD_0 src1_sel:DWORD
	v_cndmask_b32_e64 v51, v14, v6, s[2:3]
; %bb.624:                              ;   in Loop: Header=BB364_324 Depth=1
	s_or_b64 exec, exec, s[16:17]
	v_mov_b32_e32 v14, v5
	v_cmp_ne_u16_sdwa s[2:3], v5, v15 src0_sel:BYTE_0 src1_sel:DWORD
	v_mov_b32_e32 v6, 0
	s_and_saveexec_b64 s[16:17], s[2:3]
	s_cbranch_execz .LBB364_630
; %bb.625:                              ;   in Loop: Header=BB364_324 Depth=1
	v_cmp_ne_u16_sdwa s[2:3], v5, s34 src0_sel:BYTE_0 src1_sel:DWORD
	v_bfrev_b32_e32 v6, 1
	s_and_saveexec_b64 s[18:19], s[2:3]
	s_cbranch_execz .LBB364_629
; %bb.626:                              ;   in Loop: Header=BB364_324 Depth=1
	v_and_b32_e32 v52, 0x7f, v5
	v_cmp_ne_u32_e64 s[2:3], s35, v52
	v_mov_b32_e32 v6, 0x7f800001
	s_and_saveexec_b64 s[20:21], s[2:3]
	s_cbranch_execz .LBB364_628
; %bb.627:                              ;   in Loop: Header=BB364_324 Depth=1
	v_and_b32_e32 v6, 7, v5
	v_ffbh_u32_e32 v6, v6
	v_min_u32_e32 v6, 32, v6
	v_subrev_u32_e32 v54, 28, v6
	v_cmp_gt_u32_e64 s[2:3], 8, v52
	v_lshrrev_b32_e32 v53, 3, v52
	v_sub_u32_e32 v6, 29, v6
	v_cndmask_b32_e64 v52, 0, v54, s[2:3]
	v_cndmask_b32_e64 v6, v53, v6, s[2:3]
	v_lshlrev_b64 v[52:53], v52, v[14:15]
	v_lshlrev_b32_e32 v52, 20, v52
	v_lshlrev_b32_e32 v53, 24, v14
	v_and_b32_e32 v52, 0x700000, v52
	v_and_b32_e32 v53, 0x80000000, v53
	v_lshl_add_u32 v6, v6, 23, v11
	v_or3_b32 v6, v53, v6, v52
.LBB364_628:                            ;   in Loop: Header=BB364_324 Depth=1
	s_or_b64 exec, exec, s[20:21]
.LBB364_629:                            ;   in Loop: Header=BB364_324 Depth=1
	s_or_b64 exec, exec, s[18:19]
.LBB364_630:                            ;   in Loop: Header=BB364_324 Depth=1
	s_or_b64 exec, exec, s[16:17]
	v_mul_f32_e32 v6, s28, v6
	v_and_b32_e32 v52, 0x7f800000, v6
	v_cmp_ne_u32_e64 s[2:3], s30, v52
                                        ; implicit-def: $vgpr52
	s_and_saveexec_b64 s[16:17], s[2:3]
	s_xor_b64 s[2:3], exec, s[16:17]
; %bb.631:                              ;   in Loop: Header=BB364_324 Depth=1
	v_bfe_u32 v52, v6, 16, 1
	v_add3_u32 v52, v6, v52, s31
                                        ; implicit-def: $vgpr6
; %bb.632:                              ;   in Loop: Header=BB364_324 Depth=1
	s_andn2_saveexec_b64 s[16:17], s[2:3]
; %bb.633:                              ;   in Loop: Header=BB364_324 Depth=1
	v_or_b32_e32 v52, 0x10000, v6
	v_cmp_eq_u32_sdwa s[2:3], v6, v15 src0_sel:WORD_0 src1_sel:DWORD
	v_cndmask_b32_e64 v52, v52, v6, s[2:3]
; %bb.634:                              ;   in Loop: Header=BB364_324 Depth=1
	s_or_b64 exec, exec, s[16:17]
	v_lshrrev_b16_e32 v6, 8, v14
	v_cmp_ne_u16_e64 s[2:3], 0, v6
	v_mov_b32_e32 v53, 0
	s_and_saveexec_b64 s[16:17], s[2:3]
	s_cbranch_execz .LBB364_640
; %bb.635:                              ;   in Loop: Header=BB364_324 Depth=1
	v_cmp_ne_u16_e64 s[2:3], s34, v6
	v_bfrev_b32_e32 v53, 1
	s_and_saveexec_b64 s[18:19], s[2:3]
	s_cbranch_execz .LBB364_639
; %bb.636:                              ;   in Loop: Header=BB364_324 Depth=1
	v_and_b32_e32 v54, 0x7f, v6
	v_cmp_ne_u32_e64 s[2:3], s35, v54
	v_mov_b32_e32 v53, 0x7f800001
	s_and_saveexec_b64 s[20:21], s[2:3]
	s_cbranch_execz .LBB364_638
; %bb.637:                              ;   in Loop: Header=BB364_324 Depth=1
	v_and_b32_e32 v53, 7, v6
	v_ffbh_u32_e32 v56, v53
	v_min_u32_e32 v58, 32, v56
	v_subrev_u32_e32 v56, 28, v58
	v_lshlrev_b64 v[56:57], v56, v[6:7]
	v_lshrrev_b32_e32 v55, 3, v54
	v_sub_u32_e32 v6, 29, v58
	v_and_b32_e32 v56, 7, v56
	v_cmp_gt_u32_e64 s[2:3], 8, v54
	v_cndmask_b32_e64 v6, v55, v6, s[2:3]
	v_cndmask_b32_e64 v53, v53, v56, s[2:3]
	v_lshlrev_b32_e32 v14, 16, v14
	v_lshlrev_b32_e32 v53, 20, v53
	v_and_b32_e32 v14, 0x80000000, v14
	v_lshl_add_u32 v6, v6, 23, v11
	v_or3_b32 v53, v14, v6, v53
.LBB364_638:                            ;   in Loop: Header=BB364_324 Depth=1
	s_or_b64 exec, exec, s[20:21]
.LBB364_639:                            ;   in Loop: Header=BB364_324 Depth=1
	s_or_b64 exec, exec, s[18:19]
.LBB364_640:                            ;   in Loop: Header=BB364_324 Depth=1
	s_or_b64 exec, exec, s[16:17]
	v_mul_f32_e32 v6, s28, v53
	v_and_b32_e32 v14, 0x7f800000, v6
	v_cmp_ne_u32_e64 s[2:3], s30, v14
                                        ; implicit-def: $vgpr14
	s_and_saveexec_b64 s[16:17], s[2:3]
	s_xor_b64 s[2:3], exec, s[16:17]
; %bb.641:                              ;   in Loop: Header=BB364_324 Depth=1
	v_bfe_u32 v14, v6, 16, 1
	v_add3_u32 v14, v6, v14, s31
                                        ; implicit-def: $vgpr6
; %bb.642:                              ;   in Loop: Header=BB364_324 Depth=1
	s_andn2_saveexec_b64 s[16:17], s[2:3]
; %bb.643:                              ;   in Loop: Header=BB364_324 Depth=1
	v_or_b32_e32 v14, 0x10000, v6
	v_cmp_eq_u32_sdwa s[2:3], v6, v15 src0_sel:WORD_0 src1_sel:DWORD
	v_cndmask_b32_e64 v14, v14, v6, s[2:3]
; %bb.644:                              ;   in Loop: Header=BB364_324 Depth=1
	s_or_b64 exec, exec, s[16:17]
	v_lshrrev_b32_e32 v6, 16, v5
	v_cmp_ne_u16_sdwa s[2:3], v6, v15 src0_sel:BYTE_0 src1_sel:DWORD
	v_mov_b32_e32 v53, 0
	s_and_saveexec_b64 s[16:17], s[2:3]
	s_cbranch_execz .LBB364_650
; %bb.645:                              ;   in Loop: Header=BB364_324 Depth=1
	v_cmp_ne_u16_sdwa s[2:3], v6, s34 src0_sel:BYTE_0 src1_sel:DWORD
	v_bfrev_b32_e32 v53, 1
	s_and_saveexec_b64 s[18:19], s[2:3]
	s_cbranch_execz .LBB364_649
; %bb.646:                              ;   in Loop: Header=BB364_324 Depth=1
	v_bfe_u32 v54, v5, 16, 7
	v_cmp_ne_u32_e64 s[2:3], s35, v54
	v_mov_b32_e32 v53, 0x7f800001
	s_and_saveexec_b64 s[20:21], s[2:3]
	s_cbranch_execz .LBB364_648
; %bb.647:                              ;   in Loop: Header=BB364_324 Depth=1
	v_and_b32_e32 v53, 7, v6
	v_ffbh_u32_e32 v56, v53
	v_min_u32_e32 v58, 32, v56
	v_subrev_u32_e32 v56, 28, v58
	v_lshlrev_b64 v[56:57], v56, v[6:7]
	v_lshrrev_b32_e32 v55, 3, v54
	v_sub_u32_e32 v57, 29, v58
	v_and_b32_e32 v56, 7, v56
	v_cmp_gt_u32_e64 s[2:3], 8, v54
	v_cndmask_b32_e64 v54, v55, v57, s[2:3]
	v_cndmask_b32_e64 v53, v53, v56, s[2:3]
	v_lshlrev_b32_e32 v6, 24, v6
	v_lshlrev_b32_e32 v53, 20, v53
	v_and_b32_e32 v6, 0x80000000, v6
	v_lshl_add_u32 v54, v54, 23, v11
	v_or3_b32 v53, v6, v54, v53
.LBB364_648:                            ;   in Loop: Header=BB364_324 Depth=1
	s_or_b64 exec, exec, s[20:21]
.LBB364_649:                            ;   in Loop: Header=BB364_324 Depth=1
	s_or_b64 exec, exec, s[18:19]
.LBB364_650:                            ;   in Loop: Header=BB364_324 Depth=1
	s_or_b64 exec, exec, s[16:17]
	v_mul_f32_e32 v53, s28, v53
	v_and_b32_e32 v6, 0x7f800000, v53
	v_cmp_ne_u32_e64 s[2:3], s30, v6
                                        ; implicit-def: $vgpr6
	s_and_saveexec_b64 s[16:17], s[2:3]
	s_xor_b64 s[2:3], exec, s[16:17]
; %bb.651:                              ;   in Loop: Header=BB364_324 Depth=1
	v_bfe_u32 v6, v53, 16, 1
	v_add3_u32 v6, v53, v6, s31
                                        ; implicit-def: $vgpr53
; %bb.652:                              ;   in Loop: Header=BB364_324 Depth=1
	s_andn2_saveexec_b64 s[16:17], s[2:3]
; %bb.653:                              ;   in Loop: Header=BB364_324 Depth=1
	v_or_b32_e32 v6, 0x10000, v53
	v_cmp_eq_u32_sdwa s[2:3], v53, v15 src0_sel:WORD_0 src1_sel:DWORD
	v_cndmask_b32_e64 v6, v6, v53, s[2:3]
; %bb.654:                              ;   in Loop: Header=BB364_324 Depth=1
	s_or_b64 exec, exec, s[16:17]
	v_cmp_lt_u64_e64 s[2:3], s[12:13], v[4:5]
	v_mov_b32_e32 v53, 0
	s_and_saveexec_b64 s[16:17], s[2:3]
	s_cbranch_execz .LBB364_660
; %bb.655:                              ;   in Loop: Header=BB364_324 Depth=1
	v_lshrrev_b32_e32 v4, 24, v5
	v_cmp_ne_u32_e64 s[2:3], s34, v4
	v_bfrev_b32_e32 v53, 1
	s_and_saveexec_b64 s[18:19], s[2:3]
	s_cbranch_execz .LBB364_659
; %bb.656:                              ;   in Loop: Header=BB364_324 Depth=1
	v_bfe_u32 v5, v5, 24, 7
	v_cmp_ne_u32_e64 s[2:3], s35, v5
	v_mov_b32_e32 v53, 0x7f800001
	s_and_saveexec_b64 s[20:21], s[2:3]
	s_cbranch_execz .LBB364_658
; %bb.657:                              ;   in Loop: Header=BB364_324 Depth=1
	v_and_b32_e32 v53, 7, v4
	v_ffbh_u32_e32 v54, v53
	v_min_u32_e32 v57, 32, v54
	v_subrev_u32_e32 v54, 28, v57
	v_lshlrev_b64 v[54:55], v54, v[4:5]
	v_lshrrev_b32_e32 v56, 3, v5
	v_sub_u32_e32 v55, 29, v57
	v_and_b32_e32 v54, 7, v54
	v_cmp_gt_u32_e64 s[2:3], 8, v5
	v_cndmask_b32_e64 v5, v56, v55, s[2:3]
	v_cndmask_b32_e64 v53, v53, v54, s[2:3]
	v_lshlrev_b32_e32 v4, 24, v4
	v_lshlrev_b32_e32 v53, 20, v53
	v_and_b32_e32 v4, 0x80000000, v4
	v_lshl_add_u32 v5, v5, 23, v11
	v_or3_b32 v53, v4, v5, v53
.LBB364_658:                            ;   in Loop: Header=BB364_324 Depth=1
	s_or_b64 exec, exec, s[20:21]
.LBB364_659:                            ;   in Loop: Header=BB364_324 Depth=1
	s_or_b64 exec, exec, s[18:19]
.LBB364_660:                            ;   in Loop: Header=BB364_324 Depth=1
	s_or_b64 exec, exec, s[16:17]
	v_mul_f32_e32 v5, s28, v53
	v_and_b32_e32 v4, 0x7f800000, v5
	v_cmp_ne_u32_e64 s[2:3], s30, v4
                                        ; implicit-def: $vgpr4
	s_and_saveexec_b64 s[16:17], s[2:3]
	s_xor_b64 s[2:3], exec, s[16:17]
; %bb.661:                              ;   in Loop: Header=BB364_324 Depth=1
	v_bfe_u32 v4, v5, 16, 1
	v_add3_u32 v4, v5, v4, s31
                                        ; implicit-def: $vgpr5
; %bb.662:                              ;   in Loop: Header=BB364_324 Depth=1
	s_andn2_saveexec_b64 s[16:17], s[2:3]
; %bb.663:                              ;   in Loop: Header=BB364_324 Depth=1
	v_or_b32_e32 v4, 0x10000, v5
	v_cmp_eq_u32_sdwa s[2:3], v5, v15 src0_sel:WORD_0 src1_sel:DWORD
	v_cndmask_b32_e64 v4, v4, v5, s[2:3]
; %bb.664:                              ;   in Loop: Header=BB364_324 Depth=1
	s_or_b64 exec, exec, s[16:17]
	v_lshrrev_b32_e32 v53, 16, v14
	v_lshrrev_b32_e32 v52, 16, v52
	;; [unrolled: 1-line block ×8, first 2 shown]
	s_and_saveexec_b64 s[16:17], s[0:1]
	s_cbranch_execz .LBB364_666
; %bb.665:                              ;   in Loop: Header=BB364_324 Depth=1
	v_cmp_gt_i32_e64 s[2:3], s29, v33
	v_add_u32_e32 v6, -6, v24
	v_cndmask_b32_e64 v5, 0, v5, s[2:3]
	v_cmp_gt_i32_e64 s[2:3], s29, v6
	v_add_u32_e32 v6, -5, v24
	v_cndmask_b32_e64 v49, 0, v49, s[2:3]
	;; [unrolled: 3-line block ×6, first 2 shown]
	v_cmp_gt_i32_e64 s[2:3], s29, v6
	v_cndmask_b32_e64 v14, 0, v14, s[2:3]
	v_cmp_gt_i32_e64 s[2:3], s29, v24
	v_cndmask_b32_e64 v4, 0, v4, s[2:3]
.LBB364_666:                            ;   in Loop: Header=BB364_324 Depth=1
	s_or_b64 exec, exec, s[16:17]
	v_lshlrev_b32_e32 v5, 16, v5
	v_mul_f32_e32 v6, v34, v5
	v_and_b32_e32 v5, 0x7f800000, v6
	v_cmp_ne_u32_e64 s[2:3], s30, v5
                                        ; implicit-def: $vgpr5
	s_and_saveexec_b64 s[16:17], s[2:3]
	s_xor_b64 s[2:3], exec, s[16:17]
; %bb.667:                              ;   in Loop: Header=BB364_324 Depth=1
	v_bfe_u32 v5, v6, 16, 1
	v_add3_u32 v5, v6, v5, s31
                                        ; implicit-def: $vgpr6
; %bb.668:                              ;   in Loop: Header=BB364_324 Depth=1
	s_andn2_saveexec_b64 s[16:17], s[2:3]
; %bb.669:                              ;   in Loop: Header=BB364_324 Depth=1
	v_or_b32_e32 v5, 0x10000, v6
	v_cmp_eq_u32_sdwa s[2:3], v6, v15 src0_sel:WORD_0 src1_sel:DWORD
	v_cndmask_b32_e64 v5, v5, v6, s[2:3]
; %bb.670:                              ;   in Loop: Header=BB364_324 Depth=1
	s_or_b64 exec, exec, s[16:17]
	v_lshlrev_b32_e32 v6, 16, v49
	v_mul_f32_e32 v48, v35, v6
	v_and_b32_e32 v6, 0x7f800000, v48
	v_cmp_ne_u32_e64 s[2:3], s30, v6
                                        ; implicit-def: $vgpr6
	s_and_saveexec_b64 s[16:17], s[2:3]
	s_xor_b64 s[2:3], exec, s[16:17]
; %bb.671:                              ;   in Loop: Header=BB364_324 Depth=1
	v_bfe_u32 v6, v48, 16, 1
	v_add3_u32 v6, v48, v6, s31
                                        ; implicit-def: $vgpr48
; %bb.672:                              ;   in Loop: Header=BB364_324 Depth=1
	s_andn2_saveexec_b64 s[16:17], s[2:3]
; %bb.673:                              ;   in Loop: Header=BB364_324 Depth=1
	v_or_b32_e32 v6, 0x10000, v48
	v_cmp_eq_u32_sdwa s[2:3], v48, v15 src0_sel:WORD_0 src1_sel:DWORD
	v_cndmask_b32_e64 v6, v6, v48, s[2:3]
; %bb.674:                              ;   in Loop: Header=BB364_324 Depth=1
	s_or_b64 exec, exec, s[16:17]
	v_lshlrev_b32_e32 v48, 16, v50
	v_mul_f32_e32 v49, v36, v48
	v_and_b32_e32 v48, 0x7f800000, v49
	v_cmp_ne_u32_e64 s[2:3], s30, v48
                                        ; implicit-def: $vgpr48
	s_and_saveexec_b64 s[16:17], s[2:3]
	s_xor_b64 s[2:3], exec, s[16:17]
; %bb.675:                              ;   in Loop: Header=BB364_324 Depth=1
	v_bfe_u32 v48, v49, 16, 1
	v_add3_u32 v48, v49, v48, s31
                                        ; implicit-def: $vgpr49
; %bb.676:                              ;   in Loop: Header=BB364_324 Depth=1
	s_andn2_saveexec_b64 s[16:17], s[2:3]
; %bb.677:                              ;   in Loop: Header=BB364_324 Depth=1
	v_or_b32_e32 v48, 0x10000, v49
	v_cmp_eq_u32_sdwa s[2:3], v49, v15 src0_sel:WORD_0 src1_sel:DWORD
	v_cndmask_b32_e64 v48, v48, v49, s[2:3]
; %bb.678:                              ;   in Loop: Header=BB364_324 Depth=1
	s_or_b64 exec, exec, s[16:17]
	v_lshlrev_b32_e32 v49, 16, v51
	v_mul_f32_e32 v50, v37, v49
	v_and_b32_e32 v49, 0x7f800000, v50
	v_cmp_ne_u32_e64 s[2:3], s30, v49
                                        ; implicit-def: $vgpr49
	s_and_saveexec_b64 s[16:17], s[2:3]
	s_xor_b64 s[2:3], exec, s[16:17]
; %bb.679:                              ;   in Loop: Header=BB364_324 Depth=1
	v_bfe_u32 v49, v50, 16, 1
	v_add3_u32 v49, v50, v49, s31
                                        ; implicit-def: $vgpr50
; %bb.680:                              ;   in Loop: Header=BB364_324 Depth=1
	s_andn2_saveexec_b64 s[16:17], s[2:3]
; %bb.681:                              ;   in Loop: Header=BB364_324 Depth=1
	v_or_b32_e32 v49, 0x10000, v50
	v_cmp_eq_u32_sdwa s[2:3], v50, v15 src0_sel:WORD_0 src1_sel:DWORD
	v_cndmask_b32_e64 v49, v49, v50, s[2:3]
; %bb.682:                              ;   in Loop: Header=BB364_324 Depth=1
	s_or_b64 exec, exec, s[16:17]
	v_lshlrev_b32_e32 v50, 16, v52
	v_mul_f32_e32 v51, v38, v50
	v_and_b32_e32 v50, 0x7f800000, v51
	v_cmp_ne_u32_e64 s[2:3], s30, v50
                                        ; implicit-def: $vgpr50
	s_and_saveexec_b64 s[16:17], s[2:3]
	s_xor_b64 s[2:3], exec, s[16:17]
; %bb.683:                              ;   in Loop: Header=BB364_324 Depth=1
	v_bfe_u32 v50, v51, 16, 1
	v_add3_u32 v50, v51, v50, s31
                                        ; implicit-def: $vgpr51
; %bb.684:                              ;   in Loop: Header=BB364_324 Depth=1
	s_andn2_saveexec_b64 s[16:17], s[2:3]
; %bb.685:                              ;   in Loop: Header=BB364_324 Depth=1
	v_or_b32_e32 v50, 0x10000, v51
	v_cmp_eq_u32_sdwa s[2:3], v51, v15 src0_sel:WORD_0 src1_sel:DWORD
	v_cndmask_b32_e64 v50, v50, v51, s[2:3]
; %bb.686:                              ;   in Loop: Header=BB364_324 Depth=1
	s_or_b64 exec, exec, s[16:17]
	v_lshlrev_b32_e32 v51, 16, v53
	v_mul_f32_e32 v52, v39, v51
	v_and_b32_e32 v51, 0x7f800000, v52
	v_cmp_ne_u32_e64 s[2:3], s30, v51
                                        ; implicit-def: $vgpr51
	s_and_saveexec_b64 s[16:17], s[2:3]
	s_xor_b64 s[2:3], exec, s[16:17]
; %bb.687:                              ;   in Loop: Header=BB364_324 Depth=1
	v_bfe_u32 v51, v52, 16, 1
	v_add3_u32 v51, v52, v51, s31
                                        ; implicit-def: $vgpr52
; %bb.688:                              ;   in Loop: Header=BB364_324 Depth=1
	s_andn2_saveexec_b64 s[16:17], s[2:3]
; %bb.689:                              ;   in Loop: Header=BB364_324 Depth=1
	v_or_b32_e32 v51, 0x10000, v52
	v_cmp_eq_u32_sdwa s[2:3], v52, v15 src0_sel:WORD_0 src1_sel:DWORD
	v_cndmask_b32_e64 v51, v51, v52, s[2:3]
; %bb.690:                              ;   in Loop: Header=BB364_324 Depth=1
	s_or_b64 exec, exec, s[16:17]
	v_lshlrev_b32_e32 v14, 16, v14
	v_mul_f32_e32 v14, v40, v14
	v_and_b32_e32 v52, 0x7f800000, v14
	v_cmp_ne_u32_e64 s[2:3], s30, v52
                                        ; implicit-def: $vgpr52
	s_and_saveexec_b64 s[16:17], s[2:3]
	s_xor_b64 s[2:3], exec, s[16:17]
; %bb.691:                              ;   in Loop: Header=BB364_324 Depth=1
	v_bfe_u32 v52, v14, 16, 1
	v_add3_u32 v52, v14, v52, s31
                                        ; implicit-def: $vgpr14
; %bb.692:                              ;   in Loop: Header=BB364_324 Depth=1
	s_andn2_saveexec_b64 s[16:17], s[2:3]
; %bb.693:                              ;   in Loop: Header=BB364_324 Depth=1
	v_or_b32_e32 v52, 0x10000, v14
	v_cmp_eq_u32_sdwa s[2:3], v14, v15 src0_sel:WORD_0 src1_sel:DWORD
	v_cndmask_b32_e64 v52, v52, v14, s[2:3]
; %bb.694:                              ;   in Loop: Header=BB364_324 Depth=1
	s_or_b64 exec, exec, s[16:17]
	v_lshlrev_b32_e32 v4, 16, v4
	v_mul_f32_e32 v4, v41, v4
	v_and_b32_e32 v14, 0x7f800000, v4
	v_cmp_ne_u32_e64 s[2:3], s30, v14
                                        ; implicit-def: $vgpr53
	s_and_saveexec_b64 s[16:17], s[2:3]
	s_xor_b64 s[2:3], exec, s[16:17]
	s_cbranch_execnz .LBB364_697
; %bb.695:                              ;   in Loop: Header=BB364_324 Depth=1
	s_andn2_saveexec_b64 s[16:17], s[2:3]
	s_cbranch_execnz .LBB364_698
.LBB364_696:                            ;   in Loop: Header=BB364_324 Depth=1
	s_or_b64 exec, exec, s[16:17]
	s_and_saveexec_b64 s[16:17], vcc
	s_cbranch_execz .LBB364_323
	s_branch .LBB364_699
.LBB364_697:                            ;   in Loop: Header=BB364_324 Depth=1
	v_bfe_u32 v14, v4, 16, 1
	v_add3_u32 v53, v4, v14, s31
                                        ; implicit-def: $vgpr4
	s_andn2_saveexec_b64 s[16:17], s[2:3]
	s_cbranch_execz .LBB364_696
.LBB364_698:                            ;   in Loop: Header=BB364_324 Depth=1
	v_or_b32_e32 v14, 0x10000, v4
	v_cmp_eq_u32_sdwa s[2:3], v4, v15 src0_sel:WORD_0 src1_sel:DWORD
	v_cndmask_b32_e64 v53, v14, v4, s[2:3]
	s_or_b64 exec, exec, s[16:17]
	s_and_saveexec_b64 s[16:17], vcc
	s_cbranch_execz .LBB364_323
.LBB364_699:                            ;   in Loop: Header=BB364_324 Depth=1
	v_add_co_u32_e64 v2, s[2:3], v2, v18
	v_addc_co_u32_e64 v3, s[2:3], 0, v3, s[2:3]
	global_load_dwordx2 v[2:3], v[2:3], off
	v_mov_b32_e32 v4, 0
	s_waitcnt vmcnt(0)
	v_cmp_ne_u16_sdwa s[2:3], v2, v15 src0_sel:BYTE_0 src1_sel:DWORD
	s_and_saveexec_b64 s[18:19], s[2:3]
	s_cbranch_execz .LBB364_705
; %bb.700:                              ;   in Loop: Header=BB364_324 Depth=1
	v_cmp_ne_u16_sdwa s[2:3], v2, s34 src0_sel:BYTE_0 src1_sel:DWORD
	v_bfrev_b32_e32 v4, 1
	s_and_saveexec_b64 s[20:21], s[2:3]
	s_cbranch_execz .LBB364_704
; %bb.701:                              ;   in Loop: Header=BB364_324 Depth=1
	v_and_b32_e32 v14, 0x7f, v2
	v_cmp_ne_u32_e64 s[2:3], s35, v14
	v_mov_b32_e32 v4, 0x7f800001
	s_and_saveexec_b64 s[22:23], s[2:3]
	s_cbranch_execz .LBB364_703
; %bb.702:                              ;   in Loop: Header=BB364_324 Depth=1
	v_and_b32_e32 v4, 7, v2
	v_ffbh_u32_e32 v4, v4
	v_min_u32_e32 v4, 32, v4
	v_subrev_u32_e32 v55, 28, v4
	v_cmp_gt_u32_e64 s[2:3], 8, v14
	v_lshrrev_b32_e32 v54, 3, v14
	v_sub_u32_e32 v4, 29, v4
	v_cndmask_b32_e64 v14, 0, v55, s[2:3]
	v_cndmask_b32_e64 v4, v54, v4, s[2:3]
	v_lshlrev_b64 v[54:55], v14, v[2:3]
	v_lshlrev_b32_e32 v14, 20, v54
	v_lshlrev_b32_e32 v54, 24, v2
	v_and_b32_e32 v14, 0x700000, v14
	v_and_b32_e32 v54, 0x80000000, v54
	v_lshl_add_u32 v4, v4, 23, v11
	v_or3_b32 v4, v54, v4, v14
.LBB364_703:                            ;   in Loop: Header=BB364_324 Depth=1
	s_or_b64 exec, exec, s[22:23]
.LBB364_704:                            ;   in Loop: Header=BB364_324 Depth=1
	s_or_b64 exec, exec, s[20:21]
.LBB364_705:                            ;   in Loop: Header=BB364_324 Depth=1
	s_or_b64 exec, exec, s[18:19]
	v_mul_f32_e32 v4, s28, v4
	v_and_b32_e32 v14, 0x7f800000, v4
	v_cmp_ne_u32_e64 s[2:3], s30, v14
                                        ; implicit-def: $vgpr54
	s_and_saveexec_b64 s[18:19], s[2:3]
	s_xor_b64 s[2:3], exec, s[18:19]
; %bb.706:                              ;   in Loop: Header=BB364_324 Depth=1
	v_bfe_u32 v14, v4, 16, 1
	v_add3_u32 v54, v4, v14, s31
                                        ; implicit-def: $vgpr4
; %bb.707:                              ;   in Loop: Header=BB364_324 Depth=1
	s_andn2_saveexec_b64 s[18:19], s[2:3]
; %bb.708:                              ;   in Loop: Header=BB364_324 Depth=1
	v_or_b32_e32 v14, 0x10000, v4
	v_cmp_eq_u32_sdwa s[2:3], v4, v15 src0_sel:WORD_0 src1_sel:DWORD
	v_cndmask_b32_e64 v54, v14, v4, s[2:3]
; %bb.709:                              ;   in Loop: Header=BB364_324 Depth=1
	s_or_b64 exec, exec, s[18:19]
	v_lshrrev_b16_e32 v4, 8, v2
	v_cmp_ne_u16_e64 s[2:3], 0, v4
	v_mov_b32_e32 v14, 0
	s_and_saveexec_b64 s[18:19], s[2:3]
	s_cbranch_execz .LBB364_715
; %bb.710:                              ;   in Loop: Header=BB364_324 Depth=1
	v_cmp_ne_u16_e64 s[2:3], s34, v4
	v_bfrev_b32_e32 v14, 1
	s_and_saveexec_b64 s[20:21], s[2:3]
	s_cbranch_execz .LBB364_714
; %bb.711:                              ;   in Loop: Header=BB364_324 Depth=1
	v_and_b32_e32 v55, 0x7f, v4
	v_cmp_ne_u32_e64 s[2:3], s35, v55
	v_mov_b32_e32 v14, 0x7f800001
	s_and_saveexec_b64 s[22:23], s[2:3]
	s_cbranch_execz .LBB364_713
; %bb.712:                              ;   in Loop: Header=BB364_324 Depth=1
	v_and_b32_e32 v14, 7, v4
	v_ffbh_u32_e32 v56, v14
	v_min_u32_e32 v59, 32, v56
	v_subrev_u32_e32 v56, 28, v59
	v_lshlrev_b64 v[56:57], v56, v[4:5]
	v_lshrrev_b32_e32 v58, 3, v55
	v_sub_u32_e32 v4, 29, v59
	v_and_b32_e32 v56, 7, v56
	v_cmp_gt_u32_e64 s[2:3], 8, v55
	v_cndmask_b32_e64 v4, v58, v4, s[2:3]
	v_cndmask_b32_e64 v14, v14, v56, s[2:3]
	v_lshlrev_b32_e32 v55, 16, v2
	v_lshlrev_b32_e32 v14, 20, v14
	v_and_b32_e32 v55, 0x80000000, v55
	v_lshl_add_u32 v4, v4, 23, v11
	v_or3_b32 v14, v55, v4, v14
.LBB364_713:                            ;   in Loop: Header=BB364_324 Depth=1
	s_or_b64 exec, exec, s[22:23]
.LBB364_714:                            ;   in Loop: Header=BB364_324 Depth=1
	s_or_b64 exec, exec, s[20:21]
.LBB364_715:                            ;   in Loop: Header=BB364_324 Depth=1
	s_or_b64 exec, exec, s[18:19]
	v_mul_f32_e32 v4, s28, v14
	v_and_b32_e32 v14, 0x7f800000, v4
	v_cmp_ne_u32_e64 s[2:3], s30, v14
                                        ; implicit-def: $vgpr55
	s_and_saveexec_b64 s[18:19], s[2:3]
	s_xor_b64 s[2:3], exec, s[18:19]
; %bb.716:                              ;   in Loop: Header=BB364_324 Depth=1
	v_bfe_u32 v14, v4, 16, 1
	v_add3_u32 v55, v4, v14, s31
                                        ; implicit-def: $vgpr4
; %bb.717:                              ;   in Loop: Header=BB364_324 Depth=1
	s_andn2_saveexec_b64 s[18:19], s[2:3]
; %bb.718:                              ;   in Loop: Header=BB364_324 Depth=1
	v_or_b32_e32 v14, 0x10000, v4
	v_cmp_eq_u32_sdwa s[2:3], v4, v15 src0_sel:WORD_0 src1_sel:DWORD
	v_cndmask_b32_e64 v55, v14, v4, s[2:3]
; %bb.719:                              ;   in Loop: Header=BB364_324 Depth=1
	s_or_b64 exec, exec, s[18:19]
	v_lshrrev_b32_e32 v4, 16, v2
	v_cmp_ne_u16_sdwa s[2:3], v4, v15 src0_sel:BYTE_0 src1_sel:DWORD
	v_mov_b32_e32 v14, 0
	s_and_saveexec_b64 s[18:19], s[2:3]
	s_cbranch_execz .LBB364_725
; %bb.720:                              ;   in Loop: Header=BB364_324 Depth=1
	v_cmp_ne_u16_sdwa s[2:3], v4, s34 src0_sel:BYTE_0 src1_sel:DWORD
	v_bfrev_b32_e32 v14, 1
	s_and_saveexec_b64 s[20:21], s[2:3]
	s_cbranch_execz .LBB364_724
; %bb.721:                              ;   in Loop: Header=BB364_324 Depth=1
	v_bfe_u32 v56, v2, 16, 7
	v_cmp_ne_u32_e64 s[2:3], s35, v56
	v_mov_b32_e32 v14, 0x7f800001
	s_and_saveexec_b64 s[22:23], s[2:3]
	s_cbranch_execz .LBB364_723
; %bb.722:                              ;   in Loop: Header=BB364_324 Depth=1
	v_and_b32_e32 v14, 7, v4
	v_ffbh_u32_e32 v58, v14
	v_min_u32_e32 v60, 32, v58
	v_subrev_u32_e32 v58, 28, v60
	v_lshlrev_b64 v[58:59], v58, v[4:5]
	v_lshrrev_b32_e32 v57, 3, v56
	v_sub_u32_e32 v59, 29, v60
	v_and_b32_e32 v58, 7, v58
	v_cmp_gt_u32_e64 s[2:3], 8, v56
	v_cndmask_b32_e64 v56, v57, v59, s[2:3]
	v_cndmask_b32_e64 v14, v14, v58, s[2:3]
	v_lshlrev_b32_e32 v4, 24, v4
	v_lshlrev_b32_e32 v14, 20, v14
	v_and_b32_e32 v4, 0x80000000, v4
	v_lshl_add_u32 v56, v56, 23, v11
	v_or3_b32 v14, v4, v56, v14
.LBB364_723:                            ;   in Loop: Header=BB364_324 Depth=1
	s_or_b64 exec, exec, s[22:23]
.LBB364_724:                            ;   in Loop: Header=BB364_324 Depth=1
	s_or_b64 exec, exec, s[20:21]
.LBB364_725:                            ;   in Loop: Header=BB364_324 Depth=1
	s_or_b64 exec, exec, s[18:19]
	v_mul_f32_e32 v4, s28, v14
	v_and_b32_e32 v14, 0x7f800000, v4
	v_cmp_ne_u32_e64 s[2:3], s30, v14
                                        ; implicit-def: $vgpr56
	s_and_saveexec_b64 s[18:19], s[2:3]
	s_xor_b64 s[2:3], exec, s[18:19]
; %bb.726:                              ;   in Loop: Header=BB364_324 Depth=1
	v_bfe_u32 v14, v4, 16, 1
	v_add3_u32 v56, v4, v14, s31
                                        ; implicit-def: $vgpr4
; %bb.727:                              ;   in Loop: Header=BB364_324 Depth=1
	s_andn2_saveexec_b64 s[18:19], s[2:3]
; %bb.728:                              ;   in Loop: Header=BB364_324 Depth=1
	v_or_b32_e32 v14, 0x10000, v4
	v_cmp_eq_u32_sdwa s[2:3], v4, v15 src0_sel:WORD_0 src1_sel:DWORD
	v_cndmask_b32_e64 v56, v14, v4, s[2:3]
; %bb.729:                              ;   in Loop: Header=BB364_324 Depth=1
	s_or_b64 exec, exec, s[18:19]
	v_cmp_lt_u32_e64 s[2:3], s13, v2
	v_mov_b32_e32 v14, 0
	s_and_saveexec_b64 s[18:19], s[2:3]
	s_cbranch_execz .LBB364_735
; %bb.730:                              ;   in Loop: Header=BB364_324 Depth=1
	v_lshrrev_b32_e32 v4, 24, v2
	v_cmp_ne_u32_e64 s[2:3], s34, v4
	v_bfrev_b32_e32 v14, 1
	s_and_saveexec_b64 s[20:21], s[2:3]
	s_cbranch_execz .LBB364_734
; %bb.731:                              ;   in Loop: Header=BB364_324 Depth=1
	v_bfe_u32 v57, v2, 24, 7
	v_cmp_ne_u32_e64 s[2:3], s35, v57
	v_mov_b32_e32 v14, 0x7f800001
	s_and_saveexec_b64 s[22:23], s[2:3]
	s_cbranch_execz .LBB364_733
; %bb.732:                              ;   in Loop: Header=BB364_324 Depth=1
	v_and_b32_e32 v14, 7, v4
	v_ffbh_u32_e32 v58, v14
	v_min_u32_e32 v61, 32, v58
	v_subrev_u32_e32 v58, 28, v61
	v_lshlrev_b64 v[58:59], v58, v[4:5]
	v_lshrrev_b32_e32 v60, 3, v57
	v_sub_u32_e32 v59, 29, v61
	v_and_b32_e32 v58, 7, v58
	v_cmp_gt_u32_e64 s[2:3], 8, v57
	v_cndmask_b32_e64 v57, v60, v59, s[2:3]
	v_cndmask_b32_e64 v14, v14, v58, s[2:3]
	v_lshlrev_b32_e32 v4, 24, v4
	v_lshlrev_b32_e32 v14, 20, v14
	v_and_b32_e32 v4, 0x80000000, v4
	v_lshl_add_u32 v57, v57, 23, v11
	v_or3_b32 v14, v4, v57, v14
.LBB364_733:                            ;   in Loop: Header=BB364_324 Depth=1
	s_or_b64 exec, exec, s[22:23]
.LBB364_734:                            ;   in Loop: Header=BB364_324 Depth=1
	s_or_b64 exec, exec, s[20:21]
.LBB364_735:                            ;   in Loop: Header=BB364_324 Depth=1
	s_or_b64 exec, exec, s[18:19]
	v_mul_f32_e32 v4, s28, v14
	v_and_b32_e32 v14, 0x7f800000, v4
	v_cmp_ne_u32_e64 s[2:3], s30, v14
                                        ; implicit-def: $vgpr57
	s_and_saveexec_b64 s[18:19], s[2:3]
	s_xor_b64 s[2:3], exec, s[18:19]
; %bb.736:                              ;   in Loop: Header=BB364_324 Depth=1
	v_bfe_u32 v14, v4, 16, 1
	v_add3_u32 v57, v4, v14, s31
                                        ; implicit-def: $vgpr4
; %bb.737:                              ;   in Loop: Header=BB364_324 Depth=1
	s_andn2_saveexec_b64 s[18:19], s[2:3]
; %bb.738:                              ;   in Loop: Header=BB364_324 Depth=1
	v_or_b32_e32 v14, 0x10000, v4
	v_cmp_eq_u32_sdwa s[2:3], v4, v15 src0_sel:WORD_0 src1_sel:DWORD
	v_cndmask_b32_e64 v57, v14, v4, s[2:3]
; %bb.739:                              ;   in Loop: Header=BB364_324 Depth=1
	s_or_b64 exec, exec, s[18:19]
	v_mov_b32_e32 v14, v3
	v_cmp_ne_u16_sdwa s[2:3], v3, v15 src0_sel:BYTE_0 src1_sel:DWORD
	v_mov_b32_e32 v4, 0
	s_and_saveexec_b64 s[18:19], s[2:3]
	s_cbranch_execz .LBB364_745
; %bb.740:                              ;   in Loop: Header=BB364_324 Depth=1
	v_cmp_ne_u16_sdwa s[2:3], v3, s34 src0_sel:BYTE_0 src1_sel:DWORD
	v_bfrev_b32_e32 v4, 1
	s_and_saveexec_b64 s[20:21], s[2:3]
	s_cbranch_execz .LBB364_744
; %bb.741:                              ;   in Loop: Header=BB364_324 Depth=1
	v_and_b32_e32 v58, 0x7f, v3
	v_cmp_ne_u32_e64 s[2:3], s35, v58
	v_mov_b32_e32 v4, 0x7f800001
	s_and_saveexec_b64 s[22:23], s[2:3]
	s_cbranch_execz .LBB364_743
; %bb.742:                              ;   in Loop: Header=BB364_324 Depth=1
	v_and_b32_e32 v4, 7, v3
	v_ffbh_u32_e32 v4, v4
	v_min_u32_e32 v4, 32, v4
	v_subrev_u32_e32 v60, 28, v4
	v_cmp_gt_u32_e64 s[2:3], 8, v58
	v_lshrrev_b32_e32 v59, 3, v58
	v_sub_u32_e32 v4, 29, v4
	v_cndmask_b32_e64 v58, 0, v60, s[2:3]
	v_cndmask_b32_e64 v4, v59, v4, s[2:3]
	v_lshlrev_b64 v[58:59], v58, v[14:15]
	v_lshlrev_b32_e32 v58, 20, v58
	v_lshlrev_b32_e32 v59, 24, v14
	v_and_b32_e32 v58, 0x700000, v58
	v_and_b32_e32 v59, 0x80000000, v59
	v_lshl_add_u32 v4, v4, 23, v11
	v_or3_b32 v4, v59, v4, v58
.LBB364_743:                            ;   in Loop: Header=BB364_324 Depth=1
	s_or_b64 exec, exec, s[22:23]
.LBB364_744:                            ;   in Loop: Header=BB364_324 Depth=1
	s_or_b64 exec, exec, s[20:21]
.LBB364_745:                            ;   in Loop: Header=BB364_324 Depth=1
	s_or_b64 exec, exec, s[18:19]
	v_mul_f32_e32 v4, s28, v4
	v_and_b32_e32 v58, 0x7f800000, v4
	v_cmp_ne_u32_e64 s[2:3], s30, v58
                                        ; implicit-def: $vgpr58
	s_and_saveexec_b64 s[18:19], s[2:3]
	s_xor_b64 s[2:3], exec, s[18:19]
; %bb.746:                              ;   in Loop: Header=BB364_324 Depth=1
	v_bfe_u32 v58, v4, 16, 1
	v_add3_u32 v58, v4, v58, s31
                                        ; implicit-def: $vgpr4
; %bb.747:                              ;   in Loop: Header=BB364_324 Depth=1
	s_andn2_saveexec_b64 s[18:19], s[2:3]
; %bb.748:                              ;   in Loop: Header=BB364_324 Depth=1
	v_or_b32_e32 v58, 0x10000, v4
	v_cmp_eq_u32_sdwa s[2:3], v4, v15 src0_sel:WORD_0 src1_sel:DWORD
	v_cndmask_b32_e64 v58, v58, v4, s[2:3]
; %bb.749:                              ;   in Loop: Header=BB364_324 Depth=1
	s_or_b64 exec, exec, s[18:19]
	v_lshrrev_b16_e32 v4, 8, v14
	v_cmp_ne_u16_e64 s[2:3], 0, v4
	v_mov_b32_e32 v59, 0
	s_and_saveexec_b64 s[18:19], s[2:3]
	s_cbranch_execz .LBB364_755
; %bb.750:                              ;   in Loop: Header=BB364_324 Depth=1
	v_cmp_ne_u16_e64 s[2:3], s34, v4
	v_bfrev_b32_e32 v59, 1
	s_and_saveexec_b64 s[20:21], s[2:3]
	s_cbranch_execz .LBB364_754
; %bb.751:                              ;   in Loop: Header=BB364_324 Depth=1
	v_and_b32_e32 v60, 0x7f, v4
	v_cmp_ne_u32_e64 s[2:3], s35, v60
	v_mov_b32_e32 v59, 0x7f800001
	s_and_saveexec_b64 s[22:23], s[2:3]
	s_cbranch_execz .LBB364_753
; %bb.752:                              ;   in Loop: Header=BB364_324 Depth=1
	v_and_b32_e32 v59, 7, v4
	v_ffbh_u32_e32 v62, v59
	v_min_u32_e32 v64, 32, v62
	v_subrev_u32_e32 v62, 28, v64
	v_lshlrev_b64 v[62:63], v62, v[4:5]
	v_lshrrev_b32_e32 v61, 3, v60
	v_sub_u32_e32 v4, 29, v64
	v_and_b32_e32 v62, 7, v62
	v_cmp_gt_u32_e64 s[2:3], 8, v60
	v_cndmask_b32_e64 v4, v61, v4, s[2:3]
	v_cndmask_b32_e64 v59, v59, v62, s[2:3]
	v_lshlrev_b32_e32 v14, 16, v14
	v_lshlrev_b32_e32 v59, 20, v59
	v_and_b32_e32 v14, 0x80000000, v14
	v_lshl_add_u32 v4, v4, 23, v11
	v_or3_b32 v59, v14, v4, v59
.LBB364_753:                            ;   in Loop: Header=BB364_324 Depth=1
	s_or_b64 exec, exec, s[22:23]
.LBB364_754:                            ;   in Loop: Header=BB364_324 Depth=1
	s_or_b64 exec, exec, s[20:21]
.LBB364_755:                            ;   in Loop: Header=BB364_324 Depth=1
	s_or_b64 exec, exec, s[18:19]
	v_mul_f32_e32 v4, s28, v59
	v_and_b32_e32 v14, 0x7f800000, v4
	v_cmp_ne_u32_e64 s[2:3], s30, v14
                                        ; implicit-def: $vgpr14
	s_and_saveexec_b64 s[18:19], s[2:3]
	s_xor_b64 s[2:3], exec, s[18:19]
; %bb.756:                              ;   in Loop: Header=BB364_324 Depth=1
	v_bfe_u32 v14, v4, 16, 1
	v_add3_u32 v14, v4, v14, s31
                                        ; implicit-def: $vgpr4
; %bb.757:                              ;   in Loop: Header=BB364_324 Depth=1
	s_andn2_saveexec_b64 s[18:19], s[2:3]
; %bb.758:                              ;   in Loop: Header=BB364_324 Depth=1
	v_or_b32_e32 v14, 0x10000, v4
	v_cmp_eq_u32_sdwa s[2:3], v4, v15 src0_sel:WORD_0 src1_sel:DWORD
	v_cndmask_b32_e64 v14, v14, v4, s[2:3]
; %bb.759:                              ;   in Loop: Header=BB364_324 Depth=1
	s_or_b64 exec, exec, s[18:19]
	v_lshrrev_b32_e32 v4, 16, v3
	v_cmp_ne_u16_sdwa s[2:3], v4, v15 src0_sel:BYTE_0 src1_sel:DWORD
	v_mov_b32_e32 v59, 0
	s_and_saveexec_b64 s[18:19], s[2:3]
	s_cbranch_execz .LBB364_765
; %bb.760:                              ;   in Loop: Header=BB364_324 Depth=1
	v_cmp_ne_u16_sdwa s[2:3], v4, s34 src0_sel:BYTE_0 src1_sel:DWORD
	v_bfrev_b32_e32 v59, 1
	s_and_saveexec_b64 s[20:21], s[2:3]
	s_cbranch_execz .LBB364_764
; %bb.761:                              ;   in Loop: Header=BB364_324 Depth=1
	v_bfe_u32 v60, v3, 16, 7
	v_cmp_ne_u32_e64 s[2:3], s35, v60
	v_mov_b32_e32 v59, 0x7f800001
	s_and_saveexec_b64 s[22:23], s[2:3]
	s_cbranch_execz .LBB364_763
; %bb.762:                              ;   in Loop: Header=BB364_324 Depth=1
	v_and_b32_e32 v59, 7, v4
	v_ffbh_u32_e32 v62, v59
	v_min_u32_e32 v64, 32, v62
	v_subrev_u32_e32 v62, 28, v64
	v_lshlrev_b64 v[62:63], v62, v[4:5]
	v_lshrrev_b32_e32 v61, 3, v60
	v_sub_u32_e32 v63, 29, v64
	v_and_b32_e32 v62, 7, v62
	v_cmp_gt_u32_e64 s[2:3], 8, v60
	v_cndmask_b32_e64 v60, v61, v63, s[2:3]
	v_cndmask_b32_e64 v59, v59, v62, s[2:3]
	v_lshlrev_b32_e32 v4, 24, v4
	v_lshlrev_b32_e32 v59, 20, v59
	v_and_b32_e32 v4, 0x80000000, v4
	v_lshl_add_u32 v60, v60, 23, v11
	v_or3_b32 v59, v4, v60, v59
.LBB364_763:                            ;   in Loop: Header=BB364_324 Depth=1
	s_or_b64 exec, exec, s[22:23]
.LBB364_764:                            ;   in Loop: Header=BB364_324 Depth=1
	s_or_b64 exec, exec, s[20:21]
.LBB364_765:                            ;   in Loop: Header=BB364_324 Depth=1
	s_or_b64 exec, exec, s[18:19]
	v_mul_f32_e32 v59, s28, v59
	v_and_b32_e32 v4, 0x7f800000, v59
	v_cmp_ne_u32_e64 s[2:3], s30, v4
                                        ; implicit-def: $vgpr4
	s_and_saveexec_b64 s[18:19], s[2:3]
	s_xor_b64 s[2:3], exec, s[18:19]
; %bb.766:                              ;   in Loop: Header=BB364_324 Depth=1
	v_bfe_u32 v4, v59, 16, 1
	v_add3_u32 v4, v59, v4, s31
                                        ; implicit-def: $vgpr59
; %bb.767:                              ;   in Loop: Header=BB364_324 Depth=1
	s_andn2_saveexec_b64 s[18:19], s[2:3]
; %bb.768:                              ;   in Loop: Header=BB364_324 Depth=1
	v_or_b32_e32 v4, 0x10000, v59
	v_cmp_eq_u32_sdwa s[2:3], v59, v15 src0_sel:WORD_0 src1_sel:DWORD
	v_cndmask_b32_e64 v4, v4, v59, s[2:3]
; %bb.769:                              ;   in Loop: Header=BB364_324 Depth=1
	s_or_b64 exec, exec, s[18:19]
	v_cmp_lt_u64_e64 s[2:3], s[12:13], v[2:3]
	v_mov_b32_e32 v59, 0
	s_and_saveexec_b64 s[18:19], s[2:3]
	s_cbranch_execz .LBB364_775
; %bb.770:                              ;   in Loop: Header=BB364_324 Depth=1
	v_lshrrev_b32_e32 v2, 24, v3
	v_cmp_ne_u32_e64 s[2:3], s34, v2
	v_bfrev_b32_e32 v59, 1
	s_and_saveexec_b64 s[20:21], s[2:3]
	s_cbranch_execz .LBB364_774
; %bb.771:                              ;   in Loop: Header=BB364_324 Depth=1
	v_bfe_u32 v3, v3, 24, 7
	v_cmp_ne_u32_e64 s[2:3], s35, v3
	v_mov_b32_e32 v59, 0x7f800001
	s_and_saveexec_b64 s[22:23], s[2:3]
	s_cbranch_execz .LBB364_773
; %bb.772:                              ;   in Loop: Header=BB364_324 Depth=1
	v_and_b32_e32 v59, 7, v2
	v_ffbh_u32_e32 v60, v59
	v_min_u32_e32 v63, 32, v60
	v_subrev_u32_e32 v60, 28, v63
	v_lshlrev_b64 v[60:61], v60, v[2:3]
	v_lshrrev_b32_e32 v62, 3, v3
	v_sub_u32_e32 v61, 29, v63
	v_and_b32_e32 v60, 7, v60
	v_cmp_gt_u32_e64 s[2:3], 8, v3
	v_cndmask_b32_e64 v3, v62, v61, s[2:3]
	v_cndmask_b32_e64 v59, v59, v60, s[2:3]
	v_lshlrev_b32_e32 v2, 24, v2
	v_lshlrev_b32_e32 v59, 20, v59
	v_and_b32_e32 v2, 0x80000000, v2
	v_lshl_add_u32 v3, v3, 23, v11
	v_or3_b32 v59, v2, v3, v59
.LBB364_773:                            ;   in Loop: Header=BB364_324 Depth=1
	s_or_b64 exec, exec, s[22:23]
.LBB364_774:                            ;   in Loop: Header=BB364_324 Depth=1
	s_or_b64 exec, exec, s[20:21]
.LBB364_775:                            ;   in Loop: Header=BB364_324 Depth=1
	s_or_b64 exec, exec, s[18:19]
	v_mul_f32_e32 v3, s28, v59
	v_and_b32_e32 v2, 0x7f800000, v3
	v_cmp_ne_u32_e64 s[2:3], s30, v2
                                        ; implicit-def: $vgpr2
	s_and_saveexec_b64 s[18:19], s[2:3]
	s_xor_b64 s[2:3], exec, s[18:19]
; %bb.776:                              ;   in Loop: Header=BB364_324 Depth=1
	v_bfe_u32 v2, v3, 16, 1
	v_add3_u32 v2, v3, v2, s31
                                        ; implicit-def: $vgpr3
; %bb.777:                              ;   in Loop: Header=BB364_324 Depth=1
	s_andn2_saveexec_b64 s[18:19], s[2:3]
; %bb.778:                              ;   in Loop: Header=BB364_324 Depth=1
	v_or_b32_e32 v2, 0x10000, v3
	v_cmp_eq_u32_sdwa s[2:3], v3, v15 src0_sel:WORD_0 src1_sel:DWORD
	v_cndmask_b32_e64 v2, v2, v3, s[2:3]
; %bb.779:                              ;   in Loop: Header=BB364_324 Depth=1
	s_or_b64 exec, exec, s[18:19]
	v_lshrrev_b32_e32 v59, 16, v14
	v_lshrrev_b32_e32 v58, 16, v58
	;; [unrolled: 1-line block ×8, first 2 shown]
	s_and_saveexec_b64 s[2:3], s[0:1]
	s_cbranch_execz .LBB364_781
; %bb.780:                              ;   in Loop: Header=BB364_324 Depth=1
	v_cmp_gt_i32_e64 s[0:1], s29, v33
	v_add_u32_e32 v33, -6, v24
	v_cndmask_b32_e64 v3, 0, v3, s[0:1]
	v_cmp_gt_i32_e64 s[0:1], s29, v33
	v_add_u32_e32 v33, -5, v24
	v_cndmask_b32_e64 v14, 0, v14, s[0:1]
	;; [unrolled: 3-line block ×6, first 2 shown]
	v_cmp_gt_i32_e64 s[0:1], s29, v33
	v_cndmask_b32_e64 v4, 0, v4, s[0:1]
	v_cmp_gt_i32_e64 s[0:1], s29, v24
	v_cndmask_b32_e64 v2, 0, v2, s[0:1]
.LBB364_781:                            ;   in Loop: Header=BB364_324 Depth=1
	s_or_b64 exec, exec, s[2:3]
	v_lshlrev_b32_e32 v3, 16, v3
	v_mul_f32_e32 v33, v34, v3
	v_and_b32_e32 v3, 0x7f800000, v33
	v_cmp_ne_u32_e64 s[0:1], s30, v3
                                        ; implicit-def: $vgpr3
	s_and_saveexec_b64 s[2:3], s[0:1]
	s_xor_b64 s[0:1], exec, s[2:3]
; %bb.782:                              ;   in Loop: Header=BB364_324 Depth=1
	v_bfe_u32 v3, v33, 16, 1
	v_add3_u32 v3, v33, v3, s31
                                        ; implicit-def: $vgpr33
; %bb.783:                              ;   in Loop: Header=BB364_324 Depth=1
	s_andn2_saveexec_b64 s[2:3], s[0:1]
; %bb.784:                              ;   in Loop: Header=BB364_324 Depth=1
	v_or_b32_e32 v3, 0x10000, v33
	v_cmp_eq_u32_sdwa s[0:1], v33, v15 src0_sel:WORD_0 src1_sel:DWORD
	v_cndmask_b32_e64 v3, v3, v33, s[0:1]
; %bb.785:                              ;   in Loop: Header=BB364_324 Depth=1
	s_or_b64 exec, exec, s[2:3]
	v_lshlrev_b32_e32 v14, 16, v14
	v_mul_f32_e32 v33, v35, v14
	v_and_b32_e32 v14, 0x7f800000, v33
	v_cmp_ne_u32_e64 s[0:1], s30, v14
                                        ; implicit-def: $vgpr14
	s_and_saveexec_b64 s[2:3], s[0:1]
	s_xor_b64 s[0:1], exec, s[2:3]
; %bb.786:                              ;   in Loop: Header=BB364_324 Depth=1
	v_bfe_u32 v14, v33, 16, 1
	v_add3_u32 v14, v33, v14, s31
                                        ; implicit-def: $vgpr33
; %bb.787:                              ;   in Loop: Header=BB364_324 Depth=1
	s_andn2_saveexec_b64 s[2:3], s[0:1]
; %bb.788:                              ;   in Loop: Header=BB364_324 Depth=1
	v_or_b32_e32 v14, 0x10000, v33
	v_cmp_eq_u32_sdwa s[0:1], v33, v15 src0_sel:WORD_0 src1_sel:DWORD
	v_cndmask_b32_e64 v14, v14, v33, s[0:1]
; %bb.789:                              ;   in Loop: Header=BB364_324 Depth=1
	s_or_b64 exec, exec, s[2:3]
	v_lshlrev_b32_e32 v33, 16, v56
	v_mul_f32_e32 v34, v36, v33
	v_and_b32_e32 v33, 0x7f800000, v34
	v_cmp_ne_u32_e64 s[0:1], s30, v33
                                        ; implicit-def: $vgpr33
	s_and_saveexec_b64 s[2:3], s[0:1]
	s_xor_b64 s[0:1], exec, s[2:3]
; %bb.790:                              ;   in Loop: Header=BB364_324 Depth=1
	v_bfe_u32 v33, v34, 16, 1
	v_add3_u32 v33, v34, v33, s31
                                        ; implicit-def: $vgpr34
; %bb.791:                              ;   in Loop: Header=BB364_324 Depth=1
	s_andn2_saveexec_b64 s[2:3], s[0:1]
; %bb.792:                              ;   in Loop: Header=BB364_324 Depth=1
	v_or_b32_e32 v33, 0x10000, v34
	v_cmp_eq_u32_sdwa s[0:1], v34, v15 src0_sel:WORD_0 src1_sel:DWORD
	v_cndmask_b32_e64 v33, v33, v34, s[0:1]
; %bb.793:                              ;   in Loop: Header=BB364_324 Depth=1
	s_or_b64 exec, exec, s[2:3]
	v_lshlrev_b32_e32 v34, 16, v57
	v_mul_f32_e32 v35, v37, v34
	v_and_b32_e32 v34, 0x7f800000, v35
	v_cmp_ne_u32_e64 s[0:1], s30, v34
                                        ; implicit-def: $vgpr34
	s_and_saveexec_b64 s[2:3], s[0:1]
	s_xor_b64 s[0:1], exec, s[2:3]
; %bb.794:                              ;   in Loop: Header=BB364_324 Depth=1
	v_bfe_u32 v34, v35, 16, 1
	v_add3_u32 v34, v35, v34, s31
                                        ; implicit-def: $vgpr35
; %bb.795:                              ;   in Loop: Header=BB364_324 Depth=1
	s_andn2_saveexec_b64 s[2:3], s[0:1]
; %bb.796:                              ;   in Loop: Header=BB364_324 Depth=1
	v_or_b32_e32 v34, 0x10000, v35
	v_cmp_eq_u32_sdwa s[0:1], v35, v15 src0_sel:WORD_0 src1_sel:DWORD
	v_cndmask_b32_e64 v34, v34, v35, s[0:1]
; %bb.797:                              ;   in Loop: Header=BB364_324 Depth=1
	s_or_b64 exec, exec, s[2:3]
	v_lshlrev_b32_e32 v35, 16, v58
	v_mul_f32_e32 v36, v38, v35
	v_and_b32_e32 v35, 0x7f800000, v36
	v_cmp_ne_u32_e64 s[0:1], s30, v35
                                        ; implicit-def: $vgpr35
	s_and_saveexec_b64 s[2:3], s[0:1]
	s_xor_b64 s[0:1], exec, s[2:3]
; %bb.798:                              ;   in Loop: Header=BB364_324 Depth=1
	v_bfe_u32 v35, v36, 16, 1
	v_add3_u32 v35, v36, v35, s31
                                        ; implicit-def: $vgpr36
; %bb.799:                              ;   in Loop: Header=BB364_324 Depth=1
	s_andn2_saveexec_b64 s[2:3], s[0:1]
; %bb.800:                              ;   in Loop: Header=BB364_324 Depth=1
	v_or_b32_e32 v35, 0x10000, v36
	v_cmp_eq_u32_sdwa s[0:1], v36, v15 src0_sel:WORD_0 src1_sel:DWORD
	v_cndmask_b32_e64 v35, v35, v36, s[0:1]
; %bb.801:                              ;   in Loop: Header=BB364_324 Depth=1
	s_or_b64 exec, exec, s[2:3]
	v_lshlrev_b32_e32 v36, 16, v59
	v_mul_f32_e32 v37, v39, v36
	v_and_b32_e32 v36, 0x7f800000, v37
	v_cmp_ne_u32_e64 s[0:1], s30, v36
                                        ; implicit-def: $vgpr36
	s_and_saveexec_b64 s[2:3], s[0:1]
	s_xor_b64 s[0:1], exec, s[2:3]
; %bb.802:                              ;   in Loop: Header=BB364_324 Depth=1
	v_bfe_u32 v36, v37, 16, 1
	v_add3_u32 v36, v37, v36, s31
                                        ; implicit-def: $vgpr37
; %bb.803:                              ;   in Loop: Header=BB364_324 Depth=1
	s_andn2_saveexec_b64 s[2:3], s[0:1]
; %bb.804:                              ;   in Loop: Header=BB364_324 Depth=1
	v_or_b32_e32 v36, 0x10000, v37
	v_cmp_eq_u32_sdwa s[0:1], v37, v15 src0_sel:WORD_0 src1_sel:DWORD
	v_cndmask_b32_e64 v36, v36, v37, s[0:1]
; %bb.805:                              ;   in Loop: Header=BB364_324 Depth=1
	s_or_b64 exec, exec, s[2:3]
	v_lshlrev_b32_e32 v4, 16, v4
	v_mul_f32_e32 v37, v40, v4
	v_and_b32_e32 v4, 0x7f800000, v37
	v_cmp_ne_u32_e64 s[0:1], s30, v4
                                        ; implicit-def: $vgpr4
	s_and_saveexec_b64 s[2:3], s[0:1]
	s_xor_b64 s[0:1], exec, s[2:3]
; %bb.806:                              ;   in Loop: Header=BB364_324 Depth=1
	v_bfe_u32 v4, v37, 16, 1
	v_add3_u32 v4, v37, v4, s31
                                        ; implicit-def: $vgpr37
; %bb.807:                              ;   in Loop: Header=BB364_324 Depth=1
	s_andn2_saveexec_b64 s[2:3], s[0:1]
; %bb.808:                              ;   in Loop: Header=BB364_324 Depth=1
	v_or_b32_e32 v4, 0x10000, v37
	v_cmp_eq_u32_sdwa s[0:1], v37, v15 src0_sel:WORD_0 src1_sel:DWORD
	v_cndmask_b32_e64 v4, v4, v37, s[0:1]
; %bb.809:                              ;   in Loop: Header=BB364_324 Depth=1
	s_or_b64 exec, exec, s[2:3]
	v_lshlrev_b32_e32 v2, 16, v2
	v_mul_f32_e32 v2, v41, v2
	v_and_b32_e32 v37, 0x7f800000, v2
	v_cmp_ne_u32_e64 s[0:1], s30, v37
                                        ; implicit-def: $vgpr37
	s_and_saveexec_b64 s[2:3], s[0:1]
	s_xor_b64 s[0:1], exec, s[2:3]
; %bb.810:                              ;   in Loop: Header=BB364_324 Depth=1
	v_bfe_u32 v37, v2, 16, 1
	v_add3_u32 v37, v2, v37, s31
                                        ; implicit-def: $vgpr2
; %bb.811:                              ;   in Loop: Header=BB364_324 Depth=1
	s_andn2_saveexec_b64 s[2:3], s[0:1]
	s_cbranch_execz .LBB364_322
; %bb.812:                              ;   in Loop: Header=BB364_324 Depth=1
	v_or_b32_e32 v37, 0x10000, v2
	v_cmp_eq_u32_sdwa s[0:1], v2, v15 src0_sel:WORD_0 src1_sel:DWORD
	v_cndmask_b32_e64 v37, v37, v2, s[0:1]
	s_branch .LBB364_322
.LBB364_813:
	s_or_b64 exec, exec, s[14:15]
.LBB364_814:
	s_or_b64 exec, exec, s[6:7]
	ds_bpermute_b32 v2, v1, v20
	ds_bpermute_b32 v3, v1, v21
	;; [unrolled: 1-line block ×4, first 2 shown]
	v_and_b32_e32 v1, 0x3c0, v0
	v_cmp_eq_u32_e32 vcc, 64, v1
	s_waitcnt lgkmcnt(2)
	v_pk_add_f32 v[4:5], v[20:21], v[2:3]
	s_waitcnt lgkmcnt(0)
	v_pk_add_f32 v[2:3], v[16:17], v[6:7]
	s_barrier
	s_and_saveexec_b64 s[2:3], vcc
	s_cbranch_execz .LBB364_819
; %bb.815:
	v_cmp_eq_u32_e32 vcc, 0, v13
	s_and_saveexec_b64 s[0:1], vcc
	s_cbranch_execz .LBB364_817
; %bb.816:
	v_mov_b32_e32 v1, 0xf0
	v_lshl_add_u32 v1, v19, 2, v1
	ds_write2_b32 v1, v4, v5 offset1:32
	ds_write_b32 v1, v2 offset:256
.LBB364_817:
	s_or_b64 exec, exec, s[0:1]
	v_or_b32_e32 v1, 0x60, v19
	s_movk_i32 s0, 0x70
	v_cmp_gt_u32_e64 s[0:1], s0, v1
	s_and_b64 s[0:1], vcc, s[0:1]
	s_and_b64 exec, exec, s[0:1]
	s_cbranch_execz .LBB364_819
; %bb.818:
	v_mov_b32_e32 v1, 0xf0
	v_lshl_add_u32 v1, v19, 2, v1
	ds_write_b32 v1, v3 offset:384
.LBB364_819:
	s_or_b64 exec, exec, s[2:3]
	v_cmp_gt_u32_e32 vcc, 64, v0
	v_lshrrev_b32_e32 v6, 1, v0
	s_waitcnt lgkmcnt(0)
	s_barrier
	s_and_saveexec_b64 s[6:7], vcc
	s_cbranch_execz .LBB364_827
; %bb.820:
	v_cmp_eq_u32_e64 s[0:1], 0, v13
	s_and_saveexec_b64 s[2:3], s[0:1]
	s_cbranch_execnz .LBB364_849
; %bb.821:
	s_or_b64 exec, exec, s[2:3]
	s_and_saveexec_b64 s[2:3], s[0:1]
	s_cbranch_execnz .LBB364_850
.LBB364_822:
	s_or_b64 exec, exec, s[2:3]
	s_and_saveexec_b64 s[2:3], s[0:1]
	s_cbranch_execz .LBB364_824
.LBB364_823:
	v_mov_b32_e32 v0, 0xf0
	v_lshl_add_u32 v0, v6, 2, v0
	ds_read_b32 v0, v0 offset:256
	s_waitcnt lgkmcnt(0)
	v_add_f32_e32 v2, v2, v0
.LBB364_824:
	s_or_b64 exec, exec, s[2:3]
	v_or_b32_e32 v0, 0x60, v6
	s_movk_i32 s2, 0x70
	v_cmp_gt_u32_e64 s[2:3], s2, v0
	s_and_b64 s[2:3], s[0:1], s[2:3]
	s_and_saveexec_b64 s[0:1], s[2:3]
	s_cbranch_execz .LBB364_826
; %bb.825:
	v_mov_b32_e32 v0, 0xf0
	v_lshl_add_u32 v0, v6, 2, v0
	ds_read_b32 v0, v0 offset:384
	s_waitcnt lgkmcnt(0)
	v_add_f32_e32 v3, v3, v0
.LBB364_826:
	s_or_b64 exec, exec, s[0:1]
.LBB364_827:
	s_or_b64 exec, exec, s[6:7]
	s_barrier
	s_and_saveexec_b64 s[0:1], vcc
	s_cbranch_execz .LBB364_848
; %bb.828:
	s_mul_i32 s0, s4, 0x70
	s_ashr_i32 s1, s0, 31
	s_lshl_b64 s[0:1], s[0:1], 1
	s_add_u32 s2, s26, s0
	s_mul_i32 s0, s25, s24
	s_addc_u32 s3, s27, s1
	s_ashr_i32 s1, s0, 31
	s_lshl_b64 s[0:1], s[0:1], 1
	s_add_u32 s2, s2, s0
	s_mul_i32 s0, s8, 0x70
	s_addc_u32 s3, s3, s1
	s_ashr_i32 s1, s0, 31
	s_lshl_b64 s[0:1], s[0:1], 1
	s_add_u32 s2, s2, s0
	s_addc_u32 s3, s3, s1
	v_cmp_eq_u32_e32 vcc, 0, v13
	s_and_saveexec_b64 s[4:5], vcc
	s_cbranch_execz .LBB364_842
; %bb.829:
	s_mov_b32 s0, 0x7f800000
	v_and_b32_e32 v0, 0x7f800000, v4
	v_cmp_ne_u32_e64 s[0:1], s0, v0
                                        ; implicit-def: $vgpr7
	s_and_saveexec_b64 s[6:7], s[0:1]
	s_xor_b64 s[0:1], exec, s[6:7]
; %bb.830:
	v_bfe_u32 v0, v4, 16, 1
	s_movk_i32 s6, 0x7fff
	v_add3_u32 v7, v4, v0, s6
; %bb.831:
	s_andn2_saveexec_b64 s[6:7], s[0:1]
; %bb.832:
	v_mov_b32_e32 v0, 0
	v_or_b32_e32 v1, 0x10000, v4
	v_cmp_eq_u32_sdwa s[0:1], v4, v0 src0_sel:WORD_0 src1_sel:DWORD
	v_cndmask_b32_e64 v7, v1, v4, s[0:1]
; %bb.833:
	s_or_b64 exec, exec, s[6:7]
	v_lshlrev_b32_e32 v4, 1, v6
	v_mov_b32_e32 v1, s3
	v_add_co_u32_e64 v0, s[0:1], s2, v4
	v_addc_co_u32_e64 v1, s[0:1], 0, v1, s[0:1]
	global_store_short_d16_hi v4, v7, s[2:3]
	s_mov_b32 s0, 0x7f800000
	v_and_b32_e32 v4, 0x7f800000, v5
	v_cmp_ne_u32_e64 s[0:1], s0, v4
                                        ; implicit-def: $vgpr4
	s_and_saveexec_b64 s[6:7], s[0:1]
	s_xor_b64 s[0:1], exec, s[6:7]
; %bb.834:
	v_bfe_u32 v4, v5, 16, 1
	s_movk_i32 s6, 0x7fff
	v_add3_u32 v4, v5, v4, s6
; %bb.835:
	s_andn2_saveexec_b64 s[6:7], s[0:1]
; %bb.836:
	v_mov_b32_e32 v4, 0
	v_or_b32_e32 v7, 0x10000, v5
	v_cmp_eq_u32_sdwa s[0:1], v5, v4 src0_sel:WORD_0 src1_sel:DWORD
	v_cndmask_b32_e64 v4, v7, v5, s[0:1]
; %bb.837:
	s_or_b64 exec, exec, s[6:7]
	global_store_short_d16_hi v[0:1], v4, off offset:64
	s_mov_b32 s0, 0x7f800000
	v_and_b32_e32 v4, 0x7f800000, v2
	v_cmp_ne_u32_e64 s[0:1], s0, v4
                                        ; implicit-def: $vgpr4
	s_and_saveexec_b64 s[6:7], s[0:1]
	s_xor_b64 s[0:1], exec, s[6:7]
; %bb.838:
	v_bfe_u32 v4, v2, 16, 1
	s_movk_i32 s6, 0x7fff
	v_add3_u32 v4, v2, v4, s6
; %bb.839:
	s_andn2_saveexec_b64 s[6:7], s[0:1]
; %bb.840:
	v_mov_b32_e32 v4, 0
	v_or_b32_e32 v5, 0x10000, v2
	v_cmp_eq_u32_sdwa s[0:1], v2, v4 src0_sel:WORD_0 src1_sel:DWORD
	v_cndmask_b32_e64 v4, v5, v2, s[0:1]
; %bb.841:
	s_or_b64 exec, exec, s[6:7]
	global_store_short_d16_hi v[0:1], v4, off offset:128
.LBB364_842:
	s_or_b64 exec, exec, s[4:5]
	v_or_b32_e32 v0, 0x60, v6
	s_movk_i32 s0, 0x70
	v_cmp_gt_u32_e64 s[0:1], s0, v0
	s_and_b64 s[0:1], vcc, s[0:1]
	s_and_b64 exec, exec, s[0:1]
	s_cbranch_execz .LBB364_848
; %bb.843:
	s_mov_b32 s0, 0x7f800000
	v_and_b32_e32 v0, 0x7f800000, v3
	v_cmp_ne_u32_e32 vcc, s0, v0
                                        ; implicit-def: $vgpr4
	s_and_saveexec_b64 s[0:1], vcc
	s_xor_b64 s[0:1], exec, s[0:1]
; %bb.844:
	v_bfe_u32 v0, v3, 16, 1
	s_movk_i32 s4, 0x7fff
	v_add3_u32 v4, v3, v0, s4
                                        ; implicit-def: $vgpr0_vgpr1_vgpr2_vgpr3
; %bb.845:
	s_andn2_saveexec_b64 s[0:1], s[0:1]
; %bb.846:
	v_mov_b32_e32 v0, 0
	v_or_b32_e32 v1, 0x10000, v3
	v_cmp_eq_u32_sdwa vcc, v3, v0 src0_sel:WORD_0 src1_sel:DWORD
	v_cndmask_b32_e32 v4, v1, v3, vcc
; %bb.847:
	s_or_b64 exec, exec, s[0:1]
	v_lshlrev_b32_e32 v0, 1, v6
	global_store_short_d16_hi v0, v4, s[2:3] offset:192
.LBB364_848:
	s_endpgm
.LBB364_849:
	v_mov_b32_e32 v0, 0xf0
	v_lshl_add_u32 v0, v6, 2, v0
	ds_read_b32 v0, v0
	s_waitcnt lgkmcnt(0)
	v_add_f32_e32 v4, v4, v0
	s_or_b64 exec, exec, s[2:3]
	s_and_saveexec_b64 s[2:3], s[0:1]
	s_cbranch_execz .LBB364_822
.LBB364_850:
	v_mov_b32_e32 v0, 0xf0
	v_lshl_add_u32 v0, v6, 2, v0
	ds_read_b32 v0, v0 offset:128
	s_waitcnt lgkmcnt(0)
	v_add_f32_e32 v5, v5, v0
	s_or_b64 exec, exec, s[2:3]
	s_and_saveexec_b64 s[2:3], s[0:1]
	s_cbranch_execnz .LBB364_823
	s_branch .LBB364_824
	.section	.rodata,"a",@progbits
	.p2align	6, 0x0
	.amdhsa_kernel _ZN4vllm25paged_attention_v2_kernelI14__hip_bfloat16hLi112ELi16ELi128ELNS_18Fp8KVCacheDataTypeE1ELb0ELi512EEEvPfS3_PT_PKS4_PKT0_SA_ifPKiSC_iPKfiiiSE_SE_iiiii
		.amdhsa_group_segment_fixed_size 240
		.amdhsa_private_segment_fixed_size 0
		.amdhsa_kernarg_size 400
		.amdhsa_user_sgpr_count 6
		.amdhsa_user_sgpr_private_segment_buffer 1
		.amdhsa_user_sgpr_dispatch_ptr 0
		.amdhsa_user_sgpr_queue_ptr 0
		.amdhsa_user_sgpr_kernarg_segment_ptr 1
		.amdhsa_user_sgpr_dispatch_id 0
		.amdhsa_user_sgpr_flat_scratch_init 0
		.amdhsa_user_sgpr_kernarg_preload_length 0
		.amdhsa_user_sgpr_kernarg_preload_offset 0
		.amdhsa_user_sgpr_private_segment_size 0
		.amdhsa_uses_dynamic_stack 0
		.amdhsa_system_sgpr_private_segment_wavefront_offset 0
		.amdhsa_system_sgpr_workgroup_id_x 1
		.amdhsa_system_sgpr_workgroup_id_y 1
		.amdhsa_system_sgpr_workgroup_id_z 1
		.amdhsa_system_sgpr_workgroup_info 0
		.amdhsa_system_vgpr_workitem_id 0
		.amdhsa_next_free_vgpr 82
		.amdhsa_next_free_sgpr 53
		.amdhsa_accum_offset 84
		.amdhsa_reserve_vcc 1
		.amdhsa_reserve_flat_scratch 0
		.amdhsa_float_round_mode_32 0
		.amdhsa_float_round_mode_16_64 0
		.amdhsa_float_denorm_mode_32 3
		.amdhsa_float_denorm_mode_16_64 3
		.amdhsa_dx10_clamp 1
		.amdhsa_ieee_mode 1
		.amdhsa_fp16_overflow 0
		.amdhsa_tg_split 0
		.amdhsa_exception_fp_ieee_invalid_op 0
		.amdhsa_exception_fp_denorm_src 0
		.amdhsa_exception_fp_ieee_div_zero 0
		.amdhsa_exception_fp_ieee_overflow 0
		.amdhsa_exception_fp_ieee_underflow 0
		.amdhsa_exception_fp_ieee_inexact 0
		.amdhsa_exception_int_div_zero 0
	.end_amdhsa_kernel
	.section	.text._ZN4vllm25paged_attention_v2_kernelI14__hip_bfloat16hLi112ELi16ELi128ELNS_18Fp8KVCacheDataTypeE1ELb0ELi512EEEvPfS3_PT_PKS4_PKT0_SA_ifPKiSC_iPKfiiiSE_SE_iiiii,"axG",@progbits,_ZN4vllm25paged_attention_v2_kernelI14__hip_bfloat16hLi112ELi16ELi128ELNS_18Fp8KVCacheDataTypeE1ELb0ELi512EEEvPfS3_PT_PKS4_PKT0_SA_ifPKiSC_iPKfiiiSE_SE_iiiii,comdat
.Lfunc_end364:
	.size	_ZN4vllm25paged_attention_v2_kernelI14__hip_bfloat16hLi112ELi16ELi128ELNS_18Fp8KVCacheDataTypeE1ELb0ELi512EEEvPfS3_PT_PKS4_PKT0_SA_ifPKiSC_iPKfiiiSE_SE_iiiii, .Lfunc_end364-_ZN4vllm25paged_attention_v2_kernelI14__hip_bfloat16hLi112ELi16ELi128ELNS_18Fp8KVCacheDataTypeE1ELb0ELi512EEEvPfS3_PT_PKS4_PKT0_SA_ifPKiSC_iPKfiiiSE_SE_iiiii
                                        ; -- End function
	.section	.AMDGPU.csdata,"",@progbits
; Kernel info:
; codeLenInByte = 24580
; NumSgprs: 57
; NumVgprs: 82
; NumAgprs: 0
; TotalNumVgprs: 82
; ScratchSize: 0
; MemoryBound: 0
; FloatMode: 240
; IeeeMode: 1
; LDSByteSize: 240 bytes/workgroup (compile time only)
; SGPRBlocks: 7
; VGPRBlocks: 10
; NumSGPRsForWavesPerEU: 57
; NumVGPRsForWavesPerEU: 82
; AccumOffset: 84
; Occupancy: 5
; WaveLimiterHint : 1
; COMPUTE_PGM_RSRC2:SCRATCH_EN: 0
; COMPUTE_PGM_RSRC2:USER_SGPR: 6
; COMPUTE_PGM_RSRC2:TRAP_HANDLER: 0
; COMPUTE_PGM_RSRC2:TGID_X_EN: 1
; COMPUTE_PGM_RSRC2:TGID_Y_EN: 1
; COMPUTE_PGM_RSRC2:TGID_Z_EN: 1
; COMPUTE_PGM_RSRC2:TIDIG_COMP_CNT: 0
; COMPUTE_PGM_RSRC3_GFX90A:ACCUM_OFFSET: 20
; COMPUTE_PGM_RSRC3_GFX90A:TG_SPLIT: 0
	.text
	.p2align	2                               ; -- Begin function _ZN4vllm22paged_attention_kernelI14__hip_bfloat16hLi120ELi16ELi128ELNS_18Fp8KVCacheDataTypeE1ELb0ELi512EEEvPfS3_PT_PKS4_PKT0_SA_ifPKiSC_iPKfiiiSE_SE_iiiii
	.type	_ZN4vllm22paged_attention_kernelI14__hip_bfloat16hLi120ELi16ELi128ELNS_18Fp8KVCacheDataTypeE1ELb0ELi512EEEvPfS3_PT_PKS4_PKT0_SA_ifPKiSC_iPKfiiiSE_SE_iiiii,@function
_ZN4vllm22paged_attention_kernelI14__hip_bfloat16hLi120ELi16ELi128ELNS_18Fp8KVCacheDataTypeE1ELb0ELi512EEEvPfS3_PT_PKS4_PKT0_SA_ifPKiSC_iPKfiiiSE_SE_iiiii: ; @_ZN4vllm22paged_attention_kernelI14__hip_bfloat16hLi120ELi16ELi128ELNS_18Fp8KVCacheDataTypeE1ELb0ELi512EEEvPfS3_PT_PKS4_PKT0_SA_ifPKiSC_iPKfiiiSE_SE_iiiii
; %bb.0:
	s_waitcnt vmcnt(0) expcnt(0) lgkmcnt(0)
	s_or_saveexec_b64 s[4:5], -1
	buffer_store_dword v63, off, s[0:3], s32 offset:128 ; 4-byte Folded Spill
	s_mov_b64 exec, s[4:5]
	buffer_store_dword v40, off, s[0:3], s32 offset:124 ; 4-byte Folded Spill
	buffer_store_dword v41, off, s[0:3], s32 offset:120 ; 4-byte Folded Spill
	;; [unrolled: 1-line block ×31, first 2 shown]
	buffer_store_dword a48, off, s[0:3], s32 ; 4-byte Folded Spill
	v_writelane_b32 v63, s34, 0
	v_writelane_b32 v63, s35, 1
	;; [unrolled: 1-line block ×8, first 2 shown]
	s_mov_b32 s22, s13
	s_ashr_i32 s23, s13, 31
	s_lshl_b64 s[4:5], s[22:23], 2
	v_mov_b32_e32 v36, v1
	v_mov_b32_e32 v37, v0
	;; [unrolled: 1-line block ×3, first 2 shown]
	v_add_co_u32_e32 v0, vcc, s4, v16
	v_addc_co_u32_e32 v1, vcc, v17, v1, vcc
	flat_load_dword v32, v[0:1]
	v_accvgpr_write_b32 a2, v26
	s_lshl_b32 s23, s14, 9
	v_accvgpr_write_b32 a3, v27
	v_mov_b32_e32 v29, v20
	v_mov_b32_e32 v28, v19
	;; [unrolled: 1-line block ×7, first 2 shown]
	s_waitcnt vmcnt(0) lgkmcnt(0)
	v_cmp_lt_i32_e32 vcc, s23, v32
	s_and_saveexec_b64 s[16:17], vcc
	s_cbranch_execz .LBB365_868
; %bb.1:
	v_sub_u32_e32 v0, 0, v12
	v_max_i32_e32 v0, v12, v0
	v_cvt_f32_u32_e32 v1, v0
	s_load_dword s4, s[8:9], 0x10
	s_load_dword s6, s[8:9], 0x0
	v_sub_u32_e32 v3, 0, v0
	s_mov_b32 s18, s15
	v_rcp_iflag_f32_e32 v1, v1
	s_waitcnt lgkmcnt(0)
	s_lshr_b32 s4, s4, 16
	s_cmp_lg_u32 s4, 0
	s_cselect_b64 s[4:5], -1, 0
	v_mul_f32_e32 v1, 0x4f7ffffe, v1
	v_cvt_u32_f32_e32 v1, v1
	s_cmp_lg_u64 s[4:5], 0
	s_addc_u32 s15, s6, 0
	s_abs_i32 s4, s15
	v_mul_lo_u32 v3, v3, v1
	v_mul_hi_u32 v3, v1, v3
	v_add_u32_e32 v1, v1, v3
	v_mul_hi_u32 v1, s4, v1
	v_mul_lo_u32 v3, v1, v0
	v_sub_u32_e32 v3, s4, v3
	v_add_u32_e32 v4, 1, v1
	v_cmp_ge_u32_e32 vcc, v3, v0
	v_cndmask_b32_e32 v1, v1, v4, vcc
	v_sub_u32_e32 v4, v3, v0
	v_cndmask_b32_e32 v3, v3, v4, vcc
	v_accvgpr_write_b32 a13, v2
	v_xor_b32_e32 v2, s15, v12
	v_add_u32_e32 v4, 1, v1
	v_cmp_ge_u32_e32 vcc, v3, v0
	v_ashrrev_i32_e32 v2, 31, v2
	v_cndmask_b32_e32 v0, v1, v4, vcc
	v_xor_b32_e32 v0, v0, v2
	v_sub_u32_e32 v0, v0, v2
	v_sub_u32_e32 v1, 0, v0
	v_max_i32_e32 v1, v0, v1
	v_cvt_f32_u32_e32 v2, v1
	v_sub_u32_e32 v3, 0, v1
	s_abs_i32 s6, s12
	v_cmp_ne_u64_e32 vcc, 0, v[28:29]
	v_rcp_iflag_f32_e32 v2, v2
	v_mov_b32_e32 v39, 0
	v_mul_f32_e32 v2, 0x4f7ffffe, v2
	v_cvt_u32_f32_e32 v2, v2
	v_mul_lo_u32 v3, v3, v2
	v_mul_hi_u32 v3, v2, v3
	v_add_u32_e32 v2, v2, v3
	v_mad_u64_u32 v[16:17], s[4:5], s6, v2, 0
	s_and_saveexec_b64 s[4:5], vcc
	s_cbranch_execz .LBB365_3
; %bb.2:
	s_ashr_i32 s13, s12, 31
	s_lshl_b64 s[10:11], s[12:13], 2
	v_mov_b32_e32 v3, s11
	v_add_co_u32_e32 v2, vcc, s10, v28
	v_addc_co_u32_e32 v3, vcc, v29, v3, vcc
	flat_load_dword v39, v[2:3]
.LBB365_3:
	s_or_b64 exec, exec, s[4:5]
	v_and_b32_e32 v27, 0x3ff, v31
	s_ashr_i32 s7, s12, 31
	v_ashrrev_i32_e32 v2, 31, v0
	v_and_b32_e32 v0, 3, v27
	s_mul_i32 s20, s12, 0x78
	v_cmp_gt_u32_e32 vcc, 60, v27
	s_and_saveexec_b64 s[4:5], vcc
	s_cbranch_execz .LBB365_5
; %bb.4:
	v_mul_lo_u32 v4, s22, v21
	v_ashrrev_i32_e32 v5, 31, v4
	v_lshlrev_b64 v[4:5], 1, v[4:5]
	v_add_co_u32_e32 v3, vcc, v6, v4
	s_ashr_i32 s21, s20, 31
	v_addc_co_u32_e32 v4, vcc, v7, v5, vcc
	s_lshl_b64 s[10:11], s[20:21], 1
	v_mov_b32_e32 v5, s11
	v_add_co_u32_e32 v3, vcc, s10, v3
	v_addc_co_u32_e32 v5, vcc, v4, v5, vcc
	v_lshlrev_b32_e32 v4, 2, v27
	v_add_co_u32_e32 v4, vcc, v3, v4
	v_addc_co_u32_e32 v5, vcc, 0, v5, vcc
	flat_load_dword v3, v[4:5]
	v_and_b32_e32 v4, 0x3fc, v27
	v_mad_u32_u24 v4, v0, 60, v4
	s_waitcnt vmcnt(0) lgkmcnt(0)
	ds_write_b32 v4, v3
.LBB365_5:
	s_or_b64 exec, exec, s[4:5]
	v_add_u32_e32 v3, 15, v32
	v_ashrrev_i32_e32 v4, 31, v3
	v_lshrrev_b32_e32 v4, 28, v4
	v_add_u32_e32 v3, v3, v4
	v_ashrrev_i32_e32 v29, 4, v3
	v_mul_lo_u32 v3, v17, v1
	v_sub_u32_e32 v3, s6, v3
	v_add_u32_e32 v4, 1, v17
	v_cmp_ge_u32_e32 vcc, v3, v1
	v_sub_u32_e32 v5, v3, v1
	v_cndmask_b32_e32 v4, v17, v4, vcc
	v_cndmask_b32_e32 v3, v3, v5, vcc
	s_lshl_b32 s21, s14, 5
	v_add_u32_e32 v5, 1, v4
	v_cmp_ge_u32_e32 vcc, v3, v1
	s_add_i32 s4, s21, 32
	v_lshrrev_b32_e32 v28, 6, v27
	v_xor_b32_e32 v2, s7, v2
	v_cndmask_b32_e32 v1, v4, v5, vcc
	v_min_i32_e32 v10, s4, v29
	v_xor_b32_e32 v1, v1, v2
	v_mul_lo_u32 v6, s22, v18
	v_or_b32_e32 v16, s21, v28
	v_sub_u32_e32 v2, v1, v2
	v_ashrrev_i32_e32 v7, 31, v6
	v_cmp_lt_i32_e64 s[4:5], v16, v10
	v_accvgpr_write_b32 a5, v10
	v_cmp_ge_i32_e32 vcc, v16, v10
	v_mbcnt_lo_u32_b32 v1, -1, 0
	s_waitcnt lgkmcnt(0)
	s_barrier
	s_waitcnt lgkmcnt(0)
                                        ; implicit-def: $sgpr19
                                        ; implicit-def: $vgpr33
                                        ; implicit-def: $vgpr12
	s_and_saveexec_b64 s[6:7], vcc
	s_xor_b64 s[6:7], exec, s[6:7]
; %bb.6:
	v_mbcnt_hi_u32_b32 v33, -1, v1
	v_and_b32_e32 v0, 64, v33
	v_add_u32_e32 v12, 64, v0
	s_mov_b32 s19, 0xff7fffff
                                        ; implicit-def: $vgpr39
                                        ; implicit-def: $vgpr13
                                        ; implicit-def: $vgpr24
                                        ; implicit-def: $vgpr8
                                        ; implicit-def: $vgpr9
                                        ; implicit-def: $vgpr0
                                        ; implicit-def: $vgpr1
; %bb.7:
	s_or_saveexec_b64 s[10:11], s[6:7]
	s_load_dword s36, s[8:9], 0x14
	s_load_dword s13, s[8:9], 0x8
	v_mul_lo_u32 v2, v2, v23
	v_accvgpr_write_b32 a18, v2
	v_ashrrev_i32_e32 v2, 31, v2
	v_accvgpr_write_b32 a19, v2
	v_lshlrev_b64 v[2:3], 2, v[6:7]
	v_accvgpr_write_b32 a17, v3
	v_mov_b32_e32 v35, s19
	v_ashrrev_i32_e32 v17, 31, v16
	v_accvgpr_write_b32 a16, v2
	s_xor_b64 exec, exec, s[10:11]
	s_cbranch_execz .LBB365_313
; %bb.8:
	v_accvgpr_read_b32 v2, a18
	v_bfe_u32 v12, v27, 2, 4
	v_add_co_u32_e32 v2, vcc, v8, v2
	v_accvgpr_read_b32 v3, a19
	v_addc_co_u32_e32 v3, vcc, v9, v3, vcc
	v_lshlrev_b32_e32 v4, 4, v12
	v_add_co_u32_e32 v8, vcc, v2, v4
	v_mul_u32_u24_e32 v18, 60, v0
	v_addc_co_u32_e32 v9, vcc, 0, v3, vcc
	ds_read2_b32 v[2:3], v18 offset1:1
	v_lshlrev_b32_e32 v4, 1, v0
	v_accvgpr_write_b32 a22, v4
	ds_read2_b32 v[4:5], v18 offset0:2 offset1:3
	ds_read2_b32 v[6:7], v18 offset0:4 offset1:5
	;; [unrolled: 1-line block ×3, first 2 shown]
	v_mbcnt_hi_u32_b32 v33, -1, v1
	s_waitcnt lgkmcnt(0)
	v_lshlrev_b32_e32 v62, 16, v2
	v_and_b32_e32 v2, 0xffff0000, v2
	v_accvgpr_write_b32 a23, v2
	v_lshlrev_b32_e32 v2, 16, v3
	v_accvgpr_write_b32 a24, v2
	v_and_b32_e32 v2, 0xffff0000, v3
	v_accvgpr_write_b32 a25, v2
	v_lshlrev_b32_e32 v2, 16, v4
	v_accvgpr_write_b32 a26, v2
	;; [unrolled: 4-line block ×7, first 2 shown]
	ds_read2_b32 v[2:3], v18 offset0:8 offset1:9
	v_and_b32_e32 v4, 0xffff0000, v11
	v_accvgpr_write_b32 a37, v4
	ds_read2_b32 v[4:5], v18 offset0:10 offset1:11
	ds_read2_b32 v[6:7], v18 offset0:12 offset1:13
	ds_read_b32 v10, v18 offset:56
	v_and_b32_e32 v1, 64, v33
	s_waitcnt lgkmcnt(0)
	v_lshlrev_b32_e32 v11, 16, v2
	v_and_b32_e32 v2, 0xffff0000, v2
	v_accvgpr_write_b32 a39, v2
	v_lshlrev_b32_e32 v2, 16, v3
	v_accvgpr_write_b32 a40, v2
	v_and_b32_e32 v2, 0xffff0000, v3
	v_accvgpr_write_b32 a41, v2
	v_lshlrev_b32_e32 v2, 16, v4
	v_accvgpr_write_b32 a42, v2
	;; [unrolled: 4-line block ×4, first 2 shown]
	v_and_b32_e32 v2, 0xffff0000, v6
	v_accvgpr_write_b32 a47, v2
	v_add_u32_e32 v2, 64, v1
	v_xor_b32_e32 v1, 2, v33
	v_cmp_lt_i32_e32 vcc, v1, v2
	v_cndmask_b32_e32 v1, v33, v1, vcc
	v_accvgpr_write_b32 a38, v11
	v_lshlrev_b32_e32 v11, 2, v1
	v_xor_b32_e32 v1, 1, v33
	s_ashr_i32 s19, s18, 31
	v_cmp_lt_i32_e32 vcc, v1, v2
	s_lshl_b64 s[8:9], s[18:19], 2
	v_cndmask_b32_e32 v1, v33, v1, vcc
	s_getpc_b64 s[24:25]
	s_add_u32 s24, s24, llvm.amdgcn.dynlds.offset.table@rel32@lo+4
	s_addc_u32 s25, s25, llvm.amdgcn.dynlds.offset.table@rel32@hi+12
	v_accvgpr_write_b32 a11, v37
	v_accvgpr_write_b32 a10, v36
	v_lshlrev_b32_e32 v37, 16, v7
	v_and_b32_e32 v6, 0xffff0000, v7
	v_lshlrev_b32_e32 v7, 16, v10
	v_and_b32_e32 v36, 0xffff0000, v10
	v_accvgpr_write_b32 a20, v2
	v_lshlrev_b32_e32 v10, 2, v1
	v_cmp_eq_u32_e32 vcc, 0, v0
	s_add_u32 s24, s8, s24
	v_lshlrev_b64 v[0:1], 2, v[16:17]
	v_accvgpr_read_b32 v2, a16
	s_addc_u32 s25, s9, s25
	v_accvgpr_read_b32 v3, a17
	v_add_co_u32_e64 v0, s[8:9], v2, v0
	v_addc_co_u32_e64 v1, s[8:9], v3, v1, s[8:9]
	v_add_co_u32_e64 v18, s[8:9], v14, v0
	v_sub_u32_e32 v0, 1, v32
	v_accvgpr_write_b32 a12, v19
	v_addc_co_u32_e64 v19, s[8:9], v15, v1, s[8:9]
	v_accvgpr_write_b32 a48, v0
	v_lshlrev_b32_e32 v0, 4, v28
	v_lshlrev_b32_e32 v1, 2, v12
	v_accvgpr_write_b32 a15, v29
	v_accvgpr_write_b32 a9, v34
	;; [unrolled: 1-line block ×6, first 2 shown]
	v_mov_b32_e32 v23, 0
	s_waitcnt vmcnt(0)
	v_cmp_neq_f32_e64 s[6:7], 0, v39
	v_accvgpr_write_b32 a7, v14
	v_accvgpr_write_b32 a6, v15
	v_add3_u32 v0, s23, v0, v12
	v_accvgpr_write_b32 a14, v28
	v_lshl_or_b32 v3, v28, 6, v1
	s_mov_b64 s[26:27], 0
	v_mov_b32_e32 v35, 0xff7fffff
	s_movk_i32 s19, 0x80
	s_movk_i32 s37, 0x7f
	s_mov_b32 s38, 0x7f800000
	s_movk_i32 s39, 0x7fff
	v_bfrev_b32_e32 v2, 60
	v_mov_b32_e32 v29, v16
	v_accvgpr_write_b32 a21, v62
	s_branch .LBB365_10
.LBB365_9:                              ;   in Loop: Header=BB365_10 Depth=1
	s_or_b64 exec, exec, s[28:29]
	v_add_co_u32_e64 v18, s[8:9], 8, v18
	v_add_u32_e32 v29, 2, v29
	v_addc_co_u32_e64 v19, s[8:9], 0, v19, s[8:9]
	v_accvgpr_read_b32 v1, a5
	v_cmp_ge_i32_e64 s[8:9], v29, v1
	v_add_u32_e32 v0, 32, v0
	s_or_b64 s[26:27], s[8:9], s[26:27]
	v_add_u32_e32 v3, 0x80, v3
	s_andn2_b64 exec, exec, s[26:27]
	s_cbranch_execz .LBB365_312
.LBB365_10:                             ; =>This Inner Loop Header: Depth=1
	flat_load_dword v1, v[18:19]
	v_accvgpr_read_b32 v4, a22
	s_waitcnt lgkmcnt(0)
	v_mov_b32_e32 v12, 0
	s_waitcnt vmcnt(0) lgkmcnt(0)
	v_mad_i64_i32 v[14:15], s[8:9], v1, v22, v[8:9]
	v_add_co_u32_e64 v20, s[8:9], v14, v4
	v_addc_co_u32_e64 v21, s[8:9], 0, v15, s[8:9]
	flat_load_ushort v4, v[20:21]
	flat_load_dword v1, v[24:25]
	s_waitcnt vmcnt(0) lgkmcnt(0)
	v_and_b32_e32 v28, 0xffff, v4
	v_cmp_ne_u16_sdwa s[8:9], v4, v23 src0_sel:BYTE_0 src1_sel:DWORD
	s_and_saveexec_b64 s[28:29], s[8:9]
	s_cbranch_execz .LBB365_16
; %bb.11:                               ;   in Loop: Header=BB365_10 Depth=1
	v_cmp_ne_u16_sdwa s[8:9], v28, s19 src0_sel:BYTE_0 src1_sel:DWORD
	v_bfrev_b32_e32 v12, 1
	s_and_saveexec_b64 s[30:31], s[8:9]
	s_cbranch_execz .LBB365_15
; %bb.12:                               ;   in Loop: Header=BB365_10 Depth=1
	v_and_b32_e32 v14, 0x7f, v28
	v_cmp_ne_u32_e64 s[8:9], s37, v14
	v_mov_b32_e32 v12, 0x7f800001
	s_and_saveexec_b64 s[34:35], s[8:9]
	s_cbranch_execz .LBB365_14
; %bb.13:                               ;   in Loop: Header=BB365_10 Depth=1
	v_and_b32_e32 v4, 7, v28
	v_ffbh_u32_e32 v12, v4
	v_min_u32_e32 v12, 32, v12
	v_subrev_u32_e32 v15, 28, v12
	v_lshlrev_b64 v[26:27], v15, v[28:29]
	v_lshrrev_b32_e32 v5, 3, v14
	v_sub_u32_e32 v12, 29, v12
	v_and_b32_e32 v15, 7, v26
	v_cmp_gt_u32_e64 s[8:9], 8, v14
	v_cndmask_b32_e64 v5, v5, v12, s[8:9]
	v_cndmask_b32_e64 v4, v4, v15, s[8:9]
	v_lshlrev_b32_e32 v12, 24, v28
	v_lshlrev_b32_e32 v4, 20, v4
	v_and_b32_e32 v12, 0x80000000, v12
	v_lshl_add_u32 v5, v5, 23, v2
	v_or3_b32 v12, v12, v5, v4
.LBB365_14:                             ;   in Loop: Header=BB365_10 Depth=1
	s_or_b64 exec, exec, s[34:35]
.LBB365_15:                             ;   in Loop: Header=BB365_10 Depth=1
	s_or_b64 exec, exec, s[30:31]
.LBB365_16:                             ;   in Loop: Header=BB365_10 Depth=1
	s_or_b64 exec, exec, s[28:29]
	v_mul_f32_e32 v12, v1, v12
	v_and_b32_e32 v4, 0x7f800000, v12
	v_cmp_ne_u32_e64 s[8:9], s38, v4
                                        ; implicit-def: $vgpr15
	s_and_saveexec_b64 s[28:29], s[8:9]
	s_xor_b64 s[8:9], exec, s[28:29]
; %bb.17:                               ;   in Loop: Header=BB365_10 Depth=1
	v_bfe_u32 v4, v12, 16, 1
	v_add3_u32 v15, v12, v4, s39
                                        ; implicit-def: $vgpr12
; %bb.18:                               ;   in Loop: Header=BB365_10 Depth=1
	s_andn2_saveexec_b64 s[28:29], s[8:9]
; %bb.19:                               ;   in Loop: Header=BB365_10 Depth=1
	v_or_b32_e32 v4, 0x10000, v12
	v_cmp_eq_u32_sdwa s[8:9], v12, v23 src0_sel:WORD_0 src1_sel:DWORD
	v_cndmask_b32_e64 v15, v4, v12, s[8:9]
; %bb.20:                               ;   in Loop: Header=BB365_10 Depth=1
	s_or_b64 exec, exec, s[28:29]
	v_lshrrev_b16_e32 v30, 8, v28
	v_cmp_ne_u16_e64 s[8:9], 0, v30
	v_mov_b32_e32 v12, 0
	s_and_saveexec_b64 s[28:29], s[8:9]
	s_cbranch_execz .LBB365_26
; %bb.21:                               ;   in Loop: Header=BB365_10 Depth=1
	v_cmp_ne_u16_e64 s[8:9], s19, v30
	v_bfrev_b32_e32 v12, 1
	s_and_saveexec_b64 s[30:31], s[8:9]
	s_cbranch_execz .LBB365_25
; %bb.22:                               ;   in Loop: Header=BB365_10 Depth=1
	v_and_b32_e32 v14, 0x7f, v30
	v_cmp_ne_u32_e64 s[8:9], s37, v14
	v_mov_b32_e32 v12, 0x7f800001
	s_and_saveexec_b64 s[34:35], s[8:9]
	s_cbranch_execz .LBB365_24
; %bb.23:                               ;   in Loop: Header=BB365_10 Depth=1
	v_and_b32_e32 v4, 7, v30
	v_ffbh_u32_e32 v12, v4
	v_min_u32_e32 v12, 32, v12
	v_subrev_u32_e32 v26, 28, v12
	v_lshlrev_b64 v[26:27], v26, v[30:31]
	v_lshrrev_b32_e32 v5, 3, v14
	v_sub_u32_e32 v12, 29, v12
	v_and_b32_e32 v26, 7, v26
	v_cmp_gt_u32_e64 s[8:9], 8, v14
	v_cndmask_b32_e64 v5, v5, v12, s[8:9]
	v_cndmask_b32_e64 v4, v4, v26, s[8:9]
	v_lshlrev_b32_e32 v12, 16, v28
	v_lshlrev_b32_e32 v4, 20, v4
	v_and_b32_e32 v12, 0x80000000, v12
	v_lshl_add_u32 v5, v5, 23, v2
	v_or3_b32 v12, v12, v5, v4
.LBB365_24:                             ;   in Loop: Header=BB365_10 Depth=1
	s_or_b64 exec, exec, s[34:35]
.LBB365_25:                             ;   in Loop: Header=BB365_10 Depth=1
	s_or_b64 exec, exec, s[30:31]
.LBB365_26:                             ;   in Loop: Header=BB365_10 Depth=1
	s_or_b64 exec, exec, s[28:29]
	v_mul_f32_e32 v12, v1, v12
	v_and_b32_e32 v4, 0x7f800000, v12
	v_cmp_ne_u32_e64 s[8:9], s38, v4
                                        ; implicit-def: $vgpr14
	s_and_saveexec_b64 s[28:29], s[8:9]
	s_xor_b64 s[8:9], exec, s[28:29]
; %bb.27:                               ;   in Loop: Header=BB365_10 Depth=1
	v_bfe_u32 v4, v12, 16, 1
	v_add3_u32 v14, v12, v4, s39
                                        ; implicit-def: $vgpr12
; %bb.28:                               ;   in Loop: Header=BB365_10 Depth=1
	s_andn2_saveexec_b64 s[28:29], s[8:9]
; %bb.29:                               ;   in Loop: Header=BB365_10 Depth=1
	v_or_b32_e32 v4, 0x10000, v12
	v_cmp_eq_u32_sdwa s[8:9], v12, v23 src0_sel:WORD_0 src1_sel:DWORD
	v_cndmask_b32_e64 v14, v4, v12, s[8:9]
; %bb.30:                               ;   in Loop: Header=BB365_10 Depth=1
	s_or_b64 exec, exec, s[28:29]
	flat_load_ushort v4, v[20:21] offset:8
	v_mov_b32_e32 v12, 0
	s_waitcnt vmcnt(0) lgkmcnt(0)
	v_and_b32_e32 v28, 0xffff, v4
	v_cmp_ne_u16_sdwa s[8:9], v4, v23 src0_sel:BYTE_0 src1_sel:DWORD
	s_and_saveexec_b64 s[28:29], s[8:9]
	s_cbranch_execz .LBB365_36
; %bb.31:                               ;   in Loop: Header=BB365_10 Depth=1
	v_cmp_ne_u16_sdwa s[8:9], v28, s19 src0_sel:BYTE_0 src1_sel:DWORD
	v_bfrev_b32_e32 v12, 1
	s_and_saveexec_b64 s[30:31], s[8:9]
	s_cbranch_execz .LBB365_35
; %bb.32:                               ;   in Loop: Header=BB365_10 Depth=1
	v_and_b32_e32 v26, 0x7f, v28
	v_cmp_ne_u32_e64 s[8:9], s37, v26
	v_mov_b32_e32 v12, 0x7f800001
	s_and_saveexec_b64 s[34:35], s[8:9]
	s_cbranch_execz .LBB365_34
; %bb.33:                               ;   in Loop: Header=BB365_10 Depth=1
	v_and_b32_e32 v4, 7, v28
	v_ffbh_u32_e32 v12, v4
	v_min_u32_e32 v12, 32, v12
	v_subrev_u32_e32 v27, 28, v12
	v_lshlrev_b64 v[30:31], v27, v[28:29]
	v_lshrrev_b32_e32 v5, 3, v26
	v_sub_u32_e32 v12, 29, v12
	v_and_b32_e32 v27, 7, v30
	v_cmp_gt_u32_e64 s[8:9], 8, v26
	v_cndmask_b32_e64 v5, v5, v12, s[8:9]
	v_cndmask_b32_e64 v4, v4, v27, s[8:9]
	v_lshlrev_b32_e32 v12, 24, v28
	v_lshlrev_b32_e32 v4, 20, v4
	v_and_b32_e32 v12, 0x80000000, v12
	v_lshl_add_u32 v5, v5, 23, v2
	v_or3_b32 v12, v12, v5, v4
.LBB365_34:                             ;   in Loop: Header=BB365_10 Depth=1
	s_or_b64 exec, exec, s[34:35]
.LBB365_35:                             ;   in Loop: Header=BB365_10 Depth=1
	s_or_b64 exec, exec, s[30:31]
.LBB365_36:                             ;   in Loop: Header=BB365_10 Depth=1
	s_or_b64 exec, exec, s[28:29]
	v_mul_f32_e32 v12, v1, v12
	v_and_b32_e32 v4, 0x7f800000, v12
	v_cmp_ne_u32_e64 s[8:9], s38, v4
                                        ; implicit-def: $vgpr31
	s_and_saveexec_b64 s[28:29], s[8:9]
	s_xor_b64 s[8:9], exec, s[28:29]
; %bb.37:                               ;   in Loop: Header=BB365_10 Depth=1
	v_bfe_u32 v4, v12, 16, 1
	v_add3_u32 v31, v12, v4, s39
                                        ; implicit-def: $vgpr12
; %bb.38:                               ;   in Loop: Header=BB365_10 Depth=1
	s_andn2_saveexec_b64 s[28:29], s[8:9]
; %bb.39:                               ;   in Loop: Header=BB365_10 Depth=1
	v_or_b32_e32 v4, 0x10000, v12
	v_cmp_eq_u32_sdwa s[8:9], v12, v23 src0_sel:WORD_0 src1_sel:DWORD
	v_cndmask_b32_e64 v31, v4, v12, s[8:9]
; %bb.40:                               ;   in Loop: Header=BB365_10 Depth=1
	s_or_b64 exec, exec, s[28:29]
	v_lshrrev_b16_e32 v30, 8, v28
	v_cmp_ne_u16_e64 s[8:9], 0, v30
	v_mov_b32_e32 v12, 0
	s_and_saveexec_b64 s[28:29], s[8:9]
	s_cbranch_execz .LBB365_46
; %bb.41:                               ;   in Loop: Header=BB365_10 Depth=1
	v_cmp_ne_u16_e64 s[8:9], s19, v30
	v_bfrev_b32_e32 v12, 1
	s_and_saveexec_b64 s[30:31], s[8:9]
	s_cbranch_execz .LBB365_45
; %bb.42:                               ;   in Loop: Header=BB365_10 Depth=1
	v_and_b32_e32 v26, 0x7f, v30
	v_cmp_ne_u32_e64 s[8:9], s37, v26
	v_mov_b32_e32 v12, 0x7f800001
	s_and_saveexec_b64 s[34:35], s[8:9]
	s_cbranch_execz .LBB365_44
; %bb.43:                               ;   in Loop: Header=BB365_10 Depth=1
	v_and_b32_e32 v4, 7, v30
	v_ffbh_u32_e32 v12, v4
	v_min_u32_e32 v12, 32, v12
	v_subrev_u32_e32 v27, 28, v12
	v_lshlrev_b64 v[48:49], v27, v[30:31]
	v_lshrrev_b32_e32 v5, 3, v26
	v_sub_u32_e32 v12, 29, v12
	v_and_b32_e32 v27, 7, v48
	v_cmp_gt_u32_e64 s[8:9], 8, v26
	v_cndmask_b32_e64 v5, v5, v12, s[8:9]
	v_cndmask_b32_e64 v4, v4, v27, s[8:9]
	v_lshlrev_b32_e32 v12, 16, v28
	v_lshlrev_b32_e32 v4, 20, v4
	v_and_b32_e32 v12, 0x80000000, v12
	v_lshl_add_u32 v5, v5, 23, v2
	v_or3_b32 v12, v12, v5, v4
.LBB365_44:                             ;   in Loop: Header=BB365_10 Depth=1
	s_or_b64 exec, exec, s[34:35]
.LBB365_45:                             ;   in Loop: Header=BB365_10 Depth=1
	s_or_b64 exec, exec, s[30:31]
.LBB365_46:                             ;   in Loop: Header=BB365_10 Depth=1
	s_or_b64 exec, exec, s[28:29]
	v_mul_f32_e32 v12, v1, v12
	v_and_b32_e32 v4, 0x7f800000, v12
	v_cmp_ne_u32_e64 s[8:9], s38, v4
                                        ; implicit-def: $vgpr27
	s_and_saveexec_b64 s[28:29], s[8:9]
	s_xor_b64 s[8:9], exec, s[28:29]
; %bb.47:                               ;   in Loop: Header=BB365_10 Depth=1
	v_bfe_u32 v4, v12, 16, 1
	v_add3_u32 v27, v12, v4, s39
                                        ; implicit-def: $vgpr12
; %bb.48:                               ;   in Loop: Header=BB365_10 Depth=1
	s_andn2_saveexec_b64 s[28:29], s[8:9]
; %bb.49:                               ;   in Loop: Header=BB365_10 Depth=1
	v_or_b32_e32 v4, 0x10000, v12
	v_cmp_eq_u32_sdwa s[8:9], v12, v23 src0_sel:WORD_0 src1_sel:DWORD
	v_cndmask_b32_e64 v27, v4, v12, s[8:9]
; %bb.50:                               ;   in Loop: Header=BB365_10 Depth=1
	s_or_b64 exec, exec, s[28:29]
	flat_load_ushort v4, v[20:21] offset:256
	v_mov_b32_e32 v12, 0
	s_waitcnt vmcnt(0) lgkmcnt(0)
	v_and_b32_e32 v28, 0xffff, v4
	v_cmp_ne_u16_sdwa s[8:9], v4, v23 src0_sel:BYTE_0 src1_sel:DWORD
	s_and_saveexec_b64 s[28:29], s[8:9]
	s_cbranch_execz .LBB365_56
; %bb.51:                               ;   in Loop: Header=BB365_10 Depth=1
	v_cmp_ne_u16_sdwa s[8:9], v28, s19 src0_sel:BYTE_0 src1_sel:DWORD
	v_bfrev_b32_e32 v12, 1
	s_and_saveexec_b64 s[30:31], s[8:9]
	s_cbranch_execz .LBB365_55
; %bb.52:                               ;   in Loop: Header=BB365_10 Depth=1
	v_and_b32_e32 v26, 0x7f, v28
	v_cmp_ne_u32_e64 s[8:9], s37, v26
	v_mov_b32_e32 v12, 0x7f800001
	s_and_saveexec_b64 s[34:35], s[8:9]
	s_cbranch_execz .LBB365_54
; %bb.53:                               ;   in Loop: Header=BB365_10 Depth=1
	v_and_b32_e32 v4, 7, v28
	v_ffbh_u32_e32 v12, v4
	v_min_u32_e32 v12, 32, v12
	v_subrev_u32_e32 v30, 28, v12
	v_lshlrev_b64 v[48:49], v30, v[28:29]
	v_lshrrev_b32_e32 v5, 3, v26
	v_sub_u32_e32 v12, 29, v12
	v_and_b32_e32 v30, 7, v48
	v_cmp_gt_u32_e64 s[8:9], 8, v26
	v_cndmask_b32_e64 v5, v5, v12, s[8:9]
	v_cndmask_b32_e64 v4, v4, v30, s[8:9]
	v_lshlrev_b32_e32 v12, 24, v28
	v_lshlrev_b32_e32 v4, 20, v4
	v_and_b32_e32 v12, 0x80000000, v12
	v_lshl_add_u32 v5, v5, 23, v2
	v_or3_b32 v12, v12, v5, v4
.LBB365_54:                             ;   in Loop: Header=BB365_10 Depth=1
	s_or_b64 exec, exec, s[34:35]
.LBB365_55:                             ;   in Loop: Header=BB365_10 Depth=1
	s_or_b64 exec, exec, s[30:31]
.LBB365_56:                             ;   in Loop: Header=BB365_10 Depth=1
	s_or_b64 exec, exec, s[28:29]
	v_mul_f32_e32 v12, v1, v12
	v_and_b32_e32 v4, 0x7f800000, v12
	v_cmp_ne_u32_e64 s[8:9], s38, v4
                                        ; implicit-def: $vgpr26
	s_and_saveexec_b64 s[28:29], s[8:9]
	s_xor_b64 s[8:9], exec, s[28:29]
; %bb.57:                               ;   in Loop: Header=BB365_10 Depth=1
	v_bfe_u32 v4, v12, 16, 1
	v_add3_u32 v26, v12, v4, s39
                                        ; implicit-def: $vgpr12
; %bb.58:                               ;   in Loop: Header=BB365_10 Depth=1
	s_andn2_saveexec_b64 s[28:29], s[8:9]
; %bb.59:                               ;   in Loop: Header=BB365_10 Depth=1
	v_or_b32_e32 v4, 0x10000, v12
	v_cmp_eq_u32_sdwa s[8:9], v12, v23 src0_sel:WORD_0 src1_sel:DWORD
	v_cndmask_b32_e64 v26, v4, v12, s[8:9]
; %bb.60:                               ;   in Loop: Header=BB365_10 Depth=1
	s_or_b64 exec, exec, s[28:29]
	v_lshrrev_b16_e32 v30, 8, v28
	v_cmp_ne_u16_e64 s[8:9], 0, v30
	v_mov_b32_e32 v12, 0
	s_and_saveexec_b64 s[28:29], s[8:9]
	s_cbranch_execz .LBB365_66
; %bb.61:                               ;   in Loop: Header=BB365_10 Depth=1
	v_cmp_ne_u16_e64 s[8:9], s19, v30
	v_bfrev_b32_e32 v12, 1
	s_and_saveexec_b64 s[30:31], s[8:9]
	s_cbranch_execz .LBB365_65
; %bb.62:                               ;   in Loop: Header=BB365_10 Depth=1
	v_and_b32_e32 v38, 0x7f, v30
	v_cmp_ne_u32_e64 s[8:9], s37, v38
	v_mov_b32_e32 v12, 0x7f800001
	s_and_saveexec_b64 s[34:35], s[8:9]
	s_cbranch_execz .LBB365_64
; %bb.63:                               ;   in Loop: Header=BB365_10 Depth=1
	v_and_b32_e32 v4, 7, v30
	v_ffbh_u32_e32 v12, v4
	v_min_u32_e32 v12, 32, v12
	v_subrev_u32_e32 v48, 28, v12
	v_lshlrev_b64 v[48:49], v48, v[30:31]
	v_lshrrev_b32_e32 v5, 3, v38
	v_sub_u32_e32 v12, 29, v12
	v_and_b32_e32 v30, 7, v48
	v_cmp_gt_u32_e64 s[8:9], 8, v38
	v_cndmask_b32_e64 v5, v5, v12, s[8:9]
	v_cndmask_b32_e64 v4, v4, v30, s[8:9]
	v_lshlrev_b32_e32 v12, 16, v28
	v_lshlrev_b32_e32 v4, 20, v4
	v_and_b32_e32 v12, 0x80000000, v12
	v_lshl_add_u32 v5, v5, 23, v2
	v_or3_b32 v12, v12, v5, v4
.LBB365_64:                             ;   in Loop: Header=BB365_10 Depth=1
	s_or_b64 exec, exec, s[34:35]
.LBB365_65:                             ;   in Loop: Header=BB365_10 Depth=1
	s_or_b64 exec, exec, s[30:31]
.LBB365_66:                             ;   in Loop: Header=BB365_10 Depth=1
	s_or_b64 exec, exec, s[28:29]
	v_mul_f32_e32 v12, v1, v12
	v_and_b32_e32 v4, 0x7f800000, v12
	v_cmp_ne_u32_e64 s[8:9], s38, v4
                                        ; implicit-def: $vgpr38
	s_and_saveexec_b64 s[28:29], s[8:9]
	s_xor_b64 s[8:9], exec, s[28:29]
; %bb.67:                               ;   in Loop: Header=BB365_10 Depth=1
	v_bfe_u32 v4, v12, 16, 1
	v_add3_u32 v38, v12, v4, s39
                                        ; implicit-def: $vgpr12
; %bb.68:                               ;   in Loop: Header=BB365_10 Depth=1
	s_andn2_saveexec_b64 s[28:29], s[8:9]
; %bb.69:                               ;   in Loop: Header=BB365_10 Depth=1
	v_or_b32_e32 v4, 0x10000, v12
	v_cmp_eq_u32_sdwa s[8:9], v12, v23 src0_sel:WORD_0 src1_sel:DWORD
	v_cndmask_b32_e64 v38, v4, v12, s[8:9]
; %bb.70:                               ;   in Loop: Header=BB365_10 Depth=1
	s_or_b64 exec, exec, s[28:29]
	flat_load_ushort v4, v[20:21] offset:264
	v_mov_b32_e32 v12, 0
	s_waitcnt vmcnt(0) lgkmcnt(0)
	v_and_b32_e32 v28, 0xffff, v4
	v_cmp_ne_u16_sdwa s[8:9], v4, v23 src0_sel:BYTE_0 src1_sel:DWORD
	s_and_saveexec_b64 s[28:29], s[8:9]
	s_cbranch_execz .LBB365_76
; %bb.71:                               ;   in Loop: Header=BB365_10 Depth=1
	v_cmp_ne_u16_sdwa s[8:9], v28, s19 src0_sel:BYTE_0 src1_sel:DWORD
	v_bfrev_b32_e32 v12, 1
	s_and_saveexec_b64 s[30:31], s[8:9]
	s_cbranch_execz .LBB365_75
; %bb.72:                               ;   in Loop: Header=BB365_10 Depth=1
	v_and_b32_e32 v30, 0x7f, v28
	v_cmp_ne_u32_e64 s[8:9], s37, v30
	v_mov_b32_e32 v12, 0x7f800001
	s_and_saveexec_b64 s[34:35], s[8:9]
	s_cbranch_execz .LBB365_74
; %bb.73:                               ;   in Loop: Header=BB365_10 Depth=1
	v_and_b32_e32 v4, 7, v28
	v_ffbh_u32_e32 v12, v4
	v_min_u32_e32 v12, 32, v12
	v_subrev_u32_e32 v48, 28, v12
	v_lshlrev_b64 v[48:49], v48, v[28:29]
	v_lshrrev_b32_e32 v5, 3, v30
	v_sub_u32_e32 v12, 29, v12
	v_and_b32_e32 v48, 7, v48
	v_cmp_gt_u32_e64 s[8:9], 8, v30
	v_cndmask_b32_e64 v5, v5, v12, s[8:9]
	v_cndmask_b32_e64 v4, v4, v48, s[8:9]
	v_lshlrev_b32_e32 v12, 24, v28
	v_lshlrev_b32_e32 v4, 20, v4
	v_and_b32_e32 v12, 0x80000000, v12
	v_lshl_add_u32 v5, v5, 23, v2
	v_or3_b32 v12, v12, v5, v4
.LBB365_74:                             ;   in Loop: Header=BB365_10 Depth=1
	s_or_b64 exec, exec, s[34:35]
.LBB365_75:                             ;   in Loop: Header=BB365_10 Depth=1
	s_or_b64 exec, exec, s[30:31]
.LBB365_76:                             ;   in Loop: Header=BB365_10 Depth=1
	s_or_b64 exec, exec, s[28:29]
	v_mul_f32_e32 v30, v1, v12
	v_and_b32_e32 v4, 0x7f800000, v30
	v_cmp_ne_u32_e64 s[8:9], s38, v4
                                        ; implicit-def: $vgpr12
	s_and_saveexec_b64 s[28:29], s[8:9]
	s_xor_b64 s[8:9], exec, s[28:29]
; %bb.77:                               ;   in Loop: Header=BB365_10 Depth=1
	v_bfe_u32 v4, v30, 16, 1
	v_add3_u32 v12, v30, v4, s39
                                        ; implicit-def: $vgpr30
; %bb.78:                               ;   in Loop: Header=BB365_10 Depth=1
	s_andn2_saveexec_b64 s[28:29], s[8:9]
; %bb.79:                               ;   in Loop: Header=BB365_10 Depth=1
	v_or_b32_e32 v4, 0x10000, v30
	v_cmp_eq_u32_sdwa s[8:9], v30, v23 src0_sel:WORD_0 src1_sel:DWORD
	v_cndmask_b32_e64 v12, v4, v30, s[8:9]
; %bb.80:                               ;   in Loop: Header=BB365_10 Depth=1
	s_or_b64 exec, exec, s[28:29]
	v_lshrrev_b16_e32 v30, 8, v28
	v_cmp_ne_u16_e64 s[8:9], 0, v30
	v_mov_b32_e32 v48, 0
	s_and_saveexec_b64 s[28:29], s[8:9]
	s_cbranch_execz .LBB365_86
; %bb.81:                               ;   in Loop: Header=BB365_10 Depth=1
	v_cmp_ne_u16_e64 s[8:9], s19, v30
	v_bfrev_b32_e32 v48, 1
	s_and_saveexec_b64 s[30:31], s[8:9]
	s_cbranch_execz .LBB365_85
; %bb.82:                               ;   in Loop: Header=BB365_10 Depth=1
	v_and_b32_e32 v49, 0x7f, v30
	v_cmp_ne_u32_e64 s[8:9], s37, v49
	v_mov_b32_e32 v48, 0x7f800001
	s_and_saveexec_b64 s[34:35], s[8:9]
	s_cbranch_execz .LBB365_84
; %bb.83:                               ;   in Loop: Header=BB365_10 Depth=1
	v_and_b32_e32 v4, 7, v30
	v_ffbh_u32_e32 v48, v4
	v_min_u32_e32 v48, 32, v48
	v_subrev_u32_e32 v50, 28, v48
	v_lshlrev_b64 v[50:51], v50, v[30:31]
	v_lshrrev_b32_e32 v5, 3, v49
	v_sub_u32_e32 v30, 29, v48
	v_and_b32_e32 v48, 7, v50
	v_cmp_gt_u32_e64 s[8:9], 8, v49
	v_cndmask_b32_e64 v5, v5, v30, s[8:9]
	v_cndmask_b32_e64 v4, v4, v48, s[8:9]
	v_lshlrev_b32_e32 v28, 16, v28
	v_lshlrev_b32_e32 v4, 20, v4
	v_and_b32_e32 v28, 0x80000000, v28
	v_lshl_add_u32 v5, v5, 23, v2
	v_or3_b32 v48, v28, v5, v4
.LBB365_84:                             ;   in Loop: Header=BB365_10 Depth=1
	s_or_b64 exec, exec, s[34:35]
.LBB365_85:                             ;   in Loop: Header=BB365_10 Depth=1
	s_or_b64 exec, exec, s[30:31]
.LBB365_86:                             ;   in Loop: Header=BB365_10 Depth=1
	s_or_b64 exec, exec, s[28:29]
	v_mul_f32_e32 v28, v1, v48
	v_and_b32_e32 v4, 0x7f800000, v28
	v_cmp_ne_u32_e64 s[8:9], s38, v4
                                        ; implicit-def: $vgpr48
	s_and_saveexec_b64 s[28:29], s[8:9]
	s_xor_b64 s[8:9], exec, s[28:29]
; %bb.87:                               ;   in Loop: Header=BB365_10 Depth=1
	v_bfe_u32 v4, v28, 16, 1
	v_add3_u32 v48, v28, v4, s39
                                        ; implicit-def: $vgpr28
; %bb.88:                               ;   in Loop: Header=BB365_10 Depth=1
	s_andn2_saveexec_b64 s[28:29], s[8:9]
; %bb.89:                               ;   in Loop: Header=BB365_10 Depth=1
	v_or_b32_e32 v4, 0x10000, v28
	v_cmp_eq_u32_sdwa s[8:9], v28, v23 src0_sel:WORD_0 src1_sel:DWORD
	v_cndmask_b32_e64 v48, v4, v28, s[8:9]
; %bb.90:                               ;   in Loop: Header=BB365_10 Depth=1
	s_or_b64 exec, exec, s[28:29]
	flat_load_ushort v4, v[20:21] offset:512
	v_mov_b32_e32 v30, 0
	s_waitcnt vmcnt(0) lgkmcnt(0)
	v_and_b32_e32 v28, 0xffff, v4
	v_cmp_ne_u16_sdwa s[8:9], v4, v23 src0_sel:BYTE_0 src1_sel:DWORD
	s_and_saveexec_b64 s[28:29], s[8:9]
	s_cbranch_execz .LBB365_96
; %bb.91:                               ;   in Loop: Header=BB365_10 Depth=1
	v_cmp_ne_u16_sdwa s[8:9], v28, s19 src0_sel:BYTE_0 src1_sel:DWORD
	v_bfrev_b32_e32 v30, 1
	s_and_saveexec_b64 s[30:31], s[8:9]
	s_cbranch_execz .LBB365_95
; %bb.92:                               ;   in Loop: Header=BB365_10 Depth=1
	v_and_b32_e32 v49, 0x7f, v28
	v_cmp_ne_u32_e64 s[8:9], s37, v49
	v_mov_b32_e32 v30, 0x7f800001
	s_and_saveexec_b64 s[34:35], s[8:9]
	s_cbranch_execz .LBB365_94
; %bb.93:                               ;   in Loop: Header=BB365_10 Depth=1
	v_and_b32_e32 v4, 7, v28
	v_ffbh_u32_e32 v30, v4
	v_min_u32_e32 v30, 32, v30
	v_subrev_u32_e32 v50, 28, v30
	v_lshlrev_b64 v[50:51], v50, v[28:29]
	v_lshrrev_b32_e32 v5, 3, v49
	v_sub_u32_e32 v30, 29, v30
	v_and_b32_e32 v50, 7, v50
	v_cmp_gt_u32_e64 s[8:9], 8, v49
	v_cndmask_b32_e64 v5, v5, v30, s[8:9]
	v_cndmask_b32_e64 v4, v4, v50, s[8:9]
	v_lshlrev_b32_e32 v30, 24, v28
	v_lshlrev_b32_e32 v4, 20, v4
	v_and_b32_e32 v30, 0x80000000, v30
	v_lshl_add_u32 v5, v5, 23, v2
	v_or3_b32 v30, v30, v5, v4
.LBB365_94:                             ;   in Loop: Header=BB365_10 Depth=1
	s_or_b64 exec, exec, s[34:35]
.LBB365_95:                             ;   in Loop: Header=BB365_10 Depth=1
	s_or_b64 exec, exec, s[30:31]
.LBB365_96:                             ;   in Loop: Header=BB365_10 Depth=1
	s_or_b64 exec, exec, s[28:29]
	v_mul_f32_e32 v30, v1, v30
	v_and_b32_e32 v4, 0x7f800000, v30
	v_cmp_ne_u32_e64 s[8:9], s38, v4
                                        ; implicit-def: $vgpr49
	s_and_saveexec_b64 s[28:29], s[8:9]
	s_xor_b64 s[8:9], exec, s[28:29]
; %bb.97:                               ;   in Loop: Header=BB365_10 Depth=1
	v_bfe_u32 v4, v30, 16, 1
	v_add3_u32 v49, v30, v4, s39
                                        ; implicit-def: $vgpr30
; %bb.98:                               ;   in Loop: Header=BB365_10 Depth=1
	s_andn2_saveexec_b64 s[28:29], s[8:9]
; %bb.99:                               ;   in Loop: Header=BB365_10 Depth=1
	v_or_b32_e32 v4, 0x10000, v30
	v_cmp_eq_u32_sdwa s[8:9], v30, v23 src0_sel:WORD_0 src1_sel:DWORD
	v_cndmask_b32_e64 v49, v4, v30, s[8:9]
; %bb.100:                              ;   in Loop: Header=BB365_10 Depth=1
	s_or_b64 exec, exec, s[28:29]
	v_lshrrev_b16_e32 v30, 8, v28
	v_cmp_ne_u16_e64 s[8:9], 0, v30
	v_mov_b32_e32 v50, 0
	s_and_saveexec_b64 s[28:29], s[8:9]
	s_cbranch_execz .LBB365_106
; %bb.101:                              ;   in Loop: Header=BB365_10 Depth=1
	v_cmp_ne_u16_e64 s[8:9], s19, v30
	v_bfrev_b32_e32 v50, 1
	s_and_saveexec_b64 s[30:31], s[8:9]
	s_cbranch_execz .LBB365_105
; %bb.102:                              ;   in Loop: Header=BB365_10 Depth=1
	v_and_b32_e32 v51, 0x7f, v30
	v_cmp_ne_u32_e64 s[8:9], s37, v51
	v_mov_b32_e32 v50, 0x7f800001
	s_and_saveexec_b64 s[34:35], s[8:9]
	s_cbranch_execz .LBB365_104
; %bb.103:                              ;   in Loop: Header=BB365_10 Depth=1
	v_and_b32_e32 v4, 7, v30
	v_ffbh_u32_e32 v50, v4
	v_min_u32_e32 v50, 32, v50
	v_subrev_u32_e32 v52, 28, v50
	v_lshlrev_b64 v[52:53], v52, v[30:31]
	v_lshrrev_b32_e32 v5, 3, v51
	v_sub_u32_e32 v30, 29, v50
	v_and_b32_e32 v50, 7, v52
	v_cmp_gt_u32_e64 s[8:9], 8, v51
	v_cndmask_b32_e64 v5, v5, v30, s[8:9]
	v_cndmask_b32_e64 v4, v4, v50, s[8:9]
	v_lshlrev_b32_e32 v28, 16, v28
	v_lshlrev_b32_e32 v4, 20, v4
	v_and_b32_e32 v28, 0x80000000, v28
	v_lshl_add_u32 v5, v5, 23, v2
	v_or3_b32 v50, v28, v5, v4
.LBB365_104:                            ;   in Loop: Header=BB365_10 Depth=1
	s_or_b64 exec, exec, s[34:35]
.LBB365_105:                            ;   in Loop: Header=BB365_10 Depth=1
	s_or_b64 exec, exec, s[30:31]
.LBB365_106:                            ;   in Loop: Header=BB365_10 Depth=1
	s_or_b64 exec, exec, s[28:29]
	v_mul_f32_e32 v28, v1, v50
	v_and_b32_e32 v4, 0x7f800000, v28
	v_cmp_ne_u32_e64 s[8:9], s38, v4
                                        ; implicit-def: $vgpr50
	s_and_saveexec_b64 s[28:29], s[8:9]
	s_xor_b64 s[8:9], exec, s[28:29]
; %bb.107:                              ;   in Loop: Header=BB365_10 Depth=1
	v_bfe_u32 v4, v28, 16, 1
	v_add3_u32 v50, v28, v4, s39
                                        ; implicit-def: $vgpr28
; %bb.108:                              ;   in Loop: Header=BB365_10 Depth=1
	s_andn2_saveexec_b64 s[28:29], s[8:9]
; %bb.109:                              ;   in Loop: Header=BB365_10 Depth=1
	v_or_b32_e32 v4, 0x10000, v28
	v_cmp_eq_u32_sdwa s[8:9], v28, v23 src0_sel:WORD_0 src1_sel:DWORD
	v_cndmask_b32_e64 v50, v4, v28, s[8:9]
; %bb.110:                              ;   in Loop: Header=BB365_10 Depth=1
	s_or_b64 exec, exec, s[28:29]
	flat_load_ushort v4, v[20:21] offset:520
	v_mov_b32_e32 v30, 0
	s_waitcnt vmcnt(0) lgkmcnt(0)
	v_and_b32_e32 v28, 0xffff, v4
	v_cmp_ne_u16_sdwa s[8:9], v4, v23 src0_sel:BYTE_0 src1_sel:DWORD
	s_and_saveexec_b64 s[28:29], s[8:9]
	s_cbranch_execz .LBB365_116
; %bb.111:                              ;   in Loop: Header=BB365_10 Depth=1
	v_cmp_ne_u16_sdwa s[8:9], v28, s19 src0_sel:BYTE_0 src1_sel:DWORD
	v_bfrev_b32_e32 v30, 1
	s_and_saveexec_b64 s[30:31], s[8:9]
	s_cbranch_execz .LBB365_115
; %bb.112:                              ;   in Loop: Header=BB365_10 Depth=1
	v_and_b32_e32 v51, 0x7f, v28
	v_cmp_ne_u32_e64 s[8:9], s37, v51
	v_mov_b32_e32 v30, 0x7f800001
	s_and_saveexec_b64 s[34:35], s[8:9]
	s_cbranch_execz .LBB365_114
; %bb.113:                              ;   in Loop: Header=BB365_10 Depth=1
	v_and_b32_e32 v4, 7, v28
	v_ffbh_u32_e32 v30, v4
	v_min_u32_e32 v30, 32, v30
	v_subrev_u32_e32 v52, 28, v30
	v_lshlrev_b64 v[52:53], v52, v[28:29]
	v_lshrrev_b32_e32 v5, 3, v51
	v_sub_u32_e32 v30, 29, v30
	v_and_b32_e32 v52, 7, v52
	v_cmp_gt_u32_e64 s[8:9], 8, v51
	v_cndmask_b32_e64 v5, v5, v30, s[8:9]
	v_cndmask_b32_e64 v4, v4, v52, s[8:9]
	v_lshlrev_b32_e32 v30, 24, v28
	v_lshlrev_b32_e32 v4, 20, v4
	v_and_b32_e32 v30, 0x80000000, v30
	v_lshl_add_u32 v5, v5, 23, v2
	v_or3_b32 v30, v30, v5, v4
.LBB365_114:                            ;   in Loop: Header=BB365_10 Depth=1
	s_or_b64 exec, exec, s[34:35]
.LBB365_115:                            ;   in Loop: Header=BB365_10 Depth=1
	s_or_b64 exec, exec, s[30:31]
.LBB365_116:                            ;   in Loop: Header=BB365_10 Depth=1
	s_or_b64 exec, exec, s[28:29]
	v_mul_f32_e32 v30, v1, v30
	v_and_b32_e32 v4, 0x7f800000, v30
	v_cmp_ne_u32_e64 s[8:9], s38, v4
                                        ; implicit-def: $vgpr51
	s_and_saveexec_b64 s[28:29], s[8:9]
	s_xor_b64 s[8:9], exec, s[28:29]
; %bb.117:                              ;   in Loop: Header=BB365_10 Depth=1
	v_bfe_u32 v4, v30, 16, 1
	v_add3_u32 v51, v30, v4, s39
                                        ; implicit-def: $vgpr30
; %bb.118:                              ;   in Loop: Header=BB365_10 Depth=1
	s_andn2_saveexec_b64 s[28:29], s[8:9]
; %bb.119:                              ;   in Loop: Header=BB365_10 Depth=1
	v_or_b32_e32 v4, 0x10000, v30
	v_cmp_eq_u32_sdwa s[8:9], v30, v23 src0_sel:WORD_0 src1_sel:DWORD
	v_cndmask_b32_e64 v51, v4, v30, s[8:9]
; %bb.120:                              ;   in Loop: Header=BB365_10 Depth=1
	s_or_b64 exec, exec, s[28:29]
	v_lshrrev_b16_e32 v30, 8, v28
	v_cmp_ne_u16_e64 s[8:9], 0, v30
	v_mov_b32_e32 v52, 0
	s_and_saveexec_b64 s[28:29], s[8:9]
	s_cbranch_execz .LBB365_126
; %bb.121:                              ;   in Loop: Header=BB365_10 Depth=1
	v_cmp_ne_u16_e64 s[8:9], s19, v30
	v_bfrev_b32_e32 v52, 1
	s_and_saveexec_b64 s[30:31], s[8:9]
	s_cbranch_execz .LBB365_125
; %bb.122:                              ;   in Loop: Header=BB365_10 Depth=1
	v_and_b32_e32 v53, 0x7f, v30
	v_cmp_ne_u32_e64 s[8:9], s37, v53
	v_mov_b32_e32 v52, 0x7f800001
	s_and_saveexec_b64 s[34:35], s[8:9]
	s_cbranch_execz .LBB365_124
; %bb.123:                              ;   in Loop: Header=BB365_10 Depth=1
	v_and_b32_e32 v4, 7, v30
	v_ffbh_u32_e32 v52, v4
	v_min_u32_e32 v54, 32, v52
	v_subrev_u32_e32 v52, 28, v54
	v_lshrrev_b32_e32 v5, 3, v53
	v_cmp_gt_u32_e64 s[8:9], 8, v53
	v_lshlrev_b64 v[52:53], v52, v[30:31]
	v_sub_u32_e32 v30, 29, v54
	v_and_b32_e32 v52, 7, v52
	v_cndmask_b32_e64 v5, v5, v30, s[8:9]
	v_cndmask_b32_e64 v4, v4, v52, s[8:9]
	v_lshlrev_b32_e32 v28, 16, v28
	v_lshlrev_b32_e32 v4, 20, v4
	v_and_b32_e32 v28, 0x80000000, v28
	v_lshl_add_u32 v5, v5, 23, v2
	v_or3_b32 v52, v28, v5, v4
.LBB365_124:                            ;   in Loop: Header=BB365_10 Depth=1
	s_or_b64 exec, exec, s[34:35]
.LBB365_125:                            ;   in Loop: Header=BB365_10 Depth=1
	s_or_b64 exec, exec, s[30:31]
.LBB365_126:                            ;   in Loop: Header=BB365_10 Depth=1
	s_or_b64 exec, exec, s[28:29]
	v_mul_f32_e32 v28, v1, v52
	v_and_b32_e32 v4, 0x7f800000, v28
	v_cmp_ne_u32_e64 s[8:9], s38, v4
                                        ; implicit-def: $vgpr52
	s_and_saveexec_b64 s[28:29], s[8:9]
	s_xor_b64 s[8:9], exec, s[28:29]
; %bb.127:                              ;   in Loop: Header=BB365_10 Depth=1
	v_bfe_u32 v4, v28, 16, 1
	v_add3_u32 v52, v28, v4, s39
                                        ; implicit-def: $vgpr28
; %bb.128:                              ;   in Loop: Header=BB365_10 Depth=1
	s_andn2_saveexec_b64 s[28:29], s[8:9]
; %bb.129:                              ;   in Loop: Header=BB365_10 Depth=1
	v_or_b32_e32 v4, 0x10000, v28
	v_cmp_eq_u32_sdwa s[8:9], v28, v23 src0_sel:WORD_0 src1_sel:DWORD
	v_cndmask_b32_e64 v52, v4, v28, s[8:9]
; %bb.130:                              ;   in Loop: Header=BB365_10 Depth=1
	s_or_b64 exec, exec, s[28:29]
	flat_load_ushort v4, v[20:21] offset:768
	v_mov_b32_e32 v30, 0
	s_waitcnt vmcnt(0) lgkmcnt(0)
	v_and_b32_e32 v28, 0xffff, v4
	v_cmp_ne_u16_sdwa s[8:9], v4, v23 src0_sel:BYTE_0 src1_sel:DWORD
	s_and_saveexec_b64 s[28:29], s[8:9]
	s_cbranch_execz .LBB365_136
; %bb.131:                              ;   in Loop: Header=BB365_10 Depth=1
	v_cmp_ne_u16_sdwa s[8:9], v28, s19 src0_sel:BYTE_0 src1_sel:DWORD
	v_bfrev_b32_e32 v30, 1
	s_and_saveexec_b64 s[30:31], s[8:9]
	s_cbranch_execz .LBB365_135
; %bb.132:                              ;   in Loop: Header=BB365_10 Depth=1
	v_and_b32_e32 v53, 0x7f, v28
	v_cmp_ne_u32_e64 s[8:9], s37, v53
	v_mov_b32_e32 v30, 0x7f800001
	s_and_saveexec_b64 s[34:35], s[8:9]
	s_cbranch_execz .LBB365_134
; %bb.133:                              ;   in Loop: Header=BB365_10 Depth=1
	v_and_b32_e32 v4, 7, v28
	v_ffbh_u32_e32 v30, v4
	v_min_u32_e32 v30, 32, v30
	v_lshrrev_b32_e32 v5, 3, v53
	v_cmp_gt_u32_e64 s[8:9], 8, v53
	v_subrev_u32_e32 v53, 28, v30
	v_lshlrev_b64 v[54:55], v53, v[28:29]
	v_sub_u32_e32 v30, 29, v30
	v_and_b32_e32 v53, 7, v54
	v_cndmask_b32_e64 v5, v5, v30, s[8:9]
	v_cndmask_b32_e64 v4, v4, v53, s[8:9]
	v_lshlrev_b32_e32 v30, 24, v28
	v_lshlrev_b32_e32 v4, 20, v4
	v_and_b32_e32 v30, 0x80000000, v30
	v_lshl_add_u32 v5, v5, 23, v2
	v_or3_b32 v30, v30, v5, v4
.LBB365_134:                            ;   in Loop: Header=BB365_10 Depth=1
	s_or_b64 exec, exec, s[34:35]
.LBB365_135:                            ;   in Loop: Header=BB365_10 Depth=1
	s_or_b64 exec, exec, s[30:31]
.LBB365_136:                            ;   in Loop: Header=BB365_10 Depth=1
	s_or_b64 exec, exec, s[28:29]
	v_mul_f32_e32 v30, v1, v30
	v_and_b32_e32 v4, 0x7f800000, v30
	v_cmp_ne_u32_e64 s[8:9], s38, v4
                                        ; implicit-def: $vgpr53
	s_and_saveexec_b64 s[28:29], s[8:9]
	s_xor_b64 s[8:9], exec, s[28:29]
; %bb.137:                              ;   in Loop: Header=BB365_10 Depth=1
	v_bfe_u32 v4, v30, 16, 1
	v_add3_u32 v53, v30, v4, s39
                                        ; implicit-def: $vgpr30
; %bb.138:                              ;   in Loop: Header=BB365_10 Depth=1
	s_andn2_saveexec_b64 s[28:29], s[8:9]
; %bb.139:                              ;   in Loop: Header=BB365_10 Depth=1
	v_or_b32_e32 v4, 0x10000, v30
	v_cmp_eq_u32_sdwa s[8:9], v30, v23 src0_sel:WORD_0 src1_sel:DWORD
	v_cndmask_b32_e64 v53, v4, v30, s[8:9]
; %bb.140:                              ;   in Loop: Header=BB365_10 Depth=1
	s_or_b64 exec, exec, s[28:29]
	v_lshrrev_b16_e32 v30, 8, v28
	v_cmp_ne_u16_e64 s[8:9], 0, v30
	v_mov_b32_e32 v54, 0
	s_and_saveexec_b64 s[28:29], s[8:9]
	s_cbranch_execz .LBB365_146
; %bb.141:                              ;   in Loop: Header=BB365_10 Depth=1
	v_cmp_ne_u16_e64 s[8:9], s19, v30
	v_bfrev_b32_e32 v54, 1
	s_and_saveexec_b64 s[30:31], s[8:9]
	s_cbranch_execz .LBB365_145
; %bb.142:                              ;   in Loop: Header=BB365_10 Depth=1
	v_and_b32_e32 v55, 0x7f, v30
	v_cmp_ne_u32_e64 s[8:9], s37, v55
	v_mov_b32_e32 v54, 0x7f800001
	s_and_saveexec_b64 s[34:35], s[8:9]
	s_cbranch_execz .LBB365_144
; %bb.143:                              ;   in Loop: Header=BB365_10 Depth=1
	v_and_b32_e32 v4, 7, v30
	v_ffbh_u32_e32 v54, v4
	v_min_u32_e32 v54, 32, v54
	v_subrev_u32_e32 v40, 28, v54
	v_lshlrev_b64 v[40:41], v40, v[30:31]
	v_lshrrev_b32_e32 v5, 3, v55
	v_sub_u32_e32 v30, 29, v54
	v_and_b32_e32 v54, 7, v40
	v_cmp_gt_u32_e64 s[8:9], 8, v55
	v_cndmask_b32_e64 v5, v5, v30, s[8:9]
	v_cndmask_b32_e64 v4, v4, v54, s[8:9]
	v_lshlrev_b32_e32 v28, 16, v28
	v_lshlrev_b32_e32 v4, 20, v4
	v_and_b32_e32 v28, 0x80000000, v28
	v_lshl_add_u32 v5, v5, 23, v2
	v_or3_b32 v54, v28, v5, v4
.LBB365_144:                            ;   in Loop: Header=BB365_10 Depth=1
	s_or_b64 exec, exec, s[34:35]
.LBB365_145:                            ;   in Loop: Header=BB365_10 Depth=1
	s_or_b64 exec, exec, s[30:31]
.LBB365_146:                            ;   in Loop: Header=BB365_10 Depth=1
	s_or_b64 exec, exec, s[28:29]
	v_mul_f32_e32 v28, v1, v54
	v_and_b32_e32 v4, 0x7f800000, v28
	v_cmp_ne_u32_e64 s[8:9], s38, v4
                                        ; implicit-def: $vgpr54
	s_and_saveexec_b64 s[28:29], s[8:9]
	s_xor_b64 s[8:9], exec, s[28:29]
; %bb.147:                              ;   in Loop: Header=BB365_10 Depth=1
	v_bfe_u32 v4, v28, 16, 1
	v_add3_u32 v54, v28, v4, s39
                                        ; implicit-def: $vgpr28
; %bb.148:                              ;   in Loop: Header=BB365_10 Depth=1
	s_andn2_saveexec_b64 s[28:29], s[8:9]
; %bb.149:                              ;   in Loop: Header=BB365_10 Depth=1
	v_or_b32_e32 v4, 0x10000, v28
	v_cmp_eq_u32_sdwa s[8:9], v28, v23 src0_sel:WORD_0 src1_sel:DWORD
	v_cndmask_b32_e64 v54, v4, v28, s[8:9]
; %bb.150:                              ;   in Loop: Header=BB365_10 Depth=1
	s_or_b64 exec, exec, s[28:29]
	flat_load_ushort v4, v[20:21] offset:776
	v_mov_b32_e32 v30, 0
	s_waitcnt vmcnt(0) lgkmcnt(0)
	v_and_b32_e32 v28, 0xffff, v4
	v_cmp_ne_u16_sdwa s[8:9], v4, v23 src0_sel:BYTE_0 src1_sel:DWORD
	s_and_saveexec_b64 s[28:29], s[8:9]
	s_cbranch_execz .LBB365_156
; %bb.151:                              ;   in Loop: Header=BB365_10 Depth=1
	v_cmp_ne_u16_sdwa s[8:9], v28, s19 src0_sel:BYTE_0 src1_sel:DWORD
	v_bfrev_b32_e32 v30, 1
	s_and_saveexec_b64 s[30:31], s[8:9]
	s_cbranch_execz .LBB365_155
; %bb.152:                              ;   in Loop: Header=BB365_10 Depth=1
	v_and_b32_e32 v55, 0x7f, v28
	v_cmp_ne_u32_e64 s[8:9], s37, v55
	v_mov_b32_e32 v30, 0x7f800001
	s_and_saveexec_b64 s[34:35], s[8:9]
	s_cbranch_execz .LBB365_154
; %bb.153:                              ;   in Loop: Header=BB365_10 Depth=1
	v_and_b32_e32 v4, 7, v28
	v_ffbh_u32_e32 v30, v4
	v_min_u32_e32 v30, 32, v30
	v_subrev_u32_e32 v40, 28, v30
	v_lshlrev_b64 v[40:41], v40, v[28:29]
	v_lshrrev_b32_e32 v5, 3, v55
	v_sub_u32_e32 v30, 29, v30
	v_and_b32_e32 v40, 7, v40
	v_cmp_gt_u32_e64 s[8:9], 8, v55
	v_cndmask_b32_e64 v5, v5, v30, s[8:9]
	v_cndmask_b32_e64 v4, v4, v40, s[8:9]
	v_lshlrev_b32_e32 v30, 24, v28
	v_lshlrev_b32_e32 v4, 20, v4
	v_and_b32_e32 v30, 0x80000000, v30
	v_lshl_add_u32 v5, v5, 23, v2
	v_or3_b32 v30, v30, v5, v4
.LBB365_154:                            ;   in Loop: Header=BB365_10 Depth=1
	s_or_b64 exec, exec, s[34:35]
.LBB365_155:                            ;   in Loop: Header=BB365_10 Depth=1
	s_or_b64 exec, exec, s[30:31]
.LBB365_156:                            ;   in Loop: Header=BB365_10 Depth=1
	s_or_b64 exec, exec, s[28:29]
	v_mul_f32_e32 v30, v1, v30
	v_and_b32_e32 v4, 0x7f800000, v30
	v_cmp_ne_u32_e64 s[8:9], s38, v4
                                        ; implicit-def: $vgpr55
	s_and_saveexec_b64 s[28:29], s[8:9]
	s_xor_b64 s[8:9], exec, s[28:29]
; %bb.157:                              ;   in Loop: Header=BB365_10 Depth=1
	v_bfe_u32 v4, v30, 16, 1
	v_add3_u32 v55, v30, v4, s39
                                        ; implicit-def: $vgpr30
; %bb.158:                              ;   in Loop: Header=BB365_10 Depth=1
	s_andn2_saveexec_b64 s[28:29], s[8:9]
; %bb.159:                              ;   in Loop: Header=BB365_10 Depth=1
	v_or_b32_e32 v4, 0x10000, v30
	v_cmp_eq_u32_sdwa s[8:9], v30, v23 src0_sel:WORD_0 src1_sel:DWORD
	v_cndmask_b32_e64 v55, v4, v30, s[8:9]
; %bb.160:                              ;   in Loop: Header=BB365_10 Depth=1
	s_or_b64 exec, exec, s[28:29]
	v_lshrrev_b16_e32 v30, 8, v28
	v_cmp_ne_u16_e64 s[8:9], 0, v30
	v_mov_b32_e32 v40, 0
	s_and_saveexec_b64 s[28:29], s[8:9]
	s_cbranch_execz .LBB365_166
; %bb.161:                              ;   in Loop: Header=BB365_10 Depth=1
	v_cmp_ne_u16_e64 s[8:9], s19, v30
	v_bfrev_b32_e32 v40, 1
	s_and_saveexec_b64 s[30:31], s[8:9]
	s_cbranch_execz .LBB365_165
; %bb.162:                              ;   in Loop: Header=BB365_10 Depth=1
	v_and_b32_e32 v41, 0x7f, v30
	v_cmp_ne_u32_e64 s[8:9], s37, v41
	v_mov_b32_e32 v40, 0x7f800001
	s_and_saveexec_b64 s[34:35], s[8:9]
	s_cbranch_execz .LBB365_164
; %bb.163:                              ;   in Loop: Header=BB365_10 Depth=1
	v_and_b32_e32 v4, 7, v30
	v_ffbh_u32_e32 v40, v4
	v_min_u32_e32 v40, 32, v40
	v_subrev_u32_e32 v42, 28, v40
	v_lshlrev_b64 v[42:43], v42, v[30:31]
	v_lshrrev_b32_e32 v5, 3, v41
	v_sub_u32_e32 v30, 29, v40
	v_and_b32_e32 v40, 7, v42
	v_cmp_gt_u32_e64 s[8:9], 8, v41
	v_cndmask_b32_e64 v5, v5, v30, s[8:9]
	v_cndmask_b32_e64 v4, v4, v40, s[8:9]
	v_lshlrev_b32_e32 v28, 16, v28
	v_lshlrev_b32_e32 v4, 20, v4
	v_and_b32_e32 v28, 0x80000000, v28
	v_lshl_add_u32 v5, v5, 23, v2
	v_or3_b32 v40, v28, v5, v4
.LBB365_164:                            ;   in Loop: Header=BB365_10 Depth=1
	s_or_b64 exec, exec, s[34:35]
.LBB365_165:                            ;   in Loop: Header=BB365_10 Depth=1
	s_or_b64 exec, exec, s[30:31]
.LBB365_166:                            ;   in Loop: Header=BB365_10 Depth=1
	s_or_b64 exec, exec, s[28:29]
	v_mul_f32_e32 v28, v1, v40
	v_and_b32_e32 v4, 0x7f800000, v28
	v_cmp_ne_u32_e64 s[8:9], s38, v4
                                        ; implicit-def: $vgpr40
	s_and_saveexec_b64 s[28:29], s[8:9]
	s_xor_b64 s[8:9], exec, s[28:29]
; %bb.167:                              ;   in Loop: Header=BB365_10 Depth=1
	v_bfe_u32 v4, v28, 16, 1
	v_add3_u32 v40, v28, v4, s39
                                        ; implicit-def: $vgpr28
; %bb.168:                              ;   in Loop: Header=BB365_10 Depth=1
	s_andn2_saveexec_b64 s[28:29], s[8:9]
; %bb.169:                              ;   in Loop: Header=BB365_10 Depth=1
	v_or_b32_e32 v4, 0x10000, v28
	v_cmp_eq_u32_sdwa s[8:9], v28, v23 src0_sel:WORD_0 src1_sel:DWORD
	v_cndmask_b32_e64 v40, v4, v28, s[8:9]
; %bb.170:                              ;   in Loop: Header=BB365_10 Depth=1
	s_or_b64 exec, exec, s[28:29]
	flat_load_ushort v4, v[20:21] offset:1024
	v_mov_b32_e32 v30, 0
	s_waitcnt vmcnt(0) lgkmcnt(0)
	v_and_b32_e32 v28, 0xffff, v4
	v_cmp_ne_u16_sdwa s[8:9], v4, v23 src0_sel:BYTE_0 src1_sel:DWORD
	s_and_saveexec_b64 s[28:29], s[8:9]
	s_cbranch_execz .LBB365_176
; %bb.171:                              ;   in Loop: Header=BB365_10 Depth=1
	v_cmp_ne_u16_sdwa s[8:9], v28, s19 src0_sel:BYTE_0 src1_sel:DWORD
	v_bfrev_b32_e32 v30, 1
	s_and_saveexec_b64 s[30:31], s[8:9]
	s_cbranch_execz .LBB365_175
; %bb.172:                              ;   in Loop: Header=BB365_10 Depth=1
	v_and_b32_e32 v41, 0x7f, v28
	v_cmp_ne_u32_e64 s[8:9], s37, v41
	v_mov_b32_e32 v30, 0x7f800001
	s_and_saveexec_b64 s[34:35], s[8:9]
	s_cbranch_execz .LBB365_174
; %bb.173:                              ;   in Loop: Header=BB365_10 Depth=1
	v_and_b32_e32 v4, 7, v28
	v_ffbh_u32_e32 v30, v4
	v_min_u32_e32 v30, 32, v30
	v_subrev_u32_e32 v42, 28, v30
	v_lshlrev_b64 v[42:43], v42, v[28:29]
	v_lshrrev_b32_e32 v5, 3, v41
	v_sub_u32_e32 v30, 29, v30
	v_and_b32_e32 v42, 7, v42
	v_cmp_gt_u32_e64 s[8:9], 8, v41
	v_cndmask_b32_e64 v5, v5, v30, s[8:9]
	v_cndmask_b32_e64 v4, v4, v42, s[8:9]
	v_lshlrev_b32_e32 v30, 24, v28
	v_lshlrev_b32_e32 v4, 20, v4
	v_and_b32_e32 v30, 0x80000000, v30
	v_lshl_add_u32 v5, v5, 23, v2
	v_or3_b32 v30, v30, v5, v4
.LBB365_174:                            ;   in Loop: Header=BB365_10 Depth=1
	s_or_b64 exec, exec, s[34:35]
.LBB365_175:                            ;   in Loop: Header=BB365_10 Depth=1
	s_or_b64 exec, exec, s[30:31]
.LBB365_176:                            ;   in Loop: Header=BB365_10 Depth=1
	s_or_b64 exec, exec, s[28:29]
	v_mul_f32_e32 v30, v1, v30
	v_and_b32_e32 v4, 0x7f800000, v30
	v_cmp_ne_u32_e64 s[8:9], s38, v4
                                        ; implicit-def: $vgpr41
	s_and_saveexec_b64 s[28:29], s[8:9]
	s_xor_b64 s[8:9], exec, s[28:29]
; %bb.177:                              ;   in Loop: Header=BB365_10 Depth=1
	v_bfe_u32 v4, v30, 16, 1
	v_add3_u32 v41, v30, v4, s39
                                        ; implicit-def: $vgpr30
; %bb.178:                              ;   in Loop: Header=BB365_10 Depth=1
	s_andn2_saveexec_b64 s[28:29], s[8:9]
; %bb.179:                              ;   in Loop: Header=BB365_10 Depth=1
	v_or_b32_e32 v4, 0x10000, v30
	v_cmp_eq_u32_sdwa s[8:9], v30, v23 src0_sel:WORD_0 src1_sel:DWORD
	v_cndmask_b32_e64 v41, v4, v30, s[8:9]
; %bb.180:                              ;   in Loop: Header=BB365_10 Depth=1
	s_or_b64 exec, exec, s[28:29]
	v_lshrrev_b16_e32 v30, 8, v28
	v_cmp_ne_u16_e64 s[8:9], 0, v30
	v_mov_b32_e32 v42, 0
	s_and_saveexec_b64 s[28:29], s[8:9]
	s_cbranch_execz .LBB365_186
; %bb.181:                              ;   in Loop: Header=BB365_10 Depth=1
	v_cmp_ne_u16_e64 s[8:9], s19, v30
	v_bfrev_b32_e32 v42, 1
	s_and_saveexec_b64 s[30:31], s[8:9]
	s_cbranch_execz .LBB365_185
; %bb.182:                              ;   in Loop: Header=BB365_10 Depth=1
	v_and_b32_e32 v43, 0x7f, v30
	v_cmp_ne_u32_e64 s[8:9], s37, v43
	v_mov_b32_e32 v42, 0x7f800001
	s_and_saveexec_b64 s[34:35], s[8:9]
	s_cbranch_execz .LBB365_184
; %bb.183:                              ;   in Loop: Header=BB365_10 Depth=1
	v_and_b32_e32 v4, 7, v30
	v_ffbh_u32_e32 v42, v4
	v_min_u32_e32 v42, 32, v42
	v_subrev_u32_e32 v44, 28, v42
	v_lshlrev_b64 v[44:45], v44, v[30:31]
	v_lshrrev_b32_e32 v5, 3, v43
	v_sub_u32_e32 v30, 29, v42
	v_and_b32_e32 v42, 7, v44
	v_cmp_gt_u32_e64 s[8:9], 8, v43
	v_cndmask_b32_e64 v5, v5, v30, s[8:9]
	v_cndmask_b32_e64 v4, v4, v42, s[8:9]
	v_lshlrev_b32_e32 v28, 16, v28
	v_lshlrev_b32_e32 v4, 20, v4
	v_and_b32_e32 v28, 0x80000000, v28
	v_lshl_add_u32 v5, v5, 23, v2
	v_or3_b32 v42, v28, v5, v4
.LBB365_184:                            ;   in Loop: Header=BB365_10 Depth=1
	s_or_b64 exec, exec, s[34:35]
.LBB365_185:                            ;   in Loop: Header=BB365_10 Depth=1
	s_or_b64 exec, exec, s[30:31]
.LBB365_186:                            ;   in Loop: Header=BB365_10 Depth=1
	s_or_b64 exec, exec, s[28:29]
	v_mul_f32_e32 v28, v1, v42
	v_and_b32_e32 v4, 0x7f800000, v28
	v_cmp_ne_u32_e64 s[8:9], s38, v4
                                        ; implicit-def: $vgpr42
	s_and_saveexec_b64 s[28:29], s[8:9]
	s_xor_b64 s[8:9], exec, s[28:29]
; %bb.187:                              ;   in Loop: Header=BB365_10 Depth=1
	v_bfe_u32 v4, v28, 16, 1
	v_add3_u32 v42, v28, v4, s39
                                        ; implicit-def: $vgpr28
; %bb.188:                              ;   in Loop: Header=BB365_10 Depth=1
	s_andn2_saveexec_b64 s[28:29], s[8:9]
; %bb.189:                              ;   in Loop: Header=BB365_10 Depth=1
	v_or_b32_e32 v4, 0x10000, v28
	v_cmp_eq_u32_sdwa s[8:9], v28, v23 src0_sel:WORD_0 src1_sel:DWORD
	v_cndmask_b32_e64 v42, v4, v28, s[8:9]
; %bb.190:                              ;   in Loop: Header=BB365_10 Depth=1
	s_or_b64 exec, exec, s[28:29]
	flat_load_ushort v4, v[20:21] offset:1032
	v_mov_b32_e32 v30, 0
	s_waitcnt vmcnt(0) lgkmcnt(0)
	v_and_b32_e32 v28, 0xffff, v4
	v_cmp_ne_u16_sdwa s[8:9], v4, v23 src0_sel:BYTE_0 src1_sel:DWORD
	s_and_saveexec_b64 s[28:29], s[8:9]
	s_cbranch_execz .LBB365_196
; %bb.191:                              ;   in Loop: Header=BB365_10 Depth=1
	v_cmp_ne_u16_sdwa s[8:9], v28, s19 src0_sel:BYTE_0 src1_sel:DWORD
	v_bfrev_b32_e32 v30, 1
	s_and_saveexec_b64 s[30:31], s[8:9]
	s_cbranch_execz .LBB365_195
; %bb.192:                              ;   in Loop: Header=BB365_10 Depth=1
	v_and_b32_e32 v43, 0x7f, v28
	v_cmp_ne_u32_e64 s[8:9], s37, v43
	v_mov_b32_e32 v30, 0x7f800001
	s_and_saveexec_b64 s[34:35], s[8:9]
	s_cbranch_execz .LBB365_194
; %bb.193:                              ;   in Loop: Header=BB365_10 Depth=1
	v_and_b32_e32 v4, 7, v28
	v_ffbh_u32_e32 v30, v4
	v_min_u32_e32 v30, 32, v30
	v_subrev_u32_e32 v44, 28, v30
	v_lshlrev_b64 v[44:45], v44, v[28:29]
	v_lshrrev_b32_e32 v5, 3, v43
	v_sub_u32_e32 v30, 29, v30
	v_and_b32_e32 v44, 7, v44
	v_cmp_gt_u32_e64 s[8:9], 8, v43
	v_cndmask_b32_e64 v5, v5, v30, s[8:9]
	v_cndmask_b32_e64 v4, v4, v44, s[8:9]
	v_lshlrev_b32_e32 v30, 24, v28
	v_lshlrev_b32_e32 v4, 20, v4
	v_and_b32_e32 v30, 0x80000000, v30
	v_lshl_add_u32 v5, v5, 23, v2
	v_or3_b32 v30, v30, v5, v4
.LBB365_194:                            ;   in Loop: Header=BB365_10 Depth=1
	s_or_b64 exec, exec, s[34:35]
.LBB365_195:                            ;   in Loop: Header=BB365_10 Depth=1
	s_or_b64 exec, exec, s[30:31]
.LBB365_196:                            ;   in Loop: Header=BB365_10 Depth=1
	s_or_b64 exec, exec, s[28:29]
	v_mul_f32_e32 v30, v1, v30
	v_and_b32_e32 v4, 0x7f800000, v30
	v_cmp_ne_u32_e64 s[8:9], s38, v4
                                        ; implicit-def: $vgpr43
	s_and_saveexec_b64 s[28:29], s[8:9]
	s_xor_b64 s[8:9], exec, s[28:29]
; %bb.197:                              ;   in Loop: Header=BB365_10 Depth=1
	v_bfe_u32 v4, v30, 16, 1
	v_add3_u32 v43, v30, v4, s39
                                        ; implicit-def: $vgpr30
; %bb.198:                              ;   in Loop: Header=BB365_10 Depth=1
	s_andn2_saveexec_b64 s[28:29], s[8:9]
; %bb.199:                              ;   in Loop: Header=BB365_10 Depth=1
	v_or_b32_e32 v4, 0x10000, v30
	v_cmp_eq_u32_sdwa s[8:9], v30, v23 src0_sel:WORD_0 src1_sel:DWORD
	v_cndmask_b32_e64 v43, v4, v30, s[8:9]
; %bb.200:                              ;   in Loop: Header=BB365_10 Depth=1
	s_or_b64 exec, exec, s[28:29]
	v_lshrrev_b16_e32 v30, 8, v28
	v_cmp_ne_u16_e64 s[8:9], 0, v30
	v_mov_b32_e32 v44, 0
	s_and_saveexec_b64 s[28:29], s[8:9]
	s_cbranch_execz .LBB365_206
; %bb.201:                              ;   in Loop: Header=BB365_10 Depth=1
	v_cmp_ne_u16_e64 s[8:9], s19, v30
	v_bfrev_b32_e32 v44, 1
	s_and_saveexec_b64 s[30:31], s[8:9]
	s_cbranch_execz .LBB365_205
; %bb.202:                              ;   in Loop: Header=BB365_10 Depth=1
	v_and_b32_e32 v45, 0x7f, v30
	v_cmp_ne_u32_e64 s[8:9], s37, v45
	v_mov_b32_e32 v44, 0x7f800001
	s_and_saveexec_b64 s[34:35], s[8:9]
	s_cbranch_execz .LBB365_204
; %bb.203:                              ;   in Loop: Header=BB365_10 Depth=1
	v_and_b32_e32 v4, 7, v30
	v_ffbh_u32_e32 v44, v4
	v_min_u32_e32 v44, 32, v44
	v_subrev_u32_e32 v46, 28, v44
	v_lshlrev_b64 v[46:47], v46, v[30:31]
	v_lshrrev_b32_e32 v5, 3, v45
	v_sub_u32_e32 v30, 29, v44
	v_and_b32_e32 v44, 7, v46
	v_cmp_gt_u32_e64 s[8:9], 8, v45
	v_cndmask_b32_e64 v5, v5, v30, s[8:9]
	v_cndmask_b32_e64 v4, v4, v44, s[8:9]
	v_lshlrev_b32_e32 v28, 16, v28
	v_lshlrev_b32_e32 v4, 20, v4
	v_and_b32_e32 v28, 0x80000000, v28
	v_lshl_add_u32 v5, v5, 23, v2
	v_or3_b32 v44, v28, v5, v4
.LBB365_204:                            ;   in Loop: Header=BB365_10 Depth=1
	s_or_b64 exec, exec, s[34:35]
.LBB365_205:                            ;   in Loop: Header=BB365_10 Depth=1
	s_or_b64 exec, exec, s[30:31]
.LBB365_206:                            ;   in Loop: Header=BB365_10 Depth=1
	s_or_b64 exec, exec, s[28:29]
	v_mul_f32_e32 v28, v1, v44
	v_and_b32_e32 v4, 0x7f800000, v28
	v_cmp_ne_u32_e64 s[8:9], s38, v4
                                        ; implicit-def: $vgpr44
	s_and_saveexec_b64 s[28:29], s[8:9]
	s_xor_b64 s[8:9], exec, s[28:29]
; %bb.207:                              ;   in Loop: Header=BB365_10 Depth=1
	v_bfe_u32 v4, v28, 16, 1
	v_add3_u32 v44, v28, v4, s39
                                        ; implicit-def: $vgpr28
; %bb.208:                              ;   in Loop: Header=BB365_10 Depth=1
	s_andn2_saveexec_b64 s[28:29], s[8:9]
; %bb.209:                              ;   in Loop: Header=BB365_10 Depth=1
	v_or_b32_e32 v4, 0x10000, v28
	v_cmp_eq_u32_sdwa s[8:9], v28, v23 src0_sel:WORD_0 src1_sel:DWORD
	v_cndmask_b32_e64 v44, v4, v28, s[8:9]
; %bb.210:                              ;   in Loop: Header=BB365_10 Depth=1
	s_or_b64 exec, exec, s[28:29]
	flat_load_ushort v4, v[20:21] offset:1280
	v_mov_b32_e32 v30, 0
	s_waitcnt vmcnt(0) lgkmcnt(0)
	v_and_b32_e32 v28, 0xffff, v4
	v_cmp_ne_u16_sdwa s[8:9], v4, v23 src0_sel:BYTE_0 src1_sel:DWORD
	s_and_saveexec_b64 s[28:29], s[8:9]
	s_cbranch_execz .LBB365_216
; %bb.211:                              ;   in Loop: Header=BB365_10 Depth=1
	v_cmp_ne_u16_sdwa s[8:9], v28, s19 src0_sel:BYTE_0 src1_sel:DWORD
	v_bfrev_b32_e32 v30, 1
	s_and_saveexec_b64 s[30:31], s[8:9]
	s_cbranch_execz .LBB365_215
; %bb.212:                              ;   in Loop: Header=BB365_10 Depth=1
	v_and_b32_e32 v45, 0x7f, v28
	v_cmp_ne_u32_e64 s[8:9], s37, v45
	v_mov_b32_e32 v30, 0x7f800001
	s_and_saveexec_b64 s[34:35], s[8:9]
	s_cbranch_execz .LBB365_214
; %bb.213:                              ;   in Loop: Header=BB365_10 Depth=1
	v_and_b32_e32 v4, 7, v28
	v_ffbh_u32_e32 v30, v4
	v_min_u32_e32 v30, 32, v30
	v_subrev_u32_e32 v46, 28, v30
	v_lshlrev_b64 v[46:47], v46, v[28:29]
	v_lshrrev_b32_e32 v5, 3, v45
	v_sub_u32_e32 v30, 29, v30
	v_and_b32_e32 v46, 7, v46
	v_cmp_gt_u32_e64 s[8:9], 8, v45
	v_cndmask_b32_e64 v5, v5, v30, s[8:9]
	v_cndmask_b32_e64 v4, v4, v46, s[8:9]
	v_lshlrev_b32_e32 v30, 24, v28
	v_lshlrev_b32_e32 v4, 20, v4
	v_and_b32_e32 v30, 0x80000000, v30
	v_lshl_add_u32 v5, v5, 23, v2
	v_or3_b32 v30, v30, v5, v4
.LBB365_214:                            ;   in Loop: Header=BB365_10 Depth=1
	s_or_b64 exec, exec, s[34:35]
.LBB365_215:                            ;   in Loop: Header=BB365_10 Depth=1
	s_or_b64 exec, exec, s[30:31]
.LBB365_216:                            ;   in Loop: Header=BB365_10 Depth=1
	s_or_b64 exec, exec, s[28:29]
	v_mul_f32_e32 v30, v1, v30
	v_and_b32_e32 v4, 0x7f800000, v30
	v_cmp_ne_u32_e64 s[8:9], s38, v4
                                        ; implicit-def: $vgpr45
	s_and_saveexec_b64 s[28:29], s[8:9]
	s_xor_b64 s[8:9], exec, s[28:29]
; %bb.217:                              ;   in Loop: Header=BB365_10 Depth=1
	v_bfe_u32 v4, v30, 16, 1
	v_add3_u32 v45, v30, v4, s39
                                        ; implicit-def: $vgpr30
; %bb.218:                              ;   in Loop: Header=BB365_10 Depth=1
	s_andn2_saveexec_b64 s[28:29], s[8:9]
; %bb.219:                              ;   in Loop: Header=BB365_10 Depth=1
	v_or_b32_e32 v4, 0x10000, v30
	v_cmp_eq_u32_sdwa s[8:9], v30, v23 src0_sel:WORD_0 src1_sel:DWORD
	v_cndmask_b32_e64 v45, v4, v30, s[8:9]
; %bb.220:                              ;   in Loop: Header=BB365_10 Depth=1
	s_or_b64 exec, exec, s[28:29]
	v_lshrrev_b16_e32 v30, 8, v28
	v_cmp_ne_u16_e64 s[8:9], 0, v30
	v_mov_b32_e32 v46, 0
	s_and_saveexec_b64 s[28:29], s[8:9]
	s_cbranch_execz .LBB365_226
; %bb.221:                              ;   in Loop: Header=BB365_10 Depth=1
	v_cmp_ne_u16_e64 s[8:9], s19, v30
	v_bfrev_b32_e32 v46, 1
	s_and_saveexec_b64 s[30:31], s[8:9]
	s_cbranch_execz .LBB365_225
; %bb.222:                              ;   in Loop: Header=BB365_10 Depth=1
	v_and_b32_e32 v47, 0x7f, v30
	v_cmp_ne_u32_e64 s[8:9], s37, v47
	v_mov_b32_e32 v46, 0x7f800001
	s_and_saveexec_b64 s[34:35], s[8:9]
	s_cbranch_execz .LBB365_224
; %bb.223:                              ;   in Loop: Header=BB365_10 Depth=1
	v_and_b32_e32 v4, 7, v30
	v_ffbh_u32_e32 v46, v4
	v_min_u32_e32 v46, 32, v46
	v_subrev_u32_e32 v56, 28, v46
	v_lshlrev_b64 v[56:57], v56, v[30:31]
	v_lshrrev_b32_e32 v5, 3, v47
	v_sub_u32_e32 v30, 29, v46
	v_and_b32_e32 v46, 7, v56
	v_cmp_gt_u32_e64 s[8:9], 8, v47
	v_cndmask_b32_e64 v5, v5, v30, s[8:9]
	v_cndmask_b32_e64 v4, v4, v46, s[8:9]
	v_lshlrev_b32_e32 v28, 16, v28
	v_lshlrev_b32_e32 v4, 20, v4
	v_and_b32_e32 v28, 0x80000000, v28
	v_lshl_add_u32 v5, v5, 23, v2
	v_or3_b32 v46, v28, v5, v4
.LBB365_224:                            ;   in Loop: Header=BB365_10 Depth=1
	s_or_b64 exec, exec, s[34:35]
.LBB365_225:                            ;   in Loop: Header=BB365_10 Depth=1
	s_or_b64 exec, exec, s[30:31]
.LBB365_226:                            ;   in Loop: Header=BB365_10 Depth=1
	s_or_b64 exec, exec, s[28:29]
	v_mul_f32_e32 v28, v1, v46
	v_and_b32_e32 v4, 0x7f800000, v28
	v_cmp_ne_u32_e64 s[8:9], s38, v4
                                        ; implicit-def: $vgpr46
	s_and_saveexec_b64 s[28:29], s[8:9]
	s_xor_b64 s[8:9], exec, s[28:29]
; %bb.227:                              ;   in Loop: Header=BB365_10 Depth=1
	v_bfe_u32 v4, v28, 16, 1
	v_add3_u32 v46, v28, v4, s39
                                        ; implicit-def: $vgpr28
; %bb.228:                              ;   in Loop: Header=BB365_10 Depth=1
	s_andn2_saveexec_b64 s[28:29], s[8:9]
; %bb.229:                              ;   in Loop: Header=BB365_10 Depth=1
	v_or_b32_e32 v4, 0x10000, v28
	v_cmp_eq_u32_sdwa s[8:9], v28, v23 src0_sel:WORD_0 src1_sel:DWORD
	v_cndmask_b32_e64 v46, v4, v28, s[8:9]
; %bb.230:                              ;   in Loop: Header=BB365_10 Depth=1
	s_or_b64 exec, exec, s[28:29]
	flat_load_ushort v4, v[20:21] offset:1288
	v_mov_b32_e32 v30, 0
	s_waitcnt vmcnt(0) lgkmcnt(0)
	v_and_b32_e32 v28, 0xffff, v4
	v_cmp_ne_u16_sdwa s[8:9], v4, v23 src0_sel:BYTE_0 src1_sel:DWORD
	s_and_saveexec_b64 s[28:29], s[8:9]
	s_cbranch_execz .LBB365_236
; %bb.231:                              ;   in Loop: Header=BB365_10 Depth=1
	v_cmp_ne_u16_sdwa s[8:9], v28, s19 src0_sel:BYTE_0 src1_sel:DWORD
	v_bfrev_b32_e32 v30, 1
	s_and_saveexec_b64 s[30:31], s[8:9]
	s_cbranch_execz .LBB365_235
; %bb.232:                              ;   in Loop: Header=BB365_10 Depth=1
	v_and_b32_e32 v47, 0x7f, v28
	v_cmp_ne_u32_e64 s[8:9], s37, v47
	v_mov_b32_e32 v30, 0x7f800001
	s_and_saveexec_b64 s[34:35], s[8:9]
	s_cbranch_execz .LBB365_234
; %bb.233:                              ;   in Loop: Header=BB365_10 Depth=1
	v_and_b32_e32 v4, 7, v28
	v_ffbh_u32_e32 v30, v4
	v_min_u32_e32 v30, 32, v30
	v_subrev_u32_e32 v56, 28, v30
	v_lshlrev_b64 v[56:57], v56, v[28:29]
	v_lshrrev_b32_e32 v5, 3, v47
	v_sub_u32_e32 v30, 29, v30
	v_and_b32_e32 v56, 7, v56
	v_cmp_gt_u32_e64 s[8:9], 8, v47
	v_cndmask_b32_e64 v5, v5, v30, s[8:9]
	v_cndmask_b32_e64 v4, v4, v56, s[8:9]
	v_lshlrev_b32_e32 v30, 24, v28
	v_lshlrev_b32_e32 v4, 20, v4
	v_and_b32_e32 v30, 0x80000000, v30
	v_lshl_add_u32 v5, v5, 23, v2
	v_or3_b32 v30, v30, v5, v4
.LBB365_234:                            ;   in Loop: Header=BB365_10 Depth=1
	s_or_b64 exec, exec, s[34:35]
.LBB365_235:                            ;   in Loop: Header=BB365_10 Depth=1
	s_or_b64 exec, exec, s[30:31]
.LBB365_236:                            ;   in Loop: Header=BB365_10 Depth=1
	s_or_b64 exec, exec, s[28:29]
	v_mul_f32_e32 v30, v1, v30
	v_and_b32_e32 v4, 0x7f800000, v30
	v_cmp_ne_u32_e64 s[8:9], s38, v4
                                        ; implicit-def: $vgpr47
	s_and_saveexec_b64 s[28:29], s[8:9]
	s_xor_b64 s[8:9], exec, s[28:29]
; %bb.237:                              ;   in Loop: Header=BB365_10 Depth=1
	v_bfe_u32 v4, v30, 16, 1
	v_add3_u32 v47, v30, v4, s39
                                        ; implicit-def: $vgpr30
; %bb.238:                              ;   in Loop: Header=BB365_10 Depth=1
	s_andn2_saveexec_b64 s[28:29], s[8:9]
; %bb.239:                              ;   in Loop: Header=BB365_10 Depth=1
	v_or_b32_e32 v4, 0x10000, v30
	v_cmp_eq_u32_sdwa s[8:9], v30, v23 src0_sel:WORD_0 src1_sel:DWORD
	v_cndmask_b32_e64 v47, v4, v30, s[8:9]
; %bb.240:                              ;   in Loop: Header=BB365_10 Depth=1
	s_or_b64 exec, exec, s[28:29]
	v_lshrrev_b16_e32 v30, 8, v28
	v_cmp_ne_u16_e64 s[8:9], 0, v30
	v_mov_b32_e32 v56, 0
	s_and_saveexec_b64 s[28:29], s[8:9]
	s_cbranch_execz .LBB365_246
; %bb.241:                              ;   in Loop: Header=BB365_10 Depth=1
	v_cmp_ne_u16_e64 s[8:9], s19, v30
	v_bfrev_b32_e32 v56, 1
	s_and_saveexec_b64 s[30:31], s[8:9]
	s_cbranch_execz .LBB365_245
; %bb.242:                              ;   in Loop: Header=BB365_10 Depth=1
	v_and_b32_e32 v57, 0x7f, v30
	v_cmp_ne_u32_e64 s[8:9], s37, v57
	v_mov_b32_e32 v56, 0x7f800001
	s_and_saveexec_b64 s[34:35], s[8:9]
	s_cbranch_execz .LBB365_244
; %bb.243:                              ;   in Loop: Header=BB365_10 Depth=1
	v_and_b32_e32 v4, 7, v30
	v_ffbh_u32_e32 v56, v4
	v_min_u32_e32 v56, 32, v56
	v_subrev_u32_e32 v58, 28, v56
	v_lshlrev_b64 v[58:59], v58, v[30:31]
	v_lshrrev_b32_e32 v5, 3, v57
	v_sub_u32_e32 v30, 29, v56
	v_and_b32_e32 v56, 7, v58
	v_cmp_gt_u32_e64 s[8:9], 8, v57
	v_cndmask_b32_e64 v5, v5, v30, s[8:9]
	v_cndmask_b32_e64 v4, v4, v56, s[8:9]
	v_lshlrev_b32_e32 v28, 16, v28
	v_lshlrev_b32_e32 v4, 20, v4
	v_and_b32_e32 v28, 0x80000000, v28
	v_lshl_add_u32 v5, v5, 23, v2
	v_or3_b32 v56, v28, v5, v4
.LBB365_244:                            ;   in Loop: Header=BB365_10 Depth=1
	s_or_b64 exec, exec, s[34:35]
.LBB365_245:                            ;   in Loop: Header=BB365_10 Depth=1
	s_or_b64 exec, exec, s[30:31]
.LBB365_246:                            ;   in Loop: Header=BB365_10 Depth=1
	s_or_b64 exec, exec, s[28:29]
	v_mul_f32_e32 v28, v1, v56
	v_and_b32_e32 v4, 0x7f800000, v28
	v_cmp_ne_u32_e64 s[8:9], s38, v4
                                        ; implicit-def: $vgpr56
	s_and_saveexec_b64 s[28:29], s[8:9]
	s_xor_b64 s[8:9], exec, s[28:29]
; %bb.247:                              ;   in Loop: Header=BB365_10 Depth=1
	v_bfe_u32 v4, v28, 16, 1
	v_add3_u32 v56, v28, v4, s39
                                        ; implicit-def: $vgpr28
; %bb.248:                              ;   in Loop: Header=BB365_10 Depth=1
	s_andn2_saveexec_b64 s[28:29], s[8:9]
; %bb.249:                              ;   in Loop: Header=BB365_10 Depth=1
	v_or_b32_e32 v4, 0x10000, v28
	v_cmp_eq_u32_sdwa s[8:9], v28, v23 src0_sel:WORD_0 src1_sel:DWORD
	v_cndmask_b32_e64 v56, v4, v28, s[8:9]
; %bb.250:                              ;   in Loop: Header=BB365_10 Depth=1
	s_or_b64 exec, exec, s[28:29]
	flat_load_ushort v4, v[20:21] offset:1536
	v_mov_b32_e32 v30, 0
	s_waitcnt vmcnt(0) lgkmcnt(0)
	v_and_b32_e32 v28, 0xffff, v4
	v_cmp_ne_u16_sdwa s[8:9], v4, v23 src0_sel:BYTE_0 src1_sel:DWORD
	s_and_saveexec_b64 s[28:29], s[8:9]
	s_cbranch_execz .LBB365_256
; %bb.251:                              ;   in Loop: Header=BB365_10 Depth=1
	v_cmp_ne_u16_sdwa s[8:9], v28, s19 src0_sel:BYTE_0 src1_sel:DWORD
	v_bfrev_b32_e32 v30, 1
	s_and_saveexec_b64 s[30:31], s[8:9]
	s_cbranch_execz .LBB365_255
; %bb.252:                              ;   in Loop: Header=BB365_10 Depth=1
	v_and_b32_e32 v57, 0x7f, v28
	v_cmp_ne_u32_e64 s[8:9], s37, v57
	v_mov_b32_e32 v30, 0x7f800001
	s_and_saveexec_b64 s[34:35], s[8:9]
	s_cbranch_execz .LBB365_254
; %bb.253:                              ;   in Loop: Header=BB365_10 Depth=1
	v_and_b32_e32 v4, 7, v28
	v_ffbh_u32_e32 v30, v4
	v_min_u32_e32 v30, 32, v30
	v_subrev_u32_e32 v58, 28, v30
	v_lshlrev_b64 v[58:59], v58, v[28:29]
	v_lshrrev_b32_e32 v5, 3, v57
	v_sub_u32_e32 v30, 29, v30
	v_and_b32_e32 v58, 7, v58
	v_cmp_gt_u32_e64 s[8:9], 8, v57
	v_cndmask_b32_e64 v5, v5, v30, s[8:9]
	v_cndmask_b32_e64 v4, v4, v58, s[8:9]
	v_lshlrev_b32_e32 v30, 24, v28
	v_lshlrev_b32_e32 v4, 20, v4
	v_and_b32_e32 v30, 0x80000000, v30
	v_lshl_add_u32 v5, v5, 23, v2
	v_or3_b32 v30, v30, v5, v4
.LBB365_254:                            ;   in Loop: Header=BB365_10 Depth=1
	s_or_b64 exec, exec, s[34:35]
.LBB365_255:                            ;   in Loop: Header=BB365_10 Depth=1
	s_or_b64 exec, exec, s[30:31]
.LBB365_256:                            ;   in Loop: Header=BB365_10 Depth=1
	s_or_b64 exec, exec, s[28:29]
	v_mul_f32_e32 v30, v1, v30
	v_and_b32_e32 v4, 0x7f800000, v30
	v_cmp_ne_u32_e64 s[8:9], s38, v4
                                        ; implicit-def: $vgpr57
	s_and_saveexec_b64 s[28:29], s[8:9]
	s_xor_b64 s[8:9], exec, s[28:29]
; %bb.257:                              ;   in Loop: Header=BB365_10 Depth=1
	v_bfe_u32 v4, v30, 16, 1
	v_add3_u32 v57, v30, v4, s39
                                        ; implicit-def: $vgpr30
; %bb.258:                              ;   in Loop: Header=BB365_10 Depth=1
	s_andn2_saveexec_b64 s[28:29], s[8:9]
; %bb.259:                              ;   in Loop: Header=BB365_10 Depth=1
	v_or_b32_e32 v4, 0x10000, v30
	v_cmp_eq_u32_sdwa s[8:9], v30, v23 src0_sel:WORD_0 src1_sel:DWORD
	v_cndmask_b32_e64 v57, v4, v30, s[8:9]
; %bb.260:                              ;   in Loop: Header=BB365_10 Depth=1
	s_or_b64 exec, exec, s[28:29]
	v_lshrrev_b16_e32 v30, 8, v28
	v_cmp_ne_u16_e64 s[8:9], 0, v30
	v_mov_b32_e32 v58, 0
	s_and_saveexec_b64 s[28:29], s[8:9]
	s_cbranch_execz .LBB365_266
; %bb.261:                              ;   in Loop: Header=BB365_10 Depth=1
	v_cmp_ne_u16_e64 s[8:9], s19, v30
	v_bfrev_b32_e32 v58, 1
	s_and_saveexec_b64 s[30:31], s[8:9]
	s_cbranch_execz .LBB365_265
; %bb.262:                              ;   in Loop: Header=BB365_10 Depth=1
	v_and_b32_e32 v59, 0x7f, v30
	v_cmp_ne_u32_e64 s[8:9], s37, v59
	v_mov_b32_e32 v58, 0x7f800001
	s_and_saveexec_b64 s[34:35], s[8:9]
	s_cbranch_execz .LBB365_264
; %bb.263:                              ;   in Loop: Header=BB365_10 Depth=1
	v_and_b32_e32 v4, 7, v30
	v_ffbh_u32_e32 v58, v4
	v_min_u32_e32 v58, 32, v58
	v_subrev_u32_e32 v60, 28, v58
	v_lshlrev_b64 v[60:61], v60, v[30:31]
	v_lshrrev_b32_e32 v5, 3, v59
	v_sub_u32_e32 v30, 29, v58
	v_and_b32_e32 v58, 7, v60
	v_cmp_gt_u32_e64 s[8:9], 8, v59
	v_cndmask_b32_e64 v5, v5, v30, s[8:9]
	v_cndmask_b32_e64 v4, v4, v58, s[8:9]
	v_lshlrev_b32_e32 v28, 16, v28
	v_lshlrev_b32_e32 v4, 20, v4
	v_and_b32_e32 v28, 0x80000000, v28
	v_lshl_add_u32 v5, v5, 23, v2
	v_or3_b32 v58, v28, v5, v4
.LBB365_264:                            ;   in Loop: Header=BB365_10 Depth=1
	s_or_b64 exec, exec, s[34:35]
.LBB365_265:                            ;   in Loop: Header=BB365_10 Depth=1
	s_or_b64 exec, exec, s[30:31]
.LBB365_266:                            ;   in Loop: Header=BB365_10 Depth=1
	s_or_b64 exec, exec, s[28:29]
	v_mul_f32_e32 v28, v1, v58
	v_and_b32_e32 v4, 0x7f800000, v28
	v_cmp_ne_u32_e64 s[8:9], s38, v4
                                        ; implicit-def: $vgpr58
	s_and_saveexec_b64 s[28:29], s[8:9]
	s_xor_b64 s[8:9], exec, s[28:29]
; %bb.267:                              ;   in Loop: Header=BB365_10 Depth=1
	v_bfe_u32 v4, v28, 16, 1
	v_add3_u32 v58, v28, v4, s39
                                        ; implicit-def: $vgpr28
; %bb.268:                              ;   in Loop: Header=BB365_10 Depth=1
	s_andn2_saveexec_b64 s[28:29], s[8:9]
; %bb.269:                              ;   in Loop: Header=BB365_10 Depth=1
	v_or_b32_e32 v4, 0x10000, v28
	v_cmp_eq_u32_sdwa s[8:9], v28, v23 src0_sel:WORD_0 src1_sel:DWORD
	v_cndmask_b32_e64 v58, v4, v28, s[8:9]
; %bb.270:                              ;   in Loop: Header=BB365_10 Depth=1
	s_or_b64 exec, exec, s[28:29]
	flat_load_ushort v4, v[20:21] offset:1544
	v_mov_b32_e32 v30, 0
	s_waitcnt vmcnt(0) lgkmcnt(0)
	v_and_b32_e32 v28, 0xffff, v4
	v_cmp_ne_u16_sdwa s[8:9], v4, v23 src0_sel:BYTE_0 src1_sel:DWORD
	s_and_saveexec_b64 s[28:29], s[8:9]
	s_cbranch_execz .LBB365_276
; %bb.271:                              ;   in Loop: Header=BB365_10 Depth=1
	v_cmp_ne_u16_sdwa s[8:9], v28, s19 src0_sel:BYTE_0 src1_sel:DWORD
	v_bfrev_b32_e32 v30, 1
	s_and_saveexec_b64 s[30:31], s[8:9]
	s_cbranch_execz .LBB365_275
; %bb.272:                              ;   in Loop: Header=BB365_10 Depth=1
	v_and_b32_e32 v59, 0x7f, v28
	v_cmp_ne_u32_e64 s[8:9], s37, v59
	v_mov_b32_e32 v30, 0x7f800001
	s_and_saveexec_b64 s[34:35], s[8:9]
	s_cbranch_execz .LBB365_274
; %bb.273:                              ;   in Loop: Header=BB365_10 Depth=1
	v_and_b32_e32 v4, 7, v28
	v_ffbh_u32_e32 v30, v4
	v_min_u32_e32 v30, 32, v30
	v_subrev_u32_e32 v60, 28, v30
	v_lshlrev_b64 v[60:61], v60, v[28:29]
	v_lshrrev_b32_e32 v5, 3, v59
	v_sub_u32_e32 v30, 29, v30
	v_and_b32_e32 v60, 7, v60
	v_cmp_gt_u32_e64 s[8:9], 8, v59
	v_cndmask_b32_e64 v5, v5, v30, s[8:9]
	v_cndmask_b32_e64 v4, v4, v60, s[8:9]
	v_lshlrev_b32_e32 v30, 24, v28
	v_lshlrev_b32_e32 v4, 20, v4
	v_and_b32_e32 v30, 0x80000000, v30
	v_lshl_add_u32 v5, v5, 23, v2
	v_or3_b32 v30, v30, v5, v4
.LBB365_274:                            ;   in Loop: Header=BB365_10 Depth=1
	s_or_b64 exec, exec, s[34:35]
.LBB365_275:                            ;   in Loop: Header=BB365_10 Depth=1
	s_or_b64 exec, exec, s[30:31]
.LBB365_276:                            ;   in Loop: Header=BB365_10 Depth=1
	s_or_b64 exec, exec, s[28:29]
	v_mul_f32_e32 v30, v1, v30
	v_and_b32_e32 v4, 0x7f800000, v30
	v_cmp_ne_u32_e64 s[8:9], s38, v4
                                        ; implicit-def: $vgpr59
	s_and_saveexec_b64 s[28:29], s[8:9]
	s_xor_b64 s[8:9], exec, s[28:29]
; %bb.277:                              ;   in Loop: Header=BB365_10 Depth=1
	v_bfe_u32 v4, v30, 16, 1
	v_add3_u32 v59, v30, v4, s39
                                        ; implicit-def: $vgpr30
; %bb.278:                              ;   in Loop: Header=BB365_10 Depth=1
	s_andn2_saveexec_b64 s[28:29], s[8:9]
; %bb.279:                              ;   in Loop: Header=BB365_10 Depth=1
	v_or_b32_e32 v4, 0x10000, v30
	v_cmp_eq_u32_sdwa s[8:9], v30, v23 src0_sel:WORD_0 src1_sel:DWORD
	v_cndmask_b32_e64 v59, v4, v30, s[8:9]
; %bb.280:                              ;   in Loop: Header=BB365_10 Depth=1
	s_or_b64 exec, exec, s[28:29]
	v_lshrrev_b16_e32 v30, 8, v28
	v_cmp_ne_u16_e64 s[8:9], 0, v30
	v_mov_b32_e32 v60, 0
	s_and_saveexec_b64 s[28:29], s[8:9]
	s_cbranch_execz .LBB365_286
; %bb.281:                              ;   in Loop: Header=BB365_10 Depth=1
	v_cmp_ne_u16_e64 s[8:9], s19, v30
	v_bfrev_b32_e32 v60, 1
	s_and_saveexec_b64 s[30:31], s[8:9]
	s_cbranch_execz .LBB365_285
; %bb.282:                              ;   in Loop: Header=BB365_10 Depth=1
	v_and_b32_e32 v61, 0x7f, v30
	v_cmp_ne_u32_e64 s[8:9], s37, v61
	v_mov_b32_e32 v60, 0x7f800001
	s_and_saveexec_b64 s[34:35], s[8:9]
	s_cbranch_execz .LBB365_284
; %bb.283:                              ;   in Loop: Header=BB365_10 Depth=1
	v_and_b32_e32 v60, 7, v30
	v_ffbh_u32_e32 v4, v60
	v_min_u32_e32 v62, 32, v4
	v_subrev_u32_e32 v4, 28, v62
	v_lshlrev_b64 v[4:5], v4, v[30:31]
	v_lshrrev_b32_e32 v34, 3, v61
	v_sub_u32_e32 v5, 29, v62
	v_and_b32_e32 v4, 7, v4
	v_cmp_gt_u32_e64 s[8:9], 8, v61
	v_cndmask_b32_e64 v5, v34, v5, s[8:9]
	v_cndmask_b32_e64 v4, v60, v4, s[8:9]
	v_lshlrev_b32_e32 v28, 16, v28
	v_lshlrev_b32_e32 v4, 20, v4
	v_and_b32_e32 v28, 0x80000000, v28
	v_lshl_add_u32 v5, v5, 23, v2
	v_accvgpr_read_b32 v62, a21
	v_or3_b32 v60, v28, v5, v4
.LBB365_284:                            ;   in Loop: Header=BB365_10 Depth=1
	s_or_b64 exec, exec, s[34:35]
.LBB365_285:                            ;   in Loop: Header=BB365_10 Depth=1
	s_or_b64 exec, exec, s[30:31]
.LBB365_286:                            ;   in Loop: Header=BB365_10 Depth=1
	s_or_b64 exec, exec, s[28:29]
	v_mul_f32_e32 v28, v1, v60
	v_and_b32_e32 v4, 0x7f800000, v28
	v_cmp_ne_u32_e64 s[8:9], s38, v4
                                        ; implicit-def: $vgpr30
	s_and_saveexec_b64 s[28:29], s[8:9]
	s_xor_b64 s[8:9], exec, s[28:29]
; %bb.287:                              ;   in Loop: Header=BB365_10 Depth=1
	v_bfe_u32 v4, v28, 16, 1
	v_add3_u32 v30, v28, v4, s39
                                        ; implicit-def: $vgpr28
; %bb.288:                              ;   in Loop: Header=BB365_10 Depth=1
	s_andn2_saveexec_b64 s[28:29], s[8:9]
; %bb.289:                              ;   in Loop: Header=BB365_10 Depth=1
	v_or_b32_e32 v4, 0x10000, v28
	v_cmp_eq_u32_sdwa s[8:9], v28, v23 src0_sel:WORD_0 src1_sel:DWORD
	v_cndmask_b32_e64 v30, v4, v28, s[8:9]
; %bb.290:                              ;   in Loop: Header=BB365_10 Depth=1
	s_or_b64 exec, exec, s[28:29]
	flat_load_ushort v4, v[20:21] offset:1792
	v_mov_b32_e32 v21, 0
	s_waitcnt vmcnt(0) lgkmcnt(0)
	v_and_b32_e32 v20, 0xffff, v4
	v_cmp_ne_u16_sdwa s[8:9], v4, v23 src0_sel:BYTE_0 src1_sel:DWORD
	s_and_saveexec_b64 s[28:29], s[8:9]
	s_cbranch_execz .LBB365_296
; %bb.291:                              ;   in Loop: Header=BB365_10 Depth=1
	v_cmp_ne_u16_sdwa s[8:9], v20, s19 src0_sel:BYTE_0 src1_sel:DWORD
	v_bfrev_b32_e32 v21, 1
	s_and_saveexec_b64 s[30:31], s[8:9]
	s_cbranch_execz .LBB365_295
; %bb.292:                              ;   in Loop: Header=BB365_10 Depth=1
	v_and_b32_e32 v28, 0x7f, v20
	v_cmp_ne_u32_e64 s[8:9], s37, v28
	v_mov_b32_e32 v21, 0x7f800001
	s_and_saveexec_b64 s[34:35], s[8:9]
	s_cbranch_execz .LBB365_294
; %bb.293:                              ;   in Loop: Header=BB365_10 Depth=1
	v_and_b32_e32 v21, 7, v20
	v_ffbh_u32_e32 v4, v21
	v_min_u32_e32 v60, 32, v4
	v_subrev_u32_e32 v4, 28, v60
	v_lshlrev_b64 v[4:5], v4, v[20:21]
	v_lshrrev_b32_e32 v34, 3, v28
	v_sub_u32_e32 v5, 29, v60
	v_and_b32_e32 v4, 7, v4
	v_cmp_gt_u32_e64 s[8:9], 8, v28
	v_cndmask_b32_e64 v5, v34, v5, s[8:9]
	v_cndmask_b32_e64 v4, v21, v4, s[8:9]
	v_lshlrev_b32_e32 v21, 24, v20
	v_lshlrev_b32_e32 v4, 20, v4
	v_and_b32_e32 v21, 0x80000000, v21
	v_lshl_add_u32 v5, v5, 23, v2
	v_or3_b32 v21, v21, v5, v4
.LBB365_294:                            ;   in Loop: Header=BB365_10 Depth=1
	s_or_b64 exec, exec, s[34:35]
.LBB365_295:                            ;   in Loop: Header=BB365_10 Depth=1
	s_or_b64 exec, exec, s[30:31]
.LBB365_296:                            ;   in Loop: Header=BB365_10 Depth=1
	s_or_b64 exec, exec, s[28:29]
	v_mul_f32_e32 v28, v1, v21
	v_and_b32_e32 v4, 0x7f800000, v28
	v_cmp_ne_u32_e64 s[8:9], s38, v4
                                        ; implicit-def: $vgpr21
	s_and_saveexec_b64 s[28:29], s[8:9]
	s_xor_b64 s[8:9], exec, s[28:29]
; %bb.297:                              ;   in Loop: Header=BB365_10 Depth=1
	v_bfe_u32 v4, v28, 16, 1
	v_add3_u32 v21, v28, v4, s39
                                        ; implicit-def: $vgpr28
; %bb.298:                              ;   in Loop: Header=BB365_10 Depth=1
	s_andn2_saveexec_b64 s[28:29], s[8:9]
; %bb.299:                              ;   in Loop: Header=BB365_10 Depth=1
	v_or_b32_e32 v4, 0x10000, v28
	v_cmp_eq_u32_sdwa s[8:9], v28, v23 src0_sel:WORD_0 src1_sel:DWORD
	v_cndmask_b32_e64 v21, v4, v28, s[8:9]
; %bb.300:                              ;   in Loop: Header=BB365_10 Depth=1
	s_or_b64 exec, exec, s[28:29]
	v_lshrrev_b16_e32 v28, 8, v20
	v_cmp_ne_u16_e64 s[8:9], 0, v28
	v_mov_b32_e32 v60, 0
	s_and_saveexec_b64 s[28:29], s[8:9]
	s_cbranch_execz .LBB365_306
; %bb.301:                              ;   in Loop: Header=BB365_10 Depth=1
	v_cmp_ne_u16_e64 s[8:9], s19, v28
	v_bfrev_b32_e32 v60, 1
	s_and_saveexec_b64 s[30:31], s[8:9]
	s_cbranch_execz .LBB365_305
; %bb.302:                              ;   in Loop: Header=BB365_10 Depth=1
	v_and_b32_e32 v61, 0x7f, v28
	v_cmp_ne_u32_e64 s[8:9], s37, v61
	v_mov_b32_e32 v60, 0x7f800001
	s_and_saveexec_b64 s[34:35], s[8:9]
	s_cbranch_execz .LBB365_304
; %bb.303:                              ;   in Loop: Header=BB365_10 Depth=1
	v_and_b32_e32 v34, 7, v28
	v_ffbh_u32_e32 v4, v34
	v_min_u32_e32 v62, 32, v4
	v_subrev_u32_e32 v4, 28, v62
	v_lshlrev_b64 v[4:5], v4, v[28:29]
	v_lshrrev_b32_e32 v60, 3, v61
	v_sub_u32_e32 v5, 29, v62
	v_and_b32_e32 v4, 7, v4
	v_cmp_gt_u32_e64 s[8:9], 8, v61
	v_cndmask_b32_e64 v5, v60, v5, s[8:9]
	v_cndmask_b32_e64 v4, v34, v4, s[8:9]
	v_lshlrev_b32_e32 v20, 16, v20
	v_lshlrev_b32_e32 v4, 20, v4
	v_and_b32_e32 v20, 0x80000000, v20
	v_lshl_add_u32 v5, v5, 23, v2
	v_accvgpr_read_b32 v62, a21
	v_or3_b32 v60, v20, v5, v4
.LBB365_304:                            ;   in Loop: Header=BB365_10 Depth=1
	s_or_b64 exec, exec, s[34:35]
.LBB365_305:                            ;   in Loop: Header=BB365_10 Depth=1
	s_or_b64 exec, exec, s[30:31]
.LBB365_306:                            ;   in Loop: Header=BB365_10 Depth=1
	s_or_b64 exec, exec, s[28:29]
	v_mul_f32_e32 v20, v1, v60
	v_and_b32_e32 v1, 0x7f800000, v20
	v_cmp_ne_u32_e64 s[8:9], s38, v1
                                        ; implicit-def: $vgpr1
	s_and_saveexec_b64 s[28:29], s[8:9]
	s_xor_b64 s[8:9], exec, s[28:29]
; %bb.307:                              ;   in Loop: Header=BB365_10 Depth=1
	v_bfe_u32 v1, v20, 16, 1
	v_add3_u32 v1, v20, v1, s39
                                        ; implicit-def: $vgpr20
; %bb.308:                              ;   in Loop: Header=BB365_10 Depth=1
	s_andn2_saveexec_b64 s[28:29], s[8:9]
; %bb.309:                              ;   in Loop: Header=BB365_10 Depth=1
	v_or_b32_e32 v1, 0x10000, v20
	v_cmp_eq_u32_sdwa s[8:9], v20, v23 src0_sel:WORD_0 src1_sel:DWORD
	v_cndmask_b32_e64 v1, v1, v20, s[8:9]
; %bb.310:                              ;   in Loop: Header=BB365_10 Depth=1
	s_or_b64 exec, exec, s[28:29]
	v_and_b32_e32 v4, 0xffff0000, v31
	v_and_b32_e32 v5, 0xffff0000, v15
	v_accvgpr_read_b32 v15, a24
	v_mul_f32_e32 v4, v15, v4
	v_fmac_f32_e32 v4, v62, v5
	v_and_b32_e32 v5, 0xffff0000, v27
	v_accvgpr_read_b32 v15, a25
	v_and_b32_e32 v14, 0xffff0000, v14
	v_mul_f32_e32 v5, v15, v5
	v_accvgpr_read_b32 v15, a23
	v_and_b32_e32 v34, 0xffff0000, v45
	v_and_b32_e32 v26, 0xffff0000, v26
	v_accvgpr_read_b32 v45, a26
	v_fmac_f32_e32 v5, v15, v14
	v_and_b32_e32 v38, 0xffff0000, v38
	v_fmac_f32_e32 v4, v45, v26
	v_accvgpr_read_b32 v26, a27
	v_and_b32_e32 v12, 0xffff0000, v12
	v_fmac_f32_e32 v5, v26, v38
	v_accvgpr_read_b32 v26, a28
	;; [unrolled: 3-line block ×15, first 2 shown]
	v_fmac_f32_e32 v5, v12, v44
	v_accvgpr_read_b32 v12, a42
	v_and_b32_e32 v31, 0xffff0000, v46
	v_fmac_f32_e32 v4, v12, v34
	v_accvgpr_read_b32 v12, a43
	v_and_b32_e32 v15, 0xffff0000, v30
	v_and_b32_e32 v30, 0xffff0000, v47
	v_fmac_f32_e32 v5, v12, v31
	v_accvgpr_read_b32 v12, a44
	v_and_b32_e32 v28, 0xffff0000, v56
	v_fmac_f32_e32 v4, v12, v30
	v_accvgpr_read_b32 v12, a45
	;; [unrolled: 3-line block ×3, first 2 shown]
	v_and_b32_e32 v14, 0xffff0000, v21
	v_and_b32_e32 v21, 0xffff0000, v58
	v_fmac_f32_e32 v4, v12, v27
	v_accvgpr_read_b32 v12, a47
	v_and_b32_e32 v20, 0xffff0000, v59
	v_fmac_f32_e32 v5, v12, v21
	v_and_b32_e32 v1, 0xffff0000, v1
	v_fmac_f32_e32 v4, v37, v20
	v_fmac_f32_e32 v5, v6, v15
	;; [unrolled: 1-line block ×4, first 2 shown]
	v_add_f32_e32 v1, v4, v5
	ds_bpermute_b32 v4, v11, v1
	s_waitcnt lgkmcnt(0)
	v_add_f32_e32 v1, v1, v4
	ds_bpermute_b32 v12, v10, v1
	s_and_saveexec_b64 s[28:29], vcc
	s_cbranch_execz .LBB365_9
; %bb.311:                              ;   in Loop: Header=BB365_10 Depth=1
	v_accvgpr_read_b32 v4, a48
	v_add_u32_e32 v4, v4, v0
	v_cvt_f32_i32_e32 v4, v4
	s_load_dword s8, s[24:25], 0x0
	s_waitcnt lgkmcnt(0)
	v_add_f32_e32 v1, v1, v12
	v_mul_f32_e32 v4, v39, v4
	v_cndmask_b32_e64 v4, 0, v4, s[6:7]
	v_add_u32_e32 v5, s8, v3
	v_fmac_f32_e32 v4, v1, v13
	v_cmp_lt_i32_e64 s[8:9], v0, v32
	v_cndmask_b32_e64 v1, 0, v4, s[8:9]
	ds_write_b32 v5, v1
	v_max_f32_e32 v1, v35, v35
	v_max_f32_e32 v1, v1, v4
	v_cndmask_b32_e64 v35, v35, v1, s[8:9]
	s_branch .LBB365_9
.LBB365_312:
	s_or_b64 exec, exec, s[26:27]
	v_accvgpr_read_b32 v20, a0
	v_accvgpr_read_b32 v26, a1
	;; [unrolled: 1-line block ×12, first 2 shown]
	s_waitcnt lgkmcnt(0)
	v_accvgpr_read_b32 v12, a20
.LBB365_313:
	s_or_b64 exec, exec, s[10:11]
	v_xor_b32_e32 v0, 32, v33
	v_cmp_lt_i32_e32 vcc, v0, v12
	v_cndmask_b32_e32 v0, v33, v0, vcc
	v_lshlrev_b32_e32 v3, 2, v0
	ds_bpermute_b32 v0, v3, v35
	v_xor_b32_e32 v2, 16, v33
	v_max_f32_e32 v1, v35, v35
	v_cmp_lt_i32_e32 vcc, v2, v12
	s_waitcnt lgkmcnt(0)
	s_lshr_b32 s28, s36, 16
	v_max_f32_e32 v0, v0, v0
	v_max_f32_e32 v0, v1, v0
	v_cndmask_b32_e32 v1, v33, v2, vcc
	v_lshlrev_b32_e32 v4, 2, v1
	ds_bpermute_b32 v1, v4, v0
	v_xor_b32_e32 v2, 8, v33
	v_cmp_lt_i32_e32 vcc, v2, v12
	v_lshlrev_b32_e32 v5, 2, v28
	s_waitcnt lgkmcnt(0)
	v_max_f32_e32 v1, v1, v1
	v_max_f32_e32 v0, v0, v1
	v_cndmask_b32_e32 v1, v33, v2, vcc
	v_lshlrev_b32_e32 v7, 2, v1
	ds_bpermute_b32 v1, v7, v0
	v_xor_b32_e32 v2, 4, v33
	v_cmp_lt_i32_e32 vcc, v2, v12
	s_waitcnt lgkmcnt(0)
	v_max_f32_e32 v1, v1, v1
	v_max_f32_e32 v1, v0, v1
	v_cndmask_b32_e32 v0, v33, v2, vcc
	v_lshlrev_b32_e32 v8, 2, v0
	ds_bpermute_b32 v2, v8, v1
	v_and_b32_e32 v0, 63, v27
	v_cmp_eq_u32_e32 vcc, 0, v0
	s_and_saveexec_b64 s[6:7], vcc
	s_cbranch_execz .LBB365_315
; %bb.314:
	s_waitcnt lgkmcnt(0)
	v_max_f32_e32 v2, v2, v2
	v_max_f32_e32 v1, v1, v1
	;; [unrolled: 1-line block ×3, first 2 shown]
	ds_write_b32 v5, v1 offset:240
.LBB365_315:
	s_or_b64 exec, exec, s[6:7]
	v_cmp_gt_u32_e64 s[6:7], 2, v0
	v_mov_b32_e32 v1, 0xff7fffff
	v_lshlrev_b32_e32 v6, 2, v0
	s_waitcnt lgkmcnt(0)
	s_barrier
	s_and_saveexec_b64 s[8:9], s[6:7]
	s_cbranch_execz .LBB365_317
; %bb.316:
	ds_read_b32 v1, v6 offset:240
.LBB365_317:
	s_or_b64 exec, exec, s[8:9]
	v_xor_b32_e32 v2, 1, v33
	v_cmp_lt_i32_e64 s[8:9], v2, v12
	v_cndmask_b32_e64 v2, v33, v2, s[8:9]
	v_lshlrev_b32_e32 v21, 2, v2
	s_waitcnt lgkmcnt(0)
	ds_bpermute_b32 v2, v21, v1
	v_max_f32_e32 v1, v1, v1
	v_accvgpr_read_b32 v9, a5
	v_subrev_u32_e32 v9, s21, v9
	v_lshl_add_u32 v9, v9, 4, s23
	s_waitcnt lgkmcnt(0)
	v_max_f32_e32 v2, v2, v2
	v_max_f32_e32 v1, v1, v2
	v_lshlrev_b32_e32 v2, 2, v33
	v_and_b32_e32 v10, 0xffffff00, v2
	ds_bpermute_b32 v1, v10, v1
	v_min_i32_e32 v9, v9, v32
	v_subrev_u32_e32 v2, s23, v9
	v_cmp_lt_i32_e64 s[8:9], v27, v2
	v_mov_b32_e32 v11, 0
	s_and_saveexec_b64 s[24:25], s[8:9]
	s_cbranch_execz .LBB365_321
; %bb.318:
	s_ashr_i32 s19, s18, 31
	s_lshl_b64 s[10:11], s[18:19], 2
	s_getpc_b64 s[26:27]
	s_add_u32 s26, s26, llvm.amdgcn.dynlds.offset.table@rel32@lo+4
	s_addc_u32 s27, s27, llvm.amdgcn.dynlds.offset.table@rel32@hi+12
	s_add_u32 s10, s10, s26
	s_addc_u32 s11, s11, s27
	s_load_dword s10, s[10:11], 0x0
	v_mov_b32_e32 v23, v12
	s_mov_b64 s[26:27], 0
	v_mov_b32_e32 v11, 0
	v_mov_b32_e32 v13, v27
	s_waitcnt lgkmcnt(0)
	v_lshl_add_u32 v12, v27, 2, s10
.LBB365_319:                            ; =>This Inner Loop Header: Depth=1
	ds_read_b32 v18, v12
	v_add_u32_e32 v13, 0x80, v13
	v_cmp_ge_i32_e64 s[10:11], v13, v2
	s_or_b64 s[26:27], s[10:11], s[26:27]
	s_waitcnt lgkmcnt(0)
	v_sub_f32_e32 v18, v18, v1
	v_mul_f32_e32 v18, 0x3fb8aa3b, v18
	v_exp_f32_e32 v18, v18
	ds_write_b32 v12, v18
	v_add_f32_e32 v11, v11, v18
	v_add_u32_e32 v12, 0x200, v12
	s_andn2_b64 exec, exec, s[26:27]
	s_cbranch_execnz .LBB365_319
; %bb.320:
	s_or_b64 exec, exec, s[26:27]
	v_mov_b32_e32 v12, v23
.LBB365_321:
	s_or_b64 exec, exec, s[24:25]
	ds_bpermute_b32 v3, v3, v11
	s_waitcnt lgkmcnt(0)
	v_add_f32_e32 v3, v11, v3
	ds_bpermute_b32 v4, v4, v3
	s_waitcnt lgkmcnt(0)
	v_add_f32_e32 v3, v3, v4
	ds_bpermute_b32 v4, v7, v3
	v_xor_b32_e32 v7, 2, v33
	v_cmp_lt_i32_e64 s[10:11], v7, v12
	v_cndmask_b32_e64 v7, v33, v7, s[10:11]
	s_waitcnt lgkmcnt(0)
	v_add_f32_e32 v3, v3, v4
	ds_bpermute_b32 v4, v8, v3
	s_waitcnt lgkmcnt(0)
	v_add_f32_e32 v3, v3, v4
	v_lshlrev_b32_e32 v4, 2, v7
	ds_bpermute_b32 v4, v4, v3
	s_waitcnt lgkmcnt(0)
	v_add_f32_e32 v3, v3, v4
	ds_bpermute_b32 v4, v21, v3
	s_waitcnt lgkmcnt(0)
	v_add_f32_e32 v3, v3, v4
	s_and_saveexec_b64 s[10:11], vcc
	s_cbranch_execz .LBB365_323
; %bb.322:
	ds_write_b32 v5, v3 offset:248
.LBB365_323:
	s_or_b64 exec, exec, s[10:11]
	s_waitcnt lgkmcnt(0)
	s_barrier
	s_and_saveexec_b64 s[10:11], s[6:7]
	s_cbranch_execz .LBB365_325
; %bb.324:
	ds_read_b32 v3, v6 offset:248
.LBB365_325:
	s_or_b64 exec, exec, s[10:11]
	s_waitcnt lgkmcnt(0)
	ds_bpermute_b32 v4, v21, v3
	s_waitcnt lgkmcnt(0)
	v_add_f32_e32 v3, v3, v4
	ds_bpermute_b32 v3, v10, v3
	s_and_saveexec_b64 s[6:7], s[8:9]
	s_cbranch_execz .LBB365_338
; %bb.326:
	s_waitcnt lgkmcnt(0)
	v_add_f32_e32 v4, 0x358637bd, v3
	v_div_scale_f32 v5, s[8:9], v4, v4, 1.0
	v_rcp_f32_e32 v6, v5
	v_div_scale_f32 v7, vcc, 1.0, v4, 1.0
	s_movk_i32 s8, 0x7f
	v_fma_f32 v8, -v5, v6, 1.0
	v_fmac_f32_e32 v6, v8, v6
	v_mul_f32_e32 v8, v7, v6
	v_fma_f32 v10, -v5, v8, v7
	v_fmac_f32_e32 v8, v10, v6
	v_fma_f32 v5, -v5, v8, v7
	v_div_fmas_f32 v5, v5, v6, v8
	v_div_fixup_f32 v8, v5, v4, 1.0
	v_xad_u32 v4, v27, -1, v9
	v_subrev_u32_e32 v5, s23, v4
	v_cmp_lt_u32_e32 vcc, s8, v5
	s_mov_b64 s[10:11], -1
	v_mov_b32_e32 v4, v27
	s_and_saveexec_b64 s[8:9], vcc
	s_cbranch_execz .LBB365_335
; %bb.327:
	v_lshrrev_b32_e32 v4, 7, v5
	v_add_u32_e32 v6, -1, v4
	v_lshrrev_b32_e32 v5, 1, v6
	v_mov_b32_e32 v9, v8
	v_add_u32_e32 v5, 1, v5
	v_cmp_lt_u32_e32 vcc, 13, v6
	v_mov_b32_e32 v10, 0
	s_and_saveexec_b64 s[10:11], vcc
	s_cbranch_execz .LBB365_331
; %bb.328:
	s_ashr_i32 s19, s18, 31
	s_lshl_b64 s[24:25], s[18:19], 2
	s_getpc_b64 s[26:27]
	s_add_u32 s26, s26, llvm.amdgcn.dynlds.offset.table@rel32@lo+4
	s_addc_u32 s27, s27, llvm.amdgcn.dynlds.offset.table@rel32@hi+12
	s_add_u32 s24, s24, s26
	s_addc_u32 s25, s25, s27
	s_load_dword s21, s[24:25], 0x0
	v_mov_b32_e32 v25, v19
	v_mov_b32_e32 v24, v14
	;; [unrolled: 1-line block ×3, first 2 shown]
	v_and_b32_e32 v6, -8, v5
	s_mov_b32 s19, 0
	s_waitcnt lgkmcnt(0)
	v_lshl_add_u32 v7, v27, 2, s21
	s_mov_b64 s[24:25], 0
.LBB365_329:                            ; =>This Inner Loop Header: Depth=1
	ds_read2st64_b32 v[10:11], v7 offset1:2
	ds_read2st64_b32 v[12:13], v7 offset0:4 offset1:6
	ds_read2st64_b32 v[14:15], v7 offset0:8 offset1:10
	;; [unrolled: 1-line block ×3, first 2 shown]
	v_add_u32_e32 v6, -8, v6
	s_waitcnt lgkmcnt(0)
	v_pk_mul_f32 v[10:11], v[8:9], v[10:11]
	v_pk_mul_f32 v[12:13], v[8:9], v[12:13]
	ds_write2st64_b32 v7, v10, v11 offset1:2
	ds_write2st64_b32 v7, v12, v13 offset0:4 offset1:6
	ds_read2st64_b32 v[12:13], v7 offset0:16 offset1:18
	v_pk_mul_f32 v[10:11], v[8:9], v[14:15]
	ds_write2st64_b32 v7, v10, v11 offset0:8 offset1:10
	v_pk_mul_f32 v[10:11], v[8:9], v[18:19]
	ds_write2st64_b32 v7, v10, v11 offset0:12 offset1:14
	ds_read2st64_b32 v[10:11], v7 offset0:20 offset1:22
	s_waitcnt lgkmcnt(0)
	v_pk_mul_f32 v[12:13], v[8:9], v[12:13]
	ds_read2st64_b32 v[14:15], v7 offset0:24 offset1:26
	ds_write2st64_b32 v7, v12, v13 offset0:16 offset1:18
	ds_read2st64_b32 v[12:13], v7 offset0:28 offset1:30
	v_pk_mul_f32 v[10:11], v[8:9], v[10:11]
	ds_write2st64_b32 v7, v10, v11 offset0:20 offset1:22
	s_waitcnt lgkmcnt(0)
	v_pk_mul_f32 v[10:11], v[8:9], v[14:15]
	ds_write2st64_b32 v7, v10, v11 offset0:24 offset1:26
	v_pk_mul_f32 v[10:11], v[8:9], v[12:13]
	s_add_i32 s19, s19, 16
	v_cmp_eq_u32_e32 vcc, 0, v6
	ds_write2st64_b32 v7, v10, v11 offset0:28 offset1:30
	v_add_u32_e32 v7, 0x2000, v7
	s_or_b64 s[24:25], vcc, s[24:25]
	v_mov_b32_e32 v10, s19
	s_andn2_b64 exec, exec, s[24:25]
	s_cbranch_execnz .LBB365_329
; %bb.330:
	s_or_b64 exec, exec, s[24:25]
	v_mov_b32_e32 v15, v23
	v_mov_b32_e32 v14, v24
	;; [unrolled: 1-line block ×3, first 2 shown]
.LBB365_331:
	s_or_b64 exec, exec, s[10:11]
	v_and_b32_e32 v5, 7, v5
	v_cmp_ne_u32_e32 vcc, 0, v5
	s_and_saveexec_b64 s[10:11], vcc
	s_cbranch_execz .LBB365_334
; %bb.332:
	s_ashr_i32 s19, s18, 31
	s_lshl_b64 s[24:25], s[18:19], 2
	s_getpc_b64 s[26:27]
	s_add_u32 s26, s26, llvm.amdgcn.dynlds.offset.table@rel32@lo+4
	s_addc_u32 s27, s27, llvm.amdgcn.dynlds.offset.table@rel32@hi+12
	s_add_u32 s24, s24, s26
	s_addc_u32 s25, s25, s27
	s_load_dword s19, s[24:25], 0x0
	v_lshlrev_b32_e32 v6, 9, v10
	v_lshlrev_b32_e32 v7, 2, v27
	s_mov_b64 s[24:25], 0
	s_waitcnt lgkmcnt(0)
	v_add3_u32 v6, v6, v7, s19
.LBB365_333:                            ; =>This Inner Loop Header: Depth=1
	ds_read2st64_b32 v[10:11], v6 offset1:2
	v_add_u32_e32 v5, -1, v5
	v_cmp_eq_u32_e32 vcc, 0, v5
	s_or_b64 s[24:25], vcc, s[24:25]
	s_waitcnt lgkmcnt(0)
	v_pk_mul_f32 v[10:11], v[8:9], v[10:11]
	ds_write2st64_b32 v6, v10, v11 offset1:2
	v_add_u32_e32 v6, 0x400, v6
	s_andn2_b64 exec, exec, s[24:25]
	s_cbranch_execnz .LBB365_333
.LBB365_334:
	s_or_b64 exec, exec, s[10:11]
	v_add_u32_e32 v5, 1, v4
	v_and_b32_e32 v6, 0x3fffffe, v5
	v_cmp_ne_u32_e32 vcc, v5, v6
	v_lshl_add_u32 v4, v6, 7, v27
	s_orn2_b64 s[10:11], vcc, exec
.LBB365_335:
	s_or_b64 exec, exec, s[8:9]
	s_and_b64 exec, exec, s[10:11]
	s_cbranch_execz .LBB365_338
; %bb.336:
	s_ashr_i32 s19, s18, 31
	s_lshl_b64 s[8:9], s[18:19], 2
	s_getpc_b64 s[10:11]
	s_add_u32 s10, s10, llvm.amdgcn.dynlds.offset.table@rel32@lo+4
	s_addc_u32 s11, s11, llvm.amdgcn.dynlds.offset.table@rel32@hi+12
	s_add_u32 s8, s8, s10
	s_addc_u32 s9, s9, s11
	s_load_dword s8, s[8:9], 0x0
	s_waitcnt lgkmcnt(0)
	v_lshl_add_u32 v5, v4, 2, s8
	s_mov_b64 s[8:9], 0
.LBB365_337:                            ; =>This Inner Loop Header: Depth=1
	ds_read_b32 v6, v5
	v_add_u32_e32 v4, 0x80, v4
	v_cmp_ge_i32_e32 vcc, v4, v2
	s_or_b64 s[8:9], vcc, s[8:9]
	s_waitcnt lgkmcnt(0)
	v_mul_f32_e32 v6, v8, v6
	ds_write_b32 v5, v6
	v_add_u32_e32 v5, 0x200, v5
	s_andn2_b64 exec, exec, s[8:9]
	s_cbranch_execnz .LBB365_337
.LBB365_338:
	s_or_b64 exec, exec, s[6:7]
	v_cmp_ne_u16_e64 s[6:7], s28, 0
	s_cmp_lg_u64 s[6:7], 0
	s_addc_u32 s21, s13, 0
	s_mul_i32 s6, s21, s22
	v_cmp_eq_u32_e32 vcc, 0, v27
	s_mul_i32 s8, s6, s15
	s_waitcnt lgkmcnt(0)
	s_barrier
	s_and_saveexec_b64 s[6:7], vcc
	s_cbranch_execz .LBB365_340
; %bb.339:
	s_mul_i32 s12, s21, s12
	s_ashr_i32 s9, s8, 31
	s_ashr_i32 s13, s12, 31
	;; [unrolled: 1-line block ×3, first 2 shown]
	s_lshl_b64 s[10:11], s[8:9], 2
	s_lshl_b64 s[12:13], s[12:13], 2
	;; [unrolled: 1-line block ×3, first 2 shown]
	s_add_u32 s9, s24, s12
	s_addc_u32 s12, s25, s13
	s_add_u32 s9, s9, s10
	s_addc_u32 s10, s12, s11
	v_accvgpr_read_b32 v4, a13
	v_mov_b32_e32 v2, s10
	v_add_co_u32_e32 v4, vcc, s9, v4
	v_addc_co_u32_e32 v5, vcc, v2, v19, vcc
	flat_store_dword v[4:5], v1
	v_mov_b32_e32 v1, s10
	v_add_co_u32_e32 v4, vcc, s9, v37
	v_addc_co_u32_e32 v5, vcc, v1, v36, vcc
	flat_store_dword v[4:5], v3
.LBB365_340:
	s_or_b64 exec, exec, s[6:7]
	v_mov_b32_e32 v13, 0
	v_lshrrev_b32_e32 v6, 1, v0
	v_and_b32_e32 v5, 1, v27
	v_mov_b32_e32 v12, 0
	v_mov_b32_e32 v25, 0
	;; [unrolled: 1-line block ×3, first 2 shown]
	s_and_saveexec_b64 s[10:11], s[4:5]
	s_cbranch_execz .LBB365_834
; %bb.341:
	v_accvgpr_read_b32 v0, a2
	v_accvgpr_read_b32 v1, a3
	flat_load_dword v33, v[0:1]
	s_ashr_i32 s19, s18, 31
	v_lshlrev_b32_e32 v0, 3, v27
	s_lshl_b64 s[4:5], s[18:19], 2
	v_and_b32_e32 v2, 8, v0
	s_getpc_b64 s[6:7]
	s_add_u32 s6, s6, llvm.amdgcn.dynlds.offset.table@rel32@lo+4
	s_addc_u32 s7, s7, llvm.amdgcn.dynlds.offset.table@rel32@hi+12
	v_accvgpr_read_b32 v0, a18
	s_add_u32 s4, s4, s6
	v_add_co_u32_e32 v10, vcc, v34, v0
	v_accvgpr_read_b32 v0, a19
	s_addc_u32 s5, s5, s7
	v_addc_co_u32_e32 v11, vcc, v30, v0, vcc
	v_lshl_or_b32 v0, v6, 4, v2
	s_load_dword s6, s[4:5], 0x0
	v_accvgpr_write_b32 a12, v0
	v_or_b32_e32 v0, 0x60, v6
	s_movk_i32 s4, 0x78
	v_cmp_gt_u32_e32 vcc, s4, v0
	v_lshl_or_b32 v0, v0, 4, v2
	v_accvgpr_write_b32 a8, v6
	v_accvgpr_write_b32 a14, v0
	v_lshlrev_b64 v[0:1], 2, v[16:17]
	v_accvgpr_read_b32 v6, a16
	v_accvgpr_read_b32 v7, a17
	v_add_co_u32_e64 v0, s[4:5], v6, v0
	v_addc_co_u32_e64 v1, s[4:5], v7, v1, s[4:5]
	v_add_co_u32_e64 v14, s[4:5], v14, v0
	v_lshl_add_u32 v0, v28, 4, s23
	v_add3_u32 v17, v0, v2, 7
	v_lshlrev_b32_e32 v0, 5, v5
	s_mov_b32 s12, -1
	v_add_u32_e32 v34, -1, v29
	v_lshl_or_b32 v0, v28, 6, v0
	v_accvgpr_write_b32 a6, v21
	v_accvgpr_write_b32 a1, v26
	;; [unrolled: 1-line block ×4, first 2 shown]
	s_mov_b32 s13, 0xffffff
	v_mov_b32_e32 v21, 0
	v_addc_co_u32_e64 v15, s[4:5], v15, v1, s[4:5]
	v_accvgpr_write_b32 a7, v5
	s_waitcnt lgkmcnt(0)
	v_add_u32_e32 v35, s6, v0
	s_mov_b64 s[22:23], 0
	s_mov_b32 s9, 0x7f800000
	s_movk_i32 s15, 0x7fff
	s_movk_i32 s19, 0x80
	;; [unrolled: 1-line block ×3, first 2 shown]
	v_bfrev_b32_e32 v36, 60
	v_mov_b32_e32 v24, 0
	v_mov_b32_e32 v25, 0
	;; [unrolled: 1-line block ×4, first 2 shown]
	v_accvgpr_write_b32 a9, v34
	s_branch .LBB365_344
.LBB365_342:                            ;   in Loop: Header=BB365_344 Depth=1
	s_or_b64 exec, exec, s[6:7]
	v_and_b32_e32 v55, 0xffff0000, v53
	v_and_b32_e32 v40, 0xffff0000, v19
	;; [unrolled: 1-line block ×8, first 2 shown]
	v_pk_add_f32 v[0:1], v[52:53], v[18:19]
	v_pk_add_f32 v[18:19], v[40:41], v[54:55]
	v_add_f32_e32 v0, v0, v1
	v_add_f32_e32 v0, v0, v18
	;; [unrolled: 1-line block ×3, first 2 shown]
	v_accvgpr_read_b32 v10, a10
	v_add_f32_e32 v13, v13, v0
	v_accvgpr_read_b32 v11, a11
.LBB365_343:                            ;   in Loop: Header=BB365_344 Depth=1
	s_or_b64 exec, exec, s[24:25]
	v_and_b32_e32 v1, 0xffff0000, v51
	v_and_b32_e32 v0, 0xffff0000, v49
	;; [unrolled: 1-line block ×8, first 2 shown]
	v_pk_add_f32 v[38:39], v[38:39], v[50:51]
	v_pk_add_f32 v[0:1], v[48:49], v[0:1]
	v_add_f32_e32 v2, v38, v39
	v_add_f32_e32 v0, v2, v0
	;; [unrolled: 1-line block ×3, first 2 shown]
	v_and_b32_e32 v9, 0xffff0000, v8
	v_and_b32_e32 v8, 0xffff0000, v5
	;; [unrolled: 1-line block ×4, first 2 shown]
	v_add_f32_e32 v24, v24, v0
	v_and_b32_e32 v1, 0xffff0000, v31
	v_and_b32_e32 v0, 0xffff0000, v27
	;; [unrolled: 1-line block ×4, first 2 shown]
	v_pk_add_f32 v[4:5], v[4:5], v[8:9]
	v_pk_add_f32 v[0:1], v[26:27], v[0:1]
	v_add_f32_e32 v2, v4, v5
	v_add_f32_e32 v0, v2, v0
	;; [unrolled: 1-line block ×3, first 2 shown]
	v_and_b32_e32 v7, 0xffff0000, v46
	v_and_b32_e32 v6, 0xffff0000, v6
	;; [unrolled: 1-line block ×4, first 2 shown]
	v_add_f32_e32 v25, v25, v0
	v_and_b32_e32 v1, 0xffff0000, v58
	v_and_b32_e32 v0, 0xffff0000, v56
	;; [unrolled: 1-line block ×4, first 2 shown]
	v_pk_add_f32 v[2:3], v[8:9], v[6:7]
	v_pk_add_f32 v[0:1], v[4:5], v[0:1]
	v_add_f32_e32 v2, v2, v3
	v_add_f32_e32 v0, v2, v0
	;; [unrolled: 1-line block ×3, first 2 shown]
	v_add_co_u32_e64 v14, s[4:5], 8, v14
	v_add_f32_e32 v12, v12, v0
	v_add_u32_e32 v16, 2, v16
	v_addc_co_u32_e64 v15, s[4:5], 0, v15, s[4:5]
	v_accvgpr_read_b32 v0, a5
	v_cmp_ge_i32_e64 s[4:5], v16, v0
	v_add_u32_e32 v17, 32, v17
	s_or_b64 s[22:23], s[4:5], s[22:23]
	v_add_u32_e32 v35, 0x80, v35
	s_andn2_b64 exec, exec, s[22:23]
	s_cbranch_execz .LBB365_833
.LBB365_344:                            ; =>This Inner Loop Header: Depth=1
	flat_load_dword v20, v[14:15]
	ds_read2_b64 v[6:9], v35 offset1:1
	ds_read2_b64 v[0:3], v35 offset0:2 offset1:3
                                        ; implicit-def: $vgpr38
	s_waitcnt lgkmcnt(0)
	v_and_b32_e32 v4, 0x7f800000, v6
	v_cmp_ne_u32_e64 s[4:5], s9, v4
	s_and_saveexec_b64 s[6:7], s[4:5]
	s_xor_b64 s[4:5], exec, s[6:7]
; %bb.345:                              ;   in Loop: Header=BB365_344 Depth=1
	v_bfe_u32 v4, v6, 16, 1
	v_add3_u32 v38, v6, v4, s15
; %bb.346:                              ;   in Loop: Header=BB365_344 Depth=1
	s_andn2_saveexec_b64 s[6:7], s[4:5]
; %bb.347:                              ;   in Loop: Header=BB365_344 Depth=1
	v_or_b32_e32 v4, 0x10000, v6
	v_cmp_eq_u32_sdwa s[4:5], v6, v21 src0_sel:WORD_0 src1_sel:DWORD
	v_cndmask_b32_e64 v38, v4, v6, s[4:5]
; %bb.348:                              ;   in Loop: Header=BB365_344 Depth=1
	s_or_b64 exec, exec, s[6:7]
	v_and_b32_e32 v4, 0x7f800000, v7
	v_cmp_ne_u32_e64 s[4:5], s9, v4
                                        ; implicit-def: $vgpr37
	s_and_saveexec_b64 s[6:7], s[4:5]
	s_xor_b64 s[4:5], exec, s[6:7]
; %bb.349:                              ;   in Loop: Header=BB365_344 Depth=1
	v_bfe_u32 v4, v7, 16, 1
	v_add3_u32 v37, v7, v4, s15
; %bb.350:                              ;   in Loop: Header=BB365_344 Depth=1
	s_andn2_saveexec_b64 s[6:7], s[4:5]
; %bb.351:                              ;   in Loop: Header=BB365_344 Depth=1
	v_or_b32_e32 v4, 0x10000, v7
	v_cmp_eq_u32_sdwa s[4:5], v7, v21 src0_sel:WORD_0 src1_sel:DWORD
	v_cndmask_b32_e64 v37, v4, v7, s[4:5]
; %bb.352:                              ;   in Loop: Header=BB365_344 Depth=1
	s_or_b64 exec, exec, s[6:7]
	v_and_b32_e32 v4, 0x7f800000, v8
	v_cmp_ne_u32_e64 s[4:5], s9, v4
                                        ; implicit-def: $vgpr31
	s_and_saveexec_b64 s[6:7], s[4:5]
	s_xor_b64 s[4:5], exec, s[6:7]
; %bb.353:                              ;   in Loop: Header=BB365_344 Depth=1
	v_bfe_u32 v4, v8, 16, 1
	v_add3_u32 v31, v8, v4, s15
; %bb.354:                              ;   in Loop: Header=BB365_344 Depth=1
	s_andn2_saveexec_b64 s[6:7], s[4:5]
; %bb.355:                              ;   in Loop: Header=BB365_344 Depth=1
	v_or_b32_e32 v4, 0x10000, v8
	v_cmp_eq_u32_sdwa s[4:5], v8, v21 src0_sel:WORD_0 src1_sel:DWORD
	v_cndmask_b32_e64 v31, v4, v8, s[4:5]
; %bb.356:                              ;   in Loop: Header=BB365_344 Depth=1
	s_or_b64 exec, exec, s[6:7]
	v_and_b32_e32 v4, 0x7f800000, v9
	v_cmp_ne_u32_e64 s[4:5], s9, v4
                                        ; implicit-def: $vgpr29
	s_and_saveexec_b64 s[6:7], s[4:5]
	s_xor_b64 s[4:5], exec, s[6:7]
; %bb.357:                              ;   in Loop: Header=BB365_344 Depth=1
	v_bfe_u32 v4, v9, 16, 1
	v_add3_u32 v29, v9, v4, s15
                                        ; implicit-def: $vgpr6_vgpr7_vgpr8_vgpr9
; %bb.358:                              ;   in Loop: Header=BB365_344 Depth=1
	s_andn2_saveexec_b64 s[6:7], s[4:5]
; %bb.359:                              ;   in Loop: Header=BB365_344 Depth=1
	v_or_b32_e32 v4, 0x10000, v9
	v_cmp_eq_u32_sdwa s[4:5], v9, v21 src0_sel:WORD_0 src1_sel:DWORD
	v_cndmask_b32_e64 v29, v4, v9, s[4:5]
; %bb.360:                              ;   in Loop: Header=BB365_344 Depth=1
	s_or_b64 exec, exec, s[6:7]
	v_and_b32_e32 v4, 0x7f800000, v0
	v_cmp_ne_u32_e64 s[4:5], s9, v4
                                        ; implicit-def: $vgpr27
	s_and_saveexec_b64 s[6:7], s[4:5]
	s_xor_b64 s[4:5], exec, s[6:7]
; %bb.361:                              ;   in Loop: Header=BB365_344 Depth=1
	v_bfe_u32 v4, v0, 16, 1
	v_add3_u32 v27, v0, v4, s15
; %bb.362:                              ;   in Loop: Header=BB365_344 Depth=1
	s_andn2_saveexec_b64 s[6:7], s[4:5]
; %bb.363:                              ;   in Loop: Header=BB365_344 Depth=1
	v_or_b32_e32 v4, 0x10000, v0
	v_cmp_eq_u32_sdwa s[4:5], v0, v21 src0_sel:WORD_0 src1_sel:DWORD
	v_cndmask_b32_e64 v27, v4, v0, s[4:5]
; %bb.364:                              ;   in Loop: Header=BB365_344 Depth=1
	s_or_b64 exec, exec, s[6:7]
	v_and_b32_e32 v0, 0x7f800000, v1
	v_cmp_ne_u32_e64 s[4:5], s9, v0
                                        ; implicit-def: $vgpr26
	s_and_saveexec_b64 s[6:7], s[4:5]
	s_xor_b64 s[4:5], exec, s[6:7]
; %bb.365:                              ;   in Loop: Header=BB365_344 Depth=1
	v_bfe_u32 v0, v1, 16, 1
	v_add3_u32 v26, v1, v0, s15
; %bb.366:                              ;   in Loop: Header=BB365_344 Depth=1
	s_andn2_saveexec_b64 s[6:7], s[4:5]
; %bb.367:                              ;   in Loop: Header=BB365_344 Depth=1
	v_or_b32_e32 v0, 0x10000, v1
	v_cmp_eq_u32_sdwa s[4:5], v1, v21 src0_sel:WORD_0 src1_sel:DWORD
	v_cndmask_b32_e64 v26, v0, v1, s[4:5]
; %bb.368:                              ;   in Loop: Header=BB365_344 Depth=1
	s_or_b64 exec, exec, s[6:7]
	v_and_b32_e32 v0, 0x7f800000, v2
	v_cmp_ne_u32_e64 s[4:5], s9, v0
                                        ; implicit-def: $vgpr5
	s_and_saveexec_b64 s[6:7], s[4:5]
	s_xor_b64 s[4:5], exec, s[6:7]
; %bb.369:                              ;   in Loop: Header=BB365_344 Depth=1
	v_bfe_u32 v0, v2, 16, 1
	v_add3_u32 v5, v2, v0, s15
; %bb.370:                              ;   in Loop: Header=BB365_344 Depth=1
	s_andn2_saveexec_b64 s[6:7], s[4:5]
; %bb.371:                              ;   in Loop: Header=BB365_344 Depth=1
	v_or_b32_e32 v0, 0x10000, v2
	v_cmp_eq_u32_sdwa s[4:5], v2, v21 src0_sel:WORD_0 src1_sel:DWORD
	v_cndmask_b32_e64 v5, v0, v2, s[4:5]
; %bb.372:                              ;   in Loop: Header=BB365_344 Depth=1
	s_or_b64 exec, exec, s[6:7]
	v_and_b32_e32 v0, 0x7f800000, v3
	v_cmp_ne_u32_e64 s[4:5], s9, v0
                                        ; implicit-def: $vgpr4
	s_and_saveexec_b64 s[6:7], s[4:5]
	s_xor_b64 s[4:5], exec, s[6:7]
; %bb.373:                              ;   in Loop: Header=BB365_344 Depth=1
	v_bfe_u32 v0, v3, 16, 1
	v_add3_u32 v4, v3, v0, s15
                                        ; implicit-def: $vgpr0_vgpr1_vgpr2_vgpr3
; %bb.374:                              ;   in Loop: Header=BB365_344 Depth=1
	s_andn2_saveexec_b64 s[6:7], s[4:5]
; %bb.375:                              ;   in Loop: Header=BB365_344 Depth=1
	v_or_b32_e32 v0, 0x10000, v3
	v_cmp_eq_u32_sdwa s[4:5], v3, v21 src0_sel:WORD_0 src1_sel:DWORD
	v_cndmask_b32_e64 v4, v0, v3, s[4:5]
; %bb.376:                              ;   in Loop: Header=BB365_344 Depth=1
	s_or_b64 exec, exec, s[6:7]
	s_waitcnt vmcnt(0)
	v_mad_i64_i32 v[0:1], s[4:5], v20, v22, v[10:11]
	v_accvgpr_read_b32 v2, a12
	v_add_co_u32_e64 v2, s[4:5], v0, v2
	v_addc_co_u32_e64 v3, s[4:5], 0, v1, s[4:5]
	flat_load_dwordx2 v[6:7], v[2:3]
	v_mov_b32_e32 v8, 0
	s_waitcnt vmcnt(0) lgkmcnt(0)
	v_cmp_ne_u16_sdwa s[4:5], v6, v21 src0_sel:BYTE_0 src1_sel:DWORD
	s_and_saveexec_b64 s[6:7], s[4:5]
	s_cbranch_execz .LBB365_382
; %bb.377:                              ;   in Loop: Header=BB365_344 Depth=1
	v_cmp_ne_u16_sdwa s[4:5], v6, s19 src0_sel:BYTE_0 src1_sel:DWORD
	v_bfrev_b32_e32 v8, 1
	s_and_saveexec_b64 s[24:25], s[4:5]
	s_cbranch_execz .LBB365_381
; %bb.378:                              ;   in Loop: Header=BB365_344 Depth=1
	v_and_b32_e32 v9, 0x7f, v6
	v_cmp_ne_u32_e64 s[4:5], s34, v9
	v_mov_b32_e32 v8, 0x7f800001
	s_and_saveexec_b64 s[26:27], s[4:5]
	s_cbranch_execz .LBB365_380
; %bb.379:                              ;   in Loop: Header=BB365_344 Depth=1
	v_and_b32_e32 v8, 7, v6
	v_ffbh_u32_e32 v8, v8
	v_min_u32_e32 v8, 32, v8
	v_lshrrev_b32_e32 v18, 3, v9
	v_subrev_u32_e32 v19, 28, v8
	v_sub_u32_e32 v8, 29, v8
	v_cmp_gt_u32_e64 s[4:5], 8, v9
	v_cndmask_b32_e64 v18, v18, v8, s[4:5]
	v_cndmask_b32_e64 v8, 0, v19, s[4:5]
	v_lshlrev_b64 v[8:9], v8, v[6:7]
	v_lshlrev_b32_e32 v8, 20, v8
	v_lshlrev_b32_e32 v9, 24, v6
	v_and_b32_e32 v8, 0x700000, v8
	v_and_b32_e32 v9, 0x80000000, v9
	v_lshl_add_u32 v18, v18, 23, v36
	v_or3_b32 v8, v9, v18, v8
.LBB365_380:                            ;   in Loop: Header=BB365_344 Depth=1
	s_or_b64 exec, exec, s[26:27]
.LBB365_381:                            ;   in Loop: Header=BB365_344 Depth=1
	s_or_b64 exec, exec, s[24:25]
.LBB365_382:                            ;   in Loop: Header=BB365_344 Depth=1
	s_or_b64 exec, exec, s[6:7]
	v_mul_f32_e32 v8, v33, v8
	v_and_b32_e32 v9, 0x7f800000, v8
	v_cmp_ne_u32_e64 s[4:5], s9, v9
                                        ; implicit-def: $vgpr9
	s_and_saveexec_b64 s[6:7], s[4:5]
	s_xor_b64 s[4:5], exec, s[6:7]
; %bb.383:                              ;   in Loop: Header=BB365_344 Depth=1
	v_bfe_u32 v9, v8, 16, 1
	v_add3_u32 v9, v8, v9, s15
                                        ; implicit-def: $vgpr8
; %bb.384:                              ;   in Loop: Header=BB365_344 Depth=1
	s_andn2_saveexec_b64 s[6:7], s[4:5]
; %bb.385:                              ;   in Loop: Header=BB365_344 Depth=1
	v_or_b32_e32 v9, 0x10000, v8
	v_cmp_eq_u32_sdwa s[4:5], v8, v21 src0_sel:WORD_0 src1_sel:DWORD
	v_cndmask_b32_e64 v9, v9, v8, s[4:5]
; %bb.386:                              ;   in Loop: Header=BB365_344 Depth=1
	s_or_b64 exec, exec, s[6:7]
	v_lshrrev_b16_e32 v8, 8, v6
	v_cmp_ne_u16_e64 s[4:5], 0, v8
	v_mov_b32_e32 v19, 0
	s_and_saveexec_b64 s[6:7], s[4:5]
	s_cbranch_execz .LBB365_392
; %bb.387:                              ;   in Loop: Header=BB365_344 Depth=1
	v_cmp_ne_u16_e64 s[4:5], s19, v8
	v_bfrev_b32_e32 v19, 1
	s_and_saveexec_b64 s[24:25], s[4:5]
	s_cbranch_execz .LBB365_391
; %bb.388:                              ;   in Loop: Header=BB365_344 Depth=1
	v_and_b32_e32 v20, 0x7f, v8
	v_cmp_ne_u32_e64 s[4:5], s34, v20
	v_mov_b32_e32 v19, 0x7f800001
	s_and_saveexec_b64 s[26:27], s[4:5]
	s_cbranch_execz .LBB365_390
; %bb.389:                              ;   in Loop: Header=BB365_344 Depth=1
	v_and_b32_e32 v18, 7, v8
	v_ffbh_u32_e32 v23, v18
	v_min_u32_e32 v23, 32, v23
	v_subrev_u32_e32 v28, 28, v23
	v_lshlrev_b64 v[48:49], v28, v[8:9]
	v_lshrrev_b32_e32 v19, 3, v20
	v_sub_u32_e32 v8, 29, v23
	v_and_b32_e32 v23, 7, v48
	v_cmp_gt_u32_e64 s[4:5], 8, v20
	v_cndmask_b32_e64 v8, v19, v8, s[4:5]
	v_cndmask_b32_e64 v18, v18, v23, s[4:5]
	v_lshlrev_b32_e32 v19, 16, v6
	v_lshlrev_b32_e32 v18, 20, v18
	v_and_b32_e32 v19, 0x80000000, v19
	v_lshl_add_u32 v8, v8, 23, v36
	v_or3_b32 v19, v19, v8, v18
.LBB365_390:                            ;   in Loop: Header=BB365_344 Depth=1
	s_or_b64 exec, exec, s[26:27]
.LBB365_391:                            ;   in Loop: Header=BB365_344 Depth=1
	s_or_b64 exec, exec, s[24:25]
.LBB365_392:                            ;   in Loop: Header=BB365_344 Depth=1
	s_or_b64 exec, exec, s[6:7]
	v_mul_f32_e32 v8, v33, v19
	v_and_b32_e32 v18, 0x7f800000, v8
	v_cmp_ne_u32_e64 s[4:5], s9, v18
                                        ; implicit-def: $vgpr39
	s_and_saveexec_b64 s[6:7], s[4:5]
	s_xor_b64 s[4:5], exec, s[6:7]
; %bb.393:                              ;   in Loop: Header=BB365_344 Depth=1
	v_bfe_u32 v18, v8, 16, 1
	v_add3_u32 v39, v8, v18, s15
                                        ; implicit-def: $vgpr8
; %bb.394:                              ;   in Loop: Header=BB365_344 Depth=1
	s_andn2_saveexec_b64 s[6:7], s[4:5]
; %bb.395:                              ;   in Loop: Header=BB365_344 Depth=1
	v_or_b32_e32 v18, 0x10000, v8
	v_cmp_eq_u32_sdwa s[4:5], v8, v21 src0_sel:WORD_0 src1_sel:DWORD
	v_cndmask_b32_e64 v39, v18, v8, s[4:5]
; %bb.396:                              ;   in Loop: Header=BB365_344 Depth=1
	s_or_b64 exec, exec, s[6:7]
	v_lshrrev_b32_e32 v8, 16, v6
	v_cmp_ne_u16_sdwa s[4:5], v8, v21 src0_sel:BYTE_0 src1_sel:DWORD
	v_mov_b32_e32 v19, 0
	s_and_saveexec_b64 s[6:7], s[4:5]
	s_cbranch_execz .LBB365_402
; %bb.397:                              ;   in Loop: Header=BB365_344 Depth=1
	v_cmp_ne_u16_sdwa s[4:5], v8, s19 src0_sel:BYTE_0 src1_sel:DWORD
	v_bfrev_b32_e32 v19, 1
	s_and_saveexec_b64 s[24:25], s[4:5]
	s_cbranch_execz .LBB365_401
; %bb.398:                              ;   in Loop: Header=BB365_344 Depth=1
	v_bfe_u32 v20, v6, 16, 7
	v_cmp_ne_u32_e64 s[4:5], s34, v20
	v_mov_b32_e32 v19, 0x7f800001
	s_and_saveexec_b64 s[26:27], s[4:5]
	s_cbranch_execz .LBB365_400
; %bb.399:                              ;   in Loop: Header=BB365_344 Depth=1
	v_and_b32_e32 v18, 7, v8
	v_ffbh_u32_e32 v23, v18
	v_min_u32_e32 v23, 32, v23
	v_subrev_u32_e32 v28, 28, v23
	v_lshlrev_b64 v[48:49], v28, v[8:9]
	v_lshrrev_b32_e32 v19, 3, v20
	v_sub_u32_e32 v23, 29, v23
	v_and_b32_e32 v28, 7, v48
	v_cmp_gt_u32_e64 s[4:5], 8, v20
	v_cndmask_b32_e64 v19, v19, v23, s[4:5]
	v_cndmask_b32_e64 v18, v18, v28, s[4:5]
	v_lshlrev_b32_e32 v8, 24, v8
	v_lshlrev_b32_e32 v18, 20, v18
	v_and_b32_e32 v8, 0x80000000, v8
	v_lshl_add_u32 v19, v19, 23, v36
	v_or3_b32 v19, v8, v19, v18
.LBB365_400:                            ;   in Loop: Header=BB365_344 Depth=1
	s_or_b64 exec, exec, s[26:27]
.LBB365_401:                            ;   in Loop: Header=BB365_344 Depth=1
	s_or_b64 exec, exec, s[24:25]
.LBB365_402:                            ;   in Loop: Header=BB365_344 Depth=1
	s_or_b64 exec, exec, s[6:7]
	v_mul_f32_e32 v8, v33, v19
	v_and_b32_e32 v18, 0x7f800000, v8
	v_cmp_ne_u32_e64 s[4:5], s9, v18
                                        ; implicit-def: $vgpr48
	s_and_saveexec_b64 s[6:7], s[4:5]
	s_xor_b64 s[4:5], exec, s[6:7]
; %bb.403:                              ;   in Loop: Header=BB365_344 Depth=1
	v_bfe_u32 v18, v8, 16, 1
	v_add3_u32 v48, v8, v18, s15
                                        ; implicit-def: $vgpr8
; %bb.404:                              ;   in Loop: Header=BB365_344 Depth=1
	s_andn2_saveexec_b64 s[6:7], s[4:5]
; %bb.405:                              ;   in Loop: Header=BB365_344 Depth=1
	v_or_b32_e32 v18, 0x10000, v8
	v_cmp_eq_u32_sdwa s[4:5], v8, v21 src0_sel:WORD_0 src1_sel:DWORD
	v_cndmask_b32_e64 v48, v18, v8, s[4:5]
; %bb.406:                              ;   in Loop: Header=BB365_344 Depth=1
	s_or_b64 exec, exec, s[6:7]
	v_cmp_lt_u32_e64 s[4:5], s13, v6
	v_mov_b32_e32 v19, 0
	s_and_saveexec_b64 s[6:7], s[4:5]
	s_cbranch_execz .LBB365_412
; %bb.407:                              ;   in Loop: Header=BB365_344 Depth=1
	v_lshrrev_b32_e32 v8, 24, v6
	v_cmp_ne_u32_e64 s[4:5], s19, v8
	v_bfrev_b32_e32 v19, 1
	s_and_saveexec_b64 s[24:25], s[4:5]
	s_cbranch_execz .LBB365_411
; %bb.408:                              ;   in Loop: Header=BB365_344 Depth=1
	v_bfe_u32 v20, v6, 24, 7
	v_cmp_ne_u32_e64 s[4:5], s34, v20
	v_mov_b32_e32 v19, 0x7f800001
	s_and_saveexec_b64 s[26:27], s[4:5]
	s_cbranch_execz .LBB365_410
; %bb.409:                              ;   in Loop: Header=BB365_344 Depth=1
	v_and_b32_e32 v18, 7, v8
	v_ffbh_u32_e32 v23, v18
	v_min_u32_e32 v23, 32, v23
	v_subrev_u32_e32 v28, 28, v23
	v_lshlrev_b64 v[50:51], v28, v[8:9]
	v_lshrrev_b32_e32 v19, 3, v20
	v_sub_u32_e32 v23, 29, v23
	v_and_b32_e32 v28, 7, v50
	v_cmp_gt_u32_e64 s[4:5], 8, v20
	v_cndmask_b32_e64 v19, v19, v23, s[4:5]
	v_cndmask_b32_e64 v18, v18, v28, s[4:5]
	v_lshlrev_b32_e32 v8, 24, v8
	v_lshlrev_b32_e32 v18, 20, v18
	v_and_b32_e32 v8, 0x80000000, v8
	v_lshl_add_u32 v19, v19, 23, v36
	v_or3_b32 v19, v8, v19, v18
.LBB365_410:                            ;   in Loop: Header=BB365_344 Depth=1
	s_or_b64 exec, exec, s[26:27]
.LBB365_411:                            ;   in Loop: Header=BB365_344 Depth=1
	s_or_b64 exec, exec, s[24:25]
.LBB365_412:                            ;   in Loop: Header=BB365_344 Depth=1
	s_or_b64 exec, exec, s[6:7]
	v_mul_f32_e32 v8, v33, v19
	v_and_b32_e32 v18, 0x7f800000, v8
	v_cmp_ne_u32_e64 s[4:5], s9, v18
                                        ; implicit-def: $vgpr49
	s_and_saveexec_b64 s[6:7], s[4:5]
	s_xor_b64 s[4:5], exec, s[6:7]
; %bb.413:                              ;   in Loop: Header=BB365_344 Depth=1
	v_bfe_u32 v18, v8, 16, 1
	v_add3_u32 v49, v8, v18, s15
                                        ; implicit-def: $vgpr8
; %bb.414:                              ;   in Loop: Header=BB365_344 Depth=1
	s_andn2_saveexec_b64 s[6:7], s[4:5]
; %bb.415:                              ;   in Loop: Header=BB365_344 Depth=1
	v_or_b32_e32 v18, 0x10000, v8
	v_cmp_eq_u32_sdwa s[4:5], v8, v21 src0_sel:WORD_0 src1_sel:DWORD
	v_cndmask_b32_e64 v49, v18, v8, s[4:5]
; %bb.416:                              ;   in Loop: Header=BB365_344 Depth=1
	s_or_b64 exec, exec, s[6:7]
	v_mov_b32_e32 v20, v7
	v_cmp_ne_u16_sdwa s[4:5], v7, v21 src0_sel:BYTE_0 src1_sel:DWORD
	v_mov_b32_e32 v8, 0
	s_and_saveexec_b64 s[6:7], s[4:5]
	s_cbranch_execz .LBB365_422
; %bb.417:                              ;   in Loop: Header=BB365_344 Depth=1
	v_cmp_ne_u16_sdwa s[4:5], v7, s19 src0_sel:BYTE_0 src1_sel:DWORD
	v_bfrev_b32_e32 v8, 1
	s_and_saveexec_b64 s[24:25], s[4:5]
	s_cbranch_execz .LBB365_421
; %bb.418:                              ;   in Loop: Header=BB365_344 Depth=1
	v_and_b32_e32 v19, 0x7f, v7
	v_cmp_ne_u32_e64 s[4:5], s34, v19
	v_mov_b32_e32 v8, 0x7f800001
	s_and_saveexec_b64 s[26:27], s[4:5]
	s_cbranch_execz .LBB365_420
; %bb.419:                              ;   in Loop: Header=BB365_344 Depth=1
	v_and_b32_e32 v8, 7, v7
	v_ffbh_u32_e32 v8, v8
	v_min_u32_e32 v8, 32, v8
	v_lshrrev_b32_e32 v18, 3, v19
	v_subrev_u32_e32 v23, 28, v8
	v_sub_u32_e32 v8, 29, v8
	v_cmp_gt_u32_e64 s[4:5], 8, v19
	v_cndmask_b32_e64 v8, v18, v8, s[4:5]
	v_cndmask_b32_e64 v18, 0, v23, s[4:5]
	v_lshlrev_b64 v[50:51], v18, v[20:21]
	v_lshlrev_b32_e32 v18, 20, v50
	v_lshlrev_b32_e32 v19, 24, v20
	v_and_b32_e32 v18, 0x700000, v18
	v_and_b32_e32 v19, 0x80000000, v19
	v_lshl_add_u32 v8, v8, 23, v36
	v_or3_b32 v8, v19, v8, v18
.LBB365_420:                            ;   in Loop: Header=BB365_344 Depth=1
	s_or_b64 exec, exec, s[26:27]
.LBB365_421:                            ;   in Loop: Header=BB365_344 Depth=1
	s_or_b64 exec, exec, s[24:25]
.LBB365_422:                            ;   in Loop: Header=BB365_344 Depth=1
	s_or_b64 exec, exec, s[6:7]
	v_mul_f32_e32 v8, v33, v8
	v_and_b32_e32 v18, 0x7f800000, v8
	v_cmp_ne_u32_e64 s[4:5], s9, v18
                                        ; implicit-def: $vgpr23
	s_and_saveexec_b64 s[6:7], s[4:5]
	s_xor_b64 s[4:5], exec, s[6:7]
; %bb.423:                              ;   in Loop: Header=BB365_344 Depth=1
	v_bfe_u32 v18, v8, 16, 1
	v_add3_u32 v23, v8, v18, s15
                                        ; implicit-def: $vgpr8
; %bb.424:                              ;   in Loop: Header=BB365_344 Depth=1
	s_andn2_saveexec_b64 s[6:7], s[4:5]
; %bb.425:                              ;   in Loop: Header=BB365_344 Depth=1
	v_or_b32_e32 v18, 0x10000, v8
	v_cmp_eq_u32_sdwa s[4:5], v8, v21 src0_sel:WORD_0 src1_sel:DWORD
	v_cndmask_b32_e64 v23, v18, v8, s[4:5]
; %bb.426:                              ;   in Loop: Header=BB365_344 Depth=1
	s_or_b64 exec, exec, s[6:7]
	v_lshrrev_b16_e32 v8, 8, v20
	v_cmp_ne_u16_e64 s[4:5], 0, v8
	v_mov_b32_e32 v19, 0
	s_and_saveexec_b64 s[6:7], s[4:5]
	s_cbranch_execz .LBB365_432
; %bb.427:                              ;   in Loop: Header=BB365_344 Depth=1
	v_cmp_ne_u16_e64 s[4:5], s19, v8
	v_bfrev_b32_e32 v19, 1
	s_and_saveexec_b64 s[24:25], s[4:5]
	s_cbranch_execz .LBB365_431
; %bb.428:                              ;   in Loop: Header=BB365_344 Depth=1
	v_and_b32_e32 v30, 0x7f, v8
	v_cmp_ne_u32_e64 s[4:5], s34, v30
	v_mov_b32_e32 v19, 0x7f800001
	s_and_saveexec_b64 s[26:27], s[4:5]
	s_cbranch_execz .LBB365_430
; %bb.429:                              ;   in Loop: Header=BB365_344 Depth=1
	v_and_b32_e32 v18, 7, v8
	v_ffbh_u32_e32 v28, v18
	v_min_u32_e32 v28, 32, v28
	v_subrev_u32_e32 v50, 28, v28
	v_lshlrev_b64 v[50:51], v50, v[8:9]
	v_lshrrev_b32_e32 v19, 3, v30
	v_sub_u32_e32 v8, 29, v28
	v_and_b32_e32 v28, 7, v50
	v_cmp_gt_u32_e64 s[4:5], 8, v30
	v_cndmask_b32_e64 v8, v19, v8, s[4:5]
	v_cndmask_b32_e64 v18, v18, v28, s[4:5]
	v_lshlrev_b32_e32 v19, 16, v20
	v_lshlrev_b32_e32 v18, 20, v18
	v_and_b32_e32 v19, 0x80000000, v19
	v_lshl_add_u32 v8, v8, 23, v36
	v_or3_b32 v19, v19, v8, v18
.LBB365_430:                            ;   in Loop: Header=BB365_344 Depth=1
	s_or_b64 exec, exec, s[26:27]
.LBB365_431:                            ;   in Loop: Header=BB365_344 Depth=1
	s_or_b64 exec, exec, s[24:25]
.LBB365_432:                            ;   in Loop: Header=BB365_344 Depth=1
	s_or_b64 exec, exec, s[6:7]
	v_mul_f32_e32 v8, v33, v19
	v_and_b32_e32 v18, 0x7f800000, v8
	v_cmp_ne_u32_e64 s[4:5], s9, v18
                                        ; implicit-def: $vgpr20
	s_and_saveexec_b64 s[6:7], s[4:5]
	s_xor_b64 s[4:5], exec, s[6:7]
; %bb.433:                              ;   in Loop: Header=BB365_344 Depth=1
	v_bfe_u32 v18, v8, 16, 1
	v_add3_u32 v20, v8, v18, s15
                                        ; implicit-def: $vgpr8
; %bb.434:                              ;   in Loop: Header=BB365_344 Depth=1
	s_andn2_saveexec_b64 s[6:7], s[4:5]
; %bb.435:                              ;   in Loop: Header=BB365_344 Depth=1
	v_or_b32_e32 v18, 0x10000, v8
	v_cmp_eq_u32_sdwa s[4:5], v8, v21 src0_sel:WORD_0 src1_sel:DWORD
	v_cndmask_b32_e64 v20, v18, v8, s[4:5]
; %bb.436:                              ;   in Loop: Header=BB365_344 Depth=1
	s_or_b64 exec, exec, s[6:7]
	v_lshrrev_b32_e32 v8, 16, v7
	v_cmp_ne_u16_sdwa s[4:5], v8, v21 src0_sel:BYTE_0 src1_sel:DWORD
	v_mov_b32_e32 v19, 0
	s_and_saveexec_b64 s[6:7], s[4:5]
	s_cbranch_execz .LBB365_442
; %bb.437:                              ;   in Loop: Header=BB365_344 Depth=1
	v_cmp_ne_u16_sdwa s[4:5], v8, s19 src0_sel:BYTE_0 src1_sel:DWORD
	v_bfrev_b32_e32 v19, 1
	s_and_saveexec_b64 s[24:25], s[4:5]
	s_cbranch_execz .LBB365_441
; %bb.438:                              ;   in Loop: Header=BB365_344 Depth=1
	v_bfe_u32 v30, v7, 16, 7
	v_cmp_ne_u32_e64 s[4:5], s34, v30
	v_mov_b32_e32 v19, 0x7f800001
	s_and_saveexec_b64 s[26:27], s[4:5]
	s_cbranch_execz .LBB365_440
; %bb.439:                              ;   in Loop: Header=BB365_344 Depth=1
	v_and_b32_e32 v18, 7, v8
	v_ffbh_u32_e32 v28, v18
	v_min_u32_e32 v28, 32, v28
	v_subrev_u32_e32 v50, 28, v28
	v_lshlrev_b64 v[50:51], v50, v[8:9]
	v_lshrrev_b32_e32 v19, 3, v30
	v_sub_u32_e32 v28, 29, v28
	v_and_b32_e32 v50, 7, v50
	v_cmp_gt_u32_e64 s[4:5], 8, v30
	v_cndmask_b32_e64 v19, v19, v28, s[4:5]
	v_cndmask_b32_e64 v18, v18, v50, s[4:5]
	v_lshlrev_b32_e32 v8, 24, v8
	v_lshlrev_b32_e32 v18, 20, v18
	v_and_b32_e32 v8, 0x80000000, v8
	v_lshl_add_u32 v19, v19, 23, v36
	v_or3_b32 v19, v8, v19, v18
.LBB365_440:                            ;   in Loop: Header=BB365_344 Depth=1
	s_or_b64 exec, exec, s[26:27]
.LBB365_441:                            ;   in Loop: Header=BB365_344 Depth=1
	s_or_b64 exec, exec, s[24:25]
.LBB365_442:                            ;   in Loop: Header=BB365_344 Depth=1
	s_or_b64 exec, exec, s[6:7]
	v_mul_f32_e32 v8, v33, v19
	v_and_b32_e32 v18, 0x7f800000, v8
	v_cmp_ne_u32_e64 s[4:5], s9, v18
                                        ; implicit-def: $vgpr30
	s_and_saveexec_b64 s[6:7], s[4:5]
	s_xor_b64 s[4:5], exec, s[6:7]
; %bb.443:                              ;   in Loop: Header=BB365_344 Depth=1
	v_bfe_u32 v18, v8, 16, 1
	v_add3_u32 v30, v8, v18, s15
                                        ; implicit-def: $vgpr8
; %bb.444:                              ;   in Loop: Header=BB365_344 Depth=1
	s_andn2_saveexec_b64 s[6:7], s[4:5]
; %bb.445:                              ;   in Loop: Header=BB365_344 Depth=1
	v_or_b32_e32 v18, 0x10000, v8
	v_cmp_eq_u32_sdwa s[4:5], v8, v21 src0_sel:WORD_0 src1_sel:DWORD
	v_cndmask_b32_e64 v30, v18, v8, s[4:5]
; %bb.446:                              ;   in Loop: Header=BB365_344 Depth=1
	s_or_b64 exec, exec, s[6:7]
	v_cmp_lt_u64_e64 s[4:5], s[12:13], v[6:7]
	v_mov_b32_e32 v8, 0
	s_and_saveexec_b64 s[6:7], s[4:5]
	s_cbranch_execz .LBB365_452
; %bb.447:                              ;   in Loop: Header=BB365_344 Depth=1
	v_lshrrev_b32_e32 v6, 24, v7
	v_cmp_ne_u32_e64 s[4:5], s19, v6
	v_bfrev_b32_e32 v8, 1
	s_and_saveexec_b64 s[24:25], s[4:5]
	s_cbranch_execz .LBB365_451
; %bb.448:                              ;   in Loop: Header=BB365_344 Depth=1
	v_bfe_u32 v7, v7, 24, 7
	v_cmp_ne_u32_e64 s[4:5], s34, v7
	v_mov_b32_e32 v8, 0x7f800001
	s_and_saveexec_b64 s[26:27], s[4:5]
	s_cbranch_execz .LBB365_450
; %bb.449:                              ;   in Loop: Header=BB365_344 Depth=1
	v_and_b32_e32 v8, 7, v6
	v_ffbh_u32_e32 v19, v8
	v_min_u32_e32 v19, 32, v19
	v_subrev_u32_e32 v28, 28, v19
	v_lshlrev_b64 v[50:51], v28, v[6:7]
	v_lshrrev_b32_e32 v18, 3, v7
	v_sub_u32_e32 v19, 29, v19
	v_and_b32_e32 v28, 7, v50
	v_cmp_gt_u32_e64 s[4:5], 8, v7
	v_cndmask_b32_e64 v7, v18, v19, s[4:5]
	v_cndmask_b32_e64 v8, v8, v28, s[4:5]
	v_lshlrev_b32_e32 v6, 24, v6
	v_lshlrev_b32_e32 v8, 20, v8
	v_and_b32_e32 v6, 0x80000000, v6
	v_lshl_add_u32 v7, v7, 23, v36
	v_or3_b32 v8, v6, v7, v8
.LBB365_450:                            ;   in Loop: Header=BB365_344 Depth=1
	s_or_b64 exec, exec, s[26:27]
.LBB365_451:                            ;   in Loop: Header=BB365_344 Depth=1
	s_or_b64 exec, exec, s[24:25]
.LBB365_452:                            ;   in Loop: Header=BB365_344 Depth=1
	s_or_b64 exec, exec, s[6:7]
	v_mul_f32_e32 v7, v33, v8
	v_and_b32_e32 v6, 0x7f800000, v7
	v_cmp_ne_u32_e64 s[4:5], s9, v6
                                        ; implicit-def: $vgpr6
	s_and_saveexec_b64 s[6:7], s[4:5]
	s_xor_b64 s[4:5], exec, s[6:7]
; %bb.453:                              ;   in Loop: Header=BB365_344 Depth=1
	v_bfe_u32 v6, v7, 16, 1
	v_add3_u32 v6, v7, v6, s15
                                        ; implicit-def: $vgpr7
; %bb.454:                              ;   in Loop: Header=BB365_344 Depth=1
	s_andn2_saveexec_b64 s[6:7], s[4:5]
; %bb.455:                              ;   in Loop: Header=BB365_344 Depth=1
	v_or_b32_e32 v6, 0x10000, v7
	v_cmp_eq_u32_sdwa s[4:5], v7, v21 src0_sel:WORD_0 src1_sel:DWORD
	v_cndmask_b32_e64 v6, v6, v7, s[4:5]
; %bb.456:                              ;   in Loop: Header=BB365_344 Depth=1
	s_or_b64 exec, exec, s[6:7]
	v_cmp_eq_u32_e64 s[4:5], v34, v16
	v_add_u32_e32 v52, -7, v17
	v_lshrrev_b32_e32 v8, 16, v20
	v_lshrrev_b32_e32 v20, 16, v23
	;; [unrolled: 1-line block ×8, first 2 shown]
	s_and_saveexec_b64 s[24:25], s[4:5]
	s_cbranch_execz .LBB365_458
; %bb.457:                              ;   in Loop: Header=BB365_344 Depth=1
	v_cmp_lt_i32_e64 s[6:7], v52, v32
	v_add_u32_e32 v18, -6, v17
	v_cndmask_b32_e64 v9, 0, v9, s[6:7]
	v_cmp_lt_i32_e64 s[6:7], v18, v32
	v_add_u32_e32 v18, -5, v17
	v_cndmask_b32_e64 v39, 0, v39, s[6:7]
	;; [unrolled: 3-line block ×6, first 2 shown]
	v_cmp_lt_i32_e64 s[6:7], v18, v32
	v_cndmask_b32_e64 v7, 0, v7, s[6:7]
	v_cmp_lt_i32_e64 s[6:7], v17, v32
	v_cndmask_b32_e64 v6, 0, v6, s[6:7]
.LBB365_458:                            ;   in Loop: Header=BB365_344 Depth=1
	s_or_b64 exec, exec, s[24:25]
	v_and_b32_e32 v53, 0xffff0000, v38
	v_lshlrev_b32_e32 v9, 16, v9
	v_mul_f32_e32 v30, v53, v9
	v_and_b32_e32 v9, 0x7f800000, v30
	v_cmp_ne_u32_e64 s[6:7], s9, v9
                                        ; implicit-def: $vgpr9
	s_and_saveexec_b64 s[24:25], s[6:7]
	s_xor_b64 s[6:7], exec, s[24:25]
; %bb.459:                              ;   in Loop: Header=BB365_344 Depth=1
	v_bfe_u32 v9, v30, 16, 1
	v_add3_u32 v9, v30, v9, s15
                                        ; implicit-def: $vgpr30
; %bb.460:                              ;   in Loop: Header=BB365_344 Depth=1
	s_andn2_saveexec_b64 s[24:25], s[6:7]
; %bb.461:                              ;   in Loop: Header=BB365_344 Depth=1
	v_or_b32_e32 v9, 0x10000, v30
	v_cmp_eq_u32_sdwa s[6:7], v30, v21 src0_sel:WORD_0 src1_sel:DWORD
	v_cndmask_b32_e64 v9, v9, v30, s[6:7]
; %bb.462:                              ;   in Loop: Header=BB365_344 Depth=1
	s_or_b64 exec, exec, s[24:25]
	v_and_b32_e32 v54, 0xffff0000, v37
	v_lshlrev_b32_e32 v18, 16, v39
	v_mul_f32_e32 v30, v54, v18
	v_and_b32_e32 v18, 0x7f800000, v30
	v_cmp_ne_u32_e64 s[6:7], s9, v18
                                        ; implicit-def: $vgpr37
	s_and_saveexec_b64 s[24:25], s[6:7]
	s_xor_b64 s[6:7], exec, s[24:25]
; %bb.463:                              ;   in Loop: Header=BB365_344 Depth=1
	v_bfe_u32 v18, v30, 16, 1
	v_add3_u32 v37, v30, v18, s15
                                        ; implicit-def: $vgpr30
; %bb.464:                              ;   in Loop: Header=BB365_344 Depth=1
	s_andn2_saveexec_b64 s[24:25], s[6:7]
; %bb.465:                              ;   in Loop: Header=BB365_344 Depth=1
	v_or_b32_e32 v18, 0x10000, v30
	v_cmp_eq_u32_sdwa s[6:7], v30, v21 src0_sel:WORD_0 src1_sel:DWORD
	v_cndmask_b32_e64 v37, v18, v30, s[6:7]
; %bb.466:                              ;   in Loop: Header=BB365_344 Depth=1
	s_or_b64 exec, exec, s[24:25]
	v_and_b32_e32 v55, 0xffff0000, v31
	v_lshlrev_b32_e32 v18, 16, v19
	v_mul_f32_e32 v19, v55, v18
	v_and_b32_e32 v18, 0x7f800000, v19
	v_cmp_ne_u32_e64 s[6:7], s9, v18
                                        ; implicit-def: $vgpr38
	s_and_saveexec_b64 s[24:25], s[6:7]
	s_xor_b64 s[6:7], exec, s[24:25]
; %bb.467:                              ;   in Loop: Header=BB365_344 Depth=1
	v_bfe_u32 v18, v19, 16, 1
	v_add3_u32 v38, v19, v18, s15
                                        ; implicit-def: $vgpr19
; %bb.468:                              ;   in Loop: Header=BB365_344 Depth=1
	s_andn2_saveexec_b64 s[24:25], s[6:7]
; %bb.469:                              ;   in Loop: Header=BB365_344 Depth=1
	v_or_b32_e32 v18, 0x10000, v19
	v_cmp_eq_u32_sdwa s[6:7], v19, v21 src0_sel:WORD_0 src1_sel:DWORD
	v_cndmask_b32_e64 v38, v18, v19, s[6:7]
; %bb.470:                              ;   in Loop: Header=BB365_344 Depth=1
	s_or_b64 exec, exec, s[24:25]
	v_and_b32_e32 v40, 0xffff0000, v29
	v_lshlrev_b32_e32 v18, 16, v23
	v_mul_f32_e32 v19, v40, v18
	v_and_b32_e32 v18, 0x7f800000, v19
	v_cmp_ne_u32_e64 s[6:7], s9, v18
                                        ; implicit-def: $vgpr39
	s_and_saveexec_b64 s[24:25], s[6:7]
	s_xor_b64 s[6:7], exec, s[24:25]
; %bb.471:                              ;   in Loop: Header=BB365_344 Depth=1
	v_bfe_u32 v18, v19, 16, 1
	v_add3_u32 v39, v19, v18, s15
                                        ; implicit-def: $vgpr19
; %bb.472:                              ;   in Loop: Header=BB365_344 Depth=1
	s_andn2_saveexec_b64 s[24:25], s[6:7]
; %bb.473:                              ;   in Loop: Header=BB365_344 Depth=1
	v_or_b32_e32 v18, 0x10000, v19
	v_cmp_eq_u32_sdwa s[6:7], v19, v21 src0_sel:WORD_0 src1_sel:DWORD
	v_cndmask_b32_e64 v39, v18, v19, s[6:7]
; %bb.474:                              ;   in Loop: Header=BB365_344 Depth=1
	s_or_b64 exec, exec, s[24:25]
	v_and_b32_e32 v41, 0xffff0000, v27
	v_lshlrev_b32_e32 v18, 16, v20
	v_mul_f32_e32 v19, v41, v18
	v_and_b32_e32 v18, 0x7f800000, v19
	v_cmp_ne_u32_e64 s[6:7], s9, v18
                                        ; implicit-def: $vgpr48
	s_and_saveexec_b64 s[24:25], s[6:7]
	s_xor_b64 s[6:7], exec, s[24:25]
; %bb.475:                              ;   in Loop: Header=BB365_344 Depth=1
	v_bfe_u32 v18, v19, 16, 1
	v_add3_u32 v48, v19, v18, s15
                                        ; implicit-def: $vgpr19
; %bb.476:                              ;   in Loop: Header=BB365_344 Depth=1
	s_andn2_saveexec_b64 s[24:25], s[6:7]
; %bb.477:                              ;   in Loop: Header=BB365_344 Depth=1
	v_or_b32_e32 v18, 0x10000, v19
	v_cmp_eq_u32_sdwa s[6:7], v19, v21 src0_sel:WORD_0 src1_sel:DWORD
	v_cndmask_b32_e64 v48, v18, v19, s[6:7]
; %bb.478:                              ;   in Loop: Header=BB365_344 Depth=1
	s_or_b64 exec, exec, s[24:25]
	v_and_b32_e32 v42, 0xffff0000, v26
	v_lshlrev_b32_e32 v8, 16, v8
	v_mul_f32_e32 v8, v42, v8
	v_and_b32_e32 v18, 0x7f800000, v8
	v_cmp_ne_u32_e64 s[6:7], s9, v18
                                        ; implicit-def: $vgpr49
	s_and_saveexec_b64 s[24:25], s[6:7]
	s_xor_b64 s[6:7], exec, s[24:25]
; %bb.479:                              ;   in Loop: Header=BB365_344 Depth=1
	v_bfe_u32 v18, v8, 16, 1
	v_add3_u32 v49, v8, v18, s15
                                        ; implicit-def: $vgpr8
; %bb.480:                              ;   in Loop: Header=BB365_344 Depth=1
	s_andn2_saveexec_b64 s[24:25], s[6:7]
; %bb.481:                              ;   in Loop: Header=BB365_344 Depth=1
	v_or_b32_e32 v18, 0x10000, v8
	v_cmp_eq_u32_sdwa s[6:7], v8, v21 src0_sel:WORD_0 src1_sel:DWORD
	v_cndmask_b32_e64 v49, v18, v8, s[6:7]
; %bb.482:                              ;   in Loop: Header=BB365_344 Depth=1
	s_or_b64 exec, exec, s[24:25]
	v_and_b32_e32 v43, 0xffff0000, v5
	v_lshlrev_b32_e32 v5, 16, v7
	v_mul_f32_e32 v5, v43, v5
	v_and_b32_e32 v7, 0x7f800000, v5
	v_cmp_ne_u32_e64 s[6:7], s9, v7
                                        ; implicit-def: $vgpr50
	s_and_saveexec_b64 s[24:25], s[6:7]
	s_xor_b64 s[6:7], exec, s[24:25]
; %bb.483:                              ;   in Loop: Header=BB365_344 Depth=1
	v_bfe_u32 v7, v5, 16, 1
	v_add3_u32 v50, v5, v7, s15
                                        ; implicit-def: $vgpr5
; %bb.484:                              ;   in Loop: Header=BB365_344 Depth=1
	s_andn2_saveexec_b64 s[24:25], s[6:7]
; %bb.485:                              ;   in Loop: Header=BB365_344 Depth=1
	v_or_b32_e32 v7, 0x10000, v5
	v_cmp_eq_u32_sdwa s[6:7], v5, v21 src0_sel:WORD_0 src1_sel:DWORD
	v_cndmask_b32_e64 v50, v7, v5, s[6:7]
; %bb.486:                              ;   in Loop: Header=BB365_344 Depth=1
	s_or_b64 exec, exec, s[24:25]
	v_and_b32_e32 v44, 0xffff0000, v4
	v_lshlrev_b32_e32 v4, 16, v6
	v_mul_f32_e32 v4, v44, v4
	v_and_b32_e32 v5, 0x7f800000, v4
	v_cmp_ne_u32_e64 s[6:7], s9, v5
                                        ; implicit-def: $vgpr51
	s_and_saveexec_b64 s[24:25], s[6:7]
	s_xor_b64 s[6:7], exec, s[24:25]
; %bb.487:                              ;   in Loop: Header=BB365_344 Depth=1
	v_bfe_u32 v5, v4, 16, 1
	v_add3_u32 v51, v4, v5, s15
                                        ; implicit-def: $vgpr4
; %bb.488:                              ;   in Loop: Header=BB365_344 Depth=1
	s_andn2_saveexec_b64 s[24:25], s[6:7]
; %bb.489:                              ;   in Loop: Header=BB365_344 Depth=1
	v_or_b32_e32 v5, 0x10000, v4
	v_cmp_eq_u32_sdwa s[6:7], v4, v21 src0_sel:WORD_0 src1_sel:DWORD
	v_cndmask_b32_e64 v51, v5, v4, s[6:7]
; %bb.490:                              ;   in Loop: Header=BB365_344 Depth=1
	s_or_b64 exec, exec, s[24:25]
	flat_load_dwordx2 v[6:7], v[2:3] offset:512
	v_mov_b32_e32 v4, 0
	s_waitcnt vmcnt(0) lgkmcnt(0)
	v_cmp_ne_u16_sdwa s[6:7], v6, v21 src0_sel:BYTE_0 src1_sel:DWORD
	s_and_saveexec_b64 s[24:25], s[6:7]
	s_cbranch_execz .LBB365_496
; %bb.491:                              ;   in Loop: Header=BB365_344 Depth=1
	v_cmp_ne_u16_sdwa s[6:7], v6, s19 src0_sel:BYTE_0 src1_sel:DWORD
	v_bfrev_b32_e32 v4, 1
	s_and_saveexec_b64 s[26:27], s[6:7]
	s_cbranch_execz .LBB365_495
; %bb.492:                              ;   in Loop: Header=BB365_344 Depth=1
	v_and_b32_e32 v5, 0x7f, v6
	v_cmp_ne_u32_e64 s[6:7], s34, v5
	v_mov_b32_e32 v4, 0x7f800001
	s_and_saveexec_b64 s[28:29], s[6:7]
	s_cbranch_execz .LBB365_494
; %bb.493:                              ;   in Loop: Header=BB365_344 Depth=1
	v_and_b32_e32 v4, 7, v6
	v_ffbh_u32_e32 v4, v4
	v_min_u32_e32 v4, 32, v4
	v_lshrrev_b32_e32 v8, 3, v5
	v_subrev_u32_e32 v18, 28, v4
	v_sub_u32_e32 v4, 29, v4
	v_cmp_gt_u32_e64 s[6:7], 8, v5
	v_cndmask_b32_e64 v8, v8, v4, s[6:7]
	v_cndmask_b32_e64 v4, 0, v18, s[6:7]
	v_lshlrev_b64 v[4:5], v4, v[6:7]
	v_lshlrev_b32_e32 v4, 20, v4
	v_lshlrev_b32_e32 v5, 24, v6
	v_and_b32_e32 v4, 0x700000, v4
	v_and_b32_e32 v5, 0x80000000, v5
	v_lshl_add_u32 v8, v8, 23, v36
	v_or3_b32 v4, v5, v8, v4
.LBB365_494:                            ;   in Loop: Header=BB365_344 Depth=1
	s_or_b64 exec, exec, s[28:29]
.LBB365_495:                            ;   in Loop: Header=BB365_344 Depth=1
	s_or_b64 exec, exec, s[26:27]
.LBB365_496:                            ;   in Loop: Header=BB365_344 Depth=1
	s_or_b64 exec, exec, s[24:25]
	v_mul_f32_e32 v5, v33, v4
	v_and_b32_e32 v4, 0x7f800000, v5
	v_cmp_ne_u32_e64 s[6:7], s9, v4
                                        ; implicit-def: $vgpr4
	s_and_saveexec_b64 s[24:25], s[6:7]
	s_xor_b64 s[6:7], exec, s[24:25]
; %bb.497:                              ;   in Loop: Header=BB365_344 Depth=1
	v_bfe_u32 v4, v5, 16, 1
	v_add3_u32 v4, v5, v4, s15
                                        ; implicit-def: $vgpr5
; %bb.498:                              ;   in Loop: Header=BB365_344 Depth=1
	s_andn2_saveexec_b64 s[24:25], s[6:7]
; %bb.499:                              ;   in Loop: Header=BB365_344 Depth=1
	v_or_b32_e32 v4, 0x10000, v5
	v_cmp_eq_u32_sdwa s[6:7], v5, v21 src0_sel:WORD_0 src1_sel:DWORD
	v_cndmask_b32_e64 v4, v4, v5, s[6:7]
; %bb.500:                              ;   in Loop: Header=BB365_344 Depth=1
	s_or_b64 exec, exec, s[24:25]
	v_lshrrev_b16_e32 v8, 8, v6
	v_cmp_ne_u16_e64 s[6:7], 0, v8
	v_mov_b32_e32 v5, 0
	s_and_saveexec_b64 s[24:25], s[6:7]
	s_cbranch_execz .LBB365_506
; %bb.501:                              ;   in Loop: Header=BB365_344 Depth=1
	v_cmp_ne_u16_e64 s[6:7], s19, v8
	v_bfrev_b32_e32 v5, 1
	s_and_saveexec_b64 s[26:27], s[6:7]
	s_cbranch_execz .LBB365_505
; %bb.502:                              ;   in Loop: Header=BB365_344 Depth=1
	v_and_b32_e32 v19, 0x7f, v8
	v_cmp_ne_u32_e64 s[6:7], s34, v19
	v_mov_b32_e32 v5, 0x7f800001
	s_and_saveexec_b64 s[28:29], s[6:7]
	s_cbranch_execz .LBB365_504
; %bb.503:                              ;   in Loop: Header=BB365_344 Depth=1
	v_and_b32_e32 v5, 7, v8
	v_ffbh_u32_e32 v20, v5
	v_min_u32_e32 v20, 32, v20
	v_subrev_u32_e32 v23, 28, v20
	v_lshlrev_b64 v[26:27], v23, v[8:9]
	v_lshrrev_b32_e32 v18, 3, v19
	v_sub_u32_e32 v8, 29, v20
	v_and_b32_e32 v20, 7, v26
	v_cmp_gt_u32_e64 s[6:7], 8, v19
	v_cndmask_b32_e64 v8, v18, v8, s[6:7]
	v_cndmask_b32_e64 v5, v5, v20, s[6:7]
	v_lshlrev_b32_e32 v18, 16, v6
	v_lshlrev_b32_e32 v5, 20, v5
	v_and_b32_e32 v18, 0x80000000, v18
	v_lshl_add_u32 v8, v8, 23, v36
	v_or3_b32 v5, v18, v8, v5
.LBB365_504:                            ;   in Loop: Header=BB365_344 Depth=1
	s_or_b64 exec, exec, s[28:29]
.LBB365_505:                            ;   in Loop: Header=BB365_344 Depth=1
	s_or_b64 exec, exec, s[26:27]
.LBB365_506:                            ;   in Loop: Header=BB365_344 Depth=1
	s_or_b64 exec, exec, s[24:25]
	v_mul_f32_e32 v8, v33, v5
	v_and_b32_e32 v5, 0x7f800000, v8
	v_cmp_ne_u32_e64 s[6:7], s9, v5
                                        ; implicit-def: $vgpr5
	s_and_saveexec_b64 s[24:25], s[6:7]
	s_xor_b64 s[6:7], exec, s[24:25]
; %bb.507:                              ;   in Loop: Header=BB365_344 Depth=1
	v_bfe_u32 v5, v8, 16, 1
	v_add3_u32 v5, v8, v5, s15
                                        ; implicit-def: $vgpr8
; %bb.508:                              ;   in Loop: Header=BB365_344 Depth=1
	s_andn2_saveexec_b64 s[24:25], s[6:7]
; %bb.509:                              ;   in Loop: Header=BB365_344 Depth=1
	v_or_b32_e32 v5, 0x10000, v8
	v_cmp_eq_u32_sdwa s[6:7], v8, v21 src0_sel:WORD_0 src1_sel:DWORD
	v_cndmask_b32_e64 v5, v5, v8, s[6:7]
; %bb.510:                              ;   in Loop: Header=BB365_344 Depth=1
	s_or_b64 exec, exec, s[24:25]
	v_lshrrev_b32_e32 v8, 16, v6
	v_cmp_ne_u16_sdwa s[6:7], v8, v21 src0_sel:BYTE_0 src1_sel:DWORD
	v_mov_b32_e32 v19, 0
	s_and_saveexec_b64 s[24:25], s[6:7]
	s_cbranch_execz .LBB365_516
; %bb.511:                              ;   in Loop: Header=BB365_344 Depth=1
	v_cmp_ne_u16_sdwa s[6:7], v8, s19 src0_sel:BYTE_0 src1_sel:DWORD
	v_bfrev_b32_e32 v19, 1
	s_and_saveexec_b64 s[26:27], s[6:7]
	s_cbranch_execz .LBB365_515
; %bb.512:                              ;   in Loop: Header=BB365_344 Depth=1
	v_bfe_u32 v20, v6, 16, 7
	v_cmp_ne_u32_e64 s[6:7], s34, v20
	v_mov_b32_e32 v19, 0x7f800001
	s_and_saveexec_b64 s[28:29], s[6:7]
	s_cbranch_execz .LBB365_514
; %bb.513:                              ;   in Loop: Header=BB365_344 Depth=1
	v_and_b32_e32 v18, 7, v8
	v_ffbh_u32_e32 v23, v18
	v_min_u32_e32 v23, 32, v23
	v_subrev_u32_e32 v26, 28, v23
	v_lshlrev_b64 v[26:27], v26, v[8:9]
	v_lshrrev_b32_e32 v19, 3, v20
	v_sub_u32_e32 v23, 29, v23
	v_and_b32_e32 v26, 7, v26
	v_cmp_gt_u32_e64 s[6:7], 8, v20
	v_cndmask_b32_e64 v19, v19, v23, s[6:7]
	v_cndmask_b32_e64 v18, v18, v26, s[6:7]
	v_lshlrev_b32_e32 v8, 24, v8
	v_lshlrev_b32_e32 v18, 20, v18
	v_and_b32_e32 v8, 0x80000000, v8
	v_lshl_add_u32 v19, v19, 23, v36
	v_or3_b32 v19, v8, v19, v18
.LBB365_514:                            ;   in Loop: Header=BB365_344 Depth=1
	s_or_b64 exec, exec, s[28:29]
.LBB365_515:                            ;   in Loop: Header=BB365_344 Depth=1
	s_or_b64 exec, exec, s[26:27]
.LBB365_516:                            ;   in Loop: Header=BB365_344 Depth=1
	s_or_b64 exec, exec, s[24:25]
	v_mul_f32_e32 v8, v33, v19
	v_and_b32_e32 v18, 0x7f800000, v8
	v_cmp_ne_u32_e64 s[6:7], s9, v18
                                        ; implicit-def: $vgpr26
	s_and_saveexec_b64 s[24:25], s[6:7]
	s_xor_b64 s[6:7], exec, s[24:25]
; %bb.517:                              ;   in Loop: Header=BB365_344 Depth=1
	v_bfe_u32 v18, v8, 16, 1
	v_add3_u32 v26, v8, v18, s15
                                        ; implicit-def: $vgpr8
; %bb.518:                              ;   in Loop: Header=BB365_344 Depth=1
	s_andn2_saveexec_b64 s[24:25], s[6:7]
; %bb.519:                              ;   in Loop: Header=BB365_344 Depth=1
	v_or_b32_e32 v18, 0x10000, v8
	v_cmp_eq_u32_sdwa s[6:7], v8, v21 src0_sel:WORD_0 src1_sel:DWORD
	v_cndmask_b32_e64 v26, v18, v8, s[6:7]
; %bb.520:                              ;   in Loop: Header=BB365_344 Depth=1
	s_or_b64 exec, exec, s[24:25]
	v_cmp_lt_u32_e64 s[6:7], s13, v6
	v_mov_b32_e32 v19, 0
	s_and_saveexec_b64 s[24:25], s[6:7]
	s_cbranch_execz .LBB365_526
; %bb.521:                              ;   in Loop: Header=BB365_344 Depth=1
	v_lshrrev_b32_e32 v8, 24, v6
	v_cmp_ne_u32_e64 s[6:7], s19, v8
	v_bfrev_b32_e32 v19, 1
	s_and_saveexec_b64 s[26:27], s[6:7]
	s_cbranch_execz .LBB365_525
; %bb.522:                              ;   in Loop: Header=BB365_344 Depth=1
	v_bfe_u32 v20, v6, 24, 7
	v_cmp_ne_u32_e64 s[6:7], s34, v20
	v_mov_b32_e32 v19, 0x7f800001
	s_and_saveexec_b64 s[28:29], s[6:7]
	s_cbranch_execz .LBB365_524
; %bb.523:                              ;   in Loop: Header=BB365_344 Depth=1
	v_and_b32_e32 v18, 7, v8
	v_ffbh_u32_e32 v23, v18
	v_min_u32_e32 v23, 32, v23
	v_subrev_u32_e32 v27, 28, v23
	v_lshlrev_b64 v[28:29], v27, v[8:9]
	v_lshrrev_b32_e32 v19, 3, v20
	v_sub_u32_e32 v23, 29, v23
	v_and_b32_e32 v27, 7, v28
	v_cmp_gt_u32_e64 s[6:7], 8, v20
	v_cndmask_b32_e64 v19, v19, v23, s[6:7]
	v_cndmask_b32_e64 v18, v18, v27, s[6:7]
	v_lshlrev_b32_e32 v8, 24, v8
	v_lshlrev_b32_e32 v18, 20, v18
	v_and_b32_e32 v8, 0x80000000, v8
	v_lshl_add_u32 v19, v19, 23, v36
	v_or3_b32 v19, v8, v19, v18
.LBB365_524:                            ;   in Loop: Header=BB365_344 Depth=1
	s_or_b64 exec, exec, s[28:29]
.LBB365_525:                            ;   in Loop: Header=BB365_344 Depth=1
	s_or_b64 exec, exec, s[26:27]
.LBB365_526:                            ;   in Loop: Header=BB365_344 Depth=1
	s_or_b64 exec, exec, s[24:25]
	v_mul_f32_e32 v8, v33, v19
	v_and_b32_e32 v18, 0x7f800000, v8
	v_cmp_ne_u32_e64 s[6:7], s9, v18
                                        ; implicit-def: $vgpr23
	s_and_saveexec_b64 s[24:25], s[6:7]
	s_xor_b64 s[6:7], exec, s[24:25]
; %bb.527:                              ;   in Loop: Header=BB365_344 Depth=1
	v_bfe_u32 v18, v8, 16, 1
	v_add3_u32 v23, v8, v18, s15
                                        ; implicit-def: $vgpr8
; %bb.528:                              ;   in Loop: Header=BB365_344 Depth=1
	s_andn2_saveexec_b64 s[24:25], s[6:7]
; %bb.529:                              ;   in Loop: Header=BB365_344 Depth=1
	v_or_b32_e32 v18, 0x10000, v8
	v_cmp_eq_u32_sdwa s[6:7], v8, v21 src0_sel:WORD_0 src1_sel:DWORD
	v_cndmask_b32_e64 v23, v18, v8, s[6:7]
; %bb.530:                              ;   in Loop: Header=BB365_344 Depth=1
	s_or_b64 exec, exec, s[24:25]
	v_mov_b32_e32 v20, v7
	v_cmp_ne_u16_sdwa s[6:7], v7, v21 src0_sel:BYTE_0 src1_sel:DWORD
	v_mov_b32_e32 v8, 0
	s_and_saveexec_b64 s[24:25], s[6:7]
	s_cbranch_execz .LBB365_536
; %bb.531:                              ;   in Loop: Header=BB365_344 Depth=1
	v_cmp_ne_u16_sdwa s[6:7], v7, s19 src0_sel:BYTE_0 src1_sel:DWORD
	v_bfrev_b32_e32 v8, 1
	s_and_saveexec_b64 s[26:27], s[6:7]
	s_cbranch_execz .LBB365_535
; %bb.532:                              ;   in Loop: Header=BB365_344 Depth=1
	v_and_b32_e32 v19, 0x7f, v7
	v_cmp_ne_u32_e64 s[6:7], s34, v19
	v_mov_b32_e32 v8, 0x7f800001
	s_and_saveexec_b64 s[28:29], s[6:7]
	s_cbranch_execz .LBB365_534
; %bb.533:                              ;   in Loop: Header=BB365_344 Depth=1
	v_and_b32_e32 v8, 7, v7
	v_ffbh_u32_e32 v8, v8
	v_min_u32_e32 v8, 32, v8
	v_lshrrev_b32_e32 v18, 3, v19
	v_subrev_u32_e32 v27, 28, v8
	v_sub_u32_e32 v8, 29, v8
	v_cmp_gt_u32_e64 s[6:7], 8, v19
	v_cndmask_b32_e64 v8, v18, v8, s[6:7]
	v_cndmask_b32_e64 v18, 0, v27, s[6:7]
	v_lshlrev_b64 v[28:29], v18, v[20:21]
	v_lshlrev_b32_e32 v18, 20, v28
	v_lshlrev_b32_e32 v19, 24, v20
	v_and_b32_e32 v18, 0x700000, v18
	v_and_b32_e32 v19, 0x80000000, v19
	v_lshl_add_u32 v8, v8, 23, v36
	v_or3_b32 v8, v19, v8, v18
.LBB365_534:                            ;   in Loop: Header=BB365_344 Depth=1
	s_or_b64 exec, exec, s[28:29]
.LBB365_535:                            ;   in Loop: Header=BB365_344 Depth=1
	s_or_b64 exec, exec, s[26:27]
.LBB365_536:                            ;   in Loop: Header=BB365_344 Depth=1
	s_or_b64 exec, exec, s[24:25]
	v_mul_f32_e32 v8, v33, v8
	v_and_b32_e32 v18, 0x7f800000, v8
	v_cmp_ne_u32_e64 s[6:7], s9, v18
                                        ; implicit-def: $vgpr27
	s_and_saveexec_b64 s[24:25], s[6:7]
	s_xor_b64 s[6:7], exec, s[24:25]
; %bb.537:                              ;   in Loop: Header=BB365_344 Depth=1
	v_bfe_u32 v18, v8, 16, 1
	v_add3_u32 v27, v8, v18, s15
                                        ; implicit-def: $vgpr8
; %bb.538:                              ;   in Loop: Header=BB365_344 Depth=1
	s_andn2_saveexec_b64 s[24:25], s[6:7]
; %bb.539:                              ;   in Loop: Header=BB365_344 Depth=1
	v_or_b32_e32 v18, 0x10000, v8
	v_cmp_eq_u32_sdwa s[6:7], v8, v21 src0_sel:WORD_0 src1_sel:DWORD
	v_cndmask_b32_e64 v27, v18, v8, s[6:7]
; %bb.540:                              ;   in Loop: Header=BB365_344 Depth=1
	s_or_b64 exec, exec, s[24:25]
	v_lshrrev_b16_e32 v8, 8, v20
	v_cmp_ne_u16_e64 s[6:7], 0, v8
	v_mov_b32_e32 v19, 0
	s_and_saveexec_b64 s[24:25], s[6:7]
	s_cbranch_execz .LBB365_546
; %bb.541:                              ;   in Loop: Header=BB365_344 Depth=1
	v_cmp_ne_u16_e64 s[6:7], s19, v8
	v_bfrev_b32_e32 v19, 1
	s_and_saveexec_b64 s[26:27], s[6:7]
	s_cbranch_execz .LBB365_545
; %bb.542:                              ;   in Loop: Header=BB365_344 Depth=1
	v_and_b32_e32 v29, 0x7f, v8
	v_cmp_ne_u32_e64 s[6:7], s34, v29
	v_mov_b32_e32 v19, 0x7f800001
	s_and_saveexec_b64 s[28:29], s[6:7]
	s_cbranch_execz .LBB365_544
; %bb.543:                              ;   in Loop: Header=BB365_344 Depth=1
	v_and_b32_e32 v18, 7, v8
	v_ffbh_u32_e32 v28, v18
	v_min_u32_e32 v28, 32, v28
	v_subrev_u32_e32 v30, 28, v28
	v_lshlrev_b64 v[30:31], v30, v[8:9]
	v_lshrrev_b32_e32 v19, 3, v29
	v_sub_u32_e32 v8, 29, v28
	v_and_b32_e32 v28, 7, v30
	v_cmp_gt_u32_e64 s[6:7], 8, v29
	v_cndmask_b32_e64 v8, v19, v8, s[6:7]
	v_cndmask_b32_e64 v18, v18, v28, s[6:7]
	v_lshlrev_b32_e32 v19, 16, v20
	v_lshlrev_b32_e32 v18, 20, v18
	v_and_b32_e32 v19, 0x80000000, v19
	v_lshl_add_u32 v8, v8, 23, v36
	v_or3_b32 v19, v19, v8, v18
.LBB365_544:                            ;   in Loop: Header=BB365_344 Depth=1
	s_or_b64 exec, exec, s[28:29]
.LBB365_545:                            ;   in Loop: Header=BB365_344 Depth=1
	s_or_b64 exec, exec, s[26:27]
.LBB365_546:                            ;   in Loop: Header=BB365_344 Depth=1
	s_or_b64 exec, exec, s[24:25]
	v_mul_f32_e32 v8, v33, v19
	v_and_b32_e32 v18, 0x7f800000, v8
	v_cmp_ne_u32_e64 s[6:7], s9, v18
                                        ; implicit-def: $vgpr20
	s_and_saveexec_b64 s[24:25], s[6:7]
	s_xor_b64 s[6:7], exec, s[24:25]
; %bb.547:                              ;   in Loop: Header=BB365_344 Depth=1
	v_bfe_u32 v18, v8, 16, 1
	v_add3_u32 v20, v8, v18, s15
                                        ; implicit-def: $vgpr8
; %bb.548:                              ;   in Loop: Header=BB365_344 Depth=1
	s_andn2_saveexec_b64 s[24:25], s[6:7]
; %bb.549:                              ;   in Loop: Header=BB365_344 Depth=1
	v_or_b32_e32 v18, 0x10000, v8
	v_cmp_eq_u32_sdwa s[6:7], v8, v21 src0_sel:WORD_0 src1_sel:DWORD
	v_cndmask_b32_e64 v20, v18, v8, s[6:7]
; %bb.550:                              ;   in Loop: Header=BB365_344 Depth=1
	s_or_b64 exec, exec, s[24:25]
	v_lshrrev_b32_e32 v8, 16, v7
	v_cmp_ne_u16_sdwa s[6:7], v8, v21 src0_sel:BYTE_0 src1_sel:DWORD
	v_mov_b32_e32 v19, 0
	s_and_saveexec_b64 s[24:25], s[6:7]
	s_cbranch_execz .LBB365_556
; %bb.551:                              ;   in Loop: Header=BB365_344 Depth=1
	v_cmp_ne_u16_sdwa s[6:7], v8, s19 src0_sel:BYTE_0 src1_sel:DWORD
	v_bfrev_b32_e32 v19, 1
	s_and_saveexec_b64 s[26:27], s[6:7]
	s_cbranch_execz .LBB365_555
; %bb.552:                              ;   in Loop: Header=BB365_344 Depth=1
	v_bfe_u32 v29, v7, 16, 7
	v_cmp_ne_u32_e64 s[6:7], s34, v29
	v_mov_b32_e32 v19, 0x7f800001
	s_and_saveexec_b64 s[28:29], s[6:7]
	s_cbranch_execz .LBB365_554
; %bb.553:                              ;   in Loop: Header=BB365_344 Depth=1
	v_and_b32_e32 v18, 7, v8
	v_ffbh_u32_e32 v28, v18
	v_min_u32_e32 v28, 32, v28
	v_subrev_u32_e32 v30, 28, v28
	v_lshlrev_b64 v[30:31], v30, v[8:9]
	v_lshrrev_b32_e32 v19, 3, v29
	v_sub_u32_e32 v28, 29, v28
	v_and_b32_e32 v30, 7, v30
	v_cmp_gt_u32_e64 s[6:7], 8, v29
	v_cndmask_b32_e64 v19, v19, v28, s[6:7]
	v_cndmask_b32_e64 v18, v18, v30, s[6:7]
	v_lshlrev_b32_e32 v8, 24, v8
	v_lshlrev_b32_e32 v18, 20, v18
	v_and_b32_e32 v8, 0x80000000, v8
	v_lshl_add_u32 v19, v19, 23, v36
	v_or3_b32 v19, v8, v19, v18
.LBB365_554:                            ;   in Loop: Header=BB365_344 Depth=1
	s_or_b64 exec, exec, s[28:29]
.LBB365_555:                            ;   in Loop: Header=BB365_344 Depth=1
	s_or_b64 exec, exec, s[26:27]
.LBB365_556:                            ;   in Loop: Header=BB365_344 Depth=1
	s_or_b64 exec, exec, s[24:25]
	v_mul_f32_e32 v8, v33, v19
	v_and_b32_e32 v18, 0x7f800000, v8
	v_cmp_ne_u32_e64 s[6:7], s9, v18
                                        ; implicit-def: $vgpr19
	s_and_saveexec_b64 s[24:25], s[6:7]
	s_xor_b64 s[6:7], exec, s[24:25]
; %bb.557:                              ;   in Loop: Header=BB365_344 Depth=1
	v_bfe_u32 v18, v8, 16, 1
	v_add3_u32 v19, v8, v18, s15
                                        ; implicit-def: $vgpr8
; %bb.558:                              ;   in Loop: Header=BB365_344 Depth=1
	s_andn2_saveexec_b64 s[24:25], s[6:7]
; %bb.559:                              ;   in Loop: Header=BB365_344 Depth=1
	v_or_b32_e32 v18, 0x10000, v8
	v_cmp_eq_u32_sdwa s[6:7], v8, v21 src0_sel:WORD_0 src1_sel:DWORD
	v_cndmask_b32_e64 v19, v18, v8, s[6:7]
; %bb.560:                              ;   in Loop: Header=BB365_344 Depth=1
	s_or_b64 exec, exec, s[24:25]
	v_cmp_lt_u64_e64 s[6:7], s[12:13], v[6:7]
	v_mov_b32_e32 v8, 0
	s_and_saveexec_b64 s[24:25], s[6:7]
	s_cbranch_execz .LBB365_566
; %bb.561:                              ;   in Loop: Header=BB365_344 Depth=1
	v_lshrrev_b32_e32 v6, 24, v7
	v_cmp_ne_u32_e64 s[6:7], s19, v6
	v_bfrev_b32_e32 v8, 1
	s_and_saveexec_b64 s[26:27], s[6:7]
	s_cbranch_execz .LBB365_565
; %bb.562:                              ;   in Loop: Header=BB365_344 Depth=1
	v_bfe_u32 v7, v7, 24, 7
	v_cmp_ne_u32_e64 s[6:7], s34, v7
	v_mov_b32_e32 v8, 0x7f800001
	s_and_saveexec_b64 s[28:29], s[6:7]
	s_cbranch_execz .LBB365_564
; %bb.563:                              ;   in Loop: Header=BB365_344 Depth=1
	v_and_b32_e32 v8, 7, v6
	v_ffbh_u32_e32 v28, v8
	v_min_u32_e32 v30, 32, v28
	v_subrev_u32_e32 v28, 28, v30
	v_lshlrev_b64 v[28:29], v28, v[6:7]
	v_lshrrev_b32_e32 v18, 3, v7
	v_sub_u32_e32 v29, 29, v30
	v_and_b32_e32 v28, 7, v28
	v_cmp_gt_u32_e64 s[6:7], 8, v7
	v_cndmask_b32_e64 v7, v18, v29, s[6:7]
	v_cndmask_b32_e64 v8, v8, v28, s[6:7]
	v_lshlrev_b32_e32 v6, 24, v6
	v_lshlrev_b32_e32 v8, 20, v8
	v_and_b32_e32 v6, 0x80000000, v6
	v_lshl_add_u32 v7, v7, 23, v36
	v_or3_b32 v8, v6, v7, v8
.LBB365_564:                            ;   in Loop: Header=BB365_344 Depth=1
	s_or_b64 exec, exec, s[28:29]
.LBB365_565:                            ;   in Loop: Header=BB365_344 Depth=1
	s_or_b64 exec, exec, s[26:27]
.LBB365_566:                            ;   in Loop: Header=BB365_344 Depth=1
	s_or_b64 exec, exec, s[24:25]
	v_mul_f32_e32 v7, v33, v8
	v_and_b32_e32 v6, 0x7f800000, v7
	v_cmp_ne_u32_e64 s[6:7], s9, v6
                                        ; implicit-def: $vgpr6
	s_and_saveexec_b64 s[24:25], s[6:7]
	s_xor_b64 s[6:7], exec, s[24:25]
; %bb.567:                              ;   in Loop: Header=BB365_344 Depth=1
	v_bfe_u32 v6, v7, 16, 1
	v_add3_u32 v6, v7, v6, s15
                                        ; implicit-def: $vgpr7
; %bb.568:                              ;   in Loop: Header=BB365_344 Depth=1
	s_andn2_saveexec_b64 s[24:25], s[6:7]
; %bb.569:                              ;   in Loop: Header=BB365_344 Depth=1
	v_or_b32_e32 v6, 0x10000, v7
	v_cmp_eq_u32_sdwa s[6:7], v7, v21 src0_sel:WORD_0 src1_sel:DWORD
	v_cndmask_b32_e64 v6, v6, v7, s[6:7]
; %bb.570:                              ;   in Loop: Header=BB365_344 Depth=1
	s_or_b64 exec, exec, s[24:25]
	v_lshrrev_b32_e32 v29, 16, v20
	v_lshrrev_b32_e32 v27, 16, v27
	;; [unrolled: 1-line block ×8, first 2 shown]
	s_and_saveexec_b64 s[24:25], s[4:5]
	s_cbranch_execz .LBB365_572
; %bb.571:                              ;   in Loop: Header=BB365_344 Depth=1
	v_cmp_lt_i32_e64 s[6:7], v52, v32
	v_add_u32_e32 v18, -6, v17
	v_cndmask_b32_e64 v4, 0, v4, s[6:7]
	v_cmp_lt_i32_e64 s[6:7], v18, v32
	v_add_u32_e32 v18, -5, v17
	v_cndmask_b32_e64 v5, 0, v5, s[6:7]
	;; [unrolled: 3-line block ×6, first 2 shown]
	v_cmp_lt_i32_e64 s[6:7], v18, v32
	v_cndmask_b32_e64 v20, 0, v20, s[6:7]
	v_cmp_lt_i32_e64 s[6:7], v17, v32
	v_cndmask_b32_e64 v6, 0, v6, s[6:7]
.LBB365_572:                            ;   in Loop: Header=BB365_344 Depth=1
	s_or_b64 exec, exec, s[24:25]
	v_lshlrev_b32_e32 v4, 16, v4
	v_mul_f32_e32 v19, v53, v4
	v_and_b32_e32 v4, 0x7f800000, v19
	v_cmp_ne_u32_e64 s[6:7], s9, v4
                                        ; implicit-def: $vgpr4
	s_and_saveexec_b64 s[24:25], s[6:7]
	s_xor_b64 s[6:7], exec, s[24:25]
; %bb.573:                              ;   in Loop: Header=BB365_344 Depth=1
	v_bfe_u32 v4, v19, 16, 1
	v_add3_u32 v4, v19, v4, s15
                                        ; implicit-def: $vgpr19
; %bb.574:                              ;   in Loop: Header=BB365_344 Depth=1
	s_andn2_saveexec_b64 s[24:25], s[6:7]
; %bb.575:                              ;   in Loop: Header=BB365_344 Depth=1
	v_or_b32_e32 v4, 0x10000, v19
	v_cmp_eq_u32_sdwa s[6:7], v19, v21 src0_sel:WORD_0 src1_sel:DWORD
	v_cndmask_b32_e64 v4, v4, v19, s[6:7]
; %bb.576:                              ;   in Loop: Header=BB365_344 Depth=1
	s_or_b64 exec, exec, s[24:25]
	v_lshlrev_b32_e32 v5, 16, v5
	v_mul_f32_e32 v19, v54, v5
	v_and_b32_e32 v5, 0x7f800000, v19
	v_cmp_ne_u32_e64 s[6:7], s9, v5
                                        ; implicit-def: $vgpr5
	s_and_saveexec_b64 s[24:25], s[6:7]
	s_xor_b64 s[6:7], exec, s[24:25]
; %bb.577:                              ;   in Loop: Header=BB365_344 Depth=1
	v_bfe_u32 v5, v19, 16, 1
	v_add3_u32 v5, v19, v5, s15
                                        ; implicit-def: $vgpr19
; %bb.578:                              ;   in Loop: Header=BB365_344 Depth=1
	s_andn2_saveexec_b64 s[24:25], s[6:7]
; %bb.579:                              ;   in Loop: Header=BB365_344 Depth=1
	v_or_b32_e32 v5, 0x10000, v19
	v_cmp_eq_u32_sdwa s[6:7], v19, v21 src0_sel:WORD_0 src1_sel:DWORD
	v_cndmask_b32_e64 v5, v5, v19, s[6:7]
; %bb.580:                              ;   in Loop: Header=BB365_344 Depth=1
	s_or_b64 exec, exec, s[24:25]
	v_lshlrev_b32_e32 v7, 16, v7
	v_mul_f32_e32 v19, v55, v7
	v_and_b32_e32 v7, 0x7f800000, v19
	v_cmp_ne_u32_e64 s[6:7], s9, v7
                                        ; implicit-def: $vgpr7
	s_and_saveexec_b64 s[24:25], s[6:7]
	s_xor_b64 s[6:7], exec, s[24:25]
; %bb.581:                              ;   in Loop: Header=BB365_344 Depth=1
	v_bfe_u32 v7, v19, 16, 1
	v_add3_u32 v7, v19, v7, s15
                                        ; implicit-def: $vgpr19
; %bb.582:                              ;   in Loop: Header=BB365_344 Depth=1
	s_andn2_saveexec_b64 s[24:25], s[6:7]
; %bb.583:                              ;   in Loop: Header=BB365_344 Depth=1
	v_or_b32_e32 v7, 0x10000, v19
	v_cmp_eq_u32_sdwa s[6:7], v19, v21 src0_sel:WORD_0 src1_sel:DWORD
	v_cndmask_b32_e64 v7, v7, v19, s[6:7]
; %bb.584:                              ;   in Loop: Header=BB365_344 Depth=1
	s_or_b64 exec, exec, s[24:25]
	v_lshlrev_b32_e32 v8, 16, v8
	v_mul_f32_e32 v19, v40, v8
	v_and_b32_e32 v8, 0x7f800000, v19
	v_cmp_ne_u32_e64 s[6:7], s9, v8
                                        ; implicit-def: $vgpr8
	s_and_saveexec_b64 s[24:25], s[6:7]
	s_xor_b64 s[6:7], exec, s[24:25]
; %bb.585:                              ;   in Loop: Header=BB365_344 Depth=1
	v_bfe_u32 v8, v19, 16, 1
	v_add3_u32 v8, v19, v8, s15
                                        ; implicit-def: $vgpr19
; %bb.586:                              ;   in Loop: Header=BB365_344 Depth=1
	s_andn2_saveexec_b64 s[24:25], s[6:7]
; %bb.587:                              ;   in Loop: Header=BB365_344 Depth=1
	v_or_b32_e32 v8, 0x10000, v19
	v_cmp_eq_u32_sdwa s[6:7], v19, v21 src0_sel:WORD_0 src1_sel:DWORD
	v_cndmask_b32_e64 v8, v8, v19, s[6:7]
; %bb.588:                              ;   in Loop: Header=BB365_344 Depth=1
	s_or_b64 exec, exec, s[24:25]
	v_lshlrev_b32_e32 v18, 16, v27
	v_mul_f32_e32 v19, v41, v18
	v_and_b32_e32 v18, 0x7f800000, v19
	v_cmp_ne_u32_e64 s[6:7], s9, v18
                                        ; implicit-def: $vgpr26
	s_and_saveexec_b64 s[24:25], s[6:7]
	s_xor_b64 s[6:7], exec, s[24:25]
; %bb.589:                              ;   in Loop: Header=BB365_344 Depth=1
	v_bfe_u32 v18, v19, 16, 1
	v_add3_u32 v26, v19, v18, s15
                                        ; implicit-def: $vgpr19
; %bb.590:                              ;   in Loop: Header=BB365_344 Depth=1
	s_andn2_saveexec_b64 s[24:25], s[6:7]
; %bb.591:                              ;   in Loop: Header=BB365_344 Depth=1
	v_or_b32_e32 v18, 0x10000, v19
	v_cmp_eq_u32_sdwa s[6:7], v19, v21 src0_sel:WORD_0 src1_sel:DWORD
	v_cndmask_b32_e64 v26, v18, v19, s[6:7]
; %bb.592:                              ;   in Loop: Header=BB365_344 Depth=1
	s_or_b64 exec, exec, s[24:25]
	v_lshlrev_b32_e32 v18, 16, v29
	v_mul_f32_e32 v19, v42, v18
	v_and_b32_e32 v18, 0x7f800000, v19
	v_cmp_ne_u32_e64 s[6:7], s9, v18
                                        ; implicit-def: $vgpr27
	s_and_saveexec_b64 s[24:25], s[6:7]
	s_xor_b64 s[6:7], exec, s[24:25]
; %bb.593:                              ;   in Loop: Header=BB365_344 Depth=1
	v_bfe_u32 v18, v19, 16, 1
	v_add3_u32 v27, v19, v18, s15
                                        ; implicit-def: $vgpr19
; %bb.594:                              ;   in Loop: Header=BB365_344 Depth=1
	s_andn2_saveexec_b64 s[24:25], s[6:7]
; %bb.595:                              ;   in Loop: Header=BB365_344 Depth=1
	v_or_b32_e32 v18, 0x10000, v19
	v_cmp_eq_u32_sdwa s[6:7], v19, v21 src0_sel:WORD_0 src1_sel:DWORD
	v_cndmask_b32_e64 v27, v18, v19, s[6:7]
; %bb.596:                              ;   in Loop: Header=BB365_344 Depth=1
	s_or_b64 exec, exec, s[24:25]
	v_lshlrev_b32_e32 v18, 16, v20
	v_mul_f32_e32 v19, v43, v18
	v_and_b32_e32 v18, 0x7f800000, v19
	v_cmp_ne_u32_e64 s[6:7], s9, v18
                                        ; implicit-def: $vgpr29
	s_and_saveexec_b64 s[24:25], s[6:7]
	s_xor_b64 s[6:7], exec, s[24:25]
; %bb.597:                              ;   in Loop: Header=BB365_344 Depth=1
	v_bfe_u32 v18, v19, 16, 1
	v_add3_u32 v29, v19, v18, s15
                                        ; implicit-def: $vgpr19
; %bb.598:                              ;   in Loop: Header=BB365_344 Depth=1
	s_andn2_saveexec_b64 s[24:25], s[6:7]
; %bb.599:                              ;   in Loop: Header=BB365_344 Depth=1
	v_or_b32_e32 v18, 0x10000, v19
	v_cmp_eq_u32_sdwa s[6:7], v19, v21 src0_sel:WORD_0 src1_sel:DWORD
	v_cndmask_b32_e64 v29, v18, v19, s[6:7]
; %bb.600:                              ;   in Loop: Header=BB365_344 Depth=1
	s_or_b64 exec, exec, s[24:25]
	v_lshlrev_b32_e32 v6, 16, v6
	v_mul_f32_e32 v6, v44, v6
	v_and_b32_e32 v18, 0x7f800000, v6
	v_cmp_ne_u32_e64 s[6:7], s9, v18
                                        ; implicit-def: $vgpr31
	s_and_saveexec_b64 s[24:25], s[6:7]
	s_xor_b64 s[6:7], exec, s[24:25]
; %bb.601:                              ;   in Loop: Header=BB365_344 Depth=1
	v_bfe_u32 v18, v6, 16, 1
	v_add3_u32 v31, v6, v18, s15
                                        ; implicit-def: $vgpr6
; %bb.602:                              ;   in Loop: Header=BB365_344 Depth=1
	s_andn2_saveexec_b64 s[24:25], s[6:7]
; %bb.603:                              ;   in Loop: Header=BB365_344 Depth=1
	v_or_b32_e32 v18, 0x10000, v6
	v_cmp_eq_u32_sdwa s[6:7], v6, v21 src0_sel:WORD_0 src1_sel:DWORD
	v_cndmask_b32_e64 v31, v18, v6, s[6:7]
; %bb.604:                              ;   in Loop: Header=BB365_344 Depth=1
	s_or_b64 exec, exec, s[24:25]
	flat_load_dwordx2 v[2:3], v[2:3] offset:1024
	v_mov_b32_e32 v6, 0
	s_waitcnt vmcnt(0) lgkmcnt(0)
	v_cmp_ne_u16_sdwa s[6:7], v2, v21 src0_sel:BYTE_0 src1_sel:DWORD
	s_and_saveexec_b64 s[24:25], s[6:7]
	s_cbranch_execz .LBB365_610
; %bb.605:                              ;   in Loop: Header=BB365_344 Depth=1
	v_cmp_ne_u16_sdwa s[6:7], v2, s19 src0_sel:BYTE_0 src1_sel:DWORD
	v_bfrev_b32_e32 v6, 1
	s_and_saveexec_b64 s[26:27], s[6:7]
	s_cbranch_execz .LBB365_609
; %bb.606:                              ;   in Loop: Header=BB365_344 Depth=1
	v_and_b32_e32 v19, 0x7f, v2
	v_cmp_ne_u32_e64 s[6:7], s34, v19
	v_mov_b32_e32 v6, 0x7f800001
	s_and_saveexec_b64 s[28:29], s[6:7]
	s_cbranch_execz .LBB365_608
; %bb.607:                              ;   in Loop: Header=BB365_344 Depth=1
	v_and_b32_e32 v6, 7, v2
	v_ffbh_u32_e32 v6, v6
	v_min_u32_e32 v6, 32, v6
	v_lshrrev_b32_e32 v18, 3, v19
	v_subrev_u32_e32 v20, 28, v6
	v_sub_u32_e32 v6, 29, v6
	v_cmp_gt_u32_e64 s[6:7], 8, v19
	v_cndmask_b32_e64 v6, v18, v6, s[6:7]
	v_cndmask_b32_e64 v18, 0, v20, s[6:7]
	v_lshlrev_b64 v[46:47], v18, v[2:3]
	v_lshlrev_b32_e32 v18, 20, v46
	v_lshlrev_b32_e32 v19, 24, v2
	v_and_b32_e32 v18, 0x700000, v18
	v_and_b32_e32 v19, 0x80000000, v19
	v_lshl_add_u32 v6, v6, 23, v36
	v_or3_b32 v6, v19, v6, v18
.LBB365_608:                            ;   in Loop: Header=BB365_344 Depth=1
	s_or_b64 exec, exec, s[28:29]
.LBB365_609:                            ;   in Loop: Header=BB365_344 Depth=1
	s_or_b64 exec, exec, s[26:27]
.LBB365_610:                            ;   in Loop: Header=BB365_344 Depth=1
	s_or_b64 exec, exec, s[24:25]
	v_mul_f32_e32 v6, v33, v6
	v_and_b32_e32 v18, 0x7f800000, v6
	v_cmp_ne_u32_e64 s[6:7], s9, v18
                                        ; implicit-def: $vgpr45
	s_and_saveexec_b64 s[24:25], s[6:7]
	s_xor_b64 s[6:7], exec, s[24:25]
; %bb.611:                              ;   in Loop: Header=BB365_344 Depth=1
	v_bfe_u32 v18, v6, 16, 1
	v_add3_u32 v45, v6, v18, s15
                                        ; implicit-def: $vgpr6
; %bb.612:                              ;   in Loop: Header=BB365_344 Depth=1
	s_andn2_saveexec_b64 s[24:25], s[6:7]
; %bb.613:                              ;   in Loop: Header=BB365_344 Depth=1
	v_or_b32_e32 v18, 0x10000, v6
	v_cmp_eq_u32_sdwa s[6:7], v6, v21 src0_sel:WORD_0 src1_sel:DWORD
	v_cndmask_b32_e64 v45, v18, v6, s[6:7]
; %bb.614:                              ;   in Loop: Header=BB365_344 Depth=1
	s_or_b64 exec, exec, s[24:25]
	v_lshrrev_b16_e32 v6, 8, v2
	v_cmp_ne_u16_e64 s[6:7], 0, v6
	v_mov_b32_e32 v19, 0
	s_and_saveexec_b64 s[24:25], s[6:7]
	s_cbranch_execz .LBB365_620
; %bb.615:                              ;   in Loop: Header=BB365_344 Depth=1
	v_cmp_ne_u16_e64 s[6:7], s19, v6
	v_bfrev_b32_e32 v19, 1
	s_and_saveexec_b64 s[26:27], s[6:7]
	s_cbranch_execz .LBB365_619
; %bb.616:                              ;   in Loop: Header=BB365_344 Depth=1
	v_and_b32_e32 v20, 0x7f, v6
	v_cmp_ne_u32_e64 s[6:7], s34, v20
	v_mov_b32_e32 v19, 0x7f800001
	s_and_saveexec_b64 s[28:29], s[6:7]
	s_cbranch_execz .LBB365_618
; %bb.617:                              ;   in Loop: Header=BB365_344 Depth=1
	v_and_b32_e32 v18, 7, v6
	v_ffbh_u32_e32 v23, v18
	v_min_u32_e32 v23, 32, v23
	v_subrev_u32_e32 v28, 28, v23
	v_lshlrev_b64 v[46:47], v28, v[6:7]
	v_lshrrev_b32_e32 v19, 3, v20
	v_sub_u32_e32 v6, 29, v23
	v_and_b32_e32 v23, 7, v46
	v_cmp_gt_u32_e64 s[6:7], 8, v20
	v_cndmask_b32_e64 v6, v19, v6, s[6:7]
	v_cndmask_b32_e64 v18, v18, v23, s[6:7]
	v_lshlrev_b32_e32 v19, 16, v2
	v_lshlrev_b32_e32 v18, 20, v18
	v_and_b32_e32 v19, 0x80000000, v19
	v_lshl_add_u32 v6, v6, 23, v36
	v_or3_b32 v19, v19, v6, v18
.LBB365_618:                            ;   in Loop: Header=BB365_344 Depth=1
	s_or_b64 exec, exec, s[28:29]
.LBB365_619:                            ;   in Loop: Header=BB365_344 Depth=1
	s_or_b64 exec, exec, s[26:27]
.LBB365_620:                            ;   in Loop: Header=BB365_344 Depth=1
	s_or_b64 exec, exec, s[24:25]
	v_mul_f32_e32 v6, v33, v19
	v_and_b32_e32 v18, 0x7f800000, v6
	v_cmp_ne_u32_e64 s[6:7], s9, v18
                                        ; implicit-def: $vgpr46
	s_and_saveexec_b64 s[24:25], s[6:7]
	s_xor_b64 s[6:7], exec, s[24:25]
; %bb.621:                              ;   in Loop: Header=BB365_344 Depth=1
	v_bfe_u32 v18, v6, 16, 1
	v_add3_u32 v46, v6, v18, s15
                                        ; implicit-def: $vgpr6
; %bb.622:                              ;   in Loop: Header=BB365_344 Depth=1
	s_andn2_saveexec_b64 s[24:25], s[6:7]
; %bb.623:                              ;   in Loop: Header=BB365_344 Depth=1
	v_or_b32_e32 v18, 0x10000, v6
	v_cmp_eq_u32_sdwa s[6:7], v6, v21 src0_sel:WORD_0 src1_sel:DWORD
	v_cndmask_b32_e64 v46, v18, v6, s[6:7]
; %bb.624:                              ;   in Loop: Header=BB365_344 Depth=1
	s_or_b64 exec, exec, s[24:25]
	v_lshrrev_b32_e32 v6, 16, v2
	v_cmp_ne_u16_sdwa s[6:7], v6, v21 src0_sel:BYTE_0 src1_sel:DWORD
	v_mov_b32_e32 v19, 0
	s_and_saveexec_b64 s[24:25], s[6:7]
	s_cbranch_execz .LBB365_630
; %bb.625:                              ;   in Loop: Header=BB365_344 Depth=1
	v_cmp_ne_u16_sdwa s[6:7], v6, s19 src0_sel:BYTE_0 src1_sel:DWORD
	v_bfrev_b32_e32 v19, 1
	s_and_saveexec_b64 s[26:27], s[6:7]
	s_cbranch_execz .LBB365_629
; %bb.626:                              ;   in Loop: Header=BB365_344 Depth=1
	v_bfe_u32 v20, v2, 16, 7
	v_cmp_ne_u32_e64 s[6:7], s34, v20
	v_mov_b32_e32 v19, 0x7f800001
	s_and_saveexec_b64 s[28:29], s[6:7]
	s_cbranch_execz .LBB365_628
; %bb.627:                              ;   in Loop: Header=BB365_344 Depth=1
	v_and_b32_e32 v18, 7, v6
	v_ffbh_u32_e32 v23, v18
	v_min_u32_e32 v23, 32, v23
	v_subrev_u32_e32 v28, 28, v23
	v_lshlrev_b64 v[56:57], v28, v[6:7]
	v_lshrrev_b32_e32 v19, 3, v20
	v_sub_u32_e32 v23, 29, v23
	v_and_b32_e32 v28, 7, v56
	v_cmp_gt_u32_e64 s[6:7], 8, v20
	v_cndmask_b32_e64 v19, v19, v23, s[6:7]
	v_cndmask_b32_e64 v18, v18, v28, s[6:7]
	v_lshlrev_b32_e32 v6, 24, v6
	v_lshlrev_b32_e32 v18, 20, v18
	v_and_b32_e32 v6, 0x80000000, v6
	v_lshl_add_u32 v19, v19, 23, v36
	v_or3_b32 v19, v6, v19, v18
.LBB365_628:                            ;   in Loop: Header=BB365_344 Depth=1
	s_or_b64 exec, exec, s[28:29]
.LBB365_629:                            ;   in Loop: Header=BB365_344 Depth=1
	s_or_b64 exec, exec, s[26:27]
.LBB365_630:                            ;   in Loop: Header=BB365_344 Depth=1
	s_or_b64 exec, exec, s[24:25]
	v_mul_f32_e32 v6, v33, v19
	v_and_b32_e32 v18, 0x7f800000, v6
	v_cmp_ne_u32_e64 s[6:7], s9, v18
                                        ; implicit-def: $vgpr47
	s_and_saveexec_b64 s[24:25], s[6:7]
	s_xor_b64 s[6:7], exec, s[24:25]
; %bb.631:                              ;   in Loop: Header=BB365_344 Depth=1
	v_bfe_u32 v18, v6, 16, 1
	v_add3_u32 v47, v6, v18, s15
                                        ; implicit-def: $vgpr6
; %bb.632:                              ;   in Loop: Header=BB365_344 Depth=1
	s_andn2_saveexec_b64 s[24:25], s[6:7]
; %bb.633:                              ;   in Loop: Header=BB365_344 Depth=1
	v_or_b32_e32 v18, 0x10000, v6
	v_cmp_eq_u32_sdwa s[6:7], v6, v21 src0_sel:WORD_0 src1_sel:DWORD
	v_cndmask_b32_e64 v47, v18, v6, s[6:7]
; %bb.634:                              ;   in Loop: Header=BB365_344 Depth=1
	s_or_b64 exec, exec, s[24:25]
	v_cmp_lt_u32_e64 s[6:7], s13, v2
	v_mov_b32_e32 v19, 0
	s_and_saveexec_b64 s[24:25], s[6:7]
	s_cbranch_execz .LBB365_640
; %bb.635:                              ;   in Loop: Header=BB365_344 Depth=1
	v_lshrrev_b32_e32 v6, 24, v2
	v_cmp_ne_u32_e64 s[6:7], s19, v6
	v_bfrev_b32_e32 v19, 1
	s_and_saveexec_b64 s[26:27], s[6:7]
	s_cbranch_execz .LBB365_639
; %bb.636:                              ;   in Loop: Header=BB365_344 Depth=1
	v_bfe_u32 v20, v2, 24, 7
	v_cmp_ne_u32_e64 s[6:7], s34, v20
	v_mov_b32_e32 v19, 0x7f800001
	s_and_saveexec_b64 s[28:29], s[6:7]
	s_cbranch_execz .LBB365_638
; %bb.637:                              ;   in Loop: Header=BB365_344 Depth=1
	v_and_b32_e32 v18, 7, v6
	v_ffbh_u32_e32 v23, v18
	v_min_u32_e32 v23, 32, v23
	v_subrev_u32_e32 v28, 28, v23
	v_lshlrev_b64 v[56:57], v28, v[6:7]
	v_lshrrev_b32_e32 v19, 3, v20
	v_sub_u32_e32 v23, 29, v23
	v_and_b32_e32 v28, 7, v56
	v_cmp_gt_u32_e64 s[6:7], 8, v20
	v_cndmask_b32_e64 v19, v19, v23, s[6:7]
	v_cndmask_b32_e64 v18, v18, v28, s[6:7]
	v_lshlrev_b32_e32 v6, 24, v6
	v_lshlrev_b32_e32 v18, 20, v18
	v_and_b32_e32 v6, 0x80000000, v6
	v_lshl_add_u32 v19, v19, 23, v36
	v_or3_b32 v19, v6, v19, v18
.LBB365_638:                            ;   in Loop: Header=BB365_344 Depth=1
	s_or_b64 exec, exec, s[28:29]
.LBB365_639:                            ;   in Loop: Header=BB365_344 Depth=1
	s_or_b64 exec, exec, s[26:27]
.LBB365_640:                            ;   in Loop: Header=BB365_344 Depth=1
	s_or_b64 exec, exec, s[24:25]
	v_mul_f32_e32 v6, v33, v19
	v_and_b32_e32 v18, 0x7f800000, v6
	v_cmp_ne_u32_e64 s[6:7], s9, v18
                                        ; implicit-def: $vgpr56
	s_and_saveexec_b64 s[24:25], s[6:7]
	s_xor_b64 s[6:7], exec, s[24:25]
; %bb.641:                              ;   in Loop: Header=BB365_344 Depth=1
	v_bfe_u32 v18, v6, 16, 1
	v_add3_u32 v56, v6, v18, s15
                                        ; implicit-def: $vgpr6
; %bb.642:                              ;   in Loop: Header=BB365_344 Depth=1
	s_andn2_saveexec_b64 s[24:25], s[6:7]
; %bb.643:                              ;   in Loop: Header=BB365_344 Depth=1
	v_or_b32_e32 v18, 0x10000, v6
	v_cmp_eq_u32_sdwa s[6:7], v6, v21 src0_sel:WORD_0 src1_sel:DWORD
	v_cndmask_b32_e64 v56, v18, v6, s[6:7]
; %bb.644:                              ;   in Loop: Header=BB365_344 Depth=1
	s_or_b64 exec, exec, s[24:25]
	v_mov_b32_e32 v20, v3
	v_cmp_ne_u16_sdwa s[6:7], v3, v21 src0_sel:BYTE_0 src1_sel:DWORD
	v_mov_b32_e32 v6, 0
	s_and_saveexec_b64 s[24:25], s[6:7]
	s_cbranch_execz .LBB365_650
; %bb.645:                              ;   in Loop: Header=BB365_344 Depth=1
	v_cmp_ne_u16_sdwa s[6:7], v3, s19 src0_sel:BYTE_0 src1_sel:DWORD
	v_bfrev_b32_e32 v6, 1
	s_and_saveexec_b64 s[26:27], s[6:7]
	s_cbranch_execz .LBB365_649
; %bb.646:                              ;   in Loop: Header=BB365_344 Depth=1
	v_and_b32_e32 v19, 0x7f, v3
	v_cmp_ne_u32_e64 s[6:7], s34, v19
	v_mov_b32_e32 v6, 0x7f800001
	s_and_saveexec_b64 s[28:29], s[6:7]
	s_cbranch_execz .LBB365_648
; %bb.647:                              ;   in Loop: Header=BB365_344 Depth=1
	v_and_b32_e32 v6, 7, v3
	v_ffbh_u32_e32 v6, v6
	v_min_u32_e32 v6, 32, v6
	v_lshrrev_b32_e32 v18, 3, v19
	v_subrev_u32_e32 v23, 28, v6
	v_sub_u32_e32 v6, 29, v6
	v_cmp_gt_u32_e64 s[6:7], 8, v19
	v_cndmask_b32_e64 v6, v18, v6, s[6:7]
	v_cndmask_b32_e64 v18, 0, v23, s[6:7]
	v_lshlrev_b64 v[58:59], v18, v[20:21]
	v_lshlrev_b32_e32 v18, 20, v58
	v_lshlrev_b32_e32 v19, 24, v20
	v_and_b32_e32 v18, 0x700000, v18
	v_and_b32_e32 v19, 0x80000000, v19
	v_lshl_add_u32 v6, v6, 23, v36
	v_or3_b32 v6, v19, v6, v18
.LBB365_648:                            ;   in Loop: Header=BB365_344 Depth=1
	s_or_b64 exec, exec, s[28:29]
.LBB365_649:                            ;   in Loop: Header=BB365_344 Depth=1
	s_or_b64 exec, exec, s[26:27]
.LBB365_650:                            ;   in Loop: Header=BB365_344 Depth=1
	s_or_b64 exec, exec, s[24:25]
	v_mul_f32_e32 v6, v33, v6
	v_and_b32_e32 v18, 0x7f800000, v6
	v_cmp_ne_u32_e64 s[6:7], s9, v18
                                        ; implicit-def: $vgpr23
	s_and_saveexec_b64 s[24:25], s[6:7]
	s_xor_b64 s[6:7], exec, s[24:25]
; %bb.651:                              ;   in Loop: Header=BB365_344 Depth=1
	v_bfe_u32 v18, v6, 16, 1
	v_add3_u32 v23, v6, v18, s15
                                        ; implicit-def: $vgpr6
; %bb.652:                              ;   in Loop: Header=BB365_344 Depth=1
	s_andn2_saveexec_b64 s[24:25], s[6:7]
; %bb.653:                              ;   in Loop: Header=BB365_344 Depth=1
	v_or_b32_e32 v18, 0x10000, v6
	v_cmp_eq_u32_sdwa s[6:7], v6, v21 src0_sel:WORD_0 src1_sel:DWORD
	v_cndmask_b32_e64 v23, v18, v6, s[6:7]
; %bb.654:                              ;   in Loop: Header=BB365_344 Depth=1
	s_or_b64 exec, exec, s[24:25]
	v_lshrrev_b16_e32 v6, 8, v20
	v_cmp_ne_u16_e64 s[6:7], 0, v6
	v_mov_b32_e32 v19, 0
	s_and_saveexec_b64 s[24:25], s[6:7]
	s_cbranch_execz .LBB365_660
; %bb.655:                              ;   in Loop: Header=BB365_344 Depth=1
	v_cmp_ne_u16_e64 s[6:7], s19, v6
	v_bfrev_b32_e32 v19, 1
	s_and_saveexec_b64 s[26:27], s[6:7]
	s_cbranch_execz .LBB365_659
; %bb.656:                              ;   in Loop: Header=BB365_344 Depth=1
	v_and_b32_e32 v30, 0x7f, v6
	v_cmp_ne_u32_e64 s[6:7], s34, v30
	v_mov_b32_e32 v19, 0x7f800001
	s_and_saveexec_b64 s[28:29], s[6:7]
	s_cbranch_execz .LBB365_658
; %bb.657:                              ;   in Loop: Header=BB365_344 Depth=1
	v_and_b32_e32 v18, 7, v6
	v_ffbh_u32_e32 v28, v18
	v_min_u32_e32 v28, 32, v28
	v_subrev_u32_e32 v57, 28, v28
	v_lshlrev_b64 v[58:59], v57, v[6:7]
	v_lshrrev_b32_e32 v19, 3, v30
	v_sub_u32_e32 v6, 29, v28
	v_and_b32_e32 v28, 7, v58
	v_cmp_gt_u32_e64 s[6:7], 8, v30
	v_cndmask_b32_e64 v6, v19, v6, s[6:7]
	v_cndmask_b32_e64 v18, v18, v28, s[6:7]
	v_lshlrev_b32_e32 v19, 16, v20
	v_lshlrev_b32_e32 v18, 20, v18
	v_and_b32_e32 v19, 0x80000000, v19
	v_lshl_add_u32 v6, v6, 23, v36
	v_or3_b32 v19, v19, v6, v18
.LBB365_658:                            ;   in Loop: Header=BB365_344 Depth=1
	s_or_b64 exec, exec, s[28:29]
.LBB365_659:                            ;   in Loop: Header=BB365_344 Depth=1
	s_or_b64 exec, exec, s[26:27]
.LBB365_660:                            ;   in Loop: Header=BB365_344 Depth=1
	s_or_b64 exec, exec, s[24:25]
	v_mul_f32_e32 v6, v33, v19
	v_and_b32_e32 v18, 0x7f800000, v6
	v_cmp_ne_u32_e64 s[6:7], s9, v18
                                        ; implicit-def: $vgpr20
	s_and_saveexec_b64 s[24:25], s[6:7]
	s_xor_b64 s[6:7], exec, s[24:25]
; %bb.661:                              ;   in Loop: Header=BB365_344 Depth=1
	v_bfe_u32 v18, v6, 16, 1
	v_add3_u32 v20, v6, v18, s15
                                        ; implicit-def: $vgpr6
; %bb.662:                              ;   in Loop: Header=BB365_344 Depth=1
	s_andn2_saveexec_b64 s[24:25], s[6:7]
; %bb.663:                              ;   in Loop: Header=BB365_344 Depth=1
	v_or_b32_e32 v18, 0x10000, v6
	v_cmp_eq_u32_sdwa s[6:7], v6, v21 src0_sel:WORD_0 src1_sel:DWORD
	v_cndmask_b32_e64 v20, v18, v6, s[6:7]
; %bb.664:                              ;   in Loop: Header=BB365_344 Depth=1
	s_or_b64 exec, exec, s[24:25]
	v_lshrrev_b32_e32 v6, 16, v3
	v_cmp_ne_u16_sdwa s[6:7], v6, v21 src0_sel:BYTE_0 src1_sel:DWORD
	v_mov_b32_e32 v19, 0
	s_and_saveexec_b64 s[24:25], s[6:7]
	s_cbranch_execz .LBB365_670
; %bb.665:                              ;   in Loop: Header=BB365_344 Depth=1
	v_cmp_ne_u16_sdwa s[6:7], v6, s19 src0_sel:BYTE_0 src1_sel:DWORD
	v_bfrev_b32_e32 v19, 1
	s_and_saveexec_b64 s[26:27], s[6:7]
	s_cbranch_execz .LBB365_669
; %bb.666:                              ;   in Loop: Header=BB365_344 Depth=1
	v_bfe_u32 v30, v3, 16, 7
	v_cmp_ne_u32_e64 s[6:7], s34, v30
	v_mov_b32_e32 v19, 0x7f800001
	s_and_saveexec_b64 s[28:29], s[6:7]
	s_cbranch_execz .LBB365_668
; %bb.667:                              ;   in Loop: Header=BB365_344 Depth=1
	v_and_b32_e32 v18, 7, v6
	v_ffbh_u32_e32 v28, v18
	v_min_u32_e32 v28, 32, v28
	v_subrev_u32_e32 v57, 28, v28
	v_lshlrev_b64 v[58:59], v57, v[6:7]
	v_lshrrev_b32_e32 v19, 3, v30
	v_sub_u32_e32 v28, 29, v28
	v_and_b32_e32 v57, 7, v58
	v_cmp_gt_u32_e64 s[6:7], 8, v30
	v_cndmask_b32_e64 v19, v19, v28, s[6:7]
	v_cndmask_b32_e64 v18, v18, v57, s[6:7]
	v_lshlrev_b32_e32 v6, 24, v6
	v_lshlrev_b32_e32 v18, 20, v18
	v_and_b32_e32 v6, 0x80000000, v6
	v_lshl_add_u32 v19, v19, 23, v36
	v_or3_b32 v19, v6, v19, v18
.LBB365_668:                            ;   in Loop: Header=BB365_344 Depth=1
	s_or_b64 exec, exec, s[28:29]
.LBB365_669:                            ;   in Loop: Header=BB365_344 Depth=1
	s_or_b64 exec, exec, s[26:27]
.LBB365_670:                            ;   in Loop: Header=BB365_344 Depth=1
	s_or_b64 exec, exec, s[24:25]
	v_mul_f32_e32 v19, v33, v19
	v_and_b32_e32 v6, 0x7f800000, v19
	v_cmp_ne_u32_e64 s[6:7], s9, v6
                                        ; implicit-def: $vgpr6
	s_and_saveexec_b64 s[24:25], s[6:7]
	s_xor_b64 s[6:7], exec, s[24:25]
; %bb.671:                              ;   in Loop: Header=BB365_344 Depth=1
	v_bfe_u32 v6, v19, 16, 1
	v_add3_u32 v6, v19, v6, s15
                                        ; implicit-def: $vgpr19
; %bb.672:                              ;   in Loop: Header=BB365_344 Depth=1
	s_andn2_saveexec_b64 s[24:25], s[6:7]
; %bb.673:                              ;   in Loop: Header=BB365_344 Depth=1
	v_or_b32_e32 v6, 0x10000, v19
	v_cmp_eq_u32_sdwa s[6:7], v19, v21 src0_sel:WORD_0 src1_sel:DWORD
	v_cndmask_b32_e64 v6, v6, v19, s[6:7]
; %bb.674:                              ;   in Loop: Header=BB365_344 Depth=1
	s_or_b64 exec, exec, s[24:25]
	v_cmp_lt_u64_e64 s[6:7], s[12:13], v[2:3]
	v_mov_b32_e32 v19, 0
	s_and_saveexec_b64 s[24:25], s[6:7]
	s_cbranch_execz .LBB365_680
; %bb.675:                              ;   in Loop: Header=BB365_344 Depth=1
	v_lshrrev_b32_e32 v2, 24, v3
	v_cmp_ne_u32_e64 s[6:7], s19, v2
	v_bfrev_b32_e32 v19, 1
	s_and_saveexec_b64 s[26:27], s[6:7]
	s_cbranch_execz .LBB365_679
; %bb.676:                              ;   in Loop: Header=BB365_344 Depth=1
	v_bfe_u32 v3, v3, 24, 7
	v_cmp_ne_u32_e64 s[6:7], s34, v3
	v_mov_b32_e32 v19, 0x7f800001
	s_and_saveexec_b64 s[28:29], s[6:7]
	s_cbranch_execz .LBB365_678
; %bb.677:                              ;   in Loop: Header=BB365_344 Depth=1
	v_and_b32_e32 v18, 7, v2
	v_ffbh_u32_e32 v28, v18
	v_min_u32_e32 v28, 32, v28
	v_subrev_u32_e32 v30, 28, v28
	v_lshlrev_b64 v[58:59], v30, v[2:3]
	v_lshrrev_b32_e32 v19, 3, v3
	v_sub_u32_e32 v28, 29, v28
	v_and_b32_e32 v30, 7, v58
	v_cmp_gt_u32_e64 s[6:7], 8, v3
	v_cndmask_b32_e64 v3, v19, v28, s[6:7]
	v_cndmask_b32_e64 v18, v18, v30, s[6:7]
	v_lshlrev_b32_e32 v2, 24, v2
	v_lshlrev_b32_e32 v18, 20, v18
	v_and_b32_e32 v2, 0x80000000, v2
	v_lshl_add_u32 v3, v3, 23, v36
	v_or3_b32 v19, v2, v3, v18
.LBB365_678:                            ;   in Loop: Header=BB365_344 Depth=1
	s_or_b64 exec, exec, s[28:29]
.LBB365_679:                            ;   in Loop: Header=BB365_344 Depth=1
	s_or_b64 exec, exec, s[26:27]
.LBB365_680:                            ;   in Loop: Header=BB365_344 Depth=1
	s_or_b64 exec, exec, s[24:25]
	v_mul_f32_e32 v3, v33, v19
	v_and_b32_e32 v2, 0x7f800000, v3
	v_cmp_ne_u32_e64 s[6:7], s9, v2
                                        ; implicit-def: $vgpr2
	s_and_saveexec_b64 s[24:25], s[6:7]
	s_xor_b64 s[6:7], exec, s[24:25]
; %bb.681:                              ;   in Loop: Header=BB365_344 Depth=1
	v_bfe_u32 v2, v3, 16, 1
	v_add3_u32 v2, v3, v2, s15
                                        ; implicit-def: $vgpr3
; %bb.682:                              ;   in Loop: Header=BB365_344 Depth=1
	s_andn2_saveexec_b64 s[24:25], s[6:7]
; %bb.683:                              ;   in Loop: Header=BB365_344 Depth=1
	v_or_b32_e32 v2, 0x10000, v3
	v_cmp_eq_u32_sdwa s[6:7], v3, v21 src0_sel:WORD_0 src1_sel:DWORD
	v_cndmask_b32_e64 v2, v2, v3, s[6:7]
; %bb.684:                              ;   in Loop: Header=BB365_344 Depth=1
	s_or_b64 exec, exec, s[24:25]
	v_lshrrev_b32_e32 v30, 16, v20
	v_lshrrev_b32_e32 v23, 16, v23
	;; [unrolled: 1-line block ×8, first 2 shown]
	s_and_saveexec_b64 s[24:25], s[4:5]
	s_cbranch_execz .LBB365_686
; %bb.685:                              ;   in Loop: Header=BB365_344 Depth=1
	v_cmp_lt_i32_e64 s[6:7], v52, v32
	v_add_u32_e32 v6, -6, v17
	v_cndmask_b32_e64 v3, 0, v3, s[6:7]
	v_cmp_lt_i32_e64 s[6:7], v6, v32
	v_add_u32_e32 v6, -5, v17
	v_cndmask_b32_e64 v46, 0, v46, s[6:7]
	;; [unrolled: 3-line block ×6, first 2 shown]
	v_cmp_lt_i32_e64 s[6:7], v6, v32
	v_cndmask_b32_e64 v20, 0, v20, s[6:7]
	v_cmp_lt_i32_e64 s[6:7], v17, v32
	v_cndmask_b32_e64 v2, 0, v2, s[6:7]
.LBB365_686:                            ;   in Loop: Header=BB365_344 Depth=1
	s_or_b64 exec, exec, s[24:25]
	v_lshlrev_b32_e32 v3, 16, v3
	v_mul_f32_e32 v6, v53, v3
	v_and_b32_e32 v3, 0x7f800000, v6
	v_cmp_ne_u32_e64 s[6:7], s9, v3
                                        ; implicit-def: $vgpr3
	s_and_saveexec_b64 s[24:25], s[6:7]
	s_xor_b64 s[6:7], exec, s[24:25]
; %bb.687:                              ;   in Loop: Header=BB365_344 Depth=1
	v_bfe_u32 v3, v6, 16, 1
	v_add3_u32 v3, v6, v3, s15
                                        ; implicit-def: $vgpr6
; %bb.688:                              ;   in Loop: Header=BB365_344 Depth=1
	s_andn2_saveexec_b64 s[24:25], s[6:7]
; %bb.689:                              ;   in Loop: Header=BB365_344 Depth=1
	v_or_b32_e32 v3, 0x10000, v6
	v_cmp_eq_u32_sdwa s[6:7], v6, v21 src0_sel:WORD_0 src1_sel:DWORD
	v_cndmask_b32_e64 v3, v3, v6, s[6:7]
; %bb.690:                              ;   in Loop: Header=BB365_344 Depth=1
	s_or_b64 exec, exec, s[24:25]
	v_lshlrev_b32_e32 v6, 16, v46
	v_mul_f32_e32 v45, v54, v6
	v_and_b32_e32 v6, 0x7f800000, v45
	v_cmp_ne_u32_e64 s[6:7], s9, v6
                                        ; implicit-def: $vgpr6
	s_and_saveexec_b64 s[24:25], s[6:7]
	s_xor_b64 s[6:7], exec, s[24:25]
; %bb.691:                              ;   in Loop: Header=BB365_344 Depth=1
	v_bfe_u32 v6, v45, 16, 1
	v_add3_u32 v6, v45, v6, s15
                                        ; implicit-def: $vgpr45
; %bb.692:                              ;   in Loop: Header=BB365_344 Depth=1
	s_andn2_saveexec_b64 s[24:25], s[6:7]
; %bb.693:                              ;   in Loop: Header=BB365_344 Depth=1
	v_or_b32_e32 v6, 0x10000, v45
	v_cmp_eq_u32_sdwa s[6:7], v45, v21 src0_sel:WORD_0 src1_sel:DWORD
	v_cndmask_b32_e64 v6, v6, v45, s[6:7]
; %bb.694:                              ;   in Loop: Header=BB365_344 Depth=1
	s_or_b64 exec, exec, s[24:25]
	v_lshlrev_b32_e32 v18, 16, v19
	v_mul_f32_e32 v19, v55, v18
	v_and_b32_e32 v18, 0x7f800000, v19
	v_cmp_ne_u32_e64 s[6:7], s9, v18
                                        ; implicit-def: $vgpr45
	s_and_saveexec_b64 s[24:25], s[6:7]
	s_xor_b64 s[6:7], exec, s[24:25]
; %bb.695:                              ;   in Loop: Header=BB365_344 Depth=1
	v_bfe_u32 v18, v19, 16, 1
	v_add3_u32 v45, v19, v18, s15
                                        ; implicit-def: $vgpr19
; %bb.696:                              ;   in Loop: Header=BB365_344 Depth=1
	s_andn2_saveexec_b64 s[24:25], s[6:7]
; %bb.697:                              ;   in Loop: Header=BB365_344 Depth=1
	v_or_b32_e32 v18, 0x10000, v19
	v_cmp_eq_u32_sdwa s[6:7], v19, v21 src0_sel:WORD_0 src1_sel:DWORD
	v_cndmask_b32_e64 v45, v18, v19, s[6:7]
; %bb.698:                              ;   in Loop: Header=BB365_344 Depth=1
	s_or_b64 exec, exec, s[24:25]
	v_lshlrev_b32_e32 v18, 16, v56
	v_mul_f32_e32 v19, v40, v18
	v_and_b32_e32 v18, 0x7f800000, v19
	v_cmp_ne_u32_e64 s[6:7], s9, v18
                                        ; implicit-def: $vgpr46
	s_and_saveexec_b64 s[24:25], s[6:7]
	s_xor_b64 s[6:7], exec, s[24:25]
; %bb.699:                              ;   in Loop: Header=BB365_344 Depth=1
	v_bfe_u32 v18, v19, 16, 1
	v_add3_u32 v46, v19, v18, s15
                                        ; implicit-def: $vgpr19
; %bb.700:                              ;   in Loop: Header=BB365_344 Depth=1
	s_andn2_saveexec_b64 s[24:25], s[6:7]
; %bb.701:                              ;   in Loop: Header=BB365_344 Depth=1
	v_or_b32_e32 v18, 0x10000, v19
	v_cmp_eq_u32_sdwa s[6:7], v19, v21 src0_sel:WORD_0 src1_sel:DWORD
	v_cndmask_b32_e64 v46, v18, v19, s[6:7]
; %bb.702:                              ;   in Loop: Header=BB365_344 Depth=1
	s_or_b64 exec, exec, s[24:25]
	v_lshlrev_b32_e32 v18, 16, v23
	v_mul_f32_e32 v19, v41, v18
	v_and_b32_e32 v18, 0x7f800000, v19
	v_cmp_ne_u32_e64 s[6:7], s9, v18
                                        ; implicit-def: $vgpr47
	s_and_saveexec_b64 s[24:25], s[6:7]
	s_xor_b64 s[6:7], exec, s[24:25]
; %bb.703:                              ;   in Loop: Header=BB365_344 Depth=1
	v_bfe_u32 v18, v19, 16, 1
	v_add3_u32 v47, v19, v18, s15
                                        ; implicit-def: $vgpr19
; %bb.704:                              ;   in Loop: Header=BB365_344 Depth=1
	s_andn2_saveexec_b64 s[24:25], s[6:7]
; %bb.705:                              ;   in Loop: Header=BB365_344 Depth=1
	v_or_b32_e32 v18, 0x10000, v19
	v_cmp_eq_u32_sdwa s[6:7], v19, v21 src0_sel:WORD_0 src1_sel:DWORD
	v_cndmask_b32_e64 v47, v18, v19, s[6:7]
; %bb.706:                              ;   in Loop: Header=BB365_344 Depth=1
	s_or_b64 exec, exec, s[24:25]
	v_lshlrev_b32_e32 v18, 16, v30
	v_mul_f32_e32 v19, v42, v18
	v_and_b32_e32 v18, 0x7f800000, v19
	v_cmp_ne_u32_e64 s[6:7], s9, v18
                                        ; implicit-def: $vgpr56
	s_and_saveexec_b64 s[24:25], s[6:7]
	s_xor_b64 s[6:7], exec, s[24:25]
; %bb.707:                              ;   in Loop: Header=BB365_344 Depth=1
	v_bfe_u32 v18, v19, 16, 1
	v_add3_u32 v56, v19, v18, s15
                                        ; implicit-def: $vgpr19
; %bb.708:                              ;   in Loop: Header=BB365_344 Depth=1
	s_andn2_saveexec_b64 s[24:25], s[6:7]
; %bb.709:                              ;   in Loop: Header=BB365_344 Depth=1
	v_or_b32_e32 v18, 0x10000, v19
	v_cmp_eq_u32_sdwa s[6:7], v19, v21 src0_sel:WORD_0 src1_sel:DWORD
	v_cndmask_b32_e64 v56, v18, v19, s[6:7]
; %bb.710:                              ;   in Loop: Header=BB365_344 Depth=1
	s_or_b64 exec, exec, s[24:25]
	v_lshlrev_b32_e32 v18, 16, v20
	v_mul_f32_e32 v19, v43, v18
	v_and_b32_e32 v18, 0x7f800000, v19
	v_cmp_ne_u32_e64 s[6:7], s9, v18
                                        ; implicit-def: $vgpr57
	s_and_saveexec_b64 s[24:25], s[6:7]
	s_xor_b64 s[6:7], exec, s[24:25]
; %bb.711:                              ;   in Loop: Header=BB365_344 Depth=1
	v_bfe_u32 v18, v19, 16, 1
	v_add3_u32 v57, v19, v18, s15
                                        ; implicit-def: $vgpr19
; %bb.712:                              ;   in Loop: Header=BB365_344 Depth=1
	s_andn2_saveexec_b64 s[24:25], s[6:7]
; %bb.713:                              ;   in Loop: Header=BB365_344 Depth=1
	v_or_b32_e32 v18, 0x10000, v19
	v_cmp_eq_u32_sdwa s[6:7], v19, v21 src0_sel:WORD_0 src1_sel:DWORD
	v_cndmask_b32_e64 v57, v18, v19, s[6:7]
; %bb.714:                              ;   in Loop: Header=BB365_344 Depth=1
	s_or_b64 exec, exec, s[24:25]
	v_lshlrev_b32_e32 v2, 16, v2
	v_mul_f32_e32 v2, v44, v2
	v_and_b32_e32 v18, 0x7f800000, v2
	v_cmp_ne_u32_e64 s[6:7], s9, v18
                                        ; implicit-def: $vgpr58
	s_and_saveexec_b64 s[24:25], s[6:7]
	s_xor_b64 s[6:7], exec, s[24:25]
	s_cbranch_execnz .LBB365_717
; %bb.715:                              ;   in Loop: Header=BB365_344 Depth=1
	s_andn2_saveexec_b64 s[24:25], s[6:7]
	s_cbranch_execnz .LBB365_718
.LBB365_716:                            ;   in Loop: Header=BB365_344 Depth=1
	s_or_b64 exec, exec, s[24:25]
	s_and_saveexec_b64 s[24:25], vcc
	s_cbranch_execz .LBB365_343
	s_branch .LBB365_719
.LBB365_717:                            ;   in Loop: Header=BB365_344 Depth=1
	v_bfe_u32 v18, v2, 16, 1
	v_add3_u32 v58, v2, v18, s15
                                        ; implicit-def: $vgpr2
	s_andn2_saveexec_b64 s[24:25], s[6:7]
	s_cbranch_execz .LBB365_716
.LBB365_718:                            ;   in Loop: Header=BB365_344 Depth=1
	v_or_b32_e32 v18, 0x10000, v2
	v_cmp_eq_u32_sdwa s[6:7], v2, v21 src0_sel:WORD_0 src1_sel:DWORD
	v_cndmask_b32_e64 v58, v18, v2, s[6:7]
	s_or_b64 exec, exec, s[24:25]
	s_and_saveexec_b64 s[24:25], vcc
	s_cbranch_execz .LBB365_343
.LBB365_719:                            ;   in Loop: Header=BB365_344 Depth=1
	v_accvgpr_read_b32 v2, a14
	v_accvgpr_write_b32 a10, v10
	v_add_co_u32_e64 v0, s[6:7], v0, v2
	v_accvgpr_write_b32 a11, v11
	v_addc_co_u32_e64 v1, s[6:7], 0, v1, s[6:7]
	v_accvgpr_read_b32 v11, a3
	flat_load_dwordx2 v[0:1], v[0:1]
	v_accvgpr_read_b32 v10, a2
	flat_load_dword v59, v[10:11]
	v_mov_b32_e32 v2, 0
	s_waitcnt vmcnt(0) lgkmcnt(0)
	v_cmp_ne_u16_sdwa s[6:7], v0, v21 src0_sel:BYTE_0 src1_sel:DWORD
	s_and_saveexec_b64 s[26:27], s[6:7]
	s_cbranch_execz .LBB365_725
; %bb.720:                              ;   in Loop: Header=BB365_344 Depth=1
	v_cmp_ne_u16_sdwa s[6:7], v0, s19 src0_sel:BYTE_0 src1_sel:DWORD
	v_bfrev_b32_e32 v2, 1
	s_and_saveexec_b64 s[28:29], s[6:7]
	s_cbranch_execz .LBB365_724
; %bb.721:                              ;   in Loop: Header=BB365_344 Depth=1
	v_and_b32_e32 v19, 0x7f, v0
	v_cmp_ne_u32_e64 s[6:7], s34, v19
	v_mov_b32_e32 v2, 0x7f800001
	s_and_saveexec_b64 s[30:31], s[6:7]
	s_cbranch_execz .LBB365_723
; %bb.722:                              ;   in Loop: Header=BB365_344 Depth=1
	v_and_b32_e32 v2, 7, v0
	v_ffbh_u32_e32 v2, v2
	v_min_u32_e32 v2, 32, v2
	v_lshrrev_b32_e32 v18, 3, v19
	v_subrev_u32_e32 v20, 28, v2
	v_sub_u32_e32 v2, 29, v2
	v_cmp_gt_u32_e64 s[6:7], 8, v19
	v_cndmask_b32_e64 v2, v18, v2, s[6:7]
	v_cndmask_b32_e64 v18, 0, v20, s[6:7]
	v_lshlrev_b64 v[60:61], v18, v[0:1]
	v_lshlrev_b32_e32 v18, 20, v60
	v_lshlrev_b32_e32 v19, 24, v0
	v_and_b32_e32 v18, 0x700000, v18
	v_and_b32_e32 v19, 0x80000000, v19
	v_lshl_add_u32 v2, v2, 23, v36
	v_or3_b32 v2, v19, v2, v18
.LBB365_723:                            ;   in Loop: Header=BB365_344 Depth=1
	s_or_b64 exec, exec, s[30:31]
.LBB365_724:                            ;   in Loop: Header=BB365_344 Depth=1
	s_or_b64 exec, exec, s[28:29]
.LBB365_725:                            ;   in Loop: Header=BB365_344 Depth=1
	s_or_b64 exec, exec, s[26:27]
	v_mul_f32_e32 v2, v59, v2
	v_and_b32_e32 v18, 0x7f800000, v2
	v_cmp_ne_u32_e64 s[6:7], s9, v18
                                        ; implicit-def: $vgpr60
	s_and_saveexec_b64 s[26:27], s[6:7]
	s_xor_b64 s[6:7], exec, s[26:27]
; %bb.726:                              ;   in Loop: Header=BB365_344 Depth=1
	v_bfe_u32 v18, v2, 16, 1
	v_add3_u32 v60, v2, v18, s15
                                        ; implicit-def: $vgpr2
; %bb.727:                              ;   in Loop: Header=BB365_344 Depth=1
	s_andn2_saveexec_b64 s[26:27], s[6:7]
; %bb.728:                              ;   in Loop: Header=BB365_344 Depth=1
	v_or_b32_e32 v18, 0x10000, v2
	v_cmp_eq_u32_sdwa s[6:7], v2, v21 src0_sel:WORD_0 src1_sel:DWORD
	v_cndmask_b32_e64 v60, v18, v2, s[6:7]
; %bb.729:                              ;   in Loop: Header=BB365_344 Depth=1
	s_or_b64 exec, exec, s[26:27]
	v_lshrrev_b16_e32 v2, 8, v0
	v_cmp_ne_u16_e64 s[6:7], 0, v2
	v_mov_b32_e32 v19, 0
	s_and_saveexec_b64 s[26:27], s[6:7]
	s_cbranch_execz .LBB365_735
; %bb.730:                              ;   in Loop: Header=BB365_344 Depth=1
	v_cmp_ne_u16_e64 s[6:7], s19, v2
	v_bfrev_b32_e32 v19, 1
	s_and_saveexec_b64 s[28:29], s[6:7]
	s_cbranch_execz .LBB365_734
; %bb.731:                              ;   in Loop: Header=BB365_344 Depth=1
	v_and_b32_e32 v20, 0x7f, v2
	v_cmp_ne_u32_e64 s[6:7], s34, v20
	v_mov_b32_e32 v19, 0x7f800001
	s_and_saveexec_b64 s[30:31], s[6:7]
	s_cbranch_execz .LBB365_733
; %bb.732:                              ;   in Loop: Header=BB365_344 Depth=1
	v_and_b32_e32 v23, 7, v2
	v_ffbh_u32_e32 v18, v23
	v_min_u32_e32 v30, 32, v18
	v_subrev_u32_e32 v18, 28, v30
	v_lshlrev_b64 v[18:19], v18, v[2:3]
	v_lshrrev_b32_e32 v28, 3, v20
	v_sub_u32_e32 v2, 29, v30
	v_and_b32_e32 v18, 7, v18
	v_cmp_gt_u32_e64 s[6:7], 8, v20
	v_cndmask_b32_e64 v2, v28, v2, s[6:7]
	v_cndmask_b32_e64 v18, v23, v18, s[6:7]
	v_lshlrev_b32_e32 v19, 16, v0
	v_lshlrev_b32_e32 v18, 20, v18
	v_and_b32_e32 v19, 0x80000000, v19
	v_lshl_add_u32 v2, v2, 23, v36
	v_or3_b32 v19, v19, v2, v18
.LBB365_733:                            ;   in Loop: Header=BB365_344 Depth=1
	s_or_b64 exec, exec, s[30:31]
.LBB365_734:                            ;   in Loop: Header=BB365_344 Depth=1
	s_or_b64 exec, exec, s[28:29]
.LBB365_735:                            ;   in Loop: Header=BB365_344 Depth=1
	s_or_b64 exec, exec, s[26:27]
	v_mul_f32_e32 v2, v59, v19
	v_and_b32_e32 v18, 0x7f800000, v2
	v_cmp_ne_u32_e64 s[6:7], s9, v18
                                        ; implicit-def: $vgpr61
	s_and_saveexec_b64 s[26:27], s[6:7]
	s_xor_b64 s[6:7], exec, s[26:27]
; %bb.736:                              ;   in Loop: Header=BB365_344 Depth=1
	v_bfe_u32 v18, v2, 16, 1
	v_add3_u32 v61, v2, v18, s15
                                        ; implicit-def: $vgpr2
; %bb.737:                              ;   in Loop: Header=BB365_344 Depth=1
	s_andn2_saveexec_b64 s[26:27], s[6:7]
; %bb.738:                              ;   in Loop: Header=BB365_344 Depth=1
	v_or_b32_e32 v18, 0x10000, v2
	v_cmp_eq_u32_sdwa s[6:7], v2, v21 src0_sel:WORD_0 src1_sel:DWORD
	v_cndmask_b32_e64 v61, v18, v2, s[6:7]
; %bb.739:                              ;   in Loop: Header=BB365_344 Depth=1
	s_or_b64 exec, exec, s[26:27]
	v_lshrrev_b32_e32 v2, 16, v0
	v_cmp_ne_u16_sdwa s[6:7], v2, v21 src0_sel:BYTE_0 src1_sel:DWORD
	v_mov_b32_e32 v19, 0
	s_and_saveexec_b64 s[26:27], s[6:7]
	s_cbranch_execz .LBB365_745
; %bb.740:                              ;   in Loop: Header=BB365_344 Depth=1
	v_cmp_ne_u16_sdwa s[6:7], v2, s19 src0_sel:BYTE_0 src1_sel:DWORD
	v_bfrev_b32_e32 v19, 1
	s_and_saveexec_b64 s[28:29], s[6:7]
	s_cbranch_execz .LBB365_744
; %bb.741:                              ;   in Loop: Header=BB365_344 Depth=1
	v_bfe_u32 v20, v0, 16, 7
	v_cmp_ne_u32_e64 s[6:7], s34, v20
	v_mov_b32_e32 v19, 0x7f800001
	s_and_saveexec_b64 s[30:31], s[6:7]
	s_cbranch_execz .LBB365_743
; %bb.742:                              ;   in Loop: Header=BB365_344 Depth=1
	v_and_b32_e32 v23, 7, v2
	v_ffbh_u32_e32 v18, v23
	v_min_u32_e32 v30, 32, v18
	v_subrev_u32_e32 v18, 28, v30
	v_lshlrev_b64 v[18:19], v18, v[2:3]
	v_lshrrev_b32_e32 v28, 3, v20
	v_sub_u32_e32 v19, 29, v30
	v_and_b32_e32 v18, 7, v18
	v_cmp_gt_u32_e64 s[6:7], 8, v20
	v_cndmask_b32_e64 v19, v28, v19, s[6:7]
	v_cndmask_b32_e64 v18, v23, v18, s[6:7]
	v_lshlrev_b32_e32 v2, 24, v2
	v_lshlrev_b32_e32 v18, 20, v18
	v_and_b32_e32 v2, 0x80000000, v2
	v_lshl_add_u32 v19, v19, 23, v36
	v_or3_b32 v19, v2, v19, v18
.LBB365_743:                            ;   in Loop: Header=BB365_344 Depth=1
	s_or_b64 exec, exec, s[30:31]
.LBB365_744:                            ;   in Loop: Header=BB365_344 Depth=1
	s_or_b64 exec, exec, s[28:29]
.LBB365_745:                            ;   in Loop: Header=BB365_344 Depth=1
	s_or_b64 exec, exec, s[26:27]
	v_mul_f32_e32 v2, v59, v19
	v_and_b32_e32 v18, 0x7f800000, v2
	v_cmp_ne_u32_e64 s[6:7], s9, v18
                                        ; implicit-def: $vgpr62
	s_and_saveexec_b64 s[26:27], s[6:7]
	s_xor_b64 s[6:7], exec, s[26:27]
; %bb.746:                              ;   in Loop: Header=BB365_344 Depth=1
	v_bfe_u32 v18, v2, 16, 1
	v_add3_u32 v62, v2, v18, s15
                                        ; implicit-def: $vgpr2
; %bb.747:                              ;   in Loop: Header=BB365_344 Depth=1
	s_andn2_saveexec_b64 s[26:27], s[6:7]
; %bb.748:                              ;   in Loop: Header=BB365_344 Depth=1
	v_or_b32_e32 v18, 0x10000, v2
	v_cmp_eq_u32_sdwa s[6:7], v2, v21 src0_sel:WORD_0 src1_sel:DWORD
	v_cndmask_b32_e64 v62, v18, v2, s[6:7]
; %bb.749:                              ;   in Loop: Header=BB365_344 Depth=1
	s_or_b64 exec, exec, s[26:27]
	v_cmp_lt_u32_e64 s[6:7], s13, v0
	v_mov_b32_e32 v19, 0
	s_and_saveexec_b64 s[26:27], s[6:7]
	s_cbranch_execz .LBB365_755
; %bb.750:                              ;   in Loop: Header=BB365_344 Depth=1
	v_lshrrev_b32_e32 v2, 24, v0
	v_cmp_ne_u32_e64 s[6:7], s19, v2
	v_bfrev_b32_e32 v19, 1
	s_and_saveexec_b64 s[28:29], s[6:7]
	s_cbranch_execz .LBB365_754
; %bb.751:                              ;   in Loop: Header=BB365_344 Depth=1
	v_bfe_u32 v20, v0, 24, 7
	v_cmp_ne_u32_e64 s[6:7], s34, v20
	v_mov_b32_e32 v19, 0x7f800001
	s_and_saveexec_b64 s[30:31], s[6:7]
	s_cbranch_execz .LBB365_753
; %bb.752:                              ;   in Loop: Header=BB365_344 Depth=1
	v_and_b32_e32 v23, 7, v2
	v_ffbh_u32_e32 v18, v23
	v_min_u32_e32 v30, 32, v18
	v_subrev_u32_e32 v18, 28, v30
	v_lshlrev_b64 v[18:19], v18, v[2:3]
	v_lshrrev_b32_e32 v28, 3, v20
	v_sub_u32_e32 v19, 29, v30
	v_and_b32_e32 v18, 7, v18
	v_cmp_gt_u32_e64 s[6:7], 8, v20
	v_cndmask_b32_e64 v19, v28, v19, s[6:7]
	v_cndmask_b32_e64 v18, v23, v18, s[6:7]
	v_lshlrev_b32_e32 v2, 24, v2
	v_lshlrev_b32_e32 v18, 20, v18
	v_and_b32_e32 v2, 0x80000000, v2
	v_lshl_add_u32 v19, v19, 23, v36
	v_or3_b32 v19, v2, v19, v18
.LBB365_753:                            ;   in Loop: Header=BB365_344 Depth=1
	s_or_b64 exec, exec, s[30:31]
.LBB365_754:                            ;   in Loop: Header=BB365_344 Depth=1
	s_or_b64 exec, exec, s[28:29]
.LBB365_755:                            ;   in Loop: Header=BB365_344 Depth=1
	s_or_b64 exec, exec, s[26:27]
	v_mul_f32_e32 v2, v59, v19
	v_and_b32_e32 v18, 0x7f800000, v2
	v_cmp_ne_u32_e64 s[6:7], s9, v18
                                        ; implicit-def: $vgpr23
	s_and_saveexec_b64 s[26:27], s[6:7]
	s_xor_b64 s[6:7], exec, s[26:27]
; %bb.756:                              ;   in Loop: Header=BB365_344 Depth=1
	v_bfe_u32 v18, v2, 16, 1
	v_add3_u32 v23, v2, v18, s15
                                        ; implicit-def: $vgpr2
; %bb.757:                              ;   in Loop: Header=BB365_344 Depth=1
	s_andn2_saveexec_b64 s[26:27], s[6:7]
; %bb.758:                              ;   in Loop: Header=BB365_344 Depth=1
	v_or_b32_e32 v18, 0x10000, v2
	v_cmp_eq_u32_sdwa s[6:7], v2, v21 src0_sel:WORD_0 src1_sel:DWORD
	v_cndmask_b32_e64 v23, v18, v2, s[6:7]
; %bb.759:                              ;   in Loop: Header=BB365_344 Depth=1
	s_or_b64 exec, exec, s[26:27]
	v_mov_b32_e32 v20, v1
	v_cmp_ne_u16_sdwa s[6:7], v1, v21 src0_sel:BYTE_0 src1_sel:DWORD
	v_mov_b32_e32 v2, 0
	s_and_saveexec_b64 s[26:27], s[6:7]
	s_cbranch_execz .LBB365_765
; %bb.760:                              ;   in Loop: Header=BB365_344 Depth=1
	v_cmp_ne_u16_sdwa s[6:7], v1, s19 src0_sel:BYTE_0 src1_sel:DWORD
	v_bfrev_b32_e32 v2, 1
	s_and_saveexec_b64 s[28:29], s[6:7]
	s_cbranch_execz .LBB365_764
; %bb.761:                              ;   in Loop: Header=BB365_344 Depth=1
	v_and_b32_e32 v19, 0x7f, v1
	v_cmp_ne_u32_e64 s[6:7], s34, v19
	v_mov_b32_e32 v2, 0x7f800001
	s_and_saveexec_b64 s[30:31], s[6:7]
	s_cbranch_execz .LBB365_763
; %bb.762:                              ;   in Loop: Header=BB365_344 Depth=1
	v_and_b32_e32 v2, 7, v1
	v_ffbh_u32_e32 v2, v2
	v_min_u32_e32 v2, 32, v2
	v_lshrrev_b32_e32 v18, 3, v19
	v_subrev_u32_e32 v28, 28, v2
	v_sub_u32_e32 v2, 29, v2
	v_cmp_gt_u32_e64 s[6:7], 8, v19
	v_cndmask_b32_e64 v2, v18, v2, s[6:7]
	v_cndmask_b32_e64 v18, 0, v28, s[6:7]
	v_lshlrev_b64 v[18:19], v18, v[20:21]
	v_lshlrev_b32_e32 v18, 20, v18
	v_lshlrev_b32_e32 v19, 24, v20
	v_and_b32_e32 v18, 0x700000, v18
	v_and_b32_e32 v19, 0x80000000, v19
	v_lshl_add_u32 v2, v2, 23, v36
	v_or3_b32 v2, v19, v2, v18
.LBB365_763:                            ;   in Loop: Header=BB365_344 Depth=1
	s_or_b64 exec, exec, s[30:31]
.LBB365_764:                            ;   in Loop: Header=BB365_344 Depth=1
	s_or_b64 exec, exec, s[28:29]
.LBB365_765:                            ;   in Loop: Header=BB365_344 Depth=1
	s_or_b64 exec, exec, s[26:27]
	v_mul_f32_e32 v2, v59, v2
	v_and_b32_e32 v18, 0x7f800000, v2
	v_cmp_ne_u32_e64 s[6:7], s9, v18
                                        ; implicit-def: $vgpr30
	s_and_saveexec_b64 s[26:27], s[6:7]
	s_xor_b64 s[6:7], exec, s[26:27]
; %bb.766:                              ;   in Loop: Header=BB365_344 Depth=1
	v_bfe_u32 v18, v2, 16, 1
	v_add3_u32 v30, v2, v18, s15
                                        ; implicit-def: $vgpr2
; %bb.767:                              ;   in Loop: Header=BB365_344 Depth=1
	s_andn2_saveexec_b64 s[26:27], s[6:7]
; %bb.768:                              ;   in Loop: Header=BB365_344 Depth=1
	v_or_b32_e32 v18, 0x10000, v2
	v_cmp_eq_u32_sdwa s[6:7], v2, v21 src0_sel:WORD_0 src1_sel:DWORD
	v_cndmask_b32_e64 v30, v18, v2, s[6:7]
; %bb.769:                              ;   in Loop: Header=BB365_344 Depth=1
	s_or_b64 exec, exec, s[26:27]
	v_lshrrev_b16_e32 v2, 8, v20
	v_cmp_ne_u16_e64 s[6:7], 0, v2
	v_mov_b32_e32 v19, 0
	s_and_saveexec_b64 s[26:27], s[6:7]
	s_cbranch_execz .LBB365_775
; %bb.770:                              ;   in Loop: Header=BB365_344 Depth=1
	v_cmp_ne_u16_e64 s[6:7], s19, v2
	v_bfrev_b32_e32 v19, 1
	s_and_saveexec_b64 s[28:29], s[6:7]
	s_cbranch_execz .LBB365_774
; %bb.771:                              ;   in Loop: Header=BB365_344 Depth=1
	v_and_b32_e32 v28, 0x7f, v2
	v_cmp_ne_u32_e64 s[6:7], s34, v28
	v_mov_b32_e32 v19, 0x7f800001
	s_and_saveexec_b64 s[30:31], s[6:7]
	s_cbranch_execz .LBB365_773
; %bb.772:                              ;   in Loop: Header=BB365_344 Depth=1
	v_and_b32_e32 v34, 7, v2
	v_ffbh_u32_e32 v11, v34
	v_min_u32_e32 v11, 32, v11
	v_subrev_u32_e32 v18, 28, v11
	v_lshlrev_b64 v[18:19], v18, v[2:3]
	v_lshrrev_b32_e32 v10, 3, v28
	v_sub_u32_e32 v2, 29, v11
	v_and_b32_e32 v11, 7, v18
	v_cmp_gt_u32_e64 s[6:7], 8, v28
	v_cndmask_b32_e64 v2, v10, v2, s[6:7]
	v_cndmask_b32_e64 v10, v34, v11, s[6:7]
	v_lshlrev_b32_e32 v11, 16, v20
	v_lshlrev_b32_e32 v10, 20, v10
	v_and_b32_e32 v11, 0x80000000, v11
	v_lshl_add_u32 v2, v2, 23, v36
	v_accvgpr_read_b32 v34, a9
	v_or3_b32 v19, v11, v2, v10
.LBB365_773:                            ;   in Loop: Header=BB365_344 Depth=1
	s_or_b64 exec, exec, s[30:31]
.LBB365_774:                            ;   in Loop: Header=BB365_344 Depth=1
	s_or_b64 exec, exec, s[28:29]
.LBB365_775:                            ;   in Loop: Header=BB365_344 Depth=1
	s_or_b64 exec, exec, s[26:27]
	v_mul_f32_e32 v2, v59, v19
	v_and_b32_e32 v10, 0x7f800000, v2
	v_cmp_ne_u32_e64 s[6:7], s9, v10
                                        ; implicit-def: $vgpr20
	s_and_saveexec_b64 s[26:27], s[6:7]
	s_xor_b64 s[6:7], exec, s[26:27]
; %bb.776:                              ;   in Loop: Header=BB365_344 Depth=1
	v_bfe_u32 v10, v2, 16, 1
	v_add3_u32 v20, v2, v10, s15
                                        ; implicit-def: $vgpr2
; %bb.777:                              ;   in Loop: Header=BB365_344 Depth=1
	s_andn2_saveexec_b64 s[26:27], s[6:7]
; %bb.778:                              ;   in Loop: Header=BB365_344 Depth=1
	v_or_b32_e32 v10, 0x10000, v2
	v_cmp_eq_u32_sdwa s[6:7], v2, v21 src0_sel:WORD_0 src1_sel:DWORD
	v_cndmask_b32_e64 v20, v10, v2, s[6:7]
; %bb.779:                              ;   in Loop: Header=BB365_344 Depth=1
	s_or_b64 exec, exec, s[26:27]
	v_lshrrev_b32_e32 v2, 16, v1
	v_cmp_ne_u16_sdwa s[6:7], v2, v21 src0_sel:BYTE_0 src1_sel:DWORD
	v_mov_b32_e32 v19, 0
	s_and_saveexec_b64 s[26:27], s[6:7]
	s_cbranch_execz .LBB365_785
; %bb.780:                              ;   in Loop: Header=BB365_344 Depth=1
	v_cmp_ne_u16_sdwa s[6:7], v2, s19 src0_sel:BYTE_0 src1_sel:DWORD
	v_bfrev_b32_e32 v19, 1
	s_and_saveexec_b64 s[28:29], s[6:7]
	s_cbranch_execz .LBB365_784
; %bb.781:                              ;   in Loop: Header=BB365_344 Depth=1
	v_bfe_u32 v28, v1, 16, 7
	v_cmp_ne_u32_e64 s[6:7], s34, v28
	v_mov_b32_e32 v19, 0x7f800001
	s_and_saveexec_b64 s[30:31], s[6:7]
	s_cbranch_execz .LBB365_783
; %bb.782:                              ;   in Loop: Header=BB365_344 Depth=1
	v_and_b32_e32 v10, 7, v2
	v_ffbh_u32_e32 v18, v10
	v_min_u32_e32 v34, 32, v18
	v_subrev_u32_e32 v18, 28, v34
	v_lshlrev_b64 v[18:19], v18, v[2:3]
	v_lshrrev_b32_e32 v11, 3, v28
	v_sub_u32_e32 v19, 29, v34
	v_and_b32_e32 v18, 7, v18
	v_cmp_gt_u32_e64 s[6:7], 8, v28
	v_cndmask_b32_e64 v11, v11, v19, s[6:7]
	v_cndmask_b32_e64 v10, v10, v18, s[6:7]
	v_lshlrev_b32_e32 v2, 24, v2
	v_lshlrev_b32_e32 v10, 20, v10
	v_and_b32_e32 v2, 0x80000000, v2
	v_lshl_add_u32 v11, v11, 23, v36
	v_accvgpr_read_b32 v34, a9
	v_or3_b32 v19, v2, v11, v10
.LBB365_783:                            ;   in Loop: Header=BB365_344 Depth=1
	s_or_b64 exec, exec, s[30:31]
.LBB365_784:                            ;   in Loop: Header=BB365_344 Depth=1
	s_or_b64 exec, exec, s[28:29]
.LBB365_785:                            ;   in Loop: Header=BB365_344 Depth=1
	s_or_b64 exec, exec, s[26:27]
	v_mul_f32_e32 v19, v59, v19
	v_and_b32_e32 v2, 0x7f800000, v19
	v_cmp_ne_u32_e64 s[6:7], s9, v2
                                        ; implicit-def: $vgpr2
	s_and_saveexec_b64 s[26:27], s[6:7]
	s_xor_b64 s[6:7], exec, s[26:27]
; %bb.786:                              ;   in Loop: Header=BB365_344 Depth=1
	v_bfe_u32 v2, v19, 16, 1
	v_add3_u32 v2, v19, v2, s15
                                        ; implicit-def: $vgpr19
; %bb.787:                              ;   in Loop: Header=BB365_344 Depth=1
	s_andn2_saveexec_b64 s[26:27], s[6:7]
; %bb.788:                              ;   in Loop: Header=BB365_344 Depth=1
	v_or_b32_e32 v2, 0x10000, v19
	v_cmp_eq_u32_sdwa s[6:7], v19, v21 src0_sel:WORD_0 src1_sel:DWORD
	v_cndmask_b32_e64 v2, v2, v19, s[6:7]
; %bb.789:                              ;   in Loop: Header=BB365_344 Depth=1
	s_or_b64 exec, exec, s[26:27]
	v_cmp_lt_u64_e64 s[6:7], s[12:13], v[0:1]
	v_mov_b32_e32 v19, 0
	s_and_saveexec_b64 s[26:27], s[6:7]
	s_cbranch_execz .LBB365_795
; %bb.790:                              ;   in Loop: Header=BB365_344 Depth=1
	v_lshrrev_b32_e32 v0, 24, v1
	v_cmp_ne_u32_e64 s[6:7], s19, v0
	v_bfrev_b32_e32 v19, 1
	s_and_saveexec_b64 s[28:29], s[6:7]
	s_cbranch_execz .LBB365_794
; %bb.791:                              ;   in Loop: Header=BB365_344 Depth=1
	v_bfe_u32 v1, v1, 24, 7
	v_cmp_ne_u32_e64 s[6:7], s34, v1
	v_mov_b32_e32 v19, 0x7f800001
	s_and_saveexec_b64 s[30:31], s[6:7]
	s_cbranch_execz .LBB365_793
; %bb.792:                              ;   in Loop: Header=BB365_344 Depth=1
	v_and_b32_e32 v10, 7, v0
	v_ffbh_u32_e32 v18, v10
	v_min_u32_e32 v28, 32, v18
	v_subrev_u32_e32 v18, 28, v28
	v_lshlrev_b64 v[18:19], v18, v[0:1]
	v_lshrrev_b32_e32 v11, 3, v1
	v_sub_u32_e32 v19, 29, v28
	v_and_b32_e32 v18, 7, v18
	v_cmp_gt_u32_e64 s[6:7], 8, v1
	v_cndmask_b32_e64 v1, v11, v19, s[6:7]
	v_cndmask_b32_e64 v10, v10, v18, s[6:7]
	v_lshlrev_b32_e32 v0, 24, v0
	v_lshlrev_b32_e32 v10, 20, v10
	v_and_b32_e32 v0, 0x80000000, v0
	v_lshl_add_u32 v1, v1, 23, v36
	v_or3_b32 v19, v0, v1, v10
.LBB365_793:                            ;   in Loop: Header=BB365_344 Depth=1
	s_or_b64 exec, exec, s[30:31]
.LBB365_794:                            ;   in Loop: Header=BB365_344 Depth=1
	s_or_b64 exec, exec, s[28:29]
.LBB365_795:                            ;   in Loop: Header=BB365_344 Depth=1
	s_or_b64 exec, exec, s[26:27]
	v_mul_f32_e32 v1, v59, v19
	v_and_b32_e32 v0, 0x7f800000, v1
	v_cmp_ne_u32_e64 s[6:7], s9, v0
                                        ; implicit-def: $vgpr0
	s_and_saveexec_b64 s[26:27], s[6:7]
	s_xor_b64 s[6:7], exec, s[26:27]
; %bb.796:                              ;   in Loop: Header=BB365_344 Depth=1
	v_bfe_u32 v0, v1, 16, 1
	v_add3_u32 v0, v1, v0, s15
                                        ; implicit-def: $vgpr1
; %bb.797:                              ;   in Loop: Header=BB365_344 Depth=1
	s_andn2_saveexec_b64 s[26:27], s[6:7]
; %bb.798:                              ;   in Loop: Header=BB365_344 Depth=1
	v_or_b32_e32 v0, 0x10000, v1
	v_cmp_eq_u32_sdwa s[6:7], v1, v21 src0_sel:WORD_0 src1_sel:DWORD
	v_cndmask_b32_e64 v0, v0, v1, s[6:7]
; %bb.799:                              ;   in Loop: Header=BB365_344 Depth=1
	s_or_b64 exec, exec, s[26:27]
	v_lshrrev_b32_e32 v59, 16, v20
	v_lshrrev_b32_e32 v30, 16, v30
	;; [unrolled: 1-line block ×8, first 2 shown]
	s_and_saveexec_b64 s[6:7], s[4:5]
	s_cbranch_execz .LBB365_801
; %bb.800:                              ;   in Loop: Header=BB365_344 Depth=1
	v_cmp_lt_i32_e64 s[4:5], v52, v32
	v_add_u32_e32 v10, -6, v17
	v_cndmask_b32_e64 v1, 0, v1, s[4:5]
	v_cmp_lt_i32_e64 s[4:5], v10, v32
	v_add_u32_e32 v10, -5, v17
	v_cndmask_b32_e64 v20, 0, v20, s[4:5]
	;; [unrolled: 3-line block ×6, first 2 shown]
	v_cmp_lt_i32_e64 s[4:5], v10, v32
	v_cndmask_b32_e64 v2, 0, v2, s[4:5]
	v_cmp_lt_i32_e64 s[4:5], v17, v32
	v_cndmask_b32_e64 v0, 0, v0, s[4:5]
.LBB365_801:                            ;   in Loop: Header=BB365_344 Depth=1
	s_or_b64 exec, exec, s[6:7]
	v_lshlrev_b32_e32 v1, 16, v1
	v_mul_f32_e32 v52, v53, v1
	v_and_b32_e32 v1, 0x7f800000, v52
	v_cmp_ne_u32_e64 s[4:5], s9, v1
                                        ; implicit-def: $vgpr1
	s_and_saveexec_b64 s[6:7], s[4:5]
	s_xor_b64 s[4:5], exec, s[6:7]
; %bb.802:                              ;   in Loop: Header=BB365_344 Depth=1
	v_bfe_u32 v1, v52, 16, 1
	v_add3_u32 v1, v52, v1, s15
                                        ; implicit-def: $vgpr52
; %bb.803:                              ;   in Loop: Header=BB365_344 Depth=1
	s_andn2_saveexec_b64 s[6:7], s[4:5]
; %bb.804:                              ;   in Loop: Header=BB365_344 Depth=1
	v_or_b32_e32 v1, 0x10000, v52
	v_cmp_eq_u32_sdwa s[4:5], v52, v21 src0_sel:WORD_0 src1_sel:DWORD
	v_cndmask_b32_e64 v1, v1, v52, s[4:5]
; %bb.805:                              ;   in Loop: Header=BB365_344 Depth=1
	s_or_b64 exec, exec, s[6:7]
	v_lshlrev_b32_e32 v10, 16, v20
	v_mul_f32_e32 v52, v54, v10
	v_and_b32_e32 v10, 0x7f800000, v52
	v_cmp_ne_u32_e64 s[4:5], s9, v10
                                        ; implicit-def: $vgpr20
	s_and_saveexec_b64 s[6:7], s[4:5]
	s_xor_b64 s[4:5], exec, s[6:7]
; %bb.806:                              ;   in Loop: Header=BB365_344 Depth=1
	v_bfe_u32 v10, v52, 16, 1
	v_add3_u32 v20, v52, v10, s15
                                        ; implicit-def: $vgpr52
; %bb.807:                              ;   in Loop: Header=BB365_344 Depth=1
	s_andn2_saveexec_b64 s[6:7], s[4:5]
; %bb.808:                              ;   in Loop: Header=BB365_344 Depth=1
	v_or_b32_e32 v10, 0x10000, v52
	v_cmp_eq_u32_sdwa s[4:5], v52, v21 src0_sel:WORD_0 src1_sel:DWORD
	v_cndmask_b32_e64 v20, v10, v52, s[4:5]
; %bb.809:                              ;   in Loop: Header=BB365_344 Depth=1
	s_or_b64 exec, exec, s[6:7]
	v_lshlrev_b32_e32 v10, 16, v23
	v_mul_f32_e32 v52, v55, v10
	v_and_b32_e32 v10, 0x7f800000, v52
	v_cmp_ne_u32_e64 s[4:5], s9, v10
                                        ; implicit-def: $vgpr23
	s_and_saveexec_b64 s[6:7], s[4:5]
	s_xor_b64 s[4:5], exec, s[6:7]
; %bb.810:                              ;   in Loop: Header=BB365_344 Depth=1
	v_bfe_u32 v10, v52, 16, 1
	v_add3_u32 v23, v52, v10, s15
                                        ; implicit-def: $vgpr52
; %bb.811:                              ;   in Loop: Header=BB365_344 Depth=1
	s_andn2_saveexec_b64 s[6:7], s[4:5]
; %bb.812:                              ;   in Loop: Header=BB365_344 Depth=1
	v_or_b32_e32 v10, 0x10000, v52
	v_cmp_eq_u32_sdwa s[4:5], v52, v21 src0_sel:WORD_0 src1_sel:DWORD
	v_cndmask_b32_e64 v23, v10, v52, s[4:5]
; %bb.813:                              ;   in Loop: Header=BB365_344 Depth=1
	s_or_b64 exec, exec, s[6:7]
	v_lshlrev_b32_e32 v10, 16, v19
	v_mul_f32_e32 v19, v40, v10
	v_and_b32_e32 v10, 0x7f800000, v19
	v_cmp_ne_u32_e64 s[4:5], s9, v10
                                        ; implicit-def: $vgpr52
	s_and_saveexec_b64 s[6:7], s[4:5]
	s_xor_b64 s[4:5], exec, s[6:7]
; %bb.814:                              ;   in Loop: Header=BB365_344 Depth=1
	v_bfe_u32 v10, v19, 16, 1
	v_add3_u32 v52, v19, v10, s15
                                        ; implicit-def: $vgpr19
; %bb.815:                              ;   in Loop: Header=BB365_344 Depth=1
	s_andn2_saveexec_b64 s[6:7], s[4:5]
; %bb.816:                              ;   in Loop: Header=BB365_344 Depth=1
	v_or_b32_e32 v10, 0x10000, v19
	v_cmp_eq_u32_sdwa s[4:5], v19, v21 src0_sel:WORD_0 src1_sel:DWORD
	v_cndmask_b32_e64 v52, v10, v19, s[4:5]
; %bb.817:                              ;   in Loop: Header=BB365_344 Depth=1
	s_or_b64 exec, exec, s[6:7]
	v_lshlrev_b32_e32 v10, 16, v30
	v_mul_f32_e32 v30, v41, v10
	v_and_b32_e32 v10, 0x7f800000, v30
	v_cmp_ne_u32_e64 s[4:5], s9, v10
                                        ; implicit-def: $vgpr19
	s_and_saveexec_b64 s[6:7], s[4:5]
	s_xor_b64 s[4:5], exec, s[6:7]
; %bb.818:                              ;   in Loop: Header=BB365_344 Depth=1
	v_bfe_u32 v10, v30, 16, 1
	v_add3_u32 v19, v30, v10, s15
                                        ; implicit-def: $vgpr30
; %bb.819:                              ;   in Loop: Header=BB365_344 Depth=1
	s_andn2_saveexec_b64 s[6:7], s[4:5]
; %bb.820:                              ;   in Loop: Header=BB365_344 Depth=1
	v_or_b32_e32 v10, 0x10000, v30
	v_cmp_eq_u32_sdwa s[4:5], v30, v21 src0_sel:WORD_0 src1_sel:DWORD
	v_cndmask_b32_e64 v19, v10, v30, s[4:5]
; %bb.821:                              ;   in Loop: Header=BB365_344 Depth=1
	s_or_b64 exec, exec, s[6:7]
	v_lshlrev_b32_e32 v10, 16, v59
	v_mul_f32_e32 v53, v42, v10
	v_and_b32_e32 v10, 0x7f800000, v53
	v_cmp_ne_u32_e64 s[4:5], s9, v10
                                        ; implicit-def: $vgpr30
	s_and_saveexec_b64 s[6:7], s[4:5]
	s_xor_b64 s[4:5], exec, s[6:7]
; %bb.822:                              ;   in Loop: Header=BB365_344 Depth=1
	v_bfe_u32 v10, v53, 16, 1
	v_add3_u32 v30, v53, v10, s15
                                        ; implicit-def: $vgpr53
; %bb.823:                              ;   in Loop: Header=BB365_344 Depth=1
	s_andn2_saveexec_b64 s[6:7], s[4:5]
; %bb.824:                              ;   in Loop: Header=BB365_344 Depth=1
	v_or_b32_e32 v10, 0x10000, v53
	v_cmp_eq_u32_sdwa s[4:5], v53, v21 src0_sel:WORD_0 src1_sel:DWORD
	v_cndmask_b32_e64 v30, v10, v53, s[4:5]
; %bb.825:                              ;   in Loop: Header=BB365_344 Depth=1
	s_or_b64 exec, exec, s[6:7]
	v_lshlrev_b32_e32 v2, 16, v2
	v_mul_f32_e32 v53, v43, v2
	v_and_b32_e32 v2, 0x7f800000, v53
	v_cmp_ne_u32_e64 s[4:5], s9, v2
                                        ; implicit-def: $vgpr2
	s_and_saveexec_b64 s[6:7], s[4:5]
	s_xor_b64 s[4:5], exec, s[6:7]
; %bb.826:                              ;   in Loop: Header=BB365_344 Depth=1
	v_bfe_u32 v2, v53, 16, 1
	v_add3_u32 v2, v53, v2, s15
                                        ; implicit-def: $vgpr53
; %bb.827:                              ;   in Loop: Header=BB365_344 Depth=1
	s_andn2_saveexec_b64 s[6:7], s[4:5]
; %bb.828:                              ;   in Loop: Header=BB365_344 Depth=1
	v_or_b32_e32 v2, 0x10000, v53
	v_cmp_eq_u32_sdwa s[4:5], v53, v21 src0_sel:WORD_0 src1_sel:DWORD
	v_cndmask_b32_e64 v2, v2, v53, s[4:5]
; %bb.829:                              ;   in Loop: Header=BB365_344 Depth=1
	s_or_b64 exec, exec, s[6:7]
	v_lshlrev_b32_e32 v0, 16, v0
	v_mul_f32_e32 v0, v44, v0
	v_and_b32_e32 v10, 0x7f800000, v0
	v_cmp_ne_u32_e64 s[4:5], s9, v10
                                        ; implicit-def: $vgpr53
	s_and_saveexec_b64 s[6:7], s[4:5]
	s_xor_b64 s[4:5], exec, s[6:7]
; %bb.830:                              ;   in Loop: Header=BB365_344 Depth=1
	v_bfe_u32 v10, v0, 16, 1
	v_add3_u32 v53, v0, v10, s15
                                        ; implicit-def: $vgpr0
; %bb.831:                              ;   in Loop: Header=BB365_344 Depth=1
	s_andn2_saveexec_b64 s[6:7], s[4:5]
	s_cbranch_execz .LBB365_342
; %bb.832:                              ;   in Loop: Header=BB365_344 Depth=1
	v_or_b32_e32 v10, 0x10000, v0
	v_cmp_eq_u32_sdwa s[4:5], v0, v21 src0_sel:WORD_0 src1_sel:DWORD
	v_cndmask_b32_e64 v53, v10, v0, s[4:5]
	s_branch .LBB365_342
.LBB365_833:
	s_or_b64 exec, exec, s[22:23]
	v_accvgpr_read_b32 v20, a0
	v_accvgpr_read_b32 v26, a1
	;; [unrolled: 1-line block ×6, first 2 shown]
.LBB365_834:
	s_or_b64 exec, exec, s[10:11]
	ds_bpermute_b32 v0, v21, v24
	ds_bpermute_b32 v1, v21, v25
	;; [unrolled: 1-line block ×4, first 2 shown]
	v_and_b32_e32 v4, 0x3c0, v27
	v_cmp_eq_u32_e32 vcc, 64, v4
	s_waitcnt lgkmcnt(0)
	v_pk_add_f32 v[0:1], v[24:25], v[0:1]
	v_pk_add_f32 v[2:3], v[12:13], v[2:3]
	s_barrier
	s_and_saveexec_b64 s[6:7], vcc
	s_cbranch_execz .LBB365_839
; %bb.835:
	v_cmp_eq_u32_e32 vcc, 0, v5
	s_and_saveexec_b64 s[4:5], vcc
	s_cbranch_execz .LBB365_837
; %bb.836:
	s_ashr_i32 s19, s18, 31
	s_lshl_b64 s[10:11], s[18:19], 2
	s_getpc_b64 s[12:13]
	s_add_u32 s12, s12, llvm.amdgcn.dynlds.offset.table@rel32@lo+4
	s_addc_u32 s13, s13, llvm.amdgcn.dynlds.offset.table@rel32@hi+12
	s_add_u32 s10, s10, s12
	s_addc_u32 s11, s11, s13
	s_load_dword s9, s[10:11], 0x0
	s_waitcnt lgkmcnt(0)
	v_lshl_add_u32 v4, v6, 2, s9
	ds_write2_b32 v4, v0, v1 offset1:32
	ds_write_b32 v4, v2 offset:256
.LBB365_837:
	s_or_b64 exec, exec, s[4:5]
	v_or_b32_e32 v4, 0x60, v6
	s_movk_i32 s4, 0x78
	v_cmp_gt_u32_e64 s[4:5], s4, v4
	s_and_b64 s[4:5], vcc, s[4:5]
	s_and_b64 exec, exec, s[4:5]
	s_cbranch_execz .LBB365_839
; %bb.838:
	s_ashr_i32 s19, s18, 31
	s_lshl_b64 s[4:5], s[18:19], 2
	s_getpc_b64 s[10:11]
	s_add_u32 s10, s10, llvm.amdgcn.dynlds.offset.table@rel32@lo+4
	s_addc_u32 s11, s11, llvm.amdgcn.dynlds.offset.table@rel32@hi+12
	s_add_u32 s4, s4, s10
	s_addc_u32 s5, s5, s11
	s_load_dword s4, s[4:5], 0x0
	s_waitcnt lgkmcnt(0)
	v_lshl_add_u32 v4, v6, 2, s4
	ds_write_b32 v4, v3 offset:384
.LBB365_839:
	s_or_b64 exec, exec, s[6:7]
	v_cmp_gt_u32_e32 vcc, 64, v27
	v_lshrrev_b32_e32 v6, 1, v27
	s_waitcnt lgkmcnt(0)
	s_barrier
	s_and_saveexec_b64 s[10:11], vcc
	s_cbranch_execz .LBB365_847
; %bb.840:
	v_cmp_eq_u32_e64 s[4:5], 0, v5
	s_and_saveexec_b64 s[6:7], s[4:5]
	s_cbranch_execnz .LBB365_869
; %bb.841:
	s_or_b64 exec, exec, s[6:7]
	s_and_saveexec_b64 s[6:7], s[4:5]
	s_cbranch_execnz .LBB365_870
.LBB365_842:
	s_or_b64 exec, exec, s[6:7]
	s_and_saveexec_b64 s[6:7], s[4:5]
	s_cbranch_execz .LBB365_844
.LBB365_843:
	s_ashr_i32 s19, s18, 31
	s_lshl_b64 s[12:13], s[18:19], 2
	s_getpc_b64 s[22:23]
	s_add_u32 s22, s22, llvm.amdgcn.dynlds.offset.table@rel32@lo+4
	s_addc_u32 s23, s23, llvm.amdgcn.dynlds.offset.table@rel32@hi+12
	s_add_u32 s12, s12, s22
	s_addc_u32 s13, s13, s23
	s_load_dword s9, s[12:13], 0x0
	s_waitcnt lgkmcnt(0)
	v_lshl_add_u32 v4, v6, 2, s9
	ds_read_b32 v4, v4 offset:256
	s_waitcnt lgkmcnt(0)
	v_add_f32_e32 v2, v2, v4
.LBB365_844:
	s_or_b64 exec, exec, s[6:7]
	v_or_b32_e32 v4, 0x60, v6
	s_movk_i32 s6, 0x78
	v_cmp_gt_u32_e64 s[6:7], s6, v4
	s_and_b64 s[6:7], s[4:5], s[6:7]
	s_and_saveexec_b64 s[4:5], s[6:7]
	s_cbranch_execz .LBB365_846
; %bb.845:
	s_ashr_i32 s19, s18, 31
	s_lshl_b64 s[6:7], s[18:19], 2
	s_getpc_b64 s[12:13]
	s_add_u32 s12, s12, llvm.amdgcn.dynlds.offset.table@rel32@lo+4
	s_addc_u32 s13, s13, llvm.amdgcn.dynlds.offset.table@rel32@hi+12
	s_add_u32 s6, s6, s12
	s_addc_u32 s7, s7, s13
	s_load_dword s6, s[6:7], 0x0
	s_waitcnt lgkmcnt(0)
	v_lshl_add_u32 v4, v6, 2, s6
	ds_read_b32 v4, v4 offset:384
	s_waitcnt lgkmcnt(0)
	v_add_f32_e32 v3, v3, v4
.LBB365_846:
	s_or_b64 exec, exec, s[4:5]
.LBB365_847:
	s_or_b64 exec, exec, s[10:11]
	s_barrier
	s_and_b64 exec, exec, vcc
	s_cbranch_execz .LBB365_868
; %bb.848:
	s_mul_i32 s4, s8, 0x78
	s_mul_i32 s6, s20, s21
	;; [unrolled: 1-line block ×3, first 2 shown]
	s_ashr_i32 s5, s4, 31
	s_ashr_i32 s7, s6, 31
	;; [unrolled: 1-line block ×3, first 2 shown]
	s_lshl_b64 s[4:5], s[4:5], 1
	s_lshl_b64 s[6:7], s[6:7], 1
	;; [unrolled: 1-line block ×3, first 2 shown]
	s_add_u32 s6, s8, s6
	s_addc_u32 s7, s9, s7
	s_add_u32 s4, s6, s4
	s_addc_u32 s5, s7, s5
	v_mov_b32_e32 v4, s5
	v_add_co_u32_e32 v7, vcc, s4, v26
	v_addc_co_u32_e32 v8, vcc, v4, v20, vcc
	v_cmp_eq_u32_e32 vcc, 0, v5
	s_and_saveexec_b64 s[6:7], vcc
	s_cbranch_execz .LBB365_862
; %bb.849:
	s_mov_b32 s4, 0x7f800000
	v_and_b32_e32 v4, 0x7f800000, v0
	v_cmp_ne_u32_e64 s[4:5], s4, v4
                                        ; implicit-def: $vgpr9
	s_and_saveexec_b64 s[8:9], s[4:5]
	s_xor_b64 s[4:5], exec, s[8:9]
; %bb.850:
	v_bfe_u32 v4, v0, 16, 1
	s_movk_i32 s8, 0x7fff
	v_add3_u32 v9, v0, v4, s8
; %bb.851:
	s_andn2_saveexec_b64 s[8:9], s[4:5]
; %bb.852:
	v_mov_b32_e32 v4, 0
	v_or_b32_e32 v5, 0x10000, v0
	v_cmp_eq_u32_sdwa s[4:5], v0, v4 src0_sel:WORD_0 src1_sel:DWORD
	v_cndmask_b32_e64 v9, v5, v0, s[4:5]
; %bb.853:
	s_or_b64 exec, exec, s[8:9]
	v_lshlrev_b32_e32 v0, 1, v6
	v_add_co_u32_e64 v4, s[4:5], v7, v0
	v_addc_co_u32_e64 v5, s[4:5], 0, v8, s[4:5]
	s_mov_b32 s4, 0x7f800000
	v_and_b32_e32 v0, 0x7f800000, v1
	v_cmp_ne_u32_e64 s[4:5], s4, v0
	flat_store_short_d16_hi v[4:5], v9
                                        ; implicit-def: $vgpr0
	s_and_saveexec_b64 s[8:9], s[4:5]
	s_xor_b64 s[4:5], exec, s[8:9]
; %bb.854:
	v_bfe_u32 v0, v1, 16, 1
	s_movk_i32 s8, 0x7fff
	v_add3_u32 v0, v1, v0, s8
; %bb.855:
	s_andn2_saveexec_b64 s[8:9], s[4:5]
; %bb.856:
	v_mov_b32_e32 v0, 0
	v_or_b32_e32 v9, 0x10000, v1
	v_cmp_eq_u32_sdwa s[4:5], v1, v0 src0_sel:WORD_0 src1_sel:DWORD
	v_cndmask_b32_e64 v0, v9, v1, s[4:5]
; %bb.857:
	s_or_b64 exec, exec, s[8:9]
	flat_store_short_d16_hi v[4:5], v0 offset:64
	s_mov_b32 s4, 0x7f800000
	v_and_b32_e32 v0, 0x7f800000, v2
	v_cmp_ne_u32_e64 s[4:5], s4, v0
                                        ; implicit-def: $vgpr0
	s_and_saveexec_b64 s[8:9], s[4:5]
	s_xor_b64 s[4:5], exec, s[8:9]
; %bb.858:
	v_bfe_u32 v0, v2, 16, 1
	s_movk_i32 s8, 0x7fff
	v_add3_u32 v0, v2, v0, s8
; %bb.859:
	s_andn2_saveexec_b64 s[8:9], s[4:5]
; %bb.860:
	v_mov_b32_e32 v0, 0
	v_or_b32_e32 v1, 0x10000, v2
	v_cmp_eq_u32_sdwa s[4:5], v2, v0 src0_sel:WORD_0 src1_sel:DWORD
	v_cndmask_b32_e64 v0, v1, v2, s[4:5]
; %bb.861:
	s_or_b64 exec, exec, s[8:9]
	flat_store_short_d16_hi v[4:5], v0 offset:128
.LBB365_862:
	s_or_b64 exec, exec, s[6:7]
	v_or_b32_e32 v0, 0x60, v6
	s_movk_i32 s4, 0x78
	v_cmp_gt_u32_e64 s[4:5], s4, v0
	s_and_b64 s[4:5], vcc, s[4:5]
	s_and_b64 exec, exec, s[4:5]
	s_cbranch_execz .LBB365_868
; %bb.863:
	s_mov_b32 s4, 0x7f800000
	v_and_b32_e32 v0, 0x7f800000, v3
	v_cmp_ne_u32_e32 vcc, s4, v0
                                        ; implicit-def: $vgpr4
	s_and_saveexec_b64 s[4:5], vcc
	s_xor_b64 s[4:5], exec, s[4:5]
; %bb.864:
	v_bfe_u32 v0, v3, 16, 1
	s_movk_i32 s6, 0x7fff
	v_add3_u32 v4, v3, v0, s6
                                        ; implicit-def: $vgpr0_vgpr1_vgpr2_vgpr3
; %bb.865:
	s_andn2_saveexec_b64 s[4:5], s[4:5]
; %bb.866:
	v_mov_b32_e32 v0, 0
	v_or_b32_e32 v1, 0x10000, v3
	v_cmp_eq_u32_sdwa vcc, v3, v0 src0_sel:WORD_0 src1_sel:DWORD
	v_cndmask_b32_e32 v4, v1, v3, vcc
; %bb.867:
	s_or_b64 exec, exec, s[4:5]
	v_lshlrev_b32_e32 v0, 1, v6
	v_add_co_u32_e32 v0, vcc, v7, v0
	v_addc_co_u32_e32 v1, vcc, 0, v8, vcc
	flat_store_short_d16_hi v[0:1], v4 offset:192
.LBB365_868:
	s_or_b64 exec, exec, s[16:17]
	buffer_load_dword a48, off, s[0:3], s32 ; 4-byte Folded Reload
	buffer_load_dword a47, off, s[0:3], s32 offset:4 ; 4-byte Folded Reload
	buffer_load_dword a46, off, s[0:3], s32 offset:8 ; 4-byte Folded Reload
	;; [unrolled: 1-line block ×31, first 2 shown]
	v_readlane_b32 s30, v63, 6
	v_readlane_b32 s31, v63, 7
	;; [unrolled: 1-line block ×8, first 2 shown]
	s_or_saveexec_b64 s[4:5], -1
	buffer_load_dword v63, off, s[0:3], s32 offset:128 ; 4-byte Folded Reload
	s_mov_b64 exec, s[4:5]
	s_waitcnt vmcnt(0) lgkmcnt(0)
	s_setpc_b64 s[30:31]
.LBB365_869:
	s_ashr_i32 s19, s18, 31
	s_lshl_b64 s[12:13], s[18:19], 2
	s_getpc_b64 s[22:23]
	s_add_u32 s22, s22, llvm.amdgcn.dynlds.offset.table@rel32@lo+4
	s_addc_u32 s23, s23, llvm.amdgcn.dynlds.offset.table@rel32@hi+12
	s_add_u32 s12, s12, s22
	s_addc_u32 s13, s13, s23
	s_load_dword s9, s[12:13], 0x0
	s_waitcnt lgkmcnt(0)
	v_lshl_add_u32 v4, v6, 2, s9
	ds_read_b32 v4, v4
	s_waitcnt lgkmcnt(0)
	v_add_f32_e32 v0, v0, v4
	s_or_b64 exec, exec, s[6:7]
	s_and_saveexec_b64 s[6:7], s[4:5]
	s_cbranch_execz .LBB365_842
.LBB365_870:
	s_ashr_i32 s19, s18, 31
	s_lshl_b64 s[12:13], s[18:19], 2
	s_getpc_b64 s[22:23]
	s_add_u32 s22, s22, llvm.amdgcn.dynlds.offset.table@rel32@lo+4
	s_addc_u32 s23, s23, llvm.amdgcn.dynlds.offset.table@rel32@hi+12
	s_add_u32 s12, s12, s22
	s_addc_u32 s13, s13, s23
	s_load_dword s9, s[12:13], 0x0
	s_waitcnt lgkmcnt(0)
	v_lshl_add_u32 v4, v6, 2, s9
	ds_read_b32 v4, v4 offset:128
	s_waitcnt lgkmcnt(0)
	v_add_f32_e32 v1, v1, v4
	s_or_b64 exec, exec, s[6:7]
	s_and_saveexec_b64 s[6:7], s[4:5]
	s_cbranch_execnz .LBB365_843
	s_branch .LBB365_844
.Lfunc_end365:
	.size	_ZN4vllm22paged_attention_kernelI14__hip_bfloat16hLi120ELi16ELi128ELNS_18Fp8KVCacheDataTypeE1ELb0ELi512EEEvPfS3_PT_PKS4_PKT0_SA_ifPKiSC_iPKfiiiSE_SE_iiiii, .Lfunc_end365-_ZN4vllm22paged_attention_kernelI14__hip_bfloat16hLi120ELi16ELi128ELNS_18Fp8KVCacheDataTypeE1ELb0ELi512EEEvPfS3_PT_PKS4_PKT0_SA_ifPKiSC_iPKfiiiSE_SE_iiiii
                                        ; -- End function
	.section	.AMDGPU.csdata,"",@progbits
; Function info:
; codeLenInByte = 27464
; NumSgprs: 44
; NumVgprs: 64
; NumAgprs: 49
; TotalNumVgprs: 113
; ScratchSize: 136
; MemoryBound: 0
	.section	.text._ZN4vllm25paged_attention_v2_kernelI14__hip_bfloat16hLi120ELi16ELi128ELNS_18Fp8KVCacheDataTypeE1ELb0ELi512EEEvPfS3_PT_PKS4_PKT0_SA_ifPKiSC_iPKfiiiSE_SE_iiiii,"axG",@progbits,_ZN4vllm25paged_attention_v2_kernelI14__hip_bfloat16hLi120ELi16ELi128ELNS_18Fp8KVCacheDataTypeE1ELb0ELi512EEEvPfS3_PT_PKS4_PKT0_SA_ifPKiSC_iPKfiiiSE_SE_iiiii,comdat
	.protected	_ZN4vllm25paged_attention_v2_kernelI14__hip_bfloat16hLi120ELi16ELi128ELNS_18Fp8KVCacheDataTypeE1ELb0ELi512EEEvPfS3_PT_PKS4_PKT0_SA_ifPKiSC_iPKfiiiSE_SE_iiiii ; -- Begin function _ZN4vllm25paged_attention_v2_kernelI14__hip_bfloat16hLi120ELi16ELi128ELNS_18Fp8KVCacheDataTypeE1ELb0ELi512EEEvPfS3_PT_PKS4_PKT0_SA_ifPKiSC_iPKfiiiSE_SE_iiiii
	.globl	_ZN4vllm25paged_attention_v2_kernelI14__hip_bfloat16hLi120ELi16ELi128ELNS_18Fp8KVCacheDataTypeE1ELb0ELi512EEEvPfS3_PT_PKS4_PKT0_SA_ifPKiSC_iPKfiiiSE_SE_iiiii
	.p2align	8
	.type	_ZN4vllm25paged_attention_v2_kernelI14__hip_bfloat16hLi120ELi16ELi128ELNS_18Fp8KVCacheDataTypeE1ELb0ELi512EEEvPfS3_PT_PKS4_PKT0_SA_ifPKiSC_iPKfiiiSE_SE_iiiii,@function
_ZN4vllm25paged_attention_v2_kernelI14__hip_bfloat16hLi120ELi16ELi128ELNS_18Fp8KVCacheDataTypeE1ELb0ELi512EEEvPfS3_PT_PKS4_PKT0_SA_ifPKiSC_iPKfiiiSE_SE_iiiii: ; @_ZN4vllm25paged_attention_v2_kernelI14__hip_bfloat16hLi120ELi16ELi128ELNS_18Fp8KVCacheDataTypeE1ELb0ELi512EEEvPfS3_PT_PKS4_PKT0_SA_ifPKiSC_iPKfiiiSE_SE_iiiii
; %bb.0:
	s_add_u32 flat_scratch_lo, s6, s11
	s_addc_u32 flat_scratch_hi, s7, 0
	s_add_u32 s0, s0, s11
	s_load_dwordx8 s[24:31], s[4:5], 0x0
	s_load_dwordx8 s[16:23], s[4:5], 0x20
	s_load_dwordx2 s[6:7], s[4:5], 0x40
	s_load_dwordx2 s[34:35], s[4:5], 0x50
	s_load_dword s11, s[4:5], 0x48
	s_load_dwordx8 s[36:43], s[4:5], 0x58
	s_addc_u32 s1, s1, 0
	s_mov_b32 s12, s8
	s_add_u32 s8, s4, 0x90
	s_mov_b32 s13, s9
	s_addc_u32 s9, s5, 0
	s_mov_b32 s14, s10
	s_mov_b32 s15, 4
	v_mov_b32_e32 v31, v0
	s_waitcnt lgkmcnt(0)
	v_mov_b32_e32 v0, s24
	v_mov_b32_e32 v1, s25
	;; [unrolled: 1-line block ×28, first 2 shown]
	s_mov_b32 s32, 0
	s_getpc_b64 s[4:5]
	s_add_u32 s4, s4, _ZN4vllm22paged_attention_kernelI14__hip_bfloat16hLi120ELi16ELi128ELNS_18Fp8KVCacheDataTypeE1ELb0ELi512EEEvPfS3_PT_PKS4_PKT0_SA_ifPKiSC_iPKfiiiSE_SE_iiiii@rel32@lo+4
	s_addc_u32 s5, s5, _ZN4vllm22paged_attention_kernelI14__hip_bfloat16hLi120ELi16ELi128ELNS_18Fp8KVCacheDataTypeE1ELb0ELi512EEEvPfS3_PT_PKS4_PKT0_SA_ifPKiSC_iPKfiiiSE_SE_iiiii@rel32@hi+12
	s_swappc_b64 s[30:31], s[4:5]
	s_endpgm
	.section	.rodata,"a",@progbits
	.p2align	6, 0x0
	.amdhsa_kernel _ZN4vllm25paged_attention_v2_kernelI14__hip_bfloat16hLi120ELi16ELi128ELNS_18Fp8KVCacheDataTypeE1ELb0ELi512EEEvPfS3_PT_PKS4_PKT0_SA_ifPKiSC_iPKfiiiSE_SE_iiiii
		.amdhsa_group_segment_fixed_size 256
		.amdhsa_private_segment_fixed_size 136
		.amdhsa_kernarg_size 400
		.amdhsa_user_sgpr_count 8
		.amdhsa_user_sgpr_private_segment_buffer 1
		.amdhsa_user_sgpr_dispatch_ptr 0
		.amdhsa_user_sgpr_queue_ptr 0
		.amdhsa_user_sgpr_kernarg_segment_ptr 1
		.amdhsa_user_sgpr_dispatch_id 0
		.amdhsa_user_sgpr_flat_scratch_init 1
		.amdhsa_user_sgpr_kernarg_preload_length 0
		.amdhsa_user_sgpr_kernarg_preload_offset 0
		.amdhsa_user_sgpr_private_segment_size 0
		.amdhsa_uses_dynamic_stack 0
		.amdhsa_system_sgpr_private_segment_wavefront_offset 1
		.amdhsa_system_sgpr_workgroup_id_x 1
		.amdhsa_system_sgpr_workgroup_id_y 1
		.amdhsa_system_sgpr_workgroup_id_z 1
		.amdhsa_system_sgpr_workgroup_info 0
		.amdhsa_system_vgpr_workitem_id 0
		.amdhsa_next_free_vgpr 113
		.amdhsa_next_free_sgpr 44
		.amdhsa_accum_offset 64
		.amdhsa_reserve_vcc 1
		.amdhsa_reserve_flat_scratch 1
		.amdhsa_float_round_mode_32 0
		.amdhsa_float_round_mode_16_64 0
		.amdhsa_float_denorm_mode_32 3
		.amdhsa_float_denorm_mode_16_64 3
		.amdhsa_dx10_clamp 1
		.amdhsa_ieee_mode 1
		.amdhsa_fp16_overflow 0
		.amdhsa_tg_split 0
		.amdhsa_exception_fp_ieee_invalid_op 0
		.amdhsa_exception_fp_denorm_src 0
		.amdhsa_exception_fp_ieee_div_zero 0
		.amdhsa_exception_fp_ieee_overflow 0
		.amdhsa_exception_fp_ieee_underflow 0
		.amdhsa_exception_fp_ieee_inexact 0
		.amdhsa_exception_int_div_zero 0
	.end_amdhsa_kernel
	.section	.text._ZN4vllm25paged_attention_v2_kernelI14__hip_bfloat16hLi120ELi16ELi128ELNS_18Fp8KVCacheDataTypeE1ELb0ELi512EEEvPfS3_PT_PKS4_PKT0_SA_ifPKiSC_iPKfiiiSE_SE_iiiii,"axG",@progbits,_ZN4vllm25paged_attention_v2_kernelI14__hip_bfloat16hLi120ELi16ELi128ELNS_18Fp8KVCacheDataTypeE1ELb0ELi512EEEvPfS3_PT_PKS4_PKT0_SA_ifPKiSC_iPKfiiiSE_SE_iiiii,comdat
.Lfunc_end366:
	.size	_ZN4vllm25paged_attention_v2_kernelI14__hip_bfloat16hLi120ELi16ELi128ELNS_18Fp8KVCacheDataTypeE1ELb0ELi512EEEvPfS3_PT_PKS4_PKT0_SA_ifPKiSC_iPKfiiiSE_SE_iiiii, .Lfunc_end366-_ZN4vllm25paged_attention_v2_kernelI14__hip_bfloat16hLi120ELi16ELi128ELNS_18Fp8KVCacheDataTypeE1ELb0ELi512EEEvPfS3_PT_PKS4_PKT0_SA_ifPKiSC_iPKfiiiSE_SE_iiiii
                                        ; -- End function
	.section	.AMDGPU.csdata,"",@progbits
; Kernel info:
; codeLenInByte = 244
; NumSgprs: 50
; NumVgprs: 64
; NumAgprs: 49
; TotalNumVgprs: 113
; ScratchSize: 136
; MemoryBound: 0
; FloatMode: 240
; IeeeMode: 1
; LDSByteSize: 256 bytes/workgroup (compile time only)
; SGPRBlocks: 6
; VGPRBlocks: 14
; NumSGPRsForWavesPerEU: 50
; NumVGPRsForWavesPerEU: 113
; AccumOffset: 64
; Occupancy: 4
; WaveLimiterHint : 1
; COMPUTE_PGM_RSRC2:SCRATCH_EN: 1
; COMPUTE_PGM_RSRC2:USER_SGPR: 8
; COMPUTE_PGM_RSRC2:TRAP_HANDLER: 0
; COMPUTE_PGM_RSRC2:TGID_X_EN: 1
; COMPUTE_PGM_RSRC2:TGID_Y_EN: 1
; COMPUTE_PGM_RSRC2:TGID_Z_EN: 1
; COMPUTE_PGM_RSRC2:TIDIG_COMP_CNT: 0
; COMPUTE_PGM_RSRC3_GFX90A:ACCUM_OFFSET: 15
; COMPUTE_PGM_RSRC3_GFX90A:TG_SPLIT: 0
	.text
	.p2align	2                               ; -- Begin function _ZN4vllm22paged_attention_kernelI14__hip_bfloat16hLi128ELi16ELi128ELNS_18Fp8KVCacheDataTypeE1ELb0ELi512EEEvPfS3_PT_PKS4_PKT0_SA_ifPKiSC_iPKfiiiSE_SE_iiiii
	.type	_ZN4vllm22paged_attention_kernelI14__hip_bfloat16hLi128ELi16ELi128ELNS_18Fp8KVCacheDataTypeE1ELb0ELi512EEEvPfS3_PT_PKS4_PKT0_SA_ifPKiSC_iPKfiiiSE_SE_iiiii,@function
_ZN4vllm22paged_attention_kernelI14__hip_bfloat16hLi128ELi16ELi128ELNS_18Fp8KVCacheDataTypeE1ELb0ELi512EEEvPfS3_PT_PKS4_PKT0_SA_ifPKiSC_iPKfiiiSE_SE_iiiii: ; @_ZN4vllm22paged_attention_kernelI14__hip_bfloat16hLi128ELi16ELi128ELNS_18Fp8KVCacheDataTypeE1ELb0ELi512EEEvPfS3_PT_PKS4_PKT0_SA_ifPKiSC_iPKfiiiSE_SE_iiiii
; %bb.0:
	s_waitcnt vmcnt(0) expcnt(0) lgkmcnt(0)
	s_or_saveexec_b64 s[4:5], -1
	buffer_store_dword v63, off, s[0:3], s32 offset:144 ; 4-byte Folded Spill
	s_mov_b64 exec, s[4:5]
	buffer_store_dword v40, off, s[0:3], s32 offset:140 ; 4-byte Folded Spill
	buffer_store_dword v41, off, s[0:3], s32 offset:136 ; 4-byte Folded Spill
	;; [unrolled: 1-line block ×35, first 2 shown]
	buffer_store_dword a52, off, s[0:3], s32 ; 4-byte Folded Spill
	v_writelane_b32 v63, s34, 0
	v_writelane_b32 v63, s35, 1
	;; [unrolled: 1-line block ×10, first 2 shown]
	s_mov_b32 s20, s13
	s_ashr_i32 s21, s13, 31
	s_lshl_b64 s[4:5], s[20:21], 2
	v_mov_b32_e32 v33, v1
	v_mov_b32_e32 v36, v0
	;; [unrolled: 1-line block ×3, first 2 shown]
	v_add_co_u32_e32 v0, vcc, s4, v16
	v_addc_co_u32_e32 v1, vcc, v17, v1, vcc
	flat_load_dword v32, v[0:1]
	s_lshl_b32 s38, s14, 9
	v_accvgpr_write_b32 a4, v22
	v_mov_b32_e32 v29, v20
	v_mov_b32_e32 v28, v19
	;; [unrolled: 1-line block ×6, first 2 shown]
	s_waitcnt vmcnt(0) lgkmcnt(0)
	v_cmp_lt_i32_e32 vcc, s38, v32
	s_and_saveexec_b64 s[18:19], vcc
	s_cbranch_execz .LBB367_880
; %bb.1:
	v_sub_u32_e32 v0, 0, v12
	v_max_i32_e32 v0, v12, v0
	v_cvt_f32_u32_e32 v1, v0
	s_load_dword s4, s[8:9], 0x10
	s_load_dword s6, s[8:9], 0x0
	v_sub_u32_e32 v3, 0, v0
	s_mov_b32 s22, s15
	v_rcp_iflag_f32_e32 v1, v1
	s_waitcnt lgkmcnt(0)
	s_lshr_b32 s4, s4, 16
	s_cmp_lg_u32 s4, 0
	s_cselect_b64 s[4:5], -1, 0
	v_mul_f32_e32 v1, 0x4f7ffffe, v1
	v_cvt_u32_f32_e32 v1, v1
	s_cmp_lg_u64 s[4:5], 0
	s_addc_u32 s21, s6, 0
	s_abs_i32 s4, s21
	v_mul_lo_u32 v3, v3, v1
	v_mul_hi_u32 v3, v1, v3
	v_add_u32_e32 v1, v1, v3
	v_mul_hi_u32 v1, s4, v1
	v_mul_lo_u32 v3, v1, v0
	v_sub_u32_e32 v3, s4, v3
	v_add_u32_e32 v4, 1, v1
	v_cmp_ge_u32_e32 vcc, v3, v0
	v_cndmask_b32_e32 v1, v1, v4, vcc
	v_sub_u32_e32 v4, v3, v0
	v_cndmask_b32_e32 v3, v3, v4, vcc
	v_xor_b32_e32 v2, s21, v12
	v_add_u32_e32 v4, 1, v1
	v_cmp_ge_u32_e32 vcc, v3, v0
	v_ashrrev_i32_e32 v2, 31, v2
	v_cndmask_b32_e32 v0, v1, v4, vcc
	v_xor_b32_e32 v0, v0, v2
	v_sub_u32_e32 v1, v0, v2
	v_sub_u32_e32 v0, 0, v1
	v_max_i32_e32 v0, v1, v0
	v_cvt_f32_u32_e32 v2, v0
	v_sub_u32_e32 v3, 0, v0
	s_abs_i32 s10, s12
	v_cmp_ne_u64_e32 vcc, 0, v[28:29]
	v_rcp_iflag_f32_e32 v2, v2
	v_mov_b32_e32 v39, 0
	v_mul_f32_e32 v2, 0x4f7ffffe, v2
	v_cvt_u32_f32_e32 v2, v2
	v_mul_lo_u32 v3, v3, v2
	v_mul_hi_u32 v3, v2, v3
	v_add_u32_e32 v2, v2, v3
	v_mad_u64_u32 v[16:17], s[4:5], s10, v2, 0
	s_and_saveexec_b64 s[4:5], vcc
	s_cbranch_execz .LBB367_3
; %bb.2:
	s_ashr_i32 s13, s12, 31
	s_lshl_b64 s[6:7], s[12:13], 2
	v_mov_b32_e32 v3, s7
	v_add_co_u32_e32 v2, vcc, s6, v28
	v_addc_co_u32_e32 v3, vcc, v29, v3, vcc
	flat_load_dword v39, v[2:3]
.LBB367_3:
	s_or_b64 exec, exec, s[4:5]
	v_and_b32_e32 v31, 0x3ff, v31
	s_ashr_i32 s11, s12, 31
	v_ashrrev_i32_e32 v1, 31, v1
	v_and_b32_e32 v2, 3, v31
	s_lshl_b32 s24, s12, 7
	v_cmp_gt_u32_e64 s[4:5], 64, v31
	s_and_saveexec_b64 s[6:7], s[4:5]
	s_cbranch_execz .LBB367_5
; %bb.4:
	v_mul_lo_u32 v4, s20, v21
	v_ashrrev_i32_e32 v5, 31, v4
	v_lshlrev_b64 v[4:5], 1, v[4:5]
	v_add_co_u32_e32 v3, vcc, v6, v4
	s_ashr_i32 s25, s24, 31
	v_addc_co_u32_e32 v4, vcc, v7, v5, vcc
	s_lshl_b64 s[16:17], s[24:25], 1
	v_mov_b32_e32 v5, s17
	v_add_co_u32_e32 v3, vcc, s16, v3
	v_addc_co_u32_e32 v5, vcc, v4, v5, vcc
	v_lshlrev_b32_e32 v4, 2, v31
	v_add_co_u32_e32 v4, vcc, v3, v4
	v_addc_co_u32_e32 v5, vcc, 0, v5, vcc
	flat_load_dword v3, v[4:5]
	v_and_b32_e32 v4, 0x3fc, v31
	v_lshl_add_u32 v4, v2, 6, v4
	s_waitcnt vmcnt(0) lgkmcnt(0)
	ds_write_b32 v4, v3
.LBB367_5:
	s_or_b64 exec, exec, s[6:7]
	v_add_u32_e32 v3, 15, v32
	v_ashrrev_i32_e32 v4, 31, v3
	v_lshrrev_b32_e32 v4, 28, v4
	v_add_u32_e32 v3, v3, v4
	v_ashrrev_i32_e32 v29, 4, v3
	v_mul_lo_u32 v3, v17, v0
	v_sub_u32_e32 v3, s10, v3
	v_add_u32_e32 v4, 1, v17
	v_cmp_ge_u32_e32 vcc, v3, v0
	v_sub_u32_e32 v5, v3, v0
	v_cndmask_b32_e32 v4, v17, v4, vcc
	v_cndmask_b32_e32 v3, v3, v5, vcc
	s_lshl_b32 s15, s14, 5
	v_add_u32_e32 v5, 1, v4
	v_cmp_ge_u32_e32 vcc, v3, v0
	s_add_i32 s6, s15, 32
	v_lshrrev_b32_e32 v28, 6, v31
	v_xor_b32_e32 v1, s11, v1
	v_cndmask_b32_e32 v0, v4, v5, vcc
	v_min_i32_e32 v12, s6, v29
	v_xor_b32_e32 v0, v0, v1
	v_mul_lo_u32 v6, s20, v18
	v_or_b32_e32 v16, s15, v28
	v_sub_u32_e32 v1, v0, v1
	v_ashrrev_i32_e32 v7, 31, v6
	v_cmp_lt_i32_e64 s[6:7], v16, v12
	v_accvgpr_write_b32 a3, v12
	v_cmp_ge_i32_e32 vcc, v16, v12
	v_mbcnt_lo_u32_b32 v0, -1, 0
	s_waitcnt lgkmcnt(0)
	s_barrier
	s_waitcnt lgkmcnt(0)
                                        ; implicit-def: $sgpr23
                                        ; implicit-def: $vgpr37
                                        ; implicit-def: $vgpr12
	s_and_saveexec_b64 s[10:11], vcc
	s_xor_b64 s[10:11], exec, s[10:11]
; %bb.6:
	v_mbcnt_hi_u32_b32 v37, -1, v0
	v_and_b32_e32 v0, 64, v37
	v_add_u32_e32 v12, 64, v0
	s_mov_b32 s23, 0xff7fffff
                                        ; implicit-def: $vgpr39
                                        ; implicit-def: $vgpr13
                                        ; implicit-def: $vgpr24
                                        ; implicit-def: $vgpr8
                                        ; implicit-def: $vgpr9
                                        ; implicit-def: $vgpr2
                                        ; implicit-def: $vgpr0
; %bb.7:
	s_or_saveexec_b64 s[16:17], s[10:11]
	s_load_dword s25, s[8:9], 0x14
	s_load_dword s13, s[8:9], 0x8
	v_mul_lo_u32 v1, v1, v23
	v_lshlrev_b64 v[4:5], 2, v[6:7]
	v_accvgpr_write_b32 a17, v1
	v_ashrrev_i32_e32 v1, 31, v1
	v_accvgpr_write_b32 a19, v5
	v_mov_b32_e32 v35, s23
	v_ashrrev_i32_e32 v17, 31, v16
	v_accvgpr_write_b32 a20, v1
	v_accvgpr_write_b32 a18, v4
	s_xor_b64 exec, exec, s[16:17]
	s_cbranch_execz .LBB367_333
; %bb.8:
	v_accvgpr_read_b32 v1, a17
	v_accvgpr_write_b32 a10, v10
	v_bfe_u32 v10, v31, 2, 4
	v_add_co_u32_e32 v1, vcc, v8, v1
	v_accvgpr_read_b32 v3, a20
	v_addc_co_u32_e32 v3, vcc, v9, v3, vcc
	v_lshlrev_b32_e32 v4, 4, v10
	v_add_co_u32_e32 v8, vcc, v1, v4
	v_lshlrev_b32_e32 v1, 6, v2
	ds_read_b128 v[4:7], v1
	v_accvgpr_write_b32 a8, v26
	v_lshlrev_b32_e32 v12, 1, v2
	v_accvgpr_write_b32 a16, v29
	v_accvgpr_write_b32 a14, v34
	;; [unrolled: 1-line block ×3, first 2 shown]
	ds_read_b128 v[18:21], v1 offset:16
	v_accvgpr_write_b32 a12, v36
	v_accvgpr_write_b32 a9, v27
	;; [unrolled: 1-line block ×3, first 2 shown]
	v_mov_b32_e32 v12, v28
	ds_read_b128 v[26:29], v1 offset:32
	ds_read_b128 v[34:37], v1 offset:48
	s_waitcnt lgkmcnt(0)
	v_and_b32_e32 v1, 0xffff0000, v4
	v_accvgpr_write_b32 a23, v1
	v_lshlrev_b32_e32 v1, 16, v5
	v_accvgpr_write_b32 a24, v1
	v_and_b32_e32 v1, 0xffff0000, v5
	v_accvgpr_write_b32 a25, v1
	v_lshlrev_b32_e32 v1, 16, v6
	v_accvgpr_write_b32 a26, v1
	;; [unrolled: 4-line block ×12, first 2 shown]
	v_accvgpr_write_b32 a7, v11
	v_accvgpr_write_b32 a46, v1
	v_and_b32_e32 v1, 0xffff0000, v34
	v_lshlrev_b32_e32 v33, 16, v37
	v_and_b32_e32 v11, 0xffff0000, v37
	v_mbcnt_hi_u32_b32 v37, -1, v0
	v_accvgpr_write_b32 a47, v1
	v_lshlrev_b32_e32 v1, 16, v35
	v_and_b32_e32 v0, 64, v37
	v_addc_co_u32_e32 v9, vcc, 0, v3, vcc
	v_accvgpr_write_b32 a48, v1
	v_and_b32_e32 v1, 0xffff0000, v35
	v_add_u32_e32 v3, 64, v0
	v_xor_b32_e32 v0, 2, v37
	v_accvgpr_write_b32 a49, v1
	v_lshlrev_b32_e32 v1, 16, v36
	v_cmp_lt_i32_e32 vcc, v0, v3
	v_accvgpr_write_b32 a50, v1
	v_and_b32_e32 v1, 0xffff0000, v36
	v_cndmask_b32_e32 v0, v37, v0, vcc
	s_ashr_i32 s23, s22, 31
	v_accvgpr_write_b32 a51, v1
	v_lshlrev_b32_e32 v1, 2, v0
	v_xor_b32_e32 v0, 1, v37
	s_lshl_b64 s[10:11], s[22:23], 2
	v_cmp_lt_i32_e32 vcc, v0, v3
	s_getpc_b64 s[26:27]
	s_add_u32 s26, s26, llvm.amdgcn.dynlds.offset.table@rel32@lo+4
	s_addc_u32 s27, s27, llvm.amdgcn.dynlds.offset.table@rel32@hi+12
	v_accvgpr_write_b32 a0, v22
	v_lshlrev_b32_e32 v22, 16, v4
	v_accvgpr_write_b32 a21, v3
	v_cndmask_b32_e32 v0, v37, v0, vcc
	v_cmp_eq_u32_e32 vcc, 0, v2
	s_add_u32 s26, s10, s26
	v_lshlrev_b64 v[2:3], 2, v[16:17]
	v_accvgpr_read_b32 v4, a18
	s_addc_u32 s27, s11, s27
	v_accvgpr_read_b32 v5, a19
	v_add_co_u32_e64 v2, s[10:11], v4, v2
	v_addc_co_u32_e64 v3, s[10:11], v5, v3, s[10:11]
	v_add_co_u32_e64 v18, s[10:11], v14, v2
	v_sub_u32_e32 v2, 1, v32
	v_addc_co_u32_e64 v19, s[10:11], v15, v3, s[10:11]
	v_accvgpr_write_b32 a52, v2
	v_lshlrev_b32_e32 v2, 4, v12
	v_lshlrev_b32_e32 v3, 2, v10
	v_accvgpr_write_b32 a1, v30
	v_accvgpr_write_b32 a2, v31
	v_mov_b32_e32 v23, 0
	v_lshlrev_b32_e32 v0, 2, v0
	s_waitcnt vmcnt(0)
	v_cmp_neq_f32_e64 s[8:9], 0, v39
	v_accvgpr_write_b32 a6, v14
	v_accvgpr_write_b32 a5, v15
	v_add3_u32 v2, s38, v2, v10
	v_mov_b32_e32 v10, v22
	v_accvgpr_write_b32 a15, v12
	v_lshl_or_b32 v29, v12, 6, v3
	s_mov_b64 s[28:29], 0
	v_mov_b32_e32 v35, 0xff7fffff
	s_movk_i32 s23, 0x80
	s_movk_i32 s39, 0x7f
	s_mov_b32 s40, 0x7f800000
	s_movk_i32 s41, 0x7fff
	v_bfrev_b32_e32 v3, 60
	v_mov_b32_e32 v15, v16
	s_branch .LBB367_10
.LBB367_9:                              ;   in Loop: Header=BB367_10 Depth=1
	s_or_b64 exec, exec, s[30:31]
	v_add_co_u32_e64 v18, s[10:11], 8, v18
	v_add_u32_e32 v15, 2, v15
	v_addc_co_u32_e64 v19, s[10:11], 0, v19, s[10:11]
	v_accvgpr_read_b32 v4, a3
	v_cmp_ge_i32_e64 s[10:11], v15, v4
	v_add_u32_e32 v2, 32, v2
	s_or_b64 s[28:29], s[10:11], s[28:29]
	v_add_u32_e32 v29, 0x80, v29
	s_andn2_b64 exec, exec, s[28:29]
	s_cbranch_execz .LBB367_332
.LBB367_10:                             ; =>This Inner Loop Header: Depth=1
	flat_load_dword v5, v[18:19]
	v_accvgpr_read_b32 v4, a4
	s_waitcnt vmcnt(0) lgkmcnt(0)
	v_mad_i64_i32 v[20:21], s[10:11], v5, v4, v[8:9]
	v_accvgpr_read_b32 v4, a22
	v_add_co_u32_e64 v20, s[10:11], v20, v4
	v_addc_co_u32_e64 v21, s[10:11], 0, v21, s[10:11]
	flat_load_ushort v5, v[20:21]
	flat_load_dword v14, v[24:25]
	s_waitcnt vmcnt(0) lgkmcnt(0)
	v_and_b32_e32 v28, 0xffff, v5
	v_cmp_ne_u16_sdwa s[10:11], v5, v23 src0_sel:BYTE_0 src1_sel:DWORD
	v_mov_b32_e32 v5, 0
	s_and_saveexec_b64 s[30:31], s[10:11]
	s_cbranch_execz .LBB367_16
; %bb.11:                               ;   in Loop: Header=BB367_10 Depth=1
	v_cmp_ne_u16_sdwa s[10:11], v28, s23 src0_sel:BYTE_0 src1_sel:DWORD
	v_bfrev_b32_e32 v5, 1
	s_and_saveexec_b64 s[34:35], s[10:11]
	s_cbranch_execz .LBB367_15
; %bb.12:                               ;   in Loop: Header=BB367_10 Depth=1
	v_and_b32_e32 v12, 0x7f, v28
	v_cmp_ne_u32_e64 s[10:11], s39, v12
	v_mov_b32_e32 v5, 0x7f800001
	s_and_saveexec_b64 s[36:37], s[10:11]
	s_cbranch_execz .LBB367_14
; %bb.13:                               ;   in Loop: Header=BB367_10 Depth=1
	v_and_b32_e32 v5, 7, v28
	v_ffbh_u32_e32 v7, v5
	v_min_u32_e32 v7, 32, v7
	v_subrev_u32_e32 v22, 28, v7
	v_lshlrev_b64 v[26:27], v22, v[28:29]
	v_lshrrev_b32_e32 v6, 3, v12
	v_sub_u32_e32 v7, 29, v7
	v_and_b32_e32 v22, 7, v26
	v_cmp_gt_u32_e64 s[10:11], 8, v12
	v_cndmask_b32_e64 v6, v6, v7, s[10:11]
	v_cndmask_b32_e64 v5, v5, v22, s[10:11]
	v_lshlrev_b32_e32 v7, 24, v28
	v_lshlrev_b32_e32 v5, 20, v5
	v_and_b32_e32 v7, 0x80000000, v7
	v_lshl_add_u32 v6, v6, 23, v3
	v_or3_b32 v5, v7, v6, v5
.LBB367_14:                             ;   in Loop: Header=BB367_10 Depth=1
	s_or_b64 exec, exec, s[36:37]
.LBB367_15:                             ;   in Loop: Header=BB367_10 Depth=1
	s_or_b64 exec, exec, s[34:35]
.LBB367_16:                             ;   in Loop: Header=BB367_10 Depth=1
	s_or_b64 exec, exec, s[30:31]
	v_mul_f32_e32 v5, v14, v5
	v_and_b32_e32 v6, 0x7f800000, v5
	v_cmp_ne_u32_e64 s[10:11], s40, v6
                                        ; implicit-def: $vgpr31
	s_and_saveexec_b64 s[30:31], s[10:11]
	s_xor_b64 s[10:11], exec, s[30:31]
; %bb.17:                               ;   in Loop: Header=BB367_10 Depth=1
	v_bfe_u32 v6, v5, 16, 1
	v_add3_u32 v31, v5, v6, s41
                                        ; implicit-def: $vgpr5
; %bb.18:                               ;   in Loop: Header=BB367_10 Depth=1
	s_andn2_saveexec_b64 s[30:31], s[10:11]
; %bb.19:                               ;   in Loop: Header=BB367_10 Depth=1
	v_or_b32_e32 v6, 0x10000, v5
	v_cmp_eq_u32_sdwa s[10:11], v5, v23 src0_sel:WORD_0 src1_sel:DWORD
	v_cndmask_b32_e64 v31, v6, v5, s[10:11]
; %bb.20:                               ;   in Loop: Header=BB367_10 Depth=1
	s_or_b64 exec, exec, s[30:31]
	v_lshrrev_b16_e32 v30, 8, v28
	v_cmp_ne_u16_e64 s[10:11], 0, v30
	v_mov_b32_e32 v12, 0
	s_and_saveexec_b64 s[30:31], s[10:11]
	s_cbranch_execz .LBB367_26
; %bb.21:                               ;   in Loop: Header=BB367_10 Depth=1
	v_cmp_ne_u16_e64 s[10:11], s23, v30
	v_bfrev_b32_e32 v12, 1
	s_and_saveexec_b64 s[34:35], s[10:11]
	s_cbranch_execz .LBB367_25
; %bb.22:                               ;   in Loop: Header=BB367_10 Depth=1
	v_and_b32_e32 v5, 0x7f, v30
	v_cmp_ne_u32_e64 s[10:11], s39, v5
	v_mov_b32_e32 v12, 0x7f800001
	s_and_saveexec_b64 s[36:37], s[10:11]
	s_cbranch_execz .LBB367_24
; %bb.23:                               ;   in Loop: Header=BB367_10 Depth=1
	v_and_b32_e32 v6, 7, v30
	v_ffbh_u32_e32 v12, v6
	v_min_u32_e32 v12, 32, v12
	v_subrev_u32_e32 v22, 28, v12
	v_lshlrev_b64 v[26:27], v22, v[30:31]
	v_lshrrev_b32_e32 v7, 3, v5
	v_sub_u32_e32 v12, 29, v12
	v_and_b32_e32 v22, 7, v26
	v_cmp_gt_u32_e64 s[10:11], 8, v5
	v_cndmask_b32_e64 v5, v7, v12, s[10:11]
	v_cndmask_b32_e64 v6, v6, v22, s[10:11]
	v_lshlrev_b32_e32 v7, 16, v28
	v_lshlrev_b32_e32 v6, 20, v6
	v_and_b32_e32 v7, 0x80000000, v7
	v_lshl_add_u32 v5, v5, 23, v3
	v_or3_b32 v12, v7, v5, v6
.LBB367_24:                             ;   in Loop: Header=BB367_10 Depth=1
	s_or_b64 exec, exec, s[36:37]
.LBB367_25:                             ;   in Loop: Header=BB367_10 Depth=1
	s_or_b64 exec, exec, s[34:35]
.LBB367_26:                             ;   in Loop: Header=BB367_10 Depth=1
	s_or_b64 exec, exec, s[30:31]
	v_mul_f32_e32 v5, v14, v12
	v_and_b32_e32 v6, 0x7f800000, v5
	v_cmp_ne_u32_e64 s[10:11], s40, v6
                                        ; implicit-def: $vgpr26
	s_and_saveexec_b64 s[30:31], s[10:11]
	s_xor_b64 s[10:11], exec, s[30:31]
; %bb.27:                               ;   in Loop: Header=BB367_10 Depth=1
	v_bfe_u32 v6, v5, 16, 1
	v_add3_u32 v26, v5, v6, s41
                                        ; implicit-def: $vgpr5
; %bb.28:                               ;   in Loop: Header=BB367_10 Depth=1
	s_andn2_saveexec_b64 s[30:31], s[10:11]
; %bb.29:                               ;   in Loop: Header=BB367_10 Depth=1
	v_or_b32_e32 v6, 0x10000, v5
	v_cmp_eq_u32_sdwa s[10:11], v5, v23 src0_sel:WORD_0 src1_sel:DWORD
	v_cndmask_b32_e64 v26, v6, v5, s[10:11]
; %bb.30:                               ;   in Loop: Header=BB367_10 Depth=1
	s_or_b64 exec, exec, s[30:31]
	flat_load_ushort v5, v[20:21] offset:8
	v_mov_b32_e32 v12, 0
	s_waitcnt vmcnt(0) lgkmcnt(0)
	v_and_b32_e32 v28, 0xffff, v5
	v_cmp_ne_u16_sdwa s[10:11], v5, v23 src0_sel:BYTE_0 src1_sel:DWORD
	s_and_saveexec_b64 s[30:31], s[10:11]
	s_cbranch_execz .LBB367_36
; %bb.31:                               ;   in Loop: Header=BB367_10 Depth=1
	v_cmp_ne_u16_sdwa s[10:11], v28, s23 src0_sel:BYTE_0 src1_sel:DWORD
	v_bfrev_b32_e32 v12, 1
	s_and_saveexec_b64 s[34:35], s[10:11]
	s_cbranch_execz .LBB367_35
; %bb.32:                               ;   in Loop: Header=BB367_10 Depth=1
	v_and_b32_e32 v5, 0x7f, v28
	v_cmp_ne_u32_e64 s[10:11], s39, v5
	v_mov_b32_e32 v12, 0x7f800001
	s_and_saveexec_b64 s[36:37], s[10:11]
	s_cbranch_execz .LBB367_34
; %bb.33:                               ;   in Loop: Header=BB367_10 Depth=1
	v_and_b32_e32 v6, 7, v28
	v_ffbh_u32_e32 v12, v6
	v_min_u32_e32 v12, 32, v12
	v_subrev_u32_e32 v22, 28, v12
	v_lshlrev_b64 v[48:49], v22, v[28:29]
	v_lshrrev_b32_e32 v7, 3, v5
	v_sub_u32_e32 v12, 29, v12
	v_and_b32_e32 v22, 7, v48
	v_cmp_gt_u32_e64 s[10:11], 8, v5
	v_cndmask_b32_e64 v5, v7, v12, s[10:11]
	v_cndmask_b32_e64 v6, v6, v22, s[10:11]
	v_lshlrev_b32_e32 v7, 24, v28
	v_lshlrev_b32_e32 v6, 20, v6
	v_and_b32_e32 v7, 0x80000000, v7
	v_lshl_add_u32 v5, v5, 23, v3
	v_or3_b32 v12, v7, v5, v6
.LBB367_34:                             ;   in Loop: Header=BB367_10 Depth=1
	s_or_b64 exec, exec, s[36:37]
.LBB367_35:                             ;   in Loop: Header=BB367_10 Depth=1
	s_or_b64 exec, exec, s[34:35]
.LBB367_36:                             ;   in Loop: Header=BB367_10 Depth=1
	s_or_b64 exec, exec, s[30:31]
	v_mul_f32_e32 v5, v14, v12
	v_and_b32_e32 v6, 0x7f800000, v5
	v_cmp_ne_u32_e64 s[10:11], s40, v6
                                        ; implicit-def: $vgpr27
	s_and_saveexec_b64 s[30:31], s[10:11]
	s_xor_b64 s[10:11], exec, s[30:31]
; %bb.37:                               ;   in Loop: Header=BB367_10 Depth=1
	v_bfe_u32 v6, v5, 16, 1
	v_add3_u32 v27, v5, v6, s41
                                        ; implicit-def: $vgpr5
; %bb.38:                               ;   in Loop: Header=BB367_10 Depth=1
	s_andn2_saveexec_b64 s[30:31], s[10:11]
; %bb.39:                               ;   in Loop: Header=BB367_10 Depth=1
	v_or_b32_e32 v6, 0x10000, v5
	v_cmp_eq_u32_sdwa s[10:11], v5, v23 src0_sel:WORD_0 src1_sel:DWORD
	v_cndmask_b32_e64 v27, v6, v5, s[10:11]
; %bb.40:                               ;   in Loop: Header=BB367_10 Depth=1
	s_or_b64 exec, exec, s[30:31]
	v_lshrrev_b16_e32 v30, 8, v28
	v_cmp_ne_u16_e64 s[10:11], 0, v30
	v_mov_b32_e32 v12, 0
	s_and_saveexec_b64 s[30:31], s[10:11]
	s_cbranch_execz .LBB367_46
; %bb.41:                               ;   in Loop: Header=BB367_10 Depth=1
	v_cmp_ne_u16_e64 s[10:11], s23, v30
	v_bfrev_b32_e32 v12, 1
	s_and_saveexec_b64 s[34:35], s[10:11]
	s_cbranch_execz .LBB367_45
; %bb.42:                               ;   in Loop: Header=BB367_10 Depth=1
	v_and_b32_e32 v5, 0x7f, v30
	v_cmp_ne_u32_e64 s[10:11], s39, v5
	v_mov_b32_e32 v12, 0x7f800001
	s_and_saveexec_b64 s[36:37], s[10:11]
	s_cbranch_execz .LBB367_44
; %bb.43:                               ;   in Loop: Header=BB367_10 Depth=1
	v_and_b32_e32 v6, 7, v30
	v_ffbh_u32_e32 v12, v6
	v_min_u32_e32 v12, 32, v12
	v_subrev_u32_e32 v22, 28, v12
	v_lshlrev_b64 v[48:49], v22, v[30:31]
	v_lshrrev_b32_e32 v7, 3, v5
	v_sub_u32_e32 v12, 29, v12
	v_and_b32_e32 v22, 7, v48
	v_cmp_gt_u32_e64 s[10:11], 8, v5
	v_cndmask_b32_e64 v5, v7, v12, s[10:11]
	v_cndmask_b32_e64 v6, v6, v22, s[10:11]
	v_lshlrev_b32_e32 v7, 16, v28
	v_lshlrev_b32_e32 v6, 20, v6
	v_and_b32_e32 v7, 0x80000000, v7
	v_lshl_add_u32 v5, v5, 23, v3
	v_or3_b32 v12, v7, v5, v6
.LBB367_44:                             ;   in Loop: Header=BB367_10 Depth=1
	s_or_b64 exec, exec, s[36:37]
.LBB367_45:                             ;   in Loop: Header=BB367_10 Depth=1
	s_or_b64 exec, exec, s[34:35]
.LBB367_46:                             ;   in Loop: Header=BB367_10 Depth=1
	s_or_b64 exec, exec, s[30:31]
	v_mul_f32_e32 v5, v14, v12
	v_and_b32_e32 v6, 0x7f800000, v5
	v_cmp_ne_u32_e64 s[10:11], s40, v6
                                        ; implicit-def: $vgpr38
	s_and_saveexec_b64 s[30:31], s[10:11]
	s_xor_b64 s[10:11], exec, s[30:31]
; %bb.47:                               ;   in Loop: Header=BB367_10 Depth=1
	v_bfe_u32 v6, v5, 16, 1
	v_add3_u32 v38, v5, v6, s41
                                        ; implicit-def: $vgpr5
; %bb.48:                               ;   in Loop: Header=BB367_10 Depth=1
	s_andn2_saveexec_b64 s[30:31], s[10:11]
; %bb.49:                               ;   in Loop: Header=BB367_10 Depth=1
	v_or_b32_e32 v6, 0x10000, v5
	v_cmp_eq_u32_sdwa s[10:11], v5, v23 src0_sel:WORD_0 src1_sel:DWORD
	v_cndmask_b32_e64 v38, v6, v5, s[10:11]
; %bb.50:                               ;   in Loop: Header=BB367_10 Depth=1
	s_or_b64 exec, exec, s[30:31]
	flat_load_ushort v5, v[20:21] offset:256
	v_mov_b32_e32 v12, 0
	s_waitcnt vmcnt(0) lgkmcnt(0)
	v_and_b32_e32 v28, 0xffff, v5
	v_cmp_ne_u16_sdwa s[10:11], v5, v23 src0_sel:BYTE_0 src1_sel:DWORD
	s_and_saveexec_b64 s[30:31], s[10:11]
	s_cbranch_execz .LBB367_56
; %bb.51:                               ;   in Loop: Header=BB367_10 Depth=1
	v_cmp_ne_u16_sdwa s[10:11], v28, s23 src0_sel:BYTE_0 src1_sel:DWORD
	v_bfrev_b32_e32 v12, 1
	s_and_saveexec_b64 s[34:35], s[10:11]
	s_cbranch_execz .LBB367_55
; %bb.52:                               ;   in Loop: Header=BB367_10 Depth=1
	v_and_b32_e32 v5, 0x7f, v28
	v_cmp_ne_u32_e64 s[10:11], s39, v5
	v_mov_b32_e32 v12, 0x7f800001
	s_and_saveexec_b64 s[36:37], s[10:11]
	s_cbranch_execz .LBB367_54
; %bb.53:                               ;   in Loop: Header=BB367_10 Depth=1
	v_and_b32_e32 v6, 7, v28
	v_ffbh_u32_e32 v12, v6
	v_min_u32_e32 v12, 32, v12
	v_subrev_u32_e32 v22, 28, v12
	v_lshlrev_b64 v[48:49], v22, v[28:29]
	v_lshrrev_b32_e32 v7, 3, v5
	v_sub_u32_e32 v12, 29, v12
	v_and_b32_e32 v22, 7, v48
	v_cmp_gt_u32_e64 s[10:11], 8, v5
	v_cndmask_b32_e64 v5, v7, v12, s[10:11]
	v_cndmask_b32_e64 v6, v6, v22, s[10:11]
	v_lshlrev_b32_e32 v7, 24, v28
	v_lshlrev_b32_e32 v6, 20, v6
	v_and_b32_e32 v7, 0x80000000, v7
	v_lshl_add_u32 v5, v5, 23, v3
	v_or3_b32 v12, v7, v5, v6
.LBB367_54:                             ;   in Loop: Header=BB367_10 Depth=1
	s_or_b64 exec, exec, s[36:37]
.LBB367_55:                             ;   in Loop: Header=BB367_10 Depth=1
	s_or_b64 exec, exec, s[34:35]
.LBB367_56:                             ;   in Loop: Header=BB367_10 Depth=1
	s_or_b64 exec, exec, s[30:31]
	v_mul_f32_e32 v5, v14, v12
	v_and_b32_e32 v6, 0x7f800000, v5
	v_cmp_ne_u32_e64 s[10:11], s40, v6
                                        ; implicit-def: $vgpr12
	s_and_saveexec_b64 s[30:31], s[10:11]
	s_xor_b64 s[10:11], exec, s[30:31]
; %bb.57:                               ;   in Loop: Header=BB367_10 Depth=1
	v_bfe_u32 v6, v5, 16, 1
	v_add3_u32 v12, v5, v6, s41
                                        ; implicit-def: $vgpr5
; %bb.58:                               ;   in Loop: Header=BB367_10 Depth=1
	s_andn2_saveexec_b64 s[30:31], s[10:11]
; %bb.59:                               ;   in Loop: Header=BB367_10 Depth=1
	v_or_b32_e32 v6, 0x10000, v5
	v_cmp_eq_u32_sdwa s[10:11], v5, v23 src0_sel:WORD_0 src1_sel:DWORD
	v_cndmask_b32_e64 v12, v6, v5, s[10:11]
; %bb.60:                               ;   in Loop: Header=BB367_10 Depth=1
	s_or_b64 exec, exec, s[30:31]
	v_lshrrev_b16_e32 v30, 8, v28
	v_cmp_ne_u16_e64 s[10:11], 0, v30
	v_mov_b32_e32 v36, 0
	s_and_saveexec_b64 s[30:31], s[10:11]
	s_cbranch_execz .LBB367_66
; %bb.61:                               ;   in Loop: Header=BB367_10 Depth=1
	v_cmp_ne_u16_e64 s[10:11], s23, v30
	v_bfrev_b32_e32 v36, 1
	s_and_saveexec_b64 s[34:35], s[10:11]
	s_cbranch_execz .LBB367_65
; %bb.62:                               ;   in Loop: Header=BB367_10 Depth=1
	v_and_b32_e32 v5, 0x7f, v30
	v_cmp_ne_u32_e64 s[10:11], s39, v5
	v_mov_b32_e32 v36, 0x7f800001
	s_and_saveexec_b64 s[36:37], s[10:11]
	s_cbranch_execz .LBB367_64
; %bb.63:                               ;   in Loop: Header=BB367_10 Depth=1
	v_and_b32_e32 v6, 7, v30
	v_ffbh_u32_e32 v22, v6
	v_min_u32_e32 v22, 32, v22
	v_subrev_u32_e32 v36, 28, v22
	v_lshlrev_b64 v[48:49], v36, v[30:31]
	v_lshrrev_b32_e32 v7, 3, v5
	v_sub_u32_e32 v22, 29, v22
	v_and_b32_e32 v30, 7, v48
	v_cmp_gt_u32_e64 s[10:11], 8, v5
	v_cndmask_b32_e64 v5, v7, v22, s[10:11]
	v_cndmask_b32_e64 v6, v6, v30, s[10:11]
	v_lshlrev_b32_e32 v7, 16, v28
	v_lshlrev_b32_e32 v6, 20, v6
	v_and_b32_e32 v7, 0x80000000, v7
	v_lshl_add_u32 v5, v5, 23, v3
	v_or3_b32 v36, v7, v5, v6
.LBB367_64:                             ;   in Loop: Header=BB367_10 Depth=1
	s_or_b64 exec, exec, s[36:37]
.LBB367_65:                             ;   in Loop: Header=BB367_10 Depth=1
	s_or_b64 exec, exec, s[34:35]
.LBB367_66:                             ;   in Loop: Header=BB367_10 Depth=1
	s_or_b64 exec, exec, s[30:31]
	v_mul_f32_e32 v5, v14, v36
	v_and_b32_e32 v6, 0x7f800000, v5
	v_cmp_ne_u32_e64 s[10:11], s40, v6
                                        ; implicit-def: $vgpr48
	s_and_saveexec_b64 s[30:31], s[10:11]
	s_xor_b64 s[10:11], exec, s[30:31]
; %bb.67:                               ;   in Loop: Header=BB367_10 Depth=1
	v_bfe_u32 v6, v5, 16, 1
	v_add3_u32 v48, v5, v6, s41
                                        ; implicit-def: $vgpr5
; %bb.68:                               ;   in Loop: Header=BB367_10 Depth=1
	s_andn2_saveexec_b64 s[30:31], s[10:11]
; %bb.69:                               ;   in Loop: Header=BB367_10 Depth=1
	v_or_b32_e32 v6, 0x10000, v5
	v_cmp_eq_u32_sdwa s[10:11], v5, v23 src0_sel:WORD_0 src1_sel:DWORD
	v_cndmask_b32_e64 v48, v6, v5, s[10:11]
; %bb.70:                               ;   in Loop: Header=BB367_10 Depth=1
	s_or_b64 exec, exec, s[30:31]
	flat_load_ushort v5, v[20:21] offset:264
	v_mov_b32_e32 v30, 0
	s_waitcnt vmcnt(0) lgkmcnt(0)
	v_and_b32_e32 v28, 0xffff, v5
	v_cmp_ne_u16_sdwa s[10:11], v5, v23 src0_sel:BYTE_0 src1_sel:DWORD
	s_and_saveexec_b64 s[30:31], s[10:11]
	s_cbranch_execz .LBB367_76
; %bb.71:                               ;   in Loop: Header=BB367_10 Depth=1
	v_cmp_ne_u16_sdwa s[10:11], v28, s23 src0_sel:BYTE_0 src1_sel:DWORD
	v_bfrev_b32_e32 v30, 1
	s_and_saveexec_b64 s[34:35], s[10:11]
	s_cbranch_execz .LBB367_75
; %bb.72:                               ;   in Loop: Header=BB367_10 Depth=1
	v_and_b32_e32 v5, 0x7f, v28
	v_cmp_ne_u32_e64 s[10:11], s39, v5
	v_mov_b32_e32 v30, 0x7f800001
	s_and_saveexec_b64 s[36:37], s[10:11]
	s_cbranch_execz .LBB367_74
; %bb.73:                               ;   in Loop: Header=BB367_10 Depth=1
	v_and_b32_e32 v6, 7, v28
	v_ffbh_u32_e32 v22, v6
	v_min_u32_e32 v22, 32, v22
	v_subrev_u32_e32 v30, 28, v22
	v_lshlrev_b64 v[50:51], v30, v[28:29]
	v_lshrrev_b32_e32 v7, 3, v5
	v_sub_u32_e32 v22, 29, v22
	v_and_b32_e32 v30, 7, v50
	v_cmp_gt_u32_e64 s[10:11], 8, v5
	v_cndmask_b32_e64 v5, v7, v22, s[10:11]
	v_cndmask_b32_e64 v6, v6, v30, s[10:11]
	v_lshlrev_b32_e32 v7, 24, v28
	v_lshlrev_b32_e32 v6, 20, v6
	v_and_b32_e32 v7, 0x80000000, v7
	v_lshl_add_u32 v5, v5, 23, v3
	v_or3_b32 v30, v7, v5, v6
.LBB367_74:                             ;   in Loop: Header=BB367_10 Depth=1
	s_or_b64 exec, exec, s[36:37]
.LBB367_75:                             ;   in Loop: Header=BB367_10 Depth=1
	s_or_b64 exec, exec, s[34:35]
.LBB367_76:                             ;   in Loop: Header=BB367_10 Depth=1
	s_or_b64 exec, exec, s[30:31]
	v_mul_f32_e32 v5, v14, v30
	v_and_b32_e32 v6, 0x7f800000, v5
	v_cmp_ne_u32_e64 s[10:11], s40, v6
                                        ; implicit-def: $vgpr49
	s_and_saveexec_b64 s[30:31], s[10:11]
	s_xor_b64 s[10:11], exec, s[30:31]
; %bb.77:                               ;   in Loop: Header=BB367_10 Depth=1
	v_bfe_u32 v6, v5, 16, 1
	v_add3_u32 v49, v5, v6, s41
                                        ; implicit-def: $vgpr5
; %bb.78:                               ;   in Loop: Header=BB367_10 Depth=1
	s_andn2_saveexec_b64 s[30:31], s[10:11]
; %bb.79:                               ;   in Loop: Header=BB367_10 Depth=1
	v_or_b32_e32 v6, 0x10000, v5
	v_cmp_eq_u32_sdwa s[10:11], v5, v23 src0_sel:WORD_0 src1_sel:DWORD
	v_cndmask_b32_e64 v49, v6, v5, s[10:11]
; %bb.80:                               ;   in Loop: Header=BB367_10 Depth=1
	s_or_b64 exec, exec, s[30:31]
	v_lshrrev_b16_e32 v30, 8, v28
	v_cmp_ne_u16_e64 s[10:11], 0, v30
	v_mov_b32_e32 v36, 0
	s_and_saveexec_b64 s[30:31], s[10:11]
	s_cbranch_execz .LBB367_86
; %bb.81:                               ;   in Loop: Header=BB367_10 Depth=1
	v_cmp_ne_u16_e64 s[10:11], s23, v30
	v_bfrev_b32_e32 v36, 1
	s_and_saveexec_b64 s[34:35], s[10:11]
	s_cbranch_execz .LBB367_85
; %bb.82:                               ;   in Loop: Header=BB367_10 Depth=1
	v_and_b32_e32 v5, 0x7f, v30
	v_cmp_ne_u32_e64 s[10:11], s39, v5
	v_mov_b32_e32 v36, 0x7f800001
	s_and_saveexec_b64 s[36:37], s[10:11]
	s_cbranch_execz .LBB367_84
; %bb.83:                               ;   in Loop: Header=BB367_10 Depth=1
	v_and_b32_e32 v6, 7, v30
	v_ffbh_u32_e32 v22, v6
	v_min_u32_e32 v22, 32, v22
	v_subrev_u32_e32 v36, 28, v22
	v_lshlrev_b64 v[50:51], v36, v[30:31]
	v_lshrrev_b32_e32 v7, 3, v5
	v_sub_u32_e32 v22, 29, v22
	v_and_b32_e32 v30, 7, v50
	v_cmp_gt_u32_e64 s[10:11], 8, v5
	v_cndmask_b32_e64 v5, v7, v22, s[10:11]
	v_cndmask_b32_e64 v6, v6, v30, s[10:11]
	v_lshlrev_b32_e32 v7, 16, v28
	v_lshlrev_b32_e32 v6, 20, v6
	v_and_b32_e32 v7, 0x80000000, v7
	v_lshl_add_u32 v5, v5, 23, v3
	v_or3_b32 v36, v7, v5, v6
.LBB367_84:                             ;   in Loop: Header=BB367_10 Depth=1
	s_or_b64 exec, exec, s[36:37]
.LBB367_85:                             ;   in Loop: Header=BB367_10 Depth=1
	s_or_b64 exec, exec, s[34:35]
.LBB367_86:                             ;   in Loop: Header=BB367_10 Depth=1
	s_or_b64 exec, exec, s[30:31]
	v_mul_f32_e32 v5, v14, v36
	v_and_b32_e32 v6, 0x7f800000, v5
	v_cmp_ne_u32_e64 s[10:11], s40, v6
                                        ; implicit-def: $vgpr50
	s_and_saveexec_b64 s[30:31], s[10:11]
	s_xor_b64 s[10:11], exec, s[30:31]
; %bb.87:                               ;   in Loop: Header=BB367_10 Depth=1
	v_bfe_u32 v6, v5, 16, 1
	v_add3_u32 v50, v5, v6, s41
                                        ; implicit-def: $vgpr5
; %bb.88:                               ;   in Loop: Header=BB367_10 Depth=1
	s_andn2_saveexec_b64 s[30:31], s[10:11]
; %bb.89:                               ;   in Loop: Header=BB367_10 Depth=1
	v_or_b32_e32 v6, 0x10000, v5
	v_cmp_eq_u32_sdwa s[10:11], v5, v23 src0_sel:WORD_0 src1_sel:DWORD
	v_cndmask_b32_e64 v50, v6, v5, s[10:11]
; %bb.90:                               ;   in Loop: Header=BB367_10 Depth=1
	s_or_b64 exec, exec, s[30:31]
	flat_load_ushort v5, v[20:21] offset:512
	v_mov_b32_e32 v30, 0
	s_waitcnt vmcnt(0) lgkmcnt(0)
	v_and_b32_e32 v28, 0xffff, v5
	v_cmp_ne_u16_sdwa s[10:11], v5, v23 src0_sel:BYTE_0 src1_sel:DWORD
	s_and_saveexec_b64 s[30:31], s[10:11]
	s_cbranch_execz .LBB367_96
; %bb.91:                               ;   in Loop: Header=BB367_10 Depth=1
	v_cmp_ne_u16_sdwa s[10:11], v28, s23 src0_sel:BYTE_0 src1_sel:DWORD
	v_bfrev_b32_e32 v30, 1
	s_and_saveexec_b64 s[34:35], s[10:11]
	s_cbranch_execz .LBB367_95
; %bb.92:                               ;   in Loop: Header=BB367_10 Depth=1
	v_and_b32_e32 v5, 0x7f, v28
	v_cmp_ne_u32_e64 s[10:11], s39, v5
	v_mov_b32_e32 v30, 0x7f800001
	s_and_saveexec_b64 s[36:37], s[10:11]
	s_cbranch_execz .LBB367_94
; %bb.93:                               ;   in Loop: Header=BB367_10 Depth=1
	v_and_b32_e32 v6, 7, v28
	v_ffbh_u32_e32 v22, v6
	v_min_u32_e32 v22, 32, v22
	v_subrev_u32_e32 v30, 28, v22
	v_lshlrev_b64 v[52:53], v30, v[28:29]
	v_lshrrev_b32_e32 v7, 3, v5
	v_sub_u32_e32 v22, 29, v22
	v_and_b32_e32 v30, 7, v52
	v_cmp_gt_u32_e64 s[10:11], 8, v5
	v_cndmask_b32_e64 v5, v7, v22, s[10:11]
	v_cndmask_b32_e64 v6, v6, v30, s[10:11]
	v_lshlrev_b32_e32 v7, 24, v28
	v_lshlrev_b32_e32 v6, 20, v6
	v_and_b32_e32 v7, 0x80000000, v7
	v_lshl_add_u32 v5, v5, 23, v3
	v_or3_b32 v30, v7, v5, v6
.LBB367_94:                             ;   in Loop: Header=BB367_10 Depth=1
	s_or_b64 exec, exec, s[36:37]
.LBB367_95:                             ;   in Loop: Header=BB367_10 Depth=1
	s_or_b64 exec, exec, s[34:35]
.LBB367_96:                             ;   in Loop: Header=BB367_10 Depth=1
	s_or_b64 exec, exec, s[30:31]
	v_mul_f32_e32 v5, v14, v30
	v_and_b32_e32 v6, 0x7f800000, v5
	v_cmp_ne_u32_e64 s[10:11], s40, v6
                                        ; implicit-def: $vgpr51
	s_and_saveexec_b64 s[30:31], s[10:11]
	s_xor_b64 s[10:11], exec, s[30:31]
; %bb.97:                               ;   in Loop: Header=BB367_10 Depth=1
	v_bfe_u32 v6, v5, 16, 1
	v_add3_u32 v51, v5, v6, s41
                                        ; implicit-def: $vgpr5
; %bb.98:                               ;   in Loop: Header=BB367_10 Depth=1
	s_andn2_saveexec_b64 s[30:31], s[10:11]
; %bb.99:                               ;   in Loop: Header=BB367_10 Depth=1
	v_or_b32_e32 v6, 0x10000, v5
	v_cmp_eq_u32_sdwa s[10:11], v5, v23 src0_sel:WORD_0 src1_sel:DWORD
	v_cndmask_b32_e64 v51, v6, v5, s[10:11]
; %bb.100:                              ;   in Loop: Header=BB367_10 Depth=1
	s_or_b64 exec, exec, s[30:31]
	v_lshrrev_b16_e32 v30, 8, v28
	v_cmp_ne_u16_e64 s[10:11], 0, v30
	v_mov_b32_e32 v36, 0
	s_and_saveexec_b64 s[30:31], s[10:11]
	s_cbranch_execz .LBB367_106
; %bb.101:                              ;   in Loop: Header=BB367_10 Depth=1
	v_cmp_ne_u16_e64 s[10:11], s23, v30
	v_bfrev_b32_e32 v36, 1
	s_and_saveexec_b64 s[34:35], s[10:11]
	s_cbranch_execz .LBB367_105
; %bb.102:                              ;   in Loop: Header=BB367_10 Depth=1
	v_and_b32_e32 v5, 0x7f, v30
	v_cmp_ne_u32_e64 s[10:11], s39, v5
	v_mov_b32_e32 v36, 0x7f800001
	s_and_saveexec_b64 s[36:37], s[10:11]
	s_cbranch_execz .LBB367_104
; %bb.103:                              ;   in Loop: Header=BB367_10 Depth=1
	v_and_b32_e32 v6, 7, v30
	v_lshrrev_b32_e32 v7, 3, v5
	v_cmp_gt_u32_e64 s[10:11], 8, v5
	v_ffbh_u32_e32 v5, v6
	v_min_u32_e32 v5, 32, v5
	v_subrev_u32_e32 v22, 28, v5
	v_lshlrev_b64 v[52:53], v22, v[30:31]
	v_sub_u32_e32 v5, 29, v5
	v_and_b32_e32 v22, 7, v52
	v_cndmask_b32_e64 v5, v7, v5, s[10:11]
	v_cndmask_b32_e64 v6, v6, v22, s[10:11]
	v_lshlrev_b32_e32 v7, 16, v28
	v_lshlrev_b32_e32 v6, 20, v6
	v_and_b32_e32 v7, 0x80000000, v7
	v_lshl_add_u32 v5, v5, 23, v3
	v_or3_b32 v36, v7, v5, v6
.LBB367_104:                            ;   in Loop: Header=BB367_10 Depth=1
	s_or_b64 exec, exec, s[36:37]
.LBB367_105:                            ;   in Loop: Header=BB367_10 Depth=1
	s_or_b64 exec, exec, s[34:35]
.LBB367_106:                            ;   in Loop: Header=BB367_10 Depth=1
	s_or_b64 exec, exec, s[30:31]
	v_mul_f32_e32 v5, v14, v36
	v_and_b32_e32 v6, 0x7f800000, v5
	v_cmp_ne_u32_e64 s[10:11], s40, v6
                                        ; implicit-def: $vgpr52
	s_and_saveexec_b64 s[30:31], s[10:11]
	s_xor_b64 s[10:11], exec, s[30:31]
; %bb.107:                              ;   in Loop: Header=BB367_10 Depth=1
	v_bfe_u32 v6, v5, 16, 1
	v_add3_u32 v52, v5, v6, s41
                                        ; implicit-def: $vgpr5
; %bb.108:                              ;   in Loop: Header=BB367_10 Depth=1
	s_andn2_saveexec_b64 s[30:31], s[10:11]
; %bb.109:                              ;   in Loop: Header=BB367_10 Depth=1
	v_or_b32_e32 v6, 0x10000, v5
	v_cmp_eq_u32_sdwa s[10:11], v5, v23 src0_sel:WORD_0 src1_sel:DWORD
	v_cndmask_b32_e64 v52, v6, v5, s[10:11]
; %bb.110:                              ;   in Loop: Header=BB367_10 Depth=1
	s_or_b64 exec, exec, s[30:31]
	flat_load_ushort v5, v[20:21] offset:520
	v_mov_b32_e32 v30, 0
	s_waitcnt vmcnt(0) lgkmcnt(0)
	v_and_b32_e32 v28, 0xffff, v5
	v_cmp_ne_u16_sdwa s[10:11], v5, v23 src0_sel:BYTE_0 src1_sel:DWORD
	s_and_saveexec_b64 s[30:31], s[10:11]
	s_cbranch_execz .LBB367_116
; %bb.111:                              ;   in Loop: Header=BB367_10 Depth=1
	v_cmp_ne_u16_sdwa s[10:11], v28, s23 src0_sel:BYTE_0 src1_sel:DWORD
	v_bfrev_b32_e32 v30, 1
	s_and_saveexec_b64 s[34:35], s[10:11]
	s_cbranch_execz .LBB367_115
; %bb.112:                              ;   in Loop: Header=BB367_10 Depth=1
	v_and_b32_e32 v5, 0x7f, v28
	v_cmp_ne_u32_e64 s[10:11], s39, v5
	v_mov_b32_e32 v30, 0x7f800001
	s_and_saveexec_b64 s[36:37], s[10:11]
	s_cbranch_execz .LBB367_114
; %bb.113:                              ;   in Loop: Header=BB367_10 Depth=1
	v_and_b32_e32 v6, 7, v28
	v_lshrrev_b32_e32 v7, 3, v5
	v_cmp_gt_u32_e64 s[10:11], 8, v5
	v_ffbh_u32_e32 v5, v6
	v_min_u32_e32 v5, 32, v5
	v_subrev_u32_e32 v22, 28, v5
	v_lshlrev_b64 v[54:55], v22, v[28:29]
	v_sub_u32_e32 v5, 29, v5
	v_and_b32_e32 v22, 7, v54
	v_cndmask_b32_e64 v5, v7, v5, s[10:11]
	v_cndmask_b32_e64 v6, v6, v22, s[10:11]
	v_lshlrev_b32_e32 v7, 24, v28
	v_lshlrev_b32_e32 v6, 20, v6
	v_and_b32_e32 v7, 0x80000000, v7
	v_lshl_add_u32 v5, v5, 23, v3
	v_or3_b32 v30, v7, v5, v6
.LBB367_114:                            ;   in Loop: Header=BB367_10 Depth=1
	s_or_b64 exec, exec, s[36:37]
.LBB367_115:                            ;   in Loop: Header=BB367_10 Depth=1
	s_or_b64 exec, exec, s[34:35]
.LBB367_116:                            ;   in Loop: Header=BB367_10 Depth=1
	s_or_b64 exec, exec, s[30:31]
	v_mul_f32_e32 v5, v14, v30
	v_and_b32_e32 v6, 0x7f800000, v5
	v_cmp_ne_u32_e64 s[10:11], s40, v6
                                        ; implicit-def: $vgpr53
	s_and_saveexec_b64 s[30:31], s[10:11]
	s_xor_b64 s[10:11], exec, s[30:31]
; %bb.117:                              ;   in Loop: Header=BB367_10 Depth=1
	v_bfe_u32 v6, v5, 16, 1
	v_add3_u32 v53, v5, v6, s41
                                        ; implicit-def: $vgpr5
; %bb.118:                              ;   in Loop: Header=BB367_10 Depth=1
	s_andn2_saveexec_b64 s[30:31], s[10:11]
; %bb.119:                              ;   in Loop: Header=BB367_10 Depth=1
	v_or_b32_e32 v6, 0x10000, v5
	v_cmp_eq_u32_sdwa s[10:11], v5, v23 src0_sel:WORD_0 src1_sel:DWORD
	v_cndmask_b32_e64 v53, v6, v5, s[10:11]
; %bb.120:                              ;   in Loop: Header=BB367_10 Depth=1
	s_or_b64 exec, exec, s[30:31]
	v_lshrrev_b16_e32 v30, 8, v28
	v_cmp_ne_u16_e64 s[10:11], 0, v30
	v_mov_b32_e32 v36, 0
	s_and_saveexec_b64 s[30:31], s[10:11]
	s_cbranch_execz .LBB367_126
; %bb.121:                              ;   in Loop: Header=BB367_10 Depth=1
	v_cmp_ne_u16_e64 s[10:11], s23, v30
	v_bfrev_b32_e32 v36, 1
	s_and_saveexec_b64 s[34:35], s[10:11]
	s_cbranch_execz .LBB367_125
; %bb.122:                              ;   in Loop: Header=BB367_10 Depth=1
	v_and_b32_e32 v5, 0x7f, v30
	v_cmp_ne_u32_e64 s[10:11], s39, v5
	v_mov_b32_e32 v36, 0x7f800001
	s_and_saveexec_b64 s[36:37], s[10:11]
	s_cbranch_execz .LBB367_124
; %bb.123:                              ;   in Loop: Header=BB367_10 Depth=1
	v_and_b32_e32 v6, 7, v30
	v_ffbh_u32_e32 v22, v6
	v_min_u32_e32 v22, 32, v22
	v_subrev_u32_e32 v36, 28, v22
	v_lshlrev_b64 v[54:55], v36, v[30:31]
	v_lshrrev_b32_e32 v7, 3, v5
	v_sub_u32_e32 v22, 29, v22
	v_and_b32_e32 v30, 7, v54
	v_cmp_gt_u32_e64 s[10:11], 8, v5
	v_cndmask_b32_e64 v5, v7, v22, s[10:11]
	v_cndmask_b32_e64 v6, v6, v30, s[10:11]
	v_lshlrev_b32_e32 v7, 16, v28
	v_lshlrev_b32_e32 v6, 20, v6
	v_and_b32_e32 v7, 0x80000000, v7
	v_lshl_add_u32 v5, v5, 23, v3
	v_or3_b32 v36, v7, v5, v6
.LBB367_124:                            ;   in Loop: Header=BB367_10 Depth=1
	s_or_b64 exec, exec, s[36:37]
.LBB367_125:                            ;   in Loop: Header=BB367_10 Depth=1
	s_or_b64 exec, exec, s[34:35]
.LBB367_126:                            ;   in Loop: Header=BB367_10 Depth=1
	s_or_b64 exec, exec, s[30:31]
	v_mul_f32_e32 v5, v14, v36
	v_and_b32_e32 v6, 0x7f800000, v5
	v_cmp_ne_u32_e64 s[10:11], s40, v6
                                        ; implicit-def: $vgpr54
	s_and_saveexec_b64 s[30:31], s[10:11]
	s_xor_b64 s[10:11], exec, s[30:31]
; %bb.127:                              ;   in Loop: Header=BB367_10 Depth=1
	v_bfe_u32 v6, v5, 16, 1
	v_add3_u32 v54, v5, v6, s41
                                        ; implicit-def: $vgpr5
; %bb.128:                              ;   in Loop: Header=BB367_10 Depth=1
	s_andn2_saveexec_b64 s[30:31], s[10:11]
; %bb.129:                              ;   in Loop: Header=BB367_10 Depth=1
	v_or_b32_e32 v6, 0x10000, v5
	v_cmp_eq_u32_sdwa s[10:11], v5, v23 src0_sel:WORD_0 src1_sel:DWORD
	v_cndmask_b32_e64 v54, v6, v5, s[10:11]
; %bb.130:                              ;   in Loop: Header=BB367_10 Depth=1
	s_or_b64 exec, exec, s[30:31]
	flat_load_ushort v5, v[20:21] offset:768
	v_mov_b32_e32 v30, 0
	s_waitcnt vmcnt(0) lgkmcnt(0)
	v_and_b32_e32 v28, 0xffff, v5
	v_cmp_ne_u16_sdwa s[10:11], v5, v23 src0_sel:BYTE_0 src1_sel:DWORD
	s_and_saveexec_b64 s[30:31], s[10:11]
	s_cbranch_execz .LBB367_136
; %bb.131:                              ;   in Loop: Header=BB367_10 Depth=1
	v_cmp_ne_u16_sdwa s[10:11], v28, s23 src0_sel:BYTE_0 src1_sel:DWORD
	v_bfrev_b32_e32 v30, 1
	s_and_saveexec_b64 s[34:35], s[10:11]
	s_cbranch_execz .LBB367_135
; %bb.132:                              ;   in Loop: Header=BB367_10 Depth=1
	v_and_b32_e32 v5, 0x7f, v28
	v_cmp_ne_u32_e64 s[10:11], s39, v5
	v_mov_b32_e32 v30, 0x7f800001
	s_and_saveexec_b64 s[36:37], s[10:11]
	s_cbranch_execz .LBB367_134
; %bb.133:                              ;   in Loop: Header=BB367_10 Depth=1
	v_and_b32_e32 v6, 7, v28
	v_ffbh_u32_e32 v22, v6
	v_min_u32_e32 v22, 32, v22
	v_subrev_u32_e32 v30, 28, v22
	v_lshlrev_b64 v[40:41], v30, v[28:29]
	v_lshrrev_b32_e32 v7, 3, v5
	v_sub_u32_e32 v22, 29, v22
	v_and_b32_e32 v30, 7, v40
	v_cmp_gt_u32_e64 s[10:11], 8, v5
	v_cndmask_b32_e64 v5, v7, v22, s[10:11]
	v_cndmask_b32_e64 v6, v6, v30, s[10:11]
	v_lshlrev_b32_e32 v7, 24, v28
	v_lshlrev_b32_e32 v6, 20, v6
	v_and_b32_e32 v7, 0x80000000, v7
	v_lshl_add_u32 v5, v5, 23, v3
	v_or3_b32 v30, v7, v5, v6
.LBB367_134:                            ;   in Loop: Header=BB367_10 Depth=1
	s_or_b64 exec, exec, s[36:37]
.LBB367_135:                            ;   in Loop: Header=BB367_10 Depth=1
	s_or_b64 exec, exec, s[34:35]
.LBB367_136:                            ;   in Loop: Header=BB367_10 Depth=1
	s_or_b64 exec, exec, s[30:31]
	v_mul_f32_e32 v5, v14, v30
	v_and_b32_e32 v6, 0x7f800000, v5
	v_cmp_ne_u32_e64 s[10:11], s40, v6
                                        ; implicit-def: $vgpr55
	s_and_saveexec_b64 s[30:31], s[10:11]
	s_xor_b64 s[10:11], exec, s[30:31]
; %bb.137:                              ;   in Loop: Header=BB367_10 Depth=1
	v_bfe_u32 v6, v5, 16, 1
	v_add3_u32 v55, v5, v6, s41
                                        ; implicit-def: $vgpr5
; %bb.138:                              ;   in Loop: Header=BB367_10 Depth=1
	s_andn2_saveexec_b64 s[30:31], s[10:11]
; %bb.139:                              ;   in Loop: Header=BB367_10 Depth=1
	v_or_b32_e32 v6, 0x10000, v5
	v_cmp_eq_u32_sdwa s[10:11], v5, v23 src0_sel:WORD_0 src1_sel:DWORD
	v_cndmask_b32_e64 v55, v6, v5, s[10:11]
; %bb.140:                              ;   in Loop: Header=BB367_10 Depth=1
	s_or_b64 exec, exec, s[30:31]
	v_lshrrev_b16_e32 v30, 8, v28
	v_cmp_ne_u16_e64 s[10:11], 0, v30
	v_mov_b32_e32 v36, 0
	s_and_saveexec_b64 s[30:31], s[10:11]
	s_cbranch_execz .LBB367_146
; %bb.141:                              ;   in Loop: Header=BB367_10 Depth=1
	v_cmp_ne_u16_e64 s[10:11], s23, v30
	v_bfrev_b32_e32 v36, 1
	s_and_saveexec_b64 s[34:35], s[10:11]
	s_cbranch_execz .LBB367_145
; %bb.142:                              ;   in Loop: Header=BB367_10 Depth=1
	v_and_b32_e32 v5, 0x7f, v30
	v_cmp_ne_u32_e64 s[10:11], s39, v5
	v_mov_b32_e32 v36, 0x7f800001
	s_and_saveexec_b64 s[36:37], s[10:11]
	s_cbranch_execz .LBB367_144
; %bb.143:                              ;   in Loop: Header=BB367_10 Depth=1
	v_and_b32_e32 v6, 7, v30
	v_ffbh_u32_e32 v22, v6
	v_min_u32_e32 v22, 32, v22
	v_subrev_u32_e32 v36, 28, v22
	v_lshlrev_b64 v[40:41], v36, v[30:31]
	v_lshrrev_b32_e32 v7, 3, v5
	v_sub_u32_e32 v22, 29, v22
	v_and_b32_e32 v30, 7, v40
	v_cmp_gt_u32_e64 s[10:11], 8, v5
	v_cndmask_b32_e64 v5, v7, v22, s[10:11]
	v_cndmask_b32_e64 v6, v6, v30, s[10:11]
	v_lshlrev_b32_e32 v7, 16, v28
	v_lshlrev_b32_e32 v6, 20, v6
	v_and_b32_e32 v7, 0x80000000, v7
	v_lshl_add_u32 v5, v5, 23, v3
	v_or3_b32 v36, v7, v5, v6
.LBB367_144:                            ;   in Loop: Header=BB367_10 Depth=1
	s_or_b64 exec, exec, s[36:37]
.LBB367_145:                            ;   in Loop: Header=BB367_10 Depth=1
	s_or_b64 exec, exec, s[34:35]
.LBB367_146:                            ;   in Loop: Header=BB367_10 Depth=1
	s_or_b64 exec, exec, s[30:31]
	v_mul_f32_e32 v5, v14, v36
	v_and_b32_e32 v6, 0x7f800000, v5
	v_cmp_ne_u32_e64 s[10:11], s40, v6
                                        ; implicit-def: $vgpr40
	s_and_saveexec_b64 s[30:31], s[10:11]
	s_xor_b64 s[10:11], exec, s[30:31]
; %bb.147:                              ;   in Loop: Header=BB367_10 Depth=1
	v_bfe_u32 v6, v5, 16, 1
	v_add3_u32 v40, v5, v6, s41
                                        ; implicit-def: $vgpr5
; %bb.148:                              ;   in Loop: Header=BB367_10 Depth=1
	s_andn2_saveexec_b64 s[30:31], s[10:11]
; %bb.149:                              ;   in Loop: Header=BB367_10 Depth=1
	v_or_b32_e32 v6, 0x10000, v5
	v_cmp_eq_u32_sdwa s[10:11], v5, v23 src0_sel:WORD_0 src1_sel:DWORD
	v_cndmask_b32_e64 v40, v6, v5, s[10:11]
; %bb.150:                              ;   in Loop: Header=BB367_10 Depth=1
	s_or_b64 exec, exec, s[30:31]
	flat_load_ushort v5, v[20:21] offset:776
	v_mov_b32_e32 v30, 0
	s_waitcnt vmcnt(0) lgkmcnt(0)
	v_and_b32_e32 v28, 0xffff, v5
	v_cmp_ne_u16_sdwa s[10:11], v5, v23 src0_sel:BYTE_0 src1_sel:DWORD
	s_and_saveexec_b64 s[30:31], s[10:11]
	s_cbranch_execz .LBB367_156
; %bb.151:                              ;   in Loop: Header=BB367_10 Depth=1
	v_cmp_ne_u16_sdwa s[10:11], v28, s23 src0_sel:BYTE_0 src1_sel:DWORD
	v_bfrev_b32_e32 v30, 1
	s_and_saveexec_b64 s[34:35], s[10:11]
	s_cbranch_execz .LBB367_155
; %bb.152:                              ;   in Loop: Header=BB367_10 Depth=1
	v_and_b32_e32 v5, 0x7f, v28
	v_cmp_ne_u32_e64 s[10:11], s39, v5
	v_mov_b32_e32 v30, 0x7f800001
	s_and_saveexec_b64 s[36:37], s[10:11]
	s_cbranch_execz .LBB367_154
; %bb.153:                              ;   in Loop: Header=BB367_10 Depth=1
	v_and_b32_e32 v6, 7, v28
	v_ffbh_u32_e32 v22, v6
	v_min_u32_e32 v22, 32, v22
	v_subrev_u32_e32 v30, 28, v22
	v_lshlrev_b64 v[42:43], v30, v[28:29]
	v_lshrrev_b32_e32 v7, 3, v5
	v_sub_u32_e32 v22, 29, v22
	v_and_b32_e32 v30, 7, v42
	v_cmp_gt_u32_e64 s[10:11], 8, v5
	v_cndmask_b32_e64 v5, v7, v22, s[10:11]
	v_cndmask_b32_e64 v6, v6, v30, s[10:11]
	v_lshlrev_b32_e32 v7, 24, v28
	v_lshlrev_b32_e32 v6, 20, v6
	v_and_b32_e32 v7, 0x80000000, v7
	v_lshl_add_u32 v5, v5, 23, v3
	v_or3_b32 v30, v7, v5, v6
.LBB367_154:                            ;   in Loop: Header=BB367_10 Depth=1
	s_or_b64 exec, exec, s[36:37]
.LBB367_155:                            ;   in Loop: Header=BB367_10 Depth=1
	s_or_b64 exec, exec, s[34:35]
.LBB367_156:                            ;   in Loop: Header=BB367_10 Depth=1
	s_or_b64 exec, exec, s[30:31]
	v_mul_f32_e32 v5, v14, v30
	v_and_b32_e32 v6, 0x7f800000, v5
	v_cmp_ne_u32_e64 s[10:11], s40, v6
                                        ; implicit-def: $vgpr41
	s_and_saveexec_b64 s[30:31], s[10:11]
	s_xor_b64 s[10:11], exec, s[30:31]
; %bb.157:                              ;   in Loop: Header=BB367_10 Depth=1
	v_bfe_u32 v6, v5, 16, 1
	v_add3_u32 v41, v5, v6, s41
                                        ; implicit-def: $vgpr5
; %bb.158:                              ;   in Loop: Header=BB367_10 Depth=1
	s_andn2_saveexec_b64 s[30:31], s[10:11]
; %bb.159:                              ;   in Loop: Header=BB367_10 Depth=1
	v_or_b32_e32 v6, 0x10000, v5
	v_cmp_eq_u32_sdwa s[10:11], v5, v23 src0_sel:WORD_0 src1_sel:DWORD
	v_cndmask_b32_e64 v41, v6, v5, s[10:11]
; %bb.160:                              ;   in Loop: Header=BB367_10 Depth=1
	s_or_b64 exec, exec, s[30:31]
	v_lshrrev_b16_e32 v30, 8, v28
	v_cmp_ne_u16_e64 s[10:11], 0, v30
	v_mov_b32_e32 v36, 0
	s_and_saveexec_b64 s[30:31], s[10:11]
	s_cbranch_execz .LBB367_166
; %bb.161:                              ;   in Loop: Header=BB367_10 Depth=1
	v_cmp_ne_u16_e64 s[10:11], s23, v30
	v_bfrev_b32_e32 v36, 1
	s_and_saveexec_b64 s[34:35], s[10:11]
	s_cbranch_execz .LBB367_165
; %bb.162:                              ;   in Loop: Header=BB367_10 Depth=1
	v_and_b32_e32 v5, 0x7f, v30
	v_cmp_ne_u32_e64 s[10:11], s39, v5
	v_mov_b32_e32 v36, 0x7f800001
	s_and_saveexec_b64 s[36:37], s[10:11]
	s_cbranch_execz .LBB367_164
; %bb.163:                              ;   in Loop: Header=BB367_10 Depth=1
	v_and_b32_e32 v6, 7, v30
	v_ffbh_u32_e32 v22, v6
	v_min_u32_e32 v22, 32, v22
	v_subrev_u32_e32 v36, 28, v22
	v_lshlrev_b64 v[42:43], v36, v[30:31]
	v_lshrrev_b32_e32 v7, 3, v5
	v_sub_u32_e32 v22, 29, v22
	v_and_b32_e32 v30, 7, v42
	v_cmp_gt_u32_e64 s[10:11], 8, v5
	v_cndmask_b32_e64 v5, v7, v22, s[10:11]
	v_cndmask_b32_e64 v6, v6, v30, s[10:11]
	v_lshlrev_b32_e32 v7, 16, v28
	v_lshlrev_b32_e32 v6, 20, v6
	v_and_b32_e32 v7, 0x80000000, v7
	v_lshl_add_u32 v5, v5, 23, v3
	v_or3_b32 v36, v7, v5, v6
.LBB367_164:                            ;   in Loop: Header=BB367_10 Depth=1
	s_or_b64 exec, exec, s[36:37]
.LBB367_165:                            ;   in Loop: Header=BB367_10 Depth=1
	s_or_b64 exec, exec, s[34:35]
.LBB367_166:                            ;   in Loop: Header=BB367_10 Depth=1
	s_or_b64 exec, exec, s[30:31]
	v_mul_f32_e32 v5, v14, v36
	v_and_b32_e32 v6, 0x7f800000, v5
	v_cmp_ne_u32_e64 s[10:11], s40, v6
                                        ; implicit-def: $vgpr42
	s_and_saveexec_b64 s[30:31], s[10:11]
	s_xor_b64 s[10:11], exec, s[30:31]
; %bb.167:                              ;   in Loop: Header=BB367_10 Depth=1
	v_bfe_u32 v6, v5, 16, 1
	v_add3_u32 v42, v5, v6, s41
                                        ; implicit-def: $vgpr5
; %bb.168:                              ;   in Loop: Header=BB367_10 Depth=1
	s_andn2_saveexec_b64 s[30:31], s[10:11]
; %bb.169:                              ;   in Loop: Header=BB367_10 Depth=1
	v_or_b32_e32 v6, 0x10000, v5
	v_cmp_eq_u32_sdwa s[10:11], v5, v23 src0_sel:WORD_0 src1_sel:DWORD
	v_cndmask_b32_e64 v42, v6, v5, s[10:11]
; %bb.170:                              ;   in Loop: Header=BB367_10 Depth=1
	s_or_b64 exec, exec, s[30:31]
	flat_load_ushort v5, v[20:21] offset:1024
	v_mov_b32_e32 v30, 0
	s_waitcnt vmcnt(0) lgkmcnt(0)
	v_and_b32_e32 v28, 0xffff, v5
	v_cmp_ne_u16_sdwa s[10:11], v5, v23 src0_sel:BYTE_0 src1_sel:DWORD
	s_and_saveexec_b64 s[30:31], s[10:11]
	s_cbranch_execz .LBB367_176
; %bb.171:                              ;   in Loop: Header=BB367_10 Depth=1
	v_cmp_ne_u16_sdwa s[10:11], v28, s23 src0_sel:BYTE_0 src1_sel:DWORD
	v_bfrev_b32_e32 v30, 1
	s_and_saveexec_b64 s[34:35], s[10:11]
	s_cbranch_execz .LBB367_175
; %bb.172:                              ;   in Loop: Header=BB367_10 Depth=1
	v_and_b32_e32 v5, 0x7f, v28
	v_cmp_ne_u32_e64 s[10:11], s39, v5
	v_mov_b32_e32 v30, 0x7f800001
	s_and_saveexec_b64 s[36:37], s[10:11]
	s_cbranch_execz .LBB367_174
; %bb.173:                              ;   in Loop: Header=BB367_10 Depth=1
	v_and_b32_e32 v6, 7, v28
	v_ffbh_u32_e32 v22, v6
	v_min_u32_e32 v22, 32, v22
	v_subrev_u32_e32 v30, 28, v22
	v_lshlrev_b64 v[44:45], v30, v[28:29]
	v_lshrrev_b32_e32 v7, 3, v5
	v_sub_u32_e32 v22, 29, v22
	v_and_b32_e32 v30, 7, v44
	v_cmp_gt_u32_e64 s[10:11], 8, v5
	v_cndmask_b32_e64 v5, v7, v22, s[10:11]
	v_cndmask_b32_e64 v6, v6, v30, s[10:11]
	v_lshlrev_b32_e32 v7, 24, v28
	v_lshlrev_b32_e32 v6, 20, v6
	v_and_b32_e32 v7, 0x80000000, v7
	v_lshl_add_u32 v5, v5, 23, v3
	v_or3_b32 v30, v7, v5, v6
.LBB367_174:                            ;   in Loop: Header=BB367_10 Depth=1
	s_or_b64 exec, exec, s[36:37]
.LBB367_175:                            ;   in Loop: Header=BB367_10 Depth=1
	s_or_b64 exec, exec, s[34:35]
.LBB367_176:                            ;   in Loop: Header=BB367_10 Depth=1
	s_or_b64 exec, exec, s[30:31]
	v_mul_f32_e32 v5, v14, v30
	v_and_b32_e32 v6, 0x7f800000, v5
	v_cmp_ne_u32_e64 s[10:11], s40, v6
                                        ; implicit-def: $vgpr43
	s_and_saveexec_b64 s[30:31], s[10:11]
	s_xor_b64 s[10:11], exec, s[30:31]
; %bb.177:                              ;   in Loop: Header=BB367_10 Depth=1
	v_bfe_u32 v6, v5, 16, 1
	v_add3_u32 v43, v5, v6, s41
                                        ; implicit-def: $vgpr5
; %bb.178:                              ;   in Loop: Header=BB367_10 Depth=1
	s_andn2_saveexec_b64 s[30:31], s[10:11]
; %bb.179:                              ;   in Loop: Header=BB367_10 Depth=1
	v_or_b32_e32 v6, 0x10000, v5
	v_cmp_eq_u32_sdwa s[10:11], v5, v23 src0_sel:WORD_0 src1_sel:DWORD
	v_cndmask_b32_e64 v43, v6, v5, s[10:11]
; %bb.180:                              ;   in Loop: Header=BB367_10 Depth=1
	s_or_b64 exec, exec, s[30:31]
	v_lshrrev_b16_e32 v30, 8, v28
	v_cmp_ne_u16_e64 s[10:11], 0, v30
	v_mov_b32_e32 v36, 0
	s_and_saveexec_b64 s[30:31], s[10:11]
	s_cbranch_execz .LBB367_186
; %bb.181:                              ;   in Loop: Header=BB367_10 Depth=1
	v_cmp_ne_u16_e64 s[10:11], s23, v30
	v_bfrev_b32_e32 v36, 1
	s_and_saveexec_b64 s[34:35], s[10:11]
	s_cbranch_execz .LBB367_185
; %bb.182:                              ;   in Loop: Header=BB367_10 Depth=1
	v_and_b32_e32 v5, 0x7f, v30
	v_cmp_ne_u32_e64 s[10:11], s39, v5
	v_mov_b32_e32 v36, 0x7f800001
	s_and_saveexec_b64 s[36:37], s[10:11]
	s_cbranch_execz .LBB367_184
; %bb.183:                              ;   in Loop: Header=BB367_10 Depth=1
	v_and_b32_e32 v6, 7, v30
	v_ffbh_u32_e32 v22, v6
	v_min_u32_e32 v22, 32, v22
	v_subrev_u32_e32 v36, 28, v22
	v_lshlrev_b64 v[44:45], v36, v[30:31]
	v_lshrrev_b32_e32 v7, 3, v5
	v_sub_u32_e32 v22, 29, v22
	v_and_b32_e32 v30, 7, v44
	v_cmp_gt_u32_e64 s[10:11], 8, v5
	v_cndmask_b32_e64 v5, v7, v22, s[10:11]
	v_cndmask_b32_e64 v6, v6, v30, s[10:11]
	v_lshlrev_b32_e32 v7, 16, v28
	v_lshlrev_b32_e32 v6, 20, v6
	v_and_b32_e32 v7, 0x80000000, v7
	v_lshl_add_u32 v5, v5, 23, v3
	v_or3_b32 v36, v7, v5, v6
.LBB367_184:                            ;   in Loop: Header=BB367_10 Depth=1
	s_or_b64 exec, exec, s[36:37]
.LBB367_185:                            ;   in Loop: Header=BB367_10 Depth=1
	s_or_b64 exec, exec, s[34:35]
.LBB367_186:                            ;   in Loop: Header=BB367_10 Depth=1
	s_or_b64 exec, exec, s[30:31]
	v_mul_f32_e32 v5, v14, v36
	v_and_b32_e32 v6, 0x7f800000, v5
	v_cmp_ne_u32_e64 s[10:11], s40, v6
                                        ; implicit-def: $vgpr44
	s_and_saveexec_b64 s[30:31], s[10:11]
	s_xor_b64 s[10:11], exec, s[30:31]
; %bb.187:                              ;   in Loop: Header=BB367_10 Depth=1
	v_bfe_u32 v6, v5, 16, 1
	v_add3_u32 v44, v5, v6, s41
                                        ; implicit-def: $vgpr5
; %bb.188:                              ;   in Loop: Header=BB367_10 Depth=1
	s_andn2_saveexec_b64 s[30:31], s[10:11]
; %bb.189:                              ;   in Loop: Header=BB367_10 Depth=1
	v_or_b32_e32 v6, 0x10000, v5
	v_cmp_eq_u32_sdwa s[10:11], v5, v23 src0_sel:WORD_0 src1_sel:DWORD
	v_cndmask_b32_e64 v44, v6, v5, s[10:11]
; %bb.190:                              ;   in Loop: Header=BB367_10 Depth=1
	s_or_b64 exec, exec, s[30:31]
	flat_load_ushort v5, v[20:21] offset:1032
	v_mov_b32_e32 v30, 0
	s_waitcnt vmcnt(0) lgkmcnt(0)
	v_and_b32_e32 v28, 0xffff, v5
	v_cmp_ne_u16_sdwa s[10:11], v5, v23 src0_sel:BYTE_0 src1_sel:DWORD
	s_and_saveexec_b64 s[30:31], s[10:11]
	s_cbranch_execz .LBB367_196
; %bb.191:                              ;   in Loop: Header=BB367_10 Depth=1
	v_cmp_ne_u16_sdwa s[10:11], v28, s23 src0_sel:BYTE_0 src1_sel:DWORD
	v_bfrev_b32_e32 v30, 1
	s_and_saveexec_b64 s[34:35], s[10:11]
	s_cbranch_execz .LBB367_195
; %bb.192:                              ;   in Loop: Header=BB367_10 Depth=1
	v_and_b32_e32 v5, 0x7f, v28
	v_cmp_ne_u32_e64 s[10:11], s39, v5
	v_mov_b32_e32 v30, 0x7f800001
	s_and_saveexec_b64 s[36:37], s[10:11]
	s_cbranch_execz .LBB367_194
; %bb.193:                              ;   in Loop: Header=BB367_10 Depth=1
	v_and_b32_e32 v6, 7, v28
	v_ffbh_u32_e32 v22, v6
	v_min_u32_e32 v22, 32, v22
	v_subrev_u32_e32 v30, 28, v22
	v_lshlrev_b64 v[46:47], v30, v[28:29]
	v_lshrrev_b32_e32 v7, 3, v5
	v_sub_u32_e32 v22, 29, v22
	v_and_b32_e32 v30, 7, v46
	v_cmp_gt_u32_e64 s[10:11], 8, v5
	v_cndmask_b32_e64 v5, v7, v22, s[10:11]
	v_cndmask_b32_e64 v6, v6, v30, s[10:11]
	v_lshlrev_b32_e32 v7, 24, v28
	v_lshlrev_b32_e32 v6, 20, v6
	v_and_b32_e32 v7, 0x80000000, v7
	v_lshl_add_u32 v5, v5, 23, v3
	v_or3_b32 v30, v7, v5, v6
.LBB367_194:                            ;   in Loop: Header=BB367_10 Depth=1
	s_or_b64 exec, exec, s[36:37]
.LBB367_195:                            ;   in Loop: Header=BB367_10 Depth=1
	s_or_b64 exec, exec, s[34:35]
.LBB367_196:                            ;   in Loop: Header=BB367_10 Depth=1
	s_or_b64 exec, exec, s[30:31]
	v_mul_f32_e32 v5, v14, v30
	v_and_b32_e32 v6, 0x7f800000, v5
	v_cmp_ne_u32_e64 s[10:11], s40, v6
                                        ; implicit-def: $vgpr45
	s_and_saveexec_b64 s[30:31], s[10:11]
	s_xor_b64 s[10:11], exec, s[30:31]
; %bb.197:                              ;   in Loop: Header=BB367_10 Depth=1
	v_bfe_u32 v6, v5, 16, 1
	v_add3_u32 v45, v5, v6, s41
                                        ; implicit-def: $vgpr5
; %bb.198:                              ;   in Loop: Header=BB367_10 Depth=1
	s_andn2_saveexec_b64 s[30:31], s[10:11]
; %bb.199:                              ;   in Loop: Header=BB367_10 Depth=1
	v_or_b32_e32 v6, 0x10000, v5
	v_cmp_eq_u32_sdwa s[10:11], v5, v23 src0_sel:WORD_0 src1_sel:DWORD
	v_cndmask_b32_e64 v45, v6, v5, s[10:11]
; %bb.200:                              ;   in Loop: Header=BB367_10 Depth=1
	s_or_b64 exec, exec, s[30:31]
	v_lshrrev_b16_e32 v30, 8, v28
	v_cmp_ne_u16_e64 s[10:11], 0, v30
	v_mov_b32_e32 v36, 0
	s_and_saveexec_b64 s[30:31], s[10:11]
	s_cbranch_execz .LBB367_206
; %bb.201:                              ;   in Loop: Header=BB367_10 Depth=1
	v_cmp_ne_u16_e64 s[10:11], s23, v30
	v_bfrev_b32_e32 v36, 1
	s_and_saveexec_b64 s[34:35], s[10:11]
	s_cbranch_execz .LBB367_205
; %bb.202:                              ;   in Loop: Header=BB367_10 Depth=1
	v_and_b32_e32 v5, 0x7f, v30
	v_cmp_ne_u32_e64 s[10:11], s39, v5
	v_mov_b32_e32 v36, 0x7f800001
	s_and_saveexec_b64 s[36:37], s[10:11]
	s_cbranch_execz .LBB367_204
; %bb.203:                              ;   in Loop: Header=BB367_10 Depth=1
	v_and_b32_e32 v6, 7, v30
	v_ffbh_u32_e32 v22, v6
	v_min_u32_e32 v22, 32, v22
	v_subrev_u32_e32 v36, 28, v22
	v_lshlrev_b64 v[46:47], v36, v[30:31]
	v_lshrrev_b32_e32 v7, 3, v5
	v_sub_u32_e32 v22, 29, v22
	v_and_b32_e32 v30, 7, v46
	v_cmp_gt_u32_e64 s[10:11], 8, v5
	v_cndmask_b32_e64 v5, v7, v22, s[10:11]
	v_cndmask_b32_e64 v6, v6, v30, s[10:11]
	v_lshlrev_b32_e32 v7, 16, v28
	v_lshlrev_b32_e32 v6, 20, v6
	v_and_b32_e32 v7, 0x80000000, v7
	v_lshl_add_u32 v5, v5, 23, v3
	v_or3_b32 v36, v7, v5, v6
.LBB367_204:                            ;   in Loop: Header=BB367_10 Depth=1
	s_or_b64 exec, exec, s[36:37]
.LBB367_205:                            ;   in Loop: Header=BB367_10 Depth=1
	s_or_b64 exec, exec, s[34:35]
.LBB367_206:                            ;   in Loop: Header=BB367_10 Depth=1
	s_or_b64 exec, exec, s[30:31]
	v_mul_f32_e32 v5, v14, v36
	v_and_b32_e32 v6, 0x7f800000, v5
	v_cmp_ne_u32_e64 s[10:11], s40, v6
                                        ; implicit-def: $vgpr46
	s_and_saveexec_b64 s[30:31], s[10:11]
	s_xor_b64 s[10:11], exec, s[30:31]
; %bb.207:                              ;   in Loop: Header=BB367_10 Depth=1
	v_bfe_u32 v6, v5, 16, 1
	v_add3_u32 v46, v5, v6, s41
                                        ; implicit-def: $vgpr5
; %bb.208:                              ;   in Loop: Header=BB367_10 Depth=1
	s_andn2_saveexec_b64 s[30:31], s[10:11]
; %bb.209:                              ;   in Loop: Header=BB367_10 Depth=1
	v_or_b32_e32 v6, 0x10000, v5
	v_cmp_eq_u32_sdwa s[10:11], v5, v23 src0_sel:WORD_0 src1_sel:DWORD
	v_cndmask_b32_e64 v46, v6, v5, s[10:11]
; %bb.210:                              ;   in Loop: Header=BB367_10 Depth=1
	s_or_b64 exec, exec, s[30:31]
	flat_load_ushort v5, v[20:21] offset:1280
	v_mov_b32_e32 v30, 0
	s_waitcnt vmcnt(0) lgkmcnt(0)
	v_and_b32_e32 v28, 0xffff, v5
	v_cmp_ne_u16_sdwa s[10:11], v5, v23 src0_sel:BYTE_0 src1_sel:DWORD
	s_and_saveexec_b64 s[30:31], s[10:11]
	s_cbranch_execz .LBB367_216
; %bb.211:                              ;   in Loop: Header=BB367_10 Depth=1
	v_cmp_ne_u16_sdwa s[10:11], v28, s23 src0_sel:BYTE_0 src1_sel:DWORD
	v_bfrev_b32_e32 v30, 1
	s_and_saveexec_b64 s[34:35], s[10:11]
	s_cbranch_execz .LBB367_215
; %bb.212:                              ;   in Loop: Header=BB367_10 Depth=1
	v_and_b32_e32 v5, 0x7f, v28
	v_cmp_ne_u32_e64 s[10:11], s39, v5
	v_mov_b32_e32 v30, 0x7f800001
	s_and_saveexec_b64 s[36:37], s[10:11]
	s_cbranch_execz .LBB367_214
; %bb.213:                              ;   in Loop: Header=BB367_10 Depth=1
	v_and_b32_e32 v6, 7, v28
	v_ffbh_u32_e32 v22, v6
	v_min_u32_e32 v22, 32, v22
	v_subrev_u32_e32 v30, 28, v22
	v_lshlrev_b64 v[56:57], v30, v[28:29]
	v_lshrrev_b32_e32 v7, 3, v5
	v_sub_u32_e32 v22, 29, v22
	v_and_b32_e32 v30, 7, v56
	v_cmp_gt_u32_e64 s[10:11], 8, v5
	v_cndmask_b32_e64 v5, v7, v22, s[10:11]
	v_cndmask_b32_e64 v6, v6, v30, s[10:11]
	v_lshlrev_b32_e32 v7, 24, v28
	v_lshlrev_b32_e32 v6, 20, v6
	v_and_b32_e32 v7, 0x80000000, v7
	v_lshl_add_u32 v5, v5, 23, v3
	v_or3_b32 v30, v7, v5, v6
.LBB367_214:                            ;   in Loop: Header=BB367_10 Depth=1
	s_or_b64 exec, exec, s[36:37]
.LBB367_215:                            ;   in Loop: Header=BB367_10 Depth=1
	s_or_b64 exec, exec, s[34:35]
.LBB367_216:                            ;   in Loop: Header=BB367_10 Depth=1
	s_or_b64 exec, exec, s[30:31]
	v_mul_f32_e32 v5, v14, v30
	v_and_b32_e32 v6, 0x7f800000, v5
	v_cmp_ne_u32_e64 s[10:11], s40, v6
                                        ; implicit-def: $vgpr47
	s_and_saveexec_b64 s[30:31], s[10:11]
	s_xor_b64 s[10:11], exec, s[30:31]
; %bb.217:                              ;   in Loop: Header=BB367_10 Depth=1
	v_bfe_u32 v6, v5, 16, 1
	v_add3_u32 v47, v5, v6, s41
                                        ; implicit-def: $vgpr5
; %bb.218:                              ;   in Loop: Header=BB367_10 Depth=1
	s_andn2_saveexec_b64 s[30:31], s[10:11]
; %bb.219:                              ;   in Loop: Header=BB367_10 Depth=1
	v_or_b32_e32 v6, 0x10000, v5
	v_cmp_eq_u32_sdwa s[10:11], v5, v23 src0_sel:WORD_0 src1_sel:DWORD
	v_cndmask_b32_e64 v47, v6, v5, s[10:11]
; %bb.220:                              ;   in Loop: Header=BB367_10 Depth=1
	s_or_b64 exec, exec, s[30:31]
	v_lshrrev_b16_e32 v30, 8, v28
	v_cmp_ne_u16_e64 s[10:11], 0, v30
	v_mov_b32_e32 v36, 0
	s_and_saveexec_b64 s[30:31], s[10:11]
	s_cbranch_execz .LBB367_226
; %bb.221:                              ;   in Loop: Header=BB367_10 Depth=1
	v_cmp_ne_u16_e64 s[10:11], s23, v30
	v_bfrev_b32_e32 v36, 1
	s_and_saveexec_b64 s[34:35], s[10:11]
	s_cbranch_execz .LBB367_225
; %bb.222:                              ;   in Loop: Header=BB367_10 Depth=1
	v_and_b32_e32 v5, 0x7f, v30
	v_cmp_ne_u32_e64 s[10:11], s39, v5
	v_mov_b32_e32 v36, 0x7f800001
	s_and_saveexec_b64 s[36:37], s[10:11]
	s_cbranch_execz .LBB367_224
; %bb.223:                              ;   in Loop: Header=BB367_10 Depth=1
	v_and_b32_e32 v6, 7, v30
	v_ffbh_u32_e32 v22, v6
	v_min_u32_e32 v22, 32, v22
	v_subrev_u32_e32 v36, 28, v22
	v_lshlrev_b64 v[56:57], v36, v[30:31]
	v_lshrrev_b32_e32 v7, 3, v5
	v_sub_u32_e32 v22, 29, v22
	v_and_b32_e32 v30, 7, v56
	v_cmp_gt_u32_e64 s[10:11], 8, v5
	v_cndmask_b32_e64 v5, v7, v22, s[10:11]
	v_cndmask_b32_e64 v6, v6, v30, s[10:11]
	v_lshlrev_b32_e32 v7, 16, v28
	v_lshlrev_b32_e32 v6, 20, v6
	v_and_b32_e32 v7, 0x80000000, v7
	v_lshl_add_u32 v5, v5, 23, v3
	v_or3_b32 v36, v7, v5, v6
.LBB367_224:                            ;   in Loop: Header=BB367_10 Depth=1
	s_or_b64 exec, exec, s[36:37]
.LBB367_225:                            ;   in Loop: Header=BB367_10 Depth=1
	s_or_b64 exec, exec, s[34:35]
.LBB367_226:                            ;   in Loop: Header=BB367_10 Depth=1
	s_or_b64 exec, exec, s[30:31]
	v_mul_f32_e32 v5, v14, v36
	v_and_b32_e32 v6, 0x7f800000, v5
	v_cmp_ne_u32_e64 s[10:11], s40, v6
                                        ; implicit-def: $vgpr56
	s_and_saveexec_b64 s[30:31], s[10:11]
	s_xor_b64 s[10:11], exec, s[30:31]
; %bb.227:                              ;   in Loop: Header=BB367_10 Depth=1
	v_bfe_u32 v6, v5, 16, 1
	v_add3_u32 v56, v5, v6, s41
                                        ; implicit-def: $vgpr5
; %bb.228:                              ;   in Loop: Header=BB367_10 Depth=1
	s_andn2_saveexec_b64 s[30:31], s[10:11]
; %bb.229:                              ;   in Loop: Header=BB367_10 Depth=1
	v_or_b32_e32 v6, 0x10000, v5
	v_cmp_eq_u32_sdwa s[10:11], v5, v23 src0_sel:WORD_0 src1_sel:DWORD
	v_cndmask_b32_e64 v56, v6, v5, s[10:11]
; %bb.230:                              ;   in Loop: Header=BB367_10 Depth=1
	s_or_b64 exec, exec, s[30:31]
	flat_load_ushort v5, v[20:21] offset:1288
	v_mov_b32_e32 v30, 0
	s_waitcnt vmcnt(0) lgkmcnt(0)
	v_and_b32_e32 v28, 0xffff, v5
	v_cmp_ne_u16_sdwa s[10:11], v5, v23 src0_sel:BYTE_0 src1_sel:DWORD
	s_and_saveexec_b64 s[30:31], s[10:11]
	s_cbranch_execz .LBB367_236
; %bb.231:                              ;   in Loop: Header=BB367_10 Depth=1
	v_cmp_ne_u16_sdwa s[10:11], v28, s23 src0_sel:BYTE_0 src1_sel:DWORD
	v_bfrev_b32_e32 v30, 1
	s_and_saveexec_b64 s[34:35], s[10:11]
	s_cbranch_execz .LBB367_235
; %bb.232:                              ;   in Loop: Header=BB367_10 Depth=1
	v_and_b32_e32 v5, 0x7f, v28
	v_cmp_ne_u32_e64 s[10:11], s39, v5
	v_mov_b32_e32 v30, 0x7f800001
	s_and_saveexec_b64 s[36:37], s[10:11]
	s_cbranch_execz .LBB367_234
; %bb.233:                              ;   in Loop: Header=BB367_10 Depth=1
	v_and_b32_e32 v6, 7, v28
	v_ffbh_u32_e32 v22, v6
	v_min_u32_e32 v22, 32, v22
	v_subrev_u32_e32 v30, 28, v22
	v_lshlrev_b64 v[58:59], v30, v[28:29]
	v_lshrrev_b32_e32 v7, 3, v5
	v_sub_u32_e32 v22, 29, v22
	v_and_b32_e32 v30, 7, v58
	v_cmp_gt_u32_e64 s[10:11], 8, v5
	v_cndmask_b32_e64 v5, v7, v22, s[10:11]
	v_cndmask_b32_e64 v6, v6, v30, s[10:11]
	v_lshlrev_b32_e32 v7, 24, v28
	v_lshlrev_b32_e32 v6, 20, v6
	v_and_b32_e32 v7, 0x80000000, v7
	v_lshl_add_u32 v5, v5, 23, v3
	v_or3_b32 v30, v7, v5, v6
.LBB367_234:                            ;   in Loop: Header=BB367_10 Depth=1
	s_or_b64 exec, exec, s[36:37]
.LBB367_235:                            ;   in Loop: Header=BB367_10 Depth=1
	s_or_b64 exec, exec, s[34:35]
.LBB367_236:                            ;   in Loop: Header=BB367_10 Depth=1
	s_or_b64 exec, exec, s[30:31]
	v_mul_f32_e32 v5, v14, v30
	v_and_b32_e32 v6, 0x7f800000, v5
	v_cmp_ne_u32_e64 s[10:11], s40, v6
                                        ; implicit-def: $vgpr57
	s_and_saveexec_b64 s[30:31], s[10:11]
	s_xor_b64 s[10:11], exec, s[30:31]
; %bb.237:                              ;   in Loop: Header=BB367_10 Depth=1
	v_bfe_u32 v6, v5, 16, 1
	v_add3_u32 v57, v5, v6, s41
                                        ; implicit-def: $vgpr5
; %bb.238:                              ;   in Loop: Header=BB367_10 Depth=1
	s_andn2_saveexec_b64 s[30:31], s[10:11]
; %bb.239:                              ;   in Loop: Header=BB367_10 Depth=1
	v_or_b32_e32 v6, 0x10000, v5
	v_cmp_eq_u32_sdwa s[10:11], v5, v23 src0_sel:WORD_0 src1_sel:DWORD
	v_cndmask_b32_e64 v57, v6, v5, s[10:11]
; %bb.240:                              ;   in Loop: Header=BB367_10 Depth=1
	s_or_b64 exec, exec, s[30:31]
	v_lshrrev_b16_e32 v30, 8, v28
	v_cmp_ne_u16_e64 s[10:11], 0, v30
	v_mov_b32_e32 v36, 0
	s_and_saveexec_b64 s[30:31], s[10:11]
	s_cbranch_execz .LBB367_246
; %bb.241:                              ;   in Loop: Header=BB367_10 Depth=1
	v_cmp_ne_u16_e64 s[10:11], s23, v30
	v_bfrev_b32_e32 v36, 1
	s_and_saveexec_b64 s[34:35], s[10:11]
	s_cbranch_execz .LBB367_245
; %bb.242:                              ;   in Loop: Header=BB367_10 Depth=1
	v_and_b32_e32 v5, 0x7f, v30
	v_cmp_ne_u32_e64 s[10:11], s39, v5
	v_mov_b32_e32 v36, 0x7f800001
	s_and_saveexec_b64 s[36:37], s[10:11]
	s_cbranch_execz .LBB367_244
; %bb.243:                              ;   in Loop: Header=BB367_10 Depth=1
	v_and_b32_e32 v6, 7, v30
	v_ffbh_u32_e32 v22, v6
	v_min_u32_e32 v22, 32, v22
	v_subrev_u32_e32 v36, 28, v22
	v_lshlrev_b64 v[58:59], v36, v[30:31]
	v_lshrrev_b32_e32 v7, 3, v5
	v_sub_u32_e32 v22, 29, v22
	v_and_b32_e32 v30, 7, v58
	v_cmp_gt_u32_e64 s[10:11], 8, v5
	v_cndmask_b32_e64 v5, v7, v22, s[10:11]
	v_cndmask_b32_e64 v6, v6, v30, s[10:11]
	v_lshlrev_b32_e32 v7, 16, v28
	v_lshlrev_b32_e32 v6, 20, v6
	v_and_b32_e32 v7, 0x80000000, v7
	v_lshl_add_u32 v5, v5, 23, v3
	v_or3_b32 v36, v7, v5, v6
.LBB367_244:                            ;   in Loop: Header=BB367_10 Depth=1
	s_or_b64 exec, exec, s[36:37]
.LBB367_245:                            ;   in Loop: Header=BB367_10 Depth=1
	s_or_b64 exec, exec, s[34:35]
.LBB367_246:                            ;   in Loop: Header=BB367_10 Depth=1
	s_or_b64 exec, exec, s[30:31]
	v_mul_f32_e32 v5, v14, v36
	v_and_b32_e32 v6, 0x7f800000, v5
	v_cmp_ne_u32_e64 s[10:11], s40, v6
                                        ; implicit-def: $vgpr58
	s_and_saveexec_b64 s[30:31], s[10:11]
	s_xor_b64 s[10:11], exec, s[30:31]
; %bb.247:                              ;   in Loop: Header=BB367_10 Depth=1
	v_bfe_u32 v6, v5, 16, 1
	v_add3_u32 v58, v5, v6, s41
                                        ; implicit-def: $vgpr5
; %bb.248:                              ;   in Loop: Header=BB367_10 Depth=1
	s_andn2_saveexec_b64 s[30:31], s[10:11]
; %bb.249:                              ;   in Loop: Header=BB367_10 Depth=1
	v_or_b32_e32 v6, 0x10000, v5
	v_cmp_eq_u32_sdwa s[10:11], v5, v23 src0_sel:WORD_0 src1_sel:DWORD
	v_cndmask_b32_e64 v58, v6, v5, s[10:11]
; %bb.250:                              ;   in Loop: Header=BB367_10 Depth=1
	s_or_b64 exec, exec, s[30:31]
	flat_load_ushort v5, v[20:21] offset:1536
	v_mov_b32_e32 v30, 0
	s_waitcnt vmcnt(0) lgkmcnt(0)
	v_and_b32_e32 v28, 0xffff, v5
	v_cmp_ne_u16_sdwa s[10:11], v5, v23 src0_sel:BYTE_0 src1_sel:DWORD
	s_and_saveexec_b64 s[30:31], s[10:11]
	s_cbranch_execz .LBB367_256
; %bb.251:                              ;   in Loop: Header=BB367_10 Depth=1
	v_cmp_ne_u16_sdwa s[10:11], v28, s23 src0_sel:BYTE_0 src1_sel:DWORD
	v_bfrev_b32_e32 v30, 1
	s_and_saveexec_b64 s[34:35], s[10:11]
	s_cbranch_execz .LBB367_255
; %bb.252:                              ;   in Loop: Header=BB367_10 Depth=1
	v_and_b32_e32 v5, 0x7f, v28
	v_cmp_ne_u32_e64 s[10:11], s39, v5
	v_mov_b32_e32 v30, 0x7f800001
	s_and_saveexec_b64 s[36:37], s[10:11]
	s_cbranch_execz .LBB367_254
; %bb.253:                              ;   in Loop: Header=BB367_10 Depth=1
	v_and_b32_e32 v6, 7, v28
	v_ffbh_u32_e32 v22, v6
	v_min_u32_e32 v22, 32, v22
	v_subrev_u32_e32 v30, 28, v22
	v_lshlrev_b64 v[60:61], v30, v[28:29]
	v_lshrrev_b32_e32 v7, 3, v5
	v_sub_u32_e32 v22, 29, v22
	v_and_b32_e32 v30, 7, v60
	v_cmp_gt_u32_e64 s[10:11], 8, v5
	v_cndmask_b32_e64 v5, v7, v22, s[10:11]
	v_cndmask_b32_e64 v6, v6, v30, s[10:11]
	v_lshlrev_b32_e32 v7, 24, v28
	v_lshlrev_b32_e32 v6, 20, v6
	v_and_b32_e32 v7, 0x80000000, v7
	v_lshl_add_u32 v5, v5, 23, v3
	v_or3_b32 v30, v7, v5, v6
.LBB367_254:                            ;   in Loop: Header=BB367_10 Depth=1
	s_or_b64 exec, exec, s[36:37]
.LBB367_255:                            ;   in Loop: Header=BB367_10 Depth=1
	s_or_b64 exec, exec, s[34:35]
.LBB367_256:                            ;   in Loop: Header=BB367_10 Depth=1
	s_or_b64 exec, exec, s[30:31]
	v_mul_f32_e32 v5, v14, v30
	v_and_b32_e32 v6, 0x7f800000, v5
	v_cmp_ne_u32_e64 s[10:11], s40, v6
                                        ; implicit-def: $vgpr59
	s_and_saveexec_b64 s[30:31], s[10:11]
	s_xor_b64 s[10:11], exec, s[30:31]
; %bb.257:                              ;   in Loop: Header=BB367_10 Depth=1
	v_bfe_u32 v6, v5, 16, 1
	v_add3_u32 v59, v5, v6, s41
                                        ; implicit-def: $vgpr5
; %bb.258:                              ;   in Loop: Header=BB367_10 Depth=1
	s_andn2_saveexec_b64 s[30:31], s[10:11]
; %bb.259:                              ;   in Loop: Header=BB367_10 Depth=1
	v_or_b32_e32 v6, 0x10000, v5
	v_cmp_eq_u32_sdwa s[10:11], v5, v23 src0_sel:WORD_0 src1_sel:DWORD
	v_cndmask_b32_e64 v59, v6, v5, s[10:11]
; %bb.260:                              ;   in Loop: Header=BB367_10 Depth=1
	s_or_b64 exec, exec, s[30:31]
	v_lshrrev_b16_e32 v30, 8, v28
	v_cmp_ne_u16_e64 s[10:11], 0, v30
	v_mov_b32_e32 v36, 0
	s_and_saveexec_b64 s[30:31], s[10:11]
	s_cbranch_execz .LBB367_266
; %bb.261:                              ;   in Loop: Header=BB367_10 Depth=1
	v_cmp_ne_u16_e64 s[10:11], s23, v30
	v_bfrev_b32_e32 v36, 1
	s_and_saveexec_b64 s[34:35], s[10:11]
	s_cbranch_execz .LBB367_265
; %bb.262:                              ;   in Loop: Header=BB367_10 Depth=1
	v_and_b32_e32 v5, 0x7f, v30
	v_cmp_ne_u32_e64 s[10:11], s39, v5
	v_mov_b32_e32 v36, 0x7f800001
	s_and_saveexec_b64 s[36:37], s[10:11]
	s_cbranch_execz .LBB367_264
; %bb.263:                              ;   in Loop: Header=BB367_10 Depth=1
	v_and_b32_e32 v6, 7, v30
	v_ffbh_u32_e32 v22, v6
	v_min_u32_e32 v22, 32, v22
	v_subrev_u32_e32 v36, 28, v22
	v_lshlrev_b64 v[60:61], v36, v[30:31]
	v_lshrrev_b32_e32 v7, 3, v5
	v_sub_u32_e32 v22, 29, v22
	v_and_b32_e32 v30, 7, v60
	v_cmp_gt_u32_e64 s[10:11], 8, v5
	v_cndmask_b32_e64 v5, v7, v22, s[10:11]
	v_cndmask_b32_e64 v6, v6, v30, s[10:11]
	v_lshlrev_b32_e32 v7, 16, v28
	v_lshlrev_b32_e32 v6, 20, v6
	v_and_b32_e32 v7, 0x80000000, v7
	v_lshl_add_u32 v5, v5, 23, v3
	v_or3_b32 v36, v7, v5, v6
.LBB367_264:                            ;   in Loop: Header=BB367_10 Depth=1
	s_or_b64 exec, exec, s[36:37]
.LBB367_265:                            ;   in Loop: Header=BB367_10 Depth=1
	s_or_b64 exec, exec, s[34:35]
.LBB367_266:                            ;   in Loop: Header=BB367_10 Depth=1
	s_or_b64 exec, exec, s[30:31]
	v_mul_f32_e32 v5, v14, v36
	v_and_b32_e32 v6, 0x7f800000, v5
	v_cmp_ne_u32_e64 s[10:11], s40, v6
                                        ; implicit-def: $vgpr60
	s_and_saveexec_b64 s[30:31], s[10:11]
	s_xor_b64 s[10:11], exec, s[30:31]
; %bb.267:                              ;   in Loop: Header=BB367_10 Depth=1
	v_bfe_u32 v6, v5, 16, 1
	v_add3_u32 v60, v5, v6, s41
                                        ; implicit-def: $vgpr5
; %bb.268:                              ;   in Loop: Header=BB367_10 Depth=1
	s_andn2_saveexec_b64 s[30:31], s[10:11]
; %bb.269:                              ;   in Loop: Header=BB367_10 Depth=1
	v_or_b32_e32 v6, 0x10000, v5
	v_cmp_eq_u32_sdwa s[10:11], v5, v23 src0_sel:WORD_0 src1_sel:DWORD
	v_cndmask_b32_e64 v60, v6, v5, s[10:11]
; %bb.270:                              ;   in Loop: Header=BB367_10 Depth=1
	s_or_b64 exec, exec, s[30:31]
	flat_load_ushort v5, v[20:21] offset:1544
	v_mov_b32_e32 v30, 0
	s_waitcnt vmcnt(0) lgkmcnt(0)
	v_and_b32_e32 v28, 0xffff, v5
	v_cmp_ne_u16_sdwa s[10:11], v5, v23 src0_sel:BYTE_0 src1_sel:DWORD
	s_and_saveexec_b64 s[30:31], s[10:11]
	s_cbranch_execz .LBB367_276
; %bb.271:                              ;   in Loop: Header=BB367_10 Depth=1
	v_cmp_ne_u16_sdwa s[10:11], v28, s23 src0_sel:BYTE_0 src1_sel:DWORD
	v_bfrev_b32_e32 v30, 1
	s_and_saveexec_b64 s[34:35], s[10:11]
	s_cbranch_execz .LBB367_275
; %bb.272:                              ;   in Loop: Header=BB367_10 Depth=1
	v_and_b32_e32 v5, 0x7f, v28
	v_cmp_ne_u32_e64 s[10:11], s39, v5
	v_mov_b32_e32 v30, 0x7f800001
	s_and_saveexec_b64 s[36:37], s[10:11]
	s_cbranch_execz .LBB367_274
; %bb.273:                              ;   in Loop: Header=BB367_10 Depth=1
	v_and_b32_e32 v22, 7, v28
	v_ffbh_u32_e32 v6, v22
	v_min_u32_e32 v36, 32, v6
	v_subrev_u32_e32 v6, 28, v36
	v_lshlrev_b64 v[6:7], v6, v[28:29]
	v_lshrrev_b32_e32 v30, 3, v5
	v_sub_u32_e32 v7, 29, v36
	v_and_b32_e32 v6, 7, v6
	v_cmp_gt_u32_e64 s[10:11], 8, v5
	v_cndmask_b32_e64 v5, v30, v7, s[10:11]
	v_cndmask_b32_e64 v6, v22, v6, s[10:11]
	v_lshlrev_b32_e32 v7, 24, v28
	v_lshlrev_b32_e32 v6, 20, v6
	v_and_b32_e32 v7, 0x80000000, v7
	v_lshl_add_u32 v5, v5, 23, v3
	v_or3_b32 v30, v7, v5, v6
.LBB367_274:                            ;   in Loop: Header=BB367_10 Depth=1
	s_or_b64 exec, exec, s[36:37]
.LBB367_275:                            ;   in Loop: Header=BB367_10 Depth=1
	s_or_b64 exec, exec, s[34:35]
.LBB367_276:                            ;   in Loop: Header=BB367_10 Depth=1
	s_or_b64 exec, exec, s[30:31]
	v_mul_f32_e32 v5, v14, v30
	v_and_b32_e32 v6, 0x7f800000, v5
	v_cmp_ne_u32_e64 s[10:11], s40, v6
                                        ; implicit-def: $vgpr61
	s_and_saveexec_b64 s[30:31], s[10:11]
	s_xor_b64 s[10:11], exec, s[30:31]
; %bb.277:                              ;   in Loop: Header=BB367_10 Depth=1
	v_bfe_u32 v6, v5, 16, 1
	v_add3_u32 v61, v5, v6, s41
                                        ; implicit-def: $vgpr5
; %bb.278:                              ;   in Loop: Header=BB367_10 Depth=1
	s_andn2_saveexec_b64 s[30:31], s[10:11]
; %bb.279:                              ;   in Loop: Header=BB367_10 Depth=1
	v_or_b32_e32 v6, 0x10000, v5
	v_cmp_eq_u32_sdwa s[10:11], v5, v23 src0_sel:WORD_0 src1_sel:DWORD
	v_cndmask_b32_e64 v61, v6, v5, s[10:11]
; %bb.280:                              ;   in Loop: Header=BB367_10 Depth=1
	s_or_b64 exec, exec, s[30:31]
	v_lshrrev_b16_e32 v30, 8, v28
	v_cmp_ne_u16_e64 s[10:11], 0, v30
	v_mov_b32_e32 v36, 0
	s_and_saveexec_b64 s[30:31], s[10:11]
	s_cbranch_execz .LBB367_286
; %bb.281:                              ;   in Loop: Header=BB367_10 Depth=1
	v_cmp_ne_u16_e64 s[10:11], s23, v30
	v_bfrev_b32_e32 v36, 1
	s_and_saveexec_b64 s[34:35], s[10:11]
	s_cbranch_execz .LBB367_285
; %bb.282:                              ;   in Loop: Header=BB367_10 Depth=1
	v_and_b32_e32 v5, 0x7f, v30
	v_cmp_ne_u32_e64 s[10:11], s39, v5
	v_mov_b32_e32 v36, 0x7f800001
	s_and_saveexec_b64 s[36:37], s[10:11]
	s_cbranch_execz .LBB367_284
; %bb.283:                              ;   in Loop: Header=BB367_10 Depth=1
	v_and_b32_e32 v22, 7, v30
	v_ffbh_u32_e32 v6, v22
	v_min_u32_e32 v62, 32, v6
	v_subrev_u32_e32 v6, 28, v62
	v_lshlrev_b64 v[6:7], v6, v[30:31]
	v_lshrrev_b32_e32 v36, 3, v5
	v_sub_u32_e32 v7, 29, v62
	v_and_b32_e32 v6, 7, v6
	v_cmp_gt_u32_e64 s[10:11], 8, v5
	v_cndmask_b32_e64 v5, v36, v7, s[10:11]
	v_cndmask_b32_e64 v6, v22, v6, s[10:11]
	v_lshlrev_b32_e32 v7, 16, v28
	v_lshlrev_b32_e32 v6, 20, v6
	v_and_b32_e32 v7, 0x80000000, v7
	v_lshl_add_u32 v5, v5, 23, v3
	v_or3_b32 v36, v7, v5, v6
.LBB367_284:                            ;   in Loop: Header=BB367_10 Depth=1
	s_or_b64 exec, exec, s[36:37]
.LBB367_285:                            ;   in Loop: Header=BB367_10 Depth=1
	s_or_b64 exec, exec, s[34:35]
.LBB367_286:                            ;   in Loop: Header=BB367_10 Depth=1
	s_or_b64 exec, exec, s[30:31]
	v_mul_f32_e32 v5, v14, v36
	v_and_b32_e32 v6, 0x7f800000, v5
	v_cmp_ne_u32_e64 s[10:11], s40, v6
                                        ; implicit-def: $vgpr62
	s_and_saveexec_b64 s[30:31], s[10:11]
	s_xor_b64 s[10:11], exec, s[30:31]
; %bb.287:                              ;   in Loop: Header=BB367_10 Depth=1
	v_bfe_u32 v6, v5, 16, 1
	v_add3_u32 v62, v5, v6, s41
                                        ; implicit-def: $vgpr5
; %bb.288:                              ;   in Loop: Header=BB367_10 Depth=1
	s_andn2_saveexec_b64 s[30:31], s[10:11]
; %bb.289:                              ;   in Loop: Header=BB367_10 Depth=1
	v_or_b32_e32 v6, 0x10000, v5
	v_cmp_eq_u32_sdwa s[10:11], v5, v23 src0_sel:WORD_0 src1_sel:DWORD
	v_cndmask_b32_e64 v62, v6, v5, s[10:11]
; %bb.290:                              ;   in Loop: Header=BB367_10 Depth=1
	s_or_b64 exec, exec, s[30:31]
	flat_load_ushort v5, v[20:21] offset:1792
	v_mov_b32_e32 v30, 0
	s_waitcnt vmcnt(0) lgkmcnt(0)
	v_and_b32_e32 v28, 0xffff, v5
	v_cmp_ne_u16_sdwa s[10:11], v5, v23 src0_sel:BYTE_0 src1_sel:DWORD
	s_and_saveexec_b64 s[30:31], s[10:11]
	s_cbranch_execz .LBB367_296
; %bb.291:                              ;   in Loop: Header=BB367_10 Depth=1
	v_cmp_ne_u16_sdwa s[10:11], v28, s23 src0_sel:BYTE_0 src1_sel:DWORD
	v_bfrev_b32_e32 v30, 1
	s_and_saveexec_b64 s[34:35], s[10:11]
	s_cbranch_execz .LBB367_295
; %bb.292:                              ;   in Loop: Header=BB367_10 Depth=1
	v_and_b32_e32 v5, 0x7f, v28
	v_cmp_ne_u32_e64 s[10:11], s39, v5
	v_mov_b32_e32 v30, 0x7f800001
	s_and_saveexec_b64 s[36:37], s[10:11]
	s_cbranch_execz .LBB367_294
; %bb.293:                              ;   in Loop: Header=BB367_10 Depth=1
	v_and_b32_e32 v22, 7, v28
	v_ffbh_u32_e32 v6, v22
	v_min_u32_e32 v36, 32, v6
	v_subrev_u32_e32 v6, 28, v36
	v_lshlrev_b64 v[6:7], v6, v[28:29]
	v_lshrrev_b32_e32 v30, 3, v5
	v_sub_u32_e32 v7, 29, v36
	v_and_b32_e32 v6, 7, v6
	v_cmp_gt_u32_e64 s[10:11], 8, v5
	v_cndmask_b32_e64 v5, v30, v7, s[10:11]
	v_cndmask_b32_e64 v6, v22, v6, s[10:11]
	v_lshlrev_b32_e32 v7, 24, v28
	v_lshlrev_b32_e32 v6, 20, v6
	v_and_b32_e32 v7, 0x80000000, v7
	v_lshl_add_u32 v5, v5, 23, v3
	v_or3_b32 v30, v7, v5, v6
.LBB367_294:                            ;   in Loop: Header=BB367_10 Depth=1
	s_or_b64 exec, exec, s[36:37]
.LBB367_295:                            ;   in Loop: Header=BB367_10 Depth=1
	s_or_b64 exec, exec, s[34:35]
.LBB367_296:                            ;   in Loop: Header=BB367_10 Depth=1
	s_or_b64 exec, exec, s[30:31]
	v_mul_f32_e32 v5, v14, v30
	v_and_b32_e32 v6, 0x7f800000, v5
	v_cmp_ne_u32_e64 s[10:11], s40, v6
                                        ; implicit-def: $vgpr36
	s_and_saveexec_b64 s[30:31], s[10:11]
	s_xor_b64 s[10:11], exec, s[30:31]
; %bb.297:                              ;   in Loop: Header=BB367_10 Depth=1
	v_bfe_u32 v6, v5, 16, 1
	v_add3_u32 v36, v5, v6, s41
                                        ; implicit-def: $vgpr5
; %bb.298:                              ;   in Loop: Header=BB367_10 Depth=1
	s_andn2_saveexec_b64 s[30:31], s[10:11]
; %bb.299:                              ;   in Loop: Header=BB367_10 Depth=1
	v_or_b32_e32 v6, 0x10000, v5
	v_cmp_eq_u32_sdwa s[10:11], v5, v23 src0_sel:WORD_0 src1_sel:DWORD
	v_cndmask_b32_e64 v36, v6, v5, s[10:11]
; %bb.300:                              ;   in Loop: Header=BB367_10 Depth=1
	s_or_b64 exec, exec, s[30:31]
	v_lshrrev_b16_e32 v30, 8, v28
	v_cmp_ne_u16_e64 s[10:11], 0, v30
	v_mov_b32_e32 v5, 0
	s_and_saveexec_b64 s[30:31], s[10:11]
	s_cbranch_execz .LBB367_306
; %bb.301:                              ;   in Loop: Header=BB367_10 Depth=1
	v_cmp_ne_u16_e64 s[10:11], s23, v30
	v_bfrev_b32_e32 v5, 1
	s_and_saveexec_b64 s[34:35], s[10:11]
	s_cbranch_execz .LBB367_305
; %bb.302:                              ;   in Loop: Header=BB367_10 Depth=1
	v_and_b32_e32 v22, 0x7f, v30
	v_cmp_ne_u32_e64 s[10:11], s39, v22
	v_mov_b32_e32 v5, 0x7f800001
	s_and_saveexec_b64 s[36:37], s[10:11]
	s_cbranch_execz .LBB367_304
; %bb.303:                              ;   in Loop: Header=BB367_10 Depth=1
	v_and_b32_e32 v5, 7, v30
	v_ffbh_u32_e32 v6, v5
	v_min_u32_e32 v34, 32, v6
	v_subrev_u32_e32 v6, 28, v34
	v_lshlrev_b64 v[6:7], v6, v[30:31]
	v_lshrrev_b32_e32 v4, 3, v22
	v_sub_u32_e32 v7, 29, v34
	v_and_b32_e32 v6, 7, v6
	v_cmp_gt_u32_e64 s[10:11], 8, v22
	v_cndmask_b32_e64 v4, v4, v7, s[10:11]
	v_cndmask_b32_e64 v5, v5, v6, s[10:11]
	v_lshlrev_b32_e32 v6, 16, v28
	v_lshlrev_b32_e32 v5, 20, v5
	v_and_b32_e32 v6, 0x80000000, v6
	v_lshl_add_u32 v4, v4, 23, v3
	v_or3_b32 v5, v6, v4, v5
.LBB367_304:                            ;   in Loop: Header=BB367_10 Depth=1
	s_or_b64 exec, exec, s[36:37]
.LBB367_305:                            ;   in Loop: Header=BB367_10 Depth=1
	s_or_b64 exec, exec, s[34:35]
.LBB367_306:                            ;   in Loop: Header=BB367_10 Depth=1
	s_or_b64 exec, exec, s[30:31]
	v_mul_f32_e32 v5, v14, v5
	v_and_b32_e32 v4, 0x7f800000, v5
	v_cmp_ne_u32_e64 s[10:11], s40, v4
                                        ; implicit-def: $vgpr30
	s_and_saveexec_b64 s[30:31], s[10:11]
	s_xor_b64 s[10:11], exec, s[30:31]
; %bb.307:                              ;   in Loop: Header=BB367_10 Depth=1
	v_bfe_u32 v4, v5, 16, 1
	v_add3_u32 v30, v5, v4, s41
                                        ; implicit-def: $vgpr5
; %bb.308:                              ;   in Loop: Header=BB367_10 Depth=1
	s_andn2_saveexec_b64 s[30:31], s[10:11]
; %bb.309:                              ;   in Loop: Header=BB367_10 Depth=1
	v_or_b32_e32 v4, 0x10000, v5
	v_cmp_eq_u32_sdwa s[10:11], v5, v23 src0_sel:WORD_0 src1_sel:DWORD
	v_cndmask_b32_e64 v30, v4, v5, s[10:11]
; %bb.310:                              ;   in Loop: Header=BB367_10 Depth=1
	s_or_b64 exec, exec, s[30:31]
	flat_load_ushort v4, v[20:21] offset:1800
	v_mov_b32_e32 v5, 0
	s_waitcnt vmcnt(0) lgkmcnt(0)
	v_and_b32_e32 v20, 0xffff, v4
	v_cmp_ne_u16_sdwa s[10:11], v4, v23 src0_sel:BYTE_0 src1_sel:DWORD
	s_and_saveexec_b64 s[30:31], s[10:11]
	s_cbranch_execz .LBB367_316
; %bb.311:                              ;   in Loop: Header=BB367_10 Depth=1
	v_cmp_ne_u16_sdwa s[10:11], v20, s23 src0_sel:BYTE_0 src1_sel:DWORD
	v_bfrev_b32_e32 v5, 1
	s_and_saveexec_b64 s[34:35], s[10:11]
	s_cbranch_execz .LBB367_315
; %bb.312:                              ;   in Loop: Header=BB367_10 Depth=1
	v_and_b32_e32 v21, 0x7f, v20
	v_cmp_ne_u32_e64 s[10:11], s39, v21
	v_mov_b32_e32 v5, 0x7f800001
	s_and_saveexec_b64 s[36:37], s[10:11]
	s_cbranch_execz .LBB367_314
; %bb.313:                              ;   in Loop: Header=BB367_10 Depth=1
	v_and_b32_e32 v4, 7, v20
	v_ffbh_u32_e32 v6, v4
	v_min_u32_e32 v22, 32, v6
	v_subrev_u32_e32 v6, 28, v22
	v_lshlrev_b64 v[6:7], v6, v[20:21]
	v_lshrrev_b32_e32 v5, 3, v21
	v_sub_u32_e32 v7, 29, v22
	v_and_b32_e32 v6, 7, v6
	v_cmp_gt_u32_e64 s[10:11], 8, v21
	v_cndmask_b32_e64 v5, v5, v7, s[10:11]
	v_cndmask_b32_e64 v4, v4, v6, s[10:11]
	v_lshlrev_b32_e32 v6, 24, v20
	v_lshlrev_b32_e32 v4, 20, v4
	v_and_b32_e32 v6, 0x80000000, v6
	v_lshl_add_u32 v5, v5, 23, v3
	v_or3_b32 v5, v6, v5, v4
.LBB367_314:                            ;   in Loop: Header=BB367_10 Depth=1
	s_or_b64 exec, exec, s[36:37]
.LBB367_315:                            ;   in Loop: Header=BB367_10 Depth=1
	s_or_b64 exec, exec, s[34:35]
.LBB367_316:                            ;   in Loop: Header=BB367_10 Depth=1
	s_or_b64 exec, exec, s[30:31]
	v_mul_f32_e32 v5, v14, v5
	v_and_b32_e32 v4, 0x7f800000, v5
	v_cmp_ne_u32_e64 s[10:11], s40, v4
                                        ; implicit-def: $vgpr21
	s_and_saveexec_b64 s[30:31], s[10:11]
	s_xor_b64 s[10:11], exec, s[30:31]
; %bb.317:                              ;   in Loop: Header=BB367_10 Depth=1
	v_bfe_u32 v4, v5, 16, 1
	v_add3_u32 v21, v5, v4, s41
                                        ; implicit-def: $vgpr5
; %bb.318:                              ;   in Loop: Header=BB367_10 Depth=1
	s_andn2_saveexec_b64 s[30:31], s[10:11]
; %bb.319:                              ;   in Loop: Header=BB367_10 Depth=1
	v_or_b32_e32 v4, 0x10000, v5
	v_cmp_eq_u32_sdwa s[10:11], v5, v23 src0_sel:WORD_0 src1_sel:DWORD
	v_cndmask_b32_e64 v21, v4, v5, s[10:11]
; %bb.320:                              ;   in Loop: Header=BB367_10 Depth=1
	s_or_b64 exec, exec, s[30:31]
	v_lshrrev_b16_e32 v28, 8, v20
	v_cmp_ne_u16_e64 s[10:11], 0, v28
	v_mov_b32_e32 v5, 0
	s_and_saveexec_b64 s[30:31], s[10:11]
	s_cbranch_execz .LBB367_326
; %bb.321:                              ;   in Loop: Header=BB367_10 Depth=1
	v_cmp_ne_u16_e64 s[10:11], s23, v28
	v_bfrev_b32_e32 v5, 1
	s_and_saveexec_b64 s[34:35], s[10:11]
	s_cbranch_execz .LBB367_325
; %bb.322:                              ;   in Loop: Header=BB367_10 Depth=1
	v_and_b32_e32 v22, 0x7f, v28
	v_cmp_ne_u32_e64 s[10:11], s39, v22
	v_mov_b32_e32 v5, 0x7f800001
	s_and_saveexec_b64 s[36:37], s[10:11]
	s_cbranch_execz .LBB367_324
; %bb.323:                              ;   in Loop: Header=BB367_10 Depth=1
	v_and_b32_e32 v4, 7, v28
	v_ffbh_u32_e32 v6, v4
	v_min_u32_e32 v34, 32, v6
	v_subrev_u32_e32 v6, 28, v34
	v_lshlrev_b64 v[6:7], v6, v[28:29]
	v_lshrrev_b32_e32 v5, 3, v22
	v_sub_u32_e32 v7, 29, v34
	v_and_b32_e32 v6, 7, v6
	v_cmp_gt_u32_e64 s[10:11], 8, v22
	v_cndmask_b32_e64 v5, v5, v7, s[10:11]
	v_cndmask_b32_e64 v4, v4, v6, s[10:11]
	v_lshlrev_b32_e32 v6, 16, v20
	v_lshlrev_b32_e32 v4, 20, v4
	v_and_b32_e32 v6, 0x80000000, v6
	v_lshl_add_u32 v5, v5, 23, v3
	v_or3_b32 v5, v6, v5, v4
.LBB367_324:                            ;   in Loop: Header=BB367_10 Depth=1
	s_or_b64 exec, exec, s[36:37]
.LBB367_325:                            ;   in Loop: Header=BB367_10 Depth=1
	s_or_b64 exec, exec, s[34:35]
.LBB367_326:                            ;   in Loop: Header=BB367_10 Depth=1
	s_or_b64 exec, exec, s[30:31]
	v_mul_f32_e32 v5, v14, v5
	v_and_b32_e32 v4, 0x7f800000, v5
	v_cmp_ne_u32_e64 s[10:11], s40, v4
                                        ; implicit-def: $vgpr14
	s_and_saveexec_b64 s[30:31], s[10:11]
	s_xor_b64 s[10:11], exec, s[30:31]
; %bb.327:                              ;   in Loop: Header=BB367_10 Depth=1
	v_bfe_u32 v4, v5, 16, 1
	v_add3_u32 v14, v5, v4, s41
                                        ; implicit-def: $vgpr5
; %bb.328:                              ;   in Loop: Header=BB367_10 Depth=1
	s_andn2_saveexec_b64 s[30:31], s[10:11]
; %bb.329:                              ;   in Loop: Header=BB367_10 Depth=1
	v_or_b32_e32 v4, 0x10000, v5
	v_cmp_eq_u32_sdwa s[10:11], v5, v23 src0_sel:WORD_0 src1_sel:DWORD
	v_cndmask_b32_e64 v14, v4, v5, s[10:11]
; %bb.330:                              ;   in Loop: Header=BB367_10 Depth=1
	s_or_b64 exec, exec, s[30:31]
	v_and_b32_e32 v4, 0xffff0000, v27
	v_accvgpr_read_b32 v6, a24
	v_and_b32_e32 v5, 0xffff0000, v31
	v_mul_f32_e32 v4, v6, v4
	v_fmac_f32_e32 v4, v10, v5
	v_and_b32_e32 v5, 0xffff0000, v38
	v_accvgpr_read_b32 v7, a25
	v_and_b32_e32 v6, 0xffff0000, v26
	v_mul_f32_e32 v5, v7, v5
	v_accvgpr_read_b32 v7, a23
	v_fmac_f32_e32 v5, v7, v6
	v_and_b32_e32 v6, 0xffff0000, v12
	v_accvgpr_read_b32 v7, a26
	v_fmac_f32_e32 v4, v7, v6
	v_and_b32_e32 v6, 0xffff0000, v48
	;; [unrolled: 3-line block ×4, first 2 shown]
	v_accvgpr_read_b32 v7, a29
	v_and_b32_e32 v50, 0xffff0000, v41
	v_and_b32_e32 v51, 0xffff0000, v51
	v_accvgpr_read_b32 v41, a30
	v_fmac_f32_e32 v5, v7, v6
	v_and_b32_e32 v52, 0xffff0000, v52
	v_fmac_f32_e32 v4, v41, v51
	v_accvgpr_read_b32 v51, a31
	v_and_b32_e32 v53, 0xffff0000, v53
	v_fmac_f32_e32 v5, v51, v52
	v_accvgpr_read_b32 v51, a32
	v_and_b32_e32 v54, 0xffff0000, v54
	v_fmac_f32_e32 v4, v51, v53
	v_accvgpr_read_b32 v51, a33
	v_and_b32_e32 v55, 0xffff0000, v55
	v_fmac_f32_e32 v5, v51, v54
	v_accvgpr_read_b32 v51, a34
	v_and_b32_e32 v40, 0xffff0000, v40
	v_fmac_f32_e32 v4, v51, v55
	v_accvgpr_read_b32 v51, a35
	v_fmac_f32_e32 v5, v51, v40
	v_accvgpr_read_b32 v51, a36
	v_and_b32_e32 v49, 0xffff0000, v42
	v_fmac_f32_e32 v4, v51, v50
	v_accvgpr_read_b32 v50, a37
	v_and_b32_e32 v48, 0xffff0000, v43
	;; [unrolled: 3-line block ×4, first 2 shown]
	v_and_b32_e32 v36, 0xffff0000, v45
	v_fmac_f32_e32 v5, v48, v38
	v_accvgpr_read_b32 v38, a40
	v_and_b32_e32 v34, 0xffff0000, v46
	v_fmac_f32_e32 v4, v38, v36
	v_accvgpr_read_b32 v36, a41
	;; [unrolled: 3-line block ×3, first 2 shown]
	v_and_b32_e32 v7, 0xffff0000, v30
	v_and_b32_e32 v30, 0xffff0000, v56
	v_fmac_f32_e32 v4, v34, v31
	v_accvgpr_read_b32 v31, a43
	v_and_b32_e32 v28, 0xffff0000, v57
	v_fmac_f32_e32 v5, v31, v30
	v_accvgpr_read_b32 v30, a44
	;; [unrolled: 3-line block ×5, first 2 shown]
	v_and_b32_e32 v6, 0xffff0000, v21
	v_and_b32_e32 v21, 0xffff0000, v61
	v_fmac_f32_e32 v5, v26, v22
	v_accvgpr_read_b32 v22, a48
	v_and_b32_e32 v20, 0xffff0000, v62
	v_fmac_f32_e32 v4, v22, v21
	v_accvgpr_read_b32 v21, a49
	v_fmac_f32_e32 v5, v21, v20
	v_accvgpr_read_b32 v20, a50
	;; [unrolled: 2-line block ×3, first 2 shown]
	v_and_b32_e32 v14, 0xffff0000, v14
	v_fmac_f32_e32 v5, v12, v7
	v_fmac_f32_e32 v4, v33, v6
	;; [unrolled: 1-line block ×3, first 2 shown]
	v_add_f32_e32 v4, v4, v5
	ds_bpermute_b32 v5, v1, v4
	s_waitcnt lgkmcnt(0)
	v_add_f32_e32 v5, v4, v5
	ds_bpermute_b32 v12, v0, v5
	s_and_saveexec_b64 s[30:31], vcc
	s_cbranch_execz .LBB367_9
; %bb.331:                              ;   in Loop: Header=BB367_10 Depth=1
	v_accvgpr_read_b32 v4, a52
	v_add_u32_e32 v4, v4, v2
	v_cvt_f32_i32_e32 v4, v4
	s_load_dword s10, s[26:27], 0x0
	s_waitcnt lgkmcnt(0)
	v_add_f32_e32 v5, v5, v12
	v_mul_f32_e32 v4, v39, v4
	v_cndmask_b32_e64 v4, 0, v4, s[8:9]
	v_add_u32_e32 v6, s10, v29
	v_fmac_f32_e32 v4, v5, v13
	v_cmp_lt_i32_e64 s[10:11], v2, v32
	v_cndmask_b32_e64 v5, 0, v4, s[10:11]
	ds_write_b32 v6, v5
	v_max_f32_e32 v5, v35, v35
	v_max_f32_e32 v4, v5, v4
	v_cndmask_b32_e64 v35, v35, v4, s[10:11]
	s_branch .LBB367_9
.LBB367_332:
	s_or_b64 exec, exec, s[28:29]
	v_accvgpr_read_b32 v27, a9
	v_accvgpr_read_b32 v22, a0
	;; [unrolled: 1-line block ×15, first 2 shown]
	s_waitcnt lgkmcnt(0)
	v_accvgpr_read_b32 v12, a21
.LBB367_333:
	s_or_b64 exec, exec, s[16:17]
	v_xor_b32_e32 v0, 32, v37
	v_cmp_lt_i32_e32 vcc, v0, v12
	v_cndmask_b32_e32 v0, v37, v0, vcc
	v_lshlrev_b32_e32 v2, 2, v0
	ds_bpermute_b32 v0, v2, v35
	v_xor_b32_e32 v3, 16, v37
	v_max_f32_e32 v1, v35, v35
	v_cmp_lt_i32_e32 vcc, v3, v12
	v_xor_b32_e32 v4, 8, v37
	s_waitcnt lgkmcnt(0)
	v_max_f32_e32 v0, v0, v0
	v_max_f32_e32 v0, v1, v0
	v_cndmask_b32_e32 v1, v37, v3, vcc
	v_lshlrev_b32_e32 v3, 2, v1
	ds_bpermute_b32 v1, v3, v0
	v_cmp_lt_i32_e32 vcc, v4, v12
	v_and_b32_e32 v23, 63, v31
	s_lshr_b32 s25, s25, 16
	s_waitcnt lgkmcnt(0)
	v_max_f32_e32 v1, v1, v1
	v_max_f32_e32 v0, v0, v1
	v_cndmask_b32_e32 v1, v37, v4, vcc
	v_lshlrev_b32_e32 v6, 2, v1
	ds_bpermute_b32 v1, v6, v0
	v_xor_b32_e32 v4, 4, v37
	v_cmp_lt_i32_e32 vcc, v4, v12
	s_waitcnt lgkmcnt(0)
	v_max_f32_e32 v1, v1, v1
	v_max_f32_e32 v0, v0, v1
	v_cndmask_b32_e32 v1, v37, v4, vcc
	v_lshlrev_b32_e32 v8, 2, v1
	ds_bpermute_b32 v1, v8, v0
	v_cmp_eq_u32_e32 vcc, 0, v23
	v_lshlrev_b32_e32 v4, 2, v28
	s_and_saveexec_b64 s[8:9], vcc
	s_cbranch_execz .LBB367_335
; %bb.334:
	s_waitcnt lgkmcnt(0)
	v_max_f32_e32 v1, v1, v1
	v_max_f32_e32 v0, v0, v0
	;; [unrolled: 1-line block ×3, first 2 shown]
	ds_write_b32 v4, v0 offset:256
.LBB367_335:
	s_or_b64 exec, exec, s[8:9]
	v_cmp_gt_u32_e64 s[8:9], 2, v23
	v_mov_b32_e32 v0, 0xff7fffff
	v_lshlrev_b32_e32 v5, 2, v23
	s_waitcnt lgkmcnt(0)
	s_barrier
	s_and_saveexec_b64 s[10:11], s[8:9]
	s_cbranch_execz .LBB367_337
; %bb.336:
	ds_read_b32 v0, v5 offset:256
.LBB367_337:
	s_or_b64 exec, exec, s[10:11]
	v_xor_b32_e32 v1, 1, v37
	v_cmp_lt_i32_e64 s[10:11], v1, v12
	v_cndmask_b32_e64 v1, v37, v1, s[10:11]
	v_lshlrev_b32_e32 v24, 2, v1
	s_waitcnt lgkmcnt(0)
	ds_bpermute_b32 v1, v24, v0
	v_max_f32_e32 v0, v0, v0
	v_accvgpr_read_b32 v7, a3
	v_subrev_u32_e32 v7, s15, v7
	v_lshl_add_u32 v7, v7, 4, s38
	s_waitcnt lgkmcnt(0)
	v_max_f32_e32 v1, v1, v1
	v_max_f32_e32 v0, v0, v1
	v_lshlrev_b32_e32 v1, 2, v37
	v_and_b32_e32 v9, 0xffffff00, v1
	ds_bpermute_b32 v0, v9, v0
	v_min_i32_e32 v7, v7, v32
	v_subrev_u32_e32 v1, s38, v7
	v_cmp_lt_i32_e64 s[10:11], v31, v1
	v_mov_b32_e32 v19, 0
	s_and_saveexec_b64 s[26:27], s[10:11]
	s_cbranch_execz .LBB367_341
; %bb.338:
	s_ashr_i32 s23, s22, 31
	s_lshl_b64 s[16:17], s[22:23], 2
	s_getpc_b64 s[28:29]
	s_add_u32 s28, s28, llvm.amdgcn.dynlds.offset.table@rel32@lo+4
	s_addc_u32 s29, s29, llvm.amdgcn.dynlds.offset.table@rel32@hi+12
	s_add_u32 s16, s16, s28
	s_addc_u32 s17, s17, s29
	s_load_dword s15, s[16:17], 0x0
	v_mov_b32_e32 v21, v12
	s_mov_b64 s[28:29], 0
	v_mov_b32_e32 v19, 0
	v_mov_b32_e32 v12, v31
	s_waitcnt lgkmcnt(0)
	v_lshl_add_u32 v18, v31, 2, s15
.LBB367_339:                            ; =>This Inner Loop Header: Depth=1
	ds_read_b32 v13, v18
	v_add_u32_e32 v12, 0x80, v12
	v_cmp_ge_i32_e64 s[16:17], v12, v1
	s_or_b64 s[28:29], s[16:17], s[28:29]
	s_waitcnt lgkmcnt(0)
	v_sub_f32_e32 v13, v13, v0
	v_mul_f32_e32 v13, 0x3fb8aa3b, v13
	v_exp_f32_e32 v13, v13
	ds_write_b32 v18, v13
	v_add_f32_e32 v19, v19, v13
	v_add_u32_e32 v18, 0x200, v18
	s_andn2_b64 exec, exec, s[28:29]
	s_cbranch_execnz .LBB367_339
; %bb.340:
	s_or_b64 exec, exec, s[28:29]
	v_mov_b32_e32 v12, v21
.LBB367_341:
	s_or_b64 exec, exec, s[26:27]
	ds_bpermute_b32 v2, v2, v19
	s_waitcnt lgkmcnt(0)
	v_add_f32_e32 v2, v19, v2
	ds_bpermute_b32 v3, v3, v2
	s_waitcnt lgkmcnt(0)
	v_add_f32_e32 v2, v2, v3
	ds_bpermute_b32 v3, v6, v2
	v_xor_b32_e32 v6, 2, v37
	v_cmp_lt_i32_e64 s[16:17], v6, v12
	v_cndmask_b32_e64 v6, v37, v6, s[16:17]
	s_waitcnt lgkmcnt(0)
	v_add_f32_e32 v2, v2, v3
	ds_bpermute_b32 v3, v8, v2
	s_waitcnt lgkmcnt(0)
	v_add_f32_e32 v2, v2, v3
	v_lshlrev_b32_e32 v3, 2, v6
	ds_bpermute_b32 v3, v3, v2
	s_waitcnt lgkmcnt(0)
	v_add_f32_e32 v2, v2, v3
	ds_bpermute_b32 v3, v24, v2
	s_waitcnt lgkmcnt(0)
	v_add_f32_e32 v2, v2, v3
	s_and_saveexec_b64 s[16:17], vcc
	s_cbranch_execz .LBB367_343
; %bb.342:
	ds_write_b32 v4, v2 offset:264
.LBB367_343:
	s_or_b64 exec, exec, s[16:17]
	s_waitcnt lgkmcnt(0)
	s_barrier
	s_and_saveexec_b64 s[16:17], s[8:9]
	s_cbranch_execz .LBB367_345
; %bb.344:
	ds_read_b32 v2, v5 offset:264
.LBB367_345:
	s_or_b64 exec, exec, s[16:17]
	s_waitcnt lgkmcnt(0)
	ds_bpermute_b32 v3, v24, v2
	s_waitcnt lgkmcnt(0)
	v_add_f32_e32 v2, v2, v3
	ds_bpermute_b32 v2, v9, v2
	s_and_saveexec_b64 s[8:9], s[10:11]
	s_cbranch_execz .LBB367_358
; %bb.346:
	s_waitcnt lgkmcnt(0)
	v_add_f32_e32 v3, 0x358637bd, v2
	v_div_scale_f32 v4, s[10:11], v3, v3, 1.0
	v_rcp_f32_e32 v5, v4
	v_div_scale_f32 v6, vcc, 1.0, v3, 1.0
	s_movk_i32 s10, 0x7f
	v_fma_f32 v8, -v4, v5, 1.0
	v_fmac_f32_e32 v5, v8, v5
	v_mul_f32_e32 v8, v6, v5
	v_fma_f32 v9, -v4, v8, v6
	v_fmac_f32_e32 v8, v9, v5
	v_fma_f32 v4, -v4, v8, v6
	v_div_fmas_f32 v4, v4, v5, v8
	v_div_fixup_f32 v8, v4, v3, 1.0
	v_xad_u32 v3, v31, -1, v7
	v_subrev_u32_e32 v4, s38, v3
	v_cmp_lt_u32_e32 vcc, s10, v4
	s_mov_b64 s[16:17], -1
	v_mov_b32_e32 v3, v31
	s_and_saveexec_b64 s[10:11], vcc
	s_cbranch_execz .LBB367_355
; %bb.347:
	v_lshrrev_b32_e32 v3, 7, v4
	v_add_u32_e32 v5, -1, v3
	v_lshrrev_b32_e32 v4, 1, v5
	v_mov_b32_e32 v9, v8
	v_add_u32_e32 v4, 1, v4
	v_cmp_lt_u32_e32 vcc, 13, v5
	v_mov_b32_e32 v7, 0
	s_and_saveexec_b64 s[16:17], vcc
	s_cbranch_execz .LBB367_351
; %bb.348:
	s_ashr_i32 s23, s22, 31
	s_lshl_b64 s[26:27], s[22:23], 2
	s_getpc_b64 s[28:29]
	s_add_u32 s28, s28, llvm.amdgcn.dynlds.offset.table@rel32@lo+4
	s_addc_u32 s29, s29, llvm.amdgcn.dynlds.offset.table@rel32@hi+12
	s_add_u32 s26, s26, s28
	s_addc_u32 s27, s27, s29
	s_load_dword s23, s[26:27], 0x0
	v_mov_b32_e32 v38, v29
	v_mov_b32_e32 v37, v28
	;; [unrolled: 1-line block ×5, first 2 shown]
	v_and_b32_e32 v5, -8, v4
	s_mov_b32 s15, 0
	s_waitcnt lgkmcnt(0)
	v_lshl_add_u32 v6, v31, 2, s23
	s_mov_b64 s[26:27], 0
.LBB367_349:                            ; =>This Inner Loop Header: Depth=1
	ds_read2st64_b32 v[34:35], v6 offset1:2
	ds_read2st64_b32 v[12:13], v6 offset0:4 offset1:6
	ds_read2st64_b32 v[28:29], v6 offset0:8 offset1:10
	;; [unrolled: 1-line block ×3, first 2 shown]
	v_add_u32_e32 v5, -8, v5
	s_waitcnt lgkmcnt(0)
	v_pk_mul_f32 v[34:35], v[8:9], v[34:35]
	v_pk_mul_f32 v[12:13], v[8:9], v[12:13]
	ds_write2st64_b32 v6, v34, v35 offset1:2
	ds_write2st64_b32 v6, v12, v13 offset0:4 offset1:6
	ds_read2st64_b32 v[12:13], v6 offset0:16 offset1:18
	v_pk_mul_f32 v[28:29], v[8:9], v[28:29]
	v_pk_mul_f32 v[18:19], v[8:9], v[18:19]
	ds_write2st64_b32 v6, v28, v29 offset0:8 offset1:10
	ds_write2st64_b32 v6, v18, v19 offset0:12 offset1:14
	s_waitcnt lgkmcnt(0)
	v_pk_mul_f32 v[12:13], v[8:9], v[12:13]
	ds_read2st64_b32 v[28:29], v6 offset0:20 offset1:22
	ds_read2st64_b32 v[18:19], v6 offset0:24 offset1:26
	ds_write2st64_b32 v6, v12, v13 offset0:16 offset1:18
	ds_read2st64_b32 v[12:13], v6 offset0:28 offset1:30
	s_add_i32 s15, s15, 16
	s_waitcnt lgkmcnt(0)
	v_pk_mul_f32 v[28:29], v[8:9], v[28:29]
	v_pk_mul_f32 v[18:19], v[8:9], v[18:19]
	v_cmp_eq_u32_e32 vcc, 0, v5
	v_pk_mul_f32 v[12:13], v[8:9], v[12:13]
	ds_write2st64_b32 v6, v28, v29 offset0:20 offset1:22
	ds_write2st64_b32 v6, v18, v19 offset0:24 offset1:26
	;; [unrolled: 1-line block ×3, first 2 shown]
	v_add_u32_e32 v6, 0x2000, v6
	s_or_b64 s[26:27], vcc, s[26:27]
	v_mov_b32_e32 v7, s15
	s_andn2_b64 exec, exec, s[26:27]
	s_cbranch_execnz .LBB367_349
; %bb.350:
	s_or_b64 exec, exec, s[26:27]
	v_mov_b32_e32 v15, v20
	v_mov_b32_e32 v20, v21
	;; [unrolled: 1-line block ×5, first 2 shown]
.LBB367_351:
	s_or_b64 exec, exec, s[16:17]
	v_and_b32_e32 v4, 7, v4
	v_cmp_ne_u32_e32 vcc, 0, v4
	s_and_saveexec_b64 s[16:17], vcc
	s_cbranch_execz .LBB367_354
; %bb.352:
	s_ashr_i32 s23, s22, 31
	s_lshl_b64 s[26:27], s[22:23], 2
	s_getpc_b64 s[28:29]
	s_add_u32 s28, s28, llvm.amdgcn.dynlds.offset.table@rel32@lo+4
	s_addc_u32 s29, s29, llvm.amdgcn.dynlds.offset.table@rel32@hi+12
	s_add_u32 s26, s26, s28
	s_addc_u32 s27, s27, s29
	s_load_dword s15, s[26:27], 0x0
	v_lshlrev_b32_e32 v5, 9, v7
	v_lshlrev_b32_e32 v6, 2, v31
	s_mov_b64 s[26:27], 0
	s_waitcnt lgkmcnt(0)
	v_add3_u32 v5, v5, v6, s15
.LBB367_353:                            ; =>This Inner Loop Header: Depth=1
	ds_read2st64_b32 v[6:7], v5 offset1:2
	v_add_u32_e32 v4, -1, v4
	v_cmp_eq_u32_e32 vcc, 0, v4
	s_or_b64 s[26:27], vcc, s[26:27]
	s_waitcnt lgkmcnt(0)
	v_pk_mul_f32 v[6:7], v[8:9], v[6:7]
	ds_write2st64_b32 v5, v6, v7 offset1:2
	v_add_u32_e32 v5, 0x400, v5
	s_andn2_b64 exec, exec, s[26:27]
	s_cbranch_execnz .LBB367_353
.LBB367_354:
	s_or_b64 exec, exec, s[16:17]
	v_add_u32_e32 v4, 1, v3
	v_and_b32_e32 v5, 0x3fffffe, v4
	v_cmp_ne_u32_e32 vcc, v4, v5
	v_lshl_add_u32 v3, v5, 7, v31
	s_orn2_b64 s[16:17], vcc, exec
.LBB367_355:
	s_or_b64 exec, exec, s[10:11]
	s_and_b64 exec, exec, s[16:17]
	s_cbranch_execz .LBB367_358
; %bb.356:
	s_ashr_i32 s23, s22, 31
	s_lshl_b64 s[10:11], s[22:23], 2
	s_getpc_b64 s[16:17]
	s_add_u32 s16, s16, llvm.amdgcn.dynlds.offset.table@rel32@lo+4
	s_addc_u32 s17, s17, llvm.amdgcn.dynlds.offset.table@rel32@hi+12
	s_add_u32 s10, s10, s16
	s_addc_u32 s11, s11, s17
	s_load_dword s10, s[10:11], 0x0
	s_waitcnt lgkmcnt(0)
	v_lshl_add_u32 v4, v3, 2, s10
	s_mov_b64 s[10:11], 0
.LBB367_357:                            ; =>This Inner Loop Header: Depth=1
	ds_read_b32 v5, v4
	v_add_u32_e32 v3, 0x80, v3
	v_cmp_ge_i32_e32 vcc, v3, v1
	s_or_b64 s[10:11], vcc, s[10:11]
	s_waitcnt lgkmcnt(0)
	v_mul_f32_e32 v5, v8, v5
	ds_write_b32 v4, v5
	v_add_u32_e32 v4, 0x200, v4
	s_andn2_b64 exec, exec, s[10:11]
	s_cbranch_execnz .LBB367_357
.LBB367_358:
	s_or_b64 exec, exec, s[8:9]
	v_cmp_ne_u16_e64 s[8:9], s25, 0
	s_cmp_lg_u64 s[8:9], 0
	s_addc_u32 s25, s13, 0
	v_cmp_eq_u32_e32 vcc, 0, v31
	s_waitcnt lgkmcnt(0)
	s_barrier
	s_and_saveexec_b64 s[8:9], vcc
	s_cbranch_execz .LBB367_360
; %bb.359:
	s_mul_i32 s10, s25, s20
	s_mul_i32 s10, s10, s21
	;; [unrolled: 1-line block ×3, first 2 shown]
	s_ashr_i32 s11, s10, 31
	s_ashr_i32 s13, s12, 31
	;; [unrolled: 1-line block ×3, first 2 shown]
	s_lshl_b64 s[10:11], s[10:11], 2
	s_lshl_b64 s[12:13], s[12:13], 2
	s_lshl_b64 s[16:17], s[14:15], 2
	s_add_u32 s12, s16, s12
	s_addc_u32 s13, s17, s13
	s_add_u32 s10, s12, s10
	s_addc_u32 s11, s13, s11
	v_mov_b32_e32 v1, s11
	v_add_co_u32_e32 v4, vcc, s10, v34
	v_addc_co_u32_e32 v5, vcc, v1, v20, vcc
	flat_store_dword v[4:5], v0
	v_add_co_u32_e32 v0, vcc, s10, v36
	v_addc_co_u32_e32 v1, vcc, v1, v33, vcc
	flat_store_dword v[0:1], v2
.LBB367_360:
	s_or_b64 exec, exec, s[8:9]
	v_mov_b32_e32 v13, 0
	v_and_b32_e32 v6, 1, v31
	v_mov_b32_e32 v12, 0
	v_mov_b32_e32 v21, 0
	;; [unrolled: 1-line block ×3, first 2 shown]
	s_and_saveexec_b64 s[8:9], s[6:7]
	s_cbranch_execz .LBB367_852
; %bb.361:
	flat_load_dword v26, v[26:27]
	v_accvgpr_read_b32 v1, a17
	v_lshlrev_b32_e32 v0, 3, v31
	v_add_co_u32_e32 v1, vcc, v10, v1
	v_accvgpr_read_b32 v3, a20
	v_and_b32_e32 v2, 8, v0
	s_ashr_i32 s23, s22, 31
	v_addc_co_u32_e32 v3, vcc, v11, v3, vcc
	v_and_b32_e32 v0, 0x1f8, v0
	s_lshl_b64 s[6:7], s[22:23], 2
	v_add_co_u32_e32 v0, vcc, v1, v0
	s_getpc_b64 s[10:11]
	s_add_u32 s10, s10, llvm.amdgcn.dynlds.offset.table@rel32@lo+4
	s_addc_u32 s11, s11, llvm.amdgcn.dynlds.offset.table@rel32@hi+12
	v_addc_co_u32_e32 v1, vcc, 0, v3, vcc
	s_add_u32 s6, s6, s10
	v_accvgpr_write_b32 a11, v1
	s_addc_u32 s7, s7, s11
	v_accvgpr_write_b32 a10, v0
	v_lshlrev_b64 v[0:1], 2, v[16:17]
	v_accvgpr_read_b32 v4, a18
	s_load_dword s6, s[6:7], 0x0
	v_accvgpr_read_b32 v5, a19
	v_add_co_u32_e32 v0, vcc, v4, v0
	v_addc_co_u32_e32 v1, vcc, v5, v1, vcc
	v_add_co_u32_e32 v14, vcc, v14, v0
	v_lshl_add_u32 v0, v28, 4, s38
	v_add3_u32 v17, v0, v2, 7
	v_lshlrev_b32_e32 v0, 5, v6
	s_mov_b32 s10, -1
	v_add_u32_e32 v37, -1, v29
	v_lshl_or_b32 v0, v28, 6, v0
	v_accvgpr_write_b32 a6, v24
	v_accvgpr_write_b32 a5, v23
	;; [unrolled: 1-line block ×5, first 2 shown]
	s_mov_b32 s11, 0xffffff
	v_mov_b32_e32 v11, 0
	v_addc_co_u32_e32 v15, vcc, v15, v1, vcc
	v_accvgpr_write_b32 a7, v6
	s_waitcnt lgkmcnt(0)
	v_add_u32_e32 v28, s6, v0
	s_mov_b64 s[12:13], 0
	s_mov_b32 s15, 0x7f800000
	s_movk_i32 s23, 0x7fff
	s_movk_i32 s30, 0x80
	;; [unrolled: 1-line block ×3, first 2 shown]
	s_waitcnt vmcnt(0)
	v_bfrev_b32_e32 v39, 60
	v_mov_b32_e32 v20, 0
	v_mov_b32_e32 v21, 0
	v_mov_b32_e32 v12, 0
	v_mov_b32_e32 v13, 0
	v_accvgpr_write_b32 a8, v37
	s_branch .LBB367_363
.LBB367_362:                            ;   in Loop: Header=BB367_363 Depth=1
	s_or_b64 exec, exec, s[6:7]
	v_and_b32_e32 v22, 0xffff0000, v35
	v_and_b32_e32 v24, 0xffff0000, v34
	;; [unrolled: 1-line block ×8, first 2 shown]
	v_pk_add_f32 v[8:9], v[8:9], v[34:35]
	v_pk_add_f32 v[22:23], v[24:25], v[22:23]
	v_add_f32_e32 v7, v8, v9
	v_add_f32_e32 v7, v7, v22
	v_and_b32_e32 v25, 0xffff0000, v44
	v_and_b32_e32 v24, 0xffff0000, v31
	;; [unrolled: 1-line block ×4, first 2 shown]
	v_add_f32_e32 v7, v7, v23
	v_and_b32_e32 v9, 0xffff0000, v56
	v_and_b32_e32 v8, 0xffff0000, v46
	;; [unrolled: 1-line block ×4, first 2 shown]
	v_pk_add_f32 v[24:25], v[30:31], v[24:25]
	v_add_f32_e32 v20, v20, v7
	v_pk_add_f32 v[8:9], v[22:23], v[8:9]
	v_add_f32_e32 v7, v24, v25
	v_add_f32_e32 v7, v7, v8
	;; [unrolled: 1-line block ×4, first 2 shown]
	v_and_b32_e32 v7, 0xffff0000, v58
	v_and_b32_e32 v6, 0xffff0000, v6
	v_and_b32_e32 v25, 0xffff0000, v57
	v_and_b32_e32 v24, 0xffff0000, v3
	v_and_b32_e32 v9, 0xffff0000, v62
	v_and_b32_e32 v8, 0xffff0000, v60
	v_and_b32_e32 v23, 0xffff0000, v61
	v_and_b32_e32 v22, 0xffff0000, v59
	v_pk_add_f32 v[6:7], v[24:25], v[6:7]
	v_pk_add_f32 v[8:9], v[22:23], v[8:9]
	v_add_f32_e32 v3, v6, v7
	v_add_f32_e32 v3, v3, v8
	;; [unrolled: 1-line block ×3, first 2 shown]
	v_and_b32_e32 v9, 0xffff0000, v5
	v_and_b32_e32 v8, 0xffff0000, v1
	;; [unrolled: 1-line block ×4, first 2 shown]
	v_add_f32_e32 v12, v12, v3
	v_and_b32_e32 v3, 0xffff0000, v2
	v_and_b32_e32 v2, 0xffff0000, v19
	;; [unrolled: 1-line block ×4, first 2 shown]
	v_pk_add_f32 v[0:1], v[0:1], v[8:9]
	v_pk_add_f32 v[2:3], v[6:7], v[2:3]
	v_add_f32_e32 v0, v0, v1
	v_add_f32_e32 v0, v0, v2
	;; [unrolled: 1-line block ×3, first 2 shown]
	v_add_co_u32_e32 v14, vcc, 8, v14
	v_add_f32_e32 v13, v13, v0
	v_add_u32_e32 v16, 2, v16
	v_addc_co_u32_e32 v15, vcc, 0, v15, vcc
	v_accvgpr_read_b32 v0, a3
	v_cmp_ge_i32_e32 vcc, v16, v0
	v_add_u32_e32 v17, 32, v17
	s_or_b64 s[12:13], vcc, s[12:13]
	v_add_u32_e32 v28, 0x80, v28
	s_andn2_b64 exec, exec, s[12:13]
	s_cbranch_execz .LBB367_851
.LBB367_363:                            ; =>This Inner Loop Header: Depth=1
	flat_load_dword v10, v[14:15]
	ds_read2_b64 v[6:9], v28 offset1:1
	ds_read2_b64 v[0:3], v28 offset0:2 offset1:3
	s_waitcnt lgkmcnt(0)
	v_and_b32_e32 v4, 0x7f800000, v6
	v_cmp_ne_u32_e32 vcc, s15, v4
                                        ; implicit-def: $vgpr4
	s_and_saveexec_b64 s[6:7], vcc
	s_xor_b64 s[6:7], exec, s[6:7]
; %bb.364:                              ;   in Loop: Header=BB367_363 Depth=1
	v_bfe_u32 v4, v6, 16, 1
	v_add3_u32 v4, v6, v4, s23
; %bb.365:                              ;   in Loop: Header=BB367_363 Depth=1
	s_andn2_saveexec_b64 s[6:7], s[6:7]
; %bb.366:                              ;   in Loop: Header=BB367_363 Depth=1
	v_or_b32_e32 v4, 0x10000, v6
	v_cmp_eq_u32_sdwa vcc, v6, v11 src0_sel:WORD_0 src1_sel:DWORD
	v_cndmask_b32_e32 v4, v4, v6, vcc
; %bb.367:                              ;   in Loop: Header=BB367_363 Depth=1
	s_or_b64 exec, exec, s[6:7]
	v_and_b32_e32 v5, 0x7f800000, v7
	v_cmp_ne_u32_e32 vcc, s15, v5
                                        ; implicit-def: $vgpr5
	s_and_saveexec_b64 s[6:7], vcc
	s_xor_b64 s[6:7], exec, s[6:7]
; %bb.368:                              ;   in Loop: Header=BB367_363 Depth=1
	v_bfe_u32 v5, v7, 16, 1
	v_add3_u32 v5, v7, v5, s23
; %bb.369:                              ;   in Loop: Header=BB367_363 Depth=1
	s_andn2_saveexec_b64 s[6:7], s[6:7]
; %bb.370:                              ;   in Loop: Header=BB367_363 Depth=1
	v_or_b32_e32 v5, 0x10000, v7
	v_cmp_eq_u32_sdwa vcc, v7, v11 src0_sel:WORD_0 src1_sel:DWORD
	v_cndmask_b32_e32 v5, v5, v7, vcc
; %bb.371:                              ;   in Loop: Header=BB367_363 Depth=1
	s_or_b64 exec, exec, s[6:7]
	v_and_b32_e32 v6, 0x7f800000, v8
	v_cmp_ne_u32_e32 vcc, s15, v6
                                        ; implicit-def: $vgpr36
	s_and_saveexec_b64 s[6:7], vcc
	s_xor_b64 s[6:7], exec, s[6:7]
; %bb.372:                              ;   in Loop: Header=BB367_363 Depth=1
	v_bfe_u32 v6, v8, 16, 1
	v_add3_u32 v36, v8, v6, s23
; %bb.373:                              ;   in Loop: Header=BB367_363 Depth=1
	s_andn2_saveexec_b64 s[6:7], s[6:7]
; %bb.374:                              ;   in Loop: Header=BB367_363 Depth=1
	v_or_b32_e32 v6, 0x10000, v8
	v_cmp_eq_u32_sdwa vcc, v8, v11 src0_sel:WORD_0 src1_sel:DWORD
	v_cndmask_b32_e32 v36, v6, v8, vcc
; %bb.375:                              ;   in Loop: Header=BB367_363 Depth=1
	s_or_b64 exec, exec, s[6:7]
	v_and_b32_e32 v6, 0x7f800000, v9
	v_cmp_ne_u32_e32 vcc, s15, v6
                                        ; implicit-def: $vgpr33
	s_and_saveexec_b64 s[6:7], vcc
	s_xor_b64 s[6:7], exec, s[6:7]
; %bb.376:                              ;   in Loop: Header=BB367_363 Depth=1
	v_bfe_u32 v6, v9, 16, 1
	v_add3_u32 v33, v9, v6, s23
                                        ; implicit-def: $vgpr6_vgpr7_vgpr8_vgpr9
; %bb.377:                              ;   in Loop: Header=BB367_363 Depth=1
	s_andn2_saveexec_b64 s[6:7], s[6:7]
; %bb.378:                              ;   in Loop: Header=BB367_363 Depth=1
	v_or_b32_e32 v6, 0x10000, v9
	v_cmp_eq_u32_sdwa vcc, v9, v11 src0_sel:WORD_0 src1_sel:DWORD
	v_cndmask_b32_e32 v33, v6, v9, vcc
; %bb.379:                              ;   in Loop: Header=BB367_363 Depth=1
	s_or_b64 exec, exec, s[6:7]
	v_and_b32_e32 v6, 0x7f800000, v0
	v_cmp_ne_u32_e32 vcc, s15, v6
                                        ; implicit-def: $vgpr34
	s_and_saveexec_b64 s[6:7], vcc
	s_xor_b64 s[6:7], exec, s[6:7]
; %bb.380:                              ;   in Loop: Header=BB367_363 Depth=1
	v_bfe_u32 v6, v0, 16, 1
	v_add3_u32 v34, v0, v6, s23
; %bb.381:                              ;   in Loop: Header=BB367_363 Depth=1
	s_andn2_saveexec_b64 s[6:7], s[6:7]
; %bb.382:                              ;   in Loop: Header=BB367_363 Depth=1
	v_or_b32_e32 v6, 0x10000, v0
	v_cmp_eq_u32_sdwa vcc, v0, v11 src0_sel:WORD_0 src1_sel:DWORD
	v_cndmask_b32_e32 v34, v6, v0, vcc
; %bb.383:                              ;   in Loop: Header=BB367_363 Depth=1
	s_or_b64 exec, exec, s[6:7]
	v_and_b32_e32 v0, 0x7f800000, v1
	v_cmp_ne_u32_e32 vcc, s15, v0
                                        ; implicit-def: $vgpr35
	s_and_saveexec_b64 s[6:7], vcc
	s_xor_b64 s[6:7], exec, s[6:7]
; %bb.384:                              ;   in Loop: Header=BB367_363 Depth=1
	v_bfe_u32 v0, v1, 16, 1
	v_add3_u32 v35, v1, v0, s23
; %bb.385:                              ;   in Loop: Header=BB367_363 Depth=1
	s_andn2_saveexec_b64 s[6:7], s[6:7]
; %bb.386:                              ;   in Loop: Header=BB367_363 Depth=1
	v_or_b32_e32 v0, 0x10000, v1
	v_cmp_eq_u32_sdwa vcc, v1, v11 src0_sel:WORD_0 src1_sel:DWORD
	v_cndmask_b32_e32 v35, v0, v1, vcc
; %bb.387:                              ;   in Loop: Header=BB367_363 Depth=1
	s_or_b64 exec, exec, s[6:7]
	v_and_b32_e32 v0, 0x7f800000, v2
	v_cmp_ne_u32_e32 vcc, s15, v0
                                        ; implicit-def: $vgpr31
	s_and_saveexec_b64 s[6:7], vcc
	s_xor_b64 s[6:7], exec, s[6:7]
; %bb.388:                              ;   in Loop: Header=BB367_363 Depth=1
	v_bfe_u32 v0, v2, 16, 1
	v_add3_u32 v31, v2, v0, s23
; %bb.389:                              ;   in Loop: Header=BB367_363 Depth=1
	s_andn2_saveexec_b64 s[6:7], s[6:7]
; %bb.390:                              ;   in Loop: Header=BB367_363 Depth=1
	v_or_b32_e32 v0, 0x10000, v2
	v_cmp_eq_u32_sdwa vcc, v2, v11 src0_sel:WORD_0 src1_sel:DWORD
	v_cndmask_b32_e32 v31, v0, v2, vcc
; %bb.391:                              ;   in Loop: Header=BB367_363 Depth=1
	s_or_b64 exec, exec, s[6:7]
	v_and_b32_e32 v0, 0x7f800000, v3
	v_cmp_ne_u32_e32 vcc, s15, v0
                                        ; implicit-def: $vgpr27
	s_and_saveexec_b64 s[6:7], vcc
	s_xor_b64 s[6:7], exec, s[6:7]
; %bb.392:                              ;   in Loop: Header=BB367_363 Depth=1
	v_bfe_u32 v0, v3, 16, 1
	v_add3_u32 v27, v3, v0, s23
                                        ; implicit-def: $vgpr0_vgpr1_vgpr2_vgpr3
; %bb.393:                              ;   in Loop: Header=BB367_363 Depth=1
	s_andn2_saveexec_b64 s[6:7], s[6:7]
; %bb.394:                              ;   in Loop: Header=BB367_363 Depth=1
	v_or_b32_e32 v0, 0x10000, v3
	v_cmp_eq_u32_sdwa vcc, v3, v11 src0_sel:WORD_0 src1_sel:DWORD
	v_cndmask_b32_e32 v27, v0, v3, vcc
; %bb.395:                              ;   in Loop: Header=BB367_363 Depth=1
	s_or_b64 exec, exec, s[6:7]
	v_accvgpr_read_b32 v2, a10
	v_accvgpr_read_b32 v0, a4
	;; [unrolled: 1-line block ×3, first 2 shown]
	s_waitcnt vmcnt(0)
	v_mad_i64_i32 v[0:1], s[6:7], v10, v0, v[2:3]
	flat_load_dwordx2 v[2:3], v[0:1]
	v_mov_b32_e32 v6, 0
	s_waitcnt vmcnt(0) lgkmcnt(0)
	v_cmp_ne_u16_sdwa s[16:17], v2, v11 src0_sel:BYTE_0 src1_sel:DWORD
	s_and_saveexec_b64 s[6:7], s[16:17]
	s_cbranch_execz .LBB367_401
; %bb.396:                              ;   in Loop: Header=BB367_363 Depth=1
	v_cmp_ne_u16_sdwa s[26:27], v2, s30 src0_sel:BYTE_0 src1_sel:DWORD
	v_bfrev_b32_e32 v6, 1
	s_and_saveexec_b64 s[16:17], s[26:27]
	s_cbranch_execz .LBB367_400
; %bb.397:                              ;   in Loop: Header=BB367_363 Depth=1
	v_and_b32_e32 v7, 0x7f, v2
	v_cmp_ne_u32_e32 vcc, s31, v7
	v_mov_b32_e32 v6, 0x7f800001
	s_and_saveexec_b64 s[26:27], vcc
	s_cbranch_execz .LBB367_399
; %bb.398:                              ;   in Loop: Header=BB367_363 Depth=1
	v_and_b32_e32 v6, 7, v2
	v_ffbh_u32_e32 v6, v6
	v_min_u32_e32 v6, 32, v6
	v_lshrrev_b32_e32 v8, 3, v7
	v_subrev_u32_e32 v9, 28, v6
	v_sub_u32_e32 v6, 29, v6
	v_cmp_gt_u32_e32 vcc, 8, v7
	v_cndmask_b32_e32 v8, v8, v6, vcc
	v_cndmask_b32_e32 v6, 0, v9, vcc
	v_lshlrev_b64 v[6:7], v6, v[2:3]
	v_lshlrev_b32_e32 v6, 20, v6
	v_lshlrev_b32_e32 v7, 24, v2
	v_and_b32_e32 v6, 0x700000, v6
	v_and_b32_e32 v7, 0x80000000, v7
	v_lshl_add_u32 v8, v8, 23, v39
	v_or3_b32 v6, v7, v8, v6
.LBB367_399:                            ;   in Loop: Header=BB367_363 Depth=1
	s_or_b64 exec, exec, s[26:27]
.LBB367_400:                            ;   in Loop: Header=BB367_363 Depth=1
	s_or_b64 exec, exec, s[16:17]
.LBB367_401:                            ;   in Loop: Header=BB367_363 Depth=1
	s_or_b64 exec, exec, s[6:7]
	v_mul_f32_e32 v6, v26, v6
	v_and_b32_e32 v7, 0x7f800000, v6
	v_cmp_ne_u32_e32 vcc, s15, v7
                                        ; implicit-def: $vgpr7
	s_and_saveexec_b64 s[6:7], vcc
	s_xor_b64 s[6:7], exec, s[6:7]
; %bb.402:                              ;   in Loop: Header=BB367_363 Depth=1
	v_bfe_u32 v7, v6, 16, 1
	v_add3_u32 v7, v6, v7, s23
                                        ; implicit-def: $vgpr6
; %bb.403:                              ;   in Loop: Header=BB367_363 Depth=1
	s_andn2_saveexec_b64 s[6:7], s[6:7]
; %bb.404:                              ;   in Loop: Header=BB367_363 Depth=1
	v_or_b32_e32 v7, 0x10000, v6
	v_cmp_eq_u32_sdwa vcc, v6, v11 src0_sel:WORD_0 src1_sel:DWORD
	v_cndmask_b32_e32 v7, v7, v6, vcc
; %bb.405:                              ;   in Loop: Header=BB367_363 Depth=1
	s_or_b64 exec, exec, s[6:7]
	v_lshrrev_b16_e32 v6, 8, v2
	v_cmp_ne_u16_e32 vcc, 0, v6
	v_mov_b32_e32 v8, 0
	s_and_saveexec_b64 s[6:7], vcc
	s_cbranch_execz .LBB367_411
; %bb.406:                              ;   in Loop: Header=BB367_363 Depth=1
	v_cmp_ne_u16_e32 vcc, s30, v6
	v_bfrev_b32_e32 v8, 1
	s_and_saveexec_b64 s[16:17], vcc
	s_cbranch_execz .LBB367_410
; %bb.407:                              ;   in Loop: Header=BB367_363 Depth=1
	v_and_b32_e32 v9, 0x7f, v6
	v_cmp_ne_u32_e32 vcc, s31, v9
	v_mov_b32_e32 v8, 0x7f800001
	s_and_saveexec_b64 s[26:27], vcc
	s_cbranch_execz .LBB367_409
; %bb.408:                              ;   in Loop: Header=BB367_363 Depth=1
	v_and_b32_e32 v8, 7, v6
	v_ffbh_u32_e32 v18, v8
	v_min_u32_e32 v22, 32, v18
	v_subrev_u32_e32 v18, 28, v22
	v_lshlrev_b64 v[18:19], v18, v[6:7]
	v_lshrrev_b32_e32 v10, 3, v9
	v_sub_u32_e32 v6, 29, v22
	v_and_b32_e32 v18, 7, v18
	v_cmp_gt_u32_e32 vcc, 8, v9
	v_cndmask_b32_e32 v6, v10, v6, vcc
	v_cndmask_b32_e32 v8, v8, v18, vcc
	v_lshlrev_b32_e32 v9, 16, v2
	v_lshlrev_b32_e32 v8, 20, v8
	v_and_b32_e32 v9, 0x80000000, v9
	v_lshl_add_u32 v6, v6, 23, v39
	v_or3_b32 v8, v9, v6, v8
.LBB367_409:                            ;   in Loop: Header=BB367_363 Depth=1
	s_or_b64 exec, exec, s[26:27]
.LBB367_410:                            ;   in Loop: Header=BB367_363 Depth=1
	s_or_b64 exec, exec, s[16:17]
.LBB367_411:                            ;   in Loop: Header=BB367_363 Depth=1
	s_or_b64 exec, exec, s[6:7]
	v_mul_f32_e32 v6, v26, v8
	v_and_b32_e32 v8, 0x7f800000, v6
	v_cmp_ne_u32_e32 vcc, s15, v8
                                        ; implicit-def: $vgpr8
	s_and_saveexec_b64 s[6:7], vcc
	s_xor_b64 s[6:7], exec, s[6:7]
; %bb.412:                              ;   in Loop: Header=BB367_363 Depth=1
	v_bfe_u32 v8, v6, 16, 1
	v_add3_u32 v8, v6, v8, s23
                                        ; implicit-def: $vgpr6
; %bb.413:                              ;   in Loop: Header=BB367_363 Depth=1
	s_andn2_saveexec_b64 s[6:7], s[6:7]
; %bb.414:                              ;   in Loop: Header=BB367_363 Depth=1
	v_or_b32_e32 v8, 0x10000, v6
	v_cmp_eq_u32_sdwa vcc, v6, v11 src0_sel:WORD_0 src1_sel:DWORD
	v_cndmask_b32_e32 v8, v8, v6, vcc
; %bb.415:                              ;   in Loop: Header=BB367_363 Depth=1
	s_or_b64 exec, exec, s[6:7]
	v_lshrrev_b32_e32 v6, 16, v2
	v_cmp_ne_u16_sdwa s[16:17], v6, v11 src0_sel:BYTE_0 src1_sel:DWORD
	v_mov_b32_e32 v9, 0
	s_and_saveexec_b64 s[6:7], s[16:17]
	s_cbranch_execz .LBB367_421
; %bb.416:                              ;   in Loop: Header=BB367_363 Depth=1
	v_cmp_ne_u16_sdwa s[26:27], v6, s30 src0_sel:BYTE_0 src1_sel:DWORD
	v_bfrev_b32_e32 v9, 1
	s_and_saveexec_b64 s[16:17], s[26:27]
	s_cbranch_execz .LBB367_420
; %bb.417:                              ;   in Loop: Header=BB367_363 Depth=1
	v_bfe_u32 v10, v2, 16, 7
	v_cmp_ne_u32_e32 vcc, s31, v10
	v_mov_b32_e32 v9, 0x7f800001
	s_and_saveexec_b64 s[26:27], vcc
	s_cbranch_execz .LBB367_419
; %bb.418:                              ;   in Loop: Header=BB367_363 Depth=1
	v_and_b32_e32 v9, 7, v6
	v_ffbh_u32_e32 v18, v9
	v_min_u32_e32 v23, 32, v18
	v_subrev_u32_e32 v18, 28, v23
	v_lshlrev_b64 v[18:19], v18, v[6:7]
	v_lshrrev_b32_e32 v22, 3, v10
	v_sub_u32_e32 v19, 29, v23
	v_and_b32_e32 v18, 7, v18
	v_cmp_gt_u32_e32 vcc, 8, v10
	v_cndmask_b32_e32 v10, v22, v19, vcc
	v_cndmask_b32_e32 v9, v9, v18, vcc
	v_lshlrev_b32_e32 v6, 24, v6
	v_lshlrev_b32_e32 v9, 20, v9
	v_and_b32_e32 v6, 0x80000000, v6
	v_lshl_add_u32 v10, v10, 23, v39
	v_or3_b32 v9, v6, v10, v9
.LBB367_419:                            ;   in Loop: Header=BB367_363 Depth=1
	s_or_b64 exec, exec, s[26:27]
.LBB367_420:                            ;   in Loop: Header=BB367_363 Depth=1
	s_or_b64 exec, exec, s[16:17]
.LBB367_421:                            ;   in Loop: Header=BB367_363 Depth=1
	s_or_b64 exec, exec, s[6:7]
	v_mul_f32_e32 v6, v26, v9
	v_and_b32_e32 v9, 0x7f800000, v6
	v_cmp_ne_u32_e32 vcc, s15, v9
                                        ; implicit-def: $vgpr9
	s_and_saveexec_b64 s[6:7], vcc
	s_xor_b64 s[6:7], exec, s[6:7]
; %bb.422:                              ;   in Loop: Header=BB367_363 Depth=1
	v_bfe_u32 v9, v6, 16, 1
	v_add3_u32 v9, v6, v9, s23
                                        ; implicit-def: $vgpr6
; %bb.423:                              ;   in Loop: Header=BB367_363 Depth=1
	s_andn2_saveexec_b64 s[6:7], s[6:7]
; %bb.424:                              ;   in Loop: Header=BB367_363 Depth=1
	v_or_b32_e32 v9, 0x10000, v6
	v_cmp_eq_u32_sdwa vcc, v6, v11 src0_sel:WORD_0 src1_sel:DWORD
	v_cndmask_b32_e32 v9, v9, v6, vcc
; %bb.425:                              ;   in Loop: Header=BB367_363 Depth=1
	s_or_b64 exec, exec, s[6:7]
	v_cmp_lt_u32_e32 vcc, s11, v2
	v_mov_b32_e32 v10, 0
	s_and_saveexec_b64 s[6:7], vcc
	s_cbranch_execz .LBB367_431
; %bb.426:                              ;   in Loop: Header=BB367_363 Depth=1
	v_lshrrev_b32_e32 v6, 24, v2
	v_cmp_ne_u32_e32 vcc, s30, v6
	v_bfrev_b32_e32 v10, 1
	s_and_saveexec_b64 s[16:17], vcc
	s_cbranch_execz .LBB367_430
; %bb.427:                              ;   in Loop: Header=BB367_363 Depth=1
	v_bfe_u32 v18, v2, 24, 7
	v_cmp_ne_u32_e32 vcc, s31, v18
	v_mov_b32_e32 v10, 0x7f800001
	s_and_saveexec_b64 s[26:27], vcc
	s_cbranch_execz .LBB367_429
; %bb.428:                              ;   in Loop: Header=BB367_363 Depth=1
	v_and_b32_e32 v10, 7, v6
	v_ffbh_u32_e32 v22, v10
	v_min_u32_e32 v22, 32, v22
	v_subrev_u32_e32 v23, 28, v22
	v_lshlrev_b64 v[24:25], v23, v[6:7]
	v_lshrrev_b32_e32 v19, 3, v18
	v_sub_u32_e32 v22, 29, v22
	v_and_b32_e32 v23, 7, v24
	v_cmp_gt_u32_e32 vcc, 8, v18
	v_cndmask_b32_e32 v18, v19, v22, vcc
	v_cndmask_b32_e32 v10, v10, v23, vcc
	v_lshlrev_b32_e32 v6, 24, v6
	v_lshlrev_b32_e32 v10, 20, v10
	v_and_b32_e32 v6, 0x80000000, v6
	v_lshl_add_u32 v18, v18, 23, v39
	v_or3_b32 v10, v6, v18, v10
.LBB367_429:                            ;   in Loop: Header=BB367_363 Depth=1
	s_or_b64 exec, exec, s[26:27]
.LBB367_430:                            ;   in Loop: Header=BB367_363 Depth=1
	s_or_b64 exec, exec, s[16:17]
.LBB367_431:                            ;   in Loop: Header=BB367_363 Depth=1
	s_or_b64 exec, exec, s[6:7]
	v_mul_f32_e32 v6, v26, v10
	v_and_b32_e32 v10, 0x7f800000, v6
	v_cmp_ne_u32_e32 vcc, s15, v10
                                        ; implicit-def: $vgpr23
	s_and_saveexec_b64 s[6:7], vcc
	s_xor_b64 s[6:7], exec, s[6:7]
; %bb.432:                              ;   in Loop: Header=BB367_363 Depth=1
	v_bfe_u32 v10, v6, 16, 1
	v_add3_u32 v23, v6, v10, s23
                                        ; implicit-def: $vgpr6
; %bb.433:                              ;   in Loop: Header=BB367_363 Depth=1
	s_andn2_saveexec_b64 s[6:7], s[6:7]
; %bb.434:                              ;   in Loop: Header=BB367_363 Depth=1
	v_or_b32_e32 v10, 0x10000, v6
	v_cmp_eq_u32_sdwa vcc, v6, v11 src0_sel:WORD_0 src1_sel:DWORD
	v_cndmask_b32_e32 v23, v10, v6, vcc
; %bb.435:                              ;   in Loop: Header=BB367_363 Depth=1
	s_or_b64 exec, exec, s[6:7]
	v_mov_b32_e32 v10, v3
	v_cmp_ne_u16_sdwa s[16:17], v3, v11 src0_sel:BYTE_0 src1_sel:DWORD
	v_mov_b32_e32 v6, 0
	s_and_saveexec_b64 s[6:7], s[16:17]
	s_cbranch_execz .LBB367_441
; %bb.436:                              ;   in Loop: Header=BB367_363 Depth=1
	v_cmp_ne_u16_sdwa s[26:27], v3, s30 src0_sel:BYTE_0 src1_sel:DWORD
	v_bfrev_b32_e32 v6, 1
	s_and_saveexec_b64 s[16:17], s[26:27]
	s_cbranch_execz .LBB367_440
; %bb.437:                              ;   in Loop: Header=BB367_363 Depth=1
	v_and_b32_e32 v18, 0x7f, v3
	v_cmp_ne_u32_e32 vcc, s31, v18
	v_mov_b32_e32 v6, 0x7f800001
	s_and_saveexec_b64 s[26:27], vcc
	s_cbranch_execz .LBB367_439
; %bb.438:                              ;   in Loop: Header=BB367_363 Depth=1
	v_and_b32_e32 v6, 7, v3
	v_ffbh_u32_e32 v6, v6
	v_min_u32_e32 v6, 32, v6
	v_subrev_u32_e32 v22, 28, v6
	v_cmp_gt_u32_e32 vcc, 8, v18
	v_lshrrev_b32_e32 v19, 3, v18
	v_sub_u32_e32 v6, 29, v6
	v_cndmask_b32_e32 v18, 0, v22, vcc
	v_cndmask_b32_e32 v6, v19, v6, vcc
	v_lshlrev_b64 v[18:19], v18, v[10:11]
	v_lshlrev_b32_e32 v18, 20, v18
	v_lshlrev_b32_e32 v19, 24, v10
	v_and_b32_e32 v18, 0x700000, v18
	v_and_b32_e32 v19, 0x80000000, v19
	v_lshl_add_u32 v6, v6, 23, v39
	v_or3_b32 v6, v19, v6, v18
.LBB367_439:                            ;   in Loop: Header=BB367_363 Depth=1
	s_or_b64 exec, exec, s[26:27]
.LBB367_440:                            ;   in Loop: Header=BB367_363 Depth=1
	s_or_b64 exec, exec, s[16:17]
.LBB367_441:                            ;   in Loop: Header=BB367_363 Depth=1
	s_or_b64 exec, exec, s[6:7]
	v_mul_f32_e32 v6, v26, v6
	v_and_b32_e32 v18, 0x7f800000, v6
	v_cmp_ne_u32_e32 vcc, s15, v18
                                        ; implicit-def: $vgpr24
	s_and_saveexec_b64 s[6:7], vcc
	s_xor_b64 s[6:7], exec, s[6:7]
; %bb.442:                              ;   in Loop: Header=BB367_363 Depth=1
	v_bfe_u32 v18, v6, 16, 1
	v_add3_u32 v24, v6, v18, s23
                                        ; implicit-def: $vgpr6
; %bb.443:                              ;   in Loop: Header=BB367_363 Depth=1
	s_andn2_saveexec_b64 s[6:7], s[6:7]
; %bb.444:                              ;   in Loop: Header=BB367_363 Depth=1
	v_or_b32_e32 v18, 0x10000, v6
	v_cmp_eq_u32_sdwa vcc, v6, v11 src0_sel:WORD_0 src1_sel:DWORD
	v_cndmask_b32_e32 v24, v18, v6, vcc
; %bb.445:                              ;   in Loop: Header=BB367_363 Depth=1
	s_or_b64 exec, exec, s[6:7]
	v_lshrrev_b16_e32 v6, 8, v10
	v_cmp_ne_u16_e32 vcc, 0, v6
	v_mov_b32_e32 v18, 0
	s_and_saveexec_b64 s[6:7], vcc
	s_cbranch_execz .LBB367_451
; %bb.446:                              ;   in Loop: Header=BB367_363 Depth=1
	v_cmp_ne_u16_e32 vcc, s30, v6
	v_bfrev_b32_e32 v18, 1
	s_and_saveexec_b64 s[16:17], vcc
	s_cbranch_execz .LBB367_450
; %bb.447:                              ;   in Loop: Header=BB367_363 Depth=1
	v_and_b32_e32 v19, 0x7f, v6
	v_cmp_ne_u32_e32 vcc, s31, v19
	v_mov_b32_e32 v18, 0x7f800001
	s_and_saveexec_b64 s[26:27], vcc
	s_cbranch_execz .LBB367_449
; %bb.448:                              ;   in Loop: Header=BB367_363 Depth=1
	v_and_b32_e32 v18, 7, v6
	v_ffbh_u32_e32 v25, v18
	v_min_u32_e32 v25, 32, v25
	v_subrev_u32_e32 v29, 28, v25
	v_lshlrev_b64 v[38:39], v29, v[6:7]
	v_lshrrev_b32_e32 v22, 3, v19
	v_sub_u32_e32 v6, 29, v25
	v_and_b32_e32 v25, 7, v38
	v_cmp_gt_u32_e32 vcc, 8, v19
	v_bfrev_b32_e32 v39, 60
	v_cndmask_b32_e32 v6, v22, v6, vcc
	v_cndmask_b32_e32 v18, v18, v25, vcc
	v_lshlrev_b32_e32 v10, 16, v10
	v_lshlrev_b32_e32 v18, 20, v18
	v_and_b32_e32 v10, 0x80000000, v10
	v_lshl_add_u32 v6, v6, 23, v39
	v_or3_b32 v18, v10, v6, v18
.LBB367_449:                            ;   in Loop: Header=BB367_363 Depth=1
	s_or_b64 exec, exec, s[26:27]
.LBB367_450:                            ;   in Loop: Header=BB367_363 Depth=1
	s_or_b64 exec, exec, s[16:17]
.LBB367_451:                            ;   in Loop: Header=BB367_363 Depth=1
	s_or_b64 exec, exec, s[6:7]
	v_mul_f32_e32 v6, v26, v18
	v_and_b32_e32 v10, 0x7f800000, v6
	v_cmp_ne_u32_e32 vcc, s15, v10
                                        ; implicit-def: $vgpr10
	s_and_saveexec_b64 s[6:7], vcc
	s_xor_b64 s[6:7], exec, s[6:7]
; %bb.452:                              ;   in Loop: Header=BB367_363 Depth=1
	v_bfe_u32 v10, v6, 16, 1
	v_add3_u32 v10, v6, v10, s23
                                        ; implicit-def: $vgpr6
; %bb.453:                              ;   in Loop: Header=BB367_363 Depth=1
	s_andn2_saveexec_b64 s[6:7], s[6:7]
; %bb.454:                              ;   in Loop: Header=BB367_363 Depth=1
	v_or_b32_e32 v10, 0x10000, v6
	v_cmp_eq_u32_sdwa vcc, v6, v11 src0_sel:WORD_0 src1_sel:DWORD
	v_cndmask_b32_e32 v10, v10, v6, vcc
; %bb.455:                              ;   in Loop: Header=BB367_363 Depth=1
	s_or_b64 exec, exec, s[6:7]
	v_lshrrev_b32_e32 v6, 16, v3
	v_cmp_ne_u16_sdwa s[16:17], v6, v11 src0_sel:BYTE_0 src1_sel:DWORD
	v_mov_b32_e32 v18, 0
	s_and_saveexec_b64 s[6:7], s[16:17]
	s_cbranch_execz .LBB367_461
; %bb.456:                              ;   in Loop: Header=BB367_363 Depth=1
	v_cmp_ne_u16_sdwa s[26:27], v6, s30 src0_sel:BYTE_0 src1_sel:DWORD
	v_bfrev_b32_e32 v18, 1
	s_and_saveexec_b64 s[16:17], s[26:27]
	s_cbranch_execz .LBB367_460
; %bb.457:                              ;   in Loop: Header=BB367_363 Depth=1
	v_bfe_u32 v19, v3, 16, 7
	v_cmp_ne_u32_e32 vcc, s31, v19
	v_mov_b32_e32 v18, 0x7f800001
	s_and_saveexec_b64 s[26:27], vcc
	s_cbranch_execz .LBB367_459
; %bb.458:                              ;   in Loop: Header=BB367_363 Depth=1
	v_and_b32_e32 v18, 7, v6
	v_ffbh_u32_e32 v25, v18
	v_min_u32_e32 v25, 32, v25
	v_subrev_u32_e32 v29, 28, v25
	v_lshlrev_b64 v[38:39], v29, v[6:7]
	v_lshrrev_b32_e32 v22, 3, v19
	v_sub_u32_e32 v25, 29, v25
	v_and_b32_e32 v29, 7, v38
	v_cmp_gt_u32_e32 vcc, 8, v19
	v_bfrev_b32_e32 v39, 60
	v_cndmask_b32_e32 v19, v22, v25, vcc
	v_cndmask_b32_e32 v18, v18, v29, vcc
	v_lshlrev_b32_e32 v6, 24, v6
	v_lshlrev_b32_e32 v18, 20, v18
	v_and_b32_e32 v6, 0x80000000, v6
	v_lshl_add_u32 v19, v19, 23, v39
	v_or3_b32 v18, v6, v19, v18
.LBB367_459:                            ;   in Loop: Header=BB367_363 Depth=1
	s_or_b64 exec, exec, s[26:27]
.LBB367_460:                            ;   in Loop: Header=BB367_363 Depth=1
	s_or_b64 exec, exec, s[16:17]
.LBB367_461:                            ;   in Loop: Header=BB367_363 Depth=1
	s_or_b64 exec, exec, s[6:7]
	v_mul_f32_e32 v6, v26, v18
	v_and_b32_e32 v18, 0x7f800000, v6
	v_cmp_ne_u32_e32 vcc, s15, v18
                                        ; implicit-def: $vgpr19
	s_and_saveexec_b64 s[6:7], vcc
	s_xor_b64 s[6:7], exec, s[6:7]
; %bb.462:                              ;   in Loop: Header=BB367_363 Depth=1
	v_bfe_u32 v18, v6, 16, 1
	v_add3_u32 v19, v6, v18, s23
                                        ; implicit-def: $vgpr6
; %bb.463:                              ;   in Loop: Header=BB367_363 Depth=1
	s_andn2_saveexec_b64 s[6:7], s[6:7]
; %bb.464:                              ;   in Loop: Header=BB367_363 Depth=1
	v_or_b32_e32 v18, 0x10000, v6
	v_cmp_eq_u32_sdwa vcc, v6, v11 src0_sel:WORD_0 src1_sel:DWORD
	v_cndmask_b32_e32 v19, v18, v6, vcc
; %bb.465:                              ;   in Loop: Header=BB367_363 Depth=1
	s_or_b64 exec, exec, s[6:7]
	v_cmp_lt_u64_e32 vcc, s[10:11], v[2:3]
	v_mov_b32_e32 v6, 0
	s_and_saveexec_b64 s[6:7], vcc
	s_cbranch_execz .LBB367_471
; %bb.466:                              ;   in Loop: Header=BB367_363 Depth=1
	v_lshrrev_b32_e32 v2, 24, v3
	v_cmp_ne_u32_e32 vcc, s30, v2
	v_bfrev_b32_e32 v6, 1
	s_and_saveexec_b64 s[16:17], vcc
	s_cbranch_execz .LBB367_470
; %bb.467:                              ;   in Loop: Header=BB367_363 Depth=1
	v_bfe_u32 v3, v3, 24, 7
	v_cmp_ne_u32_e32 vcc, s31, v3
	v_mov_b32_e32 v6, 0x7f800001
	s_and_saveexec_b64 s[26:27], vcc
	s_cbranch_execz .LBB367_469
; %bb.468:                              ;   in Loop: Header=BB367_363 Depth=1
	v_and_b32_e32 v6, 7, v2
	v_ffbh_u32_e32 v22, v6
	v_min_u32_e32 v22, 32, v22
	v_subrev_u32_e32 v25, 28, v22
	v_lshlrev_b64 v[38:39], v25, v[2:3]
	v_lshrrev_b32_e32 v18, 3, v3
	v_sub_u32_e32 v22, 29, v22
	v_and_b32_e32 v25, 7, v38
	v_cmp_gt_u32_e32 vcc, 8, v3
	v_bfrev_b32_e32 v39, 60
	v_cndmask_b32_e32 v3, v18, v22, vcc
	v_cndmask_b32_e32 v6, v6, v25, vcc
	v_lshlrev_b32_e32 v2, 24, v2
	v_lshlrev_b32_e32 v6, 20, v6
	v_and_b32_e32 v2, 0x80000000, v2
	v_lshl_add_u32 v3, v3, 23, v39
	v_or3_b32 v6, v2, v3, v6
.LBB367_469:                            ;   in Loop: Header=BB367_363 Depth=1
	s_or_b64 exec, exec, s[26:27]
.LBB367_470:                            ;   in Loop: Header=BB367_363 Depth=1
	s_or_b64 exec, exec, s[16:17]
.LBB367_471:                            ;   in Loop: Header=BB367_363 Depth=1
	s_or_b64 exec, exec, s[6:7]
	v_mul_f32_e32 v3, v26, v6
	v_and_b32_e32 v2, 0x7f800000, v3
	v_cmp_ne_u32_e32 vcc, s15, v2
                                        ; implicit-def: $vgpr2
	s_and_saveexec_b64 s[6:7], vcc
	s_xor_b64 s[6:7], exec, s[6:7]
; %bb.472:                              ;   in Loop: Header=BB367_363 Depth=1
	v_bfe_u32 v2, v3, 16, 1
	v_add3_u32 v2, v3, v2, s23
                                        ; implicit-def: $vgpr3
; %bb.473:                              ;   in Loop: Header=BB367_363 Depth=1
	s_andn2_saveexec_b64 s[6:7], s[6:7]
; %bb.474:                              ;   in Loop: Header=BB367_363 Depth=1
	v_or_b32_e32 v2, 0x10000, v3
	v_cmp_eq_u32_sdwa vcc, v3, v11 src0_sel:WORD_0 src1_sel:DWORD
	v_cndmask_b32_e32 v2, v2, v3, vcc
; %bb.475:                              ;   in Loop: Header=BB367_363 Depth=1
	s_or_b64 exec, exec, s[6:7]
	v_lshrrev_b32_e32 v3, 16, v19
	v_add_u32_e32 v19, -2, v17
	v_accvgpr_write_b32 a13, v19
	v_add_u32_e32 v19, -1, v17
	v_cmp_eq_u32_e32 vcc, v37, v16
	v_add_u32_e32 v38, -7, v17
	v_lshrrev_b32_e32 v6, 16, v10
	v_lshrrev_b32_e32 v10, 16, v24
	;; [unrolled: 1-line block ×7, first 2 shown]
	v_add_u32_e32 v51, -6, v17
	v_add_u32_e32 v50, -5, v17
	;; [unrolled: 1-line block ×4, first 2 shown]
	v_accvgpr_write_b32 a12, v19
	s_and_saveexec_b64 s[16:17], vcc
	s_cbranch_execz .LBB367_477
; %bb.476:                              ;   in Loop: Header=BB367_363 Depth=1
	v_cmp_lt_i32_e64 s[6:7], v38, v32
	v_cndmask_b32_e64 v7, 0, v7, s[6:7]
	v_cmp_lt_i32_e64 s[6:7], v51, v32
	v_cndmask_b32_e64 v8, 0, v8, s[6:7]
	;; [unrolled: 2-line block ×4, first 2 shown]
	v_cmp_lt_i32_e64 s[6:7], v48, v32
	v_accvgpr_read_b32 v19, a13
	v_cndmask_b32_e64 v10, 0, v10, s[6:7]
	v_cmp_lt_i32_e64 s[6:7], v19, v32
	v_accvgpr_read_b32 v19, a12
	v_cndmask_b32_e64 v6, 0, v6, s[6:7]
	v_cmp_lt_i32_e64 s[6:7], v19, v32
	v_cndmask_b32_e64 v3, 0, v3, s[6:7]
	v_cmp_lt_i32_e64 s[6:7], v17, v32
	v_cndmask_b32_e64 v2, 0, v2, s[6:7]
.LBB367_477:                            ;   in Loop: Header=BB367_363 Depth=1
	s_or_b64 exec, exec, s[16:17]
	v_and_b32_e32 v4, 0xffff0000, v4
	v_lshlrev_b32_e32 v7, 16, v7
	v_mul_f32_e32 v19, v4, v7
	v_and_b32_e32 v7, 0x7f800000, v19
	v_cmp_ne_u32_e64 s[6:7], s15, v7
                                        ; implicit-def: $vgpr7
	s_and_saveexec_b64 s[16:17], s[6:7]
	s_xor_b64 s[6:7], exec, s[16:17]
; %bb.478:                              ;   in Loop: Header=BB367_363 Depth=1
	v_bfe_u32 v7, v19, 16, 1
	v_add3_u32 v7, v19, v7, s23
                                        ; implicit-def: $vgpr19
; %bb.479:                              ;   in Loop: Header=BB367_363 Depth=1
	s_andn2_saveexec_b64 s[16:17], s[6:7]
; %bb.480:                              ;   in Loop: Header=BB367_363 Depth=1
	v_or_b32_e32 v7, 0x10000, v19
	v_cmp_eq_u32_sdwa s[6:7], v19, v11 src0_sel:WORD_0 src1_sel:DWORD
	v_cndmask_b32_e64 v7, v7, v19, s[6:7]
; %bb.481:                              ;   in Loop: Header=BB367_363 Depth=1
	s_or_b64 exec, exec, s[16:17]
	v_and_b32_e32 v5, 0xffff0000, v5
	v_lshlrev_b32_e32 v8, 16, v8
	v_mul_f32_e32 v19, v5, v8
	v_and_b32_e32 v8, 0x7f800000, v19
	v_cmp_ne_u32_e64 s[6:7], s15, v8
                                        ; implicit-def: $vgpr8
	s_and_saveexec_b64 s[16:17], s[6:7]
	s_xor_b64 s[6:7], exec, s[16:17]
; %bb.482:                              ;   in Loop: Header=BB367_363 Depth=1
	v_bfe_u32 v8, v19, 16, 1
	v_add3_u32 v8, v19, v8, s23
                                        ; implicit-def: $vgpr19
; %bb.483:                              ;   in Loop: Header=BB367_363 Depth=1
	s_andn2_saveexec_b64 s[16:17], s[6:7]
; %bb.484:                              ;   in Loop: Header=BB367_363 Depth=1
	v_or_b32_e32 v8, 0x10000, v19
	v_cmp_eq_u32_sdwa s[6:7], v19, v11 src0_sel:WORD_0 src1_sel:DWORD
	v_cndmask_b32_e64 v8, v8, v19, s[6:7]
; %bb.485:                              ;   in Loop: Header=BB367_363 Depth=1
	s_or_b64 exec, exec, s[16:17]
	v_and_b32_e32 v53, 0xffff0000, v36
	v_lshlrev_b32_e32 v9, 16, v9
	v_mul_f32_e32 v19, v53, v9
	v_and_b32_e32 v9, 0x7f800000, v19
	v_cmp_ne_u32_e64 s[6:7], s15, v9
                                        ; implicit-def: $vgpr9
	s_and_saveexec_b64 s[16:17], s[6:7]
	s_xor_b64 s[6:7], exec, s[16:17]
; %bb.486:                              ;   in Loop: Header=BB367_363 Depth=1
	v_bfe_u32 v9, v19, 16, 1
	v_add3_u32 v9, v19, v9, s23
                                        ; implicit-def: $vgpr19
; %bb.487:                              ;   in Loop: Header=BB367_363 Depth=1
	s_andn2_saveexec_b64 s[16:17], s[6:7]
; %bb.488:                              ;   in Loop: Header=BB367_363 Depth=1
	v_or_b32_e32 v9, 0x10000, v19
	v_cmp_eq_u32_sdwa s[6:7], v19, v11 src0_sel:WORD_0 src1_sel:DWORD
	v_cndmask_b32_e64 v9, v9, v19, s[6:7]
; %bb.489:                              ;   in Loop: Header=BB367_363 Depth=1
	s_or_b64 exec, exec, s[16:17]
	v_and_b32_e32 v54, 0xffff0000, v33
	v_lshlrev_b32_e32 v18, 16, v18
	v_mul_f32_e32 v18, v54, v18
	v_and_b32_e32 v19, 0x7f800000, v18
	v_cmp_ne_u32_e64 s[6:7], s15, v19
                                        ; implicit-def: $vgpr33
	s_and_saveexec_b64 s[16:17], s[6:7]
	s_xor_b64 s[6:7], exec, s[16:17]
; %bb.490:                              ;   in Loop: Header=BB367_363 Depth=1
	v_bfe_u32 v19, v18, 16, 1
	v_add3_u32 v33, v18, v19, s23
                                        ; implicit-def: $vgpr18
; %bb.491:                              ;   in Loop: Header=BB367_363 Depth=1
	s_andn2_saveexec_b64 s[16:17], s[6:7]
; %bb.492:                              ;   in Loop: Header=BB367_363 Depth=1
	v_or_b32_e32 v19, 0x10000, v18
	v_cmp_eq_u32_sdwa s[6:7], v18, v11 src0_sel:WORD_0 src1_sel:DWORD
	v_cndmask_b32_e64 v33, v19, v18, s[6:7]
; %bb.493:                              ;   in Loop: Header=BB367_363 Depth=1
	s_or_b64 exec, exec, s[16:17]
	v_and_b32_e32 v55, 0xffff0000, v34
	v_lshlrev_b32_e32 v10, 16, v10
	v_mul_f32_e32 v10, v55, v10
	v_and_b32_e32 v18, 0x7f800000, v10
	v_cmp_ne_u32_e64 s[6:7], s15, v18
                                        ; implicit-def: $vgpr34
	s_and_saveexec_b64 s[16:17], s[6:7]
	s_xor_b64 s[6:7], exec, s[16:17]
; %bb.494:                              ;   in Loop: Header=BB367_363 Depth=1
	v_bfe_u32 v18, v10, 16, 1
	v_add3_u32 v34, v10, v18, s23
                                        ; implicit-def: $vgpr10
; %bb.495:                              ;   in Loop: Header=BB367_363 Depth=1
	s_andn2_saveexec_b64 s[16:17], s[6:7]
; %bb.496:                              ;   in Loop: Header=BB367_363 Depth=1
	v_or_b32_e32 v18, 0x10000, v10
	v_cmp_eq_u32_sdwa s[6:7], v10, v11 src0_sel:WORD_0 src1_sel:DWORD
	v_cndmask_b32_e64 v34, v18, v10, s[6:7]
; %bb.497:                              ;   in Loop: Header=BB367_363 Depth=1
	s_or_b64 exec, exec, s[16:17]
	v_and_b32_e32 v40, 0xffff0000, v35
	v_lshlrev_b32_e32 v6, 16, v6
	v_mul_f32_e32 v6, v40, v6
	v_and_b32_e32 v10, 0x7f800000, v6
	v_cmp_ne_u32_e64 s[6:7], s15, v10
                                        ; implicit-def: $vgpr35
	s_and_saveexec_b64 s[16:17], s[6:7]
	s_xor_b64 s[6:7], exec, s[16:17]
; %bb.498:                              ;   in Loop: Header=BB367_363 Depth=1
	v_bfe_u32 v10, v6, 16, 1
	v_add3_u32 v35, v6, v10, s23
                                        ; implicit-def: $vgpr6
; %bb.499:                              ;   in Loop: Header=BB367_363 Depth=1
	s_andn2_saveexec_b64 s[16:17], s[6:7]
; %bb.500:                              ;   in Loop: Header=BB367_363 Depth=1
	v_or_b32_e32 v10, 0x10000, v6
	v_cmp_eq_u32_sdwa s[6:7], v6, v11 src0_sel:WORD_0 src1_sel:DWORD
	v_cndmask_b32_e64 v35, v10, v6, s[6:7]
; %bb.501:                              ;   in Loop: Header=BB367_363 Depth=1
	s_or_b64 exec, exec, s[16:17]
	v_and_b32_e32 v41, 0xffff0000, v31
	v_lshlrev_b32_e32 v3, 16, v3
	v_mul_f32_e32 v3, v41, v3
	v_and_b32_e32 v6, 0x7f800000, v3
	v_cmp_ne_u32_e64 s[6:7], s15, v6
                                        ; implicit-def: $vgpr36
	s_and_saveexec_b64 s[16:17], s[6:7]
	s_xor_b64 s[6:7], exec, s[16:17]
; %bb.502:                              ;   in Loop: Header=BB367_363 Depth=1
	v_bfe_u32 v6, v3, 16, 1
	v_add3_u32 v36, v3, v6, s23
                                        ; implicit-def: $vgpr3
; %bb.503:                              ;   in Loop: Header=BB367_363 Depth=1
	s_andn2_saveexec_b64 s[16:17], s[6:7]
; %bb.504:                              ;   in Loop: Header=BB367_363 Depth=1
	v_or_b32_e32 v6, 0x10000, v3
	v_cmp_eq_u32_sdwa s[6:7], v3, v11 src0_sel:WORD_0 src1_sel:DWORD
	v_cndmask_b32_e64 v36, v6, v3, s[6:7]
; %bb.505:                              ;   in Loop: Header=BB367_363 Depth=1
	s_or_b64 exec, exec, s[16:17]
	v_and_b32_e32 v42, 0xffff0000, v27
	v_lshlrev_b32_e32 v2, 16, v2
	v_mul_f32_e32 v2, v42, v2
	v_and_b32_e32 v3, 0x7f800000, v2
	v_cmp_ne_u32_e64 s[6:7], s15, v3
                                        ; implicit-def: $vgpr52
	s_and_saveexec_b64 s[16:17], s[6:7]
	s_xor_b64 s[6:7], exec, s[16:17]
; %bb.506:                              ;   in Loop: Header=BB367_363 Depth=1
	v_bfe_u32 v3, v2, 16, 1
	v_add3_u32 v52, v2, v3, s23
                                        ; implicit-def: $vgpr2
; %bb.507:                              ;   in Loop: Header=BB367_363 Depth=1
	s_andn2_saveexec_b64 s[16:17], s[6:7]
; %bb.508:                              ;   in Loop: Header=BB367_363 Depth=1
	v_or_b32_e32 v3, 0x10000, v2
	v_cmp_eq_u32_sdwa s[6:7], v2, v11 src0_sel:WORD_0 src1_sel:DWORD
	v_cndmask_b32_e64 v52, v3, v2, s[6:7]
; %bb.509:                              ;   in Loop: Header=BB367_363 Depth=1
	s_or_b64 exec, exec, s[16:17]
	flat_load_dwordx2 v[2:3], v[0:1] offset:512
	v_mov_b32_e32 v6, 0
	s_waitcnt vmcnt(0) lgkmcnt(0)
	v_cmp_ne_u16_sdwa s[6:7], v2, v11 src0_sel:BYTE_0 src1_sel:DWORD
	s_and_saveexec_b64 s[16:17], s[6:7]
	s_cbranch_execz .LBB367_515
; %bb.510:                              ;   in Loop: Header=BB367_363 Depth=1
	v_cmp_ne_u16_sdwa s[6:7], v2, s30 src0_sel:BYTE_0 src1_sel:DWORD
	v_bfrev_b32_e32 v6, 1
	s_and_saveexec_b64 s[26:27], s[6:7]
	s_cbranch_execz .LBB367_514
; %bb.511:                              ;   in Loop: Header=BB367_363 Depth=1
	v_and_b32_e32 v10, 0x7f, v2
	v_cmp_ne_u32_e64 s[6:7], s31, v10
	v_mov_b32_e32 v6, 0x7f800001
	s_and_saveexec_b64 s[28:29], s[6:7]
	s_cbranch_execz .LBB367_513
; %bb.512:                              ;   in Loop: Header=BB367_363 Depth=1
	v_and_b32_e32 v6, 7, v2
	v_ffbh_u32_e32 v6, v6
	v_min_u32_e32 v6, 32, v6
	v_subrev_u32_e32 v19, 28, v6
	v_cmp_gt_u32_e64 s[6:7], 8, v10
	v_lshrrev_b32_e32 v18, 3, v10
	v_sub_u32_e32 v6, 29, v6
	v_cndmask_b32_e64 v10, 0, v19, s[6:7]
	v_cndmask_b32_e64 v6, v18, v6, s[6:7]
	v_lshlrev_b64 v[18:19], v10, v[2:3]
	v_lshlrev_b32_e32 v10, 20, v18
	v_lshlrev_b32_e32 v18, 24, v2
	v_and_b32_e32 v10, 0x700000, v10
	v_and_b32_e32 v18, 0x80000000, v18
	v_lshl_add_u32 v6, v6, 23, v39
	v_or3_b32 v6, v18, v6, v10
.LBB367_513:                            ;   in Loop: Header=BB367_363 Depth=1
	s_or_b64 exec, exec, s[28:29]
.LBB367_514:                            ;   in Loop: Header=BB367_363 Depth=1
	s_or_b64 exec, exec, s[26:27]
.LBB367_515:                            ;   in Loop: Header=BB367_363 Depth=1
	s_or_b64 exec, exec, s[16:17]
	v_mul_f32_e32 v6, v26, v6
	v_and_b32_e32 v10, 0x7f800000, v6
	v_cmp_ne_u32_e64 s[6:7], s15, v10
                                        ; implicit-def: $vgpr25
	s_and_saveexec_b64 s[16:17], s[6:7]
	s_xor_b64 s[6:7], exec, s[16:17]
; %bb.516:                              ;   in Loop: Header=BB367_363 Depth=1
	v_bfe_u32 v10, v6, 16, 1
	v_add3_u32 v25, v6, v10, s23
                                        ; implicit-def: $vgpr6
; %bb.517:                              ;   in Loop: Header=BB367_363 Depth=1
	s_andn2_saveexec_b64 s[16:17], s[6:7]
; %bb.518:                              ;   in Loop: Header=BB367_363 Depth=1
	v_or_b32_e32 v10, 0x10000, v6
	v_cmp_eq_u32_sdwa s[6:7], v6, v11 src0_sel:WORD_0 src1_sel:DWORD
	v_cndmask_b32_e64 v25, v10, v6, s[6:7]
; %bb.519:                              ;   in Loop: Header=BB367_363 Depth=1
	s_or_b64 exec, exec, s[16:17]
	v_lshrrev_b16_e32 v6, 8, v2
	v_cmp_ne_u16_e64 s[6:7], 0, v6
	v_mov_b32_e32 v10, 0
	s_and_saveexec_b64 s[16:17], s[6:7]
	s_cbranch_execz .LBB367_525
; %bb.520:                              ;   in Loop: Header=BB367_363 Depth=1
	v_cmp_ne_u16_e64 s[6:7], s30, v6
	v_bfrev_b32_e32 v10, 1
	s_and_saveexec_b64 s[26:27], s[6:7]
	s_cbranch_execz .LBB367_524
; %bb.521:                              ;   in Loop: Header=BB367_363 Depth=1
	v_and_b32_e32 v18, 0x7f, v6
	v_cmp_ne_u32_e64 s[6:7], s31, v18
	v_mov_b32_e32 v10, 0x7f800001
	s_and_saveexec_b64 s[28:29], s[6:7]
	s_cbranch_execz .LBB367_523
; %bb.522:                              ;   in Loop: Header=BB367_363 Depth=1
	v_and_b32_e32 v10, 7, v6
	v_ffbh_u32_e32 v22, v10
	v_min_u32_e32 v22, 32, v22
	v_subrev_u32_e32 v23, 28, v22
	v_lshlrev_b64 v[30:31], v23, v[6:7]
	v_lshrrev_b32_e32 v19, 3, v18
	v_sub_u32_e32 v6, 29, v22
	v_and_b32_e32 v22, 7, v30
	v_cmp_gt_u32_e64 s[6:7], 8, v18
	v_cndmask_b32_e64 v6, v19, v6, s[6:7]
	v_cndmask_b32_e64 v10, v10, v22, s[6:7]
	v_lshlrev_b32_e32 v18, 16, v2
	v_lshlrev_b32_e32 v10, 20, v10
	v_and_b32_e32 v18, 0x80000000, v18
	v_lshl_add_u32 v6, v6, 23, v39
	v_or3_b32 v10, v18, v6, v10
.LBB367_523:                            ;   in Loop: Header=BB367_363 Depth=1
	s_or_b64 exec, exec, s[28:29]
.LBB367_524:                            ;   in Loop: Header=BB367_363 Depth=1
	s_or_b64 exec, exec, s[26:27]
.LBB367_525:                            ;   in Loop: Header=BB367_363 Depth=1
	s_or_b64 exec, exec, s[16:17]
	v_mul_f32_e32 v6, v26, v10
	v_and_b32_e32 v10, 0x7f800000, v6
	v_cmp_ne_u32_e64 s[6:7], s15, v10
                                        ; implicit-def: $vgpr23
	s_and_saveexec_b64 s[16:17], s[6:7]
	s_xor_b64 s[6:7], exec, s[16:17]
; %bb.526:                              ;   in Loop: Header=BB367_363 Depth=1
	v_bfe_u32 v10, v6, 16, 1
	v_add3_u32 v23, v6, v10, s23
                                        ; implicit-def: $vgpr6
; %bb.527:                              ;   in Loop: Header=BB367_363 Depth=1
	s_andn2_saveexec_b64 s[16:17], s[6:7]
; %bb.528:                              ;   in Loop: Header=BB367_363 Depth=1
	v_or_b32_e32 v10, 0x10000, v6
	v_cmp_eq_u32_sdwa s[6:7], v6, v11 src0_sel:WORD_0 src1_sel:DWORD
	v_cndmask_b32_e64 v23, v10, v6, s[6:7]
; %bb.529:                              ;   in Loop: Header=BB367_363 Depth=1
	s_or_b64 exec, exec, s[16:17]
	v_lshrrev_b32_e32 v6, 16, v2
	v_cmp_ne_u16_sdwa s[6:7], v6, v11 src0_sel:BYTE_0 src1_sel:DWORD
	v_mov_b32_e32 v10, 0
	s_and_saveexec_b64 s[16:17], s[6:7]
	s_cbranch_execz .LBB367_535
; %bb.530:                              ;   in Loop: Header=BB367_363 Depth=1
	v_cmp_ne_u16_sdwa s[6:7], v6, s30 src0_sel:BYTE_0 src1_sel:DWORD
	v_bfrev_b32_e32 v10, 1
	s_and_saveexec_b64 s[26:27], s[6:7]
	s_cbranch_execz .LBB367_534
; %bb.531:                              ;   in Loop: Header=BB367_363 Depth=1
	v_bfe_u32 v18, v2, 16, 7
	v_cmp_ne_u32_e64 s[6:7], s31, v18
	v_mov_b32_e32 v10, 0x7f800001
	s_and_saveexec_b64 s[28:29], s[6:7]
	s_cbranch_execz .LBB367_533
; %bb.532:                              ;   in Loop: Header=BB367_363 Depth=1
	v_and_b32_e32 v10, 7, v6
	v_ffbh_u32_e32 v22, v10
	v_min_u32_e32 v22, 32, v22
	v_subrev_u32_e32 v24, 28, v22
	v_lshlrev_b64 v[30:31], v24, v[6:7]
	v_lshrrev_b32_e32 v19, 3, v18
	v_sub_u32_e32 v22, 29, v22
	v_and_b32_e32 v24, 7, v30
	v_cmp_gt_u32_e64 s[6:7], 8, v18
	v_cndmask_b32_e64 v18, v19, v22, s[6:7]
	v_cndmask_b32_e64 v10, v10, v24, s[6:7]
	v_lshlrev_b32_e32 v6, 24, v6
	v_lshlrev_b32_e32 v10, 20, v10
	v_and_b32_e32 v6, 0x80000000, v6
	v_lshl_add_u32 v18, v18, 23, v39
	v_or3_b32 v10, v6, v18, v10
.LBB367_533:                            ;   in Loop: Header=BB367_363 Depth=1
	s_or_b64 exec, exec, s[28:29]
.LBB367_534:                            ;   in Loop: Header=BB367_363 Depth=1
	s_or_b64 exec, exec, s[26:27]
.LBB367_535:                            ;   in Loop: Header=BB367_363 Depth=1
	s_or_b64 exec, exec, s[16:17]
	v_mul_f32_e32 v6, v26, v10
	v_and_b32_e32 v10, 0x7f800000, v6
	v_cmp_ne_u32_e64 s[6:7], s15, v10
                                        ; implicit-def: $vgpr24
	s_and_saveexec_b64 s[16:17], s[6:7]
	s_xor_b64 s[6:7], exec, s[16:17]
; %bb.536:                              ;   in Loop: Header=BB367_363 Depth=1
	v_bfe_u32 v10, v6, 16, 1
	v_add3_u32 v24, v6, v10, s23
                                        ; implicit-def: $vgpr6
; %bb.537:                              ;   in Loop: Header=BB367_363 Depth=1
	s_andn2_saveexec_b64 s[16:17], s[6:7]
; %bb.538:                              ;   in Loop: Header=BB367_363 Depth=1
	v_or_b32_e32 v10, 0x10000, v6
	v_cmp_eq_u32_sdwa s[6:7], v6, v11 src0_sel:WORD_0 src1_sel:DWORD
	v_cndmask_b32_e64 v24, v10, v6, s[6:7]
; %bb.539:                              ;   in Loop: Header=BB367_363 Depth=1
	s_or_b64 exec, exec, s[16:17]
	v_cmp_lt_u32_e64 s[6:7], s11, v2
	v_mov_b32_e32 v10, 0
	s_and_saveexec_b64 s[16:17], s[6:7]
	s_cbranch_execz .LBB367_545
; %bb.540:                              ;   in Loop: Header=BB367_363 Depth=1
	v_lshrrev_b32_e32 v6, 24, v2
	v_cmp_ne_u32_e64 s[6:7], s30, v6
	v_bfrev_b32_e32 v10, 1
	s_and_saveexec_b64 s[26:27], s[6:7]
	s_cbranch_execz .LBB367_544
; %bb.541:                              ;   in Loop: Header=BB367_363 Depth=1
	v_bfe_u32 v18, v2, 24, 7
	v_cmp_ne_u32_e64 s[6:7], s31, v18
	v_mov_b32_e32 v10, 0x7f800001
	s_and_saveexec_b64 s[28:29], s[6:7]
	s_cbranch_execz .LBB367_543
; %bb.542:                              ;   in Loop: Header=BB367_363 Depth=1
	v_and_b32_e32 v10, 7, v6
	v_ffbh_u32_e32 v22, v10
	v_min_u32_e32 v22, 32, v22
	v_subrev_u32_e32 v27, 28, v22
	v_lshlrev_b64 v[30:31], v27, v[6:7]
	v_lshrrev_b32_e32 v19, 3, v18
	v_sub_u32_e32 v22, 29, v22
	v_and_b32_e32 v27, 7, v30
	v_cmp_gt_u32_e64 s[6:7], 8, v18
	v_cndmask_b32_e64 v18, v19, v22, s[6:7]
	v_cndmask_b32_e64 v10, v10, v27, s[6:7]
	v_lshlrev_b32_e32 v6, 24, v6
	v_lshlrev_b32_e32 v10, 20, v10
	v_and_b32_e32 v6, 0x80000000, v6
	v_lshl_add_u32 v18, v18, 23, v39
	v_or3_b32 v10, v6, v18, v10
.LBB367_543:                            ;   in Loop: Header=BB367_363 Depth=1
	s_or_b64 exec, exec, s[28:29]
.LBB367_544:                            ;   in Loop: Header=BB367_363 Depth=1
	s_or_b64 exec, exec, s[26:27]
.LBB367_545:                            ;   in Loop: Header=BB367_363 Depth=1
	s_or_b64 exec, exec, s[16:17]
	v_mul_f32_e32 v6, v26, v10
	v_and_b32_e32 v10, 0x7f800000, v6
	v_cmp_ne_u32_e64 s[6:7], s15, v10
                                        ; implicit-def: $vgpr27
	s_and_saveexec_b64 s[16:17], s[6:7]
	s_xor_b64 s[6:7], exec, s[16:17]
; %bb.546:                              ;   in Loop: Header=BB367_363 Depth=1
	v_bfe_u32 v10, v6, 16, 1
	v_add3_u32 v27, v6, v10, s23
                                        ; implicit-def: $vgpr6
; %bb.547:                              ;   in Loop: Header=BB367_363 Depth=1
	s_andn2_saveexec_b64 s[16:17], s[6:7]
; %bb.548:                              ;   in Loop: Header=BB367_363 Depth=1
	v_or_b32_e32 v10, 0x10000, v6
	v_cmp_eq_u32_sdwa s[6:7], v6, v11 src0_sel:WORD_0 src1_sel:DWORD
	v_cndmask_b32_e64 v27, v10, v6, s[6:7]
; %bb.549:                              ;   in Loop: Header=BB367_363 Depth=1
	s_or_b64 exec, exec, s[16:17]
	v_mov_b32_e32 v10, v3
	v_cmp_ne_u16_sdwa s[6:7], v3, v11 src0_sel:BYTE_0 src1_sel:DWORD
	v_mov_b32_e32 v6, 0
	s_and_saveexec_b64 s[16:17], s[6:7]
	s_cbranch_execz .LBB367_555
; %bb.550:                              ;   in Loop: Header=BB367_363 Depth=1
	v_cmp_ne_u16_sdwa s[6:7], v3, s30 src0_sel:BYTE_0 src1_sel:DWORD
	v_bfrev_b32_e32 v6, 1
	s_and_saveexec_b64 s[26:27], s[6:7]
	s_cbranch_execz .LBB367_554
; %bb.551:                              ;   in Loop: Header=BB367_363 Depth=1
	v_and_b32_e32 v18, 0x7f, v3
	v_cmp_ne_u32_e64 s[6:7], s31, v18
	v_mov_b32_e32 v6, 0x7f800001
	s_and_saveexec_b64 s[28:29], s[6:7]
	s_cbranch_execz .LBB367_553
; %bb.552:                              ;   in Loop: Header=BB367_363 Depth=1
	v_and_b32_e32 v6, 7, v3
	v_ffbh_u32_e32 v6, v6
	v_min_u32_e32 v6, 32, v6
	v_subrev_u32_e32 v22, 28, v6
	v_cmp_gt_u32_e64 s[6:7], 8, v18
	v_lshrrev_b32_e32 v19, 3, v18
	v_sub_u32_e32 v6, 29, v6
	v_cndmask_b32_e64 v18, 0, v22, s[6:7]
	v_cndmask_b32_e64 v6, v19, v6, s[6:7]
	v_lshlrev_b64 v[18:19], v18, v[10:11]
	v_lshlrev_b32_e32 v18, 20, v18
	v_lshlrev_b32_e32 v19, 24, v10
	v_and_b32_e32 v18, 0x700000, v18
	v_and_b32_e32 v19, 0x80000000, v19
	v_lshl_add_u32 v6, v6, 23, v39
	v_or3_b32 v6, v19, v6, v18
.LBB367_553:                            ;   in Loop: Header=BB367_363 Depth=1
	s_or_b64 exec, exec, s[28:29]
.LBB367_554:                            ;   in Loop: Header=BB367_363 Depth=1
	s_or_b64 exec, exec, s[26:27]
.LBB367_555:                            ;   in Loop: Header=BB367_363 Depth=1
	s_or_b64 exec, exec, s[16:17]
	v_mul_f32_e32 v6, v26, v6
	v_and_b32_e32 v18, 0x7f800000, v6
	v_cmp_ne_u32_e64 s[6:7], s15, v18
                                        ; implicit-def: $vgpr18
	s_and_saveexec_b64 s[16:17], s[6:7]
	s_xor_b64 s[6:7], exec, s[16:17]
; %bb.556:                              ;   in Loop: Header=BB367_363 Depth=1
	v_bfe_u32 v18, v6, 16, 1
	v_add3_u32 v18, v6, v18, s23
                                        ; implicit-def: $vgpr6
; %bb.557:                              ;   in Loop: Header=BB367_363 Depth=1
	s_andn2_saveexec_b64 s[16:17], s[6:7]
; %bb.558:                              ;   in Loop: Header=BB367_363 Depth=1
	v_or_b32_e32 v18, 0x10000, v6
	v_cmp_eq_u32_sdwa s[6:7], v6, v11 src0_sel:WORD_0 src1_sel:DWORD
	v_cndmask_b32_e64 v18, v18, v6, s[6:7]
; %bb.559:                              ;   in Loop: Header=BB367_363 Depth=1
	s_or_b64 exec, exec, s[16:17]
	v_lshrrev_b16_e32 v6, 8, v10
	v_mov_b32_e32 v19, 0
	v_cmp_ne_u16_e64 s[6:7], 0, v6
	s_mov_b64 s[16:17], exec
	s_and_b64 s[6:7], s[16:17], s[6:7]
	v_accvgpr_write_b32 a9, v38
	s_mov_b64 exec, s[6:7]
	s_cbranch_execz .LBB367_565
; %bb.560:                              ;   in Loop: Header=BB367_363 Depth=1
	v_cmp_ne_u16_e64 s[6:7], s30, v6
	v_bfrev_b32_e32 v19, 1
	s_and_saveexec_b64 s[26:27], s[6:7]
	s_cbranch_execz .LBB367_564
; %bb.561:                              ;   in Loop: Header=BB367_363 Depth=1
	v_and_b32_e32 v29, 0x7f, v6
	v_cmp_ne_u32_e64 s[6:7], s31, v29
	v_mov_b32_e32 v19, 0x7f800001
	s_and_saveexec_b64 s[28:29], s[6:7]
	s_cbranch_execz .LBB367_563
; %bb.562:                              ;   in Loop: Header=BB367_363 Depth=1
	v_and_b32_e32 v19, 7, v6
	v_ffbh_u32_e32 v30, v19
	v_min_u32_e32 v38, 32, v30
	v_subrev_u32_e32 v30, 28, v38
	v_lshlrev_b64 v[30:31], v30, v[6:7]
	v_lshrrev_b32_e32 v22, 3, v29
	v_sub_u32_e32 v6, 29, v38
	v_and_b32_e32 v30, 7, v30
	v_cmp_gt_u32_e64 s[6:7], 8, v29
	v_cndmask_b32_e64 v6, v22, v6, s[6:7]
	v_cndmask_b32_e64 v19, v19, v30, s[6:7]
	v_lshlrev_b32_e32 v10, 16, v10
	v_lshlrev_b32_e32 v19, 20, v19
	v_and_b32_e32 v10, 0x80000000, v10
	v_lshl_add_u32 v6, v6, 23, v39
	v_accvgpr_read_b32 v38, a9
	v_or3_b32 v19, v10, v6, v19
.LBB367_563:                            ;   in Loop: Header=BB367_363 Depth=1
	s_or_b64 exec, exec, s[28:29]
.LBB367_564:                            ;   in Loop: Header=BB367_363 Depth=1
	s_or_b64 exec, exec, s[26:27]
.LBB367_565:                            ;   in Loop: Header=BB367_363 Depth=1
	s_or_b64 exec, exec, s[16:17]
	v_mul_f32_e32 v6, v26, v19
	v_and_b32_e32 v10, 0x7f800000, v6
	v_cmp_ne_u32_e64 s[6:7], s15, v10
                                        ; implicit-def: $vgpr10
	s_and_saveexec_b64 s[16:17], s[6:7]
	s_xor_b64 s[6:7], exec, s[16:17]
; %bb.566:                              ;   in Loop: Header=BB367_363 Depth=1
	v_bfe_u32 v10, v6, 16, 1
	v_add3_u32 v10, v6, v10, s23
                                        ; implicit-def: $vgpr6
; %bb.567:                              ;   in Loop: Header=BB367_363 Depth=1
	s_andn2_saveexec_b64 s[16:17], s[6:7]
; %bb.568:                              ;   in Loop: Header=BB367_363 Depth=1
	v_or_b32_e32 v10, 0x10000, v6
	v_cmp_eq_u32_sdwa s[6:7], v6, v11 src0_sel:WORD_0 src1_sel:DWORD
	v_cndmask_b32_e64 v10, v10, v6, s[6:7]
; %bb.569:                              ;   in Loop: Header=BB367_363 Depth=1
	s_or_b64 exec, exec, s[16:17]
	v_lshrrev_b32_e32 v6, 16, v3
	v_cmp_ne_u16_sdwa s[6:7], v6, v11 src0_sel:BYTE_0 src1_sel:DWORD
	v_mov_b32_e32 v19, 0
	s_and_saveexec_b64 s[16:17], s[6:7]
	s_cbranch_execz .LBB367_575
; %bb.570:                              ;   in Loop: Header=BB367_363 Depth=1
	v_cmp_ne_u16_sdwa s[6:7], v6, s30 src0_sel:BYTE_0 src1_sel:DWORD
	v_bfrev_b32_e32 v19, 1
	s_and_saveexec_b64 s[26:27], s[6:7]
	s_cbranch_execz .LBB367_574
; %bb.571:                              ;   in Loop: Header=BB367_363 Depth=1
	v_bfe_u32 v29, v3, 16, 7
	v_cmp_ne_u32_e64 s[6:7], s31, v29
	v_mov_b32_e32 v19, 0x7f800001
	s_and_saveexec_b64 s[28:29], s[6:7]
	s_cbranch_execz .LBB367_573
; %bb.572:                              ;   in Loop: Header=BB367_363 Depth=1
	v_and_b32_e32 v19, 7, v6
	v_ffbh_u32_e32 v30, v19
	v_min_u32_e32 v38, 32, v30
	v_subrev_u32_e32 v30, 28, v38
	v_lshlrev_b64 v[30:31], v30, v[6:7]
	v_lshrrev_b32_e32 v22, 3, v29
	v_sub_u32_e32 v31, 29, v38
	v_and_b32_e32 v30, 7, v30
	v_cmp_gt_u32_e64 s[6:7], 8, v29
	v_cndmask_b32_e64 v22, v22, v31, s[6:7]
	v_cndmask_b32_e64 v19, v19, v30, s[6:7]
	v_lshlrev_b32_e32 v6, 24, v6
	v_lshlrev_b32_e32 v19, 20, v19
	v_and_b32_e32 v6, 0x80000000, v6
	v_lshl_add_u32 v22, v22, 23, v39
	v_accvgpr_read_b32 v38, a9
	v_or3_b32 v19, v6, v22, v19
.LBB367_573:                            ;   in Loop: Header=BB367_363 Depth=1
	s_or_b64 exec, exec, s[28:29]
.LBB367_574:                            ;   in Loop: Header=BB367_363 Depth=1
	s_or_b64 exec, exec, s[26:27]
.LBB367_575:                            ;   in Loop: Header=BB367_363 Depth=1
	s_or_b64 exec, exec, s[16:17]
	v_mul_f32_e32 v6, v26, v19
	v_and_b32_e32 v19, 0x7f800000, v6
	v_cmp_ne_u32_e64 s[6:7], s15, v19
                                        ; implicit-def: $vgpr19
	s_and_saveexec_b64 s[16:17], s[6:7]
	s_xor_b64 s[6:7], exec, s[16:17]
; %bb.576:                              ;   in Loop: Header=BB367_363 Depth=1
	v_bfe_u32 v19, v6, 16, 1
	v_add3_u32 v19, v6, v19, s23
                                        ; implicit-def: $vgpr6
; %bb.577:                              ;   in Loop: Header=BB367_363 Depth=1
	s_andn2_saveexec_b64 s[16:17], s[6:7]
; %bb.578:                              ;   in Loop: Header=BB367_363 Depth=1
	v_or_b32_e32 v19, 0x10000, v6
	v_cmp_eq_u32_sdwa s[6:7], v6, v11 src0_sel:WORD_0 src1_sel:DWORD
	v_cndmask_b32_e64 v19, v19, v6, s[6:7]
; %bb.579:                              ;   in Loop: Header=BB367_363 Depth=1
	s_or_b64 exec, exec, s[16:17]
	v_cmp_lt_u64_e64 s[6:7], s[10:11], v[2:3]
	v_mov_b32_e32 v6, 0
	s_and_saveexec_b64 s[16:17], s[6:7]
	s_cbranch_execz .LBB367_585
; %bb.580:                              ;   in Loop: Header=BB367_363 Depth=1
	v_lshrrev_b32_e32 v2, 24, v3
	v_cmp_ne_u32_e64 s[6:7], s30, v2
	v_bfrev_b32_e32 v6, 1
	s_and_saveexec_b64 s[26:27], s[6:7]
	s_cbranch_execz .LBB367_584
; %bb.581:                              ;   in Loop: Header=BB367_363 Depth=1
	v_bfe_u32 v3, v3, 24, 7
	v_cmp_ne_u32_e64 s[6:7], s31, v3
	v_mov_b32_e32 v6, 0x7f800001
	s_and_saveexec_b64 s[28:29], s[6:7]
	s_cbranch_execz .LBB367_583
; %bb.582:                              ;   in Loop: Header=BB367_363 Depth=1
	v_and_b32_e32 v6, 7, v2
	v_ffbh_u32_e32 v29, v6
	v_min_u32_e32 v29, 32, v29
	v_subrev_u32_e32 v30, 28, v29
	v_lshlrev_b64 v[30:31], v30, v[2:3]
	v_lshrrev_b32_e32 v22, 3, v3
	v_sub_u32_e32 v29, 29, v29
	v_and_b32_e32 v30, 7, v30
	v_cmp_gt_u32_e64 s[6:7], 8, v3
	v_cndmask_b32_e64 v3, v22, v29, s[6:7]
	v_cndmask_b32_e64 v6, v6, v30, s[6:7]
	v_lshlrev_b32_e32 v2, 24, v2
	v_lshlrev_b32_e32 v6, 20, v6
	v_and_b32_e32 v2, 0x80000000, v2
	v_lshl_add_u32 v3, v3, 23, v39
	v_or3_b32 v6, v2, v3, v6
.LBB367_583:                            ;   in Loop: Header=BB367_363 Depth=1
	s_or_b64 exec, exec, s[28:29]
.LBB367_584:                            ;   in Loop: Header=BB367_363 Depth=1
	s_or_b64 exec, exec, s[26:27]
.LBB367_585:                            ;   in Loop: Header=BB367_363 Depth=1
	s_or_b64 exec, exec, s[16:17]
	v_mul_f32_e32 v3, v26, v6
	v_and_b32_e32 v2, 0x7f800000, v3
	v_cmp_ne_u32_e64 s[6:7], s15, v2
                                        ; implicit-def: $vgpr2
	s_and_saveexec_b64 s[16:17], s[6:7]
	s_xor_b64 s[6:7], exec, s[16:17]
; %bb.586:                              ;   in Loop: Header=BB367_363 Depth=1
	v_bfe_u32 v2, v3, 16, 1
	v_add3_u32 v2, v3, v2, s23
                                        ; implicit-def: $vgpr3
; %bb.587:                              ;   in Loop: Header=BB367_363 Depth=1
	s_andn2_saveexec_b64 s[16:17], s[6:7]
; %bb.588:                              ;   in Loop: Header=BB367_363 Depth=1
	v_or_b32_e32 v2, 0x10000, v3
	v_cmp_eq_u32_sdwa s[6:7], v3, v11 src0_sel:WORD_0 src1_sel:DWORD
	v_cndmask_b32_e64 v2, v2, v3, s[6:7]
; %bb.589:                              ;   in Loop: Header=BB367_363 Depth=1
	s_or_b64 exec, exec, s[16:17]
	v_lshrrev_b32_e32 v6, 16, v10
	v_lshrrev_b32_e32 v10, 16, v18
	;; [unrolled: 1-line block ×8, first 2 shown]
	s_and_saveexec_b64 s[16:17], vcc
	s_cbranch_execz .LBB367_591
; %bb.590:                              ;   in Loop: Header=BB367_363 Depth=1
	v_cmp_lt_i32_e64 s[6:7], v38, v32
	v_cndmask_b32_e64 v25, 0, v25, s[6:7]
	v_cmp_lt_i32_e64 s[6:7], v51, v32
	v_cndmask_b32_e64 v23, 0, v23, s[6:7]
	;; [unrolled: 2-line block ×4, first 2 shown]
	v_cmp_lt_i32_e64 s[6:7], v48, v32
	v_accvgpr_read_b32 v19, a13
	v_cndmask_b32_e64 v10, 0, v10, s[6:7]
	v_cmp_lt_i32_e64 s[6:7], v19, v32
	v_accvgpr_read_b32 v19, a12
	v_cndmask_b32_e64 v6, 0, v6, s[6:7]
	v_cmp_lt_i32_e64 s[6:7], v19, v32
	v_cndmask_b32_e64 v3, 0, v3, s[6:7]
	v_cmp_lt_i32_e64 s[6:7], v17, v32
	v_cndmask_b32_e64 v2, 0, v2, s[6:7]
.LBB367_591:                            ;   in Loop: Header=BB367_363 Depth=1
	s_or_b64 exec, exec, s[16:17]
	v_lshlrev_b32_e32 v19, 16, v25
	v_mul_f32_e32 v19, v4, v19
	v_and_b32_e32 v22, 0x7f800000, v19
	v_cmp_ne_u32_e64 s[6:7], s15, v22
                                        ; implicit-def: $vgpr27
	s_and_saveexec_b64 s[16:17], s[6:7]
	s_xor_b64 s[6:7], exec, s[16:17]
; %bb.592:                              ;   in Loop: Header=BB367_363 Depth=1
	v_bfe_u32 v22, v19, 16, 1
	v_add3_u32 v27, v19, v22, s23
                                        ; implicit-def: $vgpr19
; %bb.593:                              ;   in Loop: Header=BB367_363 Depth=1
	s_andn2_saveexec_b64 s[16:17], s[6:7]
; %bb.594:                              ;   in Loop: Header=BB367_363 Depth=1
	v_or_b32_e32 v22, 0x10000, v19
	v_cmp_eq_u32_sdwa s[6:7], v19, v11 src0_sel:WORD_0 src1_sel:DWORD
	v_cndmask_b32_e64 v27, v22, v19, s[6:7]
; %bb.595:                              ;   in Loop: Header=BB367_363 Depth=1
	s_or_b64 exec, exec, s[16:17]
	v_lshlrev_b32_e32 v19, 16, v23
	v_mul_f32_e32 v19, v5, v19
	v_and_b32_e32 v22, 0x7f800000, v19
	v_cmp_ne_u32_e64 s[6:7], s15, v22
                                        ; implicit-def: $vgpr31
	s_and_saveexec_b64 s[16:17], s[6:7]
	s_xor_b64 s[6:7], exec, s[16:17]
; %bb.596:                              ;   in Loop: Header=BB367_363 Depth=1
	v_bfe_u32 v22, v19, 16, 1
	v_add3_u32 v31, v19, v22, s23
                                        ; implicit-def: $vgpr19
; %bb.597:                              ;   in Loop: Header=BB367_363 Depth=1
	s_andn2_saveexec_b64 s[16:17], s[6:7]
; %bb.598:                              ;   in Loop: Header=BB367_363 Depth=1
	v_or_b32_e32 v22, 0x10000, v19
	v_cmp_eq_u32_sdwa s[6:7], v19, v11 src0_sel:WORD_0 src1_sel:DWORD
	v_cndmask_b32_e64 v31, v22, v19, s[6:7]
; %bb.599:                              ;   in Loop: Header=BB367_363 Depth=1
	s_or_b64 exec, exec, s[16:17]
	v_lshlrev_b32_e32 v19, 16, v24
	v_mul_f32_e32 v19, v53, v19
	v_and_b32_e32 v22, 0x7f800000, v19
	v_cmp_ne_u32_e64 s[6:7], s15, v22
                                        ; implicit-def: $vgpr43
	s_and_saveexec_b64 s[16:17], s[6:7]
	s_xor_b64 s[6:7], exec, s[16:17]
; %bb.600:                              ;   in Loop: Header=BB367_363 Depth=1
	v_bfe_u32 v22, v19, 16, 1
	v_add3_u32 v43, v19, v22, s23
                                        ; implicit-def: $vgpr19
; %bb.601:                              ;   in Loop: Header=BB367_363 Depth=1
	s_andn2_saveexec_b64 s[16:17], s[6:7]
; %bb.602:                              ;   in Loop: Header=BB367_363 Depth=1
	v_or_b32_e32 v22, 0x10000, v19
	v_cmp_eq_u32_sdwa s[6:7], v19, v11 src0_sel:WORD_0 src1_sel:DWORD
	v_cndmask_b32_e64 v43, v22, v19, s[6:7]
; %bb.603:                              ;   in Loop: Header=BB367_363 Depth=1
	s_or_b64 exec, exec, s[16:17]
	v_lshlrev_b32_e32 v18, 16, v18
	v_mul_f32_e32 v18, v54, v18
	v_and_b32_e32 v19, 0x7f800000, v18
	v_cmp_ne_u32_e64 s[6:7], s15, v19
                                        ; implicit-def: $vgpr44
	s_and_saveexec_b64 s[16:17], s[6:7]
	s_xor_b64 s[6:7], exec, s[16:17]
; %bb.604:                              ;   in Loop: Header=BB367_363 Depth=1
	v_bfe_u32 v19, v18, 16, 1
	v_add3_u32 v44, v18, v19, s23
                                        ; implicit-def: $vgpr18
; %bb.605:                              ;   in Loop: Header=BB367_363 Depth=1
	s_andn2_saveexec_b64 s[16:17], s[6:7]
; %bb.606:                              ;   in Loop: Header=BB367_363 Depth=1
	v_or_b32_e32 v19, 0x10000, v18
	v_cmp_eq_u32_sdwa s[6:7], v18, v11 src0_sel:WORD_0 src1_sel:DWORD
	v_cndmask_b32_e64 v44, v19, v18, s[6:7]
; %bb.607:                              ;   in Loop: Header=BB367_363 Depth=1
	s_or_b64 exec, exec, s[16:17]
	v_lshlrev_b32_e32 v10, 16, v10
	v_mul_f32_e32 v10, v55, v10
	v_and_b32_e32 v18, 0x7f800000, v10
	v_cmp_ne_u32_e64 s[6:7], s15, v18
                                        ; implicit-def: $vgpr45
	s_and_saveexec_b64 s[16:17], s[6:7]
	s_xor_b64 s[6:7], exec, s[16:17]
; %bb.608:                              ;   in Loop: Header=BB367_363 Depth=1
	v_bfe_u32 v18, v10, 16, 1
	v_add3_u32 v45, v10, v18, s23
                                        ; implicit-def: $vgpr10
; %bb.609:                              ;   in Loop: Header=BB367_363 Depth=1
	s_andn2_saveexec_b64 s[16:17], s[6:7]
; %bb.610:                              ;   in Loop: Header=BB367_363 Depth=1
	v_or_b32_e32 v18, 0x10000, v10
	v_cmp_eq_u32_sdwa s[6:7], v10, v11 src0_sel:WORD_0 src1_sel:DWORD
	v_cndmask_b32_e64 v45, v18, v10, s[6:7]
; %bb.611:                              ;   in Loop: Header=BB367_363 Depth=1
	s_or_b64 exec, exec, s[16:17]
	v_lshlrev_b32_e32 v6, 16, v6
	v_mul_f32_e32 v6, v40, v6
	v_and_b32_e32 v10, 0x7f800000, v6
	v_cmp_ne_u32_e64 s[6:7], s15, v10
                                        ; implicit-def: $vgpr46
	s_and_saveexec_b64 s[16:17], s[6:7]
	s_xor_b64 s[6:7], exec, s[16:17]
; %bb.612:                              ;   in Loop: Header=BB367_363 Depth=1
	v_bfe_u32 v10, v6, 16, 1
	v_add3_u32 v46, v6, v10, s23
                                        ; implicit-def: $vgpr6
; %bb.613:                              ;   in Loop: Header=BB367_363 Depth=1
	s_andn2_saveexec_b64 s[16:17], s[6:7]
; %bb.614:                              ;   in Loop: Header=BB367_363 Depth=1
	v_or_b32_e32 v10, 0x10000, v6
	v_cmp_eq_u32_sdwa s[6:7], v6, v11 src0_sel:WORD_0 src1_sel:DWORD
	v_cndmask_b32_e64 v46, v10, v6, s[6:7]
; %bb.615:                              ;   in Loop: Header=BB367_363 Depth=1
	s_or_b64 exec, exec, s[16:17]
	v_lshlrev_b32_e32 v3, 16, v3
	v_mul_f32_e32 v3, v41, v3
	v_and_b32_e32 v6, 0x7f800000, v3
	v_cmp_ne_u32_e64 s[6:7], s15, v6
                                        ; implicit-def: $vgpr47
	s_and_saveexec_b64 s[16:17], s[6:7]
	s_xor_b64 s[6:7], exec, s[16:17]
; %bb.616:                              ;   in Loop: Header=BB367_363 Depth=1
	v_bfe_u32 v6, v3, 16, 1
	v_add3_u32 v47, v3, v6, s23
                                        ; implicit-def: $vgpr3
; %bb.617:                              ;   in Loop: Header=BB367_363 Depth=1
	s_andn2_saveexec_b64 s[16:17], s[6:7]
; %bb.618:                              ;   in Loop: Header=BB367_363 Depth=1
	v_or_b32_e32 v6, 0x10000, v3
	v_cmp_eq_u32_sdwa s[6:7], v3, v11 src0_sel:WORD_0 src1_sel:DWORD
	v_cndmask_b32_e64 v47, v6, v3, s[6:7]
; %bb.619:                              ;   in Loop: Header=BB367_363 Depth=1
	s_or_b64 exec, exec, s[16:17]
	v_lshlrev_b32_e32 v2, 16, v2
	v_mul_f32_e32 v2, v42, v2
	v_and_b32_e32 v3, 0x7f800000, v2
	v_cmp_ne_u32_e64 s[6:7], s15, v3
                                        ; implicit-def: $vgpr56
	s_and_saveexec_b64 s[16:17], s[6:7]
	s_xor_b64 s[6:7], exec, s[16:17]
; %bb.620:                              ;   in Loop: Header=BB367_363 Depth=1
	v_bfe_u32 v3, v2, 16, 1
	v_add3_u32 v56, v2, v3, s23
                                        ; implicit-def: $vgpr2
; %bb.621:                              ;   in Loop: Header=BB367_363 Depth=1
	s_andn2_saveexec_b64 s[16:17], s[6:7]
; %bb.622:                              ;   in Loop: Header=BB367_363 Depth=1
	v_or_b32_e32 v3, 0x10000, v2
	v_cmp_eq_u32_sdwa s[6:7], v2, v11 src0_sel:WORD_0 src1_sel:DWORD
	v_cndmask_b32_e64 v56, v3, v2, s[6:7]
; %bb.623:                              ;   in Loop: Header=BB367_363 Depth=1
	s_or_b64 exec, exec, s[16:17]
	flat_load_dwordx2 v[2:3], v[0:1] offset:1024
	v_mov_b32_e32 v6, 0
	s_waitcnt vmcnt(0) lgkmcnt(0)
	v_cmp_ne_u16_sdwa s[6:7], v2, v11 src0_sel:BYTE_0 src1_sel:DWORD
	s_and_saveexec_b64 s[16:17], s[6:7]
	s_cbranch_execz .LBB367_629
; %bb.624:                              ;   in Loop: Header=BB367_363 Depth=1
	v_cmp_ne_u16_sdwa s[6:7], v2, s30 src0_sel:BYTE_0 src1_sel:DWORD
	v_bfrev_b32_e32 v6, 1
	s_and_saveexec_b64 s[26:27], s[6:7]
	s_cbranch_execz .LBB367_628
; %bb.625:                              ;   in Loop: Header=BB367_363 Depth=1
	v_and_b32_e32 v10, 0x7f, v2
	v_cmp_ne_u32_e64 s[6:7], s31, v10
	v_mov_b32_e32 v6, 0x7f800001
	s_and_saveexec_b64 s[28:29], s[6:7]
	s_cbranch_execz .LBB367_627
; %bb.626:                              ;   in Loop: Header=BB367_363 Depth=1
	v_and_b32_e32 v6, 7, v2
	v_ffbh_u32_e32 v6, v6
	v_min_u32_e32 v6, 32, v6
	v_subrev_u32_e32 v19, 28, v6
	v_cmp_gt_u32_e64 s[6:7], 8, v10
	v_lshrrev_b32_e32 v18, 3, v10
	v_sub_u32_e32 v6, 29, v6
	v_cndmask_b32_e64 v10, 0, v19, s[6:7]
	v_cndmask_b32_e64 v6, v18, v6, s[6:7]
	v_lshlrev_b64 v[18:19], v10, v[2:3]
	v_lshlrev_b32_e32 v10, 20, v18
	v_lshlrev_b32_e32 v18, 24, v2
	v_and_b32_e32 v10, 0x700000, v10
	v_and_b32_e32 v18, 0x80000000, v18
	v_lshl_add_u32 v6, v6, 23, v39
	v_or3_b32 v6, v18, v6, v10
.LBB367_627:                            ;   in Loop: Header=BB367_363 Depth=1
	s_or_b64 exec, exec, s[28:29]
.LBB367_628:                            ;   in Loop: Header=BB367_363 Depth=1
	s_or_b64 exec, exec, s[26:27]
.LBB367_629:                            ;   in Loop: Header=BB367_363 Depth=1
	s_or_b64 exec, exec, s[16:17]
	v_mul_f32_e32 v6, v26, v6
	v_and_b32_e32 v10, 0x7f800000, v6
	v_cmp_ne_u32_e64 s[6:7], s15, v10
                                        ; implicit-def: $vgpr57
	s_and_saveexec_b64 s[16:17], s[6:7]
	s_xor_b64 s[6:7], exec, s[16:17]
; %bb.630:                              ;   in Loop: Header=BB367_363 Depth=1
	v_bfe_u32 v10, v6, 16, 1
	v_add3_u32 v57, v6, v10, s23
                                        ; implicit-def: $vgpr6
; %bb.631:                              ;   in Loop: Header=BB367_363 Depth=1
	s_andn2_saveexec_b64 s[16:17], s[6:7]
; %bb.632:                              ;   in Loop: Header=BB367_363 Depth=1
	v_or_b32_e32 v10, 0x10000, v6
	v_cmp_eq_u32_sdwa s[6:7], v6, v11 src0_sel:WORD_0 src1_sel:DWORD
	v_cndmask_b32_e64 v57, v10, v6, s[6:7]
; %bb.633:                              ;   in Loop: Header=BB367_363 Depth=1
	s_or_b64 exec, exec, s[16:17]
	v_lshrrev_b16_e32 v6, 8, v2
	v_cmp_ne_u16_e64 s[6:7], 0, v6
	v_mov_b32_e32 v10, 0
	s_and_saveexec_b64 s[16:17], s[6:7]
	s_cbranch_execz .LBB367_639
; %bb.634:                              ;   in Loop: Header=BB367_363 Depth=1
	v_cmp_ne_u16_e64 s[6:7], s30, v6
	v_bfrev_b32_e32 v10, 1
	s_and_saveexec_b64 s[26:27], s[6:7]
	s_cbranch_execz .LBB367_638
; %bb.635:                              ;   in Loop: Header=BB367_363 Depth=1
	v_and_b32_e32 v18, 0x7f, v6
	v_cmp_ne_u32_e64 s[6:7], s31, v18
	v_mov_b32_e32 v10, 0x7f800001
	s_and_saveexec_b64 s[28:29], s[6:7]
	s_cbranch_execz .LBB367_637
; %bb.636:                              ;   in Loop: Header=BB367_363 Depth=1
	v_and_b32_e32 v10, 7, v6
	v_ffbh_u32_e32 v22, v10
	v_min_u32_e32 v22, 32, v22
	v_subrev_u32_e32 v23, 28, v22
	v_lshlrev_b64 v[24:25], v23, v[6:7]
	v_lshrrev_b32_e32 v19, 3, v18
	v_sub_u32_e32 v6, 29, v22
	v_and_b32_e32 v22, 7, v24
	v_cmp_gt_u32_e64 s[6:7], 8, v18
	v_cndmask_b32_e64 v6, v19, v6, s[6:7]
	v_cndmask_b32_e64 v10, v10, v22, s[6:7]
	v_lshlrev_b32_e32 v18, 16, v2
	v_lshlrev_b32_e32 v10, 20, v10
	v_and_b32_e32 v18, 0x80000000, v18
	v_lshl_add_u32 v6, v6, 23, v39
	v_or3_b32 v10, v18, v6, v10
.LBB367_637:                            ;   in Loop: Header=BB367_363 Depth=1
	s_or_b64 exec, exec, s[28:29]
.LBB367_638:                            ;   in Loop: Header=BB367_363 Depth=1
	s_or_b64 exec, exec, s[26:27]
.LBB367_639:                            ;   in Loop: Header=BB367_363 Depth=1
	s_or_b64 exec, exec, s[16:17]
	v_mul_f32_e32 v6, v26, v10
	v_and_b32_e32 v10, 0x7f800000, v6
	v_cmp_ne_u32_e64 s[6:7], s15, v10
                                        ; implicit-def: $vgpr25
	s_and_saveexec_b64 s[16:17], s[6:7]
	s_xor_b64 s[6:7], exec, s[16:17]
; %bb.640:                              ;   in Loop: Header=BB367_363 Depth=1
	v_bfe_u32 v10, v6, 16, 1
	v_add3_u32 v25, v6, v10, s23
                                        ; implicit-def: $vgpr6
; %bb.641:                              ;   in Loop: Header=BB367_363 Depth=1
	s_andn2_saveexec_b64 s[16:17], s[6:7]
; %bb.642:                              ;   in Loop: Header=BB367_363 Depth=1
	v_or_b32_e32 v10, 0x10000, v6
	v_cmp_eq_u32_sdwa s[6:7], v6, v11 src0_sel:WORD_0 src1_sel:DWORD
	v_cndmask_b32_e64 v25, v10, v6, s[6:7]
; %bb.643:                              ;   in Loop: Header=BB367_363 Depth=1
	s_or_b64 exec, exec, s[16:17]
	v_lshrrev_b32_e32 v6, 16, v2
	v_cmp_ne_u16_sdwa s[6:7], v6, v11 src0_sel:BYTE_0 src1_sel:DWORD
	v_mov_b32_e32 v10, 0
	s_and_saveexec_b64 s[16:17], s[6:7]
	s_cbranch_execz .LBB367_649
; %bb.644:                              ;   in Loop: Header=BB367_363 Depth=1
	v_cmp_ne_u16_sdwa s[6:7], v6, s30 src0_sel:BYTE_0 src1_sel:DWORD
	v_bfrev_b32_e32 v10, 1
	s_and_saveexec_b64 s[26:27], s[6:7]
	s_cbranch_execz .LBB367_648
; %bb.645:                              ;   in Loop: Header=BB367_363 Depth=1
	v_bfe_u32 v18, v2, 16, 7
	v_cmp_ne_u32_e64 s[6:7], s31, v18
	v_mov_b32_e32 v10, 0x7f800001
	s_and_saveexec_b64 s[28:29], s[6:7]
	s_cbranch_execz .LBB367_647
; %bb.646:                              ;   in Loop: Header=BB367_363 Depth=1
	v_and_b32_e32 v10, 7, v6
	v_ffbh_u32_e32 v22, v10
	v_min_u32_e32 v22, 32, v22
	v_subrev_u32_e32 v23, 28, v22
	v_lshlrev_b64 v[58:59], v23, v[6:7]
	v_lshrrev_b32_e32 v19, 3, v18
	v_sub_u32_e32 v22, 29, v22
	v_and_b32_e32 v23, 7, v58
	v_cmp_gt_u32_e64 s[6:7], 8, v18
	v_cndmask_b32_e64 v18, v19, v22, s[6:7]
	v_cndmask_b32_e64 v10, v10, v23, s[6:7]
	v_lshlrev_b32_e32 v6, 24, v6
	v_lshlrev_b32_e32 v10, 20, v10
	v_and_b32_e32 v6, 0x80000000, v6
	v_lshl_add_u32 v18, v18, 23, v39
	v_or3_b32 v10, v6, v18, v10
.LBB367_647:                            ;   in Loop: Header=BB367_363 Depth=1
	s_or_b64 exec, exec, s[28:29]
.LBB367_648:                            ;   in Loop: Header=BB367_363 Depth=1
	s_or_b64 exec, exec, s[26:27]
.LBB367_649:                            ;   in Loop: Header=BB367_363 Depth=1
	s_or_b64 exec, exec, s[16:17]
	v_mul_f32_e32 v6, v26, v10
	v_and_b32_e32 v10, 0x7f800000, v6
	v_cmp_ne_u32_e64 s[6:7], s15, v10
                                        ; implicit-def: $vgpr23
	s_and_saveexec_b64 s[16:17], s[6:7]
	s_xor_b64 s[6:7], exec, s[16:17]
; %bb.650:                              ;   in Loop: Header=BB367_363 Depth=1
	v_bfe_u32 v10, v6, 16, 1
	v_add3_u32 v23, v6, v10, s23
                                        ; implicit-def: $vgpr6
; %bb.651:                              ;   in Loop: Header=BB367_363 Depth=1
	s_andn2_saveexec_b64 s[16:17], s[6:7]
; %bb.652:                              ;   in Loop: Header=BB367_363 Depth=1
	v_or_b32_e32 v10, 0x10000, v6
	v_cmp_eq_u32_sdwa s[6:7], v6, v11 src0_sel:WORD_0 src1_sel:DWORD
	v_cndmask_b32_e64 v23, v10, v6, s[6:7]
; %bb.653:                              ;   in Loop: Header=BB367_363 Depth=1
	s_or_b64 exec, exec, s[16:17]
	v_cmp_lt_u32_e64 s[6:7], s11, v2
	v_mov_b32_e32 v10, 0
	s_and_saveexec_b64 s[16:17], s[6:7]
	s_cbranch_execz .LBB367_659
; %bb.654:                              ;   in Loop: Header=BB367_363 Depth=1
	v_lshrrev_b32_e32 v6, 24, v2
	v_cmp_ne_u32_e64 s[6:7], s30, v6
	v_bfrev_b32_e32 v10, 1
	s_and_saveexec_b64 s[26:27], s[6:7]
	s_cbranch_execz .LBB367_658
; %bb.655:                              ;   in Loop: Header=BB367_363 Depth=1
	v_bfe_u32 v18, v2, 24, 7
	v_cmp_ne_u32_e64 s[6:7], s31, v18
	v_mov_b32_e32 v10, 0x7f800001
	s_and_saveexec_b64 s[28:29], s[6:7]
	s_cbranch_execz .LBB367_657
; %bb.656:                              ;   in Loop: Header=BB367_363 Depth=1
	v_and_b32_e32 v10, 7, v6
	v_ffbh_u32_e32 v22, v10
	v_min_u32_e32 v22, 32, v22
	v_subrev_u32_e32 v24, 28, v22
	v_lshlrev_b64 v[58:59], v24, v[6:7]
	v_lshrrev_b32_e32 v19, 3, v18
	v_sub_u32_e32 v22, 29, v22
	v_and_b32_e32 v24, 7, v58
	v_cmp_gt_u32_e64 s[6:7], 8, v18
	v_cndmask_b32_e64 v18, v19, v22, s[6:7]
	v_cndmask_b32_e64 v10, v10, v24, s[6:7]
	v_lshlrev_b32_e32 v6, 24, v6
	v_lshlrev_b32_e32 v10, 20, v10
	v_and_b32_e32 v6, 0x80000000, v6
	v_lshl_add_u32 v18, v18, 23, v39
	v_or3_b32 v10, v6, v18, v10
.LBB367_657:                            ;   in Loop: Header=BB367_363 Depth=1
	s_or_b64 exec, exec, s[28:29]
.LBB367_658:                            ;   in Loop: Header=BB367_363 Depth=1
	s_or_b64 exec, exec, s[26:27]
.LBB367_659:                            ;   in Loop: Header=BB367_363 Depth=1
	s_or_b64 exec, exec, s[16:17]
	v_mul_f32_e32 v6, v26, v10
	v_and_b32_e32 v10, 0x7f800000, v6
	v_cmp_ne_u32_e64 s[6:7], s15, v10
                                        ; implicit-def: $vgpr24
	s_and_saveexec_b64 s[16:17], s[6:7]
	s_xor_b64 s[6:7], exec, s[16:17]
; %bb.660:                              ;   in Loop: Header=BB367_363 Depth=1
	v_bfe_u32 v10, v6, 16, 1
	v_add3_u32 v24, v6, v10, s23
                                        ; implicit-def: $vgpr6
; %bb.661:                              ;   in Loop: Header=BB367_363 Depth=1
	s_andn2_saveexec_b64 s[16:17], s[6:7]
; %bb.662:                              ;   in Loop: Header=BB367_363 Depth=1
	v_or_b32_e32 v10, 0x10000, v6
	v_cmp_eq_u32_sdwa s[6:7], v6, v11 src0_sel:WORD_0 src1_sel:DWORD
	v_cndmask_b32_e64 v24, v10, v6, s[6:7]
; %bb.663:                              ;   in Loop: Header=BB367_363 Depth=1
	s_or_b64 exec, exec, s[16:17]
	v_mov_b32_e32 v10, v3
	v_cmp_ne_u16_sdwa s[6:7], v3, v11 src0_sel:BYTE_0 src1_sel:DWORD
	v_mov_b32_e32 v6, 0
	s_and_saveexec_b64 s[16:17], s[6:7]
	s_cbranch_execz .LBB367_669
; %bb.664:                              ;   in Loop: Header=BB367_363 Depth=1
	v_cmp_ne_u16_sdwa s[6:7], v3, s30 src0_sel:BYTE_0 src1_sel:DWORD
	v_bfrev_b32_e32 v6, 1
	s_and_saveexec_b64 s[26:27], s[6:7]
	s_cbranch_execz .LBB367_668
; %bb.665:                              ;   in Loop: Header=BB367_363 Depth=1
	v_and_b32_e32 v18, 0x7f, v3
	v_cmp_ne_u32_e64 s[6:7], s31, v18
	v_mov_b32_e32 v6, 0x7f800001
	s_and_saveexec_b64 s[28:29], s[6:7]
	s_cbranch_execz .LBB367_667
; %bb.666:                              ;   in Loop: Header=BB367_363 Depth=1
	v_and_b32_e32 v6, 7, v3
	v_ffbh_u32_e32 v6, v6
	v_min_u32_e32 v6, 32, v6
	v_subrev_u32_e32 v22, 28, v6
	v_cmp_gt_u32_e64 s[6:7], 8, v18
	v_lshrrev_b32_e32 v19, 3, v18
	v_sub_u32_e32 v6, 29, v6
	v_cndmask_b32_e64 v18, 0, v22, s[6:7]
	v_cndmask_b32_e64 v6, v19, v6, s[6:7]
	v_lshlrev_b64 v[18:19], v18, v[10:11]
	v_lshlrev_b32_e32 v18, 20, v18
	v_lshlrev_b32_e32 v19, 24, v10
	v_and_b32_e32 v18, 0x700000, v18
	v_and_b32_e32 v19, 0x80000000, v19
	v_lshl_add_u32 v6, v6, 23, v39
	v_or3_b32 v6, v19, v6, v18
.LBB367_667:                            ;   in Loop: Header=BB367_363 Depth=1
	s_or_b64 exec, exec, s[28:29]
.LBB367_668:                            ;   in Loop: Header=BB367_363 Depth=1
	s_or_b64 exec, exec, s[26:27]
.LBB367_669:                            ;   in Loop: Header=BB367_363 Depth=1
	s_or_b64 exec, exec, s[16:17]
	v_mul_f32_e32 v6, v26, v6
	v_and_b32_e32 v18, 0x7f800000, v6
	v_cmp_ne_u32_e64 s[6:7], s15, v18
                                        ; implicit-def: $vgpr29
	s_and_saveexec_b64 s[16:17], s[6:7]
	s_xor_b64 s[6:7], exec, s[16:17]
; %bb.670:                              ;   in Loop: Header=BB367_363 Depth=1
	v_bfe_u32 v18, v6, 16, 1
	v_add3_u32 v29, v6, v18, s23
                                        ; implicit-def: $vgpr6
; %bb.671:                              ;   in Loop: Header=BB367_363 Depth=1
	s_andn2_saveexec_b64 s[16:17], s[6:7]
; %bb.672:                              ;   in Loop: Header=BB367_363 Depth=1
	v_or_b32_e32 v18, 0x10000, v6
	v_cmp_eq_u32_sdwa s[6:7], v6, v11 src0_sel:WORD_0 src1_sel:DWORD
	v_cndmask_b32_e64 v29, v18, v6, s[6:7]
; %bb.673:                              ;   in Loop: Header=BB367_363 Depth=1
	s_or_b64 exec, exec, s[16:17]
	v_lshrrev_b16_e32 v6, 8, v10
	v_cmp_ne_u16_e64 s[6:7], 0, v6
	v_mov_b32_e32 v18, 0
	s_and_saveexec_b64 s[16:17], s[6:7]
	s_cbranch_execz .LBB367_679
; %bb.674:                              ;   in Loop: Header=BB367_363 Depth=1
	v_cmp_ne_u16_e64 s[6:7], s30, v6
	v_bfrev_b32_e32 v18, 1
	s_and_saveexec_b64 s[26:27], s[6:7]
	s_cbranch_execz .LBB367_678
; %bb.675:                              ;   in Loop: Header=BB367_363 Depth=1
	v_and_b32_e32 v19, 0x7f, v6
	v_cmp_ne_u32_e64 s[6:7], s31, v19
	v_mov_b32_e32 v18, 0x7f800001
	s_and_saveexec_b64 s[28:29], s[6:7]
	s_cbranch_execz .LBB367_677
; %bb.676:                              ;   in Loop: Header=BB367_363 Depth=1
	v_and_b32_e32 v18, 7, v6
	v_ffbh_u32_e32 v30, v18
	v_min_u32_e32 v30, 32, v30
	v_subrev_u32_e32 v38, 28, v30
	v_lshlrev_b64 v[58:59], v38, v[6:7]
	v_lshrrev_b32_e32 v22, 3, v19
	v_sub_u32_e32 v6, 29, v30
	v_and_b32_e32 v30, 7, v58
	v_cmp_gt_u32_e64 s[6:7], 8, v19
	v_cndmask_b32_e64 v6, v22, v6, s[6:7]
	v_cndmask_b32_e64 v18, v18, v30, s[6:7]
	v_lshlrev_b32_e32 v10, 16, v10
	v_lshlrev_b32_e32 v18, 20, v18
	v_and_b32_e32 v10, 0x80000000, v10
	v_lshl_add_u32 v6, v6, 23, v39
	v_accvgpr_read_b32 v38, a9
	v_or3_b32 v18, v10, v6, v18
.LBB367_677:                            ;   in Loop: Header=BB367_363 Depth=1
	s_or_b64 exec, exec, s[28:29]
.LBB367_678:                            ;   in Loop: Header=BB367_363 Depth=1
	s_or_b64 exec, exec, s[26:27]
.LBB367_679:                            ;   in Loop: Header=BB367_363 Depth=1
	s_or_b64 exec, exec, s[16:17]
	v_mul_f32_e32 v6, v26, v18
	v_and_b32_e32 v10, 0x7f800000, v6
	v_cmp_ne_u32_e64 s[6:7], s15, v10
                                        ; implicit-def: $vgpr10
	s_and_saveexec_b64 s[16:17], s[6:7]
	s_xor_b64 s[6:7], exec, s[16:17]
; %bb.680:                              ;   in Loop: Header=BB367_363 Depth=1
	v_bfe_u32 v10, v6, 16, 1
	v_add3_u32 v10, v6, v10, s23
                                        ; implicit-def: $vgpr6
; %bb.681:                              ;   in Loop: Header=BB367_363 Depth=1
	s_andn2_saveexec_b64 s[16:17], s[6:7]
; %bb.682:                              ;   in Loop: Header=BB367_363 Depth=1
	v_or_b32_e32 v10, 0x10000, v6
	v_cmp_eq_u32_sdwa s[6:7], v6, v11 src0_sel:WORD_0 src1_sel:DWORD
	v_cndmask_b32_e64 v10, v10, v6, s[6:7]
; %bb.683:                              ;   in Loop: Header=BB367_363 Depth=1
	s_or_b64 exec, exec, s[16:17]
	v_lshrrev_b32_e32 v6, 16, v3
	v_cmp_ne_u16_sdwa s[6:7], v6, v11 src0_sel:BYTE_0 src1_sel:DWORD
	v_mov_b32_e32 v18, 0
	s_and_saveexec_b64 s[16:17], s[6:7]
	s_cbranch_execz .LBB367_689
; %bb.684:                              ;   in Loop: Header=BB367_363 Depth=1
	v_cmp_ne_u16_sdwa s[6:7], v6, s30 src0_sel:BYTE_0 src1_sel:DWORD
	v_bfrev_b32_e32 v18, 1
	s_and_saveexec_b64 s[26:27], s[6:7]
	s_cbranch_execz .LBB367_688
; %bb.685:                              ;   in Loop: Header=BB367_363 Depth=1
	v_bfe_u32 v19, v3, 16, 7
	v_cmp_ne_u32_e64 s[6:7], s31, v19
	v_mov_b32_e32 v18, 0x7f800001
	s_and_saveexec_b64 s[28:29], s[6:7]
	s_cbranch_execz .LBB367_687
; %bb.686:                              ;   in Loop: Header=BB367_363 Depth=1
	v_and_b32_e32 v18, 7, v6
	v_ffbh_u32_e32 v30, v18
	v_min_u32_e32 v30, 32, v30
	v_subrev_u32_e32 v38, 28, v30
	v_lshlrev_b64 v[58:59], v38, v[6:7]
	v_lshrrev_b32_e32 v22, 3, v19
	v_sub_u32_e32 v30, 29, v30
	v_and_b32_e32 v38, 7, v58
	v_cmp_gt_u32_e64 s[6:7], 8, v19
	v_cndmask_b32_e64 v19, v22, v30, s[6:7]
	v_cndmask_b32_e64 v18, v18, v38, s[6:7]
	v_lshlrev_b32_e32 v6, 24, v6
	v_lshlrev_b32_e32 v18, 20, v18
	v_and_b32_e32 v6, 0x80000000, v6
	v_lshl_add_u32 v19, v19, 23, v39
	v_accvgpr_read_b32 v38, a9
	v_or3_b32 v18, v6, v19, v18
.LBB367_687:                            ;   in Loop: Header=BB367_363 Depth=1
	s_or_b64 exec, exec, s[28:29]
.LBB367_688:                            ;   in Loop: Header=BB367_363 Depth=1
	s_or_b64 exec, exec, s[26:27]
.LBB367_689:                            ;   in Loop: Header=BB367_363 Depth=1
	s_or_b64 exec, exec, s[16:17]
	v_mul_f32_e32 v18, v26, v18
	v_and_b32_e32 v6, 0x7f800000, v18
	v_cmp_ne_u32_e64 s[6:7], s15, v6
                                        ; implicit-def: $vgpr6
	s_and_saveexec_b64 s[16:17], s[6:7]
	s_xor_b64 s[6:7], exec, s[16:17]
; %bb.690:                              ;   in Loop: Header=BB367_363 Depth=1
	v_bfe_u32 v6, v18, 16, 1
	v_add3_u32 v6, v18, v6, s23
                                        ; implicit-def: $vgpr18
; %bb.691:                              ;   in Loop: Header=BB367_363 Depth=1
	s_andn2_saveexec_b64 s[16:17], s[6:7]
; %bb.692:                              ;   in Loop: Header=BB367_363 Depth=1
	v_or_b32_e32 v6, 0x10000, v18
	v_cmp_eq_u32_sdwa s[6:7], v18, v11 src0_sel:WORD_0 src1_sel:DWORD
	v_cndmask_b32_e64 v6, v6, v18, s[6:7]
; %bb.693:                              ;   in Loop: Header=BB367_363 Depth=1
	s_or_b64 exec, exec, s[16:17]
	v_cmp_lt_u64_e64 s[6:7], s[10:11], v[2:3]
	v_mov_b32_e32 v18, 0
	s_and_saveexec_b64 s[16:17], s[6:7]
	s_cbranch_execz .LBB367_699
; %bb.694:                              ;   in Loop: Header=BB367_363 Depth=1
	v_lshrrev_b32_e32 v2, 24, v3
	v_cmp_ne_u32_e64 s[6:7], s30, v2
	v_bfrev_b32_e32 v18, 1
	s_and_saveexec_b64 s[26:27], s[6:7]
	s_cbranch_execz .LBB367_698
; %bb.695:                              ;   in Loop: Header=BB367_363 Depth=1
	v_bfe_u32 v3, v3, 24, 7
	v_cmp_ne_u32_e64 s[6:7], s31, v3
	v_mov_b32_e32 v18, 0x7f800001
	s_and_saveexec_b64 s[28:29], s[6:7]
	s_cbranch_execz .LBB367_697
; %bb.696:                              ;   in Loop: Header=BB367_363 Depth=1
	v_and_b32_e32 v22, 7, v2
	v_ffbh_u32_e32 v18, v22
	v_min_u32_e32 v38, 32, v18
	v_subrev_u32_e32 v18, 28, v38
	v_lshlrev_b64 v[18:19], v18, v[2:3]
	v_lshrrev_b32_e32 v30, 3, v3
	v_sub_u32_e32 v19, 29, v38
	v_and_b32_e32 v18, 7, v18
	v_cmp_gt_u32_e64 s[6:7], 8, v3
	v_cndmask_b32_e64 v3, v30, v19, s[6:7]
	v_cndmask_b32_e64 v18, v22, v18, s[6:7]
	v_lshlrev_b32_e32 v2, 24, v2
	v_lshlrev_b32_e32 v18, 20, v18
	v_and_b32_e32 v2, 0x80000000, v2
	v_lshl_add_u32 v3, v3, 23, v39
	v_accvgpr_read_b32 v38, a9
	v_or3_b32 v18, v2, v3, v18
.LBB367_697:                            ;   in Loop: Header=BB367_363 Depth=1
	s_or_b64 exec, exec, s[28:29]
.LBB367_698:                            ;   in Loop: Header=BB367_363 Depth=1
	s_or_b64 exec, exec, s[26:27]
.LBB367_699:                            ;   in Loop: Header=BB367_363 Depth=1
	s_or_b64 exec, exec, s[16:17]
	v_mul_f32_e32 v3, v26, v18
	v_and_b32_e32 v2, 0x7f800000, v3
	v_cmp_ne_u32_e64 s[6:7], s15, v2
                                        ; implicit-def: $vgpr2
	s_and_saveexec_b64 s[16:17], s[6:7]
	s_xor_b64 s[6:7], exec, s[16:17]
; %bb.700:                              ;   in Loop: Header=BB367_363 Depth=1
	v_bfe_u32 v2, v3, 16, 1
	v_add3_u32 v2, v3, v2, s23
                                        ; implicit-def: $vgpr3
; %bb.701:                              ;   in Loop: Header=BB367_363 Depth=1
	s_andn2_saveexec_b64 s[16:17], s[6:7]
; %bb.702:                              ;   in Loop: Header=BB367_363 Depth=1
	v_or_b32_e32 v2, 0x10000, v3
	v_cmp_eq_u32_sdwa s[6:7], v3, v11 src0_sel:WORD_0 src1_sel:DWORD
	v_cndmask_b32_e64 v2, v2, v3, s[6:7]
; %bb.703:                              ;   in Loop: Header=BB367_363 Depth=1
	s_or_b64 exec, exec, s[16:17]
	v_lshrrev_b32_e32 v18, 16, v10
	v_lshrrev_b32_e32 v19, 16, v29
	;; [unrolled: 1-line block ×8, first 2 shown]
	s_and_saveexec_b64 s[16:17], vcc
	s_cbranch_execz .LBB367_705
; %bb.704:                              ;   in Loop: Header=BB367_363 Depth=1
	v_cmp_lt_i32_e64 s[6:7], v38, v32
	v_cndmask_b32_e64 v3, 0, v3, s[6:7]
	v_cmp_lt_i32_e64 s[6:7], v51, v32
	v_cndmask_b32_e64 v25, 0, v25, s[6:7]
	;; [unrolled: 2-line block ×4, first 2 shown]
	v_cmp_lt_i32_e64 s[6:7], v48, v32
	v_accvgpr_read_b32 v6, a13
	v_cndmask_b32_e64 v19, 0, v19, s[6:7]
	v_cmp_lt_i32_e64 s[6:7], v6, v32
	v_accvgpr_read_b32 v6, a12
	v_cndmask_b32_e64 v18, 0, v18, s[6:7]
	v_cmp_lt_i32_e64 s[6:7], v6, v32
	v_cndmask_b32_e64 v10, 0, v10, s[6:7]
	v_cmp_lt_i32_e64 s[6:7], v17, v32
	v_cndmask_b32_e64 v2, 0, v2, s[6:7]
.LBB367_705:                            ;   in Loop: Header=BB367_363 Depth=1
	s_or_b64 exec, exec, s[16:17]
	v_lshlrev_b32_e32 v3, 16, v3
	v_mul_f32_e32 v6, v4, v3
	v_and_b32_e32 v3, 0x7f800000, v6
	v_cmp_ne_u32_e64 s[6:7], s15, v3
                                        ; implicit-def: $vgpr3
	s_and_saveexec_b64 s[16:17], s[6:7]
	s_xor_b64 s[6:7], exec, s[16:17]
; %bb.706:                              ;   in Loop: Header=BB367_363 Depth=1
	v_bfe_u32 v3, v6, 16, 1
	v_add3_u32 v3, v6, v3, s23
                                        ; implicit-def: $vgpr6
; %bb.707:                              ;   in Loop: Header=BB367_363 Depth=1
	s_andn2_saveexec_b64 s[16:17], s[6:7]
; %bb.708:                              ;   in Loop: Header=BB367_363 Depth=1
	v_or_b32_e32 v3, 0x10000, v6
	v_cmp_eq_u32_sdwa s[6:7], v6, v11 src0_sel:WORD_0 src1_sel:DWORD
	v_cndmask_b32_e64 v3, v3, v6, s[6:7]
; %bb.709:                              ;   in Loop: Header=BB367_363 Depth=1
	s_or_b64 exec, exec, s[16:17]
	v_lshlrev_b32_e32 v6, 16, v25
	v_mul_f32_e32 v25, v5, v6
	v_and_b32_e32 v6, 0x7f800000, v25
	v_cmp_ne_u32_e64 s[6:7], s15, v6
                                        ; implicit-def: $vgpr6
	s_and_saveexec_b64 s[16:17], s[6:7]
	s_xor_b64 s[6:7], exec, s[16:17]
; %bb.710:                              ;   in Loop: Header=BB367_363 Depth=1
	v_bfe_u32 v6, v25, 16, 1
	v_add3_u32 v6, v25, v6, s23
                                        ; implicit-def: $vgpr25
; %bb.711:                              ;   in Loop: Header=BB367_363 Depth=1
	s_andn2_saveexec_b64 s[16:17], s[6:7]
; %bb.712:                              ;   in Loop: Header=BB367_363 Depth=1
	v_or_b32_e32 v6, 0x10000, v25
	v_cmp_eq_u32_sdwa s[6:7], v25, v11 src0_sel:WORD_0 src1_sel:DWORD
	v_cndmask_b32_e64 v6, v6, v25, s[6:7]
; %bb.713:                              ;   in Loop: Header=BB367_363 Depth=1
	s_or_b64 exec, exec, s[16:17]
	v_lshlrev_b32_e32 v22, 16, v23
	v_mul_f32_e32 v23, v53, v22
	v_and_b32_e32 v22, 0x7f800000, v23
	v_cmp_ne_u32_e64 s[6:7], s15, v22
                                        ; implicit-def: $vgpr57
	s_and_saveexec_b64 s[16:17], s[6:7]
	s_xor_b64 s[6:7], exec, s[16:17]
; %bb.714:                              ;   in Loop: Header=BB367_363 Depth=1
	v_bfe_u32 v22, v23, 16, 1
	v_add3_u32 v57, v23, v22, s23
                                        ; implicit-def: $vgpr23
; %bb.715:                              ;   in Loop: Header=BB367_363 Depth=1
	s_andn2_saveexec_b64 s[16:17], s[6:7]
; %bb.716:                              ;   in Loop: Header=BB367_363 Depth=1
	v_or_b32_e32 v22, 0x10000, v23
	v_cmp_eq_u32_sdwa s[6:7], v23, v11 src0_sel:WORD_0 src1_sel:DWORD
	v_cndmask_b32_e64 v57, v22, v23, s[6:7]
; %bb.717:                              ;   in Loop: Header=BB367_363 Depth=1
	s_or_b64 exec, exec, s[16:17]
	v_lshlrev_b32_e32 v22, 16, v24
	v_mul_f32_e32 v23, v54, v22
	v_and_b32_e32 v22, 0x7f800000, v23
	v_cmp_ne_u32_e64 s[6:7], s15, v22
                                        ; implicit-def: $vgpr58
	s_and_saveexec_b64 s[16:17], s[6:7]
	s_xor_b64 s[6:7], exec, s[16:17]
; %bb.718:                              ;   in Loop: Header=BB367_363 Depth=1
	v_bfe_u32 v22, v23, 16, 1
	v_add3_u32 v58, v23, v22, s23
                                        ; implicit-def: $vgpr23
; %bb.719:                              ;   in Loop: Header=BB367_363 Depth=1
	s_andn2_saveexec_b64 s[16:17], s[6:7]
; %bb.720:                              ;   in Loop: Header=BB367_363 Depth=1
	v_or_b32_e32 v22, 0x10000, v23
	v_cmp_eq_u32_sdwa s[6:7], v23, v11 src0_sel:WORD_0 src1_sel:DWORD
	v_cndmask_b32_e64 v58, v22, v23, s[6:7]
; %bb.721:                              ;   in Loop: Header=BB367_363 Depth=1
	s_or_b64 exec, exec, s[16:17]
	v_lshlrev_b32_e32 v19, 16, v19
	v_mul_f32_e32 v19, v55, v19
	v_and_b32_e32 v22, 0x7f800000, v19
	v_cmp_ne_u32_e64 s[6:7], s15, v22
                                        ; implicit-def: $vgpr59
	s_and_saveexec_b64 s[16:17], s[6:7]
	s_xor_b64 s[6:7], exec, s[16:17]
; %bb.722:                              ;   in Loop: Header=BB367_363 Depth=1
	v_bfe_u32 v22, v19, 16, 1
	v_add3_u32 v59, v19, v22, s23
                                        ; implicit-def: $vgpr19
; %bb.723:                              ;   in Loop: Header=BB367_363 Depth=1
	s_andn2_saveexec_b64 s[16:17], s[6:7]
; %bb.724:                              ;   in Loop: Header=BB367_363 Depth=1
	v_or_b32_e32 v22, 0x10000, v19
	v_cmp_eq_u32_sdwa s[6:7], v19, v11 src0_sel:WORD_0 src1_sel:DWORD
	v_cndmask_b32_e64 v59, v22, v19, s[6:7]
; %bb.725:                              ;   in Loop: Header=BB367_363 Depth=1
	s_or_b64 exec, exec, s[16:17]
	v_lshlrev_b32_e32 v18, 16, v18
	v_mul_f32_e32 v18, v40, v18
	v_and_b32_e32 v19, 0x7f800000, v18
	v_cmp_ne_u32_e64 s[6:7], s15, v19
                                        ; implicit-def: $vgpr60
	s_and_saveexec_b64 s[16:17], s[6:7]
	s_xor_b64 s[6:7], exec, s[16:17]
; %bb.726:                              ;   in Loop: Header=BB367_363 Depth=1
	v_bfe_u32 v19, v18, 16, 1
	v_add3_u32 v60, v18, v19, s23
                                        ; implicit-def: $vgpr18
; %bb.727:                              ;   in Loop: Header=BB367_363 Depth=1
	s_andn2_saveexec_b64 s[16:17], s[6:7]
; %bb.728:                              ;   in Loop: Header=BB367_363 Depth=1
	v_or_b32_e32 v19, 0x10000, v18
	v_cmp_eq_u32_sdwa s[6:7], v18, v11 src0_sel:WORD_0 src1_sel:DWORD
	v_cndmask_b32_e64 v60, v19, v18, s[6:7]
; %bb.729:                              ;   in Loop: Header=BB367_363 Depth=1
	s_or_b64 exec, exec, s[16:17]
	v_lshlrev_b32_e32 v10, 16, v10
	v_mul_f32_e32 v10, v41, v10
	v_and_b32_e32 v18, 0x7f800000, v10
	v_cmp_ne_u32_e64 s[6:7], s15, v18
                                        ; implicit-def: $vgpr61
	s_and_saveexec_b64 s[16:17], s[6:7]
	s_xor_b64 s[6:7], exec, s[16:17]
; %bb.730:                              ;   in Loop: Header=BB367_363 Depth=1
	v_bfe_u32 v18, v10, 16, 1
	v_add3_u32 v61, v10, v18, s23
                                        ; implicit-def: $vgpr10
; %bb.731:                              ;   in Loop: Header=BB367_363 Depth=1
	s_andn2_saveexec_b64 s[16:17], s[6:7]
; %bb.732:                              ;   in Loop: Header=BB367_363 Depth=1
	v_or_b32_e32 v18, 0x10000, v10
	v_cmp_eq_u32_sdwa s[6:7], v10, v11 src0_sel:WORD_0 src1_sel:DWORD
	v_cndmask_b32_e64 v61, v18, v10, s[6:7]
; %bb.733:                              ;   in Loop: Header=BB367_363 Depth=1
	s_or_b64 exec, exec, s[16:17]
	v_lshlrev_b32_e32 v2, 16, v2
	v_mul_f32_e32 v2, v42, v2
	v_and_b32_e32 v10, 0x7f800000, v2
	v_cmp_ne_u32_e64 s[6:7], s15, v10
                                        ; implicit-def: $vgpr62
	s_and_saveexec_b64 s[16:17], s[6:7]
	s_xor_b64 s[6:7], exec, s[16:17]
; %bb.734:                              ;   in Loop: Header=BB367_363 Depth=1
	v_bfe_u32 v10, v2, 16, 1
	v_add3_u32 v62, v2, v10, s23
                                        ; implicit-def: $vgpr2
; %bb.735:                              ;   in Loop: Header=BB367_363 Depth=1
	s_andn2_saveexec_b64 s[16:17], s[6:7]
; %bb.736:                              ;   in Loop: Header=BB367_363 Depth=1
	v_or_b32_e32 v10, 0x10000, v2
	v_cmp_eq_u32_sdwa s[6:7], v2, v11 src0_sel:WORD_0 src1_sel:DWORD
	v_cndmask_b32_e64 v62, v10, v2, s[6:7]
; %bb.737:                              ;   in Loop: Header=BB367_363 Depth=1
	s_or_b64 exec, exec, s[16:17]
	flat_load_dwordx2 v[0:1], v[0:1] offset:1536
	v_mov_b32_e32 v2, 0
	s_waitcnt vmcnt(0) lgkmcnt(0)
	v_cmp_ne_u16_sdwa s[6:7], v0, v11 src0_sel:BYTE_0 src1_sel:DWORD
	s_and_saveexec_b64 s[16:17], s[6:7]
	s_cbranch_execz .LBB367_743
; %bb.738:                              ;   in Loop: Header=BB367_363 Depth=1
	v_cmp_ne_u16_sdwa s[6:7], v0, s30 src0_sel:BYTE_0 src1_sel:DWORD
	v_bfrev_b32_e32 v2, 1
	s_and_saveexec_b64 s[26:27], s[6:7]
	s_cbranch_execz .LBB367_742
; %bb.739:                              ;   in Loop: Header=BB367_363 Depth=1
	v_and_b32_e32 v10, 0x7f, v0
	v_cmp_ne_u32_e64 s[6:7], s31, v10
	v_mov_b32_e32 v2, 0x7f800001
	s_and_saveexec_b64 s[28:29], s[6:7]
	s_cbranch_execz .LBB367_741
; %bb.740:                              ;   in Loop: Header=BB367_363 Depth=1
	v_and_b32_e32 v2, 7, v0
	v_ffbh_u32_e32 v2, v2
	v_min_u32_e32 v2, 32, v2
	v_subrev_u32_e32 v19, 28, v2
	v_cmp_gt_u32_e64 s[6:7], 8, v10
	v_lshrrev_b32_e32 v18, 3, v10
	v_sub_u32_e32 v2, 29, v2
	v_cndmask_b32_e64 v10, 0, v19, s[6:7]
	v_cndmask_b32_e64 v2, v18, v2, s[6:7]
	v_lshlrev_b64 v[18:19], v10, v[0:1]
	v_lshlrev_b32_e32 v10, 20, v18
	v_lshlrev_b32_e32 v18, 24, v0
	v_and_b32_e32 v10, 0x700000, v10
	v_and_b32_e32 v18, 0x80000000, v18
	v_lshl_add_u32 v2, v2, 23, v39
	v_or3_b32 v2, v18, v2, v10
.LBB367_741:                            ;   in Loop: Header=BB367_363 Depth=1
	s_or_b64 exec, exec, s[28:29]
.LBB367_742:                            ;   in Loop: Header=BB367_363 Depth=1
	s_or_b64 exec, exec, s[26:27]
.LBB367_743:                            ;   in Loop: Header=BB367_363 Depth=1
	s_or_b64 exec, exec, s[16:17]
	v_mul_f32_e32 v2, v26, v2
	v_and_b32_e32 v10, 0x7f800000, v2
	v_cmp_ne_u32_e64 s[6:7], s15, v10
                                        ; implicit-def: $vgpr25
	s_and_saveexec_b64 s[16:17], s[6:7]
	s_xor_b64 s[6:7], exec, s[16:17]
; %bb.744:                              ;   in Loop: Header=BB367_363 Depth=1
	v_bfe_u32 v10, v2, 16, 1
	v_add3_u32 v25, v2, v10, s23
                                        ; implicit-def: $vgpr2
; %bb.745:                              ;   in Loop: Header=BB367_363 Depth=1
	s_andn2_saveexec_b64 s[16:17], s[6:7]
; %bb.746:                              ;   in Loop: Header=BB367_363 Depth=1
	v_or_b32_e32 v10, 0x10000, v2
	v_cmp_eq_u32_sdwa s[6:7], v2, v11 src0_sel:WORD_0 src1_sel:DWORD
	v_cndmask_b32_e64 v25, v10, v2, s[6:7]
; %bb.747:                              ;   in Loop: Header=BB367_363 Depth=1
	s_or_b64 exec, exec, s[16:17]
	v_lshrrev_b16_e32 v2, 8, v0
	v_cmp_ne_u16_e64 s[6:7], 0, v2
	v_mov_b32_e32 v10, 0
	s_and_saveexec_b64 s[16:17], s[6:7]
	s_cbranch_execz .LBB367_753
; %bb.748:                              ;   in Loop: Header=BB367_363 Depth=1
	v_cmp_ne_u16_e64 s[6:7], s30, v2
	v_bfrev_b32_e32 v10, 1
	s_and_saveexec_b64 s[26:27], s[6:7]
	s_cbranch_execz .LBB367_752
; %bb.749:                              ;   in Loop: Header=BB367_363 Depth=1
	v_and_b32_e32 v18, 0x7f, v2
	v_cmp_ne_u32_e64 s[6:7], s31, v18
	v_mov_b32_e32 v10, 0x7f800001
	s_and_saveexec_b64 s[28:29], s[6:7]
	s_cbranch_execz .LBB367_751
; %bb.750:                              ;   in Loop: Header=BB367_363 Depth=1
	v_and_b32_e32 v10, 7, v2
	v_ffbh_u32_e32 v22, v10
	v_min_u32_e32 v24, 32, v22
	v_subrev_u32_e32 v22, 28, v24
	v_lshlrev_b64 v[22:23], v22, v[2:3]
	v_lshrrev_b32_e32 v19, 3, v18
	v_sub_u32_e32 v2, 29, v24
	v_and_b32_e32 v22, 7, v22
	v_cmp_gt_u32_e64 s[6:7], 8, v18
	v_cndmask_b32_e64 v2, v19, v2, s[6:7]
	v_cndmask_b32_e64 v10, v10, v22, s[6:7]
	v_lshlrev_b32_e32 v18, 16, v0
	v_lshlrev_b32_e32 v10, 20, v10
	v_and_b32_e32 v18, 0x80000000, v18
	v_lshl_add_u32 v2, v2, 23, v39
	v_or3_b32 v10, v18, v2, v10
.LBB367_751:                            ;   in Loop: Header=BB367_363 Depth=1
	s_or_b64 exec, exec, s[28:29]
.LBB367_752:                            ;   in Loop: Header=BB367_363 Depth=1
	s_or_b64 exec, exec, s[26:27]
.LBB367_753:                            ;   in Loop: Header=BB367_363 Depth=1
	s_or_b64 exec, exec, s[16:17]
	v_mul_f32_e32 v2, v26, v10
	v_and_b32_e32 v10, 0x7f800000, v2
	v_cmp_ne_u32_e64 s[6:7], s15, v10
                                        ; implicit-def: $vgpr23
	s_and_saveexec_b64 s[16:17], s[6:7]
	s_xor_b64 s[6:7], exec, s[16:17]
; %bb.754:                              ;   in Loop: Header=BB367_363 Depth=1
	v_bfe_u32 v10, v2, 16, 1
	v_add3_u32 v23, v2, v10, s23
                                        ; implicit-def: $vgpr2
; %bb.755:                              ;   in Loop: Header=BB367_363 Depth=1
	s_andn2_saveexec_b64 s[16:17], s[6:7]
; %bb.756:                              ;   in Loop: Header=BB367_363 Depth=1
	v_or_b32_e32 v10, 0x10000, v2
	v_cmp_eq_u32_sdwa s[6:7], v2, v11 src0_sel:WORD_0 src1_sel:DWORD
	v_cndmask_b32_e64 v23, v10, v2, s[6:7]
; %bb.757:                              ;   in Loop: Header=BB367_363 Depth=1
	s_or_b64 exec, exec, s[16:17]
	v_lshrrev_b32_e32 v2, 16, v0
	v_cmp_ne_u16_sdwa s[6:7], v2, v11 src0_sel:BYTE_0 src1_sel:DWORD
	v_mov_b32_e32 v10, 0
	s_and_saveexec_b64 s[16:17], s[6:7]
	s_cbranch_execz .LBB367_763
; %bb.758:                              ;   in Loop: Header=BB367_363 Depth=1
	v_cmp_ne_u16_sdwa s[6:7], v2, s30 src0_sel:BYTE_0 src1_sel:DWORD
	v_bfrev_b32_e32 v10, 1
	s_and_saveexec_b64 s[26:27], s[6:7]
	s_cbranch_execz .LBB367_762
; %bb.759:                              ;   in Loop: Header=BB367_363 Depth=1
	v_bfe_u32 v18, v0, 16, 7
	v_cmp_ne_u32_e64 s[6:7], s31, v18
	v_mov_b32_e32 v10, 0x7f800001
	s_and_saveexec_b64 s[28:29], s[6:7]
	s_cbranch_execz .LBB367_761
; %bb.760:                              ;   in Loop: Header=BB367_363 Depth=1
	v_and_b32_e32 v10, 7, v2
	v_ffbh_u32_e32 v22, v10
	v_min_u32_e32 v22, 32, v22
	v_subrev_u32_e32 v24, 28, v22
	v_lshlrev_b64 v[38:39], v24, v[2:3]
	v_lshrrev_b32_e32 v19, 3, v18
	v_sub_u32_e32 v22, 29, v22
	v_and_b32_e32 v24, 7, v38
	v_cmp_gt_u32_e64 s[6:7], 8, v18
	v_bfrev_b32_e32 v39, 60
	v_cndmask_b32_e64 v18, v19, v22, s[6:7]
	v_cndmask_b32_e64 v10, v10, v24, s[6:7]
	v_lshlrev_b32_e32 v2, 24, v2
	v_lshlrev_b32_e32 v10, 20, v10
	v_and_b32_e32 v2, 0x80000000, v2
	v_lshl_add_u32 v18, v18, 23, v39
	v_accvgpr_read_b32 v38, a9
	v_or3_b32 v10, v2, v18, v10
.LBB367_761:                            ;   in Loop: Header=BB367_363 Depth=1
	s_or_b64 exec, exec, s[28:29]
.LBB367_762:                            ;   in Loop: Header=BB367_363 Depth=1
	s_or_b64 exec, exec, s[26:27]
.LBB367_763:                            ;   in Loop: Header=BB367_363 Depth=1
	s_or_b64 exec, exec, s[16:17]
	v_mul_f32_e32 v2, v26, v10
	v_and_b32_e32 v10, 0x7f800000, v2
	v_cmp_ne_u32_e64 s[6:7], s15, v10
                                        ; implicit-def: $vgpr24
	s_and_saveexec_b64 s[16:17], s[6:7]
	s_xor_b64 s[6:7], exec, s[16:17]
; %bb.764:                              ;   in Loop: Header=BB367_363 Depth=1
	v_bfe_u32 v10, v2, 16, 1
	v_add3_u32 v24, v2, v10, s23
                                        ; implicit-def: $vgpr2
; %bb.765:                              ;   in Loop: Header=BB367_363 Depth=1
	s_andn2_saveexec_b64 s[16:17], s[6:7]
; %bb.766:                              ;   in Loop: Header=BB367_363 Depth=1
	v_or_b32_e32 v10, 0x10000, v2
	v_cmp_eq_u32_sdwa s[6:7], v2, v11 src0_sel:WORD_0 src1_sel:DWORD
	v_cndmask_b32_e64 v24, v10, v2, s[6:7]
; %bb.767:                              ;   in Loop: Header=BB367_363 Depth=1
	s_or_b64 exec, exec, s[16:17]
	v_cmp_lt_u32_e64 s[6:7], s11, v0
	v_mov_b32_e32 v10, 0
	s_and_saveexec_b64 s[16:17], s[6:7]
	s_cbranch_execz .LBB367_773
; %bb.768:                              ;   in Loop: Header=BB367_363 Depth=1
	v_lshrrev_b32_e32 v2, 24, v0
	v_cmp_ne_u32_e64 s[6:7], s30, v2
	v_bfrev_b32_e32 v10, 1
	s_and_saveexec_b64 s[26:27], s[6:7]
	s_cbranch_execz .LBB367_772
; %bb.769:                              ;   in Loop: Header=BB367_363 Depth=1
	v_bfe_u32 v18, v0, 24, 7
	v_cmp_ne_u32_e64 s[6:7], s31, v18
	v_mov_b32_e32 v10, 0x7f800001
	s_and_saveexec_b64 s[28:29], s[6:7]
	s_cbranch_execz .LBB367_771
; %bb.770:                              ;   in Loop: Header=BB367_363 Depth=1
	v_and_b32_e32 v10, 7, v2
	v_ffbh_u32_e32 v22, v10
	v_min_u32_e32 v22, 32, v22
	v_subrev_u32_e32 v29, 28, v22
	v_lshlrev_b64 v[38:39], v29, v[2:3]
	v_lshrrev_b32_e32 v19, 3, v18
	v_sub_u32_e32 v22, 29, v22
	v_and_b32_e32 v29, 7, v38
	v_cmp_gt_u32_e64 s[6:7], 8, v18
	v_bfrev_b32_e32 v39, 60
	v_cndmask_b32_e64 v18, v19, v22, s[6:7]
	v_cndmask_b32_e64 v10, v10, v29, s[6:7]
	v_lshlrev_b32_e32 v2, 24, v2
	v_lshlrev_b32_e32 v10, 20, v10
	v_and_b32_e32 v2, 0x80000000, v2
	v_lshl_add_u32 v18, v18, 23, v39
	v_accvgpr_read_b32 v38, a9
	v_or3_b32 v10, v2, v18, v10
.LBB367_771:                            ;   in Loop: Header=BB367_363 Depth=1
	s_or_b64 exec, exec, s[28:29]
.LBB367_772:                            ;   in Loop: Header=BB367_363 Depth=1
	s_or_b64 exec, exec, s[26:27]
.LBB367_773:                            ;   in Loop: Header=BB367_363 Depth=1
	s_or_b64 exec, exec, s[16:17]
	v_mul_f32_e32 v2, v26, v10
	v_and_b32_e32 v10, 0x7f800000, v2
	v_cmp_ne_u32_e64 s[6:7], s15, v10
                                        ; implicit-def: $vgpr29
	s_and_saveexec_b64 s[16:17], s[6:7]
	s_xor_b64 s[6:7], exec, s[16:17]
; %bb.774:                              ;   in Loop: Header=BB367_363 Depth=1
	v_bfe_u32 v10, v2, 16, 1
	v_add3_u32 v29, v2, v10, s23
                                        ; implicit-def: $vgpr2
; %bb.775:                              ;   in Loop: Header=BB367_363 Depth=1
	s_andn2_saveexec_b64 s[16:17], s[6:7]
; %bb.776:                              ;   in Loop: Header=BB367_363 Depth=1
	v_or_b32_e32 v10, 0x10000, v2
	v_cmp_eq_u32_sdwa s[6:7], v2, v11 src0_sel:WORD_0 src1_sel:DWORD
	v_cndmask_b32_e64 v29, v10, v2, s[6:7]
; %bb.777:                              ;   in Loop: Header=BB367_363 Depth=1
	s_or_b64 exec, exec, s[16:17]
	v_mov_b32_e32 v10, v1
	v_cmp_ne_u16_sdwa s[6:7], v1, v11 src0_sel:BYTE_0 src1_sel:DWORD
	v_mov_b32_e32 v2, 0
	s_and_saveexec_b64 s[16:17], s[6:7]
	s_cbranch_execz .LBB367_783
; %bb.778:                              ;   in Loop: Header=BB367_363 Depth=1
	v_cmp_ne_u16_sdwa s[6:7], v1, s30 src0_sel:BYTE_0 src1_sel:DWORD
	v_bfrev_b32_e32 v2, 1
	s_and_saveexec_b64 s[26:27], s[6:7]
	s_cbranch_execz .LBB367_782
; %bb.779:                              ;   in Loop: Header=BB367_363 Depth=1
	v_and_b32_e32 v18, 0x7f, v1
	v_cmp_ne_u32_e64 s[6:7], s31, v18
	v_mov_b32_e32 v2, 0x7f800001
	s_and_saveexec_b64 s[28:29], s[6:7]
	s_cbranch_execz .LBB367_781
; %bb.780:                              ;   in Loop: Header=BB367_363 Depth=1
	v_and_b32_e32 v2, 7, v1
	v_ffbh_u32_e32 v2, v2
	v_min_u32_e32 v2, 32, v2
	v_subrev_u32_e32 v22, 28, v2
	v_cmp_gt_u32_e64 s[6:7], 8, v18
	v_lshrrev_b32_e32 v19, 3, v18
	v_sub_u32_e32 v2, 29, v2
	v_cndmask_b32_e64 v18, 0, v22, s[6:7]
	v_cndmask_b32_e64 v2, v19, v2, s[6:7]
	v_lshlrev_b64 v[18:19], v18, v[10:11]
	v_lshlrev_b32_e32 v18, 20, v18
	v_lshlrev_b32_e32 v19, 24, v10
	v_and_b32_e32 v18, 0x700000, v18
	v_and_b32_e32 v19, 0x80000000, v19
	v_lshl_add_u32 v2, v2, 23, v39
	v_or3_b32 v2, v19, v2, v18
.LBB367_781:                            ;   in Loop: Header=BB367_363 Depth=1
	s_or_b64 exec, exec, s[28:29]
.LBB367_782:                            ;   in Loop: Header=BB367_363 Depth=1
	s_or_b64 exec, exec, s[26:27]
.LBB367_783:                            ;   in Loop: Header=BB367_363 Depth=1
	s_or_b64 exec, exec, s[16:17]
	v_mul_f32_e32 v2, v26, v2
	v_and_b32_e32 v18, 0x7f800000, v2
	v_cmp_ne_u32_e64 s[6:7], s15, v18
                                        ; implicit-def: $vgpr18
	s_and_saveexec_b64 s[16:17], s[6:7]
	s_xor_b64 s[6:7], exec, s[16:17]
; %bb.784:                              ;   in Loop: Header=BB367_363 Depth=1
	v_bfe_u32 v18, v2, 16, 1
	v_add3_u32 v18, v2, v18, s23
                                        ; implicit-def: $vgpr2
; %bb.785:                              ;   in Loop: Header=BB367_363 Depth=1
	s_andn2_saveexec_b64 s[16:17], s[6:7]
; %bb.786:                              ;   in Loop: Header=BB367_363 Depth=1
	v_or_b32_e32 v18, 0x10000, v2
	v_cmp_eq_u32_sdwa s[6:7], v2, v11 src0_sel:WORD_0 src1_sel:DWORD
	v_cndmask_b32_e64 v18, v18, v2, s[6:7]
; %bb.787:                              ;   in Loop: Header=BB367_363 Depth=1
	s_or_b64 exec, exec, s[16:17]
	v_lshrrev_b16_e32 v2, 8, v10
	v_cmp_ne_u16_e64 s[6:7], 0, v2
	v_mov_b32_e32 v19, 0
	s_and_saveexec_b64 s[16:17], s[6:7]
	s_cbranch_execz .LBB367_793
; %bb.788:                              ;   in Loop: Header=BB367_363 Depth=1
	v_cmp_ne_u16_e64 s[6:7], s30, v2
	v_bfrev_b32_e32 v19, 1
	s_and_saveexec_b64 s[26:27], s[6:7]
	s_cbranch_execz .LBB367_792
; %bb.789:                              ;   in Loop: Header=BB367_363 Depth=1
	v_and_b32_e32 v30, 0x7f, v2
	v_cmp_ne_u32_e64 s[6:7], s31, v30
	v_mov_b32_e32 v19, 0x7f800001
	s_and_saveexec_b64 s[28:29], s[6:7]
	s_cbranch_execz .LBB367_791
; %bb.790:                              ;   in Loop: Header=BB367_363 Depth=1
	v_and_b32_e32 v19, 7, v2
	v_ffbh_u32_e32 v38, v19
	v_min_u32_e32 v37, 32, v38
	v_subrev_u32_e32 v38, 28, v37
	v_lshlrev_b64 v[38:39], v38, v[2:3]
	v_lshrrev_b32_e32 v22, 3, v30
	v_sub_u32_e32 v2, 29, v37
	v_and_b32_e32 v37, 7, v38
	v_cmp_gt_u32_e64 s[6:7], 8, v30
	v_bfrev_b32_e32 v39, 60
	v_cndmask_b32_e64 v2, v22, v2, s[6:7]
	v_cndmask_b32_e64 v19, v19, v37, s[6:7]
	v_lshlrev_b32_e32 v10, 16, v10
	v_lshlrev_b32_e32 v19, 20, v19
	v_and_b32_e32 v10, 0x80000000, v10
	v_lshl_add_u32 v2, v2, 23, v39
	v_accvgpr_read_b32 v38, a9
	v_accvgpr_read_b32 v37, a8
	v_or3_b32 v19, v10, v2, v19
.LBB367_791:                            ;   in Loop: Header=BB367_363 Depth=1
	s_or_b64 exec, exec, s[28:29]
.LBB367_792:                            ;   in Loop: Header=BB367_363 Depth=1
	s_or_b64 exec, exec, s[26:27]
.LBB367_793:                            ;   in Loop: Header=BB367_363 Depth=1
	s_or_b64 exec, exec, s[16:17]
	v_mul_f32_e32 v2, v26, v19
	v_and_b32_e32 v10, 0x7f800000, v2
	v_cmp_ne_u32_e64 s[6:7], s15, v10
                                        ; implicit-def: $vgpr10
	s_and_saveexec_b64 s[16:17], s[6:7]
	s_xor_b64 s[6:7], exec, s[16:17]
; %bb.794:                              ;   in Loop: Header=BB367_363 Depth=1
	v_bfe_u32 v10, v2, 16, 1
	v_add3_u32 v10, v2, v10, s23
                                        ; implicit-def: $vgpr2
; %bb.795:                              ;   in Loop: Header=BB367_363 Depth=1
	s_andn2_saveexec_b64 s[16:17], s[6:7]
; %bb.796:                              ;   in Loop: Header=BB367_363 Depth=1
	v_or_b32_e32 v10, 0x10000, v2
	v_cmp_eq_u32_sdwa s[6:7], v2, v11 src0_sel:WORD_0 src1_sel:DWORD
	v_cndmask_b32_e64 v10, v10, v2, s[6:7]
; %bb.797:                              ;   in Loop: Header=BB367_363 Depth=1
	s_or_b64 exec, exec, s[16:17]
	v_lshrrev_b32_e32 v2, 16, v1
	v_cmp_ne_u16_sdwa s[6:7], v2, v11 src0_sel:BYTE_0 src1_sel:DWORD
	v_mov_b32_e32 v19, 0
	s_and_saveexec_b64 s[16:17], s[6:7]
	s_cbranch_execz .LBB367_803
; %bb.798:                              ;   in Loop: Header=BB367_363 Depth=1
	v_cmp_ne_u16_sdwa s[6:7], v2, s30 src0_sel:BYTE_0 src1_sel:DWORD
	v_bfrev_b32_e32 v19, 1
	s_and_saveexec_b64 s[26:27], s[6:7]
	s_cbranch_execz .LBB367_802
; %bb.799:                              ;   in Loop: Header=BB367_363 Depth=1
	v_bfe_u32 v30, v1, 16, 7
	v_cmp_ne_u32_e64 s[6:7], s31, v30
	v_mov_b32_e32 v19, 0x7f800001
	s_and_saveexec_b64 s[28:29], s[6:7]
	s_cbranch_execz .LBB367_801
; %bb.800:                              ;   in Loop: Header=BB367_363 Depth=1
	v_and_b32_e32 v19, 7, v2
	v_ffbh_u32_e32 v37, v19
	v_min_u32_e32 v37, 32, v37
	v_subrev_u32_e32 v38, 28, v37
	v_lshlrev_b64 v[38:39], v38, v[2:3]
	v_lshrrev_b32_e32 v22, 3, v30
	v_sub_u32_e32 v37, 29, v37
	v_and_b32_e32 v38, 7, v38
	v_cmp_gt_u32_e64 s[6:7], 8, v30
	v_bfrev_b32_e32 v39, 60
	v_cndmask_b32_e64 v22, v22, v37, s[6:7]
	v_cndmask_b32_e64 v19, v19, v38, s[6:7]
	v_lshlrev_b32_e32 v2, 24, v2
	v_lshlrev_b32_e32 v19, 20, v19
	v_and_b32_e32 v2, 0x80000000, v2
	v_lshl_add_u32 v22, v22, 23, v39
	v_accvgpr_read_b32 v37, a8
	v_accvgpr_read_b32 v38, a9
	v_or3_b32 v19, v2, v22, v19
.LBB367_801:                            ;   in Loop: Header=BB367_363 Depth=1
	s_or_b64 exec, exec, s[28:29]
.LBB367_802:                            ;   in Loop: Header=BB367_363 Depth=1
	s_or_b64 exec, exec, s[26:27]
.LBB367_803:                            ;   in Loop: Header=BB367_363 Depth=1
	s_or_b64 exec, exec, s[16:17]
	v_mul_f32_e32 v19, v26, v19
	v_and_b32_e32 v2, 0x7f800000, v19
	v_cmp_ne_u32_e64 s[6:7], s15, v2
                                        ; implicit-def: $vgpr2
	s_and_saveexec_b64 s[16:17], s[6:7]
	s_xor_b64 s[6:7], exec, s[16:17]
; %bb.804:                              ;   in Loop: Header=BB367_363 Depth=1
	v_bfe_u32 v2, v19, 16, 1
	v_add3_u32 v2, v19, v2, s23
                                        ; implicit-def: $vgpr19
; %bb.805:                              ;   in Loop: Header=BB367_363 Depth=1
	s_andn2_saveexec_b64 s[16:17], s[6:7]
; %bb.806:                              ;   in Loop: Header=BB367_363 Depth=1
	v_or_b32_e32 v2, 0x10000, v19
	v_cmp_eq_u32_sdwa s[6:7], v19, v11 src0_sel:WORD_0 src1_sel:DWORD
	v_cndmask_b32_e64 v2, v2, v19, s[6:7]
; %bb.807:                              ;   in Loop: Header=BB367_363 Depth=1
	s_or_b64 exec, exec, s[16:17]
	v_cmp_lt_u64_e64 s[6:7], s[10:11], v[0:1]
	v_mov_b32_e32 v19, 0
	s_and_saveexec_b64 s[16:17], s[6:7]
	s_cbranch_execz .LBB367_813
; %bb.808:                              ;   in Loop: Header=BB367_363 Depth=1
	v_lshrrev_b32_e32 v0, 24, v1
	v_cmp_ne_u32_e64 s[6:7], s30, v0
	v_bfrev_b32_e32 v19, 1
	s_and_saveexec_b64 s[26:27], s[6:7]
	s_cbranch_execz .LBB367_812
; %bb.809:                              ;   in Loop: Header=BB367_363 Depth=1
	v_bfe_u32 v1, v1, 24, 7
	v_cmp_ne_u32_e64 s[6:7], s31, v1
	v_mov_b32_e32 v19, 0x7f800001
	s_and_saveexec_b64 s[28:29], s[6:7]
	s_cbranch_execz .LBB367_811
; %bb.810:                              ;   in Loop: Header=BB367_363 Depth=1
	v_and_b32_e32 v19, 7, v0
	v_ffbh_u32_e32 v30, v19
	v_min_u32_e32 v30, 32, v30
	v_subrev_u32_e32 v37, 28, v30
	v_lshlrev_b64 v[38:39], v37, v[0:1]
	v_lshrrev_b32_e32 v22, 3, v1
	v_sub_u32_e32 v30, 29, v30
	v_and_b32_e32 v37, 7, v38
	v_cmp_gt_u32_e64 s[6:7], 8, v1
	v_bfrev_b32_e32 v39, 60
	v_cndmask_b32_e64 v1, v22, v30, s[6:7]
	v_cndmask_b32_e64 v19, v19, v37, s[6:7]
	v_lshlrev_b32_e32 v0, 24, v0
	v_lshlrev_b32_e32 v19, 20, v19
	v_and_b32_e32 v0, 0x80000000, v0
	v_lshl_add_u32 v1, v1, 23, v39
	v_accvgpr_read_b32 v38, a9
	v_accvgpr_read_b32 v37, a8
	v_or3_b32 v19, v0, v1, v19
.LBB367_811:                            ;   in Loop: Header=BB367_363 Depth=1
	s_or_b64 exec, exec, s[28:29]
.LBB367_812:                            ;   in Loop: Header=BB367_363 Depth=1
	s_or_b64 exec, exec, s[26:27]
.LBB367_813:                            ;   in Loop: Header=BB367_363 Depth=1
	s_or_b64 exec, exec, s[16:17]
	v_mul_f32_e32 v0, v26, v19
	v_and_b32_e32 v1, 0x7f800000, v0
	v_cmp_ne_u32_e64 s[6:7], s15, v1
                                        ; implicit-def: $vgpr30
	s_and_saveexec_b64 s[16:17], s[6:7]
	s_xor_b64 s[6:7], exec, s[16:17]
; %bb.814:                              ;   in Loop: Header=BB367_363 Depth=1
	v_bfe_u32 v1, v0, 16, 1
	v_add3_u32 v30, v0, v1, s23
                                        ; implicit-def: $vgpr0
; %bb.815:                              ;   in Loop: Header=BB367_363 Depth=1
	s_andn2_saveexec_b64 s[16:17], s[6:7]
; %bb.816:                              ;   in Loop: Header=BB367_363 Depth=1
	v_or_b32_e32 v1, 0x10000, v0
	v_cmp_eq_u32_sdwa s[6:7], v0, v11 src0_sel:WORD_0 src1_sel:DWORD
	v_cndmask_b32_e64 v30, v1, v0, s[6:7]
; %bb.817:                              ;   in Loop: Header=BB367_363 Depth=1
	s_or_b64 exec, exec, s[16:17]
	v_lshrrev_b32_e32 v19, 16, v10
	v_lshrrev_b32_e32 v18, 16, v18
	;; [unrolled: 1-line block ×8, first 2 shown]
	s_and_saveexec_b64 s[6:7], vcc
	s_cbranch_execz .LBB367_819
; %bb.818:                              ;   in Loop: Header=BB367_363 Depth=1
	v_cmp_lt_i32_e32 vcc, v38, v32
	v_cndmask_b32_e32 v0, 0, v0, vcc
	v_cmp_lt_i32_e32 vcc, v51, v32
	v_cndmask_b32_e32 v1, 0, v1, vcc
	;; [unrolled: 2-line block ×4, first 2 shown]
	v_cmp_lt_i32_e32 vcc, v48, v32
	v_accvgpr_read_b32 v22, a13
	v_cndmask_b32_e32 v18, 0, v18, vcc
	v_cmp_lt_i32_e32 vcc, v22, v32
	v_accvgpr_read_b32 v22, a12
	v_cndmask_b32_e32 v19, 0, v19, vcc
	v_cmp_lt_i32_e32 vcc, v22, v32
	v_cndmask_b32_e32 v10, 0, v10, vcc
	v_cmp_lt_i32_e32 vcc, v17, v32
	v_cndmask_b32_e32 v2, 0, v2, vcc
.LBB367_819:                            ;   in Loop: Header=BB367_363 Depth=1
	s_or_b64 exec, exec, s[6:7]
	v_lshlrev_b32_e32 v0, 16, v0
	v_mul_f32_e32 v4, v4, v0
	v_and_b32_e32 v0, 0x7f800000, v4
	v_cmp_ne_u32_e32 vcc, s15, v0
                                        ; implicit-def: $vgpr0
	s_and_saveexec_b64 s[6:7], vcc
	s_xor_b64 s[6:7], exec, s[6:7]
; %bb.820:                              ;   in Loop: Header=BB367_363 Depth=1
	v_bfe_u32 v0, v4, 16, 1
	v_add3_u32 v0, v4, v0, s23
                                        ; implicit-def: $vgpr4
; %bb.821:                              ;   in Loop: Header=BB367_363 Depth=1
	s_andn2_saveexec_b64 s[6:7], s[6:7]
; %bb.822:                              ;   in Loop: Header=BB367_363 Depth=1
	v_or_b32_e32 v0, 0x10000, v4
	v_cmp_eq_u32_sdwa vcc, v4, v11 src0_sel:WORD_0 src1_sel:DWORD
	v_cndmask_b32_e32 v0, v0, v4, vcc
; %bb.823:                              ;   in Loop: Header=BB367_363 Depth=1
	s_or_b64 exec, exec, s[6:7]
	v_lshlrev_b32_e32 v1, 16, v1
	v_mul_f32_e32 v4, v5, v1
	v_and_b32_e32 v1, 0x7f800000, v4
	v_cmp_ne_u32_e32 vcc, s15, v1
                                        ; implicit-def: $vgpr1
	s_and_saveexec_b64 s[6:7], vcc
	s_xor_b64 s[6:7], exec, s[6:7]
; %bb.824:                              ;   in Loop: Header=BB367_363 Depth=1
	v_bfe_u32 v1, v4, 16, 1
	v_add3_u32 v1, v4, v1, s23
                                        ; implicit-def: $vgpr4
; %bb.825:                              ;   in Loop: Header=BB367_363 Depth=1
	s_andn2_saveexec_b64 s[6:7], s[6:7]
; %bb.826:                              ;   in Loop: Header=BB367_363 Depth=1
	v_or_b32_e32 v1, 0x10000, v4
	v_cmp_eq_u32_sdwa vcc, v4, v11 src0_sel:WORD_0 src1_sel:DWORD
	v_cndmask_b32_e32 v1, v1, v4, vcc
; %bb.827:                              ;   in Loop: Header=BB367_363 Depth=1
	s_or_b64 exec, exec, s[6:7]
	v_lshlrev_b32_e32 v4, 16, v24
	v_mul_f32_e32 v5, v53, v4
	v_and_b32_e32 v4, 0x7f800000, v5
	v_cmp_ne_u32_e32 vcc, s15, v4
                                        ; implicit-def: $vgpr4
	s_and_saveexec_b64 s[6:7], vcc
	s_xor_b64 s[6:7], exec, s[6:7]
; %bb.828:                              ;   in Loop: Header=BB367_363 Depth=1
	v_bfe_u32 v4, v5, 16, 1
	v_add3_u32 v4, v5, v4, s23
                                        ; implicit-def: $vgpr5
; %bb.829:                              ;   in Loop: Header=BB367_363 Depth=1
	s_andn2_saveexec_b64 s[6:7], s[6:7]
; %bb.830:                              ;   in Loop: Header=BB367_363 Depth=1
	v_or_b32_e32 v4, 0x10000, v5
	v_cmp_eq_u32_sdwa vcc, v5, v11 src0_sel:WORD_0 src1_sel:DWORD
	v_cndmask_b32_e32 v4, v4, v5, vcc
; %bb.831:                              ;   in Loop: Header=BB367_363 Depth=1
	s_or_b64 exec, exec, s[6:7]
	v_lshlrev_b32_e32 v5, 16, v29
	v_mul_f32_e32 v23, v54, v5
	v_and_b32_e32 v5, 0x7f800000, v23
	v_cmp_ne_u32_e32 vcc, s15, v5
                                        ; implicit-def: $vgpr5
	s_and_saveexec_b64 s[6:7], vcc
	s_xor_b64 s[6:7], exec, s[6:7]
; %bb.832:                              ;   in Loop: Header=BB367_363 Depth=1
	v_bfe_u32 v5, v23, 16, 1
	v_add3_u32 v5, v23, v5, s23
                                        ; implicit-def: $vgpr23
; %bb.833:                              ;   in Loop: Header=BB367_363 Depth=1
	s_andn2_saveexec_b64 s[6:7], s[6:7]
; %bb.834:                              ;   in Loop: Header=BB367_363 Depth=1
	v_or_b32_e32 v5, 0x10000, v23
	v_cmp_eq_u32_sdwa vcc, v23, v11 src0_sel:WORD_0 src1_sel:DWORD
	v_cndmask_b32_e32 v5, v5, v23, vcc
; %bb.835:                              ;   in Loop: Header=BB367_363 Depth=1
	s_or_b64 exec, exec, s[6:7]
	v_lshlrev_b32_e32 v18, 16, v18
	v_mul_f32_e32 v23, v55, v18
	v_and_b32_e32 v18, 0x7f800000, v23
	v_cmp_ne_u32_e32 vcc, s15, v18
                                        ; implicit-def: $vgpr18
	s_and_saveexec_b64 s[6:7], vcc
	s_xor_b64 s[6:7], exec, s[6:7]
; %bb.836:                              ;   in Loop: Header=BB367_363 Depth=1
	v_bfe_u32 v18, v23, 16, 1
	v_add3_u32 v18, v23, v18, s23
                                        ; implicit-def: $vgpr23
; %bb.837:                              ;   in Loop: Header=BB367_363 Depth=1
	s_andn2_saveexec_b64 s[6:7], s[6:7]
; %bb.838:                              ;   in Loop: Header=BB367_363 Depth=1
	v_or_b32_e32 v18, 0x10000, v23
	v_cmp_eq_u32_sdwa vcc, v23, v11 src0_sel:WORD_0 src1_sel:DWORD
	v_cndmask_b32_e32 v18, v18, v23, vcc
; %bb.839:                              ;   in Loop: Header=BB367_363 Depth=1
	s_or_b64 exec, exec, s[6:7]
	v_lshlrev_b32_e32 v19, 16, v19
	v_mul_f32_e32 v23, v40, v19
	v_and_b32_e32 v19, 0x7f800000, v23
	v_cmp_ne_u32_e32 vcc, s15, v19
                                        ; implicit-def: $vgpr19
	s_and_saveexec_b64 s[6:7], vcc
	s_xor_b64 s[6:7], exec, s[6:7]
; %bb.840:                              ;   in Loop: Header=BB367_363 Depth=1
	v_bfe_u32 v19, v23, 16, 1
	v_add3_u32 v19, v23, v19, s23
                                        ; implicit-def: $vgpr23
; %bb.841:                              ;   in Loop: Header=BB367_363 Depth=1
	s_andn2_saveexec_b64 s[6:7], s[6:7]
; %bb.842:                              ;   in Loop: Header=BB367_363 Depth=1
	v_or_b32_e32 v19, 0x10000, v23
	v_cmp_eq_u32_sdwa vcc, v23, v11 src0_sel:WORD_0 src1_sel:DWORD
	v_cndmask_b32_e32 v19, v19, v23, vcc
; %bb.843:                              ;   in Loop: Header=BB367_363 Depth=1
	s_or_b64 exec, exec, s[6:7]
	v_lshlrev_b32_e32 v10, 16, v10
	v_mul_f32_e32 v23, v41, v10
	v_and_b32_e32 v10, 0x7f800000, v23
	v_cmp_ne_u32_e32 vcc, s15, v10
                                        ; implicit-def: $vgpr10
	s_and_saveexec_b64 s[6:7], vcc
	s_xor_b64 s[6:7], exec, s[6:7]
; %bb.844:                              ;   in Loop: Header=BB367_363 Depth=1
	v_bfe_u32 v10, v23, 16, 1
	v_add3_u32 v10, v23, v10, s23
                                        ; implicit-def: $vgpr23
; %bb.845:                              ;   in Loop: Header=BB367_363 Depth=1
	s_andn2_saveexec_b64 s[6:7], s[6:7]
; %bb.846:                              ;   in Loop: Header=BB367_363 Depth=1
	v_or_b32_e32 v10, 0x10000, v23
	v_cmp_eq_u32_sdwa vcc, v23, v11 src0_sel:WORD_0 src1_sel:DWORD
	v_cndmask_b32_e32 v10, v10, v23, vcc
; %bb.847:                              ;   in Loop: Header=BB367_363 Depth=1
	s_or_b64 exec, exec, s[6:7]
	v_lshlrev_b32_e32 v2, 16, v2
	v_mul_f32_e32 v23, v42, v2
	v_and_b32_e32 v2, 0x7f800000, v23
	v_cmp_ne_u32_e32 vcc, s15, v2
                                        ; implicit-def: $vgpr2
	s_and_saveexec_b64 s[6:7], vcc
	s_xor_b64 s[6:7], exec, s[6:7]
; %bb.848:                              ;   in Loop: Header=BB367_363 Depth=1
	v_bfe_u32 v2, v23, 16, 1
	v_add3_u32 v2, v23, v2, s23
                                        ; implicit-def: $vgpr23
; %bb.849:                              ;   in Loop: Header=BB367_363 Depth=1
	s_andn2_saveexec_b64 s[6:7], s[6:7]
	s_cbranch_execz .LBB367_362
; %bb.850:                              ;   in Loop: Header=BB367_363 Depth=1
	v_or_b32_e32 v2, 0x10000, v23
	v_cmp_eq_u32_sdwa vcc, v23, v11 src0_sel:WORD_0 src1_sel:DWORD
	v_cndmask_b32_e32 v2, v2, v23, vcc
	s_branch .LBB367_362
.LBB367_851:
	s_or_b64 exec, exec, s[12:13]
	v_accvgpr_read_b32 v22, a0
	v_accvgpr_read_b32 v30, a1
	;; [unrolled: 1-line block ×6, first 2 shown]
.LBB367_852:
	s_or_b64 exec, exec, s[8:9]
	ds_bpermute_b32 v0, v24, v20
	ds_bpermute_b32 v1, v24, v21
	;; [unrolled: 1-line block ×4, first 2 shown]
	v_and_b32_e32 v4, 0x3c1, v31
	v_cmp_eq_u32_e32 vcc, 64, v4
	s_waitcnt lgkmcnt(0)
	v_pk_add_f32 v[0:1], v[20:21], v[0:1]
	v_pk_add_f32 v[2:3], v[12:13], v[2:3]
	s_barrier
	s_and_saveexec_b64 s[6:7], vcc
	s_cbranch_execz .LBB367_854
; %bb.853:
	s_ashr_i32 s23, s22, 31
	s_lshl_b64 s[8:9], s[22:23], 2
	s_getpc_b64 s[10:11]
	s_add_u32 s10, s10, llvm.amdgcn.dynlds.offset.table@rel32@lo+4
	s_addc_u32 s11, s11, llvm.amdgcn.dynlds.offset.table@rel32@hi+12
	s_add_u32 s8, s8, s10
	s_addc_u32 s9, s9, s11
	s_load_dword s8, s[8:9], 0x0
	s_waitcnt lgkmcnt(0)
	v_lshl_add_u32 v4, v23, 1, s8
	ds_write2_b32 v4, v0, v1 offset1:32
	ds_write2_b32 v4, v2, v3 offset0:64 offset1:96
.LBB367_854:
	s_or_b64 exec, exec, s[6:7]
	s_waitcnt lgkmcnt(0)
	s_barrier
	s_and_saveexec_b64 s[6:7], s[4:5]
	s_cbranch_execz .LBB367_861
; %bb.855:
	v_cmp_eq_u32_e32 vcc, 0, v6
	v_lshrrev_b32_e32 v4, 1, v31
	s_and_saveexec_b64 s[8:9], vcc
	s_cbranch_execnz .LBB367_881
; %bb.856:
	s_or_b64 exec, exec, s[8:9]
	s_and_saveexec_b64 s[8:9], vcc
	s_cbranch_execnz .LBB367_882
.LBB367_857:
	s_or_b64 exec, exec, s[8:9]
	s_and_saveexec_b64 s[8:9], vcc
	s_cbranch_execnz .LBB367_883
.LBB367_858:
	s_or_b64 exec, exec, s[8:9]
	s_and_saveexec_b64 s[8:9], vcc
	s_cbranch_execz .LBB367_860
.LBB367_859:
	s_ashr_i32 s23, s22, 31
	s_lshl_b64 s[10:11], s[22:23], 2
	s_getpc_b64 s[12:13]
	s_add_u32 s12, s12, llvm.amdgcn.dynlds.offset.table@rel32@lo+4
	s_addc_u32 s13, s13, llvm.amdgcn.dynlds.offset.table@rel32@hi+12
	s_add_u32 s10, s10, s12
	s_addc_u32 s11, s11, s13
	s_load_dword s10, s[10:11], 0x0
	s_waitcnt lgkmcnt(0)
	v_lshl_add_u32 v4, v4, 2, s10
	ds_read_b32 v4, v4 offset:384
	s_waitcnt lgkmcnt(0)
	v_add_f32_e32 v3, v3, v4
.LBB367_860:
	s_or_b64 exec, exec, s[8:9]
.LBB367_861:
	s_or_b64 exec, exec, s[6:7]
	s_barrier
	s_and_b64 exec, exec, s[4:5]
	s_cbranch_execz .LBB367_880
; %bb.862:
	v_cmp_eq_u32_e32 vcc, 0, v6
	s_and_b64 exec, exec, vcc
	s_cbranch_execz .LBB367_880
; %bb.863:
	s_mov_b32 s4, 0x7f800000
	v_and_b32_e32 v4, 0x7f800000, v0
	v_cmp_ne_u32_e32 vcc, s4, v4
                                        ; implicit-def: $vgpr6
	s_and_saveexec_b64 s[4:5], vcc
	s_xor_b64 s[4:5], exec, s[4:5]
; %bb.864:
	v_bfe_u32 v4, v0, 16, 1
	s_movk_i32 s6, 0x7fff
	v_add3_u32 v6, v0, v4, s6
; %bb.865:
	s_andn2_saveexec_b64 s[4:5], s[4:5]
; %bb.866:
	v_mov_b32_e32 v4, 0
	v_or_b32_e32 v5, 0x10000, v0
	v_cmp_eq_u32_sdwa vcc, v0, v4 src0_sel:WORD_0 src1_sel:DWORD
	v_cndmask_b32_e32 v6, v5, v0, vcc
; %bb.867:
	s_or_b64 exec, exec, s[4:5]
	s_mul_i32 s4, s25, s20
	s_mul_i32 s4, s4, s21
	s_lshl_b32 s4, s4, 7
	s_mul_i32 s6, s24, s25
	s_lshl_b32 s8, s14, 7
	s_ashr_i32 s5, s4, 31
	s_ashr_i32 s7, s6, 31
	;; [unrolled: 1-line block ×3, first 2 shown]
	s_lshl_b64 s[4:5], s[4:5], 1
	s_lshl_b64 s[6:7], s[6:7], 1
	;; [unrolled: 1-line block ×3, first 2 shown]
	s_add_u32 s6, s8, s6
	s_addc_u32 s7, s9, s7
	s_add_u32 s4, s6, s4
	s_addc_u32 s5, s7, s5
	v_mov_b32_e32 v0, s5
	v_add_co_u32_e32 v4, vcc, s4, v30
	v_addc_co_u32_e32 v0, vcc, v0, v22, vcc
	v_and_b32_e32 v5, 0x3fe, v31
	v_add_co_u32_e32 v4, vcc, v4, v5
	v_addc_co_u32_e32 v5, vcc, 0, v0, vcc
	s_mov_b32 s4, 0x7f800000
	v_and_b32_e32 v0, 0x7f800000, v1
	v_cmp_ne_u32_e32 vcc, s4, v0
	flat_store_short_d16_hi v[4:5], v6
                                        ; implicit-def: $vgpr0
	s_and_saveexec_b64 s[4:5], vcc
	s_xor_b64 s[4:5], exec, s[4:5]
; %bb.868:
	v_bfe_u32 v0, v1, 16, 1
	s_movk_i32 s6, 0x7fff
	v_add3_u32 v0, v1, v0, s6
; %bb.869:
	s_andn2_saveexec_b64 s[4:5], s[4:5]
; %bb.870:
	v_mov_b32_e32 v0, 0
	v_or_b32_e32 v6, 0x10000, v1
	v_cmp_eq_u32_sdwa vcc, v1, v0 src0_sel:WORD_0 src1_sel:DWORD
	v_cndmask_b32_e32 v0, v6, v1, vcc
; %bb.871:
	s_or_b64 exec, exec, s[4:5]
	flat_store_short_d16_hi v[4:5], v0 offset:64
	s_mov_b32 s4, 0x7f800000
	v_and_b32_e32 v0, 0x7f800000, v2
	v_cmp_ne_u32_e32 vcc, s4, v0
                                        ; implicit-def: $vgpr0
	s_and_saveexec_b64 s[4:5], vcc
	s_xor_b64 s[4:5], exec, s[4:5]
; %bb.872:
	v_bfe_u32 v0, v2, 16, 1
	s_movk_i32 s6, 0x7fff
	v_add3_u32 v0, v2, v0, s6
; %bb.873:
	s_andn2_saveexec_b64 s[4:5], s[4:5]
; %bb.874:
	v_mov_b32_e32 v0, 0
	v_or_b32_e32 v1, 0x10000, v2
	v_cmp_eq_u32_sdwa vcc, v2, v0 src0_sel:WORD_0 src1_sel:DWORD
	v_cndmask_b32_e32 v0, v1, v2, vcc
; %bb.875:
	s_or_b64 exec, exec, s[4:5]
	flat_store_short_d16_hi v[4:5], v0 offset:128
	s_mov_b32 s4, 0x7f800000
	v_and_b32_e32 v0, 0x7f800000, v3
	v_cmp_ne_u32_e32 vcc, s4, v0
                                        ; implicit-def: $vgpr6
	s_and_saveexec_b64 s[4:5], vcc
	s_xor_b64 s[4:5], exec, s[4:5]
; %bb.876:
	v_bfe_u32 v0, v3, 16, 1
	s_movk_i32 s6, 0x7fff
	v_add3_u32 v6, v3, v0, s6
                                        ; implicit-def: $vgpr0_vgpr1_vgpr2_vgpr3
; %bb.877:
	s_andn2_saveexec_b64 s[4:5], s[4:5]
; %bb.878:
	v_mov_b32_e32 v0, 0
	v_or_b32_e32 v1, 0x10000, v3
	v_cmp_eq_u32_sdwa vcc, v3, v0 src0_sel:WORD_0 src1_sel:DWORD
	v_cndmask_b32_e32 v6, v1, v3, vcc
; %bb.879:
	s_or_b64 exec, exec, s[4:5]
	flat_store_short_d16_hi v[4:5], v6 offset:192
.LBB367_880:
	s_or_b64 exec, exec, s[18:19]
	buffer_load_dword a52, off, s[0:3], s32 ; 4-byte Folded Reload
	buffer_load_dword a51, off, s[0:3], s32 offset:4 ; 4-byte Folded Reload
	buffer_load_dword a50, off, s[0:3], s32 offset:8 ; 4-byte Folded Reload
	;; [unrolled: 1-line block ×35, first 2 shown]
	v_readlane_b32 s30, v63, 8
	v_readlane_b32 s31, v63, 9
	;; [unrolled: 1-line block ×10, first 2 shown]
	s_or_saveexec_b64 s[4:5], -1
	buffer_load_dword v63, off, s[0:3], s32 offset:144 ; 4-byte Folded Reload
	s_mov_b64 exec, s[4:5]
	s_waitcnt vmcnt(0) lgkmcnt(0)
	s_setpc_b64 s[30:31]
.LBB367_881:
	s_ashr_i32 s23, s22, 31
	s_lshl_b64 s[10:11], s[22:23], 2
	s_getpc_b64 s[12:13]
	s_add_u32 s12, s12, llvm.amdgcn.dynlds.offset.table@rel32@lo+4
	s_addc_u32 s13, s13, llvm.amdgcn.dynlds.offset.table@rel32@hi+12
	s_add_u32 s10, s10, s12
	s_addc_u32 s11, s11, s13
	s_load_dword s10, s[10:11], 0x0
	s_waitcnt lgkmcnt(0)
	v_lshl_add_u32 v5, v4, 2, s10
	ds_read_b32 v5, v5
	s_waitcnt lgkmcnt(0)
	v_add_f32_e32 v0, v0, v5
	s_or_b64 exec, exec, s[8:9]
	s_and_saveexec_b64 s[8:9], vcc
	s_cbranch_execz .LBB367_857
.LBB367_882:
	s_ashr_i32 s23, s22, 31
	s_lshl_b64 s[10:11], s[22:23], 2
	s_getpc_b64 s[12:13]
	s_add_u32 s12, s12, llvm.amdgcn.dynlds.offset.table@rel32@lo+4
	s_addc_u32 s13, s13, llvm.amdgcn.dynlds.offset.table@rel32@hi+12
	s_add_u32 s10, s10, s12
	s_addc_u32 s11, s11, s13
	s_load_dword s10, s[10:11], 0x0
	s_waitcnt lgkmcnt(0)
	v_lshl_add_u32 v5, v4, 2, s10
	ds_read_b32 v5, v5 offset:128
	s_waitcnt lgkmcnt(0)
	v_add_f32_e32 v1, v1, v5
	s_or_b64 exec, exec, s[8:9]
	s_and_saveexec_b64 s[8:9], vcc
	s_cbranch_execz .LBB367_858
.LBB367_883:
	s_ashr_i32 s23, s22, 31
	s_lshl_b64 s[10:11], s[22:23], 2
	s_getpc_b64 s[12:13]
	s_add_u32 s12, s12, llvm.amdgcn.dynlds.offset.table@rel32@lo+4
	s_addc_u32 s13, s13, llvm.amdgcn.dynlds.offset.table@rel32@hi+12
	s_add_u32 s10, s10, s12
	s_addc_u32 s11, s11, s13
	s_load_dword s10, s[10:11], 0x0
	s_waitcnt lgkmcnt(0)
	v_lshl_add_u32 v5, v4, 2, s10
	ds_read_b32 v5, v5 offset:256
	s_waitcnt lgkmcnt(0)
	v_add_f32_e32 v2, v2, v5
	s_or_b64 exec, exec, s[8:9]
	s_and_saveexec_b64 s[8:9], vcc
	s_cbranch_execnz .LBB367_859
	s_branch .LBB367_860
.Lfunc_end367:
	.size	_ZN4vllm22paged_attention_kernelI14__hip_bfloat16hLi128ELi16ELi128ELNS_18Fp8KVCacheDataTypeE1ELb0ELi512EEEvPfS3_PT_PKS4_PKT0_SA_ifPKiSC_iPKfiiiSE_SE_iiiii, .Lfunc_end367-_ZN4vllm22paged_attention_kernelI14__hip_bfloat16hLi128ELi16ELi128ELNS_18Fp8KVCacheDataTypeE1ELb0ELi512EEEvPfS3_PT_PKS4_PKT0_SA_ifPKiSC_iPKfiiiSE_SE_iiiii
                                        ; -- End function
	.section	.AMDGPU.csdata,"",@progbits
; Function info:
; codeLenInByte = 27504
; NumSgprs: 46
; NumVgprs: 64
; NumAgprs: 53
; TotalNumVgprs: 117
; ScratchSize: 152
; MemoryBound: 0
	.section	.text._ZN4vllm25paged_attention_v2_kernelI14__hip_bfloat16hLi128ELi16ELi128ELNS_18Fp8KVCacheDataTypeE1ELb0ELi512EEEvPfS3_PT_PKS4_PKT0_SA_ifPKiSC_iPKfiiiSE_SE_iiiii,"axG",@progbits,_ZN4vllm25paged_attention_v2_kernelI14__hip_bfloat16hLi128ELi16ELi128ELNS_18Fp8KVCacheDataTypeE1ELb0ELi512EEEvPfS3_PT_PKS4_PKT0_SA_ifPKiSC_iPKfiiiSE_SE_iiiii,comdat
	.protected	_ZN4vllm25paged_attention_v2_kernelI14__hip_bfloat16hLi128ELi16ELi128ELNS_18Fp8KVCacheDataTypeE1ELb0ELi512EEEvPfS3_PT_PKS4_PKT0_SA_ifPKiSC_iPKfiiiSE_SE_iiiii ; -- Begin function _ZN4vllm25paged_attention_v2_kernelI14__hip_bfloat16hLi128ELi16ELi128ELNS_18Fp8KVCacheDataTypeE1ELb0ELi512EEEvPfS3_PT_PKS4_PKT0_SA_ifPKiSC_iPKfiiiSE_SE_iiiii
	.globl	_ZN4vllm25paged_attention_v2_kernelI14__hip_bfloat16hLi128ELi16ELi128ELNS_18Fp8KVCacheDataTypeE1ELb0ELi512EEEvPfS3_PT_PKS4_PKT0_SA_ifPKiSC_iPKfiiiSE_SE_iiiii
	.p2align	8
	.type	_ZN4vllm25paged_attention_v2_kernelI14__hip_bfloat16hLi128ELi16ELi128ELNS_18Fp8KVCacheDataTypeE1ELb0ELi512EEEvPfS3_PT_PKS4_PKT0_SA_ifPKiSC_iPKfiiiSE_SE_iiiii,@function
_ZN4vllm25paged_attention_v2_kernelI14__hip_bfloat16hLi128ELi16ELi128ELNS_18Fp8KVCacheDataTypeE1ELb0ELi512EEEvPfS3_PT_PKS4_PKT0_SA_ifPKiSC_iPKfiiiSE_SE_iiiii: ; @_ZN4vllm25paged_attention_v2_kernelI14__hip_bfloat16hLi128ELi16ELi128ELNS_18Fp8KVCacheDataTypeE1ELb0ELi512EEEvPfS3_PT_PKS4_PKT0_SA_ifPKiSC_iPKfiiiSE_SE_iiiii
; %bb.0:
	s_add_u32 flat_scratch_lo, s6, s11
	s_addc_u32 flat_scratch_hi, s7, 0
	s_add_u32 s0, s0, s11
	s_load_dwordx8 s[24:31], s[4:5], 0x0
	s_load_dwordx8 s[16:23], s[4:5], 0x20
	s_load_dwordx2 s[6:7], s[4:5], 0x40
	s_load_dwordx2 s[34:35], s[4:5], 0x50
	s_load_dword s11, s[4:5], 0x48
	s_load_dwordx8 s[36:43], s[4:5], 0x58
	s_addc_u32 s1, s1, 0
	s_mov_b32 s12, s8
	s_add_u32 s8, s4, 0x90
	s_mov_b32 s13, s9
	s_addc_u32 s9, s5, 0
	s_mov_b32 s14, s10
	s_mov_b32 s15, 8
	v_mov_b32_e32 v31, v0
	s_waitcnt lgkmcnt(0)
	v_mov_b32_e32 v0, s24
	v_mov_b32_e32 v1, s25
	v_mov_b32_e32 v2, s26
	v_mov_b32_e32 v3, s27
	v_mov_b32_e32 v4, s28
	v_mov_b32_e32 v5, s29
	v_mov_b32_e32 v6, s30
	v_mov_b32_e32 v7, s31
	v_mov_b32_e32 v8, s16
	v_mov_b32_e32 v9, s17
	v_mov_b32_e32 v10, s18
	v_mov_b32_e32 v11, s19
	v_mov_b32_e32 v12, s20
	v_mov_b32_e32 v13, s21
	v_mov_b32_e32 v14, s22
	v_mov_b32_e32 v15, s23
	v_mov_b32_e32 v16, s6
	v_mov_b32_e32 v17, s7
	v_mov_b32_e32 v18, s11
	v_mov_b32_e32 v19, s34
	v_mov_b32_e32 v20, s35
	v_mov_b32_e32 v21, s36
	v_mov_b32_e32 v22, s37
	v_mov_b32_e32 v23, s38
	v_mov_b32_e32 v24, s40
	v_mov_b32_e32 v25, s41
	v_mov_b32_e32 v26, s42
	v_mov_b32_e32 v27, s43
	s_mov_b32 s32, 0
	s_getpc_b64 s[4:5]
	s_add_u32 s4, s4, _ZN4vllm22paged_attention_kernelI14__hip_bfloat16hLi128ELi16ELi128ELNS_18Fp8KVCacheDataTypeE1ELb0ELi512EEEvPfS3_PT_PKS4_PKT0_SA_ifPKiSC_iPKfiiiSE_SE_iiiii@rel32@lo+4
	s_addc_u32 s5, s5, _ZN4vllm22paged_attention_kernelI14__hip_bfloat16hLi128ELi16ELi128ELNS_18Fp8KVCacheDataTypeE1ELb0ELi512EEEvPfS3_PT_PKS4_PKT0_SA_ifPKiSC_iPKfiiiSE_SE_iiiii@rel32@hi+12
	s_swappc_b64 s[30:31], s[4:5]
	s_endpgm
	.section	.rodata,"a",@progbits
	.p2align	6, 0x0
	.amdhsa_kernel _ZN4vllm25paged_attention_v2_kernelI14__hip_bfloat16hLi128ELi16ELi128ELNS_18Fp8KVCacheDataTypeE1ELb0ELi512EEEvPfS3_PT_PKS4_PKT0_SA_ifPKiSC_iPKfiiiSE_SE_iiiii
		.amdhsa_group_segment_fixed_size 272
		.amdhsa_private_segment_fixed_size 152
		.amdhsa_kernarg_size 400
		.amdhsa_user_sgpr_count 8
		.amdhsa_user_sgpr_private_segment_buffer 1
		.amdhsa_user_sgpr_dispatch_ptr 0
		.amdhsa_user_sgpr_queue_ptr 0
		.amdhsa_user_sgpr_kernarg_segment_ptr 1
		.amdhsa_user_sgpr_dispatch_id 0
		.amdhsa_user_sgpr_flat_scratch_init 1
		.amdhsa_user_sgpr_kernarg_preload_length 0
		.amdhsa_user_sgpr_kernarg_preload_offset 0
		.amdhsa_user_sgpr_private_segment_size 0
		.amdhsa_uses_dynamic_stack 0
		.amdhsa_system_sgpr_private_segment_wavefront_offset 1
		.amdhsa_system_sgpr_workgroup_id_x 1
		.amdhsa_system_sgpr_workgroup_id_y 1
		.amdhsa_system_sgpr_workgroup_id_z 1
		.amdhsa_system_sgpr_workgroup_info 0
		.amdhsa_system_vgpr_workitem_id 0
		.amdhsa_next_free_vgpr 117
		.amdhsa_next_free_sgpr 44
		.amdhsa_accum_offset 64
		.amdhsa_reserve_vcc 1
		.amdhsa_reserve_flat_scratch 1
		.amdhsa_float_round_mode_32 0
		.amdhsa_float_round_mode_16_64 0
		.amdhsa_float_denorm_mode_32 3
		.amdhsa_float_denorm_mode_16_64 3
		.amdhsa_dx10_clamp 1
		.amdhsa_ieee_mode 1
		.amdhsa_fp16_overflow 0
		.amdhsa_tg_split 0
		.amdhsa_exception_fp_ieee_invalid_op 0
		.amdhsa_exception_fp_denorm_src 0
		.amdhsa_exception_fp_ieee_div_zero 0
		.amdhsa_exception_fp_ieee_overflow 0
		.amdhsa_exception_fp_ieee_underflow 0
		.amdhsa_exception_fp_ieee_inexact 0
		.amdhsa_exception_int_div_zero 0
	.end_amdhsa_kernel
	.section	.text._ZN4vllm25paged_attention_v2_kernelI14__hip_bfloat16hLi128ELi16ELi128ELNS_18Fp8KVCacheDataTypeE1ELb0ELi512EEEvPfS3_PT_PKS4_PKT0_SA_ifPKiSC_iPKfiiiSE_SE_iiiii,"axG",@progbits,_ZN4vllm25paged_attention_v2_kernelI14__hip_bfloat16hLi128ELi16ELi128ELNS_18Fp8KVCacheDataTypeE1ELb0ELi512EEEvPfS3_PT_PKS4_PKT0_SA_ifPKiSC_iPKfiiiSE_SE_iiiii,comdat
.Lfunc_end368:
	.size	_ZN4vllm25paged_attention_v2_kernelI14__hip_bfloat16hLi128ELi16ELi128ELNS_18Fp8KVCacheDataTypeE1ELb0ELi512EEEvPfS3_PT_PKS4_PKT0_SA_ifPKiSC_iPKfiiiSE_SE_iiiii, .Lfunc_end368-_ZN4vllm25paged_attention_v2_kernelI14__hip_bfloat16hLi128ELi16ELi128ELNS_18Fp8KVCacheDataTypeE1ELb0ELi512EEEvPfS3_PT_PKS4_PKT0_SA_ifPKiSC_iPKfiiiSE_SE_iiiii
                                        ; -- End function
	.section	.AMDGPU.csdata,"",@progbits
; Kernel info:
; codeLenInByte = 244
; NumSgprs: 50
; NumVgprs: 64
; NumAgprs: 53
; TotalNumVgprs: 117
; ScratchSize: 152
; MemoryBound: 0
; FloatMode: 240
; IeeeMode: 1
; LDSByteSize: 272 bytes/workgroup (compile time only)
; SGPRBlocks: 6
; VGPRBlocks: 14
; NumSGPRsForWavesPerEU: 50
; NumVGPRsForWavesPerEU: 117
; AccumOffset: 64
; Occupancy: 4
; WaveLimiterHint : 1
; COMPUTE_PGM_RSRC2:SCRATCH_EN: 1
; COMPUTE_PGM_RSRC2:USER_SGPR: 8
; COMPUTE_PGM_RSRC2:TRAP_HANDLER: 0
; COMPUTE_PGM_RSRC2:TGID_X_EN: 1
; COMPUTE_PGM_RSRC2:TGID_Y_EN: 1
; COMPUTE_PGM_RSRC2:TGID_Z_EN: 1
; COMPUTE_PGM_RSRC2:TIDIG_COMP_CNT: 0
; COMPUTE_PGM_RSRC3_GFX90A:ACCUM_OFFSET: 15
; COMPUTE_PGM_RSRC3_GFX90A:TG_SPLIT: 0
	.text
	.p2align	2                               ; -- Begin function _ZN4vllm22paged_attention_kernelI14__hip_bfloat16hLi192ELi16ELi128ELNS_18Fp8KVCacheDataTypeE1ELb0ELi512EEEvPfS3_PT_PKS4_PKT0_SA_ifPKiSC_iPKfiiiSE_SE_iiiii
	.type	_ZN4vllm22paged_attention_kernelI14__hip_bfloat16hLi192ELi16ELi128ELNS_18Fp8KVCacheDataTypeE1ELb0ELi512EEEvPfS3_PT_PKS4_PKT0_SA_ifPKiSC_iPKfiiiSE_SE_iiiii,@function
_ZN4vllm22paged_attention_kernelI14__hip_bfloat16hLi192ELi16ELi128ELNS_18Fp8KVCacheDataTypeE1ELb0ELi512EEEvPfS3_PT_PKS4_PKT0_SA_ifPKiSC_iPKfiiiSE_SE_iiiii: ; @_ZN4vllm22paged_attention_kernelI14__hip_bfloat16hLi192ELi16ELi128ELNS_18Fp8KVCacheDataTypeE1ELb0ELi512EEEvPfS3_PT_PKS4_PKT0_SA_ifPKiSC_iPKfiiiSE_SE_iiiii
; %bb.0:
	s_waitcnt vmcnt(0) expcnt(0) lgkmcnt(0)
	s_or_saveexec_b64 s[4:5], -1
	buffer_store_dword v63, off, s[0:3], s32 offset:264 ; 4-byte Folded Spill
	s_mov_b64 exec, s[4:5]
	buffer_store_dword v40, off, s[0:3], s32 offset:184 ; 4-byte Folded Spill
	buffer_store_dword v41, off, s[0:3], s32 offset:180 ; 4-byte Folded Spill
	;; [unrolled: 1-line block ×46, first 2 shown]
	buffer_store_dword a63, off, s[0:3], s32 ; 4-byte Folded Spill
	v_writelane_b32 v63, s34, 0
	v_writelane_b32 v63, s35, 1
	;; [unrolled: 1-line block ×8, first 2 shown]
	s_mov_b32 s18, s13
	s_ashr_i32 s19, s13, 31
	s_lshl_b64 s[4:5], s[18:19], 2
	v_mov_b32_e32 v33, v1
	v_mov_b32_e32 v34, v0
	;; [unrolled: 1-line block ×3, first 2 shown]
	v_add_co_u32_e32 v0, vcc, s4, v16
	buffer_store_dword v5, off, s[0:3], s32 offset:200 ; 4-byte Folded Spill
	buffer_store_dword v4, off, s[0:3], s32 offset:204 ; 4-byte Folded Spill
	v_addc_co_u32_e32 v1, vcc, v17, v1, vcc
	flat_load_dword v32, v[0:1]
	v_accvgpr_write_b32 a22, v24
	s_lshl_b32 s36, s14, 9
	v_accvgpr_write_b32 a23, v25
	v_accvgpr_write_b32 a4, v22
	v_mov_b32_e32 v29, v20
	v_mov_b32_e32 v28, v19
	;; [unrolled: 1-line block ×6, first 2 shown]
	s_waitcnt vmcnt(0) lgkmcnt(0)
	v_cmp_lt_i32_e32 vcc, s36, v32
	s_and_saveexec_b64 s[16:17], vcc
	s_cbranch_execz .LBB369_1278
; %bb.1:
	v_sub_u32_e32 v0, 0, v12
	v_max_i32_e32 v0, v12, v0
	v_cvt_f32_u32_e32 v1, v0
	s_load_dword s4, s[8:9], 0x10
	s_load_dword s6, s[8:9], 0x0
	v_sub_u32_e32 v3, 0, v0
	s_mov_b32 s20, s15
	v_rcp_iflag_f32_e32 v1, v1
	s_waitcnt lgkmcnt(0)
	s_lshr_b32 s4, s4, 16
	s_cmp_lg_u32 s4, 0
	s_cselect_b64 s[4:5], -1, 0
	v_mul_f32_e32 v1, 0x4f7ffffe, v1
	v_cvt_u32_f32_e32 v1, v1
	s_cmp_lg_u64 s[4:5], 0
	s_addc_u32 s19, s6, 0
	s_abs_i32 s4, s19
	v_mul_lo_u32 v3, v3, v1
	v_mul_hi_u32 v3, v1, v3
	v_add_u32_e32 v1, v1, v3
	v_mul_hi_u32 v1, s4, v1
	v_mul_lo_u32 v3, v1, v0
	v_sub_u32_e32 v3, s4, v3
	v_add_u32_e32 v4, 1, v1
	v_cmp_ge_u32_e32 vcc, v3, v0
	v_cndmask_b32_e32 v1, v1, v4, vcc
	v_sub_u32_e32 v4, v3, v0
	v_cndmask_b32_e32 v3, v3, v4, vcc
	v_xor_b32_e32 v2, s19, v12
	v_add_u32_e32 v4, 1, v1
	v_cmp_ge_u32_e32 vcc, v3, v0
	v_ashrrev_i32_e32 v2, 31, v2
	v_cndmask_b32_e32 v0, v1, v4, vcc
	v_xor_b32_e32 v0, v0, v2
	v_sub_u32_e32 v0, v0, v2
	v_sub_u32_e32 v1, 0, v0
	v_max_i32_e32 v1, v0, v1
	v_cvt_f32_u32_e32 v2, v1
	v_sub_u32_e32 v3, 0, v1
	s_abs_i32 s6, s12
	v_cmp_ne_u64_e32 vcc, 0, v[28:29]
	v_rcp_iflag_f32_e32 v2, v2
	v_mul_f32_e32 v2, 0x4f7ffffe, v2
	v_cvt_u32_f32_e32 v2, v2
	v_mul_lo_u32 v3, v3, v2
	v_mul_hi_u32 v3, v2, v3
	v_add_u32_e32 v2, v2, v3
	v_mad_u64_u32 v[16:17], s[4:5], s6, v2, 0
	v_mov_b32_e32 v2, 0
	buffer_store_dword v2, off, s[0:3], s32 offset:192 ; 4-byte Folded Spill
	s_and_saveexec_b64 s[4:5], vcc
	s_cbranch_execz .LBB369_3
; %bb.2:
	s_ashr_i32 s13, s12, 31
	s_lshl_b64 s[10:11], s[12:13], 2
	v_mov_b32_e32 v3, s11
	v_add_co_u32_e32 v2, vcc, s10, v28
	v_addc_co_u32_e32 v3, vcc, v29, v3, vcc
	flat_load_dword v2, v[2:3]
	s_waitcnt vmcnt(0) lgkmcnt(0)
	buffer_store_dword v2, off, s[0:3], s32 offset:192 ; 4-byte Folded Spill
.LBB369_3:
	s_or_b64 exec, exec, s[4:5]
	v_and_b32_e32 v14, 0x3ff, v31
	s_movk_i32 s10, 0x60
	s_ashr_i32 s7, s12, 31
	v_ashrrev_i32_e32 v2, 31, v0
	v_and_b32_e32 v0, 3, v14
	s_mul_i32 s22, s12, 0xc0
	v_cmp_gt_u32_e32 vcc, s10, v14
	s_and_saveexec_b64 s[4:5], vcc
	s_cbranch_execz .LBB369_5
; %bb.4:
	v_mul_lo_u32 v4, s18, v21
	v_ashrrev_i32_e32 v5, 31, v4
	v_lshlrev_b64 v[4:5], 1, v[4:5]
	v_add_co_u32_e32 v3, vcc, v6, v4
	s_ashr_i32 s23, s22, 31
	v_addc_co_u32_e32 v4, vcc, v7, v5, vcc
	s_lshl_b64 s[24:25], s[22:23], 1
	v_mov_b32_e32 v5, s25
	v_add_co_u32_e32 v3, vcc, s24, v3
	v_addc_co_u32_e32 v5, vcc, v4, v5, vcc
	v_lshlrev_b32_e32 v4, 2, v14
	v_add_co_u32_e32 v4, vcc, v3, v4
	v_addc_co_u32_e32 v5, vcc, 0, v5, vcc
	flat_load_dword v3, v[4:5]
	v_and_b32_e32 v4, 0x3fc, v14
	v_mad_u32_u24 v4, v0, s10, v4
	s_waitcnt vmcnt(0) lgkmcnt(0)
	ds_write_b32 v4, v3
.LBB369_5:
	s_or_b64 exec, exec, s[4:5]
	v_add_u32_e32 v3, 15, v32
	v_ashrrev_i32_e32 v4, 31, v3
	v_lshrrev_b32_e32 v4, 28, v4
	v_add_u32_e32 v3, v3, v4
	v_ashrrev_i32_e32 v29, 4, v3
	v_mul_lo_u32 v3, v17, v1
	v_sub_u32_e32 v3, s6, v3
	v_add_u32_e32 v4, 1, v17
	v_cmp_ge_u32_e32 vcc, v3, v1
	v_sub_u32_e32 v5, v3, v1
	v_cndmask_b32_e32 v4, v17, v4, vcc
	v_cndmask_b32_e32 v3, v3, v5, vcc
	s_lshl_b32 s15, s14, 5
	v_add_u32_e32 v5, 1, v4
	v_cmp_ge_u32_e32 vcc, v3, v1
	s_add_i32 s4, s15, 32
	v_lshrrev_b32_e32 v28, 6, v14
	v_xor_b32_e32 v2, s7, v2
	v_cndmask_b32_e32 v1, v4, v5, vcc
	v_min_i32_e32 v12, s4, v29
	v_xor_b32_e32 v1, v1, v2
	v_mul_lo_u32 v6, s18, v18
	v_or_b32_e32 v16, s15, v28
	v_sub_u32_e32 v2, v1, v2
	v_ashrrev_i32_e32 v7, 31, v6
	v_cmp_lt_i32_e64 s[4:5], v16, v12
	v_accvgpr_write_b32 a3, v12
	v_cmp_ge_i32_e32 vcc, v16, v12
	v_mbcnt_lo_u32_b32 v1, -1, 0
	s_waitcnt lgkmcnt(0)
	s_barrier
	s_waitcnt lgkmcnt(0)
                                        ; implicit-def: $sgpr21
                                        ; implicit-def: $vgpr20
                                        ; implicit-def: $vgpr21
	s_and_saveexec_b64 s[6:7], vcc
	s_xor_b64 s[6:7], exec, s[6:7]
; %bb.6:
	v_mbcnt_hi_u32_b32 v20, -1, v1
	v_and_b32_e32 v0, 64, v20
	v_add_u32_e32 v21, 64, v0
	s_mov_b32 s21, 0xff7fffff
                                        ; implicit-def: $vgpr0
                                        ; kill: killed $vgpr0
                                        ; implicit-def: $vgpr44
                                        ; implicit-def: $agpr22
                                        ; implicit-def: $vgpr8
                                        ; implicit-def: $vgpr9
                                        ; implicit-def: $vgpr0
                                        ; implicit-def: $vgpr1
; %bb.7:
	s_or_saveexec_b64 s[10:11], s[6:7]
	s_load_dword s23, s[8:9], 0x14
	s_load_dword s13, s[8:9], 0x8
	v_mul_lo_u32 v31, v2, v23
	v_mov_b32_e32 v3, s21
	v_ashrrev_i32_e32 v17, 31, v16
	v_ashrrev_i32_e32 v37, 31, v31
	v_lshlrev_b64 v[38:39], 2, v[6:7]
	buffer_store_dword v14, off, s[0:3], s32 offset:196 ; 4-byte Folded Spill
	s_xor_b64 exec, exec, s[10:11]
	s_cbranch_execz .LBB369_493
; %bb.8:
	buffer_store_dword v29, off, s[0:3], s32 offset:208 ; 4-byte Folded Spill
	buffer_store_dword v36, off, s[0:3], s32 offset:240 ; 4-byte Folded Spill
	;; [unrolled: 1-line block ×6, first 2 shown]
	s_nop 0
	buffer_store_dword v27, off, s[0:3], s32 offset:256 ; 4-byte Folded Spill
	v_mul_u32_u24_e32 v6, 0x60, v0
	v_accvgpr_write_b32 a10, v10
	v_accvgpr_write_b32 a7, v11
	ds_read_b128 v[2:5], v6
	ds_read_b128 v[10:13], v6 offset:16
	ds_read_b128 v[18:21], v6 offset:32
	ds_read_b128 v[22:25], v6 offset:48
	buffer_store_dword v31, off, s[0:3], s32 offset:212 ; 4-byte Folded Spill
	s_waitcnt lgkmcnt(0)
	v_lshlrev_b32_e32 v7, 16, v2
	v_and_b32_e32 v2, 0xffff0000, v2
	v_accvgpr_write_b32 a27, v2
	v_lshlrev_b32_e32 v2, 16, v3
	v_accvgpr_write_b32 a28, v2
	v_and_b32_e32 v2, 0xffff0000, v3
	v_accvgpr_write_b32 a29, v2
	v_lshlrev_b32_e32 v2, 16, v4
	v_accvgpr_write_b32 a30, v2
	;; [unrolled: 4-line block ×14, first 2 shown]
	ds_read_b128 v[2:5], v6 offset:64
	ds_read_b128 v[10:13], v6 offset:80
	buffer_store_dword v37, off, s[0:3], s32 offset:216 ; 4-byte Folded Spill
	s_ashr_i32 s21, s20, 31
	v_accvgpr_write_b32 a26, v7
	s_waitcnt lgkmcnt(1)
	v_lshlrev_b32_e32 v6, 16, v2
	v_and_b32_e32 v2, 0xffff0000, v2
	v_accvgpr_write_b32 a59, v2
	v_lshlrev_b32_e32 v2, 16, v3
	v_accvgpr_write_b32 a60, v2
	v_and_b32_e32 v2, 0xffff0000, v3
	v_accvgpr_write_b32 a61, v2
	v_lshlrev_b32_e32 v2, 16, v4
	v_accvgpr_write_b32 a62, v2
	;; [unrolled: 4-line block ×3, first 2 shown]
	v_and_b32_e32 v2, 0xffff0000, v5
	v_accvgpr_write_b32 a17, v2
	s_waitcnt lgkmcnt(0)
	v_lshlrev_b32_e32 v2, 16, v10
	v_accvgpr_write_b32 a20, v2
	v_and_b32_e32 v2, 0xffff0000, v10
	v_accvgpr_write_b32 a18, v2
	v_lshlrev_b32_e32 v2, 16, v11
	v_accvgpr_write_b32 a19, v2
	v_and_b32_e32 v2, 0xffff0000, v11
	v_accvgpr_write_b32 a25, v2
	;; [unrolled: 4-line block ×4, first 2 shown]
	v_add_co_u32_e32 v2, vcc, v8, v31
	v_bfe_u32 v4, v14, 2, 4
	v_addc_co_u32_e32 v3, vcc, v9, v37, vcc
	v_lshlrev_b32_e32 v5, 4, v4
	v_add_co_u32_e32 v2, vcc, v2, v5
	v_addc_co_u32_e32 v3, vcc, 0, v3, vcc
	v_accvgpr_write_b32 a13, v3
	v_accvgpr_write_b32 a12, v2
	v_lshlrev_b64 v[2:3], 2, v[16:17]
	v_add_co_u32_e32 v2, vcc, v38, v2
	buffer_store_dword v38, off, s[0:3], s32 offset:220 ; 4-byte Folded Spill
	s_nop 0
	buffer_store_dword v39, off, s[0:3], s32 offset:224 ; 4-byte Folded Spill
	v_and_b32_e32 v7, 0xffff0000, v24
	s_lshl_b64 s[8:9], s[20:21], 2
	v_accvgpr_write_b32 a55, v7
	v_lshlrev_b32_e32 v7, 16, v25
	s_getpc_b64 s[24:25]
	s_add_u32 s24, s24, llvm.amdgcn.dynlds.offset.table@rel32@lo+4
	s_addc_u32 s25, s25, llvm.amdgcn.dynlds.offset.table@rel32@hi+12
	v_accvgpr_write_b32 a56, v7
	v_and_b32_e32 v7, 0xffff0000, v25
	s_add_u32 s24, s8, s24
	v_accvgpr_write_b32 a57, v7
	v_accvgpr_write_b32 a58, v6
	;; [unrolled: 1-line block ×4, first 2 shown]
	s_addc_u32 s25, s9, s25
	s_mov_b64 s[26:27], 0
	s_movk_i32 s21, 0x80
	s_movk_i32 s37, 0x7f
	s_mov_b32 s38, 0x7f800000
	s_movk_i32 s39, 0x7fff
	v_mov_b32_e32 v55, 0
	v_bfrev_b32_e32 v40, 60
	v_mov_b32_e32 v41, v16
	v_accvgpr_write_b32 a21, v44
	buffer_store_dword v28, off, s[0:3], s32 offset:236 ; 4-byte Folded Spill
	v_addc_co_u32_e32 v3, vcc, v39, v3, vcc
	v_add_co_u32_e32 v18, vcc, v30, v2
	v_mbcnt_hi_u32_b32 v2, -1, v1
	v_and_b32_e32 v1, 64, v2
	v_addc_co_u32_e32 v19, vcc, v15, v3, vcc
	v_add_u32_e32 v3, 64, v1
	v_xor_b32_e32 v1, 2, v2
	v_cmp_lt_i32_e32 vcc, v1, v3
	v_cndmask_b32_e32 v1, v2, v1, vcc
	v_lshlrev_b32_e32 v1, 2, v1
	v_accvgpr_write_b32 a1, v1
	v_xor_b32_e32 v1, 1, v2
	v_cmp_lt_i32_e32 vcc, v1, v3
	v_cndmask_b32_e32 v1, v2, v1, vcc
	v_lshlrev_b32_e32 v1, 2, v1
	v_accvgpr_write_b32 a11, v1
	buffer_load_dword v1, off, s[0:3], s32 offset:192 ; 4-byte Folded Reload
	v_cmp_eq_u32_e32 vcc, 0, v0
	v_lshlrev_b32_e32 v0, 1, v0
	v_accvgpr_write_b32 a8, v0
	v_sub_u32_e32 v0, 1, v32
	v_accvgpr_write_b32 a9, v0
	v_mov_b32_e32 v0, 0xff7fffff
	buffer_store_dword v3, off, s[0:3], s32 offset:228 ; 4-byte Folded Spill
	buffer_store_dword v2, off, s[0:3], s32 offset:232 ; 4-byte Folded Spill
	;; [unrolled: 1-line block ×3, first 2 shown]
	s_waitcnt vmcnt(3)
	v_cmp_neq_f32_e64 s[6:7], 0, v1
	v_lshlrev_b32_e32 v1, 4, v28
	v_add3_u32 v53, s36, v1, v4
	v_lshlrev_b32_e32 v1, 2, v4
	v_lshl_or_b32 v54, v28, 6, v1
	s_branch .LBB369_10
.LBB369_9:                              ;   in Loop: Header=BB369_10 Depth=1
	s_or_b64 exec, exec, s[28:29]
	v_add_co_u32_e64 v18, s[8:9], 8, v18
	v_add_u32_e32 v41, 2, v41
	v_addc_co_u32_e64 v19, s[8:9], 0, v19, s[8:9]
	v_accvgpr_read_b32 v0, a3
	v_cmp_ge_i32_e64 s[8:9], v41, v0
	v_add_u32_e32 v53, 32, v53
	s_or_b64 s[26:27], s[8:9], s[26:27]
	v_add_u32_e32 v54, 0x80, v54
	s_andn2_b64 exec, exec, s[26:27]
	s_cbranch_execz .LBB369_492
.LBB369_10:                             ; =>This Inner Loop Header: Depth=1
	flat_load_dword v0, v[18:19]
	v_accvgpr_read_b32 v4, a12
	v_accvgpr_read_b32 v2, a4
	;; [unrolled: 1-line block ×3, first 2 shown]
	s_waitcnt vmcnt(0) lgkmcnt(0)
	v_mad_i64_i32 v[0:1], s[8:9], v0, v2, v[4:5]
	v_accvgpr_read_b32 v2, a8
	v_add_co_u32_e64 v20, s[8:9], v0, v2
	v_addc_co_u32_e64 v21, s[8:9], 0, v1, s[8:9]
	v_accvgpr_read_b32 v2, a22
	flat_load_ushort v0, v[20:21]
	v_accvgpr_read_b32 v3, a23
	flat_load_dword v43, v[2:3]
	s_waitcnt vmcnt(0) lgkmcnt(0)
	v_and_b32_e32 v28, 0xffff, v0
	v_cmp_ne_u16_sdwa s[8:9], v0, v55 src0_sel:BYTE_0 src1_sel:DWORD
	v_mov_b32_e32 v0, 0
	s_and_saveexec_b64 s[28:29], s[8:9]
	s_cbranch_execz .LBB369_16
; %bb.11:                               ;   in Loop: Header=BB369_10 Depth=1
	v_cmp_ne_u16_sdwa s[8:9], v28, s21 src0_sel:BYTE_0 src1_sel:DWORD
	v_bfrev_b32_e32 v0, 1
	s_and_saveexec_b64 s[30:31], s[8:9]
	s_cbranch_execz .LBB369_15
; %bb.12:                               ;   in Loop: Header=BB369_10 Depth=1
	v_and_b32_e32 v1, 0x7f, v28
	v_cmp_ne_u32_e64 s[8:9], s37, v1
	v_mov_b32_e32 v0, 0x7f800001
	s_and_saveexec_b64 s[34:35], s[8:9]
	s_cbranch_execz .LBB369_14
; %bb.13:                               ;   in Loop: Header=BB369_10 Depth=1
	v_and_b32_e32 v0, 7, v28
	v_ffbh_u32_e32 v2, v0
	v_min_u32_e32 v5, 32, v2
	v_subrev_u32_e32 v2, 28, v5
	v_lshlrev_b64 v[2:3], v2, v[28:29]
	v_lshrrev_b32_e32 v4, 3, v1
	v_sub_u32_e32 v3, 29, v5
	v_and_b32_e32 v2, 7, v2
	v_cmp_gt_u32_e64 s[8:9], 8, v1
	v_cndmask_b32_e64 v1, v4, v3, s[8:9]
	v_cndmask_b32_e64 v0, v0, v2, s[8:9]
	v_lshlrev_b32_e32 v2, 24, v28
	v_lshlrev_b32_e32 v0, 20, v0
	v_and_b32_e32 v2, 0x80000000, v2
	v_lshl_add_u32 v1, v1, 23, v40
	v_or3_b32 v0, v2, v1, v0
.LBB369_14:                             ;   in Loop: Header=BB369_10 Depth=1
	s_or_b64 exec, exec, s[34:35]
.LBB369_15:                             ;   in Loop: Header=BB369_10 Depth=1
	s_or_b64 exec, exec, s[30:31]
.LBB369_16:                             ;   in Loop: Header=BB369_10 Depth=1
	s_or_b64 exec, exec, s[28:29]
	v_mul_f32_e32 v0, v43, v0
	v_and_b32_e32 v1, 0x7f800000, v0
	v_cmp_ne_u32_e64 s[8:9], s38, v1
                                        ; implicit-def: $vgpr42
	s_and_saveexec_b64 s[28:29], s[8:9]
	s_xor_b64 s[8:9], exec, s[28:29]
; %bb.17:                               ;   in Loop: Header=BB369_10 Depth=1
	v_bfe_u32 v1, v0, 16, 1
	v_add3_u32 v42, v0, v1, s39
                                        ; implicit-def: $vgpr0
; %bb.18:                               ;   in Loop: Header=BB369_10 Depth=1
	s_andn2_saveexec_b64 s[28:29], s[8:9]
; %bb.19:                               ;   in Loop: Header=BB369_10 Depth=1
	v_or_b32_e32 v1, 0x10000, v0
	v_cmp_eq_u32_sdwa s[8:9], v0, v55 src0_sel:WORD_0 src1_sel:DWORD
	v_cndmask_b32_e64 v42, v1, v0, s[8:9]
; %bb.20:                               ;   in Loop: Header=BB369_10 Depth=1
	s_or_b64 exec, exec, s[28:29]
	v_lshrrev_b16_e32 v30, 8, v28
	v_cmp_ne_u16_e64 s[8:9], 0, v30
	v_mov_b32_e32 v0, 0
	s_and_saveexec_b64 s[28:29], s[8:9]
	s_cbranch_execz .LBB369_26
; %bb.21:                               ;   in Loop: Header=BB369_10 Depth=1
	v_cmp_ne_u16_e64 s[8:9], s21, v30
	v_bfrev_b32_e32 v0, 1
	s_and_saveexec_b64 s[30:31], s[8:9]
	s_cbranch_execz .LBB369_25
; %bb.22:                               ;   in Loop: Header=BB369_10 Depth=1
	v_and_b32_e32 v1, 0x7f, v30
	v_cmp_ne_u32_e64 s[8:9], s37, v1
	v_mov_b32_e32 v0, 0x7f800001
	s_and_saveexec_b64 s[34:35], s[8:9]
	s_cbranch_execz .LBB369_24
; %bb.23:                               ;   in Loop: Header=BB369_10 Depth=1
	v_and_b32_e32 v0, 7, v30
	v_ffbh_u32_e32 v2, v0
	v_min_u32_e32 v5, 32, v2
	v_subrev_u32_e32 v2, 28, v5
	v_lshlrev_b64 v[2:3], v2, v[30:31]
	v_lshrrev_b32_e32 v4, 3, v1
	v_sub_u32_e32 v3, 29, v5
	v_and_b32_e32 v2, 7, v2
	v_cmp_gt_u32_e64 s[8:9], 8, v1
	v_cndmask_b32_e64 v1, v4, v3, s[8:9]
	v_cndmask_b32_e64 v0, v0, v2, s[8:9]
	v_lshlrev_b32_e32 v2, 16, v28
	v_lshlrev_b32_e32 v0, 20, v0
	v_and_b32_e32 v2, 0x80000000, v2
	v_lshl_add_u32 v1, v1, 23, v40
	v_or3_b32 v0, v2, v1, v0
.LBB369_24:                             ;   in Loop: Header=BB369_10 Depth=1
	s_or_b64 exec, exec, s[34:35]
.LBB369_25:                             ;   in Loop: Header=BB369_10 Depth=1
	s_or_b64 exec, exec, s[30:31]
.LBB369_26:                             ;   in Loop: Header=BB369_10 Depth=1
	s_or_b64 exec, exec, s[28:29]
	v_mul_f32_e32 v0, v43, v0
	v_and_b32_e32 v1, 0x7f800000, v0
	v_cmp_ne_u32_e64 s[8:9], s38, v1
                                        ; implicit-def: $vgpr45
	s_and_saveexec_b64 s[28:29], s[8:9]
	s_xor_b64 s[8:9], exec, s[28:29]
; %bb.27:                               ;   in Loop: Header=BB369_10 Depth=1
	v_bfe_u32 v1, v0, 16, 1
	v_add3_u32 v45, v0, v1, s39
                                        ; implicit-def: $vgpr0
; %bb.28:                               ;   in Loop: Header=BB369_10 Depth=1
	s_andn2_saveexec_b64 s[28:29], s[8:9]
; %bb.29:                               ;   in Loop: Header=BB369_10 Depth=1
	v_or_b32_e32 v1, 0x10000, v0
	v_cmp_eq_u32_sdwa s[8:9], v0, v55 src0_sel:WORD_0 src1_sel:DWORD
	v_cndmask_b32_e64 v45, v1, v0, s[8:9]
; %bb.30:                               ;   in Loop: Header=BB369_10 Depth=1
	s_or_b64 exec, exec, s[28:29]
	flat_load_ushort v0, v[20:21] offset:8
	s_waitcnt vmcnt(0) lgkmcnt(0)
	v_and_b32_e32 v28, 0xffff, v0
	v_cmp_ne_u16_sdwa s[8:9], v0, v55 src0_sel:BYTE_0 src1_sel:DWORD
	v_mov_b32_e32 v0, 0
	s_and_saveexec_b64 s[28:29], s[8:9]
	s_cbranch_execz .LBB369_36
; %bb.31:                               ;   in Loop: Header=BB369_10 Depth=1
	v_cmp_ne_u16_sdwa s[8:9], v28, s21 src0_sel:BYTE_0 src1_sel:DWORD
	v_bfrev_b32_e32 v0, 1
	s_and_saveexec_b64 s[30:31], s[8:9]
	s_cbranch_execz .LBB369_35
; %bb.32:                               ;   in Loop: Header=BB369_10 Depth=1
	v_and_b32_e32 v1, 0x7f, v28
	v_cmp_ne_u32_e64 s[8:9], s37, v1
	v_mov_b32_e32 v0, 0x7f800001
	s_and_saveexec_b64 s[34:35], s[8:9]
	s_cbranch_execz .LBB369_34
; %bb.33:                               ;   in Loop: Header=BB369_10 Depth=1
	v_and_b32_e32 v0, 7, v28
	v_ffbh_u32_e32 v2, v0
	v_min_u32_e32 v5, 32, v2
	v_subrev_u32_e32 v2, 28, v5
	v_lshlrev_b64 v[2:3], v2, v[28:29]
	v_lshrrev_b32_e32 v4, 3, v1
	v_sub_u32_e32 v3, 29, v5
	v_and_b32_e32 v2, 7, v2
	v_cmp_gt_u32_e64 s[8:9], 8, v1
	v_cndmask_b32_e64 v1, v4, v3, s[8:9]
	v_cndmask_b32_e64 v0, v0, v2, s[8:9]
	v_lshlrev_b32_e32 v2, 24, v28
	v_lshlrev_b32_e32 v0, 20, v0
	v_and_b32_e32 v2, 0x80000000, v2
	v_lshl_add_u32 v1, v1, 23, v40
	v_or3_b32 v0, v2, v1, v0
.LBB369_34:                             ;   in Loop: Header=BB369_10 Depth=1
	s_or_b64 exec, exec, s[34:35]
.LBB369_35:                             ;   in Loop: Header=BB369_10 Depth=1
	s_or_b64 exec, exec, s[30:31]
.LBB369_36:                             ;   in Loop: Header=BB369_10 Depth=1
	s_or_b64 exec, exec, s[28:29]
	v_mul_f32_e32 v0, v43, v0
	v_and_b32_e32 v1, 0x7f800000, v0
	v_cmp_ne_u32_e64 s[8:9], s38, v1
                                        ; implicit-def: $vgpr46
	s_and_saveexec_b64 s[28:29], s[8:9]
	s_xor_b64 s[8:9], exec, s[28:29]
; %bb.37:                               ;   in Loop: Header=BB369_10 Depth=1
	v_bfe_u32 v1, v0, 16, 1
	v_add3_u32 v46, v0, v1, s39
                                        ; implicit-def: $vgpr0
; %bb.38:                               ;   in Loop: Header=BB369_10 Depth=1
	s_andn2_saveexec_b64 s[28:29], s[8:9]
; %bb.39:                               ;   in Loop: Header=BB369_10 Depth=1
	v_or_b32_e32 v1, 0x10000, v0
	v_cmp_eq_u32_sdwa s[8:9], v0, v55 src0_sel:WORD_0 src1_sel:DWORD
	v_cndmask_b32_e64 v46, v1, v0, s[8:9]
; %bb.40:                               ;   in Loop: Header=BB369_10 Depth=1
	s_or_b64 exec, exec, s[28:29]
	v_lshrrev_b16_e32 v30, 8, v28
	v_cmp_ne_u16_e64 s[8:9], 0, v30
	v_mov_b32_e32 v0, 0
	s_and_saveexec_b64 s[28:29], s[8:9]
	s_cbranch_execz .LBB369_46
; %bb.41:                               ;   in Loop: Header=BB369_10 Depth=1
	v_cmp_ne_u16_e64 s[8:9], s21, v30
	v_bfrev_b32_e32 v0, 1
	s_and_saveexec_b64 s[30:31], s[8:9]
	s_cbranch_execz .LBB369_45
; %bb.42:                               ;   in Loop: Header=BB369_10 Depth=1
	v_and_b32_e32 v1, 0x7f, v30
	v_cmp_ne_u32_e64 s[8:9], s37, v1
	v_mov_b32_e32 v0, 0x7f800001
	s_and_saveexec_b64 s[34:35], s[8:9]
	s_cbranch_execz .LBB369_44
; %bb.43:                               ;   in Loop: Header=BB369_10 Depth=1
	v_and_b32_e32 v0, 7, v30
	v_ffbh_u32_e32 v2, v0
	v_min_u32_e32 v5, 32, v2
	v_subrev_u32_e32 v2, 28, v5
	v_lshlrev_b64 v[2:3], v2, v[30:31]
	v_lshrrev_b32_e32 v4, 3, v1
	v_sub_u32_e32 v3, 29, v5
	v_and_b32_e32 v2, 7, v2
	v_cmp_gt_u32_e64 s[8:9], 8, v1
	v_cndmask_b32_e64 v1, v4, v3, s[8:9]
	v_cndmask_b32_e64 v0, v0, v2, s[8:9]
	v_lshlrev_b32_e32 v2, 16, v28
	v_lshlrev_b32_e32 v0, 20, v0
	v_and_b32_e32 v2, 0x80000000, v2
	v_lshl_add_u32 v1, v1, 23, v40
	v_or3_b32 v0, v2, v1, v0
.LBB369_44:                             ;   in Loop: Header=BB369_10 Depth=1
	s_or_b64 exec, exec, s[34:35]
.LBB369_45:                             ;   in Loop: Header=BB369_10 Depth=1
	s_or_b64 exec, exec, s[30:31]
.LBB369_46:                             ;   in Loop: Header=BB369_10 Depth=1
	s_or_b64 exec, exec, s[28:29]
	v_mul_f32_e32 v0, v43, v0
	v_and_b32_e32 v1, 0x7f800000, v0
	v_cmp_ne_u32_e64 s[8:9], s38, v1
                                        ; implicit-def: $vgpr47
	s_and_saveexec_b64 s[28:29], s[8:9]
	s_xor_b64 s[8:9], exec, s[28:29]
; %bb.47:                               ;   in Loop: Header=BB369_10 Depth=1
	v_bfe_u32 v1, v0, 16, 1
	v_add3_u32 v47, v0, v1, s39
                                        ; implicit-def: $vgpr0
; %bb.48:                               ;   in Loop: Header=BB369_10 Depth=1
	s_andn2_saveexec_b64 s[28:29], s[8:9]
; %bb.49:                               ;   in Loop: Header=BB369_10 Depth=1
	v_or_b32_e32 v1, 0x10000, v0
	v_cmp_eq_u32_sdwa s[8:9], v0, v55 src0_sel:WORD_0 src1_sel:DWORD
	v_cndmask_b32_e64 v47, v1, v0, s[8:9]
; %bb.50:                               ;   in Loop: Header=BB369_10 Depth=1
	s_or_b64 exec, exec, s[28:29]
	flat_load_ushort v0, v[20:21] offset:256
	s_waitcnt vmcnt(0) lgkmcnt(0)
	v_and_b32_e32 v28, 0xffff, v0
	v_cmp_ne_u16_sdwa s[8:9], v0, v55 src0_sel:BYTE_0 src1_sel:DWORD
	v_mov_b32_e32 v0, 0
	s_and_saveexec_b64 s[28:29], s[8:9]
	s_cbranch_execz .LBB369_56
; %bb.51:                               ;   in Loop: Header=BB369_10 Depth=1
	v_cmp_ne_u16_sdwa s[8:9], v28, s21 src0_sel:BYTE_0 src1_sel:DWORD
	v_bfrev_b32_e32 v0, 1
	s_and_saveexec_b64 s[30:31], s[8:9]
	s_cbranch_execz .LBB369_55
; %bb.52:                               ;   in Loop: Header=BB369_10 Depth=1
	v_and_b32_e32 v1, 0x7f, v28
	v_cmp_ne_u32_e64 s[8:9], s37, v1
	v_mov_b32_e32 v0, 0x7f800001
	s_and_saveexec_b64 s[34:35], s[8:9]
	s_cbranch_execz .LBB369_54
; %bb.53:                               ;   in Loop: Header=BB369_10 Depth=1
	v_and_b32_e32 v0, 7, v28
	v_ffbh_u32_e32 v2, v0
	v_min_u32_e32 v5, 32, v2
	v_subrev_u32_e32 v2, 28, v5
	v_lshlrev_b64 v[2:3], v2, v[28:29]
	v_lshrrev_b32_e32 v4, 3, v1
	v_sub_u32_e32 v3, 29, v5
	v_and_b32_e32 v2, 7, v2
	v_cmp_gt_u32_e64 s[8:9], 8, v1
	v_cndmask_b32_e64 v1, v4, v3, s[8:9]
	v_cndmask_b32_e64 v0, v0, v2, s[8:9]
	v_lshlrev_b32_e32 v2, 24, v28
	v_lshlrev_b32_e32 v0, 20, v0
	v_and_b32_e32 v2, 0x80000000, v2
	v_lshl_add_u32 v1, v1, 23, v40
	v_or3_b32 v0, v2, v1, v0
.LBB369_54:                             ;   in Loop: Header=BB369_10 Depth=1
	s_or_b64 exec, exec, s[34:35]
.LBB369_55:                             ;   in Loop: Header=BB369_10 Depth=1
	s_or_b64 exec, exec, s[30:31]
.LBB369_56:                             ;   in Loop: Header=BB369_10 Depth=1
	s_or_b64 exec, exec, s[28:29]
	v_mul_f32_e32 v0, v43, v0
	v_and_b32_e32 v1, 0x7f800000, v0
	v_cmp_ne_u32_e64 s[8:9], s38, v1
                                        ; implicit-def: $vgpr56
	s_and_saveexec_b64 s[28:29], s[8:9]
	s_xor_b64 s[8:9], exec, s[28:29]
; %bb.57:                               ;   in Loop: Header=BB369_10 Depth=1
	v_bfe_u32 v1, v0, 16, 1
	v_add3_u32 v56, v0, v1, s39
                                        ; implicit-def: $vgpr0
; %bb.58:                               ;   in Loop: Header=BB369_10 Depth=1
	s_andn2_saveexec_b64 s[28:29], s[8:9]
; %bb.59:                               ;   in Loop: Header=BB369_10 Depth=1
	v_or_b32_e32 v1, 0x10000, v0
	v_cmp_eq_u32_sdwa s[8:9], v0, v55 src0_sel:WORD_0 src1_sel:DWORD
	v_cndmask_b32_e64 v56, v1, v0, s[8:9]
; %bb.60:                               ;   in Loop: Header=BB369_10 Depth=1
	s_or_b64 exec, exec, s[28:29]
	v_lshrrev_b16_e32 v30, 8, v28
	v_cmp_ne_u16_e64 s[8:9], 0, v30
	v_mov_b32_e32 v0, 0
	s_and_saveexec_b64 s[28:29], s[8:9]
	s_cbranch_execz .LBB369_66
; %bb.61:                               ;   in Loop: Header=BB369_10 Depth=1
	v_cmp_ne_u16_e64 s[8:9], s21, v30
	v_bfrev_b32_e32 v0, 1
	s_and_saveexec_b64 s[30:31], s[8:9]
	s_cbranch_execz .LBB369_65
; %bb.62:                               ;   in Loop: Header=BB369_10 Depth=1
	v_and_b32_e32 v1, 0x7f, v30
	v_cmp_ne_u32_e64 s[8:9], s37, v1
	v_mov_b32_e32 v0, 0x7f800001
	s_and_saveexec_b64 s[34:35], s[8:9]
	s_cbranch_execz .LBB369_64
; %bb.63:                               ;   in Loop: Header=BB369_10 Depth=1
	v_and_b32_e32 v0, 7, v30
	v_ffbh_u32_e32 v2, v0
	v_min_u32_e32 v5, 32, v2
	v_subrev_u32_e32 v2, 28, v5
	v_lshlrev_b64 v[2:3], v2, v[30:31]
	v_lshrrev_b32_e32 v4, 3, v1
	v_sub_u32_e32 v3, 29, v5
	v_and_b32_e32 v2, 7, v2
	v_cmp_gt_u32_e64 s[8:9], 8, v1
	v_cndmask_b32_e64 v1, v4, v3, s[8:9]
	v_cndmask_b32_e64 v0, v0, v2, s[8:9]
	v_lshlrev_b32_e32 v2, 16, v28
	v_lshlrev_b32_e32 v0, 20, v0
	v_and_b32_e32 v2, 0x80000000, v2
	v_lshl_add_u32 v1, v1, 23, v40
	v_or3_b32 v0, v2, v1, v0
.LBB369_64:                             ;   in Loop: Header=BB369_10 Depth=1
	s_or_b64 exec, exec, s[34:35]
.LBB369_65:                             ;   in Loop: Header=BB369_10 Depth=1
	s_or_b64 exec, exec, s[30:31]
.LBB369_66:                             ;   in Loop: Header=BB369_10 Depth=1
	s_or_b64 exec, exec, s[28:29]
	v_mul_f32_e32 v0, v43, v0
	v_and_b32_e32 v1, 0x7f800000, v0
	v_cmp_ne_u32_e64 s[8:9], s38, v1
                                        ; implicit-def: $vgpr57
	s_and_saveexec_b64 s[28:29], s[8:9]
	s_xor_b64 s[8:9], exec, s[28:29]
; %bb.67:                               ;   in Loop: Header=BB369_10 Depth=1
	v_bfe_u32 v1, v0, 16, 1
	v_add3_u32 v57, v0, v1, s39
                                        ; implicit-def: $vgpr0
; %bb.68:                               ;   in Loop: Header=BB369_10 Depth=1
	s_andn2_saveexec_b64 s[28:29], s[8:9]
; %bb.69:                               ;   in Loop: Header=BB369_10 Depth=1
	v_or_b32_e32 v1, 0x10000, v0
	v_cmp_eq_u32_sdwa s[8:9], v0, v55 src0_sel:WORD_0 src1_sel:DWORD
	v_cndmask_b32_e64 v57, v1, v0, s[8:9]
; %bb.70:                               ;   in Loop: Header=BB369_10 Depth=1
	s_or_b64 exec, exec, s[28:29]
	flat_load_ushort v0, v[20:21] offset:264
	s_waitcnt vmcnt(0) lgkmcnt(0)
	v_and_b32_e32 v28, 0xffff, v0
	v_cmp_ne_u16_sdwa s[8:9], v0, v55 src0_sel:BYTE_0 src1_sel:DWORD
	v_mov_b32_e32 v0, 0
	s_and_saveexec_b64 s[28:29], s[8:9]
	s_cbranch_execz .LBB369_76
; %bb.71:                               ;   in Loop: Header=BB369_10 Depth=1
	v_cmp_ne_u16_sdwa s[8:9], v28, s21 src0_sel:BYTE_0 src1_sel:DWORD
	v_bfrev_b32_e32 v0, 1
	s_and_saveexec_b64 s[30:31], s[8:9]
	s_cbranch_execz .LBB369_75
; %bb.72:                               ;   in Loop: Header=BB369_10 Depth=1
	v_and_b32_e32 v1, 0x7f, v28
	v_cmp_ne_u32_e64 s[8:9], s37, v1
	v_mov_b32_e32 v0, 0x7f800001
	s_and_saveexec_b64 s[34:35], s[8:9]
	s_cbranch_execz .LBB369_74
; %bb.73:                               ;   in Loop: Header=BB369_10 Depth=1
	v_and_b32_e32 v0, 7, v28
	v_ffbh_u32_e32 v2, v0
	v_min_u32_e32 v5, 32, v2
	v_subrev_u32_e32 v2, 28, v5
	v_lshlrev_b64 v[2:3], v2, v[28:29]
	v_lshrrev_b32_e32 v4, 3, v1
	v_sub_u32_e32 v3, 29, v5
	v_and_b32_e32 v2, 7, v2
	v_cmp_gt_u32_e64 s[8:9], 8, v1
	v_cndmask_b32_e64 v1, v4, v3, s[8:9]
	v_cndmask_b32_e64 v0, v0, v2, s[8:9]
	v_lshlrev_b32_e32 v2, 24, v28
	v_lshlrev_b32_e32 v0, 20, v0
	v_and_b32_e32 v2, 0x80000000, v2
	v_lshl_add_u32 v1, v1, 23, v40
	v_or3_b32 v0, v2, v1, v0
.LBB369_74:                             ;   in Loop: Header=BB369_10 Depth=1
	s_or_b64 exec, exec, s[34:35]
.LBB369_75:                             ;   in Loop: Header=BB369_10 Depth=1
	s_or_b64 exec, exec, s[30:31]
.LBB369_76:                             ;   in Loop: Header=BB369_10 Depth=1
	s_or_b64 exec, exec, s[28:29]
	v_mul_f32_e32 v0, v43, v0
	v_and_b32_e32 v1, 0x7f800000, v0
	v_cmp_ne_u32_e64 s[8:9], s38, v1
                                        ; implicit-def: $vgpr58
	s_and_saveexec_b64 s[28:29], s[8:9]
	s_xor_b64 s[8:9], exec, s[28:29]
; %bb.77:                               ;   in Loop: Header=BB369_10 Depth=1
	v_bfe_u32 v1, v0, 16, 1
	v_add3_u32 v58, v0, v1, s39
                                        ; implicit-def: $vgpr0
; %bb.78:                               ;   in Loop: Header=BB369_10 Depth=1
	s_andn2_saveexec_b64 s[28:29], s[8:9]
; %bb.79:                               ;   in Loop: Header=BB369_10 Depth=1
	v_or_b32_e32 v1, 0x10000, v0
	v_cmp_eq_u32_sdwa s[8:9], v0, v55 src0_sel:WORD_0 src1_sel:DWORD
	v_cndmask_b32_e64 v58, v1, v0, s[8:9]
; %bb.80:                               ;   in Loop: Header=BB369_10 Depth=1
	s_or_b64 exec, exec, s[28:29]
	v_lshrrev_b16_e32 v30, 8, v28
	v_cmp_ne_u16_e64 s[8:9], 0, v30
	v_mov_b32_e32 v0, 0
	s_and_saveexec_b64 s[28:29], s[8:9]
	s_cbranch_execz .LBB369_86
; %bb.81:                               ;   in Loop: Header=BB369_10 Depth=1
	v_cmp_ne_u16_e64 s[8:9], s21, v30
	v_bfrev_b32_e32 v0, 1
	s_and_saveexec_b64 s[30:31], s[8:9]
	s_cbranch_execz .LBB369_85
; %bb.82:                               ;   in Loop: Header=BB369_10 Depth=1
	v_and_b32_e32 v1, 0x7f, v30
	v_cmp_ne_u32_e64 s[8:9], s37, v1
	v_mov_b32_e32 v0, 0x7f800001
	s_and_saveexec_b64 s[34:35], s[8:9]
	s_cbranch_execz .LBB369_84
; %bb.83:                               ;   in Loop: Header=BB369_10 Depth=1
	v_and_b32_e32 v0, 7, v30
	v_ffbh_u32_e32 v2, v0
	v_min_u32_e32 v5, 32, v2
	v_subrev_u32_e32 v2, 28, v5
	v_lshlrev_b64 v[2:3], v2, v[30:31]
	v_lshrrev_b32_e32 v4, 3, v1
	v_sub_u32_e32 v3, 29, v5
	v_and_b32_e32 v2, 7, v2
	v_cmp_gt_u32_e64 s[8:9], 8, v1
	v_cndmask_b32_e64 v1, v4, v3, s[8:9]
	v_cndmask_b32_e64 v0, v0, v2, s[8:9]
	v_lshlrev_b32_e32 v2, 16, v28
	v_lshlrev_b32_e32 v0, 20, v0
	v_and_b32_e32 v2, 0x80000000, v2
	v_lshl_add_u32 v1, v1, 23, v40
	v_or3_b32 v0, v2, v1, v0
.LBB369_84:                             ;   in Loop: Header=BB369_10 Depth=1
	s_or_b64 exec, exec, s[34:35]
.LBB369_85:                             ;   in Loop: Header=BB369_10 Depth=1
	s_or_b64 exec, exec, s[30:31]
.LBB369_86:                             ;   in Loop: Header=BB369_10 Depth=1
	s_or_b64 exec, exec, s[28:29]
	v_mul_f32_e32 v0, v43, v0
	v_and_b32_e32 v1, 0x7f800000, v0
	v_cmp_ne_u32_e64 s[8:9], s38, v1
                                        ; implicit-def: $vgpr59
	s_and_saveexec_b64 s[28:29], s[8:9]
	s_xor_b64 s[8:9], exec, s[28:29]
; %bb.87:                               ;   in Loop: Header=BB369_10 Depth=1
	v_bfe_u32 v1, v0, 16, 1
	v_add3_u32 v59, v0, v1, s39
                                        ; implicit-def: $vgpr0
; %bb.88:                               ;   in Loop: Header=BB369_10 Depth=1
	s_andn2_saveexec_b64 s[28:29], s[8:9]
; %bb.89:                               ;   in Loop: Header=BB369_10 Depth=1
	v_or_b32_e32 v1, 0x10000, v0
	v_cmp_eq_u32_sdwa s[8:9], v0, v55 src0_sel:WORD_0 src1_sel:DWORD
	v_cndmask_b32_e64 v59, v1, v0, s[8:9]
; %bb.90:                               ;   in Loop: Header=BB369_10 Depth=1
	s_or_b64 exec, exec, s[28:29]
	flat_load_ushort v0, v[20:21] offset:512
	s_waitcnt vmcnt(0) lgkmcnt(0)
	v_and_b32_e32 v28, 0xffff, v0
	v_cmp_ne_u16_sdwa s[8:9], v0, v55 src0_sel:BYTE_0 src1_sel:DWORD
	v_mov_b32_e32 v0, 0
	s_and_saveexec_b64 s[28:29], s[8:9]
	s_cbranch_execz .LBB369_96
; %bb.91:                               ;   in Loop: Header=BB369_10 Depth=1
	v_cmp_ne_u16_sdwa s[8:9], v28, s21 src0_sel:BYTE_0 src1_sel:DWORD
	v_bfrev_b32_e32 v0, 1
	s_and_saveexec_b64 s[30:31], s[8:9]
	s_cbranch_execz .LBB369_95
; %bb.92:                               ;   in Loop: Header=BB369_10 Depth=1
	v_and_b32_e32 v1, 0x7f, v28
	v_cmp_ne_u32_e64 s[8:9], s37, v1
	v_mov_b32_e32 v0, 0x7f800001
	s_and_saveexec_b64 s[34:35], s[8:9]
	s_cbranch_execz .LBB369_94
; %bb.93:                               ;   in Loop: Header=BB369_10 Depth=1
	v_and_b32_e32 v0, 7, v28
	v_ffbh_u32_e32 v2, v0
	v_min_u32_e32 v5, 32, v2
	v_subrev_u32_e32 v2, 28, v5
	v_lshlrev_b64 v[2:3], v2, v[28:29]
	v_lshrrev_b32_e32 v4, 3, v1
	v_sub_u32_e32 v3, 29, v5
	v_and_b32_e32 v2, 7, v2
	v_cmp_gt_u32_e64 s[8:9], 8, v1
	v_cndmask_b32_e64 v1, v4, v3, s[8:9]
	v_cndmask_b32_e64 v0, v0, v2, s[8:9]
	v_lshlrev_b32_e32 v2, 24, v28
	v_lshlrev_b32_e32 v0, 20, v0
	v_and_b32_e32 v2, 0x80000000, v2
	v_lshl_add_u32 v1, v1, 23, v40
	v_or3_b32 v0, v2, v1, v0
.LBB369_94:                             ;   in Loop: Header=BB369_10 Depth=1
	s_or_b64 exec, exec, s[34:35]
.LBB369_95:                             ;   in Loop: Header=BB369_10 Depth=1
	s_or_b64 exec, exec, s[30:31]
.LBB369_96:                             ;   in Loop: Header=BB369_10 Depth=1
	s_or_b64 exec, exec, s[28:29]
	v_mul_f32_e32 v0, v43, v0
	v_and_b32_e32 v1, 0x7f800000, v0
	v_cmp_ne_u32_e64 s[8:9], s38, v1
                                        ; implicit-def: $vgpr60
	s_and_saveexec_b64 s[28:29], s[8:9]
	s_xor_b64 s[8:9], exec, s[28:29]
; %bb.97:                               ;   in Loop: Header=BB369_10 Depth=1
	v_bfe_u32 v1, v0, 16, 1
	v_add3_u32 v60, v0, v1, s39
                                        ; implicit-def: $vgpr0
; %bb.98:                               ;   in Loop: Header=BB369_10 Depth=1
	s_andn2_saveexec_b64 s[28:29], s[8:9]
; %bb.99:                               ;   in Loop: Header=BB369_10 Depth=1
	v_or_b32_e32 v1, 0x10000, v0
	v_cmp_eq_u32_sdwa s[8:9], v0, v55 src0_sel:WORD_0 src1_sel:DWORD
	v_cndmask_b32_e64 v60, v1, v0, s[8:9]
; %bb.100:                              ;   in Loop: Header=BB369_10 Depth=1
	s_or_b64 exec, exec, s[28:29]
	v_lshrrev_b16_e32 v30, 8, v28
	v_cmp_ne_u16_e64 s[8:9], 0, v30
	v_mov_b32_e32 v0, 0
	s_and_saveexec_b64 s[28:29], s[8:9]
	s_cbranch_execz .LBB369_106
; %bb.101:                              ;   in Loop: Header=BB369_10 Depth=1
	v_cmp_ne_u16_e64 s[8:9], s21, v30
	v_bfrev_b32_e32 v0, 1
	s_and_saveexec_b64 s[30:31], s[8:9]
	s_cbranch_execz .LBB369_105
; %bb.102:                              ;   in Loop: Header=BB369_10 Depth=1
	v_and_b32_e32 v1, 0x7f, v30
	v_cmp_ne_u32_e64 s[8:9], s37, v1
	v_mov_b32_e32 v0, 0x7f800001
	s_and_saveexec_b64 s[34:35], s[8:9]
	s_cbranch_execz .LBB369_104
; %bb.103:                              ;   in Loop: Header=BB369_10 Depth=1
	v_and_b32_e32 v0, 7, v30
	v_ffbh_u32_e32 v2, v0
	v_min_u32_e32 v5, 32, v2
	v_subrev_u32_e32 v2, 28, v5
	v_lshlrev_b64 v[2:3], v2, v[30:31]
	v_lshrrev_b32_e32 v4, 3, v1
	v_sub_u32_e32 v3, 29, v5
	v_and_b32_e32 v2, 7, v2
	v_cmp_gt_u32_e64 s[8:9], 8, v1
	v_cndmask_b32_e64 v1, v4, v3, s[8:9]
	v_cndmask_b32_e64 v0, v0, v2, s[8:9]
	v_lshlrev_b32_e32 v2, 16, v28
	v_lshlrev_b32_e32 v0, 20, v0
	v_and_b32_e32 v2, 0x80000000, v2
	v_lshl_add_u32 v1, v1, 23, v40
	v_or3_b32 v0, v2, v1, v0
.LBB369_104:                            ;   in Loop: Header=BB369_10 Depth=1
	s_or_b64 exec, exec, s[34:35]
.LBB369_105:                            ;   in Loop: Header=BB369_10 Depth=1
	s_or_b64 exec, exec, s[30:31]
.LBB369_106:                            ;   in Loop: Header=BB369_10 Depth=1
	s_or_b64 exec, exec, s[28:29]
	v_mul_f32_e32 v0, v43, v0
	v_and_b32_e32 v1, 0x7f800000, v0
	v_cmp_ne_u32_e64 s[8:9], s38, v1
                                        ; implicit-def: $vgpr61
	s_and_saveexec_b64 s[28:29], s[8:9]
	s_xor_b64 s[8:9], exec, s[28:29]
; %bb.107:                              ;   in Loop: Header=BB369_10 Depth=1
	v_bfe_u32 v1, v0, 16, 1
	v_add3_u32 v61, v0, v1, s39
                                        ; implicit-def: $vgpr0
; %bb.108:                              ;   in Loop: Header=BB369_10 Depth=1
	s_andn2_saveexec_b64 s[28:29], s[8:9]
; %bb.109:                              ;   in Loop: Header=BB369_10 Depth=1
	v_or_b32_e32 v1, 0x10000, v0
	v_cmp_eq_u32_sdwa s[8:9], v0, v55 src0_sel:WORD_0 src1_sel:DWORD
	v_cndmask_b32_e64 v61, v1, v0, s[8:9]
; %bb.110:                              ;   in Loop: Header=BB369_10 Depth=1
	s_or_b64 exec, exec, s[28:29]
	flat_load_ushort v0, v[20:21] offset:520
	s_waitcnt vmcnt(0) lgkmcnt(0)
	v_and_b32_e32 v28, 0xffff, v0
	v_cmp_ne_u16_sdwa s[8:9], v0, v55 src0_sel:BYTE_0 src1_sel:DWORD
	v_mov_b32_e32 v0, 0
	s_and_saveexec_b64 s[28:29], s[8:9]
	s_cbranch_execz .LBB369_116
; %bb.111:                              ;   in Loop: Header=BB369_10 Depth=1
	v_cmp_ne_u16_sdwa s[8:9], v28, s21 src0_sel:BYTE_0 src1_sel:DWORD
	v_bfrev_b32_e32 v0, 1
	s_and_saveexec_b64 s[30:31], s[8:9]
	s_cbranch_execz .LBB369_115
; %bb.112:                              ;   in Loop: Header=BB369_10 Depth=1
	v_and_b32_e32 v1, 0x7f, v28
	v_cmp_ne_u32_e64 s[8:9], s37, v1
	v_mov_b32_e32 v0, 0x7f800001
	s_and_saveexec_b64 s[34:35], s[8:9]
	s_cbranch_execz .LBB369_114
; %bb.113:                              ;   in Loop: Header=BB369_10 Depth=1
	v_and_b32_e32 v0, 7, v28
	v_ffbh_u32_e32 v2, v0
	v_min_u32_e32 v5, 32, v2
	v_subrev_u32_e32 v2, 28, v5
	v_lshlrev_b64 v[2:3], v2, v[28:29]
	v_lshrrev_b32_e32 v4, 3, v1
	v_sub_u32_e32 v3, 29, v5
	v_and_b32_e32 v2, 7, v2
	v_cmp_gt_u32_e64 s[8:9], 8, v1
	v_cndmask_b32_e64 v1, v4, v3, s[8:9]
	v_cndmask_b32_e64 v0, v0, v2, s[8:9]
	v_lshlrev_b32_e32 v2, 24, v28
	v_lshlrev_b32_e32 v0, 20, v0
	v_and_b32_e32 v2, 0x80000000, v2
	v_lshl_add_u32 v1, v1, 23, v40
	v_or3_b32 v0, v2, v1, v0
.LBB369_114:                            ;   in Loop: Header=BB369_10 Depth=1
	s_or_b64 exec, exec, s[34:35]
.LBB369_115:                            ;   in Loop: Header=BB369_10 Depth=1
	s_or_b64 exec, exec, s[30:31]
.LBB369_116:                            ;   in Loop: Header=BB369_10 Depth=1
	s_or_b64 exec, exec, s[28:29]
	v_mul_f32_e32 v0, v43, v0
	v_and_b32_e32 v1, 0x7f800000, v0
	v_cmp_ne_u32_e64 s[8:9], s38, v1
                                        ; implicit-def: $vgpr62
	s_and_saveexec_b64 s[28:29], s[8:9]
	s_xor_b64 s[8:9], exec, s[28:29]
; %bb.117:                              ;   in Loop: Header=BB369_10 Depth=1
	v_bfe_u32 v1, v0, 16, 1
	v_add3_u32 v62, v0, v1, s39
                                        ; implicit-def: $vgpr0
; %bb.118:                              ;   in Loop: Header=BB369_10 Depth=1
	s_andn2_saveexec_b64 s[28:29], s[8:9]
; %bb.119:                              ;   in Loop: Header=BB369_10 Depth=1
	v_or_b32_e32 v1, 0x10000, v0
	v_cmp_eq_u32_sdwa s[8:9], v0, v55 src0_sel:WORD_0 src1_sel:DWORD
	v_cndmask_b32_e64 v62, v1, v0, s[8:9]
; %bb.120:                              ;   in Loop: Header=BB369_10 Depth=1
	s_or_b64 exec, exec, s[28:29]
	v_lshrrev_b16_e32 v30, 8, v28
	v_cmp_ne_u16_e64 s[8:9], 0, v30
	v_mov_b32_e32 v0, 0
	s_and_saveexec_b64 s[28:29], s[8:9]
	s_cbranch_execz .LBB369_126
; %bb.121:                              ;   in Loop: Header=BB369_10 Depth=1
	v_cmp_ne_u16_e64 s[8:9], s21, v30
	v_bfrev_b32_e32 v0, 1
	s_and_saveexec_b64 s[30:31], s[8:9]
	s_cbranch_execz .LBB369_125
; %bb.122:                              ;   in Loop: Header=BB369_10 Depth=1
	v_and_b32_e32 v1, 0x7f, v30
	v_cmp_ne_u32_e64 s[8:9], s37, v1
	v_mov_b32_e32 v0, 0x7f800001
	s_and_saveexec_b64 s[34:35], s[8:9]
	s_cbranch_execz .LBB369_124
; %bb.123:                              ;   in Loop: Header=BB369_10 Depth=1
	v_and_b32_e32 v0, 7, v30
	v_ffbh_u32_e32 v2, v0
	v_min_u32_e32 v5, 32, v2
	v_subrev_u32_e32 v2, 28, v5
	v_lshlrev_b64 v[2:3], v2, v[30:31]
	v_lshrrev_b32_e32 v4, 3, v1
	v_sub_u32_e32 v3, 29, v5
	v_and_b32_e32 v2, 7, v2
	v_cmp_gt_u32_e64 s[8:9], 8, v1
	v_cndmask_b32_e64 v1, v4, v3, s[8:9]
	v_cndmask_b32_e64 v0, v0, v2, s[8:9]
	v_lshlrev_b32_e32 v2, 16, v28
	v_lshlrev_b32_e32 v0, 20, v0
	v_and_b32_e32 v2, 0x80000000, v2
	v_lshl_add_u32 v1, v1, 23, v40
	v_or3_b32 v0, v2, v1, v0
.LBB369_124:                            ;   in Loop: Header=BB369_10 Depth=1
	s_or_b64 exec, exec, s[34:35]
.LBB369_125:                            ;   in Loop: Header=BB369_10 Depth=1
	s_or_b64 exec, exec, s[30:31]
.LBB369_126:                            ;   in Loop: Header=BB369_10 Depth=1
	s_or_b64 exec, exec, s[28:29]
	v_mul_f32_e32 v0, v43, v0
	v_and_b32_e32 v1, 0x7f800000, v0
	v_cmp_ne_u32_e64 s[8:9], s38, v1
                                        ; implicit-def: $vgpr36
	s_and_saveexec_b64 s[28:29], s[8:9]
	s_xor_b64 s[8:9], exec, s[28:29]
; %bb.127:                              ;   in Loop: Header=BB369_10 Depth=1
	v_bfe_u32 v1, v0, 16, 1
	v_add3_u32 v36, v0, v1, s39
                                        ; implicit-def: $vgpr0
; %bb.128:                              ;   in Loop: Header=BB369_10 Depth=1
	s_andn2_saveexec_b64 s[28:29], s[8:9]
; %bb.129:                              ;   in Loop: Header=BB369_10 Depth=1
	v_or_b32_e32 v1, 0x10000, v0
	v_cmp_eq_u32_sdwa s[8:9], v0, v55 src0_sel:WORD_0 src1_sel:DWORD
	v_cndmask_b32_e64 v36, v1, v0, s[8:9]
; %bb.130:                              ;   in Loop: Header=BB369_10 Depth=1
	s_or_b64 exec, exec, s[28:29]
	flat_load_ushort v0, v[20:21] offset:768
	s_waitcnt vmcnt(0) lgkmcnt(0)
	v_and_b32_e32 v28, 0xffff, v0
	v_cmp_ne_u16_sdwa s[8:9], v0, v55 src0_sel:BYTE_0 src1_sel:DWORD
	v_mov_b32_e32 v0, 0
	s_and_saveexec_b64 s[28:29], s[8:9]
	s_cbranch_execz .LBB369_136
; %bb.131:                              ;   in Loop: Header=BB369_10 Depth=1
	v_cmp_ne_u16_sdwa s[8:9], v28, s21 src0_sel:BYTE_0 src1_sel:DWORD
	v_bfrev_b32_e32 v0, 1
	s_and_saveexec_b64 s[30:31], s[8:9]
	s_cbranch_execz .LBB369_135
; %bb.132:                              ;   in Loop: Header=BB369_10 Depth=1
	v_and_b32_e32 v1, 0x7f, v28
	v_cmp_ne_u32_e64 s[8:9], s37, v1
	v_mov_b32_e32 v0, 0x7f800001
	s_and_saveexec_b64 s[34:35], s[8:9]
	s_cbranch_execz .LBB369_134
; %bb.133:                              ;   in Loop: Header=BB369_10 Depth=1
	v_and_b32_e32 v0, 7, v28
	v_ffbh_u32_e32 v2, v0
	v_min_u32_e32 v5, 32, v2
	v_subrev_u32_e32 v2, 28, v5
	v_lshlrev_b64 v[2:3], v2, v[28:29]
	v_lshrrev_b32_e32 v4, 3, v1
	v_sub_u32_e32 v3, 29, v5
	v_and_b32_e32 v2, 7, v2
	v_cmp_gt_u32_e64 s[8:9], 8, v1
	v_cndmask_b32_e64 v1, v4, v3, s[8:9]
	v_cndmask_b32_e64 v0, v0, v2, s[8:9]
	v_lshlrev_b32_e32 v2, 24, v28
	v_lshlrev_b32_e32 v0, 20, v0
	v_and_b32_e32 v2, 0x80000000, v2
	v_lshl_add_u32 v1, v1, 23, v40
	v_or3_b32 v0, v2, v1, v0
.LBB369_134:                            ;   in Loop: Header=BB369_10 Depth=1
	s_or_b64 exec, exec, s[34:35]
.LBB369_135:                            ;   in Loop: Header=BB369_10 Depth=1
	s_or_b64 exec, exec, s[30:31]
.LBB369_136:                            ;   in Loop: Header=BB369_10 Depth=1
	s_or_b64 exec, exec, s[28:29]
	v_mul_f32_e32 v0, v43, v0
	v_and_b32_e32 v1, 0x7f800000, v0
	v_cmp_ne_u32_e64 s[8:9], s38, v1
                                        ; implicit-def: $vgpr5
	s_and_saveexec_b64 s[28:29], s[8:9]
	s_xor_b64 s[8:9], exec, s[28:29]
; %bb.137:                              ;   in Loop: Header=BB369_10 Depth=1
	v_bfe_u32 v1, v0, 16, 1
	v_add3_u32 v5, v0, v1, s39
                                        ; implicit-def: $vgpr0
; %bb.138:                              ;   in Loop: Header=BB369_10 Depth=1
	s_andn2_saveexec_b64 s[28:29], s[8:9]
; %bb.139:                              ;   in Loop: Header=BB369_10 Depth=1
	v_or_b32_e32 v1, 0x10000, v0
	v_cmp_eq_u32_sdwa s[8:9], v0, v55 src0_sel:WORD_0 src1_sel:DWORD
	v_cndmask_b32_e64 v5, v1, v0, s[8:9]
; %bb.140:                              ;   in Loop: Header=BB369_10 Depth=1
	s_or_b64 exec, exec, s[28:29]
	v_lshrrev_b16_e32 v30, 8, v28
	v_cmp_ne_u16_e64 s[8:9], 0, v30
	v_mov_b32_e32 v0, 0
	s_and_saveexec_b64 s[28:29], s[8:9]
	s_cbranch_execz .LBB369_146
; %bb.141:                              ;   in Loop: Header=BB369_10 Depth=1
	v_cmp_ne_u16_e64 s[8:9], s21, v30
	v_bfrev_b32_e32 v0, 1
	s_and_saveexec_b64 s[30:31], s[8:9]
	s_cbranch_execz .LBB369_145
; %bb.142:                              ;   in Loop: Header=BB369_10 Depth=1
	v_and_b32_e32 v1, 0x7f, v30
	v_cmp_ne_u32_e64 s[8:9], s37, v1
	v_mov_b32_e32 v0, 0x7f800001
	s_and_saveexec_b64 s[34:35], s[8:9]
	s_cbranch_execz .LBB369_144
; %bb.143:                              ;   in Loop: Header=BB369_10 Depth=1
	v_and_b32_e32 v0, 7, v30
	v_ffbh_u32_e32 v2, v0
	v_mov_b32_e32 v6, v5
	v_min_u32_e32 v5, 32, v2
	v_subrev_u32_e32 v2, 28, v5
	v_lshlrev_b64 v[2:3], v2, v[30:31]
	v_lshrrev_b32_e32 v4, 3, v1
	v_sub_u32_e32 v3, 29, v5
	v_and_b32_e32 v2, 7, v2
	v_cmp_gt_u32_e64 s[8:9], 8, v1
	v_cndmask_b32_e64 v1, v4, v3, s[8:9]
	v_cndmask_b32_e64 v0, v0, v2, s[8:9]
	v_lshlrev_b32_e32 v2, 16, v28
	v_lshlrev_b32_e32 v0, 20, v0
	v_and_b32_e32 v2, 0x80000000, v2
	v_lshl_add_u32 v1, v1, 23, v40
	v_mov_b32_e32 v5, v6
	v_or3_b32 v0, v2, v1, v0
.LBB369_144:                            ;   in Loop: Header=BB369_10 Depth=1
	s_or_b64 exec, exec, s[34:35]
.LBB369_145:                            ;   in Loop: Header=BB369_10 Depth=1
	s_or_b64 exec, exec, s[30:31]
.LBB369_146:                            ;   in Loop: Header=BB369_10 Depth=1
	s_or_b64 exec, exec, s[28:29]
	v_mul_f32_e32 v0, v43, v0
	v_and_b32_e32 v1, 0x7f800000, v0
	v_cmp_ne_u32_e64 s[8:9], s38, v1
                                        ; implicit-def: $vgpr4
	s_and_saveexec_b64 s[28:29], s[8:9]
	s_xor_b64 s[8:9], exec, s[28:29]
; %bb.147:                              ;   in Loop: Header=BB369_10 Depth=1
	v_bfe_u32 v1, v0, 16, 1
	v_add3_u32 v4, v0, v1, s39
                                        ; implicit-def: $vgpr0
; %bb.148:                              ;   in Loop: Header=BB369_10 Depth=1
	s_andn2_saveexec_b64 s[28:29], s[8:9]
; %bb.149:                              ;   in Loop: Header=BB369_10 Depth=1
	v_or_b32_e32 v1, 0x10000, v0
	v_cmp_eq_u32_sdwa s[8:9], v0, v55 src0_sel:WORD_0 src1_sel:DWORD
	v_cndmask_b32_e64 v4, v1, v0, s[8:9]
; %bb.150:                              ;   in Loop: Header=BB369_10 Depth=1
	s_or_b64 exec, exec, s[28:29]
	flat_load_ushort v0, v[20:21] offset:776
	s_waitcnt vmcnt(0) lgkmcnt(0)
	v_and_b32_e32 v28, 0xffff, v0
	v_cmp_ne_u16_sdwa s[8:9], v0, v55 src0_sel:BYTE_0 src1_sel:DWORD
	v_mov_b32_e32 v0, 0
	s_and_saveexec_b64 s[28:29], s[8:9]
	s_cbranch_execz .LBB369_156
; %bb.151:                              ;   in Loop: Header=BB369_10 Depth=1
	v_cmp_ne_u16_sdwa s[8:9], v28, s21 src0_sel:BYTE_0 src1_sel:DWORD
	v_bfrev_b32_e32 v0, 1
	s_and_saveexec_b64 s[30:31], s[8:9]
	s_cbranch_execz .LBB369_155
; %bb.152:                              ;   in Loop: Header=BB369_10 Depth=1
	v_and_b32_e32 v1, 0x7f, v28
	v_cmp_ne_u32_e64 s[8:9], s37, v1
	v_mov_b32_e32 v0, 0x7f800001
	s_and_saveexec_b64 s[34:35], s[8:9]
	s_cbranch_execz .LBB369_154
; %bb.153:                              ;   in Loop: Header=BB369_10 Depth=1
	v_and_b32_e32 v0, 7, v28
	v_ffbh_u32_e32 v2, v0
	v_min_u32_e32 v6, 32, v2
	v_subrev_u32_e32 v2, 28, v6
	v_lshlrev_b64 v[2:3], v2, v[28:29]
	v_mov_b32_e32 v7, v4
	v_lshrrev_b32_e32 v4, 3, v1
	v_sub_u32_e32 v3, 29, v6
	v_and_b32_e32 v2, 7, v2
	v_cmp_gt_u32_e64 s[8:9], 8, v1
	v_cndmask_b32_e64 v1, v4, v3, s[8:9]
	v_cndmask_b32_e64 v0, v0, v2, s[8:9]
	v_lshlrev_b32_e32 v2, 24, v28
	v_lshlrev_b32_e32 v0, 20, v0
	v_and_b32_e32 v2, 0x80000000, v2
	v_lshl_add_u32 v1, v1, 23, v40
	v_mov_b32_e32 v4, v7
	v_or3_b32 v0, v2, v1, v0
.LBB369_154:                            ;   in Loop: Header=BB369_10 Depth=1
	s_or_b64 exec, exec, s[34:35]
.LBB369_155:                            ;   in Loop: Header=BB369_10 Depth=1
	s_or_b64 exec, exec, s[30:31]
.LBB369_156:                            ;   in Loop: Header=BB369_10 Depth=1
	s_or_b64 exec, exec, s[28:29]
	v_mul_f32_e32 v0, v43, v0
	v_and_b32_e32 v1, 0x7f800000, v0
	v_cmp_ne_u32_e64 s[8:9], s38, v1
                                        ; implicit-def: $agpr14
	s_and_saveexec_b64 s[28:29], s[8:9]
	s_xor_b64 s[8:9], exec, s[28:29]
; %bb.157:                              ;   in Loop: Header=BB369_10 Depth=1
	v_bfe_u32 v1, v0, 16, 1
	v_add3_u32 v0, v0, v1, s39
	v_accvgpr_write_b32 a14, v0
                                        ; implicit-def: $vgpr0
; %bb.158:                              ;   in Loop: Header=BB369_10 Depth=1
	s_andn2_saveexec_b64 s[28:29], s[8:9]
; %bb.159:                              ;   in Loop: Header=BB369_10 Depth=1
	v_or_b32_e32 v1, 0x10000, v0
	v_cmp_eq_u32_sdwa s[8:9], v0, v55 src0_sel:WORD_0 src1_sel:DWORD
	v_cndmask_b32_e64 v0, v1, v0, s[8:9]
	v_accvgpr_write_b32 a14, v0
; %bb.160:                              ;   in Loop: Header=BB369_10 Depth=1
	s_or_b64 exec, exec, s[28:29]
	v_lshrrev_b16_e32 v30, 8, v28
	v_cmp_ne_u16_e64 s[8:9], 0, v30
	v_mov_b32_e32 v0, 0
	s_and_saveexec_b64 s[28:29], s[8:9]
	s_cbranch_execz .LBB369_166
; %bb.161:                              ;   in Loop: Header=BB369_10 Depth=1
	v_cmp_ne_u16_e64 s[8:9], s21, v30
	v_bfrev_b32_e32 v0, 1
	s_and_saveexec_b64 s[30:31], s[8:9]
	s_cbranch_execz .LBB369_165
; %bb.162:                              ;   in Loop: Header=BB369_10 Depth=1
	v_and_b32_e32 v1, 0x7f, v30
	v_cmp_ne_u32_e64 s[8:9], s37, v1
	v_mov_b32_e32 v0, 0x7f800001
	s_and_saveexec_b64 s[34:35], s[8:9]
	s_cbranch_execz .LBB369_164
; %bb.163:                              ;   in Loop: Header=BB369_10 Depth=1
	v_and_b32_e32 v0, 7, v30
	v_ffbh_u32_e32 v2, v0
	v_min_u32_e32 v7, 32, v2
	v_subrev_u32_e32 v2, 28, v7
	v_lshlrev_b64 v[2:3], v2, v[30:31]
	v_lshrrev_b32_e32 v6, 3, v1
	v_sub_u32_e32 v3, 29, v7
	v_and_b32_e32 v2, 7, v2
	v_cmp_gt_u32_e64 s[8:9], 8, v1
	v_cndmask_b32_e64 v1, v6, v3, s[8:9]
	v_cndmask_b32_e64 v0, v0, v2, s[8:9]
	v_lshlrev_b32_e32 v2, 16, v28
	v_lshlrev_b32_e32 v0, 20, v0
	v_and_b32_e32 v2, 0x80000000, v2
	v_lshl_add_u32 v1, v1, 23, v40
	v_or3_b32 v0, v2, v1, v0
.LBB369_164:                            ;   in Loop: Header=BB369_10 Depth=1
	s_or_b64 exec, exec, s[34:35]
.LBB369_165:                            ;   in Loop: Header=BB369_10 Depth=1
	s_or_b64 exec, exec, s[30:31]
.LBB369_166:                            ;   in Loop: Header=BB369_10 Depth=1
	s_or_b64 exec, exec, s[28:29]
	v_mul_f32_e32 v0, v43, v0
	v_and_b32_e32 v1, 0x7f800000, v0
	v_cmp_ne_u32_e64 s[8:9], s38, v1
                                        ; implicit-def: $vgpr34
	s_and_saveexec_b64 s[28:29], s[8:9]
	s_xor_b64 s[8:9], exec, s[28:29]
; %bb.167:                              ;   in Loop: Header=BB369_10 Depth=1
	v_bfe_u32 v1, v0, 16, 1
	v_add3_u32 v34, v0, v1, s39
                                        ; implicit-def: $vgpr0
; %bb.168:                              ;   in Loop: Header=BB369_10 Depth=1
	s_andn2_saveexec_b64 s[28:29], s[8:9]
; %bb.169:                              ;   in Loop: Header=BB369_10 Depth=1
	v_or_b32_e32 v1, 0x10000, v0
	v_cmp_eq_u32_sdwa s[8:9], v0, v55 src0_sel:WORD_0 src1_sel:DWORD
	v_cndmask_b32_e64 v34, v1, v0, s[8:9]
; %bb.170:                              ;   in Loop: Header=BB369_10 Depth=1
	s_or_b64 exec, exec, s[28:29]
	flat_load_ushort v0, v[20:21] offset:1024
	s_waitcnt vmcnt(0) lgkmcnt(0)
	v_and_b32_e32 v28, 0xffff, v0
	v_cmp_ne_u16_sdwa s[8:9], v0, v55 src0_sel:BYTE_0 src1_sel:DWORD
	v_mov_b32_e32 v0, 0
	s_and_saveexec_b64 s[28:29], s[8:9]
	s_cbranch_execz .LBB369_176
; %bb.171:                              ;   in Loop: Header=BB369_10 Depth=1
	v_cmp_ne_u16_sdwa s[8:9], v28, s21 src0_sel:BYTE_0 src1_sel:DWORD
	v_bfrev_b32_e32 v0, 1
	s_and_saveexec_b64 s[30:31], s[8:9]
	s_cbranch_execz .LBB369_175
; %bb.172:                              ;   in Loop: Header=BB369_10 Depth=1
	v_and_b32_e32 v1, 0x7f, v28
	v_cmp_ne_u32_e64 s[8:9], s37, v1
	v_mov_b32_e32 v0, 0x7f800001
	s_and_saveexec_b64 s[34:35], s[8:9]
	s_cbranch_execz .LBB369_174
; %bb.173:                              ;   in Loop: Header=BB369_10 Depth=1
	v_and_b32_e32 v0, 7, v28
	v_ffbh_u32_e32 v2, v0
	v_min_u32_e32 v7, 32, v2
	v_subrev_u32_e32 v2, 28, v7
	v_lshlrev_b64 v[2:3], v2, v[28:29]
	v_lshrrev_b32_e32 v6, 3, v1
	v_sub_u32_e32 v3, 29, v7
	v_and_b32_e32 v2, 7, v2
	v_cmp_gt_u32_e64 s[8:9], 8, v1
	v_cndmask_b32_e64 v1, v6, v3, s[8:9]
	v_cndmask_b32_e64 v0, v0, v2, s[8:9]
	v_lshlrev_b32_e32 v2, 24, v28
	v_lshlrev_b32_e32 v0, 20, v0
	v_and_b32_e32 v2, 0x80000000, v2
	v_lshl_add_u32 v1, v1, 23, v40
	v_or3_b32 v0, v2, v1, v0
.LBB369_174:                            ;   in Loop: Header=BB369_10 Depth=1
	s_or_b64 exec, exec, s[34:35]
.LBB369_175:                            ;   in Loop: Header=BB369_10 Depth=1
	s_or_b64 exec, exec, s[30:31]
.LBB369_176:                            ;   in Loop: Header=BB369_10 Depth=1
	s_or_b64 exec, exec, s[28:29]
	v_mul_f32_e32 v0, v43, v0
	v_and_b32_e32 v1, 0x7f800000, v0
	v_cmp_ne_u32_e64 s[8:9], s38, v1
                                        ; implicit-def: $vgpr6
	s_and_saveexec_b64 s[28:29], s[8:9]
	s_xor_b64 s[8:9], exec, s[28:29]
; %bb.177:                              ;   in Loop: Header=BB369_10 Depth=1
	v_bfe_u32 v1, v0, 16, 1
	v_add3_u32 v6, v0, v1, s39
                                        ; implicit-def: $vgpr0
; %bb.178:                              ;   in Loop: Header=BB369_10 Depth=1
	s_andn2_saveexec_b64 s[28:29], s[8:9]
; %bb.179:                              ;   in Loop: Header=BB369_10 Depth=1
	v_or_b32_e32 v1, 0x10000, v0
	v_cmp_eq_u32_sdwa s[8:9], v0, v55 src0_sel:WORD_0 src1_sel:DWORD
	v_cndmask_b32_e64 v6, v1, v0, s[8:9]
; %bb.180:                              ;   in Loop: Header=BB369_10 Depth=1
	s_or_b64 exec, exec, s[28:29]
	v_lshrrev_b16_e32 v30, 8, v28
	v_cmp_ne_u16_e64 s[8:9], 0, v30
	v_mov_b32_e32 v0, 0
	s_and_saveexec_b64 s[28:29], s[8:9]
	s_cbranch_execz .LBB369_186
; %bb.181:                              ;   in Loop: Header=BB369_10 Depth=1
	v_cmp_ne_u16_e64 s[8:9], s21, v30
	v_bfrev_b32_e32 v0, 1
	s_and_saveexec_b64 s[30:31], s[8:9]
	s_cbranch_execz .LBB369_185
; %bb.182:                              ;   in Loop: Header=BB369_10 Depth=1
	v_and_b32_e32 v1, 0x7f, v30
	v_cmp_ne_u32_e64 s[8:9], s37, v1
	v_mov_b32_e32 v0, 0x7f800001
	s_and_saveexec_b64 s[34:35], s[8:9]
	s_cbranch_execz .LBB369_184
; %bb.183:                              ;   in Loop: Header=BB369_10 Depth=1
	v_and_b32_e32 v0, 7, v30
	v_ffbh_u32_e32 v2, v0
	v_min_u32_e32 v8, 32, v2
	v_subrev_u32_e32 v2, 28, v8
	v_lshlrev_b64 v[2:3], v2, v[30:31]
	v_lshrrev_b32_e32 v7, 3, v1
	v_sub_u32_e32 v3, 29, v8
	v_and_b32_e32 v2, 7, v2
	v_cmp_gt_u32_e64 s[8:9], 8, v1
	v_cndmask_b32_e64 v1, v7, v3, s[8:9]
	v_cndmask_b32_e64 v0, v0, v2, s[8:9]
	v_lshlrev_b32_e32 v2, 16, v28
	v_lshlrev_b32_e32 v0, 20, v0
	v_and_b32_e32 v2, 0x80000000, v2
	v_lshl_add_u32 v1, v1, 23, v40
	v_or3_b32 v0, v2, v1, v0
.LBB369_184:                            ;   in Loop: Header=BB369_10 Depth=1
	s_or_b64 exec, exec, s[34:35]
.LBB369_185:                            ;   in Loop: Header=BB369_10 Depth=1
	s_or_b64 exec, exec, s[30:31]
.LBB369_186:                            ;   in Loop: Header=BB369_10 Depth=1
	s_or_b64 exec, exec, s[28:29]
	v_mul_f32_e32 v0, v43, v0
	v_and_b32_e32 v1, 0x7f800000, v0
	v_cmp_ne_u32_e64 s[8:9], s38, v1
                                        ; implicit-def: $vgpr7
	s_and_saveexec_b64 s[28:29], s[8:9]
	s_xor_b64 s[8:9], exec, s[28:29]
; %bb.187:                              ;   in Loop: Header=BB369_10 Depth=1
	v_bfe_u32 v1, v0, 16, 1
	v_add3_u32 v7, v0, v1, s39
                                        ; implicit-def: $vgpr0
; %bb.188:                              ;   in Loop: Header=BB369_10 Depth=1
	s_andn2_saveexec_b64 s[28:29], s[8:9]
; %bb.189:                              ;   in Loop: Header=BB369_10 Depth=1
	v_or_b32_e32 v1, 0x10000, v0
	v_cmp_eq_u32_sdwa s[8:9], v0, v55 src0_sel:WORD_0 src1_sel:DWORD
	v_cndmask_b32_e64 v7, v1, v0, s[8:9]
; %bb.190:                              ;   in Loop: Header=BB369_10 Depth=1
	s_or_b64 exec, exec, s[28:29]
	flat_load_ushort v0, v[20:21] offset:1032
	s_waitcnt vmcnt(0) lgkmcnt(0)
	v_and_b32_e32 v28, 0xffff, v0
	v_cmp_ne_u16_sdwa s[8:9], v0, v55 src0_sel:BYTE_0 src1_sel:DWORD
	v_mov_b32_e32 v0, 0
	s_and_saveexec_b64 s[28:29], s[8:9]
	s_cbranch_execz .LBB369_196
; %bb.191:                              ;   in Loop: Header=BB369_10 Depth=1
	v_cmp_ne_u16_sdwa s[8:9], v28, s21 src0_sel:BYTE_0 src1_sel:DWORD
	v_bfrev_b32_e32 v0, 1
	s_and_saveexec_b64 s[30:31], s[8:9]
	s_cbranch_execz .LBB369_195
; %bb.192:                              ;   in Loop: Header=BB369_10 Depth=1
	v_and_b32_e32 v1, 0x7f, v28
	v_cmp_ne_u32_e64 s[8:9], s37, v1
	v_mov_b32_e32 v0, 0x7f800001
	s_and_saveexec_b64 s[34:35], s[8:9]
	s_cbranch_execz .LBB369_194
; %bb.193:                              ;   in Loop: Header=BB369_10 Depth=1
	v_and_b32_e32 v0, 7, v28
	v_ffbh_u32_e32 v2, v0
	v_min_u32_e32 v9, 32, v2
	v_subrev_u32_e32 v2, 28, v9
	v_lshlrev_b64 v[2:3], v2, v[28:29]
	v_lshrrev_b32_e32 v8, 3, v1
	v_sub_u32_e32 v3, 29, v9
	v_and_b32_e32 v2, 7, v2
	v_cmp_gt_u32_e64 s[8:9], 8, v1
	v_cndmask_b32_e64 v1, v8, v3, s[8:9]
	v_cndmask_b32_e64 v0, v0, v2, s[8:9]
	v_lshlrev_b32_e32 v2, 24, v28
	v_lshlrev_b32_e32 v0, 20, v0
	v_and_b32_e32 v2, 0x80000000, v2
	v_lshl_add_u32 v1, v1, 23, v40
	v_or3_b32 v0, v2, v1, v0
.LBB369_194:                            ;   in Loop: Header=BB369_10 Depth=1
	s_or_b64 exec, exec, s[34:35]
.LBB369_195:                            ;   in Loop: Header=BB369_10 Depth=1
	s_or_b64 exec, exec, s[30:31]
.LBB369_196:                            ;   in Loop: Header=BB369_10 Depth=1
	s_or_b64 exec, exec, s[28:29]
	v_mul_f32_e32 v0, v43, v0
	v_and_b32_e32 v1, 0x7f800000, v0
	v_cmp_ne_u32_e64 s[8:9], s38, v1
                                        ; implicit-def: $vgpr35
	s_and_saveexec_b64 s[28:29], s[8:9]
	s_xor_b64 s[8:9], exec, s[28:29]
; %bb.197:                              ;   in Loop: Header=BB369_10 Depth=1
	v_bfe_u32 v1, v0, 16, 1
	v_add3_u32 v35, v0, v1, s39
                                        ; implicit-def: $vgpr0
; %bb.198:                              ;   in Loop: Header=BB369_10 Depth=1
	s_andn2_saveexec_b64 s[28:29], s[8:9]
; %bb.199:                              ;   in Loop: Header=BB369_10 Depth=1
	v_or_b32_e32 v1, 0x10000, v0
	v_cmp_eq_u32_sdwa s[8:9], v0, v55 src0_sel:WORD_0 src1_sel:DWORD
	v_cndmask_b32_e64 v35, v1, v0, s[8:9]
; %bb.200:                              ;   in Loop: Header=BB369_10 Depth=1
	s_or_b64 exec, exec, s[28:29]
	v_lshrrev_b16_e32 v30, 8, v28
	v_cmp_ne_u16_e64 s[8:9], 0, v30
	v_mov_b32_e32 v0, 0
	s_and_saveexec_b64 s[28:29], s[8:9]
	s_cbranch_execz .LBB369_206
; %bb.201:                              ;   in Loop: Header=BB369_10 Depth=1
	v_cmp_ne_u16_e64 s[8:9], s21, v30
	v_bfrev_b32_e32 v0, 1
	s_and_saveexec_b64 s[30:31], s[8:9]
	s_cbranch_execz .LBB369_205
; %bb.202:                              ;   in Loop: Header=BB369_10 Depth=1
	v_and_b32_e32 v1, 0x7f, v30
	v_cmp_ne_u32_e64 s[8:9], s37, v1
	v_mov_b32_e32 v0, 0x7f800001
	s_and_saveexec_b64 s[34:35], s[8:9]
	s_cbranch_execz .LBB369_204
; %bb.203:                              ;   in Loop: Header=BB369_10 Depth=1
	v_and_b32_e32 v0, 7, v30
	v_ffbh_u32_e32 v2, v0
	v_min_u32_e32 v9, 32, v2
	v_subrev_u32_e32 v2, 28, v9
	v_lshlrev_b64 v[2:3], v2, v[30:31]
	v_lshrrev_b32_e32 v8, 3, v1
	v_sub_u32_e32 v3, 29, v9
	v_and_b32_e32 v2, 7, v2
	v_cmp_gt_u32_e64 s[8:9], 8, v1
	v_cndmask_b32_e64 v1, v8, v3, s[8:9]
	v_cndmask_b32_e64 v0, v0, v2, s[8:9]
	v_lshlrev_b32_e32 v2, 16, v28
	v_lshlrev_b32_e32 v0, 20, v0
	v_and_b32_e32 v2, 0x80000000, v2
	v_lshl_add_u32 v1, v1, 23, v40
	v_or3_b32 v0, v2, v1, v0
.LBB369_204:                            ;   in Loop: Header=BB369_10 Depth=1
	s_or_b64 exec, exec, s[34:35]
.LBB369_205:                            ;   in Loop: Header=BB369_10 Depth=1
	s_or_b64 exec, exec, s[30:31]
.LBB369_206:                            ;   in Loop: Header=BB369_10 Depth=1
	s_or_b64 exec, exec, s[28:29]
	v_mul_f32_e32 v0, v43, v0
	v_and_b32_e32 v1, 0x7f800000, v0
	v_cmp_ne_u32_e64 s[8:9], s38, v1
                                        ; implicit-def: $vgpr33
	s_and_saveexec_b64 s[28:29], s[8:9]
	s_xor_b64 s[8:9], exec, s[28:29]
; %bb.207:                              ;   in Loop: Header=BB369_10 Depth=1
	v_bfe_u32 v1, v0, 16, 1
	v_add3_u32 v33, v0, v1, s39
                                        ; implicit-def: $vgpr0
; %bb.208:                              ;   in Loop: Header=BB369_10 Depth=1
	s_andn2_saveexec_b64 s[28:29], s[8:9]
; %bb.209:                              ;   in Loop: Header=BB369_10 Depth=1
	v_or_b32_e32 v1, 0x10000, v0
	v_cmp_eq_u32_sdwa s[8:9], v0, v55 src0_sel:WORD_0 src1_sel:DWORD
	v_cndmask_b32_e64 v33, v1, v0, s[8:9]
; %bb.210:                              ;   in Loop: Header=BB369_10 Depth=1
	s_or_b64 exec, exec, s[28:29]
	flat_load_ushort v0, v[20:21] offset:1280
	s_waitcnt vmcnt(0) lgkmcnt(0)
	v_and_b32_e32 v28, 0xffff, v0
	v_cmp_ne_u16_sdwa s[8:9], v0, v55 src0_sel:BYTE_0 src1_sel:DWORD
	v_mov_b32_e32 v0, 0
	s_and_saveexec_b64 s[28:29], s[8:9]
	s_cbranch_execz .LBB369_216
; %bb.211:                              ;   in Loop: Header=BB369_10 Depth=1
	v_cmp_ne_u16_sdwa s[8:9], v28, s21 src0_sel:BYTE_0 src1_sel:DWORD
	v_bfrev_b32_e32 v0, 1
	s_and_saveexec_b64 s[30:31], s[8:9]
	s_cbranch_execz .LBB369_215
; %bb.212:                              ;   in Loop: Header=BB369_10 Depth=1
	v_and_b32_e32 v1, 0x7f, v28
	v_cmp_ne_u32_e64 s[8:9], s37, v1
	v_mov_b32_e32 v0, 0x7f800001
	s_and_saveexec_b64 s[34:35], s[8:9]
	s_cbranch_execz .LBB369_214
; %bb.213:                              ;   in Loop: Header=BB369_10 Depth=1
	v_and_b32_e32 v0, 7, v28
	v_ffbh_u32_e32 v2, v0
	v_min_u32_e32 v9, 32, v2
	v_subrev_u32_e32 v2, 28, v9
	v_lshlrev_b64 v[2:3], v2, v[28:29]
	v_lshrrev_b32_e32 v8, 3, v1
	v_sub_u32_e32 v3, 29, v9
	v_and_b32_e32 v2, 7, v2
	v_cmp_gt_u32_e64 s[8:9], 8, v1
	v_cndmask_b32_e64 v1, v8, v3, s[8:9]
	v_cndmask_b32_e64 v0, v0, v2, s[8:9]
	v_lshlrev_b32_e32 v2, 24, v28
	v_lshlrev_b32_e32 v0, 20, v0
	v_and_b32_e32 v2, 0x80000000, v2
	v_lshl_add_u32 v1, v1, 23, v40
	v_or3_b32 v0, v2, v1, v0
.LBB369_214:                            ;   in Loop: Header=BB369_10 Depth=1
	s_or_b64 exec, exec, s[34:35]
.LBB369_215:                            ;   in Loop: Header=BB369_10 Depth=1
	s_or_b64 exec, exec, s[30:31]
.LBB369_216:                            ;   in Loop: Header=BB369_10 Depth=1
	s_or_b64 exec, exec, s[28:29]
	v_mul_f32_e32 v0, v43, v0
	v_and_b32_e32 v1, 0x7f800000, v0
	v_cmp_ne_u32_e64 s[8:9], s38, v1
                                        ; implicit-def: $vgpr11
	s_and_saveexec_b64 s[28:29], s[8:9]
	s_xor_b64 s[8:9], exec, s[28:29]
; %bb.217:                              ;   in Loop: Header=BB369_10 Depth=1
	v_bfe_u32 v1, v0, 16, 1
	v_add3_u32 v11, v0, v1, s39
                                        ; implicit-def: $vgpr0
; %bb.218:                              ;   in Loop: Header=BB369_10 Depth=1
	s_andn2_saveexec_b64 s[28:29], s[8:9]
; %bb.219:                              ;   in Loop: Header=BB369_10 Depth=1
	v_or_b32_e32 v1, 0x10000, v0
	v_cmp_eq_u32_sdwa s[8:9], v0, v55 src0_sel:WORD_0 src1_sel:DWORD
	v_cndmask_b32_e64 v11, v1, v0, s[8:9]
; %bb.220:                              ;   in Loop: Header=BB369_10 Depth=1
	s_or_b64 exec, exec, s[28:29]
	v_lshrrev_b16_e32 v30, 8, v28
	v_cmp_ne_u16_e64 s[8:9], 0, v30
	v_mov_b32_e32 v0, 0
	s_and_saveexec_b64 s[28:29], s[8:9]
	s_cbranch_execz .LBB369_226
; %bb.221:                              ;   in Loop: Header=BB369_10 Depth=1
	v_cmp_ne_u16_e64 s[8:9], s21, v30
	v_bfrev_b32_e32 v0, 1
	s_and_saveexec_b64 s[30:31], s[8:9]
	s_cbranch_execz .LBB369_225
; %bb.222:                              ;   in Loop: Header=BB369_10 Depth=1
	v_and_b32_e32 v1, 0x7f, v30
	v_cmp_ne_u32_e64 s[8:9], s37, v1
	v_mov_b32_e32 v0, 0x7f800001
	s_and_saveexec_b64 s[34:35], s[8:9]
	s_cbranch_execz .LBB369_224
; %bb.223:                              ;   in Loop: Header=BB369_10 Depth=1
	v_and_b32_e32 v0, 7, v30
	v_ffbh_u32_e32 v2, v0
	v_min_u32_e32 v9, 32, v2
	v_subrev_u32_e32 v2, 28, v9
	v_lshlrev_b64 v[2:3], v2, v[30:31]
	v_lshrrev_b32_e32 v8, 3, v1
	v_sub_u32_e32 v3, 29, v9
	v_and_b32_e32 v2, 7, v2
	v_cmp_gt_u32_e64 s[8:9], 8, v1
	v_cndmask_b32_e64 v1, v8, v3, s[8:9]
	v_cndmask_b32_e64 v0, v0, v2, s[8:9]
	v_lshlrev_b32_e32 v2, 16, v28
	v_lshlrev_b32_e32 v0, 20, v0
	v_and_b32_e32 v2, 0x80000000, v2
	v_lshl_add_u32 v1, v1, 23, v40
	v_or3_b32 v0, v2, v1, v0
.LBB369_224:                            ;   in Loop: Header=BB369_10 Depth=1
	s_or_b64 exec, exec, s[34:35]
.LBB369_225:                            ;   in Loop: Header=BB369_10 Depth=1
	s_or_b64 exec, exec, s[30:31]
.LBB369_226:                            ;   in Loop: Header=BB369_10 Depth=1
	s_or_b64 exec, exec, s[28:29]
	v_mul_f32_e32 v0, v43, v0
	v_and_b32_e32 v1, 0x7f800000, v0
	v_cmp_ne_u32_e64 s[8:9], s38, v1
                                        ; implicit-def: $vgpr10
	s_and_saveexec_b64 s[28:29], s[8:9]
	s_xor_b64 s[8:9], exec, s[28:29]
; %bb.227:                              ;   in Loop: Header=BB369_10 Depth=1
	v_bfe_u32 v1, v0, 16, 1
	v_add3_u32 v10, v0, v1, s39
                                        ; implicit-def: $vgpr0
; %bb.228:                              ;   in Loop: Header=BB369_10 Depth=1
	s_andn2_saveexec_b64 s[28:29], s[8:9]
; %bb.229:                              ;   in Loop: Header=BB369_10 Depth=1
	v_or_b32_e32 v1, 0x10000, v0
	v_cmp_eq_u32_sdwa s[8:9], v0, v55 src0_sel:WORD_0 src1_sel:DWORD
	v_cndmask_b32_e64 v10, v1, v0, s[8:9]
; %bb.230:                              ;   in Loop: Header=BB369_10 Depth=1
	s_or_b64 exec, exec, s[28:29]
	flat_load_ushort v0, v[20:21] offset:1288
	s_waitcnt vmcnt(0) lgkmcnt(0)
	v_and_b32_e32 v28, 0xffff, v0
	v_cmp_ne_u16_sdwa s[8:9], v0, v55 src0_sel:BYTE_0 src1_sel:DWORD
	v_mov_b32_e32 v0, 0
	s_and_saveexec_b64 s[28:29], s[8:9]
	s_cbranch_execz .LBB369_236
; %bb.231:                              ;   in Loop: Header=BB369_10 Depth=1
	v_cmp_ne_u16_sdwa s[8:9], v28, s21 src0_sel:BYTE_0 src1_sel:DWORD
	v_bfrev_b32_e32 v0, 1
	s_and_saveexec_b64 s[30:31], s[8:9]
	s_cbranch_execz .LBB369_235
; %bb.232:                              ;   in Loop: Header=BB369_10 Depth=1
	v_and_b32_e32 v1, 0x7f, v28
	v_cmp_ne_u32_e64 s[8:9], s37, v1
	v_mov_b32_e32 v0, 0x7f800001
	s_and_saveexec_b64 s[34:35], s[8:9]
	s_cbranch_execz .LBB369_234
; %bb.233:                              ;   in Loop: Header=BB369_10 Depth=1
	v_and_b32_e32 v0, 7, v28
	v_ffbh_u32_e32 v2, v0
	v_min_u32_e32 v9, 32, v2
	v_subrev_u32_e32 v2, 28, v9
	v_lshlrev_b64 v[2:3], v2, v[28:29]
	v_lshrrev_b32_e32 v8, 3, v1
	v_sub_u32_e32 v3, 29, v9
	v_and_b32_e32 v2, 7, v2
	v_cmp_gt_u32_e64 s[8:9], 8, v1
	v_cndmask_b32_e64 v1, v8, v3, s[8:9]
	v_cndmask_b32_e64 v0, v0, v2, s[8:9]
	v_lshlrev_b32_e32 v2, 24, v28
	v_lshlrev_b32_e32 v0, 20, v0
	v_and_b32_e32 v2, 0x80000000, v2
	v_lshl_add_u32 v1, v1, 23, v40
	v_or3_b32 v0, v2, v1, v0
.LBB369_234:                            ;   in Loop: Header=BB369_10 Depth=1
	s_or_b64 exec, exec, s[34:35]
.LBB369_235:                            ;   in Loop: Header=BB369_10 Depth=1
	s_or_b64 exec, exec, s[30:31]
.LBB369_236:                            ;   in Loop: Header=BB369_10 Depth=1
	s_or_b64 exec, exec, s[28:29]
	v_mul_f32_e32 v0, v43, v0
	v_and_b32_e32 v1, 0x7f800000, v0
	v_cmp_ne_u32_e64 s[8:9], s38, v1
                                        ; implicit-def: $vgpr1
	s_and_saveexec_b64 s[28:29], s[8:9]
	s_xor_b64 s[8:9], exec, s[28:29]
; %bb.237:                              ;   in Loop: Header=BB369_10 Depth=1
	v_bfe_u32 v1, v0, 16, 1
	v_add3_u32 v1, v0, v1, s39
                                        ; implicit-def: $vgpr0
; %bb.238:                              ;   in Loop: Header=BB369_10 Depth=1
	s_andn2_saveexec_b64 s[28:29], s[8:9]
; %bb.239:                              ;   in Loop: Header=BB369_10 Depth=1
	v_or_b32_e32 v1, 0x10000, v0
	v_cmp_eq_u32_sdwa s[8:9], v0, v55 src0_sel:WORD_0 src1_sel:DWORD
	v_cndmask_b32_e64 v1, v1, v0, s[8:9]
; %bb.240:                              ;   in Loop: Header=BB369_10 Depth=1
	s_or_b64 exec, exec, s[28:29]
	v_lshrrev_b16_e32 v30, 8, v28
	v_cmp_ne_u16_e64 s[8:9], 0, v30
	v_mov_b32_e32 v0, 0
	s_and_saveexec_b64 s[28:29], s[8:9]
	s_cbranch_execz .LBB369_246
; %bb.241:                              ;   in Loop: Header=BB369_10 Depth=1
	v_cmp_ne_u16_e64 s[8:9], s21, v30
	v_bfrev_b32_e32 v0, 1
	s_and_saveexec_b64 s[30:31], s[8:9]
	s_cbranch_execz .LBB369_245
; %bb.242:                              ;   in Loop: Header=BB369_10 Depth=1
	v_and_b32_e32 v2, 0x7f, v30
	v_cmp_ne_u32_e64 s[8:9], s37, v2
	v_mov_b32_e32 v0, 0x7f800001
	s_and_saveexec_b64 s[34:35], s[8:9]
	s_cbranch_execz .LBB369_244
; %bb.243:                              ;   in Loop: Header=BB369_10 Depth=1
	v_and_b32_e32 v0, 7, v30
	v_ffbh_u32_e32 v8, v0
	v_min_u32_e32 v12, 32, v8
	v_subrev_u32_e32 v8, 28, v12
	v_lshlrev_b64 v[8:9], v8, v[30:31]
	v_lshrrev_b32_e32 v3, 3, v2
	v_sub_u32_e32 v9, 29, v12
	v_and_b32_e32 v8, 7, v8
	v_cmp_gt_u32_e64 s[8:9], 8, v2
	v_cndmask_b32_e64 v2, v3, v9, s[8:9]
	v_cndmask_b32_e64 v0, v0, v8, s[8:9]
	v_lshlrev_b32_e32 v3, 16, v28
	v_lshlrev_b32_e32 v0, 20, v0
	v_and_b32_e32 v3, 0x80000000, v3
	v_lshl_add_u32 v2, v2, 23, v40
	v_or3_b32 v0, v3, v2, v0
.LBB369_244:                            ;   in Loop: Header=BB369_10 Depth=1
	s_or_b64 exec, exec, s[34:35]
.LBB369_245:                            ;   in Loop: Header=BB369_10 Depth=1
	s_or_b64 exec, exec, s[30:31]
.LBB369_246:                            ;   in Loop: Header=BB369_10 Depth=1
	s_or_b64 exec, exec, s[28:29]
	v_mul_f32_e32 v2, v43, v0
	v_and_b32_e32 v0, 0x7f800000, v2
	v_cmp_ne_u32_e64 s[8:9], s38, v0
                                        ; implicit-def: $vgpr0
	s_and_saveexec_b64 s[28:29], s[8:9]
	s_xor_b64 s[8:9], exec, s[28:29]
; %bb.247:                              ;   in Loop: Header=BB369_10 Depth=1
	v_bfe_u32 v0, v2, 16, 1
	v_add3_u32 v0, v2, v0, s39
                                        ; implicit-def: $vgpr2
; %bb.248:                              ;   in Loop: Header=BB369_10 Depth=1
	s_andn2_saveexec_b64 s[28:29], s[8:9]
; %bb.249:                              ;   in Loop: Header=BB369_10 Depth=1
	v_or_b32_e32 v0, 0x10000, v2
	v_cmp_eq_u32_sdwa s[8:9], v2, v55 src0_sel:WORD_0 src1_sel:DWORD
	v_cndmask_b32_e64 v0, v0, v2, s[8:9]
; %bb.250:                              ;   in Loop: Header=BB369_10 Depth=1
	s_or_b64 exec, exec, s[28:29]
	flat_load_ushort v2, v[20:21] offset:1536
	s_waitcnt vmcnt(0) lgkmcnt(0)
	v_and_b32_e32 v28, 0xffff, v2
	v_cmp_ne_u16_sdwa s[8:9], v2, v55 src0_sel:BYTE_0 src1_sel:DWORD
	v_mov_b32_e32 v2, 0
	s_and_saveexec_b64 s[28:29], s[8:9]
	s_cbranch_execz .LBB369_256
; %bb.251:                              ;   in Loop: Header=BB369_10 Depth=1
	v_cmp_ne_u16_sdwa s[8:9], v28, s21 src0_sel:BYTE_0 src1_sel:DWORD
	v_bfrev_b32_e32 v2, 1
	s_and_saveexec_b64 s[30:31], s[8:9]
	s_cbranch_execz .LBB369_255
; %bb.252:                              ;   in Loop: Header=BB369_10 Depth=1
	v_and_b32_e32 v3, 0x7f, v28
	v_cmp_ne_u32_e64 s[8:9], s37, v3
	v_mov_b32_e32 v2, 0x7f800001
	s_and_saveexec_b64 s[34:35], s[8:9]
	s_cbranch_execz .LBB369_254
; %bb.253:                              ;   in Loop: Header=BB369_10 Depth=1
	v_and_b32_e32 v2, 7, v28
	v_ffbh_u32_e32 v8, v2
	v_min_u32_e32 v13, 32, v8
	v_subrev_u32_e32 v8, 28, v13
	v_lshlrev_b64 v[8:9], v8, v[28:29]
	v_lshrrev_b32_e32 v12, 3, v3
	v_sub_u32_e32 v9, 29, v13
	v_and_b32_e32 v8, 7, v8
	v_cmp_gt_u32_e64 s[8:9], 8, v3
	v_cndmask_b32_e64 v3, v12, v9, s[8:9]
	v_cndmask_b32_e64 v2, v2, v8, s[8:9]
	v_lshlrev_b32_e32 v8, 24, v28
	v_lshlrev_b32_e32 v2, 20, v2
	v_and_b32_e32 v8, 0x80000000, v8
	v_lshl_add_u32 v3, v3, 23, v40
	v_or3_b32 v2, v8, v3, v2
.LBB369_254:                            ;   in Loop: Header=BB369_10 Depth=1
	s_or_b64 exec, exec, s[34:35]
.LBB369_255:                            ;   in Loop: Header=BB369_10 Depth=1
	s_or_b64 exec, exec, s[30:31]
.LBB369_256:                            ;   in Loop: Header=BB369_10 Depth=1
	s_or_b64 exec, exec, s[28:29]
	v_mul_f32_e32 v2, v43, v2
	v_and_b32_e32 v3, 0x7f800000, v2
	v_cmp_ne_u32_e64 s[8:9], s38, v3
                                        ; implicit-def: $vgpr22
	s_and_saveexec_b64 s[28:29], s[8:9]
	s_xor_b64 s[8:9], exec, s[28:29]
; %bb.257:                              ;   in Loop: Header=BB369_10 Depth=1
	v_bfe_u32 v3, v2, 16, 1
	v_add3_u32 v22, v2, v3, s39
                                        ; implicit-def: $vgpr2
; %bb.258:                              ;   in Loop: Header=BB369_10 Depth=1
	s_andn2_saveexec_b64 s[28:29], s[8:9]
; %bb.259:                              ;   in Loop: Header=BB369_10 Depth=1
	v_or_b32_e32 v3, 0x10000, v2
	v_cmp_eq_u32_sdwa s[8:9], v2, v55 src0_sel:WORD_0 src1_sel:DWORD
	v_cndmask_b32_e64 v22, v3, v2, s[8:9]
; %bb.260:                              ;   in Loop: Header=BB369_10 Depth=1
	s_or_b64 exec, exec, s[28:29]
	v_lshrrev_b16_e32 v30, 8, v28
	v_cmp_ne_u16_e64 s[8:9], 0, v30
	v_mov_b32_e32 v2, 0
	s_and_saveexec_b64 s[28:29], s[8:9]
	s_cbranch_execz .LBB369_266
; %bb.261:                              ;   in Loop: Header=BB369_10 Depth=1
	v_cmp_ne_u16_e64 s[8:9], s21, v30
	v_bfrev_b32_e32 v2, 1
	s_and_saveexec_b64 s[30:31], s[8:9]
	s_cbranch_execz .LBB369_265
; %bb.262:                              ;   in Loop: Header=BB369_10 Depth=1
	v_and_b32_e32 v3, 0x7f, v30
	v_cmp_ne_u32_e64 s[8:9], s37, v3
	v_mov_b32_e32 v2, 0x7f800001
	s_and_saveexec_b64 s[34:35], s[8:9]
	s_cbranch_execz .LBB369_264
; %bb.263:                              ;   in Loop: Header=BB369_10 Depth=1
	v_and_b32_e32 v8, 7, v30
	v_ffbh_u32_e32 v2, v8
	v_min_u32_e32 v12, 32, v2
	v_subrev_u32_e32 v2, 28, v12
	v_lshrrev_b32_e32 v9, 3, v3
	v_cmp_gt_u32_e64 s[8:9], 8, v3
	v_lshlrev_b64 v[2:3], v2, v[30:31]
	v_sub_u32_e32 v3, 29, v12
	v_and_b32_e32 v2, 7, v2
	v_cndmask_b32_e64 v3, v9, v3, s[8:9]
	v_cndmask_b32_e64 v2, v8, v2, s[8:9]
	v_lshlrev_b32_e32 v8, 16, v28
	v_lshlrev_b32_e32 v2, 20, v2
	v_and_b32_e32 v8, 0x80000000, v8
	v_lshl_add_u32 v3, v3, 23, v40
	v_or3_b32 v2, v8, v3, v2
.LBB369_264:                            ;   in Loop: Header=BB369_10 Depth=1
	s_or_b64 exec, exec, s[34:35]
.LBB369_265:                            ;   in Loop: Header=BB369_10 Depth=1
	s_or_b64 exec, exec, s[30:31]
.LBB369_266:                            ;   in Loop: Header=BB369_10 Depth=1
	s_or_b64 exec, exec, s[28:29]
	v_mul_f32_e32 v2, v43, v2
	v_and_b32_e32 v3, 0x7f800000, v2
	v_cmp_ne_u32_e64 s[8:9], s38, v3
                                        ; implicit-def: $vgpr3
	s_and_saveexec_b64 s[28:29], s[8:9]
	s_xor_b64 s[8:9], exec, s[28:29]
; %bb.267:                              ;   in Loop: Header=BB369_10 Depth=1
	v_bfe_u32 v3, v2, 16, 1
	v_add3_u32 v3, v2, v3, s39
                                        ; implicit-def: $vgpr2
; %bb.268:                              ;   in Loop: Header=BB369_10 Depth=1
	s_andn2_saveexec_b64 s[28:29], s[8:9]
; %bb.269:                              ;   in Loop: Header=BB369_10 Depth=1
	v_or_b32_e32 v3, 0x10000, v2
	v_cmp_eq_u32_sdwa s[8:9], v2, v55 src0_sel:WORD_0 src1_sel:DWORD
	v_cndmask_b32_e64 v3, v3, v2, s[8:9]
; %bb.270:                              ;   in Loop: Header=BB369_10 Depth=1
	s_or_b64 exec, exec, s[28:29]
	flat_load_ushort v2, v[20:21] offset:1544
	s_waitcnt vmcnt(0) lgkmcnt(0)
	v_and_b32_e32 v28, 0xffff, v2
	v_cmp_ne_u16_sdwa s[8:9], v2, v55 src0_sel:BYTE_0 src1_sel:DWORD
	v_mov_b32_e32 v2, 0
	s_and_saveexec_b64 s[28:29], s[8:9]
	s_cbranch_execz .LBB369_276
; %bb.271:                              ;   in Loop: Header=BB369_10 Depth=1
	v_cmp_ne_u16_sdwa s[8:9], v28, s21 src0_sel:BYTE_0 src1_sel:DWORD
	v_bfrev_b32_e32 v2, 1
	s_and_saveexec_b64 s[30:31], s[8:9]
	s_cbranch_execz .LBB369_275
; %bb.272:                              ;   in Loop: Header=BB369_10 Depth=1
	v_and_b32_e32 v8, 0x7f, v28
	v_cmp_ne_u32_e64 s[8:9], s37, v8
	v_mov_b32_e32 v2, 0x7f800001
	s_and_saveexec_b64 s[34:35], s[8:9]
	s_cbranch_execz .LBB369_274
; %bb.273:                              ;   in Loop: Header=BB369_10 Depth=1
	v_and_b32_e32 v2, 7, v28
	v_lshrrev_b32_e32 v12, 3, v8
	v_cmp_gt_u32_e64 s[8:9], 8, v8
	v_ffbh_u32_e32 v8, v2
	v_min_u32_e32 v13, 32, v8
	v_subrev_u32_e32 v8, 28, v13
	v_lshlrev_b64 v[8:9], v8, v[28:29]
	v_sub_u32_e32 v9, 29, v13
	v_and_b32_e32 v8, 7, v8
	v_cndmask_b32_e64 v9, v12, v9, s[8:9]
	v_cndmask_b32_e64 v2, v2, v8, s[8:9]
	v_lshlrev_b32_e32 v8, 24, v28
	v_lshlrev_b32_e32 v2, 20, v2
	v_and_b32_e32 v8, 0x80000000, v8
	v_lshl_add_u32 v9, v9, 23, v40
	v_or3_b32 v2, v8, v9, v2
.LBB369_274:                            ;   in Loop: Header=BB369_10 Depth=1
	s_or_b64 exec, exec, s[34:35]
.LBB369_275:                            ;   in Loop: Header=BB369_10 Depth=1
	s_or_b64 exec, exec, s[30:31]
.LBB369_276:                            ;   in Loop: Header=BB369_10 Depth=1
	s_or_b64 exec, exec, s[28:29]
	v_mul_f32_e32 v8, v43, v2
	v_and_b32_e32 v2, 0x7f800000, v8
	v_cmp_ne_u32_e64 s[8:9], s38, v2
                                        ; implicit-def: $vgpr2
	s_and_saveexec_b64 s[28:29], s[8:9]
	s_xor_b64 s[8:9], exec, s[28:29]
; %bb.277:                              ;   in Loop: Header=BB369_10 Depth=1
	v_bfe_u32 v2, v8, 16, 1
	v_add3_u32 v2, v8, v2, s39
                                        ; implicit-def: $vgpr8
; %bb.278:                              ;   in Loop: Header=BB369_10 Depth=1
	s_andn2_saveexec_b64 s[28:29], s[8:9]
; %bb.279:                              ;   in Loop: Header=BB369_10 Depth=1
	v_or_b32_e32 v2, 0x10000, v8
	v_cmp_eq_u32_sdwa s[8:9], v8, v55 src0_sel:WORD_0 src1_sel:DWORD
	v_cndmask_b32_e64 v2, v2, v8, s[8:9]
; %bb.280:                              ;   in Loop: Header=BB369_10 Depth=1
	s_or_b64 exec, exec, s[28:29]
	v_lshrrev_b16_e32 v30, 8, v28
	v_cmp_ne_u16_e64 s[8:9], 0, v30
	v_mov_b32_e32 v8, 0
	s_and_saveexec_b64 s[28:29], s[8:9]
	s_cbranch_execz .LBB369_286
; %bb.281:                              ;   in Loop: Header=BB369_10 Depth=1
	v_cmp_ne_u16_e64 s[8:9], s21, v30
	v_bfrev_b32_e32 v8, 1
	s_and_saveexec_b64 s[30:31], s[8:9]
	s_cbranch_execz .LBB369_285
; %bb.282:                              ;   in Loop: Header=BB369_10 Depth=1
	v_and_b32_e32 v9, 0x7f, v30
	v_cmp_ne_u32_e64 s[8:9], s37, v9
	v_mov_b32_e32 v8, 0x7f800001
	s_and_saveexec_b64 s[34:35], s[8:9]
	s_cbranch_execz .LBB369_284
; %bb.283:                              ;   in Loop: Header=BB369_10 Depth=1
	v_and_b32_e32 v12, 7, v30
	v_ffbh_u32_e32 v8, v12
	v_min_u32_e32 v14, 32, v8
	v_subrev_u32_e32 v8, 28, v14
	v_lshrrev_b32_e32 v13, 3, v9
	v_cmp_gt_u32_e64 s[8:9], 8, v9
	v_lshlrev_b64 v[8:9], v8, v[30:31]
	v_sub_u32_e32 v9, 29, v14
	v_and_b32_e32 v8, 7, v8
	v_cndmask_b32_e64 v9, v13, v9, s[8:9]
	v_cndmask_b32_e64 v8, v12, v8, s[8:9]
	v_lshlrev_b32_e32 v12, 16, v28
	v_lshlrev_b32_e32 v8, 20, v8
	v_and_b32_e32 v12, 0x80000000, v12
	v_lshl_add_u32 v9, v9, 23, v40
	v_or3_b32 v8, v12, v9, v8
.LBB369_284:                            ;   in Loop: Header=BB369_10 Depth=1
	s_or_b64 exec, exec, s[34:35]
.LBB369_285:                            ;   in Loop: Header=BB369_10 Depth=1
	s_or_b64 exec, exec, s[30:31]
.LBB369_286:                            ;   in Loop: Header=BB369_10 Depth=1
	s_or_b64 exec, exec, s[28:29]
	v_mul_f32_e32 v8, v43, v8
	v_and_b32_e32 v9, 0x7f800000, v8
	v_cmp_ne_u32_e64 s[8:9], s38, v9
                                        ; implicit-def: $vgpr29
	s_and_saveexec_b64 s[28:29], s[8:9]
	s_xor_b64 s[8:9], exec, s[28:29]
; %bb.287:                              ;   in Loop: Header=BB369_10 Depth=1
	v_bfe_u32 v9, v8, 16, 1
	v_add3_u32 v29, v8, v9, s39
                                        ; implicit-def: $vgpr8
; %bb.288:                              ;   in Loop: Header=BB369_10 Depth=1
	s_andn2_saveexec_b64 s[28:29], s[8:9]
; %bb.289:                              ;   in Loop: Header=BB369_10 Depth=1
	v_or_b32_e32 v9, 0x10000, v8
	v_cmp_eq_u32_sdwa s[8:9], v8, v55 src0_sel:WORD_0 src1_sel:DWORD
	v_cndmask_b32_e64 v29, v9, v8, s[8:9]
; %bb.290:                              ;   in Loop: Header=BB369_10 Depth=1
	s_or_b64 exec, exec, s[28:29]
	flat_load_ushort v8, v[20:21] offset:1792
	s_waitcnt vmcnt(0) lgkmcnt(0)
	v_and_b32_e32 v28, 0xffff, v8
	v_cmp_ne_u16_sdwa s[8:9], v8, v55 src0_sel:BYTE_0 src1_sel:DWORD
	v_mov_b32_e32 v8, 0
	s_and_saveexec_b64 s[28:29], s[8:9]
	s_cbranch_execz .LBB369_296
; %bb.291:                              ;   in Loop: Header=BB369_10 Depth=1
	v_cmp_ne_u16_sdwa s[8:9], v28, s21 src0_sel:BYTE_0 src1_sel:DWORD
	v_bfrev_b32_e32 v8, 1
	s_and_saveexec_b64 s[30:31], s[8:9]
	s_cbranch_execz .LBB369_295
; %bb.292:                              ;   in Loop: Header=BB369_10 Depth=1
	v_and_b32_e32 v9, 0x7f, v28
	v_cmp_ne_u32_e64 s[8:9], s37, v9
	v_mov_b32_e32 v8, 0x7f800001
	s_and_saveexec_b64 s[34:35], s[8:9]
	s_cbranch_execz .LBB369_294
; %bb.293:                              ;   in Loop: Header=BB369_10 Depth=1
	v_and_b32_e32 v12, 7, v28
	v_ffbh_u32_e32 v8, v12
	v_min_u32_e32 v14, 32, v8
	v_subrev_u32_e32 v8, 28, v14
	v_lshrrev_b32_e32 v13, 3, v9
	v_cmp_gt_u32_e64 s[8:9], 8, v9
	v_lshlrev_b64 v[8:9], v8, v[28:29]
	v_sub_u32_e32 v9, 29, v14
	v_and_b32_e32 v8, 7, v8
	v_cndmask_b32_e64 v9, v13, v9, s[8:9]
	v_cndmask_b32_e64 v8, v12, v8, s[8:9]
	v_lshlrev_b32_e32 v12, 24, v28
	v_lshlrev_b32_e32 v8, 20, v8
	v_and_b32_e32 v12, 0x80000000, v12
	v_lshl_add_u32 v9, v9, 23, v40
	v_or3_b32 v8, v12, v9, v8
.LBB369_294:                            ;   in Loop: Header=BB369_10 Depth=1
	s_or_b64 exec, exec, s[34:35]
.LBB369_295:                            ;   in Loop: Header=BB369_10 Depth=1
	s_or_b64 exec, exec, s[30:31]
.LBB369_296:                            ;   in Loop: Header=BB369_10 Depth=1
	s_or_b64 exec, exec, s[28:29]
	v_mul_f32_e32 v8, v43, v8
	v_and_b32_e32 v9, 0x7f800000, v8
	v_cmp_ne_u32_e64 s[8:9], s38, v9
                                        ; implicit-def: $vgpr31
	s_and_saveexec_b64 s[28:29], s[8:9]
	s_xor_b64 s[8:9], exec, s[28:29]
; %bb.297:                              ;   in Loop: Header=BB369_10 Depth=1
	v_bfe_u32 v9, v8, 16, 1
	v_add3_u32 v31, v8, v9, s39
                                        ; implicit-def: $vgpr8
; %bb.298:                              ;   in Loop: Header=BB369_10 Depth=1
	s_andn2_saveexec_b64 s[28:29], s[8:9]
; %bb.299:                              ;   in Loop: Header=BB369_10 Depth=1
	v_or_b32_e32 v9, 0x10000, v8
	v_cmp_eq_u32_sdwa s[8:9], v8, v55 src0_sel:WORD_0 src1_sel:DWORD
	v_cndmask_b32_e64 v31, v9, v8, s[8:9]
; %bb.300:                              ;   in Loop: Header=BB369_10 Depth=1
	s_or_b64 exec, exec, s[28:29]
	v_lshrrev_b16_e32 v30, 8, v28
	v_cmp_ne_u16_e64 s[8:9], 0, v30
	v_mov_b32_e32 v8, 0
	s_and_saveexec_b64 s[28:29], s[8:9]
	s_cbranch_execz .LBB369_306
; %bb.301:                              ;   in Loop: Header=BB369_10 Depth=1
	v_cmp_ne_u16_e64 s[8:9], s21, v30
	v_bfrev_b32_e32 v8, 1
	s_and_saveexec_b64 s[30:31], s[8:9]
	s_cbranch_execz .LBB369_305
; %bb.302:                              ;   in Loop: Header=BB369_10 Depth=1
	v_and_b32_e32 v9, 0x7f, v30
	v_cmp_ne_u32_e64 s[8:9], s37, v9
	v_mov_b32_e32 v8, 0x7f800001
	s_and_saveexec_b64 s[34:35], s[8:9]
	s_cbranch_execz .LBB369_304
; %bb.303:                              ;   in Loop: Header=BB369_10 Depth=1
	v_and_b32_e32 v12, 7, v30
	v_ffbh_u32_e32 v8, v12
	v_min_u32_e32 v14, 32, v8
	v_subrev_u32_e32 v8, 28, v14
	v_lshrrev_b32_e32 v13, 3, v9
	v_cmp_gt_u32_e64 s[8:9], 8, v9
	v_lshlrev_b64 v[8:9], v8, v[30:31]
	v_sub_u32_e32 v9, 29, v14
	v_and_b32_e32 v8, 7, v8
	v_cndmask_b32_e64 v9, v13, v9, s[8:9]
	v_cndmask_b32_e64 v8, v12, v8, s[8:9]
	v_lshlrev_b32_e32 v12, 16, v28
	v_lshlrev_b32_e32 v8, 20, v8
	v_and_b32_e32 v12, 0x80000000, v12
	v_lshl_add_u32 v9, v9, 23, v40
	v_or3_b32 v8, v12, v9, v8
.LBB369_304:                            ;   in Loop: Header=BB369_10 Depth=1
	s_or_b64 exec, exec, s[34:35]
.LBB369_305:                            ;   in Loop: Header=BB369_10 Depth=1
	s_or_b64 exec, exec, s[30:31]
.LBB369_306:                            ;   in Loop: Header=BB369_10 Depth=1
	s_or_b64 exec, exec, s[28:29]
	v_mul_f32_e32 v8, v43, v8
	v_and_b32_e32 v9, 0x7f800000, v8
	v_cmp_ne_u32_e64 s[8:9], s38, v9
                                        ; implicit-def: $vgpr26
	s_and_saveexec_b64 s[28:29], s[8:9]
	s_xor_b64 s[8:9], exec, s[28:29]
; %bb.307:                              ;   in Loop: Header=BB369_10 Depth=1
	v_bfe_u32 v9, v8, 16, 1
	v_add3_u32 v26, v8, v9, s39
                                        ; implicit-def: $vgpr8
; %bb.308:                              ;   in Loop: Header=BB369_10 Depth=1
	s_andn2_saveexec_b64 s[28:29], s[8:9]
; %bb.309:                              ;   in Loop: Header=BB369_10 Depth=1
	v_or_b32_e32 v9, 0x10000, v8
	v_cmp_eq_u32_sdwa s[8:9], v8, v55 src0_sel:WORD_0 src1_sel:DWORD
	v_cndmask_b32_e64 v26, v9, v8, s[8:9]
; %bb.310:                              ;   in Loop: Header=BB369_10 Depth=1
	s_or_b64 exec, exec, s[28:29]
	flat_load_ushort v8, v[20:21] offset:1800
	s_waitcnt vmcnt(0) lgkmcnt(0)
	v_and_b32_e32 v28, 0xffff, v8
	v_cmp_ne_u16_sdwa s[8:9], v8, v55 src0_sel:BYTE_0 src1_sel:DWORD
	v_mov_b32_e32 v8, 0
	s_and_saveexec_b64 s[28:29], s[8:9]
	s_cbranch_execz .LBB369_316
; %bb.311:                              ;   in Loop: Header=BB369_10 Depth=1
	v_cmp_ne_u16_sdwa s[8:9], v28, s21 src0_sel:BYTE_0 src1_sel:DWORD
	v_bfrev_b32_e32 v8, 1
	s_and_saveexec_b64 s[30:31], s[8:9]
	s_cbranch_execz .LBB369_315
; %bb.312:                              ;   in Loop: Header=BB369_10 Depth=1
	v_and_b32_e32 v9, 0x7f, v28
	v_cmp_ne_u32_e64 s[8:9], s37, v9
	v_mov_b32_e32 v8, 0x7f800001
	s_and_saveexec_b64 s[34:35], s[8:9]
	s_cbranch_execz .LBB369_314
; %bb.313:                              ;   in Loop: Header=BB369_10 Depth=1
	v_and_b32_e32 v12, 7, v28
	v_ffbh_u32_e32 v8, v12
	v_min_u32_e32 v14, 32, v8
	v_subrev_u32_e32 v8, 28, v14
	v_lshrrev_b32_e32 v13, 3, v9
	v_cmp_gt_u32_e64 s[8:9], 8, v9
	v_lshlrev_b64 v[8:9], v8, v[28:29]
	v_sub_u32_e32 v9, 29, v14
	v_and_b32_e32 v8, 7, v8
	v_cndmask_b32_e64 v9, v13, v9, s[8:9]
	v_cndmask_b32_e64 v8, v12, v8, s[8:9]
	v_lshlrev_b32_e32 v12, 24, v28
	v_lshlrev_b32_e32 v8, 20, v8
	v_and_b32_e32 v12, 0x80000000, v12
	v_lshl_add_u32 v9, v9, 23, v40
	v_or3_b32 v8, v12, v9, v8
.LBB369_314:                            ;   in Loop: Header=BB369_10 Depth=1
	s_or_b64 exec, exec, s[34:35]
.LBB369_315:                            ;   in Loop: Header=BB369_10 Depth=1
	s_or_b64 exec, exec, s[30:31]
.LBB369_316:                            ;   in Loop: Header=BB369_10 Depth=1
	s_or_b64 exec, exec, s[28:29]
	v_mul_f32_e32 v8, v43, v8
	v_and_b32_e32 v9, 0x7f800000, v8
	v_cmp_ne_u32_e64 s[8:9], s38, v9
                                        ; implicit-def: $vgpr27
	s_and_saveexec_b64 s[28:29], s[8:9]
	s_xor_b64 s[8:9], exec, s[28:29]
; %bb.317:                              ;   in Loop: Header=BB369_10 Depth=1
	v_bfe_u32 v9, v8, 16, 1
	v_add3_u32 v27, v8, v9, s39
                                        ; implicit-def: $vgpr8
; %bb.318:                              ;   in Loop: Header=BB369_10 Depth=1
	s_andn2_saveexec_b64 s[28:29], s[8:9]
; %bb.319:                              ;   in Loop: Header=BB369_10 Depth=1
	v_or_b32_e32 v9, 0x10000, v8
	v_cmp_eq_u32_sdwa s[8:9], v8, v55 src0_sel:WORD_0 src1_sel:DWORD
	v_cndmask_b32_e64 v27, v9, v8, s[8:9]
; %bb.320:                              ;   in Loop: Header=BB369_10 Depth=1
	s_or_b64 exec, exec, s[28:29]
	v_lshrrev_b16_e32 v30, 8, v28
	v_cmp_ne_u16_e64 s[8:9], 0, v30
	v_mov_b32_e32 v8, 0
	s_and_saveexec_b64 s[28:29], s[8:9]
	s_cbranch_execz .LBB369_326
; %bb.321:                              ;   in Loop: Header=BB369_10 Depth=1
	v_cmp_ne_u16_e64 s[8:9], s21, v30
	v_bfrev_b32_e32 v8, 1
	s_and_saveexec_b64 s[30:31], s[8:9]
	s_cbranch_execz .LBB369_325
; %bb.322:                              ;   in Loop: Header=BB369_10 Depth=1
	v_and_b32_e32 v9, 0x7f, v30
	v_cmp_ne_u32_e64 s[8:9], s37, v9
	v_mov_b32_e32 v8, 0x7f800001
	s_and_saveexec_b64 s[34:35], s[8:9]
	s_cbranch_execz .LBB369_324
; %bb.323:                              ;   in Loop: Header=BB369_10 Depth=1
	v_and_b32_e32 v12, 7, v30
	v_ffbh_u32_e32 v8, v12
	v_min_u32_e32 v14, 32, v8
	v_subrev_u32_e32 v8, 28, v14
	v_lshrrev_b32_e32 v13, 3, v9
	v_cmp_gt_u32_e64 s[8:9], 8, v9
	v_lshlrev_b64 v[8:9], v8, v[30:31]
	v_sub_u32_e32 v9, 29, v14
	v_and_b32_e32 v8, 7, v8
	v_cndmask_b32_e64 v9, v13, v9, s[8:9]
	v_cndmask_b32_e64 v8, v12, v8, s[8:9]
	v_lshlrev_b32_e32 v12, 16, v28
	v_lshlrev_b32_e32 v8, 20, v8
	v_and_b32_e32 v12, 0x80000000, v12
	v_lshl_add_u32 v9, v9, 23, v40
	v_or3_b32 v8, v12, v9, v8
.LBB369_324:                            ;   in Loop: Header=BB369_10 Depth=1
	s_or_b64 exec, exec, s[34:35]
.LBB369_325:                            ;   in Loop: Header=BB369_10 Depth=1
	s_or_b64 exec, exec, s[30:31]
.LBB369_326:                            ;   in Loop: Header=BB369_10 Depth=1
	s_or_b64 exec, exec, s[28:29]
	v_mul_f32_e32 v8, v43, v8
	v_and_b32_e32 v9, 0x7f800000, v8
	v_cmp_ne_u32_e64 s[8:9], s38, v9
                                        ; implicit-def: $vgpr39
	s_and_saveexec_b64 s[28:29], s[8:9]
	s_xor_b64 s[8:9], exec, s[28:29]
; %bb.327:                              ;   in Loop: Header=BB369_10 Depth=1
	v_bfe_u32 v9, v8, 16, 1
	v_add3_u32 v39, v8, v9, s39
                                        ; implicit-def: $vgpr8
; %bb.328:                              ;   in Loop: Header=BB369_10 Depth=1
	s_andn2_saveexec_b64 s[28:29], s[8:9]
; %bb.329:                              ;   in Loop: Header=BB369_10 Depth=1
	v_or_b32_e32 v9, 0x10000, v8
	v_cmp_eq_u32_sdwa s[8:9], v8, v55 src0_sel:WORD_0 src1_sel:DWORD
	v_cndmask_b32_e64 v39, v9, v8, s[8:9]
; %bb.330:                              ;   in Loop: Header=BB369_10 Depth=1
	s_or_b64 exec, exec, s[28:29]
	flat_load_ushort v8, v[20:21] offset:2048
	s_waitcnt vmcnt(0) lgkmcnt(0)
	v_and_b32_e32 v28, 0xffff, v8
	v_cmp_ne_u16_sdwa s[8:9], v8, v55 src0_sel:BYTE_0 src1_sel:DWORD
	v_mov_b32_e32 v8, 0
	s_and_saveexec_b64 s[28:29], s[8:9]
	s_cbranch_execz .LBB369_336
; %bb.331:                              ;   in Loop: Header=BB369_10 Depth=1
	v_cmp_ne_u16_sdwa s[8:9], v28, s21 src0_sel:BYTE_0 src1_sel:DWORD
	v_bfrev_b32_e32 v8, 1
	s_and_saveexec_b64 s[30:31], s[8:9]
	s_cbranch_execz .LBB369_335
; %bb.332:                              ;   in Loop: Header=BB369_10 Depth=1
	v_and_b32_e32 v9, 0x7f, v28
	v_cmp_ne_u32_e64 s[8:9], s37, v9
	v_mov_b32_e32 v8, 0x7f800001
	s_and_saveexec_b64 s[34:35], s[8:9]
	s_cbranch_execz .LBB369_334
; %bb.333:                              ;   in Loop: Header=BB369_10 Depth=1
	v_and_b32_e32 v12, 7, v28
	v_ffbh_u32_e32 v8, v12
	v_min_u32_e32 v14, 32, v8
	v_subrev_u32_e32 v8, 28, v14
	v_lshrrev_b32_e32 v13, 3, v9
	v_cmp_gt_u32_e64 s[8:9], 8, v9
	v_lshlrev_b64 v[8:9], v8, v[28:29]
	v_sub_u32_e32 v9, 29, v14
	v_and_b32_e32 v8, 7, v8
	v_cndmask_b32_e64 v9, v13, v9, s[8:9]
	v_cndmask_b32_e64 v8, v12, v8, s[8:9]
	v_lshlrev_b32_e32 v12, 24, v28
	v_lshlrev_b32_e32 v8, 20, v8
	v_and_b32_e32 v12, 0x80000000, v12
	v_lshl_add_u32 v9, v9, 23, v40
	v_or3_b32 v8, v12, v9, v8
.LBB369_334:                            ;   in Loop: Header=BB369_10 Depth=1
	s_or_b64 exec, exec, s[34:35]
.LBB369_335:                            ;   in Loop: Header=BB369_10 Depth=1
	s_or_b64 exec, exec, s[30:31]
.LBB369_336:                            ;   in Loop: Header=BB369_10 Depth=1
	s_or_b64 exec, exec, s[28:29]
	v_mul_f32_e32 v8, v43, v8
	v_and_b32_e32 v9, 0x7f800000, v8
	v_cmp_ne_u32_e64 s[8:9], s38, v9
                                        ; implicit-def: $vgpr15
	s_and_saveexec_b64 s[28:29], s[8:9]
	s_xor_b64 s[8:9], exec, s[28:29]
; %bb.337:                              ;   in Loop: Header=BB369_10 Depth=1
	v_bfe_u32 v9, v8, 16, 1
	v_add3_u32 v15, v8, v9, s39
                                        ; implicit-def: $vgpr8
; %bb.338:                              ;   in Loop: Header=BB369_10 Depth=1
	s_andn2_saveexec_b64 s[28:29], s[8:9]
; %bb.339:                              ;   in Loop: Header=BB369_10 Depth=1
	v_or_b32_e32 v9, 0x10000, v8
	v_cmp_eq_u32_sdwa s[8:9], v8, v55 src0_sel:WORD_0 src1_sel:DWORD
	v_cndmask_b32_e64 v15, v9, v8, s[8:9]
; %bb.340:                              ;   in Loop: Header=BB369_10 Depth=1
	s_or_b64 exec, exec, s[28:29]
	v_lshrrev_b16_e32 v30, 8, v28
	v_cmp_ne_u16_e64 s[8:9], 0, v30
	v_mov_b32_e32 v8, 0
	s_and_saveexec_b64 s[28:29], s[8:9]
	s_cbranch_execz .LBB369_346
; %bb.341:                              ;   in Loop: Header=BB369_10 Depth=1
	v_cmp_ne_u16_e64 s[8:9], s21, v30
	v_bfrev_b32_e32 v8, 1
	s_and_saveexec_b64 s[30:31], s[8:9]
	s_cbranch_execz .LBB369_345
; %bb.342:                              ;   in Loop: Header=BB369_10 Depth=1
	v_and_b32_e32 v9, 0x7f, v30
	v_cmp_ne_u32_e64 s[8:9], s37, v9
	v_mov_b32_e32 v8, 0x7f800001
	s_and_saveexec_b64 s[34:35], s[8:9]
	s_cbranch_execz .LBB369_344
; %bb.343:                              ;   in Loop: Header=BB369_10 Depth=1
	v_and_b32_e32 v12, 7, v30
	v_ffbh_u32_e32 v8, v12
	v_min_u32_e32 v14, 32, v8
	v_subrev_u32_e32 v8, 28, v14
	v_lshrrev_b32_e32 v13, 3, v9
	v_cmp_gt_u32_e64 s[8:9], 8, v9
	v_lshlrev_b64 v[8:9], v8, v[30:31]
	v_sub_u32_e32 v9, 29, v14
	v_and_b32_e32 v8, 7, v8
	v_cndmask_b32_e64 v9, v13, v9, s[8:9]
	v_cndmask_b32_e64 v8, v12, v8, s[8:9]
	v_lshlrev_b32_e32 v12, 16, v28
	v_lshlrev_b32_e32 v8, 20, v8
	v_and_b32_e32 v12, 0x80000000, v12
	v_lshl_add_u32 v9, v9, 23, v40
	v_or3_b32 v8, v12, v9, v8
.LBB369_344:                            ;   in Loop: Header=BB369_10 Depth=1
	s_or_b64 exec, exec, s[34:35]
.LBB369_345:                            ;   in Loop: Header=BB369_10 Depth=1
	s_or_b64 exec, exec, s[30:31]
.LBB369_346:                            ;   in Loop: Header=BB369_10 Depth=1
	s_or_b64 exec, exec, s[28:29]
	v_mul_f32_e32 v8, v43, v8
	v_and_b32_e32 v9, 0x7f800000, v8
	v_cmp_ne_u32_e64 s[8:9], s38, v9
                                        ; implicit-def: $vgpr14
	s_and_saveexec_b64 s[28:29], s[8:9]
	s_xor_b64 s[8:9], exec, s[28:29]
; %bb.347:                              ;   in Loop: Header=BB369_10 Depth=1
	v_bfe_u32 v9, v8, 16, 1
	v_add3_u32 v14, v8, v9, s39
                                        ; implicit-def: $vgpr8
; %bb.348:                              ;   in Loop: Header=BB369_10 Depth=1
	s_andn2_saveexec_b64 s[28:29], s[8:9]
; %bb.349:                              ;   in Loop: Header=BB369_10 Depth=1
	v_or_b32_e32 v9, 0x10000, v8
	v_cmp_eq_u32_sdwa s[8:9], v8, v55 src0_sel:WORD_0 src1_sel:DWORD
	v_cndmask_b32_e64 v14, v9, v8, s[8:9]
; %bb.350:                              ;   in Loop: Header=BB369_10 Depth=1
	s_or_b64 exec, exec, s[28:29]
	flat_load_ushort v8, v[20:21] offset:2056
	s_waitcnt vmcnt(0) lgkmcnt(0)
	v_and_b32_e32 v28, 0xffff, v8
	v_cmp_ne_u16_sdwa s[8:9], v8, v55 src0_sel:BYTE_0 src1_sel:DWORD
	v_mov_b32_e32 v8, 0
	s_and_saveexec_b64 s[28:29], s[8:9]
	s_cbranch_execz .LBB369_356
; %bb.351:                              ;   in Loop: Header=BB369_10 Depth=1
	v_cmp_ne_u16_sdwa s[8:9], v28, s21 src0_sel:BYTE_0 src1_sel:DWORD
	v_bfrev_b32_e32 v8, 1
	s_and_saveexec_b64 s[30:31], s[8:9]
	s_cbranch_execz .LBB369_355
; %bb.352:                              ;   in Loop: Header=BB369_10 Depth=1
	v_and_b32_e32 v9, 0x7f, v28
	v_cmp_ne_u32_e64 s[8:9], s37, v9
	v_mov_b32_e32 v8, 0x7f800001
	s_and_saveexec_b64 s[34:35], s[8:9]
	s_cbranch_execz .LBB369_354
; %bb.353:                              ;   in Loop: Header=BB369_10 Depth=1
	v_and_b32_e32 v12, 7, v28
	v_ffbh_u32_e32 v8, v12
	v_min_u32_e32 v23, 32, v8
	v_subrev_u32_e32 v8, 28, v23
	v_lshrrev_b32_e32 v13, 3, v9
	v_cmp_gt_u32_e64 s[8:9], 8, v9
	v_lshlrev_b64 v[8:9], v8, v[28:29]
	v_sub_u32_e32 v9, 29, v23
	v_and_b32_e32 v8, 7, v8
	v_cndmask_b32_e64 v9, v13, v9, s[8:9]
	v_cndmask_b32_e64 v8, v12, v8, s[8:9]
	v_lshlrev_b32_e32 v12, 24, v28
	v_lshlrev_b32_e32 v8, 20, v8
	v_and_b32_e32 v12, 0x80000000, v12
	v_lshl_add_u32 v9, v9, 23, v40
	v_or3_b32 v8, v12, v9, v8
.LBB369_354:                            ;   in Loop: Header=BB369_10 Depth=1
	s_or_b64 exec, exec, s[34:35]
.LBB369_355:                            ;   in Loop: Header=BB369_10 Depth=1
	s_or_b64 exec, exec, s[30:31]
.LBB369_356:                            ;   in Loop: Header=BB369_10 Depth=1
	s_or_b64 exec, exec, s[28:29]
	v_mul_f32_e32 v8, v43, v8
	v_and_b32_e32 v9, 0x7f800000, v8
	v_cmp_ne_u32_e64 s[8:9], s38, v9
                                        ; implicit-def: $vgpr23
	s_and_saveexec_b64 s[28:29], s[8:9]
	s_xor_b64 s[8:9], exec, s[28:29]
; %bb.357:                              ;   in Loop: Header=BB369_10 Depth=1
	v_bfe_u32 v9, v8, 16, 1
	v_add3_u32 v23, v8, v9, s39
                                        ; implicit-def: $vgpr8
; %bb.358:                              ;   in Loop: Header=BB369_10 Depth=1
	s_andn2_saveexec_b64 s[28:29], s[8:9]
; %bb.359:                              ;   in Loop: Header=BB369_10 Depth=1
	v_or_b32_e32 v9, 0x10000, v8
	v_cmp_eq_u32_sdwa s[8:9], v8, v55 src0_sel:WORD_0 src1_sel:DWORD
	v_cndmask_b32_e64 v23, v9, v8, s[8:9]
; %bb.360:                              ;   in Loop: Header=BB369_10 Depth=1
	s_or_b64 exec, exec, s[28:29]
	v_lshrrev_b16_e32 v30, 8, v28
	v_cmp_ne_u16_e64 s[8:9], 0, v30
	v_mov_b32_e32 v8, 0
	s_and_saveexec_b64 s[28:29], s[8:9]
	s_cbranch_execz .LBB369_366
; %bb.361:                              ;   in Loop: Header=BB369_10 Depth=1
	v_cmp_ne_u16_e64 s[8:9], s21, v30
	v_bfrev_b32_e32 v8, 1
	s_and_saveexec_b64 s[30:31], s[8:9]
	s_cbranch_execz .LBB369_365
; %bb.362:                              ;   in Loop: Header=BB369_10 Depth=1
	v_and_b32_e32 v9, 0x7f, v30
	v_cmp_ne_u32_e64 s[8:9], s37, v9
	v_mov_b32_e32 v8, 0x7f800001
	s_and_saveexec_b64 s[34:35], s[8:9]
	s_cbranch_execz .LBB369_364
; %bb.363:                              ;   in Loop: Header=BB369_10 Depth=1
	v_and_b32_e32 v12, 7, v30
	v_ffbh_u32_e32 v8, v12
	v_min_u32_e32 v24, 32, v8
	v_subrev_u32_e32 v8, 28, v24
	v_lshrrev_b32_e32 v13, 3, v9
	v_cmp_gt_u32_e64 s[8:9], 8, v9
	v_lshlrev_b64 v[8:9], v8, v[30:31]
	v_sub_u32_e32 v9, 29, v24
	v_and_b32_e32 v8, 7, v8
	v_cndmask_b32_e64 v9, v13, v9, s[8:9]
	v_cndmask_b32_e64 v8, v12, v8, s[8:9]
	v_lshlrev_b32_e32 v12, 16, v28
	v_lshlrev_b32_e32 v8, 20, v8
	v_and_b32_e32 v12, 0x80000000, v12
	v_lshl_add_u32 v9, v9, 23, v40
	v_or3_b32 v8, v12, v9, v8
.LBB369_364:                            ;   in Loop: Header=BB369_10 Depth=1
	s_or_b64 exec, exec, s[34:35]
.LBB369_365:                            ;   in Loop: Header=BB369_10 Depth=1
	s_or_b64 exec, exec, s[30:31]
.LBB369_366:                            ;   in Loop: Header=BB369_10 Depth=1
	s_or_b64 exec, exec, s[28:29]
	v_mul_f32_e32 v8, v43, v8
	v_and_b32_e32 v9, 0x7f800000, v8
	v_cmp_ne_u32_e64 s[8:9], s38, v9
                                        ; implicit-def: $vgpr48
	s_and_saveexec_b64 s[28:29], s[8:9]
	s_xor_b64 s[8:9], exec, s[28:29]
; %bb.367:                              ;   in Loop: Header=BB369_10 Depth=1
	v_bfe_u32 v9, v8, 16, 1
	v_add3_u32 v48, v8, v9, s39
                                        ; implicit-def: $vgpr8
; %bb.368:                              ;   in Loop: Header=BB369_10 Depth=1
	s_andn2_saveexec_b64 s[28:29], s[8:9]
; %bb.369:                              ;   in Loop: Header=BB369_10 Depth=1
	v_or_b32_e32 v9, 0x10000, v8
	v_cmp_eq_u32_sdwa s[8:9], v8, v55 src0_sel:WORD_0 src1_sel:DWORD
	v_cndmask_b32_e64 v48, v9, v8, s[8:9]
; %bb.370:                              ;   in Loop: Header=BB369_10 Depth=1
	s_or_b64 exec, exec, s[28:29]
	flat_load_ushort v8, v[20:21] offset:2304
	s_waitcnt vmcnt(0) lgkmcnt(0)
	v_and_b32_e32 v28, 0xffff, v8
	v_cmp_ne_u16_sdwa s[8:9], v8, v55 src0_sel:BYTE_0 src1_sel:DWORD
	v_mov_b32_e32 v8, 0
	s_and_saveexec_b64 s[28:29], s[8:9]
	s_cbranch_execz .LBB369_376
; %bb.371:                              ;   in Loop: Header=BB369_10 Depth=1
	v_cmp_ne_u16_sdwa s[8:9], v28, s21 src0_sel:BYTE_0 src1_sel:DWORD
	v_bfrev_b32_e32 v8, 1
	s_and_saveexec_b64 s[30:31], s[8:9]
	s_cbranch_execz .LBB369_375
; %bb.372:                              ;   in Loop: Header=BB369_10 Depth=1
	v_and_b32_e32 v9, 0x7f, v28
	v_cmp_ne_u32_e64 s[8:9], s37, v9
	v_mov_b32_e32 v8, 0x7f800001
	s_and_saveexec_b64 s[34:35], s[8:9]
	s_cbranch_execz .LBB369_374
; %bb.373:                              ;   in Loop: Header=BB369_10 Depth=1
	v_and_b32_e32 v12, 7, v28
	v_ffbh_u32_e32 v8, v12
	v_min_u32_e32 v24, 32, v8
	v_subrev_u32_e32 v8, 28, v24
	v_lshrrev_b32_e32 v13, 3, v9
	v_cmp_gt_u32_e64 s[8:9], 8, v9
	v_lshlrev_b64 v[8:9], v8, v[28:29]
	v_sub_u32_e32 v9, 29, v24
	v_and_b32_e32 v8, 7, v8
	v_cndmask_b32_e64 v9, v13, v9, s[8:9]
	v_cndmask_b32_e64 v8, v12, v8, s[8:9]
	v_lshlrev_b32_e32 v12, 24, v28
	v_lshlrev_b32_e32 v8, 20, v8
	v_and_b32_e32 v12, 0x80000000, v12
	v_lshl_add_u32 v9, v9, 23, v40
	v_or3_b32 v8, v12, v9, v8
.LBB369_374:                            ;   in Loop: Header=BB369_10 Depth=1
	s_or_b64 exec, exec, s[34:35]
.LBB369_375:                            ;   in Loop: Header=BB369_10 Depth=1
	s_or_b64 exec, exec, s[30:31]
.LBB369_376:                            ;   in Loop: Header=BB369_10 Depth=1
	s_or_b64 exec, exec, s[28:29]
	v_mul_f32_e32 v8, v43, v8
	v_and_b32_e32 v9, 0x7f800000, v8
	v_cmp_ne_u32_e64 s[8:9], s38, v9
                                        ; implicit-def: $vgpr49
	s_and_saveexec_b64 s[28:29], s[8:9]
	s_xor_b64 s[8:9], exec, s[28:29]
; %bb.377:                              ;   in Loop: Header=BB369_10 Depth=1
	v_bfe_u32 v9, v8, 16, 1
	v_add3_u32 v49, v8, v9, s39
                                        ; implicit-def: $vgpr8
; %bb.378:                              ;   in Loop: Header=BB369_10 Depth=1
	s_andn2_saveexec_b64 s[28:29], s[8:9]
; %bb.379:                              ;   in Loop: Header=BB369_10 Depth=1
	v_or_b32_e32 v9, 0x10000, v8
	v_cmp_eq_u32_sdwa s[8:9], v8, v55 src0_sel:WORD_0 src1_sel:DWORD
	v_cndmask_b32_e64 v49, v9, v8, s[8:9]
; %bb.380:                              ;   in Loop: Header=BB369_10 Depth=1
	s_or_b64 exec, exec, s[28:29]
	v_lshrrev_b16_e32 v30, 8, v28
	v_cmp_ne_u16_e64 s[8:9], 0, v30
	v_mov_b32_e32 v8, 0
	s_and_saveexec_b64 s[28:29], s[8:9]
	s_cbranch_execz .LBB369_386
; %bb.381:                              ;   in Loop: Header=BB369_10 Depth=1
	v_cmp_ne_u16_e64 s[8:9], s21, v30
	v_bfrev_b32_e32 v8, 1
	s_and_saveexec_b64 s[30:31], s[8:9]
	s_cbranch_execz .LBB369_385
; %bb.382:                              ;   in Loop: Header=BB369_10 Depth=1
	v_and_b32_e32 v9, 0x7f, v30
	v_cmp_ne_u32_e64 s[8:9], s37, v9
	v_mov_b32_e32 v8, 0x7f800001
	s_and_saveexec_b64 s[34:35], s[8:9]
	s_cbranch_execz .LBB369_384
; %bb.383:                              ;   in Loop: Header=BB369_10 Depth=1
	v_and_b32_e32 v12, 7, v30
	v_ffbh_u32_e32 v8, v12
	v_min_u32_e32 v24, 32, v8
	v_subrev_u32_e32 v8, 28, v24
	v_lshrrev_b32_e32 v13, 3, v9
	v_cmp_gt_u32_e64 s[8:9], 8, v9
	v_lshlrev_b64 v[8:9], v8, v[30:31]
	v_sub_u32_e32 v9, 29, v24
	v_and_b32_e32 v8, 7, v8
	v_cndmask_b32_e64 v9, v13, v9, s[8:9]
	v_cndmask_b32_e64 v8, v12, v8, s[8:9]
	v_lshlrev_b32_e32 v12, 16, v28
	v_lshlrev_b32_e32 v8, 20, v8
	v_and_b32_e32 v12, 0x80000000, v12
	v_lshl_add_u32 v9, v9, 23, v40
	v_or3_b32 v8, v12, v9, v8
.LBB369_384:                            ;   in Loop: Header=BB369_10 Depth=1
	s_or_b64 exec, exec, s[34:35]
.LBB369_385:                            ;   in Loop: Header=BB369_10 Depth=1
	s_or_b64 exec, exec, s[30:31]
.LBB369_386:                            ;   in Loop: Header=BB369_10 Depth=1
	s_or_b64 exec, exec, s[28:29]
	v_mul_f32_e32 v8, v43, v8
	v_and_b32_e32 v9, 0x7f800000, v8
	v_cmp_ne_u32_e64 s[8:9], s38, v9
                                        ; implicit-def: $vgpr51
	s_and_saveexec_b64 s[28:29], s[8:9]
	s_xor_b64 s[8:9], exec, s[28:29]
; %bb.387:                              ;   in Loop: Header=BB369_10 Depth=1
	v_bfe_u32 v9, v8, 16, 1
	v_add3_u32 v51, v8, v9, s39
                                        ; implicit-def: $vgpr8
; %bb.388:                              ;   in Loop: Header=BB369_10 Depth=1
	s_andn2_saveexec_b64 s[28:29], s[8:9]
; %bb.389:                              ;   in Loop: Header=BB369_10 Depth=1
	v_or_b32_e32 v9, 0x10000, v8
	v_cmp_eq_u32_sdwa s[8:9], v8, v55 src0_sel:WORD_0 src1_sel:DWORD
	v_cndmask_b32_e64 v51, v9, v8, s[8:9]
; %bb.390:                              ;   in Loop: Header=BB369_10 Depth=1
	s_or_b64 exec, exec, s[28:29]
	flat_load_ushort v8, v[20:21] offset:2312
	s_waitcnt vmcnt(0) lgkmcnt(0)
	v_and_b32_e32 v28, 0xffff, v8
	v_cmp_ne_u16_sdwa s[8:9], v8, v55 src0_sel:BYTE_0 src1_sel:DWORD
	v_mov_b32_e32 v8, 0
	s_and_saveexec_b64 s[28:29], s[8:9]
	s_cbranch_execz .LBB369_396
; %bb.391:                              ;   in Loop: Header=BB369_10 Depth=1
	v_cmp_ne_u16_sdwa s[8:9], v28, s21 src0_sel:BYTE_0 src1_sel:DWORD
	v_bfrev_b32_e32 v8, 1
	s_and_saveexec_b64 s[30:31], s[8:9]
	s_cbranch_execz .LBB369_395
; %bb.392:                              ;   in Loop: Header=BB369_10 Depth=1
	v_and_b32_e32 v9, 0x7f, v28
	v_cmp_ne_u32_e64 s[8:9], s37, v9
	v_mov_b32_e32 v8, 0x7f800001
	s_and_saveexec_b64 s[34:35], s[8:9]
	s_cbranch_execz .LBB369_394
; %bb.393:                              ;   in Loop: Header=BB369_10 Depth=1
	v_and_b32_e32 v12, 7, v28
	v_ffbh_u32_e32 v8, v12
	v_min_u32_e32 v24, 32, v8
	v_subrev_u32_e32 v8, 28, v24
	v_lshrrev_b32_e32 v13, 3, v9
	v_cmp_gt_u32_e64 s[8:9], 8, v9
	v_lshlrev_b64 v[8:9], v8, v[28:29]
	v_sub_u32_e32 v9, 29, v24
	v_and_b32_e32 v8, 7, v8
	v_cndmask_b32_e64 v9, v13, v9, s[8:9]
	v_cndmask_b32_e64 v8, v12, v8, s[8:9]
	v_lshlrev_b32_e32 v12, 24, v28
	v_lshlrev_b32_e32 v8, 20, v8
	v_and_b32_e32 v12, 0x80000000, v12
	v_lshl_add_u32 v9, v9, 23, v40
	v_or3_b32 v8, v12, v9, v8
.LBB369_394:                            ;   in Loop: Header=BB369_10 Depth=1
	s_or_b64 exec, exec, s[34:35]
.LBB369_395:                            ;   in Loop: Header=BB369_10 Depth=1
	s_or_b64 exec, exec, s[30:31]
.LBB369_396:                            ;   in Loop: Header=BB369_10 Depth=1
	s_or_b64 exec, exec, s[28:29]
	v_mul_f32_e32 v8, v43, v8
	v_and_b32_e32 v9, 0x7f800000, v8
	v_cmp_ne_u32_e64 s[8:9], s38, v9
                                        ; implicit-def: $vgpr52
	s_and_saveexec_b64 s[28:29], s[8:9]
	s_xor_b64 s[8:9], exec, s[28:29]
; %bb.397:                              ;   in Loop: Header=BB369_10 Depth=1
	v_bfe_u32 v9, v8, 16, 1
	v_add3_u32 v52, v8, v9, s39
                                        ; implicit-def: $vgpr8
; %bb.398:                              ;   in Loop: Header=BB369_10 Depth=1
	s_andn2_saveexec_b64 s[28:29], s[8:9]
; %bb.399:                              ;   in Loop: Header=BB369_10 Depth=1
	v_or_b32_e32 v9, 0x10000, v8
	v_cmp_eq_u32_sdwa s[8:9], v8, v55 src0_sel:WORD_0 src1_sel:DWORD
	v_cndmask_b32_e64 v52, v9, v8, s[8:9]
; %bb.400:                              ;   in Loop: Header=BB369_10 Depth=1
	s_or_b64 exec, exec, s[28:29]
	v_lshrrev_b16_e32 v30, 8, v28
	v_cmp_ne_u16_e64 s[8:9], 0, v30
	v_mov_b32_e32 v8, 0
	s_and_saveexec_b64 s[28:29], s[8:9]
	s_cbranch_execz .LBB369_406
; %bb.401:                              ;   in Loop: Header=BB369_10 Depth=1
	v_cmp_ne_u16_e64 s[8:9], s21, v30
	v_bfrev_b32_e32 v8, 1
	s_and_saveexec_b64 s[30:31], s[8:9]
	s_cbranch_execz .LBB369_405
; %bb.402:                              ;   in Loop: Header=BB369_10 Depth=1
	v_and_b32_e32 v9, 0x7f, v30
	v_cmp_ne_u32_e64 s[8:9], s37, v9
	v_mov_b32_e32 v8, 0x7f800001
	s_and_saveexec_b64 s[34:35], s[8:9]
	s_cbranch_execz .LBB369_404
; %bb.403:                              ;   in Loop: Header=BB369_10 Depth=1
	v_and_b32_e32 v12, 7, v30
	v_ffbh_u32_e32 v8, v12
	v_min_u32_e32 v24, 32, v8
	v_subrev_u32_e32 v8, 28, v24
	v_lshrrev_b32_e32 v13, 3, v9
	v_cmp_gt_u32_e64 s[8:9], 8, v9
	v_lshlrev_b64 v[8:9], v8, v[30:31]
	v_sub_u32_e32 v9, 29, v24
	v_and_b32_e32 v8, 7, v8
	v_cndmask_b32_e64 v9, v13, v9, s[8:9]
	v_cndmask_b32_e64 v8, v12, v8, s[8:9]
	v_lshlrev_b32_e32 v12, 16, v28
	v_lshlrev_b32_e32 v8, 20, v8
	v_and_b32_e32 v12, 0x80000000, v12
	v_lshl_add_u32 v9, v9, 23, v40
	v_or3_b32 v8, v12, v9, v8
.LBB369_404:                            ;   in Loop: Header=BB369_10 Depth=1
	s_or_b64 exec, exec, s[34:35]
.LBB369_405:                            ;   in Loop: Header=BB369_10 Depth=1
	s_or_b64 exec, exec, s[30:31]
.LBB369_406:                            ;   in Loop: Header=BB369_10 Depth=1
	s_or_b64 exec, exec, s[28:29]
	v_mul_f32_e32 v8, v43, v8
	v_and_b32_e32 v9, 0x7f800000, v8
	v_cmp_ne_u32_e64 s[8:9], s38, v9
                                        ; implicit-def: $vgpr12
	s_and_saveexec_b64 s[28:29], s[8:9]
	s_xor_b64 s[8:9], exec, s[28:29]
; %bb.407:                              ;   in Loop: Header=BB369_10 Depth=1
	v_bfe_u32 v9, v8, 16, 1
	v_add3_u32 v12, v8, v9, s39
                                        ; implicit-def: $vgpr8
; %bb.408:                              ;   in Loop: Header=BB369_10 Depth=1
	s_andn2_saveexec_b64 s[28:29], s[8:9]
; %bb.409:                              ;   in Loop: Header=BB369_10 Depth=1
	v_or_b32_e32 v9, 0x10000, v8
	v_cmp_eq_u32_sdwa s[8:9], v8, v55 src0_sel:WORD_0 src1_sel:DWORD
	v_cndmask_b32_e64 v12, v9, v8, s[8:9]
; %bb.410:                              ;   in Loop: Header=BB369_10 Depth=1
	s_or_b64 exec, exec, s[28:29]
	flat_load_ushort v8, v[20:21] offset:2560
	s_waitcnt vmcnt(0) lgkmcnt(0)
	v_and_b32_e32 v28, 0xffff, v8
	v_cmp_ne_u16_sdwa s[8:9], v8, v55 src0_sel:BYTE_0 src1_sel:DWORD
	v_mov_b32_e32 v8, 0
	s_and_saveexec_b64 s[28:29], s[8:9]
	s_cbranch_execz .LBB369_416
; %bb.411:                              ;   in Loop: Header=BB369_10 Depth=1
	v_cmp_ne_u16_sdwa s[8:9], v28, s21 src0_sel:BYTE_0 src1_sel:DWORD
	v_bfrev_b32_e32 v8, 1
	s_and_saveexec_b64 s[30:31], s[8:9]
	s_cbranch_execz .LBB369_415
; %bb.412:                              ;   in Loop: Header=BB369_10 Depth=1
	v_and_b32_e32 v9, 0x7f, v28
	v_cmp_ne_u32_e64 s[8:9], s37, v9
	v_mov_b32_e32 v8, 0x7f800001
	s_and_saveexec_b64 s[34:35], s[8:9]
	s_cbranch_execz .LBB369_414
; %bb.413:                              ;   in Loop: Header=BB369_10 Depth=1
	v_and_b32_e32 v13, 7, v28
	v_ffbh_u32_e32 v8, v13
	v_min_u32_e32 v25, 32, v8
	v_subrev_u32_e32 v8, 28, v25
	v_lshrrev_b32_e32 v24, 3, v9
	v_cmp_gt_u32_e64 s[8:9], 8, v9
	v_lshlrev_b64 v[8:9], v8, v[28:29]
	v_sub_u32_e32 v9, 29, v25
	v_and_b32_e32 v8, 7, v8
	v_cndmask_b32_e64 v9, v24, v9, s[8:9]
	v_cndmask_b32_e64 v8, v13, v8, s[8:9]
	v_lshlrev_b32_e32 v13, 24, v28
	v_lshlrev_b32_e32 v8, 20, v8
	v_and_b32_e32 v13, 0x80000000, v13
	v_lshl_add_u32 v9, v9, 23, v40
	v_or3_b32 v8, v13, v9, v8
.LBB369_414:                            ;   in Loop: Header=BB369_10 Depth=1
	s_or_b64 exec, exec, s[34:35]
.LBB369_415:                            ;   in Loop: Header=BB369_10 Depth=1
	s_or_b64 exec, exec, s[30:31]
.LBB369_416:                            ;   in Loop: Header=BB369_10 Depth=1
	s_or_b64 exec, exec, s[28:29]
	v_mul_f32_e32 v8, v43, v8
	v_and_b32_e32 v9, 0x7f800000, v8
	v_cmp_ne_u32_e64 s[8:9], s38, v9
                                        ; implicit-def: $vgpr37
	s_and_saveexec_b64 s[28:29], s[8:9]
	s_xor_b64 s[8:9], exec, s[28:29]
; %bb.417:                              ;   in Loop: Header=BB369_10 Depth=1
	v_bfe_u32 v9, v8, 16, 1
	v_add3_u32 v37, v8, v9, s39
                                        ; implicit-def: $vgpr8
; %bb.418:                              ;   in Loop: Header=BB369_10 Depth=1
	s_andn2_saveexec_b64 s[28:29], s[8:9]
; %bb.419:                              ;   in Loop: Header=BB369_10 Depth=1
	v_or_b32_e32 v9, 0x10000, v8
	v_cmp_eq_u32_sdwa s[8:9], v8, v55 src0_sel:WORD_0 src1_sel:DWORD
	v_cndmask_b32_e64 v37, v9, v8, s[8:9]
; %bb.420:                              ;   in Loop: Header=BB369_10 Depth=1
	s_or_b64 exec, exec, s[28:29]
	v_lshrrev_b16_e32 v30, 8, v28
	v_cmp_ne_u16_e64 s[8:9], 0, v30
	v_mov_b32_e32 v8, 0
	s_and_saveexec_b64 s[28:29], s[8:9]
	s_cbranch_execz .LBB369_426
; %bb.421:                              ;   in Loop: Header=BB369_10 Depth=1
	v_cmp_ne_u16_e64 s[8:9], s21, v30
	v_bfrev_b32_e32 v8, 1
	s_and_saveexec_b64 s[30:31], s[8:9]
	s_cbranch_execz .LBB369_425
; %bb.422:                              ;   in Loop: Header=BB369_10 Depth=1
	v_and_b32_e32 v9, 0x7f, v30
	v_cmp_ne_u32_e64 s[8:9], s37, v9
	v_mov_b32_e32 v8, 0x7f800001
	s_and_saveexec_b64 s[34:35], s[8:9]
	s_cbranch_execz .LBB369_424
; %bb.423:                              ;   in Loop: Header=BB369_10 Depth=1
	v_and_b32_e32 v13, 7, v30
	v_ffbh_u32_e32 v8, v13
	v_min_u32_e32 v25, 32, v8
	v_subrev_u32_e32 v8, 28, v25
	v_lshrrev_b32_e32 v24, 3, v9
	v_cmp_gt_u32_e64 s[8:9], 8, v9
	v_lshlrev_b64 v[8:9], v8, v[30:31]
	v_sub_u32_e32 v9, 29, v25
	v_and_b32_e32 v8, 7, v8
	v_cndmask_b32_e64 v9, v24, v9, s[8:9]
	v_cndmask_b32_e64 v8, v13, v8, s[8:9]
	v_lshlrev_b32_e32 v13, 16, v28
	v_lshlrev_b32_e32 v8, 20, v8
	v_and_b32_e32 v13, 0x80000000, v13
	v_lshl_add_u32 v9, v9, 23, v40
	v_or3_b32 v8, v13, v9, v8
.LBB369_424:                            ;   in Loop: Header=BB369_10 Depth=1
	s_or_b64 exec, exec, s[34:35]
.LBB369_425:                            ;   in Loop: Header=BB369_10 Depth=1
	s_or_b64 exec, exec, s[30:31]
.LBB369_426:                            ;   in Loop: Header=BB369_10 Depth=1
	s_or_b64 exec, exec, s[28:29]
	v_mul_f32_e32 v8, v43, v8
	v_and_b32_e32 v9, 0x7f800000, v8
	v_cmp_ne_u32_e64 s[8:9], s38, v9
                                        ; implicit-def: $vgpr13
	s_and_saveexec_b64 s[28:29], s[8:9]
	s_xor_b64 s[8:9], exec, s[28:29]
; %bb.427:                              ;   in Loop: Header=BB369_10 Depth=1
	v_bfe_u32 v9, v8, 16, 1
	v_add3_u32 v13, v8, v9, s39
                                        ; implicit-def: $vgpr8
; %bb.428:                              ;   in Loop: Header=BB369_10 Depth=1
	s_andn2_saveexec_b64 s[28:29], s[8:9]
; %bb.429:                              ;   in Loop: Header=BB369_10 Depth=1
	v_or_b32_e32 v9, 0x10000, v8
	v_cmp_eq_u32_sdwa s[8:9], v8, v55 src0_sel:WORD_0 src1_sel:DWORD
	v_cndmask_b32_e64 v13, v9, v8, s[8:9]
; %bb.430:                              ;   in Loop: Header=BB369_10 Depth=1
	s_or_b64 exec, exec, s[28:29]
	flat_load_ushort v8, v[20:21] offset:2568
	s_waitcnt vmcnt(0) lgkmcnt(0)
	v_and_b32_e32 v28, 0xffff, v8
	v_cmp_ne_u16_sdwa s[8:9], v8, v55 src0_sel:BYTE_0 src1_sel:DWORD
	v_mov_b32_e32 v8, 0
	s_and_saveexec_b64 s[28:29], s[8:9]
	s_cbranch_execz .LBB369_436
; %bb.431:                              ;   in Loop: Header=BB369_10 Depth=1
	v_cmp_ne_u16_sdwa s[8:9], v28, s21 src0_sel:BYTE_0 src1_sel:DWORD
	v_bfrev_b32_e32 v8, 1
	s_and_saveexec_b64 s[30:31], s[8:9]
	s_cbranch_execz .LBB369_435
; %bb.432:                              ;   in Loop: Header=BB369_10 Depth=1
	v_and_b32_e32 v9, 0x7f, v28
	v_cmp_ne_u32_e64 s[8:9], s37, v9
	v_mov_b32_e32 v8, 0x7f800001
	s_and_saveexec_b64 s[34:35], s[8:9]
	s_cbranch_execz .LBB369_434
; %bb.433:                              ;   in Loop: Header=BB369_10 Depth=1
	v_and_b32_e32 v24, 7, v28
	v_ffbh_u32_e32 v8, v24
	v_min_u32_e32 v30, 32, v8
	v_subrev_u32_e32 v8, 28, v30
	v_lshrrev_b32_e32 v25, 3, v9
	v_cmp_gt_u32_e64 s[8:9], 8, v9
	v_lshlrev_b64 v[8:9], v8, v[28:29]
	v_sub_u32_e32 v9, 29, v30
	v_and_b32_e32 v8, 7, v8
	v_cndmask_b32_e64 v9, v25, v9, s[8:9]
	v_cndmask_b32_e64 v8, v24, v8, s[8:9]
	v_lshlrev_b32_e32 v24, 24, v28
	v_lshlrev_b32_e32 v8, 20, v8
	v_and_b32_e32 v24, 0x80000000, v24
	v_lshl_add_u32 v9, v9, 23, v40
	v_or3_b32 v8, v24, v9, v8
.LBB369_434:                            ;   in Loop: Header=BB369_10 Depth=1
	s_or_b64 exec, exec, s[34:35]
.LBB369_435:                            ;   in Loop: Header=BB369_10 Depth=1
	s_or_b64 exec, exec, s[30:31]
.LBB369_436:                            ;   in Loop: Header=BB369_10 Depth=1
	s_or_b64 exec, exec, s[28:29]
	v_mul_f32_e32 v8, v43, v8
	v_and_b32_e32 v9, 0x7f800000, v8
	v_cmp_ne_u32_e64 s[8:9], s38, v9
                                        ; implicit-def: $vgpr38
	s_and_saveexec_b64 s[28:29], s[8:9]
	s_xor_b64 s[8:9], exec, s[28:29]
; %bb.437:                              ;   in Loop: Header=BB369_10 Depth=1
	v_bfe_u32 v9, v8, 16, 1
	v_add3_u32 v38, v8, v9, s39
                                        ; implicit-def: $vgpr8
; %bb.438:                              ;   in Loop: Header=BB369_10 Depth=1
	s_andn2_saveexec_b64 s[28:29], s[8:9]
; %bb.439:                              ;   in Loop: Header=BB369_10 Depth=1
	v_or_b32_e32 v9, 0x10000, v8
	v_cmp_eq_u32_sdwa s[8:9], v8, v55 src0_sel:WORD_0 src1_sel:DWORD
	v_cndmask_b32_e64 v38, v9, v8, s[8:9]
; %bb.440:                              ;   in Loop: Header=BB369_10 Depth=1
	s_or_b64 exec, exec, s[28:29]
	v_lshrrev_b16_e32 v30, 8, v28
	v_cmp_ne_u16_e64 s[8:9], 0, v30
	v_mov_b32_e32 v8, 0
	s_and_saveexec_b64 s[28:29], s[8:9]
	s_cbranch_execz .LBB369_446
; %bb.441:                              ;   in Loop: Header=BB369_10 Depth=1
	v_cmp_ne_u16_e64 s[8:9], s21, v30
	v_bfrev_b32_e32 v8, 1
	s_and_saveexec_b64 s[30:31], s[8:9]
	s_cbranch_execz .LBB369_445
; %bb.442:                              ;   in Loop: Header=BB369_10 Depth=1
	v_and_b32_e32 v9, 0x7f, v30
	v_cmp_ne_u32_e64 s[8:9], s37, v9
	v_mov_b32_e32 v8, 0x7f800001
	s_and_saveexec_b64 s[34:35], s[8:9]
	s_cbranch_execz .LBB369_444
; %bb.443:                              ;   in Loop: Header=BB369_10 Depth=1
	v_and_b32_e32 v24, 7, v30
	v_ffbh_u32_e32 v8, v24
	v_min_u32_e32 v50, 32, v8
	v_subrev_u32_e32 v8, 28, v50
	v_lshrrev_b32_e32 v25, 3, v9
	v_cmp_gt_u32_e64 s[8:9], 8, v9
	v_lshlrev_b64 v[8:9], v8, v[30:31]
	v_sub_u32_e32 v9, 29, v50
	v_and_b32_e32 v8, 7, v8
	v_cndmask_b32_e64 v9, v25, v9, s[8:9]
	v_cndmask_b32_e64 v8, v24, v8, s[8:9]
	v_lshlrev_b32_e32 v24, 16, v28
	v_lshlrev_b32_e32 v8, 20, v8
	v_and_b32_e32 v24, 0x80000000, v24
	v_lshl_add_u32 v9, v9, 23, v40
	v_or3_b32 v8, v24, v9, v8
.LBB369_444:                            ;   in Loop: Header=BB369_10 Depth=1
	s_or_b64 exec, exec, s[34:35]
.LBB369_445:                            ;   in Loop: Header=BB369_10 Depth=1
	s_or_b64 exec, exec, s[30:31]
.LBB369_446:                            ;   in Loop: Header=BB369_10 Depth=1
	s_or_b64 exec, exec, s[28:29]
	v_mul_f32_e32 v9, v43, v8
	v_and_b32_e32 v8, 0x7f800000, v9
	v_cmp_ne_u32_e64 s[8:9], s38, v8
                                        ; implicit-def: $vgpr8
	s_and_saveexec_b64 s[28:29], s[8:9]
	s_xor_b64 s[8:9], exec, s[28:29]
; %bb.447:                              ;   in Loop: Header=BB369_10 Depth=1
	v_bfe_u32 v8, v9, 16, 1
	v_add3_u32 v8, v9, v8, s39
                                        ; implicit-def: $vgpr9
; %bb.448:                              ;   in Loop: Header=BB369_10 Depth=1
	s_andn2_saveexec_b64 s[28:29], s[8:9]
; %bb.449:                              ;   in Loop: Header=BB369_10 Depth=1
	v_or_b32_e32 v8, 0x10000, v9
	v_cmp_eq_u32_sdwa s[8:9], v9, v55 src0_sel:WORD_0 src1_sel:DWORD
	v_cndmask_b32_e64 v8, v8, v9, s[8:9]
; %bb.450:                              ;   in Loop: Header=BB369_10 Depth=1
	s_or_b64 exec, exec, s[28:29]
	flat_load_ushort v9, v[20:21] offset:2816
	s_waitcnt vmcnt(0) lgkmcnt(0)
	v_and_b32_e32 v28, 0xffff, v9
	v_cmp_ne_u16_sdwa s[8:9], v9, v55 src0_sel:BYTE_0 src1_sel:DWORD
	v_mov_b32_e32 v9, 0
	s_and_saveexec_b64 s[28:29], s[8:9]
	s_cbranch_execz .LBB369_456
; %bb.451:                              ;   in Loop: Header=BB369_10 Depth=1
	v_cmp_ne_u16_sdwa s[8:9], v28, s21 src0_sel:BYTE_0 src1_sel:DWORD
	v_bfrev_b32_e32 v9, 1
	s_and_saveexec_b64 s[30:31], s[8:9]
	s_cbranch_execz .LBB369_455
; %bb.452:                              ;   in Loop: Header=BB369_10 Depth=1
	v_and_b32_e32 v25, 0x7f, v28
	v_cmp_ne_u32_e64 s[8:9], s37, v25
	v_mov_b32_e32 v9, 0x7f800001
	s_and_saveexec_b64 s[34:35], s[8:9]
	s_cbranch_execz .LBB369_454
; %bb.453:                              ;   in Loop: Header=BB369_10 Depth=1
	v_and_b32_e32 v9, 7, v28
	v_ffbh_u32_e32 v24, v9
	v_min_u32_e32 v50, 32, v24
	v_subrev_u32_e32 v24, 28, v50
	v_lshrrev_b32_e32 v30, 3, v25
	v_cmp_gt_u32_e64 s[8:9], 8, v25
	v_lshlrev_b64 v[24:25], v24, v[28:29]
	v_sub_u32_e32 v25, 29, v50
	v_and_b32_e32 v24, 7, v24
	v_cndmask_b32_e64 v25, v30, v25, s[8:9]
	v_cndmask_b32_e64 v9, v9, v24, s[8:9]
	v_lshlrev_b32_e32 v24, 24, v28
	v_lshlrev_b32_e32 v9, 20, v9
	v_and_b32_e32 v24, 0x80000000, v24
	v_lshl_add_u32 v25, v25, 23, v40
	v_or3_b32 v9, v24, v25, v9
.LBB369_454:                            ;   in Loop: Header=BB369_10 Depth=1
	s_or_b64 exec, exec, s[34:35]
.LBB369_455:                            ;   in Loop: Header=BB369_10 Depth=1
	s_or_b64 exec, exec, s[30:31]
.LBB369_456:                            ;   in Loop: Header=BB369_10 Depth=1
	s_or_b64 exec, exec, s[28:29]
	v_mul_f32_e32 v25, v43, v9
	v_and_b32_e32 v9, 0x7f800000, v25
	v_cmp_ne_u32_e64 s[8:9], s38, v9
                                        ; implicit-def: $vgpr9
	s_and_saveexec_b64 s[28:29], s[8:9]
	s_xor_b64 s[8:9], exec, s[28:29]
; %bb.457:                              ;   in Loop: Header=BB369_10 Depth=1
	v_bfe_u32 v9, v25, 16, 1
	v_add3_u32 v9, v25, v9, s39
                                        ; implicit-def: $vgpr25
; %bb.458:                              ;   in Loop: Header=BB369_10 Depth=1
	s_andn2_saveexec_b64 s[28:29], s[8:9]
; %bb.459:                              ;   in Loop: Header=BB369_10 Depth=1
	v_or_b32_e32 v9, 0x10000, v25
	v_cmp_eq_u32_sdwa s[8:9], v25, v55 src0_sel:WORD_0 src1_sel:DWORD
	v_cndmask_b32_e64 v9, v9, v25, s[8:9]
; %bb.460:                              ;   in Loop: Header=BB369_10 Depth=1
	s_or_b64 exec, exec, s[28:29]
	v_lshrrev_b16_e32 v30, 8, v28
	v_cmp_ne_u16_e64 s[8:9], 0, v30
	v_mov_b32_e32 v50, 0
	s_and_saveexec_b64 s[28:29], s[8:9]
	s_cbranch_execz .LBB369_466
; %bb.461:                              ;   in Loop: Header=BB369_10 Depth=1
	v_cmp_ne_u16_e64 s[8:9], s21, v30
	v_bfrev_b32_e32 v50, 1
	s_and_saveexec_b64 s[30:31], s[8:9]
	s_cbranch_execz .LBB369_465
; %bb.462:                              ;   in Loop: Header=BB369_10 Depth=1
	v_and_b32_e32 v25, 0x7f, v30
	v_cmp_ne_u32_e64 s[8:9], s37, v25
	v_mov_b32_e32 v50, 0x7f800001
	s_and_saveexec_b64 s[34:35], s[8:9]
	s_cbranch_execz .LBB369_464
; %bb.463:                              ;   in Loop: Header=BB369_10 Depth=1
	v_and_b32_e32 v50, 7, v30
	v_ffbh_u32_e32 v24, v50
	v_min_u32_e32 v44, 32, v24
	v_subrev_u32_e32 v24, 28, v44
	v_lshrrev_b32_e32 v40, 3, v25
	v_cmp_gt_u32_e64 s[8:9], 8, v25
	v_lshlrev_b64 v[24:25], v24, v[30:31]
	v_sub_u32_e32 v25, 29, v44
	v_and_b32_e32 v24, 7, v24
	v_cndmask_b32_e64 v25, v40, v25, s[8:9]
	v_bfrev_b32_e32 v40, 60
	v_cndmask_b32_e64 v24, v50, v24, s[8:9]
	v_lshlrev_b32_e32 v28, 16, v28
	v_lshlrev_b32_e32 v24, 20, v24
	v_and_b32_e32 v28, 0x80000000, v28
	v_lshl_add_u32 v25, v25, 23, v40
	v_accvgpr_read_b32 v44, a21
	v_or3_b32 v50, v28, v25, v24
.LBB369_464:                            ;   in Loop: Header=BB369_10 Depth=1
	s_or_b64 exec, exec, s[34:35]
.LBB369_465:                            ;   in Loop: Header=BB369_10 Depth=1
	s_or_b64 exec, exec, s[30:31]
.LBB369_466:                            ;   in Loop: Header=BB369_10 Depth=1
	s_or_b64 exec, exec, s[28:29]
	v_mul_f32_e32 v25, v43, v50
	v_and_b32_e32 v24, 0x7f800000, v25
	v_cmp_ne_u32_e64 s[8:9], s38, v24
                                        ; implicit-def: $vgpr30
	s_and_saveexec_b64 s[28:29], s[8:9]
	s_xor_b64 s[8:9], exec, s[28:29]
; %bb.467:                              ;   in Loop: Header=BB369_10 Depth=1
	v_bfe_u32 v24, v25, 16, 1
	v_add3_u32 v30, v25, v24, s39
                                        ; implicit-def: $vgpr25
; %bb.468:                              ;   in Loop: Header=BB369_10 Depth=1
	s_andn2_saveexec_b64 s[28:29], s[8:9]
; %bb.469:                              ;   in Loop: Header=BB369_10 Depth=1
	v_or_b32_e32 v24, 0x10000, v25
	v_cmp_eq_u32_sdwa s[8:9], v25, v55 src0_sel:WORD_0 src1_sel:DWORD
	v_cndmask_b32_e64 v30, v24, v25, s[8:9]
; %bb.470:                              ;   in Loop: Header=BB369_10 Depth=1
	s_or_b64 exec, exec, s[28:29]
	flat_load_ushort v21, v[20:21] offset:2824
	s_waitcnt vmcnt(0) lgkmcnt(0)
	v_and_b32_e32 v20, 0xffff, v21
	v_cmp_ne_u16_sdwa s[8:9], v21, v55 src0_sel:BYTE_0 src1_sel:DWORD
	v_mov_b32_e32 v21, 0
	s_and_saveexec_b64 s[28:29], s[8:9]
	s_cbranch_execz .LBB369_476
; %bb.471:                              ;   in Loop: Header=BB369_10 Depth=1
	v_cmp_ne_u16_sdwa s[8:9], v20, s21 src0_sel:BYTE_0 src1_sel:DWORD
	v_bfrev_b32_e32 v21, 1
	s_and_saveexec_b64 s[30:31], s[8:9]
	s_cbranch_execz .LBB369_475
; %bb.472:                              ;   in Loop: Header=BB369_10 Depth=1
	v_and_b32_e32 v25, 0x7f, v20
	v_cmp_ne_u32_e64 s[8:9], s37, v25
	v_mov_b32_e32 v21, 0x7f800001
	s_and_saveexec_b64 s[34:35], s[8:9]
	s_cbranch_execz .LBB369_474
; %bb.473:                              ;   in Loop: Header=BB369_10 Depth=1
	v_and_b32_e32 v21, 7, v20
	v_ffbh_u32_e32 v24, v21
	v_min_u32_e32 v50, 32, v24
	v_subrev_u32_e32 v24, 28, v50
	v_lshrrev_b32_e32 v28, 3, v25
	v_cmp_gt_u32_e64 s[8:9], 8, v25
	v_lshlrev_b64 v[24:25], v24, v[20:21]
	v_sub_u32_e32 v25, 29, v50
	v_and_b32_e32 v24, 7, v24
	v_cndmask_b32_e64 v25, v28, v25, s[8:9]
	v_cndmask_b32_e64 v21, v21, v24, s[8:9]
	v_lshlrev_b32_e32 v24, 24, v20
	v_lshlrev_b32_e32 v21, 20, v21
	v_and_b32_e32 v24, 0x80000000, v24
	v_lshl_add_u32 v25, v25, 23, v40
	v_or3_b32 v21, v24, v25, v21
.LBB369_474:                            ;   in Loop: Header=BB369_10 Depth=1
	s_or_b64 exec, exec, s[34:35]
.LBB369_475:                            ;   in Loop: Header=BB369_10 Depth=1
	s_or_b64 exec, exec, s[30:31]
.LBB369_476:                            ;   in Loop: Header=BB369_10 Depth=1
	s_or_b64 exec, exec, s[28:29]
	v_mul_f32_e32 v25, v43, v21
	v_and_b32_e32 v21, 0x7f800000, v25
	v_cmp_ne_u32_e64 s[8:9], s38, v21
                                        ; implicit-def: $vgpr21
	s_and_saveexec_b64 s[28:29], s[8:9]
	s_xor_b64 s[8:9], exec, s[28:29]
; %bb.477:                              ;   in Loop: Header=BB369_10 Depth=1
	v_bfe_u32 v21, v25, 16, 1
	v_add3_u32 v21, v25, v21, s39
                                        ; implicit-def: $vgpr25
; %bb.478:                              ;   in Loop: Header=BB369_10 Depth=1
	s_andn2_saveexec_b64 s[28:29], s[8:9]
; %bb.479:                              ;   in Loop: Header=BB369_10 Depth=1
	v_or_b32_e32 v21, 0x10000, v25
	v_cmp_eq_u32_sdwa s[8:9], v25, v55 src0_sel:WORD_0 src1_sel:DWORD
	v_cndmask_b32_e64 v21, v21, v25, s[8:9]
; %bb.480:                              ;   in Loop: Header=BB369_10 Depth=1
	s_or_b64 exec, exec, s[28:29]
	v_lshrrev_b16_e32 v28, 8, v20
	v_cmp_ne_u16_e64 s[8:9], 0, v28
	v_mov_b32_e32 v25, 0
	s_and_saveexec_b64 s[28:29], s[8:9]
	s_cbranch_execz .LBB369_486
; %bb.481:                              ;   in Loop: Header=BB369_10 Depth=1
	v_cmp_ne_u16_e64 s[8:9], s21, v28
	v_bfrev_b32_e32 v25, 1
	s_and_saveexec_b64 s[30:31], s[8:9]
	s_cbranch_execz .LBB369_485
; %bb.482:                              ;   in Loop: Header=BB369_10 Depth=1
	v_and_b32_e32 v50, 0x7f, v28
	v_cmp_ne_u32_e64 s[8:9], s37, v50
	v_mov_b32_e32 v25, 0x7f800001
	s_and_saveexec_b64 s[34:35], s[8:9]
	s_cbranch_execz .LBB369_484
; %bb.483:                              ;   in Loop: Header=BB369_10 Depth=1
	v_and_b32_e32 v40, 7, v28
	v_ffbh_u32_e32 v24, v40
	v_lshrrev_b32_e32 v44, 3, v50
	v_cmp_gt_u32_e64 s[8:9], 8, v50
	v_min_u32_e32 v50, 32, v24
	v_subrev_u32_e32 v24, 28, v50
	v_lshlrev_b64 v[24:25], v24, v[28:29]
	v_sub_u32_e32 v25, 29, v50
	v_and_b32_e32 v24, 7, v24
	v_cndmask_b32_e64 v25, v44, v25, s[8:9]
	v_cndmask_b32_e64 v24, v40, v24, s[8:9]
	v_bfrev_b32_e32 v40, 60
	v_lshlrev_b32_e32 v20, 16, v20
	v_lshlrev_b32_e32 v24, 20, v24
	v_and_b32_e32 v20, 0x80000000, v20
	v_lshl_add_u32 v25, v25, 23, v40
	v_accvgpr_read_b32 v44, a21
	v_or3_b32 v25, v20, v25, v24
.LBB369_484:                            ;   in Loop: Header=BB369_10 Depth=1
	s_or_b64 exec, exec, s[34:35]
.LBB369_485:                            ;   in Loop: Header=BB369_10 Depth=1
	s_or_b64 exec, exec, s[30:31]
.LBB369_486:                            ;   in Loop: Header=BB369_10 Depth=1
	s_or_b64 exec, exec, s[28:29]
	v_mul_f32_e32 v25, v43, v25
	v_and_b32_e32 v20, 0x7f800000, v25
	v_cmp_ne_u32_e64 s[8:9], s38, v20
                                        ; implicit-def: $vgpr20
	s_and_saveexec_b64 s[28:29], s[8:9]
	s_xor_b64 s[8:9], exec, s[28:29]
; %bb.487:                              ;   in Loop: Header=BB369_10 Depth=1
	v_bfe_u32 v20, v25, 16, 1
	v_add3_u32 v20, v25, v20, s39
                                        ; implicit-def: $vgpr25
; %bb.488:                              ;   in Loop: Header=BB369_10 Depth=1
	s_andn2_saveexec_b64 s[28:29], s[8:9]
; %bb.489:                              ;   in Loop: Header=BB369_10 Depth=1
	v_or_b32_e32 v20, 0x10000, v25
	v_cmp_eq_u32_sdwa s[8:9], v25, v55 src0_sel:WORD_0 src1_sel:DWORD
	v_cndmask_b32_e64 v20, v20, v25, s[8:9]
; %bb.490:                              ;   in Loop: Header=BB369_10 Depth=1
	s_or_b64 exec, exec, s[28:29]
	v_and_b32_e32 v24, 0xffff0000, v46
	v_accvgpr_read_b32 v28, a28
	v_and_b32_e32 v25, 0xffff0000, v42
	v_mul_f32_e32 v28, v28, v24
	v_accvgpr_read_b32 v24, a26
	v_fmac_f32_e32 v28, v24, v25
	v_and_b32_e32 v24, 0xffff0000, v47
	v_accvgpr_read_b32 v50, a29
	v_and_b32_e32 v25, 0xffff0000, v45
	v_mul_f32_e32 v42, v50, v24
	v_accvgpr_read_b32 v24, a27
	v_fmac_f32_e32 v42, v24, v25
	v_and_b32_e32 v24, 0xffff0000, v56
	v_accvgpr_read_b32 v25, a30
	v_fmac_f32_e32 v28, v25, v24
	v_and_b32_e32 v24, 0xffff0000, v57
	;; [unrolled: 3-line block ×10, first 2 shown]
	v_accvgpr_read_b32 v24, a39
	v_accvgpr_read_b32 v4, a14
	v_fmac_f32_e32 v42, v24, v5
	v_and_b32_e32 v4, 0xffff0000, v4
	v_accvgpr_read_b32 v5, a40
	v_fmac_f32_e32 v28, v5, v4
	v_and_b32_e32 v4, 0xffff0000, v34
	;; [unrolled: 3-line block ×26, first 2 shown]
	v_accvgpr_read_b32 v1, a17
	v_and_b32_e32 v3, 0xffff0000, v8
	v_and_b32_e32 v6, 0xffff0000, v37
	v_accvgpr_read_b32 v8, a20
	v_fmac_f32_e32 v42, v1, v0
	v_and_b32_e32 v5, 0xffff0000, v13
	v_fmac_f32_e32 v28, v8, v6
	v_accvgpr_read_b32 v6, a18
	v_and_b32_e32 v4, 0xffff0000, v38
	v_fmac_f32_e32 v42, v6, v5
	v_accvgpr_read_b32 v5, a19
	v_fmac_f32_e32 v28, v5, v4
	v_accvgpr_read_b32 v4, a25
	v_and_b32_e32 v2, 0xffff0000, v9
	v_fmac_f32_e32 v42, v4, v3
	v_accvgpr_read_b32 v3, a24
	v_and_b32_e32 v1, 0xffff0000, v30
	;; [unrolled: 3-line block ×4, first 2 shown]
	v_fmac_f32_e32 v28, v1, v0
	v_accvgpr_read_b32 v0, a0
	v_fmac_f32_e32 v42, v0, v7
	v_add_f32_e32 v0, v28, v42
	v_accvgpr_read_b32 v1, a1
	ds_bpermute_b32 v1, v1, v0
	s_waitcnt lgkmcnt(0)
	v_add_f32_e32 v0, v0, v1
	v_accvgpr_read_b32 v1, a11
	ds_bpermute_b32 v1, v1, v0
	s_and_saveexec_b64 s[28:29], vcc
	s_cbranch_execz .LBB369_9
; %bb.491:                              ;   in Loop: Header=BB369_10 Depth=1
	s_waitcnt lgkmcnt(0)
	v_add_f32_e32 v0, v0, v1
	buffer_load_dword v1, off, s[0:3], s32 offset:192 ; 4-byte Folded Reload
	v_accvgpr_read_b32 v2, a9
	v_add_u32_e32 v2, v2, v53
	v_cvt_f32_i32_e32 v2, v2
	s_load_dword s8, s[24:25], 0x0
	s_waitcnt vmcnt(0)
	v_mul_f32_e32 v1, v1, v2
	v_cndmask_b32_e64 v1, 0, v1, s[6:7]
	s_waitcnt lgkmcnt(0)
	v_add_u32_e32 v2, s8, v54
	v_fmac_f32_e32 v1, v0, v44
	v_cmp_lt_i32_e64 s[8:9], v53, v32
	v_cndmask_b32_e64 v0, 0, v1, s[8:9]
	ds_write_b32 v2, v0
	buffer_load_dword v2, off, s[0:3], s32 offset:188 ; 4-byte Folded Reload
	s_waitcnt vmcnt(0)
	v_max_f32_e32 v0, v2, v2
	v_max_f32_e32 v0, v0, v1
	v_cndmask_b32_e64 v2, v2, v0, s[8:9]
	buffer_store_dword v2, off, s[0:3], s32 offset:188 ; 4-byte Folded Spill
	s_branch .LBB369_9
.LBB369_492:
	s_or_b64 exec, exec, s[26:27]
	buffer_load_dword v14, off, s[0:3], s32 offset:196 ; 4-byte Folded Reload
	buffer_load_dword v26, off, s[0:3], s32 offset:252 ; 4-byte Folded Reload
	;; [unrolled: 1-line block ×16, first 2 shown]
	v_accvgpr_read_b32 v15, a5
	v_accvgpr_read_b32 v30, a6
	v_accvgpr_read_b32 v11, a7
	v_accvgpr_read_b32 v10, a10
.LBB369_493:
	s_or_b64 exec, exec, s[10:11]
	s_waitcnt vmcnt(2)
	v_xor_b32_e32 v0, 32, v20
	s_waitcnt vmcnt(1)
	v_cmp_lt_i32_e32 vcc, v0, v21
	v_cndmask_b32_e32 v0, v20, v0, vcc
	v_lshlrev_b32_e32 v2, 2, v0
	s_waitcnt vmcnt(0)
	ds_bpermute_b32 v0, v2, v3
	s_waitcnt lgkmcnt(0)
	v_max_f32_e32 v1, v3, v3
	v_xor_b32_e32 v3, 16, v20
	v_cmp_lt_i32_e32 vcc, v3, v21
	v_xor_b32_e32 v4, 8, v20
	v_max_f32_e32 v0, v0, v0
	v_max_f32_e32 v0, v1, v0
	v_cndmask_b32_e32 v1, v20, v3, vcc
	v_lshlrev_b32_e32 v3, 2, v1
	ds_bpermute_b32 v1, v3, v0
	v_cmp_lt_i32_e32 vcc, v4, v21
	v_and_b32_e32 v22, 63, v14
	s_lshr_b32 s23, s23, 16
	s_waitcnt lgkmcnt(0)
	v_max_f32_e32 v1, v1, v1
	v_max_f32_e32 v0, v0, v1
	v_cndmask_b32_e32 v1, v20, v4, vcc
	v_lshlrev_b32_e32 v6, 2, v1
	ds_bpermute_b32 v1, v6, v0
	v_xor_b32_e32 v4, 4, v20
	v_cmp_lt_i32_e32 vcc, v4, v21
	s_waitcnt lgkmcnt(0)
	v_max_f32_e32 v1, v1, v1
	v_max_f32_e32 v0, v0, v1
	v_cndmask_b32_e32 v1, v20, v4, vcc
	v_lshlrev_b32_e32 v8, 2, v1
	ds_bpermute_b32 v1, v8, v0
	v_cmp_eq_u32_e32 vcc, 0, v22
	v_lshlrev_b32_e32 v4, 2, v28
	s_and_saveexec_b64 s[6:7], vcc
	s_cbranch_execz .LBB369_495
; %bb.494:
	s_waitcnt lgkmcnt(0)
	v_max_f32_e32 v1, v1, v1
	v_max_f32_e32 v0, v0, v0
	;; [unrolled: 1-line block ×3, first 2 shown]
	ds_write_b32 v4, v0 offset:384
.LBB369_495:
	s_or_b64 exec, exec, s[6:7]
	v_cmp_gt_u32_e64 s[6:7], 2, v22
	v_mov_b32_e32 v0, 0xff7fffff
	v_lshlrev_b32_e32 v5, 2, v22
	s_waitcnt lgkmcnt(0)
	s_barrier
	s_and_saveexec_b64 s[8:9], s[6:7]
	s_cbranch_execz .LBB369_497
; %bb.496:
	ds_read_b32 v0, v5 offset:384
.LBB369_497:
	s_or_b64 exec, exec, s[8:9]
	v_xor_b32_e32 v1, 1, v20
	v_cmp_lt_i32_e64 s[8:9], v1, v21
	v_cndmask_b32_e64 v1, v20, v1, s[8:9]
	v_lshlrev_b32_e32 v23, 2, v1
	s_waitcnt lgkmcnt(0)
	ds_bpermute_b32 v1, v23, v0
	v_max_f32_e32 v0, v0, v0
	v_accvgpr_read_b32 v7, a3
	v_subrev_u32_e32 v7, s15, v7
	v_lshl_add_u32 v7, v7, 4, s36
	s_waitcnt lgkmcnt(0)
	v_max_f32_e32 v1, v1, v1
	v_max_f32_e32 v0, v0, v1
	v_lshlrev_b32_e32 v1, 2, v20
	v_and_b32_e32 v9, 0xffffff00, v1
	ds_bpermute_b32 v0, v9, v0
	v_min_i32_e32 v7, v7, v32
	v_subrev_u32_e32 v1, s36, v7
	v_cmp_lt_i32_e64 s[8:9], v14, v1
	v_mov_b32_e32 v19, 0
	s_and_saveexec_b64 s[24:25], s[8:9]
	s_cbranch_execz .LBB369_501
; %bb.498:
	s_ashr_i32 s21, s20, 31
	s_lshl_b64 s[10:11], s[20:21], 2
	s_getpc_b64 s[26:27]
	s_add_u32 s26, s26, llvm.amdgcn.dynlds.offset.table@rel32@lo+4
	s_addc_u32 s27, s27, llvm.amdgcn.dynlds.offset.table@rel32@hi+12
	s_add_u32 s10, s10, s26
	s_addc_u32 s11, s11, s27
	s_load_dword s10, s[10:11], 0x0
	s_mov_b64 s[26:27], 0
	v_mov_b32_e32 v19, 0
	v_mov_b32_e32 v12, v14
	s_waitcnt lgkmcnt(0)
	v_lshl_add_u32 v18, v14, 2, s10
.LBB369_499:                            ; =>This Inner Loop Header: Depth=1
	ds_read_b32 v13, v18
	v_add_u32_e32 v12, 0x80, v12
	v_cmp_ge_i32_e64 s[10:11], v12, v1
	s_or_b64 s[26:27], s[10:11], s[26:27]
	s_waitcnt lgkmcnt(0)
	v_sub_f32_e32 v13, v13, v0
	v_mul_f32_e32 v13, 0x3fb8aa3b, v13
	v_exp_f32_e32 v13, v13
	ds_write_b32 v18, v13
	v_add_f32_e32 v19, v19, v13
	v_add_u32_e32 v18, 0x200, v18
	s_andn2_b64 exec, exec, s[26:27]
	s_cbranch_execnz .LBB369_499
; %bb.500:
	s_or_b64 exec, exec, s[26:27]
.LBB369_501:
	s_or_b64 exec, exec, s[24:25]
	ds_bpermute_b32 v2, v2, v19
	s_waitcnt lgkmcnt(0)
	v_add_f32_e32 v2, v19, v2
	ds_bpermute_b32 v3, v3, v2
	s_waitcnt lgkmcnt(0)
	v_add_f32_e32 v2, v2, v3
	ds_bpermute_b32 v3, v6, v2
	v_xor_b32_e32 v6, 2, v20
	v_cmp_lt_i32_e64 s[10:11], v6, v21
	v_cndmask_b32_e64 v6, v20, v6, s[10:11]
	s_waitcnt lgkmcnt(0)
	v_add_f32_e32 v2, v2, v3
	ds_bpermute_b32 v3, v8, v2
	s_waitcnt lgkmcnt(0)
	v_add_f32_e32 v2, v2, v3
	v_lshlrev_b32_e32 v3, 2, v6
	ds_bpermute_b32 v3, v3, v2
	s_waitcnt lgkmcnt(0)
	v_add_f32_e32 v2, v2, v3
	ds_bpermute_b32 v3, v23, v2
	s_waitcnt lgkmcnt(0)
	v_add_f32_e32 v2, v2, v3
	s_and_saveexec_b64 s[10:11], vcc
	s_cbranch_execz .LBB369_503
; %bb.502:
	ds_write_b32 v4, v2 offset:392
.LBB369_503:
	s_or_b64 exec, exec, s[10:11]
	s_waitcnt lgkmcnt(0)
	s_barrier
	s_and_saveexec_b64 s[10:11], s[6:7]
	s_cbranch_execz .LBB369_505
; %bb.504:
	ds_read_b32 v2, v5 offset:392
.LBB369_505:
	s_or_b64 exec, exec, s[10:11]
	s_waitcnt lgkmcnt(0)
	ds_bpermute_b32 v3, v23, v2
	s_waitcnt lgkmcnt(0)
	v_add_f32_e32 v2, v2, v3
	ds_bpermute_b32 v2, v9, v2
	s_and_saveexec_b64 s[6:7], s[8:9]
	s_cbranch_execz .LBB369_518
; %bb.506:
	s_waitcnt lgkmcnt(0)
	v_add_f32_e32 v3, 0x358637bd, v2
	v_div_scale_f32 v4, s[8:9], v3, v3, 1.0
	v_rcp_f32_e32 v5, v4
	v_div_scale_f32 v6, vcc, 1.0, v3, 1.0
	s_movk_i32 s8, 0x7f
	v_fma_f32 v8, -v4, v5, 1.0
	v_fmac_f32_e32 v5, v8, v5
	v_mul_f32_e32 v8, v6, v5
	v_fma_f32 v9, -v4, v8, v6
	v_fmac_f32_e32 v8, v9, v5
	v_fma_f32 v4, -v4, v8, v6
	v_div_fmas_f32 v4, v4, v5, v8
	v_div_fixup_f32 v8, v4, v3, 1.0
	v_xad_u32 v3, v14, -1, v7
	v_subrev_u32_e32 v4, s36, v3
	v_cmp_lt_u32_e32 vcc, s8, v4
	s_mov_b64 s[10:11], -1
	v_mov_b32_e32 v3, v14
	s_and_saveexec_b64 s[8:9], vcc
	s_cbranch_execz .LBB369_515
; %bb.507:
	v_lshrrev_b32_e32 v3, 7, v4
	v_add_u32_e32 v5, -1, v3
	v_lshrrev_b32_e32 v4, 1, v5
	v_mov_b32_e32 v9, v8
	v_add_u32_e32 v4, 1, v4
	v_cmp_lt_u32_e32 vcc, 13, v5
	v_mov_b32_e32 v7, 0
	s_and_saveexec_b64 s[10:11], vcc
	s_cbranch_execz .LBB369_511
; %bb.508:
	s_ashr_i32 s21, s20, 31
	s_lshl_b64 s[24:25], s[20:21], 2
	s_getpc_b64 s[26:27]
	s_add_u32 s26, s26, llvm.amdgcn.dynlds.offset.table@rel32@lo+4
	s_addc_u32 s27, s27, llvm.amdgcn.dynlds.offset.table@rel32@hi+12
	s_add_u32 s24, s24, s26
	s_addc_u32 s25, s25, s27
	s_load_dword s21, s[24:25], 0x0
	v_and_b32_e32 v5, -8, v4
	s_mov_b32 s15, 0
	s_mov_b64 s[24:25], 0
	s_waitcnt lgkmcnt(0)
	v_lshl_add_u32 v6, v14, 2, s21
.LBB369_509:                            ; =>This Inner Loop Header: Depth=1
	ds_read2st64_b32 v[24:25], v6 offset1:2
	ds_read2st64_b32 v[12:13], v6 offset0:4 offset1:6
	ds_read2st64_b32 v[20:21], v6 offset0:8 offset1:10
	;; [unrolled: 1-line block ×3, first 2 shown]
	v_add_u32_e32 v5, -8, v5
	s_waitcnt lgkmcnt(3)
	v_pk_mul_f32 v[24:25], v[8:9], v[24:25]
	s_waitcnt lgkmcnt(2)
	v_pk_mul_f32 v[12:13], v[8:9], v[12:13]
	ds_write2st64_b32 v6, v24, v25 offset1:2
	ds_write2st64_b32 v6, v12, v13 offset0:4 offset1:6
	ds_read2st64_b32 v[12:13], v6 offset0:16 offset1:18
	s_waitcnt lgkmcnt(4)
	v_pk_mul_f32 v[20:21], v[8:9], v[20:21]
	s_waitcnt lgkmcnt(3)
	v_pk_mul_f32 v[18:19], v[8:9], v[18:19]
	ds_write2st64_b32 v6, v20, v21 offset0:8 offset1:10
	ds_write2st64_b32 v6, v18, v19 offset0:12 offset1:14
	s_waitcnt lgkmcnt(2)
	v_pk_mul_f32 v[12:13], v[8:9], v[12:13]
	ds_read2st64_b32 v[20:21], v6 offset0:20 offset1:22
	ds_read2st64_b32 v[18:19], v6 offset0:24 offset1:26
	ds_write2st64_b32 v6, v12, v13 offset0:16 offset1:18
	ds_read2st64_b32 v[12:13], v6 offset0:28 offset1:30
	s_add_i32 s15, s15, 16
	s_waitcnt lgkmcnt(3)
	v_pk_mul_f32 v[20:21], v[8:9], v[20:21]
	s_waitcnt lgkmcnt(2)
	v_pk_mul_f32 v[18:19], v[8:9], v[18:19]
	v_cmp_eq_u32_e32 vcc, 0, v5
	s_waitcnt lgkmcnt(0)
	v_pk_mul_f32 v[12:13], v[8:9], v[12:13]
	ds_write2st64_b32 v6, v20, v21 offset0:20 offset1:22
	ds_write2st64_b32 v6, v18, v19 offset0:24 offset1:26
	;; [unrolled: 1-line block ×3, first 2 shown]
	v_add_u32_e32 v6, 0x2000, v6
	s_or_b64 s[24:25], vcc, s[24:25]
	v_mov_b32_e32 v7, s15
	s_andn2_b64 exec, exec, s[24:25]
	s_cbranch_execnz .LBB369_509
; %bb.510:
	s_or_b64 exec, exec, s[24:25]
	buffer_load_dword v14, off, s[0:3], s32 offset:196 ; 4-byte Folded Reload
.LBB369_511:
	s_or_b64 exec, exec, s[10:11]
	v_and_b32_e32 v4, 7, v4
	v_cmp_ne_u32_e32 vcc, 0, v4
	s_and_saveexec_b64 s[10:11], vcc
	s_cbranch_execz .LBB369_514
; %bb.512:
	s_ashr_i32 s21, s20, 31
	s_lshl_b64 s[24:25], s[20:21], 2
	s_getpc_b64 s[26:27]
	s_add_u32 s26, s26, llvm.amdgcn.dynlds.offset.table@rel32@lo+4
	s_addc_u32 s27, s27, llvm.amdgcn.dynlds.offset.table@rel32@hi+12
	s_add_u32 s24, s24, s26
	s_addc_u32 s25, s25, s27
	s_load_dword s15, s[24:25], 0x0
	v_lshlrev_b32_e32 v5, 9, v7
	s_waitcnt vmcnt(0)
	v_lshlrev_b32_e32 v6, 2, v14
	s_mov_b64 s[24:25], 0
	s_waitcnt lgkmcnt(0)
	v_add3_u32 v5, v5, v6, s15
.LBB369_513:                            ; =>This Inner Loop Header: Depth=1
	ds_read2st64_b32 v[6:7], v5 offset1:2
	v_add_u32_e32 v4, -1, v4
	v_cmp_eq_u32_e32 vcc, 0, v4
	s_or_b64 s[24:25], vcc, s[24:25]
	s_waitcnt lgkmcnt(0)
	v_pk_mul_f32 v[6:7], v[8:9], v[6:7]
	ds_write2st64_b32 v5, v6, v7 offset1:2
	v_add_u32_e32 v5, 0x400, v5
	s_andn2_b64 exec, exec, s[24:25]
	s_cbranch_execnz .LBB369_513
.LBB369_514:
	s_or_b64 exec, exec, s[10:11]
	v_add_u32_e32 v4, 1, v3
	v_and_b32_e32 v5, 0x3fffffe, v4
	v_cmp_ne_u32_e32 vcc, v4, v5
	s_waitcnt vmcnt(0)
	v_lshl_add_u32 v3, v5, 7, v14
	s_orn2_b64 s[10:11], vcc, exec
.LBB369_515:
	s_or_b64 exec, exec, s[8:9]
	s_and_b64 exec, exec, s[10:11]
	s_cbranch_execz .LBB369_518
; %bb.516:
	s_ashr_i32 s21, s20, 31
	s_lshl_b64 s[8:9], s[20:21], 2
	s_getpc_b64 s[10:11]
	s_add_u32 s10, s10, llvm.amdgcn.dynlds.offset.table@rel32@lo+4
	s_addc_u32 s11, s11, llvm.amdgcn.dynlds.offset.table@rel32@hi+12
	s_add_u32 s8, s8, s10
	s_addc_u32 s9, s9, s11
	s_load_dword s8, s[8:9], 0x0
	s_waitcnt lgkmcnt(0)
	v_lshl_add_u32 v4, v3, 2, s8
	s_mov_b64 s[8:9], 0
.LBB369_517:                            ; =>This Inner Loop Header: Depth=1
	ds_read_b32 v5, v4
	v_add_u32_e32 v3, 0x80, v3
	v_cmp_ge_i32_e32 vcc, v3, v1
	s_or_b64 s[8:9], vcc, s[8:9]
	s_waitcnt lgkmcnt(0)
	v_mul_f32_e32 v5, v8, v5
	ds_write_b32 v4, v5
	v_add_u32_e32 v4, 0x200, v4
	s_andn2_b64 exec, exec, s[8:9]
	s_cbranch_execnz .LBB369_517
.LBB369_518:
	s_or_b64 exec, exec, s[6:7]
	v_cmp_ne_u16_e64 s[6:7], s23, 0
	s_cmp_lg_u64 s[6:7], 0
	s_addc_u32 s23, s13, 0
	v_cmp_eq_u32_e32 vcc, 0, v14
	s_waitcnt lgkmcnt(0)
	s_barrier
	s_and_saveexec_b64 s[6:7], vcc
	s_cbranch_execz .LBB369_520
; %bb.519:
	s_mul_i32 s8, s23, s18
	s_mul_i32 s8, s8, s19
	;; [unrolled: 1-line block ×3, first 2 shown]
	s_ashr_i32 s9, s8, 31
	s_ashr_i32 s11, s10, 31
	;; [unrolled: 1-line block ×3, first 2 shown]
	s_lshl_b64 s[8:9], s[8:9], 2
	s_lshl_b64 s[10:11], s[10:11], 2
	;; [unrolled: 1-line block ×3, first 2 shown]
	s_add_u32 s10, s12, s10
	s_addc_u32 s11, s13, s11
	s_add_u32 s8, s10, s8
	s_addc_u32 s9, s11, s9
	v_mov_b32_e32 v1, s9
	v_add_co_u32_e32 v4, vcc, s8, v36
	v_addc_co_u32_e32 v5, vcc, v1, v35, vcc
	flat_store_dword v[4:5], v0
	v_add_co_u32_e32 v0, vcc, s8, v34
	v_addc_co_u32_e32 v1, vcc, v1, v33, vcc
	flat_store_dword v[0:1], v2
.LBB369_520:
	s_or_b64 exec, exec, s[6:7]
	v_mov_b32_e32 v13, 0
	v_and_b32_e32 v8, 1, v14
	v_mov_b32_e32 v12, 0
	v_mov_b32_e32 v19, 0
	;; [unrolled: 1-line block ×5, first 2 shown]
	s_and_saveexec_b64 s[6:7], s[4:5]
	s_cbranch_execz .LBB369_1240
; %bb.521:
	buffer_load_dword v0, off, s[0:3], s32 offset:196 ; 4-byte Folded Reload
	v_add_co_u32_e32 v1, vcc, v10, v31
	flat_load_dword v26, v[26:27]
	s_ashr_i32 s21, s20, 31
	v_addc_co_u32_e32 v3, vcc, v11, v37, vcc
	s_lshl_b64 s[4:5], s[20:21], 2
	s_getpc_b64 s[8:9]
	s_add_u32 s8, s8, llvm.amdgcn.dynlds.offset.table@rel32@lo+4
	s_addc_u32 s9, s9, llvm.amdgcn.dynlds.offset.table@rel32@hi+12
	s_add_u32 s4, s4, s8
	s_addc_u32 s5, s5, s9
	s_load_dword s4, s[4:5], 0x0
	s_mov_b32 s8, -1
	v_add_u32_e32 v4, -1, v29
	v_accvgpr_write_b32 a6, v23
	v_accvgpr_write_b32 a5, v22
	s_mov_b32 s9, 0xffffff
	v_accvgpr_write_b32 a8, v4
	v_mov_b32_e32 v11, 0
	v_accvgpr_write_b32 a7, v8
	s_mov_b64 s[10:11], 0
	s_mov_b32 s15, 0x7f800000
	s_movk_i32 s21, 0x7fff
	s_movk_i32 s28, 0x80
	s_movk_i32 s29, 0x7f
	v_bfrev_b32_e32 v56, 60
	v_mov_b32_e32 v20, 0
	v_mov_b32_e32 v21, 0
	;; [unrolled: 1-line block ×6, first 2 shown]
	s_waitcnt vmcnt(0)
	v_lshlrev_b32_e32 v0, 3, v0
	v_and_b32_e32 v2, 8, v0
	v_and_b32_e32 v0, 0x1f8, v0
	v_add_co_u32_e32 v0, vcc, v1, v0
	v_addc_co_u32_e32 v1, vcc, 0, v3, vcc
	v_accvgpr_write_b32 a11, v1
	v_accvgpr_write_b32 a10, v0
	v_lshlrev_b64 v[0:1], 2, v[16:17]
	v_add_co_u32_e32 v0, vcc, v38, v0
	v_addc_co_u32_e32 v1, vcc, v39, v1, vcc
	v_add_co_u32_e32 v14, vcc, v30, v0
	v_lshl_add_u32 v0, v28, 4, s36
	v_add3_u32 v17, v0, v2, 7
	v_lshlrev_b32_e32 v0, 5, v8
	v_lshl_or_b32 v0, v28, 6, v0
	v_addc_co_u32_e32 v15, vcc, v15, v1, vcc
	s_waitcnt lgkmcnt(0)
	v_add_u32_e32 v33, s4, v0
	s_branch .LBB369_523
.LBB369_522:                            ;   in Loop: Header=BB369_523 Depth=1
	s_or_b64 exec, exec, s[4:5]
	v_accvgpr_read_b32 v29, a14
	v_and_b32_e32 v55, 0xffff0000, v29
	v_accvgpr_read_b32 v29, a12
	v_and_b32_e32 v54, 0xffff0000, v29
	;; [unrolled: 2-line block ×3, first 2 shown]
	v_and_b32_e32 v40, 0xffff0000, v57
	v_accvgpr_read_b32 v29, a18
	v_pk_add_f32 v[54:55], v[40:41], v[54:55]
	v_and_b32_e32 v41, 0xffff0000, v29
	v_accvgpr_read_b32 v29, a16
	v_and_b32_e32 v40, 0xffff0000, v29
	v_accvgpr_read_b32 v29, a17
	;; [unrolled: 2-line block ×3, first 2 shown]
	v_and_b32_e32 v42, 0xffff0000, v29
	v_pk_add_f32 v[40:41], v[42:43], v[40:41]
	v_add_f32_e32 v29, v54, v55
	v_add_f32_e32 v29, v29, v40
	;; [unrolled: 1-line block ×4, first 2 shown]
	v_accvgpr_read_b32 v29, a28
	v_and_b32_e32 v54, 0xffff0000, v29
	v_accvgpr_read_b32 v29, a27
	v_and_b32_e32 v40, 0xffff0000, v29
	;; [unrolled: 2-line block ×6, first 2 shown]
	v_and_b32_e32 v55, 0xffff0000, v58
	v_and_b32_e32 v41, 0xffff0000, v47
	v_pk_add_f32 v[42:43], v[44:45], v[42:43]
	v_pk_add_f32 v[54:55], v[40:41], v[54:55]
	v_add_f32_e32 v29, v42, v43
	v_add_f32_e32 v29, v29, v54
	;; [unrolled: 1-line block ×4, first 2 shown]
	v_and_b32_e32 v29, 0xffff0000, v28
	v_and_b32_e32 v28, 0xffff0000, v30
	;; [unrolled: 1-line block ×8, first 2 shown]
	v_pk_add_f32 v[30:31], v[40:41], v[30:31]
	v_pk_add_f32 v[28:29], v[28:29], v[54:55]
	v_add_f32_e32 v4, v30, v31
	v_add_f32_e32 v4, v4, v28
	v_and_b32_e32 v23, 0xffff0000, v22
	v_and_b32_e32 v22, 0xffff0000, v25
	;; [unrolled: 1-line block ×4, first 2 shown]
	v_add_f32_e32 v4, v4, v29
	v_and_b32_e32 v29, 0xffff0000, v36
	v_and_b32_e32 v28, 0xffff0000, v9
	;; [unrolled: 1-line block ×4, first 2 shown]
	v_pk_add_f32 v[22:23], v[24:25], v[22:23]
	v_add_f32_e32 v18, v18, v4
	v_pk_add_f32 v[8:9], v[8:9], v[28:29]
	v_add_f32_e32 v4, v22, v23
	v_add_f32_e32 v4, v4, v8
	v_and_b32_e32 v7, 0xffff0000, v38
	v_and_b32_e32 v6, 0xffff0000, v6
	;; [unrolled: 1-line block ×4, first 2 shown]
	v_add_f32_e32 v4, v4, v9
	v_and_b32_e32 v9, 0xffff0000, v50
	v_and_b32_e32 v8, 0xffff0000, v48
	v_and_b32_e32 v23, 0xffff0000, v49
	v_and_b32_e32 v22, 0xffff0000, v39
	v_pk_add_f32 v[6:7], v[24:25], v[6:7]
	v_pk_add_f32 v[8:9], v[22:23], v[8:9]
	v_add_f32_e32 v3, v6, v7
	v_add_f32_e32 v3, v3, v8
	;; [unrolled: 1-line block ×3, first 2 shown]
	v_and_b32_e32 v9, 0xffff0000, v10
	v_and_b32_e32 v8, 0xffff0000, v1
	;; [unrolled: 1-line block ×4, first 2 shown]
	v_add_f32_e32 v19, v19, v4
	v_and_b32_e32 v5, 0xffff0000, v5
	v_and_b32_e32 v4, 0xffff0000, v27
	;; [unrolled: 1-line block ×4, first 2 shown]
	v_pk_add_f32 v[0:1], v[0:1], v[8:9]
	v_add_f32_e32 v12, v12, v3
	v_pk_add_f32 v[2:3], v[6:7], v[4:5]
	v_add_f32_e32 v0, v0, v1
	v_add_f32_e32 v0, v0, v2
	;; [unrolled: 1-line block ×3, first 2 shown]
	v_add_co_u32_e32 v14, vcc, 8, v14
	v_add_f32_e32 v13, v13, v0
	v_add_u32_e32 v16, 2, v16
	v_addc_co_u32_e32 v15, vcc, 0, v15, vcc
	v_accvgpr_read_b32 v0, a3
	v_cmp_ge_i32_e32 vcc, v16, v0
	v_add_u32_e32 v17, 32, v17
	s_or_b64 s[10:11], vcc, s[10:11]
	v_add_u32_e32 v33, 0x80, v33
	s_andn2_b64 exec, exec, s[10:11]
	s_cbranch_execz .LBB369_1239
.LBB369_523:                            ; =>This Inner Loop Header: Depth=1
	flat_load_dword v10, v[14:15]
	ds_read2_b64 v[6:9], v33 offset1:1
	ds_read2_b64 v[0:3], v33 offset0:2 offset1:3
                                        ; implicit-def: $vgpr25
	s_waitcnt lgkmcnt(0)
	v_and_b32_e32 v4, 0x7f800000, v6
	v_cmp_ne_u32_e32 vcc, s15, v4
	s_and_saveexec_b64 s[4:5], vcc
	s_xor_b64 s[4:5], exec, s[4:5]
; %bb.524:                              ;   in Loop: Header=BB369_523 Depth=1
	v_bfe_u32 v4, v6, 16, 1
	v_add3_u32 v25, v6, v4, s21
; %bb.525:                              ;   in Loop: Header=BB369_523 Depth=1
	s_andn2_saveexec_b64 s[4:5], s[4:5]
; %bb.526:                              ;   in Loop: Header=BB369_523 Depth=1
	v_or_b32_e32 v4, 0x10000, v6
	v_cmp_eq_u32_sdwa vcc, v6, v11 src0_sel:WORD_0 src1_sel:DWORD
	v_cndmask_b32_e32 v25, v4, v6, vcc
; %bb.527:                              ;   in Loop: Header=BB369_523 Depth=1
	s_or_b64 exec, exec, s[4:5]
	v_and_b32_e32 v4, 0x7f800000, v7
	v_cmp_ne_u32_e32 vcc, s15, v4
                                        ; implicit-def: $vgpr24
	s_and_saveexec_b64 s[4:5], vcc
	s_xor_b64 s[4:5], exec, s[4:5]
; %bb.528:                              ;   in Loop: Header=BB369_523 Depth=1
	v_bfe_u32 v4, v7, 16, 1
	v_add3_u32 v24, v7, v4, s21
; %bb.529:                              ;   in Loop: Header=BB369_523 Depth=1
	s_andn2_saveexec_b64 s[4:5], s[4:5]
; %bb.530:                              ;   in Loop: Header=BB369_523 Depth=1
	v_or_b32_e32 v4, 0x10000, v7
	v_cmp_eq_u32_sdwa vcc, v7, v11 src0_sel:WORD_0 src1_sel:DWORD
	v_cndmask_b32_e32 v24, v4, v7, vcc
; %bb.531:                              ;   in Loop: Header=BB369_523 Depth=1
	s_or_b64 exec, exec, s[4:5]
	v_and_b32_e32 v4, 0x7f800000, v8
	v_cmp_ne_u32_e32 vcc, s15, v4
                                        ; implicit-def: $vgpr23
	s_and_saveexec_b64 s[4:5], vcc
	s_xor_b64 s[4:5], exec, s[4:5]
; %bb.532:                              ;   in Loop: Header=BB369_523 Depth=1
	v_bfe_u32 v4, v8, 16, 1
	v_add3_u32 v23, v8, v4, s21
; %bb.533:                              ;   in Loop: Header=BB369_523 Depth=1
	s_andn2_saveexec_b64 s[4:5], s[4:5]
; %bb.534:                              ;   in Loop: Header=BB369_523 Depth=1
	v_or_b32_e32 v4, 0x10000, v8
	v_cmp_eq_u32_sdwa vcc, v8, v11 src0_sel:WORD_0 src1_sel:DWORD
	v_cndmask_b32_e32 v23, v4, v8, vcc
; %bb.535:                              ;   in Loop: Header=BB369_523 Depth=1
	s_or_b64 exec, exec, s[4:5]
	v_and_b32_e32 v4, 0x7f800000, v9
	v_cmp_ne_u32_e32 vcc, s15, v4
                                        ; implicit-def: $vgpr22
	s_and_saveexec_b64 s[4:5], vcc
	s_xor_b64 s[4:5], exec, s[4:5]
; %bb.536:                              ;   in Loop: Header=BB369_523 Depth=1
	v_bfe_u32 v4, v9, 16, 1
	v_add3_u32 v22, v9, v4, s21
                                        ; implicit-def: $vgpr6_vgpr7_vgpr8_vgpr9
; %bb.537:                              ;   in Loop: Header=BB369_523 Depth=1
	s_andn2_saveexec_b64 s[4:5], s[4:5]
; %bb.538:                              ;   in Loop: Header=BB369_523 Depth=1
	v_or_b32_e32 v4, 0x10000, v9
	v_cmp_eq_u32_sdwa vcc, v9, v11 src0_sel:WORD_0 src1_sel:DWORD
	v_cndmask_b32_e32 v22, v4, v9, vcc
; %bb.539:                              ;   in Loop: Header=BB369_523 Depth=1
	s_or_b64 exec, exec, s[4:5]
	v_and_b32_e32 v4, 0x7f800000, v0
	v_cmp_ne_u32_e32 vcc, s15, v4
                                        ; implicit-def: $vgpr8
	s_and_saveexec_b64 s[4:5], vcc
	s_xor_b64 s[4:5], exec, s[4:5]
; %bb.540:                              ;   in Loop: Header=BB369_523 Depth=1
	v_bfe_u32 v4, v0, 16, 1
	v_add3_u32 v8, v0, v4, s21
; %bb.541:                              ;   in Loop: Header=BB369_523 Depth=1
	s_andn2_saveexec_b64 s[4:5], s[4:5]
; %bb.542:                              ;   in Loop: Header=BB369_523 Depth=1
	v_or_b32_e32 v4, 0x10000, v0
	v_cmp_eq_u32_sdwa vcc, v0, v11 src0_sel:WORD_0 src1_sel:DWORD
	v_cndmask_b32_e32 v8, v4, v0, vcc
; %bb.543:                              ;   in Loop: Header=BB369_523 Depth=1
	s_or_b64 exec, exec, s[4:5]
	v_and_b32_e32 v0, 0x7f800000, v1
	v_cmp_ne_u32_e32 vcc, s15, v0
                                        ; implicit-def: $vgpr7
	s_and_saveexec_b64 s[4:5], vcc
	s_xor_b64 s[4:5], exec, s[4:5]
; %bb.544:                              ;   in Loop: Header=BB369_523 Depth=1
	v_bfe_u32 v0, v1, 16, 1
	v_add3_u32 v7, v1, v0, s21
; %bb.545:                              ;   in Loop: Header=BB369_523 Depth=1
	s_andn2_saveexec_b64 s[4:5], s[4:5]
; %bb.546:                              ;   in Loop: Header=BB369_523 Depth=1
	v_or_b32_e32 v0, 0x10000, v1
	v_cmp_eq_u32_sdwa vcc, v1, v11 src0_sel:WORD_0 src1_sel:DWORD
	v_cndmask_b32_e32 v7, v0, v1, vcc
; %bb.547:                              ;   in Loop: Header=BB369_523 Depth=1
	s_or_b64 exec, exec, s[4:5]
	v_and_b32_e32 v0, 0x7f800000, v2
	v_cmp_ne_u32_e32 vcc, s15, v0
                                        ; implicit-def: $vgpr5
	s_and_saveexec_b64 s[4:5], vcc
	s_xor_b64 s[4:5], exec, s[4:5]
; %bb.548:                              ;   in Loop: Header=BB369_523 Depth=1
	v_bfe_u32 v0, v2, 16, 1
	v_add3_u32 v5, v2, v0, s21
; %bb.549:                              ;   in Loop: Header=BB369_523 Depth=1
	s_andn2_saveexec_b64 s[4:5], s[4:5]
; %bb.550:                              ;   in Loop: Header=BB369_523 Depth=1
	v_or_b32_e32 v0, 0x10000, v2
	v_cmp_eq_u32_sdwa vcc, v2, v11 src0_sel:WORD_0 src1_sel:DWORD
	v_cndmask_b32_e32 v5, v0, v2, vcc
; %bb.551:                              ;   in Loop: Header=BB369_523 Depth=1
	s_or_b64 exec, exec, s[4:5]
	v_and_b32_e32 v0, 0x7f800000, v3
	v_cmp_ne_u32_e32 vcc, s15, v0
                                        ; implicit-def: $vgpr4
	s_and_saveexec_b64 s[4:5], vcc
	s_xor_b64 s[4:5], exec, s[4:5]
; %bb.552:                              ;   in Loop: Header=BB369_523 Depth=1
	v_bfe_u32 v0, v3, 16, 1
	v_add3_u32 v4, v3, v0, s21
                                        ; implicit-def: $vgpr0_vgpr1_vgpr2_vgpr3
; %bb.553:                              ;   in Loop: Header=BB369_523 Depth=1
	s_andn2_saveexec_b64 s[4:5], s[4:5]
; %bb.554:                              ;   in Loop: Header=BB369_523 Depth=1
	v_or_b32_e32 v0, 0x10000, v3
	v_cmp_eq_u32_sdwa vcc, v3, v11 src0_sel:WORD_0 src1_sel:DWORD
	v_cndmask_b32_e32 v4, v0, v3, vcc
; %bb.555:                              ;   in Loop: Header=BB369_523 Depth=1
	s_or_b64 exec, exec, s[4:5]
	v_accvgpr_read_b32 v2, a10
	v_accvgpr_read_b32 v0, a4
	;; [unrolled: 1-line block ×3, first 2 shown]
	s_waitcnt vmcnt(0)
	v_mad_i64_i32 v[0:1], s[4:5], v10, v0, v[2:3]
	flat_load_dwordx2 v[2:3], v[0:1]
	v_mov_b32_e32 v6, 0
	s_waitcnt vmcnt(0) lgkmcnt(0)
	v_cmp_ne_u16_sdwa s[12:13], v2, v11 src0_sel:BYTE_0 src1_sel:DWORD
	s_and_saveexec_b64 s[4:5], s[12:13]
	s_cbranch_execz .LBB369_561
; %bb.556:                              ;   in Loop: Header=BB369_523 Depth=1
	v_cmp_ne_u16_sdwa s[24:25], v2, s28 src0_sel:BYTE_0 src1_sel:DWORD
	v_bfrev_b32_e32 v6, 1
	s_and_saveexec_b64 s[12:13], s[24:25]
	s_cbranch_execz .LBB369_560
; %bb.557:                              ;   in Loop: Header=BB369_523 Depth=1
	v_and_b32_e32 v9, 0x7f, v2
	v_cmp_ne_u32_e32 vcc, s29, v9
	v_mov_b32_e32 v6, 0x7f800001
	s_and_saveexec_b64 s[24:25], vcc
	s_cbranch_execz .LBB369_559
; %bb.558:                              ;   in Loop: Header=BB369_523 Depth=1
	v_and_b32_e32 v6, 7, v2
	v_ffbh_u32_e32 v6, v6
	v_min_u32_e32 v6, 32, v6
	v_subrev_u32_e32 v27, 28, v6
	v_cmp_gt_u32_e32 vcc, 8, v9
	v_lshrrev_b32_e32 v10, 3, v9
	v_cndmask_b32_e32 v9, 0, v27, vcc
	v_sub_u32_e32 v6, 29, v6
	v_lshlrev_b64 v[28:29], v9, v[2:3]
	v_cndmask_b32_e32 v6, v10, v6, vcc
	v_lshlrev_b32_e32 v9, 20, v28
	v_lshlrev_b32_e32 v10, 24, v2
	v_and_b32_e32 v9, 0x700000, v9
	v_and_b32_e32 v10, 0x80000000, v10
	v_lshl_add_u32 v6, v6, 23, v56
	v_or3_b32 v6, v10, v6, v9
.LBB369_559:                            ;   in Loop: Header=BB369_523 Depth=1
	s_or_b64 exec, exec, s[24:25]
.LBB369_560:                            ;   in Loop: Header=BB369_523 Depth=1
	s_or_b64 exec, exec, s[12:13]
.LBB369_561:                            ;   in Loop: Header=BB369_523 Depth=1
	s_or_b64 exec, exec, s[4:5]
	v_mul_f32_e32 v6, v26, v6
	v_and_b32_e32 v9, 0x7f800000, v6
	v_cmp_ne_u32_e32 vcc, s15, v9
                                        ; implicit-def: $vgpr9
	s_and_saveexec_b64 s[4:5], vcc
	s_xor_b64 s[4:5], exec, s[4:5]
; %bb.562:                              ;   in Loop: Header=BB369_523 Depth=1
	v_bfe_u32 v9, v6, 16, 1
	v_add3_u32 v9, v6, v9, s21
                                        ; implicit-def: $vgpr6
; %bb.563:                              ;   in Loop: Header=BB369_523 Depth=1
	s_andn2_saveexec_b64 s[4:5], s[4:5]
; %bb.564:                              ;   in Loop: Header=BB369_523 Depth=1
	v_or_b32_e32 v9, 0x10000, v6
	v_cmp_eq_u32_sdwa vcc, v6, v11 src0_sel:WORD_0 src1_sel:DWORD
	v_cndmask_b32_e32 v9, v9, v6, vcc
; %bb.565:                              ;   in Loop: Header=BB369_523 Depth=1
	s_or_b64 exec, exec, s[4:5]
	v_lshrrev_b16_e32 v6, 8, v2
	v_cmp_ne_u16_e32 vcc, 0, v6
	v_mov_b32_e32 v10, 0
	s_and_saveexec_b64 s[4:5], vcc
	s_cbranch_execz .LBB369_571
; %bb.566:                              ;   in Loop: Header=BB369_523 Depth=1
	v_cmp_ne_u16_e32 vcc, s28, v6
	v_bfrev_b32_e32 v10, 1
	s_and_saveexec_b64 s[12:13], vcc
	s_cbranch_execz .LBB369_570
; %bb.567:                              ;   in Loop: Header=BB369_523 Depth=1
	v_and_b32_e32 v27, 0x7f, v6
	v_cmp_ne_u32_e32 vcc, s29, v27
	v_mov_b32_e32 v10, 0x7f800001
	s_and_saveexec_b64 s[24:25], vcc
	s_cbranch_execz .LBB369_569
; %bb.568:                              ;   in Loop: Header=BB369_523 Depth=1
	v_and_b32_e32 v10, 7, v6
	v_ffbh_u32_e32 v28, v10
	v_min_u32_e32 v31, 32, v28
	v_subrev_u32_e32 v28, 28, v31
	v_lshlrev_b64 v[28:29], v28, v[6:7]
	v_lshrrev_b32_e32 v30, 3, v27
	v_sub_u32_e32 v6, 29, v31
	v_and_b32_e32 v28, 7, v28
	v_cmp_gt_u32_e32 vcc, 8, v27
	v_cndmask_b32_e32 v6, v30, v6, vcc
	v_cndmask_b32_e32 v10, v10, v28, vcc
	v_lshlrev_b32_e32 v27, 16, v2
	v_lshlrev_b32_e32 v10, 20, v10
	v_and_b32_e32 v27, 0x80000000, v27
	v_lshl_add_u32 v6, v6, 23, v56
	v_or3_b32 v10, v27, v6, v10
.LBB369_569:                            ;   in Loop: Header=BB369_523 Depth=1
	s_or_b64 exec, exec, s[24:25]
.LBB369_570:                            ;   in Loop: Header=BB369_523 Depth=1
	s_or_b64 exec, exec, s[12:13]
.LBB369_571:                            ;   in Loop: Header=BB369_523 Depth=1
	s_or_b64 exec, exec, s[4:5]
	v_mul_f32_e32 v6, v26, v10
	v_and_b32_e32 v10, 0x7f800000, v6
	v_cmp_ne_u32_e32 vcc, s15, v10
                                        ; implicit-def: $vgpr27
	s_and_saveexec_b64 s[4:5], vcc
	s_xor_b64 s[4:5], exec, s[4:5]
; %bb.572:                              ;   in Loop: Header=BB369_523 Depth=1
	v_bfe_u32 v10, v6, 16, 1
	v_add3_u32 v27, v6, v10, s21
                                        ; implicit-def: $vgpr6
; %bb.573:                              ;   in Loop: Header=BB369_523 Depth=1
	s_andn2_saveexec_b64 s[4:5], s[4:5]
; %bb.574:                              ;   in Loop: Header=BB369_523 Depth=1
	v_or_b32_e32 v10, 0x10000, v6
	v_cmp_eq_u32_sdwa vcc, v6, v11 src0_sel:WORD_0 src1_sel:DWORD
	v_cndmask_b32_e32 v27, v10, v6, vcc
; %bb.575:                              ;   in Loop: Header=BB369_523 Depth=1
	s_or_b64 exec, exec, s[4:5]
	v_lshrrev_b32_e32 v6, 16, v2
	v_cmp_ne_u16_sdwa s[12:13], v6, v11 src0_sel:BYTE_0 src1_sel:DWORD
	v_mov_b32_e32 v10, 0
	s_and_saveexec_b64 s[4:5], s[12:13]
	s_cbranch_execz .LBB369_581
; %bb.576:                              ;   in Loop: Header=BB369_523 Depth=1
	v_cmp_ne_u16_sdwa s[24:25], v6, s28 src0_sel:BYTE_0 src1_sel:DWORD
	v_bfrev_b32_e32 v10, 1
	s_and_saveexec_b64 s[12:13], s[24:25]
	s_cbranch_execz .LBB369_580
; %bb.577:                              ;   in Loop: Header=BB369_523 Depth=1
	v_bfe_u32 v28, v2, 16, 7
	v_cmp_ne_u32_e32 vcc, s29, v28
	v_mov_b32_e32 v10, 0x7f800001
	s_and_saveexec_b64 s[24:25], vcc
	s_cbranch_execz .LBB369_579
; %bb.578:                              ;   in Loop: Header=BB369_523 Depth=1
	v_and_b32_e32 v10, 7, v6
	v_ffbh_u32_e32 v30, v10
	v_min_u32_e32 v34, 32, v30
	v_subrev_u32_e32 v30, 28, v34
	v_lshlrev_b64 v[30:31], v30, v[6:7]
	v_lshrrev_b32_e32 v29, 3, v28
	v_sub_u32_e32 v31, 29, v34
	v_and_b32_e32 v30, 7, v30
	v_cmp_gt_u32_e32 vcc, 8, v28
	v_cndmask_b32_e32 v28, v29, v31, vcc
	v_cndmask_b32_e32 v10, v10, v30, vcc
	v_lshlrev_b32_e32 v6, 24, v6
	v_lshlrev_b32_e32 v10, 20, v10
	v_and_b32_e32 v6, 0x80000000, v6
	v_lshl_add_u32 v28, v28, 23, v56
	v_or3_b32 v10, v6, v28, v10
.LBB369_579:                            ;   in Loop: Header=BB369_523 Depth=1
	s_or_b64 exec, exec, s[24:25]
.LBB369_580:                            ;   in Loop: Header=BB369_523 Depth=1
	s_or_b64 exec, exec, s[12:13]
.LBB369_581:                            ;   in Loop: Header=BB369_523 Depth=1
	s_or_b64 exec, exec, s[4:5]
	v_mul_f32_e32 v6, v26, v10
	v_and_b32_e32 v10, 0x7f800000, v6
	v_cmp_ne_u32_e32 vcc, s15, v10
                                        ; implicit-def: $vgpr28
	s_and_saveexec_b64 s[4:5], vcc
	s_xor_b64 s[4:5], exec, s[4:5]
; %bb.582:                              ;   in Loop: Header=BB369_523 Depth=1
	v_bfe_u32 v10, v6, 16, 1
	v_add3_u32 v28, v6, v10, s21
                                        ; implicit-def: $vgpr6
; %bb.583:                              ;   in Loop: Header=BB369_523 Depth=1
	s_andn2_saveexec_b64 s[4:5], s[4:5]
; %bb.584:                              ;   in Loop: Header=BB369_523 Depth=1
	v_or_b32_e32 v10, 0x10000, v6
	v_cmp_eq_u32_sdwa vcc, v6, v11 src0_sel:WORD_0 src1_sel:DWORD
	v_cndmask_b32_e32 v28, v10, v6, vcc
; %bb.585:                              ;   in Loop: Header=BB369_523 Depth=1
	s_or_b64 exec, exec, s[4:5]
	v_cmp_lt_u32_e32 vcc, s9, v2
	v_mov_b32_e32 v10, 0
	s_and_saveexec_b64 s[4:5], vcc
	s_cbranch_execz .LBB369_591
; %bb.586:                              ;   in Loop: Header=BB369_523 Depth=1
	v_lshrrev_b32_e32 v6, 24, v2
	v_cmp_ne_u32_e32 vcc, s28, v6
	v_bfrev_b32_e32 v10, 1
	s_and_saveexec_b64 s[12:13], vcc
	s_cbranch_execz .LBB369_590
; %bb.587:                              ;   in Loop: Header=BB369_523 Depth=1
	v_bfe_u32 v29, v2, 24, 7
	v_cmp_ne_u32_e32 vcc, s29, v29
	v_mov_b32_e32 v10, 0x7f800001
	s_and_saveexec_b64 s[24:25], vcc
	s_cbranch_execz .LBB369_589
; %bb.588:                              ;   in Loop: Header=BB369_523 Depth=1
	v_and_b32_e32 v10, 7, v6
	v_ffbh_u32_e32 v30, v10
	v_min_u32_e32 v35, 32, v30
	v_subrev_u32_e32 v30, 28, v35
	v_lshlrev_b64 v[30:31], v30, v[6:7]
	v_lshrrev_b32_e32 v34, 3, v29
	v_sub_u32_e32 v31, 29, v35
	v_and_b32_e32 v30, 7, v30
	v_cmp_gt_u32_e32 vcc, 8, v29
	v_cndmask_b32_e32 v29, v34, v31, vcc
	v_cndmask_b32_e32 v10, v10, v30, vcc
	v_lshlrev_b32_e32 v6, 24, v6
	v_lshlrev_b32_e32 v10, 20, v10
	v_and_b32_e32 v6, 0x80000000, v6
	v_lshl_add_u32 v29, v29, 23, v56
	v_or3_b32 v10, v6, v29, v10
.LBB369_589:                            ;   in Loop: Header=BB369_523 Depth=1
	s_or_b64 exec, exec, s[24:25]
.LBB369_590:                            ;   in Loop: Header=BB369_523 Depth=1
	s_or_b64 exec, exec, s[12:13]
.LBB369_591:                            ;   in Loop: Header=BB369_523 Depth=1
	s_or_b64 exec, exec, s[4:5]
	v_mul_f32_e32 v6, v26, v10
	v_and_b32_e32 v10, 0x7f800000, v6
	v_cmp_ne_u32_e32 vcc, s15, v10
                                        ; implicit-def: $vgpr29
	s_and_saveexec_b64 s[4:5], vcc
	s_xor_b64 s[4:5], exec, s[4:5]
; %bb.592:                              ;   in Loop: Header=BB369_523 Depth=1
	v_bfe_u32 v10, v6, 16, 1
	v_add3_u32 v29, v6, v10, s21
                                        ; implicit-def: $vgpr6
; %bb.593:                              ;   in Loop: Header=BB369_523 Depth=1
	s_andn2_saveexec_b64 s[4:5], s[4:5]
; %bb.594:                              ;   in Loop: Header=BB369_523 Depth=1
	v_or_b32_e32 v10, 0x10000, v6
	v_cmp_eq_u32_sdwa vcc, v6, v11 src0_sel:WORD_0 src1_sel:DWORD
	v_cndmask_b32_e32 v29, v10, v6, vcc
; %bb.595:                              ;   in Loop: Header=BB369_523 Depth=1
	s_or_b64 exec, exec, s[4:5]
	v_mov_b32_e32 v10, v3
	v_cmp_ne_u16_sdwa s[12:13], v3, v11 src0_sel:BYTE_0 src1_sel:DWORD
	v_mov_b32_e32 v6, 0
	s_and_saveexec_b64 s[4:5], s[12:13]
	s_cbranch_execz .LBB369_601
; %bb.596:                              ;   in Loop: Header=BB369_523 Depth=1
	v_cmp_ne_u16_sdwa s[24:25], v3, s28 src0_sel:BYTE_0 src1_sel:DWORD
	v_bfrev_b32_e32 v6, 1
	s_and_saveexec_b64 s[12:13], s[24:25]
	s_cbranch_execz .LBB369_600
; %bb.597:                              ;   in Loop: Header=BB369_523 Depth=1
	v_and_b32_e32 v30, 0x7f, v3
	v_cmp_ne_u32_e32 vcc, s29, v30
	v_mov_b32_e32 v6, 0x7f800001
	s_and_saveexec_b64 s[24:25], vcc
	s_cbranch_execz .LBB369_599
; %bb.598:                              ;   in Loop: Header=BB369_523 Depth=1
	v_and_b32_e32 v6, 7, v3
	v_ffbh_u32_e32 v6, v6
	v_min_u32_e32 v6, 32, v6
	v_subrev_u32_e32 v34, 28, v6
	v_cmp_gt_u32_e32 vcc, 8, v30
	v_lshrrev_b32_e32 v31, 3, v30
	v_sub_u32_e32 v6, 29, v6
	v_cndmask_b32_e32 v30, 0, v34, vcc
	v_cndmask_b32_e32 v6, v31, v6, vcc
	v_lshlrev_b64 v[30:31], v30, v[10:11]
	v_lshlrev_b32_e32 v30, 20, v30
	v_lshlrev_b32_e32 v31, 24, v10
	v_and_b32_e32 v30, 0x700000, v30
	v_and_b32_e32 v31, 0x80000000, v31
	v_lshl_add_u32 v6, v6, 23, v56
	v_or3_b32 v6, v31, v6, v30
.LBB369_599:                            ;   in Loop: Header=BB369_523 Depth=1
	s_or_b64 exec, exec, s[24:25]
.LBB369_600:                            ;   in Loop: Header=BB369_523 Depth=1
	s_or_b64 exec, exec, s[12:13]
.LBB369_601:                            ;   in Loop: Header=BB369_523 Depth=1
	s_or_b64 exec, exec, s[4:5]
	v_mul_f32_e32 v6, v26, v6
	v_and_b32_e32 v30, 0x7f800000, v6
	v_cmp_ne_u32_e32 vcc, s15, v30
                                        ; implicit-def: $vgpr30
	s_and_saveexec_b64 s[4:5], vcc
	s_xor_b64 s[4:5], exec, s[4:5]
; %bb.602:                              ;   in Loop: Header=BB369_523 Depth=1
	v_bfe_u32 v30, v6, 16, 1
	v_add3_u32 v30, v6, v30, s21
                                        ; implicit-def: $vgpr6
; %bb.603:                              ;   in Loop: Header=BB369_523 Depth=1
	s_andn2_saveexec_b64 s[4:5], s[4:5]
; %bb.604:                              ;   in Loop: Header=BB369_523 Depth=1
	v_or_b32_e32 v30, 0x10000, v6
	v_cmp_eq_u32_sdwa vcc, v6, v11 src0_sel:WORD_0 src1_sel:DWORD
	v_cndmask_b32_e32 v30, v30, v6, vcc
; %bb.605:                              ;   in Loop: Header=BB369_523 Depth=1
	s_or_b64 exec, exec, s[4:5]
	v_lshrrev_b16_e32 v6, 8, v10
	v_cmp_ne_u16_e32 vcc, 0, v6
	v_mov_b32_e32 v31, 0
	s_and_saveexec_b64 s[4:5], vcc
	s_cbranch_execz .LBB369_611
; %bb.606:                              ;   in Loop: Header=BB369_523 Depth=1
	v_cmp_ne_u16_e32 vcc, s28, v6
	v_bfrev_b32_e32 v31, 1
	s_and_saveexec_b64 s[12:13], vcc
	s_cbranch_execz .LBB369_610
; %bb.607:                              ;   in Loop: Header=BB369_523 Depth=1
	v_and_b32_e32 v34, 0x7f, v6
	v_cmp_ne_u32_e32 vcc, s29, v34
	v_mov_b32_e32 v31, 0x7f800001
	s_and_saveexec_b64 s[24:25], vcc
	s_cbranch_execz .LBB369_609
; %bb.608:                              ;   in Loop: Header=BB369_523 Depth=1
	v_and_b32_e32 v31, 7, v6
	v_ffbh_u32_e32 v36, v31
	v_min_u32_e32 v38, 32, v36
	v_subrev_u32_e32 v36, 28, v38
	v_lshlrev_b64 v[36:37], v36, v[6:7]
	v_lshrrev_b32_e32 v35, 3, v34
	v_sub_u32_e32 v6, 29, v38
	v_and_b32_e32 v36, 7, v36
	v_cmp_gt_u32_e32 vcc, 8, v34
	v_cndmask_b32_e32 v6, v35, v6, vcc
	v_cndmask_b32_e32 v31, v31, v36, vcc
	v_lshlrev_b32_e32 v10, 16, v10
	v_lshlrev_b32_e32 v31, 20, v31
	v_and_b32_e32 v10, 0x80000000, v10
	v_lshl_add_u32 v6, v6, 23, v56
	v_or3_b32 v31, v10, v6, v31
.LBB369_609:                            ;   in Loop: Header=BB369_523 Depth=1
	s_or_b64 exec, exec, s[24:25]
.LBB369_610:                            ;   in Loop: Header=BB369_523 Depth=1
	s_or_b64 exec, exec, s[12:13]
.LBB369_611:                            ;   in Loop: Header=BB369_523 Depth=1
	s_or_b64 exec, exec, s[4:5]
	v_mul_f32_e32 v6, v26, v31
	v_and_b32_e32 v10, 0x7f800000, v6
	v_cmp_ne_u32_e32 vcc, s15, v10
                                        ; implicit-def: $vgpr10
	s_and_saveexec_b64 s[4:5], vcc
	s_xor_b64 s[4:5], exec, s[4:5]
; %bb.612:                              ;   in Loop: Header=BB369_523 Depth=1
	v_bfe_u32 v10, v6, 16, 1
	v_add3_u32 v10, v6, v10, s21
                                        ; implicit-def: $vgpr6
; %bb.613:                              ;   in Loop: Header=BB369_523 Depth=1
	s_andn2_saveexec_b64 s[4:5], s[4:5]
; %bb.614:                              ;   in Loop: Header=BB369_523 Depth=1
	v_or_b32_e32 v10, 0x10000, v6
	v_cmp_eq_u32_sdwa vcc, v6, v11 src0_sel:WORD_0 src1_sel:DWORD
	v_cndmask_b32_e32 v10, v10, v6, vcc
; %bb.615:                              ;   in Loop: Header=BB369_523 Depth=1
	s_or_b64 exec, exec, s[4:5]
	v_lshrrev_b32_e32 v6, 16, v3
	v_cmp_ne_u16_sdwa s[12:13], v6, v11 src0_sel:BYTE_0 src1_sel:DWORD
	v_mov_b32_e32 v31, 0
	s_and_saveexec_b64 s[4:5], s[12:13]
	s_cbranch_execz .LBB369_621
; %bb.616:                              ;   in Loop: Header=BB369_523 Depth=1
	v_cmp_ne_u16_sdwa s[24:25], v6, s28 src0_sel:BYTE_0 src1_sel:DWORD
	v_bfrev_b32_e32 v31, 1
	s_and_saveexec_b64 s[12:13], s[24:25]
	s_cbranch_execz .LBB369_620
; %bb.617:                              ;   in Loop: Header=BB369_523 Depth=1
	v_bfe_u32 v34, v3, 16, 7
	v_cmp_ne_u32_e32 vcc, s29, v34
	v_mov_b32_e32 v31, 0x7f800001
	s_and_saveexec_b64 s[24:25], vcc
	s_cbranch_execz .LBB369_619
; %bb.618:                              ;   in Loop: Header=BB369_523 Depth=1
	v_and_b32_e32 v31, 7, v6
	v_ffbh_u32_e32 v36, v31
	v_min_u32_e32 v38, 32, v36
	v_subrev_u32_e32 v36, 28, v38
	v_lshlrev_b64 v[36:37], v36, v[6:7]
	v_lshrrev_b32_e32 v35, 3, v34
	v_sub_u32_e32 v37, 29, v38
	v_and_b32_e32 v36, 7, v36
	v_cmp_gt_u32_e32 vcc, 8, v34
	v_cndmask_b32_e32 v34, v35, v37, vcc
	v_cndmask_b32_e32 v31, v31, v36, vcc
	v_lshlrev_b32_e32 v6, 24, v6
	v_lshlrev_b32_e32 v31, 20, v31
	v_and_b32_e32 v6, 0x80000000, v6
	v_lshl_add_u32 v34, v34, 23, v56
	v_or3_b32 v31, v6, v34, v31
.LBB369_619:                            ;   in Loop: Header=BB369_523 Depth=1
	s_or_b64 exec, exec, s[24:25]
.LBB369_620:                            ;   in Loop: Header=BB369_523 Depth=1
	s_or_b64 exec, exec, s[12:13]
.LBB369_621:                            ;   in Loop: Header=BB369_523 Depth=1
	s_or_b64 exec, exec, s[4:5]
	v_mul_f32_e32 v6, v26, v31
	v_and_b32_e32 v31, 0x7f800000, v6
	v_cmp_ne_u32_e32 vcc, s15, v31
                                        ; implicit-def: $vgpr31
	s_and_saveexec_b64 s[4:5], vcc
	s_xor_b64 s[4:5], exec, s[4:5]
; %bb.622:                              ;   in Loop: Header=BB369_523 Depth=1
	v_bfe_u32 v31, v6, 16, 1
	v_add3_u32 v31, v6, v31, s21
                                        ; implicit-def: $vgpr6
; %bb.623:                              ;   in Loop: Header=BB369_523 Depth=1
	s_andn2_saveexec_b64 s[4:5], s[4:5]
; %bb.624:                              ;   in Loop: Header=BB369_523 Depth=1
	v_or_b32_e32 v31, 0x10000, v6
	v_cmp_eq_u32_sdwa vcc, v6, v11 src0_sel:WORD_0 src1_sel:DWORD
	v_cndmask_b32_e32 v31, v31, v6, vcc
; %bb.625:                              ;   in Loop: Header=BB369_523 Depth=1
	s_or_b64 exec, exec, s[4:5]
	v_cmp_lt_u64_e32 vcc, s[8:9], v[2:3]
	v_mov_b32_e32 v6, 0
	s_and_saveexec_b64 s[4:5], vcc
	s_cbranch_execz .LBB369_631
; %bb.626:                              ;   in Loop: Header=BB369_523 Depth=1
	v_lshrrev_b32_e32 v2, 24, v3
	v_cmp_ne_u32_e32 vcc, s28, v2
	v_bfrev_b32_e32 v6, 1
	s_and_saveexec_b64 s[12:13], vcc
	s_cbranch_execz .LBB369_630
; %bb.627:                              ;   in Loop: Header=BB369_523 Depth=1
	v_bfe_u32 v3, v3, 24, 7
	v_cmp_ne_u32_e32 vcc, s29, v3
	v_mov_b32_e32 v6, 0x7f800001
	s_and_saveexec_b64 s[24:25], vcc
	s_cbranch_execz .LBB369_629
; %bb.628:                              ;   in Loop: Header=BB369_523 Depth=1
	v_and_b32_e32 v6, 7, v2
	v_ffbh_u32_e32 v34, v6
	v_min_u32_e32 v37, 32, v34
	v_subrev_u32_e32 v34, 28, v37
	v_lshlrev_b64 v[34:35], v34, v[2:3]
	v_lshrrev_b32_e32 v36, 3, v3
	v_sub_u32_e32 v35, 29, v37
	v_and_b32_e32 v34, 7, v34
	v_cmp_gt_u32_e32 vcc, 8, v3
	v_cndmask_b32_e32 v3, v36, v35, vcc
	v_cndmask_b32_e32 v6, v6, v34, vcc
	v_lshlrev_b32_e32 v2, 24, v2
	v_lshlrev_b32_e32 v6, 20, v6
	v_and_b32_e32 v2, 0x80000000, v2
	v_lshl_add_u32 v3, v3, 23, v56
	v_or3_b32 v6, v2, v3, v6
.LBB369_629:                            ;   in Loop: Header=BB369_523 Depth=1
	s_or_b64 exec, exec, s[24:25]
.LBB369_630:                            ;   in Loop: Header=BB369_523 Depth=1
	s_or_b64 exec, exec, s[12:13]
.LBB369_631:                            ;   in Loop: Header=BB369_523 Depth=1
	s_or_b64 exec, exec, s[4:5]
	v_mul_f32_e32 v3, v26, v6
	v_and_b32_e32 v2, 0x7f800000, v3
	v_cmp_ne_u32_e32 vcc, s15, v2
                                        ; implicit-def: $vgpr2
	s_and_saveexec_b64 s[4:5], vcc
	s_xor_b64 s[4:5], exec, s[4:5]
; %bb.632:                              ;   in Loop: Header=BB369_523 Depth=1
	v_bfe_u32 v2, v3, 16, 1
	v_add3_u32 v2, v3, v2, s21
                                        ; implicit-def: $vgpr3
; %bb.633:                              ;   in Loop: Header=BB369_523 Depth=1
	s_andn2_saveexec_b64 s[4:5], s[4:5]
; %bb.634:                              ;   in Loop: Header=BB369_523 Depth=1
	v_or_b32_e32 v2, 0x10000, v3
	v_cmp_eq_u32_sdwa vcc, v3, v11 src0_sel:WORD_0 src1_sel:DWORD
	v_cndmask_b32_e32 v2, v2, v3, vcc
; %bb.635:                              ;   in Loop: Header=BB369_523 Depth=1
	s_or_b64 exec, exec, s[4:5]
	v_lshrrev_b32_e32 v6, 16, v10
	v_lshrrev_b32_e32 v10, 16, v30
	v_add_u32_e32 v30, -6, v17
	v_accvgpr_write_b32 a25, v30
	v_add_u32_e32 v30, -5, v17
	v_accvgpr_write_b32 a24, v30
	;; [unrolled: 2-line block ×4, first 2 shown]
	v_add_u32_e32 v30, -2, v17
	v_accvgpr_read_b32 v3, a8
	v_add_u32_e32 v34, -7, v17
	v_accvgpr_write_b32 a21, v30
	v_add_u32_e32 v30, -1, v17
	v_cmp_eq_u32_e32 vcc, v3, v16
	v_lshrrev_b32_e32 v29, 16, v29
	v_lshrrev_b32_e32 v28, 16, v28
	;; [unrolled: 1-line block ×5, first 2 shown]
	v_mov_b32_e32 v31, v34
	v_lshrrev_b32_e32 v2, 16, v2
	v_accvgpr_write_b32 a20, v30
	s_and_saveexec_b64 s[12:13], vcc
	s_cbranch_execz .LBB369_637
; %bb.636:                              ;   in Loop: Header=BB369_523 Depth=1
	v_cmp_lt_i32_e64 s[4:5], v31, v32
	v_accvgpr_read_b32 v30, a25
	v_cndmask_b32_e64 v9, 0, v9, s[4:5]
	v_cmp_lt_i32_e64 s[4:5], v30, v32
	v_accvgpr_read_b32 v30, a24
	v_cndmask_b32_e64 v27, 0, v27, s[4:5]
	;; [unrolled: 3-line block ×6, first 2 shown]
	v_cmp_lt_i32_e64 s[4:5], v30, v32
	v_cndmask_b32_e64 v3, 0, v3, s[4:5]
	v_cmp_lt_i32_e64 s[4:5], v17, v32
	v_cndmask_b32_e64 v2, 0, v2, s[4:5]
.LBB369_637:                            ;   in Loop: Header=BB369_523 Depth=1
	s_or_b64 exec, exec, s[12:13]
	v_and_b32_e32 v55, 0xffff0000, v25
	v_lshlrev_b32_e32 v9, 16, v9
	v_mul_f32_e32 v9, v55, v9
	v_and_b32_e32 v25, 0x7f800000, v9
	v_cmp_ne_u32_e64 s[4:5], s15, v25
                                        ; implicit-def: $vgpr57
	s_and_saveexec_b64 s[12:13], s[4:5]
	s_xor_b64 s[4:5], exec, s[12:13]
; %bb.638:                              ;   in Loop: Header=BB369_523 Depth=1
	v_bfe_u32 v25, v9, 16, 1
	v_add3_u32 v57, v9, v25, s21
                                        ; implicit-def: $vgpr9
; %bb.639:                              ;   in Loop: Header=BB369_523 Depth=1
	s_andn2_saveexec_b64 s[12:13], s[4:5]
; %bb.640:                              ;   in Loop: Header=BB369_523 Depth=1
	v_or_b32_e32 v25, 0x10000, v9
	v_cmp_eq_u32_sdwa s[4:5], v9, v11 src0_sel:WORD_0 src1_sel:DWORD
	v_cndmask_b32_e64 v57, v25, v9, s[4:5]
; %bb.641:                              ;   in Loop: Header=BB369_523 Depth=1
	s_or_b64 exec, exec, s[12:13]
	v_and_b32_e32 v40, 0xffff0000, v24
	v_lshlrev_b32_e32 v9, 16, v27
	v_mul_f32_e32 v9, v40, v9
	v_and_b32_e32 v24, 0x7f800000, v9
	v_cmp_ne_u32_e64 s[4:5], s15, v24
                                        ; implicit-def: $agpr12
	s_and_saveexec_b64 s[12:13], s[4:5]
	s_xor_b64 s[4:5], exec, s[12:13]
; %bb.642:                              ;   in Loop: Header=BB369_523 Depth=1
	v_bfe_u32 v24, v9, 16, 1
	v_add3_u32 v9, v9, v24, s21
	v_accvgpr_write_b32 a12, v9
                                        ; implicit-def: $vgpr9
; %bb.643:                              ;   in Loop: Header=BB369_523 Depth=1
	s_andn2_saveexec_b64 s[12:13], s[4:5]
; %bb.644:                              ;   in Loop: Header=BB369_523 Depth=1
	v_or_b32_e32 v24, 0x10000, v9
	v_cmp_eq_u32_sdwa s[4:5], v9, v11 src0_sel:WORD_0 src1_sel:DWORD
	v_cndmask_b32_e64 v9, v24, v9, s[4:5]
	v_accvgpr_write_b32 a12, v9
; %bb.645:                              ;   in Loop: Header=BB369_523 Depth=1
	s_or_b64 exec, exec, s[12:13]
	v_and_b32_e32 v41, 0xffff0000, v23
	v_lshlrev_b32_e32 v9, 16, v28
	v_mul_f32_e32 v9, v41, v9
	v_and_b32_e32 v23, 0x7f800000, v9
	v_cmp_ne_u32_e64 s[4:5], s15, v23
                                        ; implicit-def: $agpr13
	s_and_saveexec_b64 s[12:13], s[4:5]
	s_xor_b64 s[4:5], exec, s[12:13]
; %bb.646:                              ;   in Loop: Header=BB369_523 Depth=1
	v_bfe_u32 v23, v9, 16, 1
	v_add3_u32 v9, v9, v23, s21
	v_accvgpr_write_b32 a13, v9
                                        ; implicit-def: $vgpr9
; %bb.647:                              ;   in Loop: Header=BB369_523 Depth=1
	s_andn2_saveexec_b64 s[12:13], s[4:5]
; %bb.648:                              ;   in Loop: Header=BB369_523 Depth=1
	v_or_b32_e32 v23, 0x10000, v9
	v_cmp_eq_u32_sdwa s[4:5], v9, v11 src0_sel:WORD_0 src1_sel:DWORD
	v_cndmask_b32_e64 v9, v23, v9, s[4:5]
	v_accvgpr_write_b32 a13, v9
; %bb.649:                              ;   in Loop: Header=BB369_523 Depth=1
	s_or_b64 exec, exec, s[12:13]
	v_and_b32_e32 v42, 0xffff0000, v22
	v_lshlrev_b32_e32 v9, 16, v29
	v_mul_f32_e32 v9, v42, v9
	v_and_b32_e32 v22, 0x7f800000, v9
	v_cmp_ne_u32_e64 s[4:5], s15, v22
                                        ; implicit-def: $agpr14
	s_and_saveexec_b64 s[12:13], s[4:5]
	s_xor_b64 s[4:5], exec, s[12:13]
; %bb.650:                              ;   in Loop: Header=BB369_523 Depth=1
	v_bfe_u32 v22, v9, 16, 1
	v_add3_u32 v9, v9, v22, s21
	v_accvgpr_write_b32 a14, v9
                                        ; implicit-def: $vgpr9
; %bb.651:                              ;   in Loop: Header=BB369_523 Depth=1
	s_andn2_saveexec_b64 s[12:13], s[4:5]
; %bb.652:                              ;   in Loop: Header=BB369_523 Depth=1
	v_or_b32_e32 v22, 0x10000, v9
	v_cmp_eq_u32_sdwa s[4:5], v9, v11 src0_sel:WORD_0 src1_sel:DWORD
	v_cndmask_b32_e64 v9, v22, v9, s[4:5]
	v_accvgpr_write_b32 a14, v9
; %bb.653:                              ;   in Loop: Header=BB369_523 Depth=1
	s_or_b64 exec, exec, s[12:13]
	v_and_b32_e32 v43, 0xffff0000, v8
	v_lshlrev_b32_e32 v8, 16, v10
	v_mul_f32_e32 v8, v43, v8
	v_and_b32_e32 v9, 0x7f800000, v8
	v_cmp_ne_u32_e64 s[4:5], s15, v9
                                        ; implicit-def: $agpr15
	s_and_saveexec_b64 s[12:13], s[4:5]
	s_xor_b64 s[4:5], exec, s[12:13]
; %bb.654:                              ;   in Loop: Header=BB369_523 Depth=1
	v_bfe_u32 v9, v8, 16, 1
	v_add3_u32 v8, v8, v9, s21
	v_accvgpr_write_b32 a15, v8
                                        ; implicit-def: $vgpr8
; %bb.655:                              ;   in Loop: Header=BB369_523 Depth=1
	s_andn2_saveexec_b64 s[12:13], s[4:5]
; %bb.656:                              ;   in Loop: Header=BB369_523 Depth=1
	v_or_b32_e32 v9, 0x10000, v8
	v_cmp_eq_u32_sdwa s[4:5], v8, v11 src0_sel:WORD_0 src1_sel:DWORD
	v_cndmask_b32_e64 v8, v9, v8, s[4:5]
	v_accvgpr_write_b32 a15, v8
; %bb.657:                              ;   in Loop: Header=BB369_523 Depth=1
	s_or_b64 exec, exec, s[12:13]
	v_and_b32_e32 v44, 0xffff0000, v7
	v_lshlrev_b32_e32 v6, 16, v6
	v_mul_f32_e32 v6, v44, v6
	v_and_b32_e32 v7, 0x7f800000, v6
	v_cmp_ne_u32_e64 s[4:5], s15, v7
                                        ; implicit-def: $agpr16
	s_and_saveexec_b64 s[12:13], s[4:5]
	s_xor_b64 s[4:5], exec, s[12:13]
; %bb.658:                              ;   in Loop: Header=BB369_523 Depth=1
	v_bfe_u32 v7, v6, 16, 1
	v_add3_u32 v6, v6, v7, s21
	v_accvgpr_write_b32 a16, v6
                                        ; implicit-def: $vgpr6
; %bb.659:                              ;   in Loop: Header=BB369_523 Depth=1
	s_andn2_saveexec_b64 s[12:13], s[4:5]
; %bb.660:                              ;   in Loop: Header=BB369_523 Depth=1
	v_or_b32_e32 v7, 0x10000, v6
	v_cmp_eq_u32_sdwa s[4:5], v6, v11 src0_sel:WORD_0 src1_sel:DWORD
	v_cndmask_b32_e64 v6, v7, v6, s[4:5]
	v_accvgpr_write_b32 a16, v6
; %bb.661:                              ;   in Loop: Header=BB369_523 Depth=1
	s_or_b64 exec, exec, s[12:13]
	v_and_b32_e32 v45, 0xffff0000, v5
	v_lshlrev_b32_e32 v3, 16, v3
	v_mul_f32_e32 v3, v45, v3
	v_and_b32_e32 v5, 0x7f800000, v3
	v_cmp_ne_u32_e64 s[4:5], s15, v5
                                        ; implicit-def: $agpr17
	s_and_saveexec_b64 s[12:13], s[4:5]
	s_xor_b64 s[4:5], exec, s[12:13]
; %bb.662:                              ;   in Loop: Header=BB369_523 Depth=1
	v_bfe_u32 v5, v3, 16, 1
	v_add3_u32 v3, v3, v5, s21
	v_accvgpr_write_b32 a17, v3
                                        ; implicit-def: $vgpr3
; %bb.663:                              ;   in Loop: Header=BB369_523 Depth=1
	s_andn2_saveexec_b64 s[12:13], s[4:5]
; %bb.664:                              ;   in Loop: Header=BB369_523 Depth=1
	v_or_b32_e32 v5, 0x10000, v3
	v_cmp_eq_u32_sdwa s[4:5], v3, v11 src0_sel:WORD_0 src1_sel:DWORD
	v_cndmask_b32_e64 v3, v5, v3, s[4:5]
	v_accvgpr_write_b32 a17, v3
; %bb.665:                              ;   in Loop: Header=BB369_523 Depth=1
	s_or_b64 exec, exec, s[12:13]
	v_and_b32_e32 v46, 0xffff0000, v4
	v_lshlrev_b32_e32 v2, 16, v2
	v_mul_f32_e32 v2, v46, v2
	v_and_b32_e32 v3, 0x7f800000, v2
	v_cmp_ne_u32_e64 s[4:5], s15, v3
                                        ; implicit-def: $agpr18
	s_and_saveexec_b64 s[12:13], s[4:5]
	s_xor_b64 s[4:5], exec, s[12:13]
; %bb.666:                              ;   in Loop: Header=BB369_523 Depth=1
	v_bfe_u32 v3, v2, 16, 1
	v_add3_u32 v2, v2, v3, s21
	v_accvgpr_write_b32 a18, v2
                                        ; implicit-def: $vgpr2
; %bb.667:                              ;   in Loop: Header=BB369_523 Depth=1
	s_andn2_saveexec_b64 s[12:13], s[4:5]
; %bb.668:                              ;   in Loop: Header=BB369_523 Depth=1
	v_or_b32_e32 v3, 0x10000, v2
	v_cmp_eq_u32_sdwa s[4:5], v2, v11 src0_sel:WORD_0 src1_sel:DWORD
	v_cndmask_b32_e64 v2, v3, v2, s[4:5]
	v_accvgpr_write_b32 a18, v2
; %bb.669:                              ;   in Loop: Header=BB369_523 Depth=1
	s_or_b64 exec, exec, s[12:13]
	flat_load_dwordx2 v[2:3], v[0:1] offset:512
	v_mov_b32_e32 v4, 0
	s_waitcnt vmcnt(0) lgkmcnt(0)
	v_cmp_ne_u16_sdwa s[4:5], v2, v11 src0_sel:BYTE_0 src1_sel:DWORD
	s_and_saveexec_b64 s[12:13], s[4:5]
	s_cbranch_execz .LBB369_675
; %bb.670:                              ;   in Loop: Header=BB369_523 Depth=1
	v_cmp_ne_u16_sdwa s[4:5], v2, s28 src0_sel:BYTE_0 src1_sel:DWORD
	v_bfrev_b32_e32 v4, 1
	s_and_saveexec_b64 s[24:25], s[4:5]
	s_cbranch_execz .LBB369_674
; %bb.671:                              ;   in Loop: Header=BB369_523 Depth=1
	v_and_b32_e32 v5, 0x7f, v2
	v_cmp_ne_u32_e64 s[4:5], s29, v5
	v_mov_b32_e32 v4, 0x7f800001
	s_and_saveexec_b64 s[26:27], s[4:5]
	s_cbranch_execz .LBB369_673
; %bb.672:                              ;   in Loop: Header=BB369_523 Depth=1
	v_and_b32_e32 v4, 7, v2
	v_ffbh_u32_e32 v4, v4
	v_min_u32_e32 v4, 32, v4
	v_lshrrev_b32_e32 v6, 3, v5
	v_subrev_u32_e32 v7, 28, v4
	v_sub_u32_e32 v4, 29, v4
	v_cmp_gt_u32_e64 s[4:5], 8, v5
	v_cndmask_b32_e64 v6, v6, v4, s[4:5]
	v_cndmask_b32_e64 v4, 0, v7, s[4:5]
	v_lshlrev_b64 v[4:5], v4, v[2:3]
	v_lshlrev_b32_e32 v4, 20, v4
	v_lshlrev_b32_e32 v5, 24, v2
	v_and_b32_e32 v4, 0x700000, v4
	v_and_b32_e32 v5, 0x80000000, v5
	v_lshl_add_u32 v6, v6, 23, v56
	v_or3_b32 v4, v5, v6, v4
.LBB369_673:                            ;   in Loop: Header=BB369_523 Depth=1
	s_or_b64 exec, exec, s[26:27]
.LBB369_674:                            ;   in Loop: Header=BB369_523 Depth=1
	s_or_b64 exec, exec, s[24:25]
.LBB369_675:                            ;   in Loop: Header=BB369_523 Depth=1
	s_or_b64 exec, exec, s[12:13]
	v_mul_f32_e32 v5, v26, v4
	v_and_b32_e32 v4, 0x7f800000, v5
	v_cmp_ne_u32_e64 s[4:5], s15, v4
                                        ; implicit-def: $vgpr4
	s_and_saveexec_b64 s[12:13], s[4:5]
	s_xor_b64 s[4:5], exec, s[12:13]
; %bb.676:                              ;   in Loop: Header=BB369_523 Depth=1
	v_bfe_u32 v4, v5, 16, 1
	v_add3_u32 v4, v5, v4, s21
                                        ; implicit-def: $vgpr5
; %bb.677:                              ;   in Loop: Header=BB369_523 Depth=1
	s_andn2_saveexec_b64 s[12:13], s[4:5]
; %bb.678:                              ;   in Loop: Header=BB369_523 Depth=1
	v_or_b32_e32 v4, 0x10000, v5
	v_cmp_eq_u32_sdwa s[4:5], v5, v11 src0_sel:WORD_0 src1_sel:DWORD
	v_cndmask_b32_e64 v4, v4, v5, s[4:5]
; %bb.679:                              ;   in Loop: Header=BB369_523 Depth=1
	s_or_b64 exec, exec, s[12:13]
	v_lshrrev_b16_e32 v6, 8, v2
	v_cmp_ne_u16_e64 s[4:5], 0, v6
	v_mov_b32_e32 v5, 0
	s_and_saveexec_b64 s[12:13], s[4:5]
	s_cbranch_execz .LBB369_685
; %bb.680:                              ;   in Loop: Header=BB369_523 Depth=1
	v_cmp_ne_u16_e64 s[4:5], s28, v6
	v_bfrev_b32_e32 v5, 1
	s_and_saveexec_b64 s[24:25], s[4:5]
	s_cbranch_execz .LBB369_684
; %bb.681:                              ;   in Loop: Header=BB369_523 Depth=1
	v_and_b32_e32 v7, 0x7f, v6
	v_cmp_ne_u32_e64 s[4:5], s29, v7
	v_mov_b32_e32 v5, 0x7f800001
	s_and_saveexec_b64 s[26:27], s[4:5]
	s_cbranch_execz .LBB369_683
; %bb.682:                              ;   in Loop: Header=BB369_523 Depth=1
	v_and_b32_e32 v5, 7, v6
	v_ffbh_u32_e32 v8, v5
	v_min_u32_e32 v22, 32, v8
	v_subrev_u32_e32 v8, 28, v22
	v_lshlrev_b64 v[8:9], v8, v[6:7]
	v_lshrrev_b32_e32 v10, 3, v7
	v_sub_u32_e32 v6, 29, v22
	v_and_b32_e32 v8, 7, v8
	v_cmp_gt_u32_e64 s[4:5], 8, v7
	v_cndmask_b32_e64 v6, v10, v6, s[4:5]
	v_cndmask_b32_e64 v5, v5, v8, s[4:5]
	v_lshlrev_b32_e32 v7, 16, v2
	v_lshlrev_b32_e32 v5, 20, v5
	v_and_b32_e32 v7, 0x80000000, v7
	v_lshl_add_u32 v6, v6, 23, v56
	v_or3_b32 v5, v7, v6, v5
.LBB369_683:                            ;   in Loop: Header=BB369_523 Depth=1
	s_or_b64 exec, exec, s[26:27]
.LBB369_684:                            ;   in Loop: Header=BB369_523 Depth=1
	s_or_b64 exec, exec, s[24:25]
.LBB369_685:                            ;   in Loop: Header=BB369_523 Depth=1
	s_or_b64 exec, exec, s[12:13]
	v_mul_f32_e32 v6, v26, v5
	v_and_b32_e32 v5, 0x7f800000, v6
	v_cmp_ne_u32_e64 s[4:5], s15, v5
                                        ; implicit-def: $vgpr5
	s_and_saveexec_b64 s[12:13], s[4:5]
	s_xor_b64 s[4:5], exec, s[12:13]
; %bb.686:                              ;   in Loop: Header=BB369_523 Depth=1
	v_bfe_u32 v5, v6, 16, 1
	v_add3_u32 v5, v6, v5, s21
                                        ; implicit-def: $vgpr6
; %bb.687:                              ;   in Loop: Header=BB369_523 Depth=1
	s_andn2_saveexec_b64 s[12:13], s[4:5]
; %bb.688:                              ;   in Loop: Header=BB369_523 Depth=1
	v_or_b32_e32 v5, 0x10000, v6
	v_cmp_eq_u32_sdwa s[4:5], v6, v11 src0_sel:WORD_0 src1_sel:DWORD
	v_cndmask_b32_e64 v5, v5, v6, s[4:5]
; %bb.689:                              ;   in Loop: Header=BB369_523 Depth=1
	s_or_b64 exec, exec, s[12:13]
	v_lshrrev_b32_e32 v6, 16, v2
	v_cmp_ne_u16_sdwa s[4:5], v6, v11 src0_sel:BYTE_0 src1_sel:DWORD
	v_mov_b32_e32 v7, 0
	s_and_saveexec_b64 s[12:13], s[4:5]
	s_cbranch_execz .LBB369_695
; %bb.690:                              ;   in Loop: Header=BB369_523 Depth=1
	v_cmp_ne_u16_sdwa s[4:5], v6, s28 src0_sel:BYTE_0 src1_sel:DWORD
	v_bfrev_b32_e32 v7, 1
	s_and_saveexec_b64 s[24:25], s[4:5]
	s_cbranch_execz .LBB369_694
; %bb.691:                              ;   in Loop: Header=BB369_523 Depth=1
	v_bfe_u32 v8, v2, 16, 7
	v_cmp_ne_u32_e64 s[4:5], s29, v8
	v_mov_b32_e32 v7, 0x7f800001
	s_and_saveexec_b64 s[26:27], s[4:5]
	s_cbranch_execz .LBB369_693
; %bb.692:                              ;   in Loop: Header=BB369_523 Depth=1
	v_and_b32_e32 v7, 7, v6
	v_ffbh_u32_e32 v10, v7
	v_min_u32_e32 v10, 32, v10
	v_subrev_u32_e32 v22, 28, v10
	v_lshlrev_b64 v[22:23], v22, v[6:7]
	v_lshrrev_b32_e32 v9, 3, v8
	v_sub_u32_e32 v10, 29, v10
	v_and_b32_e32 v22, 7, v22
	v_cmp_gt_u32_e64 s[4:5], 8, v8
	v_cndmask_b32_e64 v8, v9, v10, s[4:5]
	v_cndmask_b32_e64 v7, v7, v22, s[4:5]
	v_lshlrev_b32_e32 v6, 24, v6
	v_lshlrev_b32_e32 v7, 20, v7
	v_and_b32_e32 v6, 0x80000000, v6
	v_lshl_add_u32 v8, v8, 23, v56
	v_or3_b32 v7, v6, v8, v7
.LBB369_693:                            ;   in Loop: Header=BB369_523 Depth=1
	s_or_b64 exec, exec, s[26:27]
.LBB369_694:                            ;   in Loop: Header=BB369_523 Depth=1
	s_or_b64 exec, exec, s[24:25]
.LBB369_695:                            ;   in Loop: Header=BB369_523 Depth=1
	s_or_b64 exec, exec, s[12:13]
	v_mul_f32_e32 v6, v26, v7
	v_and_b32_e32 v7, 0x7f800000, v6
	v_cmp_ne_u32_e64 s[4:5], s15, v7
                                        ; implicit-def: $vgpr7
	s_and_saveexec_b64 s[12:13], s[4:5]
	s_xor_b64 s[4:5], exec, s[12:13]
; %bb.696:                              ;   in Loop: Header=BB369_523 Depth=1
	v_bfe_u32 v7, v6, 16, 1
	v_add3_u32 v7, v6, v7, s21
                                        ; implicit-def: $vgpr6
; %bb.697:                              ;   in Loop: Header=BB369_523 Depth=1
	s_andn2_saveexec_b64 s[12:13], s[4:5]
; %bb.698:                              ;   in Loop: Header=BB369_523 Depth=1
	v_or_b32_e32 v7, 0x10000, v6
	v_cmp_eq_u32_sdwa s[4:5], v6, v11 src0_sel:WORD_0 src1_sel:DWORD
	v_cndmask_b32_e64 v7, v7, v6, s[4:5]
; %bb.699:                              ;   in Loop: Header=BB369_523 Depth=1
	s_or_b64 exec, exec, s[12:13]
	v_cmp_lt_u32_e64 s[4:5], s9, v2
	v_mov_b32_e32 v8, 0
	s_and_saveexec_b64 s[12:13], s[4:5]
	s_cbranch_execz .LBB369_705
; %bb.700:                              ;   in Loop: Header=BB369_523 Depth=1
	v_lshrrev_b32_e32 v6, 24, v2
	v_cmp_ne_u32_e64 s[4:5], s28, v6
	v_bfrev_b32_e32 v8, 1
	s_and_saveexec_b64 s[24:25], s[4:5]
	s_cbranch_execz .LBB369_704
; %bb.701:                              ;   in Loop: Header=BB369_523 Depth=1
	v_bfe_u32 v9, v2, 24, 7
	v_cmp_ne_u32_e64 s[4:5], s29, v9
	v_mov_b32_e32 v8, 0x7f800001
	s_and_saveexec_b64 s[26:27], s[4:5]
	s_cbranch_execz .LBB369_703
; %bb.702:                              ;   in Loop: Header=BB369_523 Depth=1
	v_and_b32_e32 v8, 7, v6
	v_ffbh_u32_e32 v22, v8
	v_min_u32_e32 v24, 32, v22
	v_subrev_u32_e32 v22, 28, v24
	v_lshlrev_b64 v[22:23], v22, v[6:7]
	v_lshrrev_b32_e32 v10, 3, v9
	v_sub_u32_e32 v23, 29, v24
	v_and_b32_e32 v22, 7, v22
	v_cmp_gt_u32_e64 s[4:5], 8, v9
	v_cndmask_b32_e64 v9, v10, v23, s[4:5]
	v_cndmask_b32_e64 v8, v8, v22, s[4:5]
	v_lshlrev_b32_e32 v6, 24, v6
	v_lshlrev_b32_e32 v8, 20, v8
	v_and_b32_e32 v6, 0x80000000, v6
	v_lshl_add_u32 v9, v9, 23, v56
	v_or3_b32 v8, v6, v9, v8
.LBB369_703:                            ;   in Loop: Header=BB369_523 Depth=1
	s_or_b64 exec, exec, s[26:27]
.LBB369_704:                            ;   in Loop: Header=BB369_523 Depth=1
	s_or_b64 exec, exec, s[24:25]
.LBB369_705:                            ;   in Loop: Header=BB369_523 Depth=1
	s_or_b64 exec, exec, s[12:13]
	v_mul_f32_e32 v6, v26, v8
	v_and_b32_e32 v8, 0x7f800000, v6
	v_cmp_ne_u32_e64 s[4:5], s15, v8
                                        ; implicit-def: $vgpr8
	s_and_saveexec_b64 s[12:13], s[4:5]
	s_xor_b64 s[4:5], exec, s[12:13]
; %bb.706:                              ;   in Loop: Header=BB369_523 Depth=1
	v_bfe_u32 v8, v6, 16, 1
	v_add3_u32 v8, v6, v8, s21
                                        ; implicit-def: $vgpr6
; %bb.707:                              ;   in Loop: Header=BB369_523 Depth=1
	s_andn2_saveexec_b64 s[12:13], s[4:5]
; %bb.708:                              ;   in Loop: Header=BB369_523 Depth=1
	v_or_b32_e32 v8, 0x10000, v6
	v_cmp_eq_u32_sdwa s[4:5], v6, v11 src0_sel:WORD_0 src1_sel:DWORD
	v_cndmask_b32_e64 v8, v8, v6, s[4:5]
; %bb.709:                              ;   in Loop: Header=BB369_523 Depth=1
	s_or_b64 exec, exec, s[12:13]
	v_mov_b32_e32 v10, v3
	v_cmp_ne_u16_sdwa s[4:5], v3, v11 src0_sel:BYTE_0 src1_sel:DWORD
	v_mov_b32_e32 v6, 0
	s_and_saveexec_b64 s[12:13], s[4:5]
	s_cbranch_execz .LBB369_715
; %bb.710:                              ;   in Loop: Header=BB369_523 Depth=1
	v_cmp_ne_u16_sdwa s[4:5], v3, s28 src0_sel:BYTE_0 src1_sel:DWORD
	v_bfrev_b32_e32 v6, 1
	s_and_saveexec_b64 s[24:25], s[4:5]
	s_cbranch_execz .LBB369_714
; %bb.711:                              ;   in Loop: Header=BB369_523 Depth=1
	v_and_b32_e32 v9, 0x7f, v3
	v_cmp_ne_u32_e64 s[4:5], s29, v9
	v_mov_b32_e32 v6, 0x7f800001
	s_and_saveexec_b64 s[26:27], s[4:5]
	s_cbranch_execz .LBB369_713
; %bb.712:                              ;   in Loop: Header=BB369_523 Depth=1
	v_and_b32_e32 v6, 7, v3
	v_ffbh_u32_e32 v6, v6
	v_min_u32_e32 v6, 32, v6
	v_subrev_u32_e32 v23, 28, v6
	v_cmp_gt_u32_e64 s[4:5], 8, v9
	v_lshrrev_b32_e32 v22, 3, v9
	v_sub_u32_e32 v6, 29, v6
	v_cndmask_b32_e64 v9, 0, v23, s[4:5]
	v_cndmask_b32_e64 v6, v22, v6, s[4:5]
	v_lshlrev_b64 v[22:23], v9, v[10:11]
	v_lshlrev_b32_e32 v9, 20, v22
	v_lshlrev_b32_e32 v22, 24, v10
	v_and_b32_e32 v9, 0x700000, v9
	v_and_b32_e32 v22, 0x80000000, v22
	v_lshl_add_u32 v6, v6, 23, v56
	v_or3_b32 v6, v22, v6, v9
.LBB369_713:                            ;   in Loop: Header=BB369_523 Depth=1
	s_or_b64 exec, exec, s[26:27]
.LBB369_714:                            ;   in Loop: Header=BB369_523 Depth=1
	s_or_b64 exec, exec, s[24:25]
.LBB369_715:                            ;   in Loop: Header=BB369_523 Depth=1
	s_or_b64 exec, exec, s[12:13]
	v_mul_f32_e32 v6, v26, v6
	v_and_b32_e32 v9, 0x7f800000, v6
	v_cmp_ne_u32_e64 s[4:5], s15, v9
                                        ; implicit-def: $vgpr9
	s_and_saveexec_b64 s[12:13], s[4:5]
	s_xor_b64 s[4:5], exec, s[12:13]
; %bb.716:                              ;   in Loop: Header=BB369_523 Depth=1
	v_bfe_u32 v9, v6, 16, 1
	v_add3_u32 v9, v6, v9, s21
                                        ; implicit-def: $vgpr6
; %bb.717:                              ;   in Loop: Header=BB369_523 Depth=1
	s_andn2_saveexec_b64 s[12:13], s[4:5]
; %bb.718:                              ;   in Loop: Header=BB369_523 Depth=1
	v_or_b32_e32 v9, 0x10000, v6
	v_cmp_eq_u32_sdwa s[4:5], v6, v11 src0_sel:WORD_0 src1_sel:DWORD
	v_cndmask_b32_e64 v9, v9, v6, s[4:5]
; %bb.719:                              ;   in Loop: Header=BB369_523 Depth=1
	s_or_b64 exec, exec, s[12:13]
	v_lshrrev_b16_e32 v6, 8, v10
	v_cmp_ne_u16_e64 s[4:5], 0, v6
	v_mov_b32_e32 v22, 0
	s_and_saveexec_b64 s[12:13], s[4:5]
	s_cbranch_execz .LBB369_725
; %bb.720:                              ;   in Loop: Header=BB369_523 Depth=1
	v_cmp_ne_u16_e64 s[4:5], s28, v6
	v_bfrev_b32_e32 v22, 1
	s_and_saveexec_b64 s[24:25], s[4:5]
	s_cbranch_execz .LBB369_724
; %bb.721:                              ;   in Loop: Header=BB369_523 Depth=1
	v_and_b32_e32 v23, 0x7f, v6
	v_cmp_ne_u32_e64 s[4:5], s29, v23
	v_mov_b32_e32 v22, 0x7f800001
	s_and_saveexec_b64 s[26:27], s[4:5]
	s_cbranch_execz .LBB369_723
; %bb.722:                              ;   in Loop: Header=BB369_523 Depth=1
	v_and_b32_e32 v22, 7, v6
	v_ffbh_u32_e32 v24, v22
	v_min_u32_e32 v28, 32, v24
	v_subrev_u32_e32 v24, 28, v28
	v_lshlrev_b64 v[24:25], v24, v[6:7]
	v_lshrrev_b32_e32 v27, 3, v23
	v_sub_u32_e32 v6, 29, v28
	v_and_b32_e32 v24, 7, v24
	v_cmp_gt_u32_e64 s[4:5], 8, v23
	v_cndmask_b32_e64 v6, v27, v6, s[4:5]
	v_cndmask_b32_e64 v22, v22, v24, s[4:5]
	v_lshlrev_b32_e32 v10, 16, v10
	v_lshlrev_b32_e32 v22, 20, v22
	v_and_b32_e32 v10, 0x80000000, v10
	v_lshl_add_u32 v6, v6, 23, v56
	v_or3_b32 v22, v10, v6, v22
.LBB369_723:                            ;   in Loop: Header=BB369_523 Depth=1
	s_or_b64 exec, exec, s[26:27]
.LBB369_724:                            ;   in Loop: Header=BB369_523 Depth=1
	s_or_b64 exec, exec, s[24:25]
.LBB369_725:                            ;   in Loop: Header=BB369_523 Depth=1
	s_or_b64 exec, exec, s[12:13]
	v_mul_f32_e32 v6, v26, v22
	v_and_b32_e32 v10, 0x7f800000, v6
	v_cmp_ne_u32_e64 s[4:5], s15, v10
                                        ; implicit-def: $vgpr10
	s_and_saveexec_b64 s[12:13], s[4:5]
	s_xor_b64 s[4:5], exec, s[12:13]
; %bb.726:                              ;   in Loop: Header=BB369_523 Depth=1
	v_bfe_u32 v10, v6, 16, 1
	v_add3_u32 v10, v6, v10, s21
                                        ; implicit-def: $vgpr6
; %bb.727:                              ;   in Loop: Header=BB369_523 Depth=1
	s_andn2_saveexec_b64 s[12:13], s[4:5]
; %bb.728:                              ;   in Loop: Header=BB369_523 Depth=1
	v_or_b32_e32 v10, 0x10000, v6
	v_cmp_eq_u32_sdwa s[4:5], v6, v11 src0_sel:WORD_0 src1_sel:DWORD
	v_cndmask_b32_e64 v10, v10, v6, s[4:5]
; %bb.729:                              ;   in Loop: Header=BB369_523 Depth=1
	s_or_b64 exec, exec, s[12:13]
	v_lshrrev_b32_e32 v6, 16, v3
	v_cmp_ne_u16_sdwa s[4:5], v6, v11 src0_sel:BYTE_0 src1_sel:DWORD
	v_mov_b32_e32 v22, 0
	s_and_saveexec_b64 s[12:13], s[4:5]
	s_cbranch_execz .LBB369_735
; %bb.730:                              ;   in Loop: Header=BB369_523 Depth=1
	v_cmp_ne_u16_sdwa s[4:5], v6, s28 src0_sel:BYTE_0 src1_sel:DWORD
	v_bfrev_b32_e32 v22, 1
	s_and_saveexec_b64 s[24:25], s[4:5]
	s_cbranch_execz .LBB369_734
; %bb.731:                              ;   in Loop: Header=BB369_523 Depth=1
	v_bfe_u32 v23, v3, 16, 7
	v_cmp_ne_u32_e64 s[4:5], s29, v23
	v_mov_b32_e32 v22, 0x7f800001
	s_and_saveexec_b64 s[26:27], s[4:5]
	s_cbranch_execz .LBB369_733
; %bb.732:                              ;   in Loop: Header=BB369_523 Depth=1
	v_and_b32_e32 v22, 7, v6
	v_ffbh_u32_e32 v24, v22
	v_min_u32_e32 v28, 32, v24
	v_subrev_u32_e32 v24, 28, v28
	v_lshlrev_b64 v[24:25], v24, v[6:7]
	v_lshrrev_b32_e32 v27, 3, v23
	v_sub_u32_e32 v25, 29, v28
	v_and_b32_e32 v24, 7, v24
	v_cmp_gt_u32_e64 s[4:5], 8, v23
	v_cndmask_b32_e64 v23, v27, v25, s[4:5]
	v_cndmask_b32_e64 v22, v22, v24, s[4:5]
	v_lshlrev_b32_e32 v6, 24, v6
	v_lshlrev_b32_e32 v22, 20, v22
	v_and_b32_e32 v6, 0x80000000, v6
	v_lshl_add_u32 v23, v23, 23, v56
	v_or3_b32 v22, v6, v23, v22
.LBB369_733:                            ;   in Loop: Header=BB369_523 Depth=1
	s_or_b64 exec, exec, s[26:27]
.LBB369_734:                            ;   in Loop: Header=BB369_523 Depth=1
	s_or_b64 exec, exec, s[24:25]
.LBB369_735:                            ;   in Loop: Header=BB369_523 Depth=1
	s_or_b64 exec, exec, s[12:13]
	v_mul_f32_e32 v6, v26, v22
	v_and_b32_e32 v22, 0x7f800000, v6
	v_cmp_ne_u32_e64 s[4:5], s15, v22
                                        ; implicit-def: $vgpr22
	s_and_saveexec_b64 s[12:13], s[4:5]
	s_xor_b64 s[4:5], exec, s[12:13]
; %bb.736:                              ;   in Loop: Header=BB369_523 Depth=1
	v_bfe_u32 v22, v6, 16, 1
	v_add3_u32 v22, v6, v22, s21
                                        ; implicit-def: $vgpr6
; %bb.737:                              ;   in Loop: Header=BB369_523 Depth=1
	s_andn2_saveexec_b64 s[12:13], s[4:5]
; %bb.738:                              ;   in Loop: Header=BB369_523 Depth=1
	v_or_b32_e32 v22, 0x10000, v6
	v_cmp_eq_u32_sdwa s[4:5], v6, v11 src0_sel:WORD_0 src1_sel:DWORD
	v_cndmask_b32_e64 v22, v22, v6, s[4:5]
; %bb.739:                              ;   in Loop: Header=BB369_523 Depth=1
	s_or_b64 exec, exec, s[12:13]
	v_cmp_lt_u64_e64 s[4:5], s[8:9], v[2:3]
	v_mov_b32_e32 v6, 0
	s_and_saveexec_b64 s[12:13], s[4:5]
	s_cbranch_execz .LBB369_745
; %bb.740:                              ;   in Loop: Header=BB369_523 Depth=1
	v_lshrrev_b32_e32 v2, 24, v3
	v_cmp_ne_u32_e64 s[4:5], s28, v2
	v_bfrev_b32_e32 v6, 1
	s_and_saveexec_b64 s[24:25], s[4:5]
	s_cbranch_execz .LBB369_744
; %bb.741:                              ;   in Loop: Header=BB369_523 Depth=1
	v_bfe_u32 v3, v3, 24, 7
	v_cmp_ne_u32_e64 s[4:5], s29, v3
	v_mov_b32_e32 v6, 0x7f800001
	s_and_saveexec_b64 s[26:27], s[4:5]
	s_cbranch_execz .LBB369_743
; %bb.742:                              ;   in Loop: Header=BB369_523 Depth=1
	v_and_b32_e32 v6, 7, v2
	v_ffbh_u32_e32 v24, v6
	v_min_u32_e32 v27, 32, v24
	v_subrev_u32_e32 v24, 28, v27
	v_lshlrev_b64 v[24:25], v24, v[2:3]
	v_lshrrev_b32_e32 v23, 3, v3
	v_sub_u32_e32 v25, 29, v27
	v_and_b32_e32 v24, 7, v24
	v_cmp_gt_u32_e64 s[4:5], 8, v3
	v_cndmask_b32_e64 v3, v23, v25, s[4:5]
	v_cndmask_b32_e64 v6, v6, v24, s[4:5]
	v_lshlrev_b32_e32 v2, 24, v2
	v_lshlrev_b32_e32 v6, 20, v6
	v_and_b32_e32 v2, 0x80000000, v2
	v_lshl_add_u32 v3, v3, 23, v56
	v_or3_b32 v6, v2, v3, v6
.LBB369_743:                            ;   in Loop: Header=BB369_523 Depth=1
	s_or_b64 exec, exec, s[26:27]
.LBB369_744:                            ;   in Loop: Header=BB369_523 Depth=1
	s_or_b64 exec, exec, s[24:25]
.LBB369_745:                            ;   in Loop: Header=BB369_523 Depth=1
	s_or_b64 exec, exec, s[12:13]
	v_mul_f32_e32 v3, v26, v6
	v_and_b32_e32 v2, 0x7f800000, v3
	v_cmp_ne_u32_e64 s[4:5], s15, v2
                                        ; implicit-def: $vgpr2
	s_and_saveexec_b64 s[12:13], s[4:5]
	s_xor_b64 s[4:5], exec, s[12:13]
; %bb.746:                              ;   in Loop: Header=BB369_523 Depth=1
	v_bfe_u32 v2, v3, 16, 1
	v_add3_u32 v2, v3, v2, s21
                                        ; implicit-def: $vgpr3
; %bb.747:                              ;   in Loop: Header=BB369_523 Depth=1
	s_andn2_saveexec_b64 s[12:13], s[4:5]
; %bb.748:                              ;   in Loop: Header=BB369_523 Depth=1
	v_or_b32_e32 v2, 0x10000, v3
	v_cmp_eq_u32_sdwa s[4:5], v3, v11 src0_sel:WORD_0 src1_sel:DWORD
	v_cndmask_b32_e64 v2, v2, v3, s[4:5]
; %bb.749:                              ;   in Loop: Header=BB369_523 Depth=1
	s_or_b64 exec, exec, s[12:13]
	v_lshrrev_b32_e32 v6, 16, v10
	v_lshrrev_b32_e32 v9, 16, v9
	;; [unrolled: 1-line block ×8, first 2 shown]
	s_and_saveexec_b64 s[12:13], vcc
	s_cbranch_execz .LBB369_751
; %bb.750:                              ;   in Loop: Header=BB369_523 Depth=1
	v_cmp_lt_i32_e64 s[4:5], v31, v32
	v_accvgpr_read_b32 v10, a25
	v_cndmask_b32_e64 v4, 0, v4, s[4:5]
	v_cmp_lt_i32_e64 s[4:5], v10, v32
	v_accvgpr_read_b32 v10, a24
	v_cndmask_b32_e64 v5, 0, v5, s[4:5]
	;; [unrolled: 3-line block ×6, first 2 shown]
	v_cmp_lt_i32_e64 s[4:5], v10, v32
	v_cndmask_b32_e64 v3, 0, v3, s[4:5]
	v_cmp_lt_i32_e64 s[4:5], v17, v32
	v_cndmask_b32_e64 v2, 0, v2, s[4:5]
.LBB369_751:                            ;   in Loop: Header=BB369_523 Depth=1
	s_or_b64 exec, exec, s[12:13]
	v_lshlrev_b32_e32 v4, 16, v4
	v_mul_f32_e32 v4, v55, v4
	v_and_b32_e32 v10, 0x7f800000, v4
	v_cmp_ne_u32_e64 s[4:5], s15, v10
                                        ; implicit-def: $agpr0
	s_and_saveexec_b64 s[12:13], s[4:5]
	s_xor_b64 s[4:5], exec, s[12:13]
; %bb.752:                              ;   in Loop: Header=BB369_523 Depth=1
	v_bfe_u32 v10, v4, 16, 1
	v_add3_u32 v4, v4, v10, s21
	v_accvgpr_write_b32 a0, v4
                                        ; implicit-def: $vgpr4
; %bb.753:                              ;   in Loop: Header=BB369_523 Depth=1
	s_andn2_saveexec_b64 s[12:13], s[4:5]
; %bb.754:                              ;   in Loop: Header=BB369_523 Depth=1
	v_or_b32_e32 v10, 0x10000, v4
	v_cmp_eq_u32_sdwa s[4:5], v4, v11 src0_sel:WORD_0 src1_sel:DWORD
	v_cndmask_b32_e64 v4, v10, v4, s[4:5]
	v_accvgpr_write_b32 a0, v4
; %bb.755:                              ;   in Loop: Header=BB369_523 Depth=1
	s_or_b64 exec, exec, s[12:13]
	v_lshlrev_b32_e32 v4, 16, v5
	v_mul_f32_e32 v4, v40, v4
	v_and_b32_e32 v5, 0x7f800000, v4
	v_cmp_ne_u32_e64 s[4:5], s15, v5
                                        ; implicit-def: $agpr1
	s_and_saveexec_b64 s[12:13], s[4:5]
	s_xor_b64 s[4:5], exec, s[12:13]
; %bb.756:                              ;   in Loop: Header=BB369_523 Depth=1
	v_bfe_u32 v5, v4, 16, 1
	v_add3_u32 v4, v4, v5, s21
	v_accvgpr_write_b32 a1, v4
                                        ; implicit-def: $vgpr4
; %bb.757:                              ;   in Loop: Header=BB369_523 Depth=1
	s_andn2_saveexec_b64 s[12:13], s[4:5]
; %bb.758:                              ;   in Loop: Header=BB369_523 Depth=1
	v_or_b32_e32 v5, 0x10000, v4
	v_cmp_eq_u32_sdwa s[4:5], v4, v11 src0_sel:WORD_0 src1_sel:DWORD
	v_cndmask_b32_e64 v4, v5, v4, s[4:5]
	v_accvgpr_write_b32 a1, v4
; %bb.759:                              ;   in Loop: Header=BB369_523 Depth=1
	s_or_b64 exec, exec, s[12:13]
	v_lshlrev_b32_e32 v4, 16, v7
	v_mul_f32_e32 v4, v41, v4
	v_and_b32_e32 v5, 0x7f800000, v4
	v_cmp_ne_u32_e64 s[4:5], s15, v5
                                        ; implicit-def: $agpr2
	s_and_saveexec_b64 s[12:13], s[4:5]
	s_xor_b64 s[4:5], exec, s[12:13]
; %bb.760:                              ;   in Loop: Header=BB369_523 Depth=1
	v_bfe_u32 v5, v4, 16, 1
	v_add3_u32 v4, v4, v5, s21
	v_accvgpr_write_b32 a2, v4
                                        ; implicit-def: $vgpr4
; %bb.761:                              ;   in Loop: Header=BB369_523 Depth=1
	s_andn2_saveexec_b64 s[12:13], s[4:5]
; %bb.762:                              ;   in Loop: Header=BB369_523 Depth=1
	v_or_b32_e32 v5, 0x10000, v4
	v_cmp_eq_u32_sdwa s[4:5], v4, v11 src0_sel:WORD_0 src1_sel:DWORD
	v_cndmask_b32_e64 v4, v5, v4, s[4:5]
	v_accvgpr_write_b32 a2, v4
; %bb.763:                              ;   in Loop: Header=BB369_523 Depth=1
	s_or_b64 exec, exec, s[12:13]
	v_lshlrev_b32_e32 v4, 16, v8
	v_mul_f32_e32 v4, v42, v4
	v_and_b32_e32 v5, 0x7f800000, v4
	v_cmp_ne_u32_e64 s[4:5], s15, v5
                                        ; implicit-def: $agpr26
	s_and_saveexec_b64 s[12:13], s[4:5]
	s_xor_b64 s[4:5], exec, s[12:13]
; %bb.764:                              ;   in Loop: Header=BB369_523 Depth=1
	v_bfe_u32 v5, v4, 16, 1
	v_add3_u32 v4, v4, v5, s21
	v_accvgpr_write_b32 a26, v4
                                        ; implicit-def: $vgpr4
; %bb.765:                              ;   in Loop: Header=BB369_523 Depth=1
	s_andn2_saveexec_b64 s[12:13], s[4:5]
; %bb.766:                              ;   in Loop: Header=BB369_523 Depth=1
	v_or_b32_e32 v5, 0x10000, v4
	v_cmp_eq_u32_sdwa s[4:5], v4, v11 src0_sel:WORD_0 src1_sel:DWORD
	v_cndmask_b32_e64 v4, v5, v4, s[4:5]
	v_accvgpr_write_b32 a26, v4
; %bb.767:                              ;   in Loop: Header=BB369_523 Depth=1
	s_or_b64 exec, exec, s[12:13]
	v_lshlrev_b32_e32 v4, 16, v9
	v_mul_f32_e32 v4, v43, v4
	v_and_b32_e32 v5, 0x7f800000, v4
	v_cmp_ne_u32_e64 s[4:5], s15, v5
                                        ; implicit-def: $agpr27
	s_and_saveexec_b64 s[12:13], s[4:5]
	s_xor_b64 s[4:5], exec, s[12:13]
; %bb.768:                              ;   in Loop: Header=BB369_523 Depth=1
	v_bfe_u32 v5, v4, 16, 1
	v_add3_u32 v4, v4, v5, s21
	v_accvgpr_write_b32 a27, v4
                                        ; implicit-def: $vgpr4
; %bb.769:                              ;   in Loop: Header=BB369_523 Depth=1
	s_andn2_saveexec_b64 s[12:13], s[4:5]
; %bb.770:                              ;   in Loop: Header=BB369_523 Depth=1
	v_or_b32_e32 v5, 0x10000, v4
	v_cmp_eq_u32_sdwa s[4:5], v4, v11 src0_sel:WORD_0 src1_sel:DWORD
	v_cndmask_b32_e64 v4, v5, v4, s[4:5]
	v_accvgpr_write_b32 a27, v4
; %bb.771:                              ;   in Loop: Header=BB369_523 Depth=1
	s_or_b64 exec, exec, s[12:13]
	v_lshlrev_b32_e32 v4, 16, v6
	v_mul_f32_e32 v4, v44, v4
	v_and_b32_e32 v5, 0x7f800000, v4
	v_cmp_ne_u32_e64 s[4:5], s15, v5
                                        ; implicit-def: $agpr28
	s_and_saveexec_b64 s[12:13], s[4:5]
	s_xor_b64 s[4:5], exec, s[12:13]
; %bb.772:                              ;   in Loop: Header=BB369_523 Depth=1
	v_bfe_u32 v5, v4, 16, 1
	v_add3_u32 v4, v4, v5, s21
	v_accvgpr_write_b32 a28, v4
                                        ; implicit-def: $vgpr4
; %bb.773:                              ;   in Loop: Header=BB369_523 Depth=1
	s_andn2_saveexec_b64 s[12:13], s[4:5]
; %bb.774:                              ;   in Loop: Header=BB369_523 Depth=1
	v_or_b32_e32 v5, 0x10000, v4
	v_cmp_eq_u32_sdwa s[4:5], v4, v11 src0_sel:WORD_0 src1_sel:DWORD
	v_cndmask_b32_e64 v4, v5, v4, s[4:5]
	v_accvgpr_write_b32 a28, v4
; %bb.775:                              ;   in Loop: Header=BB369_523 Depth=1
	s_or_b64 exec, exec, s[12:13]
	v_lshlrev_b32_e32 v3, 16, v3
	v_mul_f32_e32 v3, v45, v3
	v_and_b32_e32 v4, 0x7f800000, v3
	v_cmp_ne_u32_e64 s[4:5], s15, v4
                                        ; implicit-def: $vgpr47
	s_and_saveexec_b64 s[12:13], s[4:5]
	s_xor_b64 s[4:5], exec, s[12:13]
; %bb.776:                              ;   in Loop: Header=BB369_523 Depth=1
	v_bfe_u32 v4, v3, 16, 1
	v_add3_u32 v47, v3, v4, s21
                                        ; implicit-def: $vgpr3
; %bb.777:                              ;   in Loop: Header=BB369_523 Depth=1
	s_andn2_saveexec_b64 s[12:13], s[4:5]
; %bb.778:                              ;   in Loop: Header=BB369_523 Depth=1
	v_or_b32_e32 v4, 0x10000, v3
	v_cmp_eq_u32_sdwa s[4:5], v3, v11 src0_sel:WORD_0 src1_sel:DWORD
	v_cndmask_b32_e64 v47, v4, v3, s[4:5]
; %bb.779:                              ;   in Loop: Header=BB369_523 Depth=1
	s_or_b64 exec, exec, s[12:13]
	v_lshlrev_b32_e32 v2, 16, v2
	v_mul_f32_e32 v2, v46, v2
	v_and_b32_e32 v3, 0x7f800000, v2
	v_cmp_ne_u32_e64 s[4:5], s15, v3
                                        ; implicit-def: $vgpr58
	s_and_saveexec_b64 s[12:13], s[4:5]
	s_xor_b64 s[4:5], exec, s[12:13]
; %bb.780:                              ;   in Loop: Header=BB369_523 Depth=1
	v_bfe_u32 v3, v2, 16, 1
	v_add3_u32 v58, v2, v3, s21
                                        ; implicit-def: $vgpr2
; %bb.781:                              ;   in Loop: Header=BB369_523 Depth=1
	s_andn2_saveexec_b64 s[12:13], s[4:5]
; %bb.782:                              ;   in Loop: Header=BB369_523 Depth=1
	v_or_b32_e32 v3, 0x10000, v2
	v_cmp_eq_u32_sdwa s[4:5], v2, v11 src0_sel:WORD_0 src1_sel:DWORD
	v_cndmask_b32_e64 v58, v3, v2, s[4:5]
; %bb.783:                              ;   in Loop: Header=BB369_523 Depth=1
	s_or_b64 exec, exec, s[12:13]
	flat_load_dwordx2 v[2:3], v[0:1] offset:1024
	v_mov_b32_e32 v4, 0
	s_waitcnt vmcnt(0) lgkmcnt(0)
	v_cmp_ne_u16_sdwa s[4:5], v2, v11 src0_sel:BYTE_0 src1_sel:DWORD
	s_and_saveexec_b64 s[12:13], s[4:5]
	s_cbranch_execz .LBB369_789
; %bb.784:                              ;   in Loop: Header=BB369_523 Depth=1
	v_cmp_ne_u16_sdwa s[4:5], v2, s28 src0_sel:BYTE_0 src1_sel:DWORD
	v_bfrev_b32_e32 v4, 1
	s_and_saveexec_b64 s[24:25], s[4:5]
	s_cbranch_execz .LBB369_788
; %bb.785:                              ;   in Loop: Header=BB369_523 Depth=1
	v_and_b32_e32 v5, 0x7f, v2
	v_cmp_ne_u32_e64 s[4:5], s29, v5
	v_mov_b32_e32 v4, 0x7f800001
	s_and_saveexec_b64 s[26:27], s[4:5]
	s_cbranch_execz .LBB369_787
; %bb.786:                              ;   in Loop: Header=BB369_523 Depth=1
	v_and_b32_e32 v4, 7, v2
	v_ffbh_u32_e32 v4, v4
	v_min_u32_e32 v4, 32, v4
	v_lshrrev_b32_e32 v6, 3, v5
	v_subrev_u32_e32 v7, 28, v4
	v_sub_u32_e32 v4, 29, v4
	v_cmp_gt_u32_e64 s[4:5], 8, v5
	v_cndmask_b32_e64 v6, v6, v4, s[4:5]
	v_cndmask_b32_e64 v4, 0, v7, s[4:5]
	v_lshlrev_b64 v[4:5], v4, v[2:3]
	v_lshlrev_b32_e32 v4, 20, v4
	v_lshlrev_b32_e32 v5, 24, v2
	v_and_b32_e32 v4, 0x700000, v4
	v_and_b32_e32 v5, 0x80000000, v5
	v_lshl_add_u32 v6, v6, 23, v56
	v_or3_b32 v4, v5, v6, v4
.LBB369_787:                            ;   in Loop: Header=BB369_523 Depth=1
	s_or_b64 exec, exec, s[26:27]
.LBB369_788:                            ;   in Loop: Header=BB369_523 Depth=1
	s_or_b64 exec, exec, s[24:25]
.LBB369_789:                            ;   in Loop: Header=BB369_523 Depth=1
	s_or_b64 exec, exec, s[12:13]
	v_mul_f32_e32 v5, v26, v4
	v_and_b32_e32 v4, 0x7f800000, v5
	v_cmp_ne_u32_e64 s[4:5], s15, v4
                                        ; implicit-def: $vgpr4
	s_and_saveexec_b64 s[12:13], s[4:5]
	s_xor_b64 s[4:5], exec, s[12:13]
; %bb.790:                              ;   in Loop: Header=BB369_523 Depth=1
	v_bfe_u32 v4, v5, 16, 1
	v_add3_u32 v4, v5, v4, s21
                                        ; implicit-def: $vgpr5
; %bb.791:                              ;   in Loop: Header=BB369_523 Depth=1
	s_andn2_saveexec_b64 s[12:13], s[4:5]
; %bb.792:                              ;   in Loop: Header=BB369_523 Depth=1
	v_or_b32_e32 v4, 0x10000, v5
	v_cmp_eq_u32_sdwa s[4:5], v5, v11 src0_sel:WORD_0 src1_sel:DWORD
	v_cndmask_b32_e64 v4, v4, v5, s[4:5]
; %bb.793:                              ;   in Loop: Header=BB369_523 Depth=1
	s_or_b64 exec, exec, s[12:13]
	v_lshrrev_b16_e32 v6, 8, v2
	v_cmp_ne_u16_e64 s[4:5], 0, v6
	v_mov_b32_e32 v5, 0
	s_and_saveexec_b64 s[12:13], s[4:5]
	s_cbranch_execz .LBB369_799
; %bb.794:                              ;   in Loop: Header=BB369_523 Depth=1
	v_cmp_ne_u16_e64 s[4:5], s28, v6
	v_bfrev_b32_e32 v5, 1
	s_and_saveexec_b64 s[24:25], s[4:5]
	s_cbranch_execz .LBB369_798
; %bb.795:                              ;   in Loop: Header=BB369_523 Depth=1
	v_and_b32_e32 v7, 0x7f, v6
	v_cmp_ne_u32_e64 s[4:5], s29, v7
	v_mov_b32_e32 v5, 0x7f800001
	s_and_saveexec_b64 s[26:27], s[4:5]
	s_cbranch_execz .LBB369_797
; %bb.796:                              ;   in Loop: Header=BB369_523 Depth=1
	v_and_b32_e32 v5, 7, v6
	v_ffbh_u32_e32 v8, v5
	v_min_u32_e32 v22, 32, v8
	v_subrev_u32_e32 v8, 28, v22
	v_lshlrev_b64 v[8:9], v8, v[6:7]
	v_lshrrev_b32_e32 v10, 3, v7
	v_sub_u32_e32 v6, 29, v22
	v_and_b32_e32 v8, 7, v8
	v_cmp_gt_u32_e64 s[4:5], 8, v7
	v_cndmask_b32_e64 v6, v10, v6, s[4:5]
	v_cndmask_b32_e64 v5, v5, v8, s[4:5]
	v_lshlrev_b32_e32 v7, 16, v2
	v_lshlrev_b32_e32 v5, 20, v5
	v_and_b32_e32 v7, 0x80000000, v7
	v_lshl_add_u32 v6, v6, 23, v56
	v_or3_b32 v5, v7, v6, v5
.LBB369_797:                            ;   in Loop: Header=BB369_523 Depth=1
	s_or_b64 exec, exec, s[26:27]
.LBB369_798:                            ;   in Loop: Header=BB369_523 Depth=1
	s_or_b64 exec, exec, s[24:25]
.LBB369_799:                            ;   in Loop: Header=BB369_523 Depth=1
	s_or_b64 exec, exec, s[12:13]
	v_mul_f32_e32 v5, v26, v5
	v_and_b32_e32 v6, 0x7f800000, v5
	v_cmp_ne_u32_e64 s[4:5], s15, v6
                                        ; implicit-def: $vgpr7
	s_and_saveexec_b64 s[12:13], s[4:5]
	s_xor_b64 s[4:5], exec, s[12:13]
; %bb.800:                              ;   in Loop: Header=BB369_523 Depth=1
	v_bfe_u32 v6, v5, 16, 1
	v_add3_u32 v7, v5, v6, s21
                                        ; implicit-def: $vgpr5
; %bb.801:                              ;   in Loop: Header=BB369_523 Depth=1
	s_andn2_saveexec_b64 s[12:13], s[4:5]
; %bb.802:                              ;   in Loop: Header=BB369_523 Depth=1
	v_or_b32_e32 v6, 0x10000, v5
	v_cmp_eq_u32_sdwa s[4:5], v5, v11 src0_sel:WORD_0 src1_sel:DWORD
	v_cndmask_b32_e64 v7, v6, v5, s[4:5]
; %bb.803:                              ;   in Loop: Header=BB369_523 Depth=1
	s_or_b64 exec, exec, s[12:13]
	v_lshrrev_b32_e32 v6, 16, v2
	v_cmp_ne_u16_sdwa s[4:5], v6, v11 src0_sel:BYTE_0 src1_sel:DWORD
	v_mov_b32_e32 v5, 0
	s_and_saveexec_b64 s[12:13], s[4:5]
	s_cbranch_execz .LBB369_809
; %bb.804:                              ;   in Loop: Header=BB369_523 Depth=1
	v_cmp_ne_u16_sdwa s[4:5], v6, s28 src0_sel:BYTE_0 src1_sel:DWORD
	v_bfrev_b32_e32 v5, 1
	s_and_saveexec_b64 s[24:25], s[4:5]
	s_cbranch_execz .LBB369_808
; %bb.805:                              ;   in Loop: Header=BB369_523 Depth=1
	v_bfe_u32 v8, v2, 16, 7
	v_cmp_ne_u32_e64 s[4:5], s29, v8
	v_mov_b32_e32 v5, 0x7f800001
	s_and_saveexec_b64 s[26:27], s[4:5]
	s_cbranch_execz .LBB369_807
; %bb.806:                              ;   in Loop: Header=BB369_523 Depth=1
	v_and_b32_e32 v5, 7, v6
	v_ffbh_u32_e32 v10, v5
	v_min_u32_e32 v10, 32, v10
	v_subrev_u32_e32 v22, 28, v10
	v_lshlrev_b64 v[22:23], v22, v[6:7]
	v_lshrrev_b32_e32 v9, 3, v8
	v_sub_u32_e32 v10, 29, v10
	v_and_b32_e32 v22, 7, v22
	v_cmp_gt_u32_e64 s[4:5], 8, v8
	v_cndmask_b32_e64 v8, v9, v10, s[4:5]
	v_cndmask_b32_e64 v5, v5, v22, s[4:5]
	v_lshlrev_b32_e32 v6, 24, v6
	v_lshlrev_b32_e32 v5, 20, v5
	v_and_b32_e32 v6, 0x80000000, v6
	v_lshl_add_u32 v8, v8, 23, v56
	v_or3_b32 v5, v6, v8, v5
.LBB369_807:                            ;   in Loop: Header=BB369_523 Depth=1
	s_or_b64 exec, exec, s[26:27]
.LBB369_808:                            ;   in Loop: Header=BB369_523 Depth=1
	s_or_b64 exec, exec, s[24:25]
.LBB369_809:                            ;   in Loop: Header=BB369_523 Depth=1
	s_or_b64 exec, exec, s[12:13]
	v_mul_f32_e32 v5, v26, v5
	v_and_b32_e32 v6, 0x7f800000, v5
	v_cmp_ne_u32_e64 s[4:5], s15, v6
                                        ; implicit-def: $vgpr8
	s_and_saveexec_b64 s[12:13], s[4:5]
	s_xor_b64 s[4:5], exec, s[12:13]
; %bb.810:                              ;   in Loop: Header=BB369_523 Depth=1
	v_bfe_u32 v6, v5, 16, 1
	v_add3_u32 v8, v5, v6, s21
                                        ; implicit-def: $vgpr5
; %bb.811:                              ;   in Loop: Header=BB369_523 Depth=1
	s_andn2_saveexec_b64 s[12:13], s[4:5]
; %bb.812:                              ;   in Loop: Header=BB369_523 Depth=1
	v_or_b32_e32 v6, 0x10000, v5
	v_cmp_eq_u32_sdwa s[4:5], v5, v11 src0_sel:WORD_0 src1_sel:DWORD
	v_cndmask_b32_e64 v8, v6, v5, s[4:5]
; %bb.813:                              ;   in Loop: Header=BB369_523 Depth=1
	s_or_b64 exec, exec, s[12:13]
	v_cmp_lt_u32_e64 s[4:5], s9, v2
	v_mov_b32_e32 v5, 0
	s_and_saveexec_b64 s[12:13], s[4:5]
	s_cbranch_execz .LBB369_819
; %bb.814:                              ;   in Loop: Header=BB369_523 Depth=1
	v_lshrrev_b32_e32 v6, 24, v2
	v_cmp_ne_u32_e64 s[4:5], s28, v6
	v_bfrev_b32_e32 v5, 1
	s_and_saveexec_b64 s[24:25], s[4:5]
	s_cbranch_execz .LBB369_818
; %bb.815:                              ;   in Loop: Header=BB369_523 Depth=1
	v_bfe_u32 v9, v2, 24, 7
	v_cmp_ne_u32_e64 s[4:5], s29, v9
	v_mov_b32_e32 v5, 0x7f800001
	s_and_saveexec_b64 s[26:27], s[4:5]
	s_cbranch_execz .LBB369_817
; %bb.816:                              ;   in Loop: Header=BB369_523 Depth=1
	v_and_b32_e32 v5, 7, v6
	v_ffbh_u32_e32 v22, v5
	v_min_u32_e32 v24, 32, v22
	v_subrev_u32_e32 v22, 28, v24
	v_lshlrev_b64 v[22:23], v22, v[6:7]
	v_lshrrev_b32_e32 v10, 3, v9
	v_sub_u32_e32 v23, 29, v24
	v_and_b32_e32 v22, 7, v22
	v_cmp_gt_u32_e64 s[4:5], 8, v9
	v_cndmask_b32_e64 v9, v10, v23, s[4:5]
	v_cndmask_b32_e64 v5, v5, v22, s[4:5]
	v_lshlrev_b32_e32 v6, 24, v6
	v_lshlrev_b32_e32 v5, 20, v5
	v_and_b32_e32 v6, 0x80000000, v6
	v_lshl_add_u32 v9, v9, 23, v56
	v_or3_b32 v5, v6, v9, v5
.LBB369_817:                            ;   in Loop: Header=BB369_523 Depth=1
	s_or_b64 exec, exec, s[26:27]
.LBB369_818:                            ;   in Loop: Header=BB369_523 Depth=1
	s_or_b64 exec, exec, s[24:25]
.LBB369_819:                            ;   in Loop: Header=BB369_523 Depth=1
	s_or_b64 exec, exec, s[12:13]
	v_mul_f32_e32 v5, v26, v5
	v_and_b32_e32 v6, 0x7f800000, v5
	v_cmp_ne_u32_e64 s[4:5], s15, v6
                                        ; implicit-def: $vgpr9
	s_and_saveexec_b64 s[12:13], s[4:5]
	s_xor_b64 s[4:5], exec, s[12:13]
; %bb.820:                              ;   in Loop: Header=BB369_523 Depth=1
	v_bfe_u32 v6, v5, 16, 1
	v_add3_u32 v9, v5, v6, s21
                                        ; implicit-def: $vgpr5
; %bb.821:                              ;   in Loop: Header=BB369_523 Depth=1
	s_andn2_saveexec_b64 s[12:13], s[4:5]
; %bb.822:                              ;   in Loop: Header=BB369_523 Depth=1
	v_or_b32_e32 v6, 0x10000, v5
	v_cmp_eq_u32_sdwa s[4:5], v5, v11 src0_sel:WORD_0 src1_sel:DWORD
	v_cndmask_b32_e64 v9, v6, v5, s[4:5]
; %bb.823:                              ;   in Loop: Header=BB369_523 Depth=1
	s_or_b64 exec, exec, s[12:13]
	v_mov_b32_e32 v10, v3
	v_cmp_ne_u16_sdwa s[4:5], v3, v11 src0_sel:BYTE_0 src1_sel:DWORD
	v_mov_b32_e32 v5, 0
	s_and_saveexec_b64 s[12:13], s[4:5]
	s_cbranch_execz .LBB369_829
; %bb.824:                              ;   in Loop: Header=BB369_523 Depth=1
	v_cmp_ne_u16_sdwa s[4:5], v3, s28 src0_sel:BYTE_0 src1_sel:DWORD
	v_bfrev_b32_e32 v5, 1
	s_and_saveexec_b64 s[24:25], s[4:5]
	s_cbranch_execz .LBB369_828
; %bb.825:                              ;   in Loop: Header=BB369_523 Depth=1
	v_and_b32_e32 v6, 0x7f, v3
	v_cmp_ne_u32_e64 s[4:5], s29, v6
	v_mov_b32_e32 v5, 0x7f800001
	s_and_saveexec_b64 s[26:27], s[4:5]
	s_cbranch_execz .LBB369_827
; %bb.826:                              ;   in Loop: Header=BB369_523 Depth=1
	v_and_b32_e32 v5, 7, v3
	v_ffbh_u32_e32 v5, v5
	v_min_u32_e32 v5, 32, v5
	v_subrev_u32_e32 v23, 28, v5
	v_cmp_gt_u32_e64 s[4:5], 8, v6
	v_lshrrev_b32_e32 v22, 3, v6
	v_sub_u32_e32 v5, 29, v5
	v_cndmask_b32_e64 v6, 0, v23, s[4:5]
	v_cndmask_b32_e64 v5, v22, v5, s[4:5]
	v_lshlrev_b64 v[22:23], v6, v[10:11]
	v_lshlrev_b32_e32 v6, 20, v22
	v_lshlrev_b32_e32 v22, 24, v10
	v_and_b32_e32 v6, 0x700000, v6
	v_and_b32_e32 v22, 0x80000000, v22
	v_lshl_add_u32 v5, v5, 23, v56
	v_or3_b32 v5, v22, v5, v6
.LBB369_827:                            ;   in Loop: Header=BB369_523 Depth=1
	s_or_b64 exec, exec, s[26:27]
.LBB369_828:                            ;   in Loop: Header=BB369_523 Depth=1
	s_or_b64 exec, exec, s[24:25]
.LBB369_829:                            ;   in Loop: Header=BB369_523 Depth=1
	s_or_b64 exec, exec, s[12:13]
	v_mul_f32_e32 v5, v26, v5
	v_and_b32_e32 v6, 0x7f800000, v5
	v_cmp_ne_u32_e64 s[4:5], s15, v6
                                        ; implicit-def: $vgpr22
	s_and_saveexec_b64 s[12:13], s[4:5]
	s_xor_b64 s[4:5], exec, s[12:13]
; %bb.830:                              ;   in Loop: Header=BB369_523 Depth=1
	v_bfe_u32 v6, v5, 16, 1
	v_add3_u32 v22, v5, v6, s21
                                        ; implicit-def: $vgpr5
; %bb.831:                              ;   in Loop: Header=BB369_523 Depth=1
	s_andn2_saveexec_b64 s[12:13], s[4:5]
; %bb.832:                              ;   in Loop: Header=BB369_523 Depth=1
	v_or_b32_e32 v6, 0x10000, v5
	v_cmp_eq_u32_sdwa s[4:5], v5, v11 src0_sel:WORD_0 src1_sel:DWORD
	v_cndmask_b32_e64 v22, v6, v5, s[4:5]
; %bb.833:                              ;   in Loop: Header=BB369_523 Depth=1
	s_or_b64 exec, exec, s[12:13]
	v_lshrrev_b16_e32 v6, 8, v10
	v_cmp_ne_u16_e64 s[4:5], 0, v6
	v_mov_b32_e32 v5, 0
	s_and_saveexec_b64 s[12:13], s[4:5]
	s_cbranch_execz .LBB369_839
; %bb.834:                              ;   in Loop: Header=BB369_523 Depth=1
	v_cmp_ne_u16_e64 s[4:5], s28, v6
	v_bfrev_b32_e32 v5, 1
	s_and_saveexec_b64 s[24:25], s[4:5]
	s_cbranch_execz .LBB369_838
; %bb.835:                              ;   in Loop: Header=BB369_523 Depth=1
	v_and_b32_e32 v23, 0x7f, v6
	v_cmp_ne_u32_e64 s[4:5], s29, v23
	v_mov_b32_e32 v5, 0x7f800001
	s_and_saveexec_b64 s[26:27], s[4:5]
	s_cbranch_execz .LBB369_837
; %bb.836:                              ;   in Loop: Header=BB369_523 Depth=1
	v_and_b32_e32 v5, 7, v6
	v_ffbh_u32_e32 v24, v5
	v_min_u32_e32 v28, 32, v24
	v_subrev_u32_e32 v24, 28, v28
	v_lshlrev_b64 v[24:25], v24, v[6:7]
	v_lshrrev_b32_e32 v27, 3, v23
	v_sub_u32_e32 v6, 29, v28
	v_and_b32_e32 v24, 7, v24
	v_cmp_gt_u32_e64 s[4:5], 8, v23
	v_cndmask_b32_e64 v6, v27, v6, s[4:5]
	v_cndmask_b32_e64 v5, v5, v24, s[4:5]
	v_lshlrev_b32_e32 v10, 16, v10
	v_lshlrev_b32_e32 v5, 20, v5
	v_and_b32_e32 v10, 0x80000000, v10
	v_lshl_add_u32 v6, v6, 23, v56
	v_or3_b32 v5, v10, v6, v5
.LBB369_837:                            ;   in Loop: Header=BB369_523 Depth=1
	s_or_b64 exec, exec, s[26:27]
.LBB369_838:                            ;   in Loop: Header=BB369_523 Depth=1
	s_or_b64 exec, exec, s[24:25]
.LBB369_839:                            ;   in Loop: Header=BB369_523 Depth=1
	s_or_b64 exec, exec, s[12:13]
	v_mul_f32_e32 v6, v26, v5
	v_and_b32_e32 v5, 0x7f800000, v6
	v_cmp_ne_u32_e64 s[4:5], s15, v5
                                        ; implicit-def: $vgpr5
	s_and_saveexec_b64 s[12:13], s[4:5]
	s_xor_b64 s[4:5], exec, s[12:13]
; %bb.840:                              ;   in Loop: Header=BB369_523 Depth=1
	v_bfe_u32 v5, v6, 16, 1
	v_add3_u32 v5, v6, v5, s21
                                        ; implicit-def: $vgpr6
; %bb.841:                              ;   in Loop: Header=BB369_523 Depth=1
	s_andn2_saveexec_b64 s[12:13], s[4:5]
; %bb.842:                              ;   in Loop: Header=BB369_523 Depth=1
	v_or_b32_e32 v5, 0x10000, v6
	v_cmp_eq_u32_sdwa s[4:5], v6, v11 src0_sel:WORD_0 src1_sel:DWORD
	v_cndmask_b32_e64 v5, v5, v6, s[4:5]
; %bb.843:                              ;   in Loop: Header=BB369_523 Depth=1
	s_or_b64 exec, exec, s[12:13]
	v_lshrrev_b32_e32 v6, 16, v3
	v_cmp_ne_u16_sdwa s[4:5], v6, v11 src0_sel:BYTE_0 src1_sel:DWORD
	v_mov_b32_e32 v10, 0
	s_and_saveexec_b64 s[12:13], s[4:5]
	s_cbranch_execz .LBB369_849
; %bb.844:                              ;   in Loop: Header=BB369_523 Depth=1
	v_cmp_ne_u16_sdwa s[4:5], v6, s28 src0_sel:BYTE_0 src1_sel:DWORD
	v_bfrev_b32_e32 v10, 1
	s_and_saveexec_b64 s[24:25], s[4:5]
	s_cbranch_execz .LBB369_848
; %bb.845:                              ;   in Loop: Header=BB369_523 Depth=1
	v_bfe_u32 v23, v3, 16, 7
	v_cmp_ne_u32_e64 s[4:5], s29, v23
	v_mov_b32_e32 v10, 0x7f800001
	s_and_saveexec_b64 s[26:27], s[4:5]
	s_cbranch_execz .LBB369_847
; %bb.846:                              ;   in Loop: Header=BB369_523 Depth=1
	v_and_b32_e32 v10, 7, v6
	v_ffbh_u32_e32 v24, v10
	v_min_u32_e32 v28, 32, v24
	v_subrev_u32_e32 v24, 28, v28
	v_lshlrev_b64 v[24:25], v24, v[6:7]
	v_lshrrev_b32_e32 v27, 3, v23
	v_sub_u32_e32 v25, 29, v28
	v_and_b32_e32 v24, 7, v24
	v_cmp_gt_u32_e64 s[4:5], 8, v23
	v_cndmask_b32_e64 v23, v27, v25, s[4:5]
	v_cndmask_b32_e64 v10, v10, v24, s[4:5]
	v_lshlrev_b32_e32 v6, 24, v6
	v_lshlrev_b32_e32 v10, 20, v10
	v_and_b32_e32 v6, 0x80000000, v6
	v_lshl_add_u32 v23, v23, 23, v56
	v_or3_b32 v10, v6, v23, v10
.LBB369_847:                            ;   in Loop: Header=BB369_523 Depth=1
	s_or_b64 exec, exec, s[26:27]
.LBB369_848:                            ;   in Loop: Header=BB369_523 Depth=1
	s_or_b64 exec, exec, s[24:25]
.LBB369_849:                            ;   in Loop: Header=BB369_523 Depth=1
	s_or_b64 exec, exec, s[12:13]
	v_mul_f32_e32 v6, v26, v10
	v_and_b32_e32 v10, 0x7f800000, v6
	v_cmp_ne_u32_e64 s[4:5], s15, v10
                                        ; implicit-def: $vgpr10
	s_and_saveexec_b64 s[12:13], s[4:5]
	s_xor_b64 s[4:5], exec, s[12:13]
; %bb.850:                              ;   in Loop: Header=BB369_523 Depth=1
	v_bfe_u32 v10, v6, 16, 1
	v_add3_u32 v10, v6, v10, s21
                                        ; implicit-def: $vgpr6
; %bb.851:                              ;   in Loop: Header=BB369_523 Depth=1
	s_andn2_saveexec_b64 s[12:13], s[4:5]
; %bb.852:                              ;   in Loop: Header=BB369_523 Depth=1
	v_or_b32_e32 v10, 0x10000, v6
	v_cmp_eq_u32_sdwa s[4:5], v6, v11 src0_sel:WORD_0 src1_sel:DWORD
	v_cndmask_b32_e64 v10, v10, v6, s[4:5]
; %bb.853:                              ;   in Loop: Header=BB369_523 Depth=1
	s_or_b64 exec, exec, s[12:13]
	v_cmp_lt_u64_e64 s[4:5], s[8:9], v[2:3]
	v_mov_b32_e32 v6, 0
	s_and_saveexec_b64 s[12:13], s[4:5]
	s_cbranch_execz .LBB369_859
; %bb.854:                              ;   in Loop: Header=BB369_523 Depth=1
	v_lshrrev_b32_e32 v2, 24, v3
	v_cmp_ne_u32_e64 s[4:5], s28, v2
	v_bfrev_b32_e32 v6, 1
	s_and_saveexec_b64 s[24:25], s[4:5]
	s_cbranch_execz .LBB369_858
; %bb.855:                              ;   in Loop: Header=BB369_523 Depth=1
	v_bfe_u32 v3, v3, 24, 7
	v_cmp_ne_u32_e64 s[4:5], s29, v3
	v_mov_b32_e32 v6, 0x7f800001
	s_and_saveexec_b64 s[26:27], s[4:5]
	s_cbranch_execz .LBB369_857
; %bb.856:                              ;   in Loop: Header=BB369_523 Depth=1
	v_and_b32_e32 v6, 7, v2
	v_ffbh_u32_e32 v24, v6
	v_min_u32_e32 v27, 32, v24
	v_subrev_u32_e32 v24, 28, v27
	v_lshlrev_b64 v[24:25], v24, v[2:3]
	v_lshrrev_b32_e32 v23, 3, v3
	v_sub_u32_e32 v25, 29, v27
	v_and_b32_e32 v24, 7, v24
	v_cmp_gt_u32_e64 s[4:5], 8, v3
	v_cndmask_b32_e64 v3, v23, v25, s[4:5]
	v_cndmask_b32_e64 v6, v6, v24, s[4:5]
	v_lshlrev_b32_e32 v2, 24, v2
	v_lshlrev_b32_e32 v6, 20, v6
	v_and_b32_e32 v2, 0x80000000, v2
	v_lshl_add_u32 v3, v3, 23, v56
	v_or3_b32 v6, v2, v3, v6
.LBB369_857:                            ;   in Loop: Header=BB369_523 Depth=1
	s_or_b64 exec, exec, s[26:27]
.LBB369_858:                            ;   in Loop: Header=BB369_523 Depth=1
	s_or_b64 exec, exec, s[24:25]
.LBB369_859:                            ;   in Loop: Header=BB369_523 Depth=1
	s_or_b64 exec, exec, s[12:13]
	v_mul_f32_e32 v3, v26, v6
	v_and_b32_e32 v2, 0x7f800000, v3
	v_cmp_ne_u32_e64 s[4:5], s15, v2
                                        ; implicit-def: $vgpr2
	s_and_saveexec_b64 s[12:13], s[4:5]
	s_xor_b64 s[4:5], exec, s[12:13]
; %bb.860:                              ;   in Loop: Header=BB369_523 Depth=1
	v_bfe_u32 v2, v3, 16, 1
	v_add3_u32 v2, v3, v2, s21
                                        ; implicit-def: $vgpr3
; %bb.861:                              ;   in Loop: Header=BB369_523 Depth=1
	s_andn2_saveexec_b64 s[12:13], s[4:5]
; %bb.862:                              ;   in Loop: Header=BB369_523 Depth=1
	v_or_b32_e32 v2, 0x10000, v3
	v_cmp_eq_u32_sdwa s[4:5], v3, v11 src0_sel:WORD_0 src1_sel:DWORD
	v_cndmask_b32_e64 v2, v2, v3, s[4:5]
; %bb.863:                              ;   in Loop: Header=BB369_523 Depth=1
	s_or_b64 exec, exec, s[12:13]
	v_lshrrev_b32_e32 v5, 16, v5
	v_lshrrev_b32_e32 v6, 16, v22
	;; [unrolled: 1-line block ×8, first 2 shown]
	s_and_saveexec_b64 s[12:13], vcc
	s_cbranch_execz .LBB369_865
; %bb.864:                              ;   in Loop: Header=BB369_523 Depth=1
	v_cmp_lt_i32_e64 s[4:5], v31, v32
	v_accvgpr_read_b32 v10, a25
	v_cndmask_b32_e64 v4, 0, v4, s[4:5]
	v_cmp_lt_i32_e64 s[4:5], v10, v32
	v_accvgpr_read_b32 v10, a24
	v_cndmask_b32_e64 v7, 0, v7, s[4:5]
	;; [unrolled: 3-line block ×6, first 2 shown]
	v_cmp_lt_i32_e64 s[4:5], v10, v32
	v_cndmask_b32_e64 v3, 0, v3, s[4:5]
	v_cmp_lt_i32_e64 s[4:5], v17, v32
	v_cndmask_b32_e64 v2, 0, v2, s[4:5]
.LBB369_865:                            ;   in Loop: Header=BB369_523 Depth=1
	s_or_b64 exec, exec, s[12:13]
	v_lshlrev_b32_e32 v4, 16, v4
	v_mul_f32_e32 v4, v55, v4
	v_and_b32_e32 v10, 0x7f800000, v4
	v_cmp_ne_u32_e64 s[4:5], s15, v10
                                        ; implicit-def: $vgpr59
	s_and_saveexec_b64 s[12:13], s[4:5]
	s_xor_b64 s[4:5], exec, s[12:13]
; %bb.866:                              ;   in Loop: Header=BB369_523 Depth=1
	v_bfe_u32 v10, v4, 16, 1
	v_add3_u32 v59, v4, v10, s21
                                        ; implicit-def: $vgpr4
; %bb.867:                              ;   in Loop: Header=BB369_523 Depth=1
	s_andn2_saveexec_b64 s[12:13], s[4:5]
; %bb.868:                              ;   in Loop: Header=BB369_523 Depth=1
	v_or_b32_e32 v10, 0x10000, v4
	v_cmp_eq_u32_sdwa s[4:5], v4, v11 src0_sel:WORD_0 src1_sel:DWORD
	v_cndmask_b32_e64 v59, v10, v4, s[4:5]
; %bb.869:                              ;   in Loop: Header=BB369_523 Depth=1
	s_or_b64 exec, exec, s[12:13]
	v_lshlrev_b32_e32 v4, 16, v7
	v_mul_f32_e32 v4, v40, v4
	v_and_b32_e32 v7, 0x7f800000, v4
	v_cmp_ne_u32_e64 s[4:5], s15, v7
                                        ; implicit-def: $vgpr60
	s_and_saveexec_b64 s[12:13], s[4:5]
	s_xor_b64 s[4:5], exec, s[12:13]
; %bb.870:                              ;   in Loop: Header=BB369_523 Depth=1
	v_bfe_u32 v7, v4, 16, 1
	v_add3_u32 v60, v4, v7, s21
                                        ; implicit-def: $vgpr4
; %bb.871:                              ;   in Loop: Header=BB369_523 Depth=1
	s_andn2_saveexec_b64 s[12:13], s[4:5]
; %bb.872:                              ;   in Loop: Header=BB369_523 Depth=1
	v_or_b32_e32 v7, 0x10000, v4
	v_cmp_eq_u32_sdwa s[4:5], v4, v11 src0_sel:WORD_0 src1_sel:DWORD
	v_cndmask_b32_e64 v60, v7, v4, s[4:5]
; %bb.873:                              ;   in Loop: Header=BB369_523 Depth=1
	s_or_b64 exec, exec, s[12:13]
	v_lshlrev_b32_e32 v4, 16, v8
	v_mul_f32_e32 v4, v41, v4
	v_and_b32_e32 v7, 0x7f800000, v4
	v_cmp_ne_u32_e64 s[4:5], s15, v7
                                        ; implicit-def: $vgpr61
	s_and_saveexec_b64 s[12:13], s[4:5]
	s_xor_b64 s[4:5], exec, s[12:13]
; %bb.874:                              ;   in Loop: Header=BB369_523 Depth=1
	v_bfe_u32 v7, v4, 16, 1
	v_add3_u32 v61, v4, v7, s21
                                        ; implicit-def: $vgpr4
; %bb.875:                              ;   in Loop: Header=BB369_523 Depth=1
	s_andn2_saveexec_b64 s[12:13], s[4:5]
; %bb.876:                              ;   in Loop: Header=BB369_523 Depth=1
	v_or_b32_e32 v7, 0x10000, v4
	v_cmp_eq_u32_sdwa s[4:5], v4, v11 src0_sel:WORD_0 src1_sel:DWORD
	v_cndmask_b32_e64 v61, v7, v4, s[4:5]
; %bb.877:                              ;   in Loop: Header=BB369_523 Depth=1
	s_or_b64 exec, exec, s[12:13]
	v_lshlrev_b32_e32 v4, 16, v9
	v_mul_f32_e32 v4, v42, v4
	v_and_b32_e32 v7, 0x7f800000, v4
	v_cmp_ne_u32_e64 s[4:5], s15, v7
                                        ; implicit-def: $vgpr62
	s_and_saveexec_b64 s[12:13], s[4:5]
	s_xor_b64 s[4:5], exec, s[12:13]
; %bb.878:                              ;   in Loop: Header=BB369_523 Depth=1
	v_bfe_u32 v7, v4, 16, 1
	v_add3_u32 v62, v4, v7, s21
                                        ; implicit-def: $vgpr4
; %bb.879:                              ;   in Loop: Header=BB369_523 Depth=1
	s_andn2_saveexec_b64 s[12:13], s[4:5]
; %bb.880:                              ;   in Loop: Header=BB369_523 Depth=1
	v_or_b32_e32 v7, 0x10000, v4
	v_cmp_eq_u32_sdwa s[4:5], v4, v11 src0_sel:WORD_0 src1_sel:DWORD
	v_cndmask_b32_e64 v62, v7, v4, s[4:5]
; %bb.881:                              ;   in Loop: Header=BB369_523 Depth=1
	s_or_b64 exec, exec, s[12:13]
	v_lshlrev_b32_e32 v4, 16, v6
	v_mul_f32_e32 v4, v43, v4
	v_and_b32_e32 v6, 0x7f800000, v4
	v_cmp_ne_u32_e64 s[4:5], s15, v6
                                        ; implicit-def: $vgpr30
	s_and_saveexec_b64 s[12:13], s[4:5]
	s_xor_b64 s[4:5], exec, s[12:13]
; %bb.882:                              ;   in Loop: Header=BB369_523 Depth=1
	v_bfe_u32 v6, v4, 16, 1
	v_add3_u32 v30, v4, v6, s21
                                        ; implicit-def: $vgpr4
; %bb.883:                              ;   in Loop: Header=BB369_523 Depth=1
	s_andn2_saveexec_b64 s[12:13], s[4:5]
; %bb.884:                              ;   in Loop: Header=BB369_523 Depth=1
	v_or_b32_e32 v6, 0x10000, v4
	v_cmp_eq_u32_sdwa s[4:5], v4, v11 src0_sel:WORD_0 src1_sel:DWORD
	v_cndmask_b32_e64 v30, v6, v4, s[4:5]
; %bb.885:                              ;   in Loop: Header=BB369_523 Depth=1
	s_or_b64 exec, exec, s[12:13]
	v_lshlrev_b32_e32 v4, 16, v5
	v_mul_f32_e32 v4, v44, v4
	v_and_b32_e32 v5, 0x7f800000, v4
	v_cmp_ne_u32_e64 s[4:5], s15, v5
                                        ; implicit-def: $vgpr23
	s_and_saveexec_b64 s[12:13], s[4:5]
	s_xor_b64 s[4:5], exec, s[12:13]
; %bb.886:                              ;   in Loop: Header=BB369_523 Depth=1
	v_bfe_u32 v5, v4, 16, 1
	v_add3_u32 v23, v4, v5, s21
                                        ; implicit-def: $vgpr4
; %bb.887:                              ;   in Loop: Header=BB369_523 Depth=1
	s_andn2_saveexec_b64 s[12:13], s[4:5]
; %bb.888:                              ;   in Loop: Header=BB369_523 Depth=1
	v_or_b32_e32 v5, 0x10000, v4
	v_cmp_eq_u32_sdwa s[4:5], v4, v11 src0_sel:WORD_0 src1_sel:DWORD
	v_cndmask_b32_e64 v23, v5, v4, s[4:5]
; %bb.889:                              ;   in Loop: Header=BB369_523 Depth=1
	s_or_b64 exec, exec, s[12:13]
	v_lshlrev_b32_e32 v3, 16, v3
	v_mul_f32_e32 v3, v45, v3
	v_and_b32_e32 v4, 0x7f800000, v3
	v_cmp_ne_u32_e64 s[4:5], s15, v4
                                        ; implicit-def: $vgpr28
	s_and_saveexec_b64 s[12:13], s[4:5]
	s_xor_b64 s[4:5], exec, s[12:13]
; %bb.890:                              ;   in Loop: Header=BB369_523 Depth=1
	v_bfe_u32 v4, v3, 16, 1
	v_add3_u32 v28, v3, v4, s21
                                        ; implicit-def: $vgpr3
; %bb.891:                              ;   in Loop: Header=BB369_523 Depth=1
	s_andn2_saveexec_b64 s[12:13], s[4:5]
; %bb.892:                              ;   in Loop: Header=BB369_523 Depth=1
	v_or_b32_e32 v4, 0x10000, v3
	v_cmp_eq_u32_sdwa s[4:5], v3, v11 src0_sel:WORD_0 src1_sel:DWORD
	v_cndmask_b32_e64 v28, v4, v3, s[4:5]
; %bb.893:                              ;   in Loop: Header=BB369_523 Depth=1
	s_or_b64 exec, exec, s[12:13]
	v_lshlrev_b32_e32 v2, 16, v2
	v_mul_f32_e32 v2, v46, v2
	v_and_b32_e32 v3, 0x7f800000, v2
	v_cmp_ne_u32_e64 s[4:5], s15, v3
                                        ; implicit-def: $vgpr4
	s_and_saveexec_b64 s[12:13], s[4:5]
	s_xor_b64 s[4:5], exec, s[12:13]
; %bb.894:                              ;   in Loop: Header=BB369_523 Depth=1
	v_bfe_u32 v3, v2, 16, 1
	v_add3_u32 v4, v2, v3, s21
                                        ; implicit-def: $vgpr2
; %bb.895:                              ;   in Loop: Header=BB369_523 Depth=1
	s_andn2_saveexec_b64 s[12:13], s[4:5]
; %bb.896:                              ;   in Loop: Header=BB369_523 Depth=1
	v_or_b32_e32 v3, 0x10000, v2
	v_cmp_eq_u32_sdwa s[4:5], v2, v11 src0_sel:WORD_0 src1_sel:DWORD
	v_cndmask_b32_e64 v4, v3, v2, s[4:5]
; %bb.897:                              ;   in Loop: Header=BB369_523 Depth=1
	s_or_b64 exec, exec, s[12:13]
	flat_load_dwordx2 v[2:3], v[0:1] offset:1536
	v_mov_b32_e32 v5, 0
	s_waitcnt vmcnt(0) lgkmcnt(0)
	v_cmp_ne_u16_sdwa s[4:5], v2, v11 src0_sel:BYTE_0 src1_sel:DWORD
	s_and_saveexec_b64 s[12:13], s[4:5]
	s_cbranch_execz .LBB369_903
; %bb.898:                              ;   in Loop: Header=BB369_523 Depth=1
	v_cmp_ne_u16_sdwa s[4:5], v2, s28 src0_sel:BYTE_0 src1_sel:DWORD
	v_bfrev_b32_e32 v5, 1
	s_and_saveexec_b64 s[24:25], s[4:5]
	s_cbranch_execz .LBB369_902
; %bb.899:                              ;   in Loop: Header=BB369_523 Depth=1
	v_and_b32_e32 v6, 0x7f, v2
	v_cmp_ne_u32_e64 s[4:5], s29, v6
	v_mov_b32_e32 v5, 0x7f800001
	s_and_saveexec_b64 s[26:27], s[4:5]
	s_cbranch_execz .LBB369_901
; %bb.900:                              ;   in Loop: Header=BB369_523 Depth=1
	v_and_b32_e32 v5, 7, v2
	v_ffbh_u32_e32 v5, v5
	v_min_u32_e32 v5, 32, v5
	v_subrev_u32_e32 v8, 28, v5
	v_cmp_gt_u32_e64 s[4:5], 8, v6
	v_lshrrev_b32_e32 v7, 3, v6
	v_sub_u32_e32 v5, 29, v5
	v_cndmask_b32_e64 v6, 0, v8, s[4:5]
	v_cndmask_b32_e64 v5, v7, v5, s[4:5]
	v_lshlrev_b64 v[6:7], v6, v[2:3]
	v_lshlrev_b32_e32 v6, 20, v6
	v_lshlrev_b32_e32 v7, 24, v2
	v_and_b32_e32 v6, 0x700000, v6
	v_and_b32_e32 v7, 0x80000000, v7
	v_lshl_add_u32 v5, v5, 23, v56
	v_or3_b32 v5, v7, v5, v6
.LBB369_901:                            ;   in Loop: Header=BB369_523 Depth=1
	s_or_b64 exec, exec, s[26:27]
.LBB369_902:                            ;   in Loop: Header=BB369_523 Depth=1
	s_or_b64 exec, exec, s[24:25]
.LBB369_903:                            ;   in Loop: Header=BB369_523 Depth=1
	s_or_b64 exec, exec, s[12:13]
	v_mul_f32_e32 v5, v26, v5
	v_and_b32_e32 v6, 0x7f800000, v5
	v_cmp_ne_u32_e64 s[4:5], s15, v6
                                        ; implicit-def: $vgpr7
	s_and_saveexec_b64 s[12:13], s[4:5]
	s_xor_b64 s[4:5], exec, s[12:13]
; %bb.904:                              ;   in Loop: Header=BB369_523 Depth=1
	v_bfe_u32 v6, v5, 16, 1
	v_add3_u32 v7, v5, v6, s21
                                        ; implicit-def: $vgpr5
; %bb.905:                              ;   in Loop: Header=BB369_523 Depth=1
	s_andn2_saveexec_b64 s[12:13], s[4:5]
; %bb.906:                              ;   in Loop: Header=BB369_523 Depth=1
	v_or_b32_e32 v6, 0x10000, v5
	v_cmp_eq_u32_sdwa s[4:5], v5, v11 src0_sel:WORD_0 src1_sel:DWORD
	v_cndmask_b32_e64 v7, v6, v5, s[4:5]
; %bb.907:                              ;   in Loop: Header=BB369_523 Depth=1
	s_or_b64 exec, exec, s[12:13]
	v_lshrrev_b16_e32 v6, 8, v2
	v_cmp_ne_u16_e64 s[4:5], 0, v6
	v_mov_b32_e32 v5, 0
	s_and_saveexec_b64 s[12:13], s[4:5]
	s_cbranch_execz .LBB369_913
; %bb.908:                              ;   in Loop: Header=BB369_523 Depth=1
	v_cmp_ne_u16_e64 s[4:5], s28, v6
	v_bfrev_b32_e32 v5, 1
	s_and_saveexec_b64 s[24:25], s[4:5]
	s_cbranch_execz .LBB369_912
; %bb.909:                              ;   in Loop: Header=BB369_523 Depth=1
	v_and_b32_e32 v8, 0x7f, v6
	v_cmp_ne_u32_e64 s[4:5], s29, v8
	v_mov_b32_e32 v5, 0x7f800001
	s_and_saveexec_b64 s[26:27], s[4:5]
	s_cbranch_execz .LBB369_911
; %bb.910:                              ;   in Loop: Header=BB369_523 Depth=1
	v_and_b32_e32 v5, 7, v6
	v_ffbh_u32_e32 v10, v5
	v_min_u32_e32 v10, 32, v10
	v_subrev_u32_e32 v22, 28, v10
	v_lshlrev_b64 v[24:25], v22, v[6:7]
	v_lshrrev_b32_e32 v9, 3, v8
	v_sub_u32_e32 v6, 29, v10
	v_and_b32_e32 v10, 7, v24
	v_cmp_gt_u32_e64 s[4:5], 8, v8
	v_cndmask_b32_e64 v6, v9, v6, s[4:5]
	v_cndmask_b32_e64 v5, v5, v10, s[4:5]
	v_lshlrev_b32_e32 v8, 16, v2
	v_lshlrev_b32_e32 v5, 20, v5
	v_and_b32_e32 v8, 0x80000000, v8
	v_lshl_add_u32 v6, v6, 23, v56
	v_or3_b32 v5, v8, v6, v5
.LBB369_911:                            ;   in Loop: Header=BB369_523 Depth=1
	s_or_b64 exec, exec, s[26:27]
.LBB369_912:                            ;   in Loop: Header=BB369_523 Depth=1
	s_or_b64 exec, exec, s[24:25]
.LBB369_913:                            ;   in Loop: Header=BB369_523 Depth=1
	s_or_b64 exec, exec, s[12:13]
	v_mul_f32_e32 v5, v26, v5
	v_and_b32_e32 v6, 0x7f800000, v5
	v_cmp_ne_u32_e64 s[4:5], s15, v6
                                        ; implicit-def: $vgpr8
	s_and_saveexec_b64 s[12:13], s[4:5]
	s_xor_b64 s[4:5], exec, s[12:13]
; %bb.914:                              ;   in Loop: Header=BB369_523 Depth=1
	v_bfe_u32 v6, v5, 16, 1
	v_add3_u32 v8, v5, v6, s21
                                        ; implicit-def: $vgpr5
; %bb.915:                              ;   in Loop: Header=BB369_523 Depth=1
	s_andn2_saveexec_b64 s[12:13], s[4:5]
; %bb.916:                              ;   in Loop: Header=BB369_523 Depth=1
	v_or_b32_e32 v6, 0x10000, v5
	v_cmp_eq_u32_sdwa s[4:5], v5, v11 src0_sel:WORD_0 src1_sel:DWORD
	v_cndmask_b32_e64 v8, v6, v5, s[4:5]
; %bb.917:                              ;   in Loop: Header=BB369_523 Depth=1
	s_or_b64 exec, exec, s[12:13]
	v_lshrrev_b32_e32 v6, 16, v2
	v_cmp_ne_u16_sdwa s[4:5], v6, v11 src0_sel:BYTE_0 src1_sel:DWORD
	v_mov_b32_e32 v5, 0
	s_and_saveexec_b64 s[12:13], s[4:5]
	s_cbranch_execz .LBB369_923
; %bb.918:                              ;   in Loop: Header=BB369_523 Depth=1
	v_cmp_ne_u16_sdwa s[4:5], v6, s28 src0_sel:BYTE_0 src1_sel:DWORD
	v_bfrev_b32_e32 v5, 1
	s_and_saveexec_b64 s[24:25], s[4:5]
	s_cbranch_execz .LBB369_922
; %bb.919:                              ;   in Loop: Header=BB369_523 Depth=1
	v_bfe_u32 v9, v2, 16, 7
	v_cmp_ne_u32_e64 s[4:5], s29, v9
	v_mov_b32_e32 v5, 0x7f800001
	s_and_saveexec_b64 s[26:27], s[4:5]
	s_cbranch_execz .LBB369_921
; %bb.920:                              ;   in Loop: Header=BB369_523 Depth=1
	v_and_b32_e32 v5, 7, v6
	v_ffbh_u32_e32 v22, v5
	v_min_u32_e32 v22, 32, v22
	v_subrev_u32_e32 v24, 28, v22
	v_lshlrev_b64 v[24:25], v24, v[6:7]
	v_lshrrev_b32_e32 v10, 3, v9
	v_sub_u32_e32 v22, 29, v22
	v_and_b32_e32 v24, 7, v24
	v_cmp_gt_u32_e64 s[4:5], 8, v9
	v_cndmask_b32_e64 v9, v10, v22, s[4:5]
	v_cndmask_b32_e64 v5, v5, v24, s[4:5]
	v_lshlrev_b32_e32 v6, 24, v6
	v_lshlrev_b32_e32 v5, 20, v5
	v_and_b32_e32 v6, 0x80000000, v6
	v_lshl_add_u32 v9, v9, 23, v56
	v_or3_b32 v5, v6, v9, v5
.LBB369_921:                            ;   in Loop: Header=BB369_523 Depth=1
	s_or_b64 exec, exec, s[26:27]
.LBB369_922:                            ;   in Loop: Header=BB369_523 Depth=1
	s_or_b64 exec, exec, s[24:25]
.LBB369_923:                            ;   in Loop: Header=BB369_523 Depth=1
	s_or_b64 exec, exec, s[12:13]
	v_mul_f32_e32 v5, v26, v5
	v_and_b32_e32 v6, 0x7f800000, v5
	v_cmp_ne_u32_e64 s[4:5], s15, v6
                                        ; implicit-def: $vgpr9
	s_and_saveexec_b64 s[12:13], s[4:5]
	s_xor_b64 s[4:5], exec, s[12:13]
; %bb.924:                              ;   in Loop: Header=BB369_523 Depth=1
	v_bfe_u32 v6, v5, 16, 1
	v_add3_u32 v9, v5, v6, s21
                                        ; implicit-def: $vgpr5
; %bb.925:                              ;   in Loop: Header=BB369_523 Depth=1
	s_andn2_saveexec_b64 s[12:13], s[4:5]
; %bb.926:                              ;   in Loop: Header=BB369_523 Depth=1
	v_or_b32_e32 v6, 0x10000, v5
	v_cmp_eq_u32_sdwa s[4:5], v5, v11 src0_sel:WORD_0 src1_sel:DWORD
	v_cndmask_b32_e64 v9, v6, v5, s[4:5]
; %bb.927:                              ;   in Loop: Header=BB369_523 Depth=1
	s_or_b64 exec, exec, s[12:13]
	v_cmp_lt_u32_e64 s[4:5], s9, v2
	v_mov_b32_e32 v5, 0
	s_and_saveexec_b64 s[12:13], s[4:5]
	s_cbranch_execz .LBB369_933
; %bb.928:                              ;   in Loop: Header=BB369_523 Depth=1
	v_lshrrev_b32_e32 v6, 24, v2
	v_cmp_ne_u32_e64 s[4:5], s28, v6
	v_bfrev_b32_e32 v5, 1
	s_and_saveexec_b64 s[24:25], s[4:5]
	s_cbranch_execz .LBB369_932
; %bb.929:                              ;   in Loop: Header=BB369_523 Depth=1
	v_bfe_u32 v10, v2, 24, 7
	v_cmp_ne_u32_e64 s[4:5], s29, v10
	v_mov_b32_e32 v5, 0x7f800001
	s_and_saveexec_b64 s[26:27], s[4:5]
	s_cbranch_execz .LBB369_931
; %bb.930:                              ;   in Loop: Header=BB369_523 Depth=1
	v_and_b32_e32 v5, 7, v6
	v_ffbh_u32_e32 v24, v5
	v_min_u32_e32 v27, 32, v24
	v_subrev_u32_e32 v24, 28, v27
	v_lshlrev_b64 v[24:25], v24, v[6:7]
	v_lshrrev_b32_e32 v22, 3, v10
	v_sub_u32_e32 v25, 29, v27
	v_and_b32_e32 v24, 7, v24
	v_cmp_gt_u32_e64 s[4:5], 8, v10
	v_cndmask_b32_e64 v10, v22, v25, s[4:5]
	v_cndmask_b32_e64 v5, v5, v24, s[4:5]
	v_lshlrev_b32_e32 v6, 24, v6
	v_lshlrev_b32_e32 v5, 20, v5
	v_and_b32_e32 v6, 0x80000000, v6
	v_lshl_add_u32 v10, v10, 23, v56
	v_or3_b32 v5, v6, v10, v5
.LBB369_931:                            ;   in Loop: Header=BB369_523 Depth=1
	s_or_b64 exec, exec, s[26:27]
.LBB369_932:                            ;   in Loop: Header=BB369_523 Depth=1
	s_or_b64 exec, exec, s[24:25]
.LBB369_933:                            ;   in Loop: Header=BB369_523 Depth=1
	s_or_b64 exec, exec, s[12:13]
	v_mul_f32_e32 v5, v26, v5
	v_and_b32_e32 v6, 0x7f800000, v5
	v_cmp_ne_u32_e64 s[4:5], s15, v6
                                        ; implicit-def: $vgpr22
	s_and_saveexec_b64 s[12:13], s[4:5]
	s_xor_b64 s[4:5], exec, s[12:13]
; %bb.934:                              ;   in Loop: Header=BB369_523 Depth=1
	v_bfe_u32 v6, v5, 16, 1
	v_add3_u32 v22, v5, v6, s21
                                        ; implicit-def: $vgpr5
; %bb.935:                              ;   in Loop: Header=BB369_523 Depth=1
	s_andn2_saveexec_b64 s[12:13], s[4:5]
; %bb.936:                              ;   in Loop: Header=BB369_523 Depth=1
	v_or_b32_e32 v6, 0x10000, v5
	v_cmp_eq_u32_sdwa s[4:5], v5, v11 src0_sel:WORD_0 src1_sel:DWORD
	v_cndmask_b32_e64 v22, v6, v5, s[4:5]
; %bb.937:                              ;   in Loop: Header=BB369_523 Depth=1
	s_or_b64 exec, exec, s[12:13]
	v_mov_b32_e32 v10, v3
	v_cmp_ne_u16_sdwa s[4:5], v3, v11 src0_sel:BYTE_0 src1_sel:DWORD
	v_mov_b32_e32 v5, 0
	s_and_saveexec_b64 s[12:13], s[4:5]
	s_cbranch_execz .LBB369_943
; %bb.938:                              ;   in Loop: Header=BB369_523 Depth=1
	v_cmp_ne_u16_sdwa s[4:5], v3, s28 src0_sel:BYTE_0 src1_sel:DWORD
	v_bfrev_b32_e32 v5, 1
	s_and_saveexec_b64 s[24:25], s[4:5]
	s_cbranch_execz .LBB369_942
; %bb.939:                              ;   in Loop: Header=BB369_523 Depth=1
	v_and_b32_e32 v6, 0x7f, v3
	v_cmp_ne_u32_e64 s[4:5], s29, v6
	v_mov_b32_e32 v5, 0x7f800001
	s_and_saveexec_b64 s[26:27], s[4:5]
	s_cbranch_execz .LBB369_941
; %bb.940:                              ;   in Loop: Header=BB369_523 Depth=1
	v_and_b32_e32 v5, 7, v3
	v_ffbh_u32_e32 v5, v5
	v_min_u32_e32 v5, 32, v5
	v_subrev_u32_e32 v25, 28, v5
	v_cmp_gt_u32_e64 s[4:5], 8, v6
	v_lshrrev_b32_e32 v24, 3, v6
	v_sub_u32_e32 v5, 29, v5
	v_cndmask_b32_e64 v6, 0, v25, s[4:5]
	v_cndmask_b32_e64 v5, v24, v5, s[4:5]
	v_lshlrev_b64 v[24:25], v6, v[10:11]
	v_lshlrev_b32_e32 v6, 20, v24
	v_lshlrev_b32_e32 v24, 24, v10
	v_and_b32_e32 v6, 0x700000, v6
	v_and_b32_e32 v24, 0x80000000, v24
	v_lshl_add_u32 v5, v5, 23, v56
	v_or3_b32 v5, v24, v5, v6
.LBB369_941:                            ;   in Loop: Header=BB369_523 Depth=1
	s_or_b64 exec, exec, s[26:27]
.LBB369_942:                            ;   in Loop: Header=BB369_523 Depth=1
	s_or_b64 exec, exec, s[24:25]
.LBB369_943:                            ;   in Loop: Header=BB369_523 Depth=1
	s_or_b64 exec, exec, s[12:13]
	v_mul_f32_e32 v5, v26, v5
	v_and_b32_e32 v6, 0x7f800000, v5
	v_cmp_ne_u32_e64 s[4:5], s15, v6
                                        ; implicit-def: $vgpr24
	s_and_saveexec_b64 s[12:13], s[4:5]
	s_xor_b64 s[4:5], exec, s[12:13]
; %bb.944:                              ;   in Loop: Header=BB369_523 Depth=1
	v_bfe_u32 v6, v5, 16, 1
	v_add3_u32 v24, v5, v6, s21
                                        ; implicit-def: $vgpr5
; %bb.945:                              ;   in Loop: Header=BB369_523 Depth=1
	s_andn2_saveexec_b64 s[12:13], s[4:5]
; %bb.946:                              ;   in Loop: Header=BB369_523 Depth=1
	v_or_b32_e32 v6, 0x10000, v5
	v_cmp_eq_u32_sdwa s[4:5], v5, v11 src0_sel:WORD_0 src1_sel:DWORD
	v_cndmask_b32_e64 v24, v6, v5, s[4:5]
; %bb.947:                              ;   in Loop: Header=BB369_523 Depth=1
	s_or_b64 exec, exec, s[12:13]
	v_lshrrev_b16_e32 v6, 8, v10
	v_cmp_ne_u16_e64 s[4:5], 0, v6
	v_mov_b32_e32 v5, 0
	s_and_saveexec_b64 s[12:13], s[4:5]
	s_cbranch_execz .LBB369_953
; %bb.948:                              ;   in Loop: Header=BB369_523 Depth=1
	v_cmp_ne_u16_e64 s[4:5], s28, v6
	v_bfrev_b32_e32 v5, 1
	s_and_saveexec_b64 s[24:25], s[4:5]
	s_cbranch_execz .LBB369_952
; %bb.949:                              ;   in Loop: Header=BB369_523 Depth=1
	v_and_b32_e32 v25, 0x7f, v6
	v_cmp_ne_u32_e64 s[4:5], s29, v25
	v_mov_b32_e32 v5, 0x7f800001
	s_and_saveexec_b64 s[26:27], s[4:5]
	s_cbranch_execz .LBB369_951
; %bb.950:                              ;   in Loop: Header=BB369_523 Depth=1
	v_and_b32_e32 v5, 7, v6
	v_ffbh_u32_e32 v29, v5
	v_min_u32_e32 v29, 32, v29
	v_subrev_u32_e32 v34, 28, v29
	v_lshlrev_b64 v[34:35], v34, v[6:7]
	v_lshrrev_b32_e32 v27, 3, v25
	v_sub_u32_e32 v6, 29, v29
	v_and_b32_e32 v29, 7, v34
	v_cmp_gt_u32_e64 s[4:5], 8, v25
	v_cndmask_b32_e64 v6, v27, v6, s[4:5]
	v_cndmask_b32_e64 v5, v5, v29, s[4:5]
	v_lshlrev_b32_e32 v10, 16, v10
	v_lshlrev_b32_e32 v5, 20, v5
	v_and_b32_e32 v10, 0x80000000, v10
	v_lshl_add_u32 v6, v6, 23, v56
	v_or3_b32 v5, v10, v6, v5
.LBB369_951:                            ;   in Loop: Header=BB369_523 Depth=1
	s_or_b64 exec, exec, s[26:27]
.LBB369_952:                            ;   in Loop: Header=BB369_523 Depth=1
	s_or_b64 exec, exec, s[24:25]
.LBB369_953:                            ;   in Loop: Header=BB369_523 Depth=1
	s_or_b64 exec, exec, s[12:13]
	v_mul_f32_e32 v6, v26, v5
	v_and_b32_e32 v5, 0x7f800000, v6
	v_cmp_ne_u32_e64 s[4:5], s15, v5
                                        ; implicit-def: $vgpr5
	s_and_saveexec_b64 s[12:13], s[4:5]
	s_xor_b64 s[4:5], exec, s[12:13]
; %bb.954:                              ;   in Loop: Header=BB369_523 Depth=1
	v_bfe_u32 v5, v6, 16, 1
	v_add3_u32 v5, v6, v5, s21
                                        ; implicit-def: $vgpr6
; %bb.955:                              ;   in Loop: Header=BB369_523 Depth=1
	s_andn2_saveexec_b64 s[12:13], s[4:5]
; %bb.956:                              ;   in Loop: Header=BB369_523 Depth=1
	v_or_b32_e32 v5, 0x10000, v6
	v_cmp_eq_u32_sdwa s[4:5], v6, v11 src0_sel:WORD_0 src1_sel:DWORD
	v_cndmask_b32_e64 v5, v5, v6, s[4:5]
; %bb.957:                              ;   in Loop: Header=BB369_523 Depth=1
	s_or_b64 exec, exec, s[12:13]
	v_lshrrev_b32_e32 v6, 16, v3
	v_cmp_ne_u16_sdwa s[4:5], v6, v11 src0_sel:BYTE_0 src1_sel:DWORD
	v_mov_b32_e32 v10, 0
	s_and_saveexec_b64 s[12:13], s[4:5]
	s_cbranch_execz .LBB369_963
; %bb.958:                              ;   in Loop: Header=BB369_523 Depth=1
	v_cmp_ne_u16_sdwa s[4:5], v6, s28 src0_sel:BYTE_0 src1_sel:DWORD
	v_bfrev_b32_e32 v10, 1
	s_and_saveexec_b64 s[24:25], s[4:5]
	s_cbranch_execz .LBB369_962
; %bb.959:                              ;   in Loop: Header=BB369_523 Depth=1
	v_bfe_u32 v25, v3, 16, 7
	v_cmp_ne_u32_e64 s[4:5], s29, v25
	v_mov_b32_e32 v10, 0x7f800001
	s_and_saveexec_b64 s[26:27], s[4:5]
	s_cbranch_execz .LBB369_961
; %bb.960:                              ;   in Loop: Header=BB369_523 Depth=1
	v_and_b32_e32 v10, 7, v6
	v_ffbh_u32_e32 v29, v10
	v_min_u32_e32 v29, 32, v29
	v_subrev_u32_e32 v34, 28, v29
	v_lshlrev_b64 v[34:35], v34, v[6:7]
	v_lshrrev_b32_e32 v27, 3, v25
	v_sub_u32_e32 v29, 29, v29
	v_and_b32_e32 v34, 7, v34
	v_cmp_gt_u32_e64 s[4:5], 8, v25
	v_cndmask_b32_e64 v25, v27, v29, s[4:5]
	v_cndmask_b32_e64 v10, v10, v34, s[4:5]
	v_lshlrev_b32_e32 v6, 24, v6
	v_lshlrev_b32_e32 v10, 20, v10
	v_and_b32_e32 v6, 0x80000000, v6
	v_lshl_add_u32 v25, v25, 23, v56
	v_or3_b32 v10, v6, v25, v10
.LBB369_961:                            ;   in Loop: Header=BB369_523 Depth=1
	s_or_b64 exec, exec, s[26:27]
.LBB369_962:                            ;   in Loop: Header=BB369_523 Depth=1
	s_or_b64 exec, exec, s[24:25]
.LBB369_963:                            ;   in Loop: Header=BB369_523 Depth=1
	s_or_b64 exec, exec, s[12:13]
	v_mul_f32_e32 v6, v26, v10
	v_and_b32_e32 v10, 0x7f800000, v6
	v_cmp_ne_u32_e64 s[4:5], s15, v10
                                        ; implicit-def: $vgpr25
	s_and_saveexec_b64 s[12:13], s[4:5]
	s_xor_b64 s[4:5], exec, s[12:13]
; %bb.964:                              ;   in Loop: Header=BB369_523 Depth=1
	v_bfe_u32 v10, v6, 16, 1
	v_add3_u32 v25, v6, v10, s21
                                        ; implicit-def: $vgpr6
; %bb.965:                              ;   in Loop: Header=BB369_523 Depth=1
	s_andn2_saveexec_b64 s[12:13], s[4:5]
; %bb.966:                              ;   in Loop: Header=BB369_523 Depth=1
	v_or_b32_e32 v10, 0x10000, v6
	v_cmp_eq_u32_sdwa s[4:5], v6, v11 src0_sel:WORD_0 src1_sel:DWORD
	v_cndmask_b32_e64 v25, v10, v6, s[4:5]
; %bb.967:                              ;   in Loop: Header=BB369_523 Depth=1
	s_or_b64 exec, exec, s[12:13]
	v_cmp_lt_u64_e64 s[4:5], s[8:9], v[2:3]
	v_mov_b32_e32 v6, 0
	s_and_saveexec_b64 s[12:13], s[4:5]
	s_cbranch_execz .LBB369_973
; %bb.968:                              ;   in Loop: Header=BB369_523 Depth=1
	v_lshrrev_b32_e32 v2, 24, v3
	v_cmp_ne_u32_e64 s[4:5], s28, v2
	v_bfrev_b32_e32 v6, 1
	s_and_saveexec_b64 s[24:25], s[4:5]
	s_cbranch_execz .LBB369_972
; %bb.969:                              ;   in Loop: Header=BB369_523 Depth=1
	v_bfe_u32 v3, v3, 24, 7
	v_cmp_ne_u32_e64 s[4:5], s29, v3
	v_mov_b32_e32 v6, 0x7f800001
	s_and_saveexec_b64 s[26:27], s[4:5]
	s_cbranch_execz .LBB369_971
; %bb.970:                              ;   in Loop: Header=BB369_523 Depth=1
	v_and_b32_e32 v6, 7, v2
	v_ffbh_u32_e32 v27, v6
	v_min_u32_e32 v27, 32, v27
	v_subrev_u32_e32 v29, 28, v27
	v_lshlrev_b64 v[34:35], v29, v[2:3]
	v_lshrrev_b32_e32 v10, 3, v3
	v_sub_u32_e32 v27, 29, v27
	v_and_b32_e32 v29, 7, v34
	v_cmp_gt_u32_e64 s[4:5], 8, v3
	v_cndmask_b32_e64 v3, v10, v27, s[4:5]
	v_cndmask_b32_e64 v6, v6, v29, s[4:5]
	v_lshlrev_b32_e32 v2, 24, v2
	v_lshlrev_b32_e32 v6, 20, v6
	v_and_b32_e32 v2, 0x80000000, v2
	v_lshl_add_u32 v3, v3, 23, v56
	v_or3_b32 v6, v2, v3, v6
.LBB369_971:                            ;   in Loop: Header=BB369_523 Depth=1
	s_or_b64 exec, exec, s[26:27]
.LBB369_972:                            ;   in Loop: Header=BB369_523 Depth=1
	s_or_b64 exec, exec, s[24:25]
.LBB369_973:                            ;   in Loop: Header=BB369_523 Depth=1
	s_or_b64 exec, exec, s[12:13]
	v_mul_f32_e32 v3, v26, v6
	v_and_b32_e32 v2, 0x7f800000, v3
	v_cmp_ne_u32_e64 s[4:5], s15, v2
                                        ; implicit-def: $vgpr2
	s_and_saveexec_b64 s[12:13], s[4:5]
	s_xor_b64 s[4:5], exec, s[12:13]
; %bb.974:                              ;   in Loop: Header=BB369_523 Depth=1
	v_bfe_u32 v2, v3, 16, 1
	v_add3_u32 v2, v3, v2, s21
                                        ; implicit-def: $vgpr3
; %bb.975:                              ;   in Loop: Header=BB369_523 Depth=1
	s_andn2_saveexec_b64 s[12:13], s[4:5]
; %bb.976:                              ;   in Loop: Header=BB369_523 Depth=1
	v_or_b32_e32 v2, 0x10000, v3
	v_cmp_eq_u32_sdwa s[4:5], v3, v11 src0_sel:WORD_0 src1_sel:DWORD
	v_cndmask_b32_e64 v2, v2, v3, s[4:5]
; %bb.977:                              ;   in Loop: Header=BB369_523 Depth=1
	s_or_b64 exec, exec, s[12:13]
	v_lshrrev_b32_e32 v5, 16, v5
	v_lshrrev_b32_e32 v6, 16, v24
	v_lshrrev_b32_e32 v10, 16, v22
	v_lshrrev_b32_e32 v9, 16, v9
	v_lshrrev_b32_e32 v8, 16, v8
	v_lshrrev_b32_e32 v7, 16, v7
	v_lshrrev_b32_e32 v3, 16, v25
	v_lshrrev_b32_e32 v2, 16, v2
	s_and_saveexec_b64 s[12:13], vcc
	s_cbranch_execz .LBB369_979
; %bb.978:                              ;   in Loop: Header=BB369_523 Depth=1
	v_cmp_lt_i32_e64 s[4:5], v31, v32
	v_accvgpr_read_b32 v22, a25
	v_cndmask_b32_e64 v7, 0, v7, s[4:5]
	v_cmp_lt_i32_e64 s[4:5], v22, v32
	v_accvgpr_read_b32 v22, a24
	v_cndmask_b32_e64 v8, 0, v8, s[4:5]
	;; [unrolled: 3-line block ×6, first 2 shown]
	v_cmp_lt_i32_e64 s[4:5], v22, v32
	v_cndmask_b32_e64 v3, 0, v3, s[4:5]
	v_cmp_lt_i32_e64 s[4:5], v17, v32
	v_cndmask_b32_e64 v2, 0, v2, s[4:5]
.LBB369_979:                            ;   in Loop: Header=BB369_523 Depth=1
	s_or_b64 exec, exec, s[12:13]
	v_lshlrev_b32_e32 v7, 16, v7
	v_mul_f32_e32 v7, v55, v7
	v_and_b32_e32 v22, 0x7f800000, v7
	v_cmp_ne_u32_e64 s[4:5], s15, v22
                                        ; implicit-def: $vgpr24
	s_and_saveexec_b64 s[12:13], s[4:5]
	s_xor_b64 s[4:5], exec, s[12:13]
; %bb.980:                              ;   in Loop: Header=BB369_523 Depth=1
	v_bfe_u32 v22, v7, 16, 1
	v_add3_u32 v24, v7, v22, s21
                                        ; implicit-def: $vgpr7
; %bb.981:                              ;   in Loop: Header=BB369_523 Depth=1
	s_andn2_saveexec_b64 s[12:13], s[4:5]
; %bb.982:                              ;   in Loop: Header=BB369_523 Depth=1
	v_or_b32_e32 v22, 0x10000, v7
	v_cmp_eq_u32_sdwa s[4:5], v7, v11 src0_sel:WORD_0 src1_sel:DWORD
	v_cndmask_b32_e64 v24, v22, v7, s[4:5]
; %bb.983:                              ;   in Loop: Header=BB369_523 Depth=1
	s_or_b64 exec, exec, s[12:13]
	v_lshlrev_b32_e32 v7, 16, v8
	v_mul_f32_e32 v7, v40, v7
	v_and_b32_e32 v8, 0x7f800000, v7
	v_cmp_ne_u32_e64 s[4:5], s15, v8
                                        ; implicit-def: $vgpr25
	s_and_saveexec_b64 s[12:13], s[4:5]
	s_xor_b64 s[4:5], exec, s[12:13]
; %bb.984:                              ;   in Loop: Header=BB369_523 Depth=1
	v_bfe_u32 v8, v7, 16, 1
	v_add3_u32 v25, v7, v8, s21
                                        ; implicit-def: $vgpr7
; %bb.985:                              ;   in Loop: Header=BB369_523 Depth=1
	s_andn2_saveexec_b64 s[12:13], s[4:5]
; %bb.986:                              ;   in Loop: Header=BB369_523 Depth=1
	v_or_b32_e32 v8, 0x10000, v7
	v_cmp_eq_u32_sdwa s[4:5], v7, v11 src0_sel:WORD_0 src1_sel:DWORD
	v_cndmask_b32_e64 v25, v8, v7, s[4:5]
; %bb.987:                              ;   in Loop: Header=BB369_523 Depth=1
	s_or_b64 exec, exec, s[12:13]
	v_lshlrev_b32_e32 v7, 16, v9
	v_mul_f32_e32 v8, v41, v7
	v_and_b32_e32 v7, 0x7f800000, v8
	v_cmp_ne_u32_e64 s[4:5], s15, v7
                                        ; implicit-def: $vgpr7
	s_and_saveexec_b64 s[12:13], s[4:5]
	s_xor_b64 s[4:5], exec, s[12:13]
; %bb.988:                              ;   in Loop: Header=BB369_523 Depth=1
	v_bfe_u32 v7, v8, 16, 1
	v_add3_u32 v7, v8, v7, s21
                                        ; implicit-def: $vgpr8
; %bb.989:                              ;   in Loop: Header=BB369_523 Depth=1
	s_andn2_saveexec_b64 s[12:13], s[4:5]
; %bb.990:                              ;   in Loop: Header=BB369_523 Depth=1
	v_or_b32_e32 v7, 0x10000, v8
	v_cmp_eq_u32_sdwa s[4:5], v8, v11 src0_sel:WORD_0 src1_sel:DWORD
	v_cndmask_b32_e64 v7, v7, v8, s[4:5]
; %bb.991:                              ;   in Loop: Header=BB369_523 Depth=1
	s_or_b64 exec, exec, s[12:13]
	v_lshlrev_b32_e32 v8, 16, v10
	v_mul_f32_e32 v8, v42, v8
	v_and_b32_e32 v9, 0x7f800000, v8
	v_cmp_ne_u32_e64 s[4:5], s15, v9
                                        ; implicit-def: $vgpr22
	s_and_saveexec_b64 s[12:13], s[4:5]
	s_xor_b64 s[4:5], exec, s[12:13]
; %bb.992:                              ;   in Loop: Header=BB369_523 Depth=1
	v_bfe_u32 v9, v8, 16, 1
	v_add3_u32 v22, v8, v9, s21
                                        ; implicit-def: $vgpr8
; %bb.993:                              ;   in Loop: Header=BB369_523 Depth=1
	s_andn2_saveexec_b64 s[12:13], s[4:5]
; %bb.994:                              ;   in Loop: Header=BB369_523 Depth=1
	v_or_b32_e32 v9, 0x10000, v8
	v_cmp_eq_u32_sdwa s[4:5], v8, v11 src0_sel:WORD_0 src1_sel:DWORD
	v_cndmask_b32_e64 v22, v9, v8, s[4:5]
; %bb.995:                              ;   in Loop: Header=BB369_523 Depth=1
	s_or_b64 exec, exec, s[12:13]
	v_lshlrev_b32_e32 v6, 16, v6
	v_mul_f32_e32 v6, v43, v6
	v_and_b32_e32 v8, 0x7f800000, v6
	v_cmp_ne_u32_e64 s[4:5], s15, v8
                                        ; implicit-def: $vgpr8
	s_and_saveexec_b64 s[12:13], s[4:5]
	s_xor_b64 s[4:5], exec, s[12:13]
; %bb.996:                              ;   in Loop: Header=BB369_523 Depth=1
	v_bfe_u32 v8, v6, 16, 1
	v_add3_u32 v8, v6, v8, s21
                                        ; implicit-def: $vgpr6
; %bb.997:                              ;   in Loop: Header=BB369_523 Depth=1
	s_andn2_saveexec_b64 s[12:13], s[4:5]
; %bb.998:                              ;   in Loop: Header=BB369_523 Depth=1
	v_or_b32_e32 v8, 0x10000, v6
	v_cmp_eq_u32_sdwa s[4:5], v6, v11 src0_sel:WORD_0 src1_sel:DWORD
	v_cndmask_b32_e64 v8, v8, v6, s[4:5]
; %bb.999:                              ;   in Loop: Header=BB369_523 Depth=1
	s_or_b64 exec, exec, s[12:13]
	v_lshlrev_b32_e32 v5, 16, v5
	v_mul_f32_e32 v5, v44, v5
	v_and_b32_e32 v6, 0x7f800000, v5
	v_cmp_ne_u32_e64 s[4:5], s15, v6
                                        ; implicit-def: $vgpr9
	s_and_saveexec_b64 s[12:13], s[4:5]
	s_xor_b64 s[4:5], exec, s[12:13]
; %bb.1000:                             ;   in Loop: Header=BB369_523 Depth=1
	v_bfe_u32 v6, v5, 16, 1
	v_add3_u32 v9, v5, v6, s21
                                        ; implicit-def: $vgpr5
; %bb.1001:                             ;   in Loop: Header=BB369_523 Depth=1
	s_andn2_saveexec_b64 s[12:13], s[4:5]
; %bb.1002:                             ;   in Loop: Header=BB369_523 Depth=1
	v_or_b32_e32 v6, 0x10000, v5
	v_cmp_eq_u32_sdwa s[4:5], v5, v11 src0_sel:WORD_0 src1_sel:DWORD
	v_cndmask_b32_e64 v9, v6, v5, s[4:5]
; %bb.1003:                             ;   in Loop: Header=BB369_523 Depth=1
	s_or_b64 exec, exec, s[12:13]
	v_lshlrev_b32_e32 v3, 16, v3
	v_mul_f32_e32 v3, v45, v3
	v_and_b32_e32 v5, 0x7f800000, v3
	v_cmp_ne_u32_e64 s[4:5], s15, v5
                                        ; implicit-def: $vgpr35
	s_and_saveexec_b64 s[12:13], s[4:5]
	s_xor_b64 s[4:5], exec, s[12:13]
; %bb.1004:                             ;   in Loop: Header=BB369_523 Depth=1
	v_bfe_u32 v5, v3, 16, 1
	v_add3_u32 v35, v3, v5, s21
                                        ; implicit-def: $vgpr3
; %bb.1005:                             ;   in Loop: Header=BB369_523 Depth=1
	s_andn2_saveexec_b64 s[12:13], s[4:5]
; %bb.1006:                             ;   in Loop: Header=BB369_523 Depth=1
	v_or_b32_e32 v5, 0x10000, v3
	v_cmp_eq_u32_sdwa s[4:5], v3, v11 src0_sel:WORD_0 src1_sel:DWORD
	v_cndmask_b32_e64 v35, v5, v3, s[4:5]
; %bb.1007:                             ;   in Loop: Header=BB369_523 Depth=1
	s_or_b64 exec, exec, s[12:13]
	v_lshlrev_b32_e32 v2, 16, v2
	v_mul_f32_e32 v2, v46, v2
	v_and_b32_e32 v3, 0x7f800000, v2
	v_cmp_ne_u32_e64 s[4:5], s15, v3
                                        ; implicit-def: $vgpr36
	s_and_saveexec_b64 s[12:13], s[4:5]
	s_xor_b64 s[4:5], exec, s[12:13]
; %bb.1008:                             ;   in Loop: Header=BB369_523 Depth=1
	v_bfe_u32 v3, v2, 16, 1
	v_add3_u32 v36, v2, v3, s21
                                        ; implicit-def: $vgpr2
; %bb.1009:                             ;   in Loop: Header=BB369_523 Depth=1
	s_andn2_saveexec_b64 s[12:13], s[4:5]
; %bb.1010:                             ;   in Loop: Header=BB369_523 Depth=1
	v_or_b32_e32 v3, 0x10000, v2
	v_cmp_eq_u32_sdwa s[4:5], v2, v11 src0_sel:WORD_0 src1_sel:DWORD
	v_cndmask_b32_e64 v36, v3, v2, s[4:5]
; %bb.1011:                             ;   in Loop: Header=BB369_523 Depth=1
	s_or_b64 exec, exec, s[12:13]
	flat_load_dwordx2 v[2:3], v[0:1] offset:2048
	v_mov_b32_e32 v5, 0
	s_waitcnt vmcnt(0) lgkmcnt(0)
	v_cmp_ne_u16_sdwa s[4:5], v2, v11 src0_sel:BYTE_0 src1_sel:DWORD
	s_and_saveexec_b64 s[12:13], s[4:5]
	s_cbranch_execz .LBB369_1017
; %bb.1012:                             ;   in Loop: Header=BB369_523 Depth=1
	v_cmp_ne_u16_sdwa s[4:5], v2, s28 src0_sel:BYTE_0 src1_sel:DWORD
	v_bfrev_b32_e32 v5, 1
	s_and_saveexec_b64 s[24:25], s[4:5]
	s_cbranch_execz .LBB369_1016
; %bb.1013:                             ;   in Loop: Header=BB369_523 Depth=1
	v_and_b32_e32 v6, 0x7f, v2
	v_cmp_ne_u32_e64 s[4:5], s29, v6
	v_mov_b32_e32 v5, 0x7f800001
	s_and_saveexec_b64 s[26:27], s[4:5]
	s_cbranch_execz .LBB369_1015
; %bb.1014:                             ;   in Loop: Header=BB369_523 Depth=1
	v_and_b32_e32 v5, 7, v2
	v_ffbh_u32_e32 v5, v5
	v_min_u32_e32 v5, 32, v5
	v_subrev_u32_e32 v27, 28, v5
	v_cmp_gt_u32_e64 s[4:5], 8, v6
	v_lshrrev_b32_e32 v10, 3, v6
	v_cndmask_b32_e64 v6, 0, v27, s[4:5]
	v_sub_u32_e32 v5, 29, v5
	v_lshlrev_b64 v[38:39], v6, v[2:3]
	v_cndmask_b32_e64 v5, v10, v5, s[4:5]
	v_lshlrev_b32_e32 v6, 20, v38
	v_lshlrev_b32_e32 v10, 24, v2
	v_and_b32_e32 v6, 0x700000, v6
	v_and_b32_e32 v10, 0x80000000, v10
	v_lshl_add_u32 v5, v5, 23, v56
	v_or3_b32 v5, v10, v5, v6
.LBB369_1015:                           ;   in Loop: Header=BB369_523 Depth=1
	s_or_b64 exec, exec, s[26:27]
.LBB369_1016:                           ;   in Loop: Header=BB369_523 Depth=1
	s_or_b64 exec, exec, s[24:25]
.LBB369_1017:                           ;   in Loop: Header=BB369_523 Depth=1
	s_or_b64 exec, exec, s[12:13]
	v_mul_f32_e32 v5, v26, v5
	v_and_b32_e32 v6, 0x7f800000, v5
	v_cmp_ne_u32_e64 s[4:5], s15, v6
                                        ; implicit-def: $vgpr37
	s_and_saveexec_b64 s[12:13], s[4:5]
	s_xor_b64 s[4:5], exec, s[12:13]
; %bb.1018:                             ;   in Loop: Header=BB369_523 Depth=1
	v_bfe_u32 v6, v5, 16, 1
	v_add3_u32 v37, v5, v6, s21
                                        ; implicit-def: $vgpr5
; %bb.1019:                             ;   in Loop: Header=BB369_523 Depth=1
	s_andn2_saveexec_b64 s[12:13], s[4:5]
; %bb.1020:                             ;   in Loop: Header=BB369_523 Depth=1
	v_or_b32_e32 v6, 0x10000, v5
	v_cmp_eq_u32_sdwa s[4:5], v5, v11 src0_sel:WORD_0 src1_sel:DWORD
	v_cndmask_b32_e64 v37, v6, v5, s[4:5]
; %bb.1021:                             ;   in Loop: Header=BB369_523 Depth=1
	s_or_b64 exec, exec, s[12:13]
	v_lshrrev_b16_e32 v6, 8, v2
	v_cmp_ne_u16_e64 s[4:5], 0, v6
	v_mov_b32_e32 v5, 0
	s_and_saveexec_b64 s[12:13], s[4:5]
	s_cbranch_execz .LBB369_1027
; %bb.1022:                             ;   in Loop: Header=BB369_523 Depth=1
	v_cmp_ne_u16_e64 s[4:5], s28, v6
	v_bfrev_b32_e32 v5, 1
	s_and_saveexec_b64 s[24:25], s[4:5]
	s_cbranch_execz .LBB369_1026
; %bb.1023:                             ;   in Loop: Header=BB369_523 Depth=1
	v_and_b32_e32 v10, 0x7f, v6
	v_cmp_ne_u32_e64 s[4:5], s29, v10
	v_mov_b32_e32 v5, 0x7f800001
	s_and_saveexec_b64 s[26:27], s[4:5]
	s_cbranch_execz .LBB369_1025
; %bb.1024:                             ;   in Loop: Header=BB369_523 Depth=1
	v_and_b32_e32 v5, 7, v6
	v_ffbh_u32_e32 v29, v5
	v_min_u32_e32 v29, 32, v29
	v_subrev_u32_e32 v34, 28, v29
	v_lshlrev_b64 v[38:39], v34, v[6:7]
	v_lshrrev_b32_e32 v27, 3, v10
	v_sub_u32_e32 v6, 29, v29
	v_and_b32_e32 v29, 7, v38
	v_cmp_gt_u32_e64 s[4:5], 8, v10
	v_cndmask_b32_e64 v6, v27, v6, s[4:5]
	v_cndmask_b32_e64 v5, v5, v29, s[4:5]
	v_lshlrev_b32_e32 v10, 16, v2
	v_lshlrev_b32_e32 v5, 20, v5
	v_and_b32_e32 v10, 0x80000000, v10
	v_lshl_add_u32 v6, v6, 23, v56
	v_or3_b32 v5, v10, v6, v5
.LBB369_1025:                           ;   in Loop: Header=BB369_523 Depth=1
	s_or_b64 exec, exec, s[26:27]
.LBB369_1026:                           ;   in Loop: Header=BB369_523 Depth=1
	s_or_b64 exec, exec, s[24:25]
.LBB369_1027:                           ;   in Loop: Header=BB369_523 Depth=1
	s_or_b64 exec, exec, s[12:13]
	v_mul_f32_e32 v5, v26, v5
	v_and_b32_e32 v6, 0x7f800000, v5
	v_cmp_ne_u32_e64 s[4:5], s15, v6
                                        ; implicit-def: $vgpr38
	s_and_saveexec_b64 s[12:13], s[4:5]
	s_xor_b64 s[4:5], exec, s[12:13]
; %bb.1028:                             ;   in Loop: Header=BB369_523 Depth=1
	v_bfe_u32 v6, v5, 16, 1
	v_add3_u32 v38, v5, v6, s21
                                        ; implicit-def: $vgpr5
; %bb.1029:                             ;   in Loop: Header=BB369_523 Depth=1
	s_andn2_saveexec_b64 s[12:13], s[4:5]
; %bb.1030:                             ;   in Loop: Header=BB369_523 Depth=1
	v_or_b32_e32 v6, 0x10000, v5
	v_cmp_eq_u32_sdwa s[4:5], v5, v11 src0_sel:WORD_0 src1_sel:DWORD
	v_cndmask_b32_e64 v38, v6, v5, s[4:5]
; %bb.1031:                             ;   in Loop: Header=BB369_523 Depth=1
	s_or_b64 exec, exec, s[12:13]
	v_lshrrev_b32_e32 v6, 16, v2
	v_cmp_ne_u16_sdwa s[4:5], v6, v11 src0_sel:BYTE_0 src1_sel:DWORD
	v_mov_b32_e32 v5, 0
	s_and_saveexec_b64 s[12:13], s[4:5]
	s_cbranch_execz .LBB369_1037
; %bb.1032:                             ;   in Loop: Header=BB369_523 Depth=1
	v_cmp_ne_u16_sdwa s[4:5], v6, s28 src0_sel:BYTE_0 src1_sel:DWORD
	v_bfrev_b32_e32 v5, 1
	s_and_saveexec_b64 s[24:25], s[4:5]
	s_cbranch_execz .LBB369_1036
; %bb.1033:                             ;   in Loop: Header=BB369_523 Depth=1
	v_bfe_u32 v10, v2, 16, 7
	v_cmp_ne_u32_e64 s[4:5], s29, v10
	v_mov_b32_e32 v5, 0x7f800001
	s_and_saveexec_b64 s[26:27], s[4:5]
	s_cbranch_execz .LBB369_1035
; %bb.1034:                             ;   in Loop: Header=BB369_523 Depth=1
	v_and_b32_e32 v5, 7, v6
	v_ffbh_u32_e32 v29, v5
	v_min_u32_e32 v29, 32, v29
	v_subrev_u32_e32 v34, 28, v29
	v_lshlrev_b64 v[48:49], v34, v[6:7]
	v_lshrrev_b32_e32 v27, 3, v10
	v_sub_u32_e32 v29, 29, v29
	v_and_b32_e32 v34, 7, v48
	v_cmp_gt_u32_e64 s[4:5], 8, v10
	v_cndmask_b32_e64 v10, v27, v29, s[4:5]
	v_cndmask_b32_e64 v5, v5, v34, s[4:5]
	v_lshlrev_b32_e32 v6, 24, v6
	v_lshlrev_b32_e32 v5, 20, v5
	v_and_b32_e32 v6, 0x80000000, v6
	v_lshl_add_u32 v10, v10, 23, v56
	v_or3_b32 v5, v6, v10, v5
.LBB369_1035:                           ;   in Loop: Header=BB369_523 Depth=1
	s_or_b64 exec, exec, s[26:27]
.LBB369_1036:                           ;   in Loop: Header=BB369_523 Depth=1
	s_or_b64 exec, exec, s[24:25]
.LBB369_1037:                           ;   in Loop: Header=BB369_523 Depth=1
	s_or_b64 exec, exec, s[12:13]
	v_mul_f32_e32 v5, v26, v5
	v_and_b32_e32 v6, 0x7f800000, v5
	v_cmp_ne_u32_e64 s[4:5], s15, v6
                                        ; implicit-def: $vgpr39
	s_and_saveexec_b64 s[12:13], s[4:5]
	s_xor_b64 s[4:5], exec, s[12:13]
; %bb.1038:                             ;   in Loop: Header=BB369_523 Depth=1
	v_bfe_u32 v6, v5, 16, 1
	v_add3_u32 v39, v5, v6, s21
                                        ; implicit-def: $vgpr5
; %bb.1039:                             ;   in Loop: Header=BB369_523 Depth=1
	s_andn2_saveexec_b64 s[12:13], s[4:5]
; %bb.1040:                             ;   in Loop: Header=BB369_523 Depth=1
	v_or_b32_e32 v6, 0x10000, v5
	v_cmp_eq_u32_sdwa s[4:5], v5, v11 src0_sel:WORD_0 src1_sel:DWORD
	v_cndmask_b32_e64 v39, v6, v5, s[4:5]
; %bb.1041:                             ;   in Loop: Header=BB369_523 Depth=1
	s_or_b64 exec, exec, s[12:13]
	v_cmp_lt_u32_e64 s[4:5], s9, v2
	v_mov_b32_e32 v5, 0
	s_and_saveexec_b64 s[12:13], s[4:5]
	s_cbranch_execz .LBB369_1047
; %bb.1042:                             ;   in Loop: Header=BB369_523 Depth=1
	v_lshrrev_b32_e32 v6, 24, v2
	v_cmp_ne_u32_e64 s[4:5], s28, v6
	v_bfrev_b32_e32 v5, 1
	s_and_saveexec_b64 s[24:25], s[4:5]
	s_cbranch_execz .LBB369_1046
; %bb.1043:                             ;   in Loop: Header=BB369_523 Depth=1
	v_bfe_u32 v10, v2, 24, 7
	v_cmp_ne_u32_e64 s[4:5], s29, v10
	v_mov_b32_e32 v5, 0x7f800001
	s_and_saveexec_b64 s[26:27], s[4:5]
	s_cbranch_execz .LBB369_1045
; %bb.1044:                             ;   in Loop: Header=BB369_523 Depth=1
	v_and_b32_e32 v5, 7, v6
	v_ffbh_u32_e32 v29, v5
	v_min_u32_e32 v29, 32, v29
	v_subrev_u32_e32 v34, 28, v29
	v_lshlrev_b64 v[48:49], v34, v[6:7]
	v_lshrrev_b32_e32 v27, 3, v10
	v_sub_u32_e32 v29, 29, v29
	v_and_b32_e32 v34, 7, v48
	v_cmp_gt_u32_e64 s[4:5], 8, v10
	v_cndmask_b32_e64 v10, v27, v29, s[4:5]
	v_cndmask_b32_e64 v5, v5, v34, s[4:5]
	v_lshlrev_b32_e32 v6, 24, v6
	v_lshlrev_b32_e32 v5, 20, v5
	v_and_b32_e32 v6, 0x80000000, v6
	v_lshl_add_u32 v10, v10, 23, v56
	v_or3_b32 v5, v6, v10, v5
.LBB369_1045:                           ;   in Loop: Header=BB369_523 Depth=1
	s_or_b64 exec, exec, s[26:27]
.LBB369_1046:                           ;   in Loop: Header=BB369_523 Depth=1
	s_or_b64 exec, exec, s[24:25]
.LBB369_1047:                           ;   in Loop: Header=BB369_523 Depth=1
	s_or_b64 exec, exec, s[12:13]
	v_mul_f32_e32 v5, v26, v5
	v_and_b32_e32 v6, 0x7f800000, v5
	v_cmp_ne_u32_e64 s[4:5], s15, v6
                                        ; implicit-def: $vgpr48
	s_and_saveexec_b64 s[12:13], s[4:5]
	s_xor_b64 s[4:5], exec, s[12:13]
; %bb.1048:                             ;   in Loop: Header=BB369_523 Depth=1
	v_bfe_u32 v6, v5, 16, 1
	v_add3_u32 v48, v5, v6, s21
                                        ; implicit-def: $vgpr5
; %bb.1049:                             ;   in Loop: Header=BB369_523 Depth=1
	s_andn2_saveexec_b64 s[12:13], s[4:5]
; %bb.1050:                             ;   in Loop: Header=BB369_523 Depth=1
	v_or_b32_e32 v6, 0x10000, v5
	v_cmp_eq_u32_sdwa s[4:5], v5, v11 src0_sel:WORD_0 src1_sel:DWORD
	v_cndmask_b32_e64 v48, v6, v5, s[4:5]
; %bb.1051:                             ;   in Loop: Header=BB369_523 Depth=1
	s_or_b64 exec, exec, s[12:13]
	v_mov_b32_e32 v10, v3
	v_cmp_ne_u16_sdwa s[4:5], v3, v11 src0_sel:BYTE_0 src1_sel:DWORD
	v_mov_b32_e32 v5, 0
	s_and_saveexec_b64 s[12:13], s[4:5]
	s_cbranch_execz .LBB369_1057
; %bb.1052:                             ;   in Loop: Header=BB369_523 Depth=1
	v_cmp_ne_u16_sdwa s[4:5], v3, s28 src0_sel:BYTE_0 src1_sel:DWORD
	v_bfrev_b32_e32 v5, 1
	s_and_saveexec_b64 s[24:25], s[4:5]
	s_cbranch_execz .LBB369_1056
; %bb.1053:                             ;   in Loop: Header=BB369_523 Depth=1
	v_and_b32_e32 v6, 0x7f, v3
	v_cmp_ne_u32_e64 s[4:5], s29, v6
	v_mov_b32_e32 v5, 0x7f800001
	s_and_saveexec_b64 s[26:27], s[4:5]
	s_cbranch_execz .LBB369_1055
; %bb.1054:                             ;   in Loop: Header=BB369_523 Depth=1
	v_and_b32_e32 v5, 7, v3
	v_ffbh_u32_e32 v5, v5
	v_min_u32_e32 v5, 32, v5
	v_subrev_u32_e32 v29, 28, v5
	v_cmp_gt_u32_e64 s[4:5], 8, v6
	v_lshrrev_b32_e32 v27, 3, v6
	v_cndmask_b32_e64 v6, 0, v29, s[4:5]
	v_sub_u32_e32 v5, 29, v5
	v_lshlrev_b64 v[50:51], v6, v[10:11]
	v_cndmask_b32_e64 v5, v27, v5, s[4:5]
	v_lshlrev_b32_e32 v6, 20, v50
	v_lshlrev_b32_e32 v27, 24, v10
	v_and_b32_e32 v6, 0x700000, v6
	v_and_b32_e32 v27, 0x80000000, v27
	v_lshl_add_u32 v5, v5, 23, v56
	v_or3_b32 v5, v27, v5, v6
.LBB369_1055:                           ;   in Loop: Header=BB369_523 Depth=1
	s_or_b64 exec, exec, s[26:27]
.LBB369_1056:                           ;   in Loop: Header=BB369_523 Depth=1
	s_or_b64 exec, exec, s[24:25]
.LBB369_1057:                           ;   in Loop: Header=BB369_523 Depth=1
	s_or_b64 exec, exec, s[12:13]
	v_mul_f32_e32 v5, v26, v5
	v_and_b32_e32 v6, 0x7f800000, v5
	v_cmp_ne_u32_e64 s[4:5], s15, v6
                                        ; implicit-def: $vgpr49
	s_and_saveexec_b64 s[12:13], s[4:5]
	s_xor_b64 s[4:5], exec, s[12:13]
; %bb.1058:                             ;   in Loop: Header=BB369_523 Depth=1
	v_bfe_u32 v6, v5, 16, 1
	v_add3_u32 v49, v5, v6, s21
                                        ; implicit-def: $vgpr5
; %bb.1059:                             ;   in Loop: Header=BB369_523 Depth=1
	s_andn2_saveexec_b64 s[12:13], s[4:5]
; %bb.1060:                             ;   in Loop: Header=BB369_523 Depth=1
	v_or_b32_e32 v6, 0x10000, v5
	v_cmp_eq_u32_sdwa s[4:5], v5, v11 src0_sel:WORD_0 src1_sel:DWORD
	v_cndmask_b32_e64 v49, v6, v5, s[4:5]
; %bb.1061:                             ;   in Loop: Header=BB369_523 Depth=1
	s_or_b64 exec, exec, s[12:13]
	v_lshrrev_b16_e32 v6, 8, v10
	v_cmp_ne_u16_e64 s[4:5], 0, v6
	v_mov_b32_e32 v5, 0
	s_and_saveexec_b64 s[12:13], s[4:5]
	s_cbranch_execz .LBB369_1067
; %bb.1062:                             ;   in Loop: Header=BB369_523 Depth=1
	v_cmp_ne_u16_e64 s[4:5], s28, v6
	v_bfrev_b32_e32 v5, 1
	s_and_saveexec_b64 s[24:25], s[4:5]
	s_cbranch_execz .LBB369_1066
; %bb.1063:                             ;   in Loop: Header=BB369_523 Depth=1
	v_and_b32_e32 v27, 0x7f, v6
	v_cmp_ne_u32_e64 s[4:5], s29, v27
	v_mov_b32_e32 v5, 0x7f800001
	s_and_saveexec_b64 s[26:27], s[4:5]
	s_cbranch_execz .LBB369_1065
; %bb.1064:                             ;   in Loop: Header=BB369_523 Depth=1
	v_and_b32_e32 v5, 7, v6
	v_ffbh_u32_e32 v34, v5
	v_min_u32_e32 v34, 32, v34
	v_subrev_u32_e32 v50, 28, v34
	v_lshlrev_b64 v[50:51], v50, v[6:7]
	v_lshrrev_b32_e32 v29, 3, v27
	v_sub_u32_e32 v6, 29, v34
	v_and_b32_e32 v34, 7, v50
	v_cmp_gt_u32_e64 s[4:5], 8, v27
	v_cndmask_b32_e64 v6, v29, v6, s[4:5]
	v_cndmask_b32_e64 v5, v5, v34, s[4:5]
	v_lshlrev_b32_e32 v10, 16, v10
	v_lshlrev_b32_e32 v5, 20, v5
	v_and_b32_e32 v10, 0x80000000, v10
	v_lshl_add_u32 v6, v6, 23, v56
	v_or3_b32 v5, v10, v6, v5
.LBB369_1065:                           ;   in Loop: Header=BB369_523 Depth=1
	s_or_b64 exec, exec, s[26:27]
.LBB369_1066:                           ;   in Loop: Header=BB369_523 Depth=1
	s_or_b64 exec, exec, s[24:25]
.LBB369_1067:                           ;   in Loop: Header=BB369_523 Depth=1
	s_or_b64 exec, exec, s[12:13]
	v_mul_f32_e32 v6, v26, v5
	v_and_b32_e32 v5, 0x7f800000, v6
	v_cmp_ne_u32_e64 s[4:5], s15, v5
                                        ; implicit-def: $vgpr5
	s_and_saveexec_b64 s[12:13], s[4:5]
	s_xor_b64 s[4:5], exec, s[12:13]
; %bb.1068:                             ;   in Loop: Header=BB369_523 Depth=1
	v_bfe_u32 v5, v6, 16, 1
	v_add3_u32 v5, v6, v5, s21
                                        ; implicit-def: $vgpr6
; %bb.1069:                             ;   in Loop: Header=BB369_523 Depth=1
	s_andn2_saveexec_b64 s[12:13], s[4:5]
; %bb.1070:                             ;   in Loop: Header=BB369_523 Depth=1
	v_or_b32_e32 v5, 0x10000, v6
	v_cmp_eq_u32_sdwa s[4:5], v6, v11 src0_sel:WORD_0 src1_sel:DWORD
	v_cndmask_b32_e64 v5, v5, v6, s[4:5]
; %bb.1071:                             ;   in Loop: Header=BB369_523 Depth=1
	s_or_b64 exec, exec, s[12:13]
	v_lshrrev_b32_e32 v6, 16, v3
	v_cmp_ne_u16_sdwa s[4:5], v6, v11 src0_sel:BYTE_0 src1_sel:DWORD
	v_mov_b32_e32 v10, 0
	s_and_saveexec_b64 s[12:13], s[4:5]
	s_cbranch_execz .LBB369_1077
; %bb.1072:                             ;   in Loop: Header=BB369_523 Depth=1
	v_cmp_ne_u16_sdwa s[4:5], v6, s28 src0_sel:BYTE_0 src1_sel:DWORD
	v_bfrev_b32_e32 v10, 1
	s_and_saveexec_b64 s[24:25], s[4:5]
	s_cbranch_execz .LBB369_1076
; %bb.1073:                             ;   in Loop: Header=BB369_523 Depth=1
	v_bfe_u32 v27, v3, 16, 7
	v_cmp_ne_u32_e64 s[4:5], s29, v27
	v_mov_b32_e32 v10, 0x7f800001
	s_and_saveexec_b64 s[26:27], s[4:5]
	s_cbranch_execz .LBB369_1075
; %bb.1074:                             ;   in Loop: Header=BB369_523 Depth=1
	v_and_b32_e32 v10, 7, v6
	v_ffbh_u32_e32 v34, v10
	v_min_u32_e32 v34, 32, v34
	v_subrev_u32_e32 v50, 28, v34
	v_lshlrev_b64 v[50:51], v50, v[6:7]
	v_lshrrev_b32_e32 v29, 3, v27
	v_sub_u32_e32 v34, 29, v34
	v_and_b32_e32 v50, 7, v50
	v_cmp_gt_u32_e64 s[4:5], 8, v27
	v_cndmask_b32_e64 v27, v29, v34, s[4:5]
	v_cndmask_b32_e64 v10, v10, v50, s[4:5]
	v_lshlrev_b32_e32 v6, 24, v6
	v_lshlrev_b32_e32 v10, 20, v10
	v_and_b32_e32 v6, 0x80000000, v6
	v_lshl_add_u32 v27, v27, 23, v56
	v_or3_b32 v10, v6, v27, v10
.LBB369_1075:                           ;   in Loop: Header=BB369_523 Depth=1
	s_or_b64 exec, exec, s[26:27]
.LBB369_1076:                           ;   in Loop: Header=BB369_523 Depth=1
	s_or_b64 exec, exec, s[24:25]
.LBB369_1077:                           ;   in Loop: Header=BB369_523 Depth=1
	s_or_b64 exec, exec, s[12:13]
	v_mul_f32_e32 v10, v26, v10
	v_and_b32_e32 v6, 0x7f800000, v10
	v_cmp_ne_u32_e64 s[4:5], s15, v6
                                        ; implicit-def: $vgpr6
	s_and_saveexec_b64 s[12:13], s[4:5]
	s_xor_b64 s[4:5], exec, s[12:13]
; %bb.1078:                             ;   in Loop: Header=BB369_523 Depth=1
	v_bfe_u32 v6, v10, 16, 1
	v_add3_u32 v6, v10, v6, s21
                                        ; implicit-def: $vgpr10
; %bb.1079:                             ;   in Loop: Header=BB369_523 Depth=1
	s_andn2_saveexec_b64 s[12:13], s[4:5]
; %bb.1080:                             ;   in Loop: Header=BB369_523 Depth=1
	v_or_b32_e32 v6, 0x10000, v10
	v_cmp_eq_u32_sdwa s[4:5], v10, v11 src0_sel:WORD_0 src1_sel:DWORD
	v_cndmask_b32_e64 v6, v6, v10, s[4:5]
; %bb.1081:                             ;   in Loop: Header=BB369_523 Depth=1
	s_or_b64 exec, exec, s[12:13]
	v_cmp_lt_u64_e64 s[4:5], s[8:9], v[2:3]
	v_mov_b32_e32 v10, 0
	s_and_saveexec_b64 s[12:13], s[4:5]
	s_cbranch_execz .LBB369_1087
; %bb.1082:                             ;   in Loop: Header=BB369_523 Depth=1
	v_lshrrev_b32_e32 v2, 24, v3
	v_cmp_ne_u32_e64 s[4:5], s28, v2
	v_bfrev_b32_e32 v10, 1
	s_and_saveexec_b64 s[24:25], s[4:5]
	s_cbranch_execz .LBB369_1086
; %bb.1083:                             ;   in Loop: Header=BB369_523 Depth=1
	v_bfe_u32 v3, v3, 24, 7
	v_cmp_ne_u32_e64 s[4:5], s29, v3
	v_mov_b32_e32 v10, 0x7f800001
	s_and_saveexec_b64 s[26:27], s[4:5]
	s_cbranch_execz .LBB369_1085
; %bb.1084:                             ;   in Loop: Header=BB369_523 Depth=1
	v_and_b32_e32 v10, 7, v2
	v_ffbh_u32_e32 v29, v10
	v_min_u32_e32 v29, 32, v29
	v_subrev_u32_e32 v34, 28, v29
	v_lshlrev_b64 v[50:51], v34, v[2:3]
	v_lshrrev_b32_e32 v27, 3, v3
	v_sub_u32_e32 v29, 29, v29
	v_and_b32_e32 v34, 7, v50
	v_cmp_gt_u32_e64 s[4:5], 8, v3
	v_cndmask_b32_e64 v3, v27, v29, s[4:5]
	v_cndmask_b32_e64 v10, v10, v34, s[4:5]
	v_lshlrev_b32_e32 v2, 24, v2
	v_lshlrev_b32_e32 v10, 20, v10
	v_and_b32_e32 v2, 0x80000000, v2
	v_lshl_add_u32 v3, v3, 23, v56
	v_or3_b32 v10, v2, v3, v10
.LBB369_1085:                           ;   in Loop: Header=BB369_523 Depth=1
	s_or_b64 exec, exec, s[26:27]
.LBB369_1086:                           ;   in Loop: Header=BB369_523 Depth=1
	s_or_b64 exec, exec, s[24:25]
.LBB369_1087:                           ;   in Loop: Header=BB369_523 Depth=1
	s_or_b64 exec, exec, s[12:13]
	v_mul_f32_e32 v3, v26, v10
	v_and_b32_e32 v2, 0x7f800000, v3
	v_cmp_ne_u32_e64 s[4:5], s15, v2
                                        ; implicit-def: $vgpr2
	s_and_saveexec_b64 s[12:13], s[4:5]
	s_xor_b64 s[4:5], exec, s[12:13]
; %bb.1088:                             ;   in Loop: Header=BB369_523 Depth=1
	v_bfe_u32 v2, v3, 16, 1
	v_add3_u32 v2, v3, v2, s21
                                        ; implicit-def: $vgpr3
; %bb.1089:                             ;   in Loop: Header=BB369_523 Depth=1
	s_andn2_saveexec_b64 s[12:13], s[4:5]
; %bb.1090:                             ;   in Loop: Header=BB369_523 Depth=1
	v_or_b32_e32 v2, 0x10000, v3
	v_cmp_eq_u32_sdwa s[4:5], v3, v11 src0_sel:WORD_0 src1_sel:DWORD
	v_cndmask_b32_e64 v2, v2, v3, s[4:5]
; %bb.1091:                             ;   in Loop: Header=BB369_523 Depth=1
	s_or_b64 exec, exec, s[12:13]
	v_lshrrev_b32_e32 v10, 16, v5
	v_lshrrev_b32_e32 v27, 16, v49
	;; [unrolled: 1-line block ×8, first 2 shown]
	s_and_saveexec_b64 s[12:13], vcc
	s_cbranch_execz .LBB369_1093
; %bb.1092:                             ;   in Loop: Header=BB369_523 Depth=1
	v_cmp_lt_i32_e64 s[4:5], v31, v32
	v_accvgpr_read_b32 v6, a25
	v_cndmask_b32_e64 v3, 0, v3, s[4:5]
	v_cmp_lt_i32_e64 s[4:5], v6, v32
	v_accvgpr_read_b32 v6, a24
	v_cndmask_b32_e64 v38, 0, v38, s[4:5]
	;; [unrolled: 3-line block ×6, first 2 shown]
	v_cmp_lt_i32_e64 s[4:5], v6, v32
	v_cndmask_b32_e64 v5, 0, v5, s[4:5]
	v_cmp_lt_i32_e64 s[4:5], v17, v32
	v_cndmask_b32_e64 v2, 0, v2, s[4:5]
.LBB369_1093:                           ;   in Loop: Header=BB369_523 Depth=1
	s_or_b64 exec, exec, s[12:13]
	v_lshlrev_b32_e32 v3, 16, v3
	v_mul_f32_e32 v6, v55, v3
	v_and_b32_e32 v3, 0x7f800000, v6
	v_cmp_ne_u32_e64 s[4:5], s15, v3
                                        ; implicit-def: $vgpr3
	s_and_saveexec_b64 s[12:13], s[4:5]
	s_xor_b64 s[4:5], exec, s[12:13]
; %bb.1094:                             ;   in Loop: Header=BB369_523 Depth=1
	v_bfe_u32 v3, v6, 16, 1
	v_add3_u32 v3, v6, v3, s21
                                        ; implicit-def: $vgpr6
; %bb.1095:                             ;   in Loop: Header=BB369_523 Depth=1
	s_andn2_saveexec_b64 s[12:13], s[4:5]
; %bb.1096:                             ;   in Loop: Header=BB369_523 Depth=1
	v_or_b32_e32 v3, 0x10000, v6
	v_cmp_eq_u32_sdwa s[4:5], v6, v11 src0_sel:WORD_0 src1_sel:DWORD
	v_cndmask_b32_e64 v3, v3, v6, s[4:5]
; %bb.1097:                             ;   in Loop: Header=BB369_523 Depth=1
	s_or_b64 exec, exec, s[12:13]
	v_lshlrev_b32_e32 v6, 16, v38
	v_mul_f32_e32 v29, v40, v6
	v_and_b32_e32 v6, 0x7f800000, v29
	v_cmp_ne_u32_e64 s[4:5], s15, v6
                                        ; implicit-def: $vgpr6
	s_and_saveexec_b64 s[12:13], s[4:5]
	s_xor_b64 s[4:5], exec, s[12:13]
; %bb.1098:                             ;   in Loop: Header=BB369_523 Depth=1
	v_bfe_u32 v6, v29, 16, 1
	v_add3_u32 v6, v29, v6, s21
                                        ; implicit-def: $vgpr29
; %bb.1099:                             ;   in Loop: Header=BB369_523 Depth=1
	s_andn2_saveexec_b64 s[12:13], s[4:5]
; %bb.1100:                             ;   in Loop: Header=BB369_523 Depth=1
	v_or_b32_e32 v6, 0x10000, v29
	v_cmp_eq_u32_sdwa s[4:5], v29, v11 src0_sel:WORD_0 src1_sel:DWORD
	v_cndmask_b32_e64 v6, v6, v29, s[4:5]
; %bb.1101:                             ;   in Loop: Header=BB369_523 Depth=1
	s_or_b64 exec, exec, s[12:13]
	v_lshlrev_b32_e32 v29, 16, v39
	v_mul_f32_e32 v29, v41, v29
	v_and_b32_e32 v37, 0x7f800000, v29
	v_cmp_ne_u32_e64 s[4:5], s15, v37
                                        ; implicit-def: $vgpr37
	s_and_saveexec_b64 s[12:13], s[4:5]
	s_xor_b64 s[4:5], exec, s[12:13]
; %bb.1102:                             ;   in Loop: Header=BB369_523 Depth=1
	v_bfe_u32 v37, v29, 16, 1
	v_add3_u32 v37, v29, v37, s21
                                        ; implicit-def: $vgpr29
; %bb.1103:                             ;   in Loop: Header=BB369_523 Depth=1
	s_andn2_saveexec_b64 s[12:13], s[4:5]
; %bb.1104:                             ;   in Loop: Header=BB369_523 Depth=1
	v_or_b32_e32 v37, 0x10000, v29
	v_cmp_eq_u32_sdwa s[4:5], v29, v11 src0_sel:WORD_0 src1_sel:DWORD
	v_cndmask_b32_e64 v37, v37, v29, s[4:5]
; %bb.1105:                             ;   in Loop: Header=BB369_523 Depth=1
	s_or_b64 exec, exec, s[12:13]
	v_lshlrev_b32_e32 v29, 16, v34
	v_mul_f32_e32 v29, v42, v29
	v_and_b32_e32 v34, 0x7f800000, v29
	v_cmp_ne_u32_e64 s[4:5], s15, v34
                                        ; implicit-def: $vgpr38
	s_and_saveexec_b64 s[12:13], s[4:5]
	s_xor_b64 s[4:5], exec, s[12:13]
; %bb.1106:                             ;   in Loop: Header=BB369_523 Depth=1
	v_bfe_u32 v34, v29, 16, 1
	v_add3_u32 v38, v29, v34, s21
                                        ; implicit-def: $vgpr29
; %bb.1107:                             ;   in Loop: Header=BB369_523 Depth=1
	s_andn2_saveexec_b64 s[12:13], s[4:5]
; %bb.1108:                             ;   in Loop: Header=BB369_523 Depth=1
	v_or_b32_e32 v34, 0x10000, v29
	v_cmp_eq_u32_sdwa s[4:5], v29, v11 src0_sel:WORD_0 src1_sel:DWORD
	v_cndmask_b32_e64 v38, v34, v29, s[4:5]
; %bb.1109:                             ;   in Loop: Header=BB369_523 Depth=1
	s_or_b64 exec, exec, s[12:13]
	v_lshlrev_b32_e32 v27, 16, v27
	v_mul_f32_e32 v27, v43, v27
	v_and_b32_e32 v29, 0x7f800000, v27
	v_cmp_ne_u32_e64 s[4:5], s15, v29
                                        ; implicit-def: $vgpr39
	s_and_saveexec_b64 s[12:13], s[4:5]
	s_xor_b64 s[4:5], exec, s[12:13]
; %bb.1110:                             ;   in Loop: Header=BB369_523 Depth=1
	v_bfe_u32 v29, v27, 16, 1
	v_add3_u32 v39, v27, v29, s21
                                        ; implicit-def: $vgpr27
; %bb.1111:                             ;   in Loop: Header=BB369_523 Depth=1
	s_andn2_saveexec_b64 s[12:13], s[4:5]
; %bb.1112:                             ;   in Loop: Header=BB369_523 Depth=1
	v_or_b32_e32 v29, 0x10000, v27
	v_cmp_eq_u32_sdwa s[4:5], v27, v11 src0_sel:WORD_0 src1_sel:DWORD
	v_cndmask_b32_e64 v39, v29, v27, s[4:5]
; %bb.1113:                             ;   in Loop: Header=BB369_523 Depth=1
	s_or_b64 exec, exec, s[12:13]
	v_lshlrev_b32_e32 v10, 16, v10
	v_mul_f32_e32 v10, v44, v10
	v_and_b32_e32 v27, 0x7f800000, v10
	v_cmp_ne_u32_e64 s[4:5], s15, v27
                                        ; implicit-def: $vgpr48
	s_and_saveexec_b64 s[12:13], s[4:5]
	s_xor_b64 s[4:5], exec, s[12:13]
; %bb.1114:                             ;   in Loop: Header=BB369_523 Depth=1
	v_bfe_u32 v27, v10, 16, 1
	v_add3_u32 v48, v10, v27, s21
                                        ; implicit-def: $vgpr10
; %bb.1115:                             ;   in Loop: Header=BB369_523 Depth=1
	s_andn2_saveexec_b64 s[12:13], s[4:5]
; %bb.1116:                             ;   in Loop: Header=BB369_523 Depth=1
	v_or_b32_e32 v27, 0x10000, v10
	v_cmp_eq_u32_sdwa s[4:5], v10, v11 src0_sel:WORD_0 src1_sel:DWORD
	v_cndmask_b32_e64 v48, v27, v10, s[4:5]
; %bb.1117:                             ;   in Loop: Header=BB369_523 Depth=1
	s_or_b64 exec, exec, s[12:13]
	v_lshlrev_b32_e32 v5, 16, v5
	v_mul_f32_e32 v5, v45, v5
	v_and_b32_e32 v10, 0x7f800000, v5
	v_cmp_ne_u32_e64 s[4:5], s15, v10
                                        ; implicit-def: $vgpr49
	s_and_saveexec_b64 s[12:13], s[4:5]
	s_xor_b64 s[4:5], exec, s[12:13]
; %bb.1118:                             ;   in Loop: Header=BB369_523 Depth=1
	v_bfe_u32 v10, v5, 16, 1
	v_add3_u32 v49, v5, v10, s21
                                        ; implicit-def: $vgpr5
; %bb.1119:                             ;   in Loop: Header=BB369_523 Depth=1
	s_andn2_saveexec_b64 s[12:13], s[4:5]
; %bb.1120:                             ;   in Loop: Header=BB369_523 Depth=1
	v_or_b32_e32 v10, 0x10000, v5
	v_cmp_eq_u32_sdwa s[4:5], v5, v11 src0_sel:WORD_0 src1_sel:DWORD
	v_cndmask_b32_e64 v49, v10, v5, s[4:5]
; %bb.1121:                             ;   in Loop: Header=BB369_523 Depth=1
	s_or_b64 exec, exec, s[12:13]
	v_lshlrev_b32_e32 v2, 16, v2
	v_mul_f32_e32 v2, v46, v2
	v_and_b32_e32 v5, 0x7f800000, v2
	v_cmp_ne_u32_e64 s[4:5], s15, v5
                                        ; implicit-def: $vgpr50
	s_and_saveexec_b64 s[12:13], s[4:5]
	s_xor_b64 s[4:5], exec, s[12:13]
; %bb.1122:                             ;   in Loop: Header=BB369_523 Depth=1
	v_bfe_u32 v5, v2, 16, 1
	v_add3_u32 v50, v2, v5, s21
                                        ; implicit-def: $vgpr2
; %bb.1123:                             ;   in Loop: Header=BB369_523 Depth=1
	s_andn2_saveexec_b64 s[12:13], s[4:5]
; %bb.1124:                             ;   in Loop: Header=BB369_523 Depth=1
	v_or_b32_e32 v5, 0x10000, v2
	v_cmp_eq_u32_sdwa s[4:5], v2, v11 src0_sel:WORD_0 src1_sel:DWORD
	v_cndmask_b32_e64 v50, v5, v2, s[4:5]
; %bb.1125:                             ;   in Loop: Header=BB369_523 Depth=1
	s_or_b64 exec, exec, s[12:13]
	flat_load_dwordx2 v[0:1], v[0:1] offset:2560
	v_mov_b32_e32 v2, 0
	s_waitcnt vmcnt(0) lgkmcnt(0)
	v_cmp_ne_u16_sdwa s[4:5], v0, v11 src0_sel:BYTE_0 src1_sel:DWORD
	s_and_saveexec_b64 s[12:13], s[4:5]
	s_cbranch_execz .LBB369_1131
; %bb.1126:                             ;   in Loop: Header=BB369_523 Depth=1
	v_cmp_ne_u16_sdwa s[4:5], v0, s28 src0_sel:BYTE_0 src1_sel:DWORD
	v_bfrev_b32_e32 v2, 1
	s_and_saveexec_b64 s[24:25], s[4:5]
	s_cbranch_execz .LBB369_1130
; %bb.1127:                             ;   in Loop: Header=BB369_523 Depth=1
	v_and_b32_e32 v5, 0x7f, v0
	v_cmp_ne_u32_e64 s[4:5], s29, v5
	v_mov_b32_e32 v2, 0x7f800001
	s_and_saveexec_b64 s[26:27], s[4:5]
	s_cbranch_execz .LBB369_1129
; %bb.1128:                             ;   in Loop: Header=BB369_523 Depth=1
	v_and_b32_e32 v2, 7, v0
	v_ffbh_u32_e32 v2, v2
	v_min_u32_e32 v2, 32, v2
	v_subrev_u32_e32 v27, 28, v2
	v_cmp_gt_u32_e64 s[4:5], 8, v5
	v_lshrrev_b32_e32 v10, 3, v5
	v_cndmask_b32_e64 v5, 0, v27, s[4:5]
	v_sub_u32_e32 v2, 29, v2
	v_lshlrev_b64 v[52:53], v5, v[0:1]
	v_cndmask_b32_e64 v2, v10, v2, s[4:5]
	v_lshlrev_b32_e32 v5, 20, v52
	v_lshlrev_b32_e32 v10, 24, v0
	v_and_b32_e32 v5, 0x700000, v5
	v_and_b32_e32 v10, 0x80000000, v10
	v_lshl_add_u32 v2, v2, 23, v56
	v_or3_b32 v2, v10, v2, v5
.LBB369_1129:                           ;   in Loop: Header=BB369_523 Depth=1
	s_or_b64 exec, exec, s[26:27]
.LBB369_1130:                           ;   in Loop: Header=BB369_523 Depth=1
	s_or_b64 exec, exec, s[24:25]
.LBB369_1131:                           ;   in Loop: Header=BB369_523 Depth=1
	s_or_b64 exec, exec, s[12:13]
	v_mul_f32_e32 v2, v26, v2
	v_and_b32_e32 v5, 0x7f800000, v2
	v_cmp_ne_u32_e64 s[4:5], s15, v5
                                        ; implicit-def: $vgpr51
	s_and_saveexec_b64 s[12:13], s[4:5]
	s_xor_b64 s[4:5], exec, s[12:13]
; %bb.1132:                             ;   in Loop: Header=BB369_523 Depth=1
	v_bfe_u32 v5, v2, 16, 1
	v_add3_u32 v51, v2, v5, s21
                                        ; implicit-def: $vgpr2
; %bb.1133:                             ;   in Loop: Header=BB369_523 Depth=1
	s_andn2_saveexec_b64 s[12:13], s[4:5]
; %bb.1134:                             ;   in Loop: Header=BB369_523 Depth=1
	v_or_b32_e32 v5, 0x10000, v2
	v_cmp_eq_u32_sdwa s[4:5], v2, v11 src0_sel:WORD_0 src1_sel:DWORD
	v_cndmask_b32_e64 v51, v5, v2, s[4:5]
; %bb.1135:                             ;   in Loop: Header=BB369_523 Depth=1
	s_or_b64 exec, exec, s[12:13]
	v_lshrrev_b16_e32 v2, 8, v0
	v_cmp_ne_u16_e64 s[4:5], 0, v2
	v_mov_b32_e32 v5, 0
	s_and_saveexec_b64 s[12:13], s[4:5]
	s_cbranch_execz .LBB369_1141
; %bb.1136:                             ;   in Loop: Header=BB369_523 Depth=1
	v_cmp_ne_u16_e64 s[4:5], s28, v2
	v_bfrev_b32_e32 v5, 1
	s_and_saveexec_b64 s[24:25], s[4:5]
	s_cbranch_execz .LBB369_1140
; %bb.1137:                             ;   in Loop: Header=BB369_523 Depth=1
	v_and_b32_e32 v10, 0x7f, v2
	v_cmp_ne_u32_e64 s[4:5], s29, v10
	v_mov_b32_e32 v5, 0x7f800001
	s_and_saveexec_b64 s[26:27], s[4:5]
	s_cbranch_execz .LBB369_1139
; %bb.1138:                             ;   in Loop: Header=BB369_523 Depth=1
	v_and_b32_e32 v5, 7, v2
	v_ffbh_u32_e32 v29, v5
	v_min_u32_e32 v29, 32, v29
	v_subrev_u32_e32 v34, 28, v29
	v_lshlrev_b64 v[52:53], v34, v[2:3]
	v_lshrrev_b32_e32 v27, 3, v10
	v_sub_u32_e32 v2, 29, v29
	v_and_b32_e32 v29, 7, v52
	v_cmp_gt_u32_e64 s[4:5], 8, v10
	v_cndmask_b32_e64 v2, v27, v2, s[4:5]
	v_cndmask_b32_e64 v5, v5, v29, s[4:5]
	v_lshlrev_b32_e32 v10, 16, v0
	v_lshlrev_b32_e32 v5, 20, v5
	v_and_b32_e32 v10, 0x80000000, v10
	v_lshl_add_u32 v2, v2, 23, v56
	v_or3_b32 v5, v10, v2, v5
.LBB369_1139:                           ;   in Loop: Header=BB369_523 Depth=1
	s_or_b64 exec, exec, s[26:27]
.LBB369_1140:                           ;   in Loop: Header=BB369_523 Depth=1
	s_or_b64 exec, exec, s[24:25]
.LBB369_1141:                           ;   in Loop: Header=BB369_523 Depth=1
	s_or_b64 exec, exec, s[12:13]
	v_mul_f32_e32 v2, v26, v5
	v_and_b32_e32 v5, 0x7f800000, v2
	v_cmp_ne_u32_e64 s[4:5], s15, v5
                                        ; implicit-def: $vgpr52
	s_and_saveexec_b64 s[12:13], s[4:5]
	s_xor_b64 s[4:5], exec, s[12:13]
; %bb.1142:                             ;   in Loop: Header=BB369_523 Depth=1
	v_bfe_u32 v5, v2, 16, 1
	v_add3_u32 v52, v2, v5, s21
                                        ; implicit-def: $vgpr2
; %bb.1143:                             ;   in Loop: Header=BB369_523 Depth=1
	s_andn2_saveexec_b64 s[12:13], s[4:5]
; %bb.1144:                             ;   in Loop: Header=BB369_523 Depth=1
	v_or_b32_e32 v5, 0x10000, v2
	v_cmp_eq_u32_sdwa s[4:5], v2, v11 src0_sel:WORD_0 src1_sel:DWORD
	v_cndmask_b32_e64 v52, v5, v2, s[4:5]
; %bb.1145:                             ;   in Loop: Header=BB369_523 Depth=1
	s_or_b64 exec, exec, s[12:13]
	v_lshrrev_b32_e32 v2, 16, v0
	v_cmp_ne_u16_sdwa s[4:5], v2, v11 src0_sel:BYTE_0 src1_sel:DWORD
	v_mov_b32_e32 v5, 0
	s_and_saveexec_b64 s[12:13], s[4:5]
	s_cbranch_execz .LBB369_1151
; %bb.1146:                             ;   in Loop: Header=BB369_523 Depth=1
	v_cmp_ne_u16_sdwa s[4:5], v2, s28 src0_sel:BYTE_0 src1_sel:DWORD
	v_bfrev_b32_e32 v5, 1
	s_and_saveexec_b64 s[24:25], s[4:5]
	s_cbranch_execz .LBB369_1150
; %bb.1147:                             ;   in Loop: Header=BB369_523 Depth=1
	v_bfe_u32 v10, v0, 16, 7
	v_cmp_ne_u32_e64 s[4:5], s29, v10
	v_mov_b32_e32 v5, 0x7f800001
	s_and_saveexec_b64 s[26:27], s[4:5]
	s_cbranch_execz .LBB369_1149
; %bb.1148:                             ;   in Loop: Header=BB369_523 Depth=1
	v_and_b32_e32 v5, 7, v2
	v_ffbh_u32_e32 v29, v5
	v_min_u32_e32 v29, 32, v29
	v_subrev_u32_e32 v34, 28, v29
	v_mov_b32_e32 v53, v31
	v_mov_b32_e32 v31, v57
	v_lshlrev_b64 v[56:57], v34, v[2:3]
	v_lshrrev_b32_e32 v27, 3, v10
	v_sub_u32_e32 v29, 29, v29
	v_and_b32_e32 v34, 7, v56
	v_cmp_gt_u32_e64 s[4:5], 8, v10
	v_bfrev_b32_e32 v56, 60
	v_cndmask_b32_e64 v10, v27, v29, s[4:5]
	v_cndmask_b32_e64 v5, v5, v34, s[4:5]
	v_lshlrev_b32_e32 v2, 24, v2
	v_lshlrev_b32_e32 v5, 20, v5
	v_and_b32_e32 v2, 0x80000000, v2
	v_lshl_add_u32 v10, v10, 23, v56
	v_mov_b32_e32 v57, v31
	v_mov_b32_e32 v31, v53
	v_or3_b32 v5, v2, v10, v5
.LBB369_1149:                           ;   in Loop: Header=BB369_523 Depth=1
	s_or_b64 exec, exec, s[26:27]
.LBB369_1150:                           ;   in Loop: Header=BB369_523 Depth=1
	s_or_b64 exec, exec, s[24:25]
.LBB369_1151:                           ;   in Loop: Header=BB369_523 Depth=1
	s_or_b64 exec, exec, s[12:13]
	v_mul_f32_e32 v2, v26, v5
	v_and_b32_e32 v5, 0x7f800000, v2
	v_cmp_ne_u32_e64 s[4:5], s15, v5
                                        ; implicit-def: $vgpr53
	s_and_saveexec_b64 s[12:13], s[4:5]
	s_xor_b64 s[4:5], exec, s[12:13]
; %bb.1152:                             ;   in Loop: Header=BB369_523 Depth=1
	v_bfe_u32 v5, v2, 16, 1
	v_add3_u32 v53, v2, v5, s21
                                        ; implicit-def: $vgpr2
; %bb.1153:                             ;   in Loop: Header=BB369_523 Depth=1
	s_andn2_saveexec_b64 s[12:13], s[4:5]
; %bb.1154:                             ;   in Loop: Header=BB369_523 Depth=1
	v_or_b32_e32 v5, 0x10000, v2
	v_cmp_eq_u32_sdwa s[4:5], v2, v11 src0_sel:WORD_0 src1_sel:DWORD
	v_cndmask_b32_e64 v53, v5, v2, s[4:5]
; %bb.1155:                             ;   in Loop: Header=BB369_523 Depth=1
	s_or_b64 exec, exec, s[12:13]
	v_cmp_lt_u32_e64 s[4:5], s9, v0
	v_mov_b32_e32 v5, 0
	s_and_saveexec_b64 s[12:13], s[4:5]
	s_cbranch_execz .LBB369_1161
; %bb.1156:                             ;   in Loop: Header=BB369_523 Depth=1
	v_lshrrev_b32_e32 v2, 24, v0
	v_cmp_ne_u32_e64 s[4:5], s28, v2
	v_bfrev_b32_e32 v5, 1
	s_and_saveexec_b64 s[24:25], s[4:5]
	s_cbranch_execz .LBB369_1160
; %bb.1157:                             ;   in Loop: Header=BB369_523 Depth=1
	v_bfe_u32 v10, v0, 24, 7
	v_cmp_ne_u32_e64 s[4:5], s29, v10
	v_mov_b32_e32 v5, 0x7f800001
	s_and_saveexec_b64 s[26:27], s[4:5]
	s_cbranch_execz .LBB369_1159
; %bb.1158:                             ;   in Loop: Header=BB369_523 Depth=1
	v_and_b32_e32 v5, 7, v2
	v_ffbh_u32_e32 v29, v5
	v_min_u32_e32 v29, 32, v29
	v_subrev_u32_e32 v34, 28, v29
	v_mov_b32_e32 v54, v31
	v_mov_b32_e32 v31, v57
	v_lshlrev_b64 v[56:57], v34, v[2:3]
	v_lshrrev_b32_e32 v27, 3, v10
	v_sub_u32_e32 v29, 29, v29
	v_and_b32_e32 v34, 7, v56
	v_cmp_gt_u32_e64 s[4:5], 8, v10
	v_bfrev_b32_e32 v56, 60
	v_cndmask_b32_e64 v10, v27, v29, s[4:5]
	v_cndmask_b32_e64 v5, v5, v34, s[4:5]
	v_lshlrev_b32_e32 v2, 24, v2
	v_lshlrev_b32_e32 v5, 20, v5
	v_and_b32_e32 v2, 0x80000000, v2
	v_lshl_add_u32 v10, v10, 23, v56
	v_mov_b32_e32 v57, v31
	v_mov_b32_e32 v31, v54
	v_or3_b32 v5, v2, v10, v5
.LBB369_1159:                           ;   in Loop: Header=BB369_523 Depth=1
	s_or_b64 exec, exec, s[26:27]
.LBB369_1160:                           ;   in Loop: Header=BB369_523 Depth=1
	s_or_b64 exec, exec, s[24:25]
.LBB369_1161:                           ;   in Loop: Header=BB369_523 Depth=1
	s_or_b64 exec, exec, s[12:13]
	v_mul_f32_e32 v2, v26, v5
	v_and_b32_e32 v5, 0x7f800000, v2
	v_cmp_ne_u32_e64 s[4:5], s15, v5
                                        ; implicit-def: $vgpr54
	s_and_saveexec_b64 s[12:13], s[4:5]
	s_xor_b64 s[4:5], exec, s[12:13]
; %bb.1162:                             ;   in Loop: Header=BB369_523 Depth=1
	v_bfe_u32 v5, v2, 16, 1
	v_add3_u32 v54, v2, v5, s21
                                        ; implicit-def: $vgpr2
; %bb.1163:                             ;   in Loop: Header=BB369_523 Depth=1
	s_andn2_saveexec_b64 s[12:13], s[4:5]
; %bb.1164:                             ;   in Loop: Header=BB369_523 Depth=1
	v_or_b32_e32 v5, 0x10000, v2
	v_cmp_eq_u32_sdwa s[4:5], v2, v11 src0_sel:WORD_0 src1_sel:DWORD
	v_cndmask_b32_e64 v54, v5, v2, s[4:5]
; %bb.1165:                             ;   in Loop: Header=BB369_523 Depth=1
	s_or_b64 exec, exec, s[12:13]
	v_mov_b32_e32 v10, v1
	v_cmp_ne_u16_sdwa s[4:5], v1, v11 src0_sel:BYTE_0 src1_sel:DWORD
	v_mov_b32_e32 v2, 0
	s_and_saveexec_b64 s[12:13], s[4:5]
	s_cbranch_execz .LBB369_1171
; %bb.1166:                             ;   in Loop: Header=BB369_523 Depth=1
	v_cmp_ne_u16_sdwa s[4:5], v1, s28 src0_sel:BYTE_0 src1_sel:DWORD
	v_bfrev_b32_e32 v2, 1
	s_and_saveexec_b64 s[24:25], s[4:5]
	s_cbranch_execz .LBB369_1170
; %bb.1167:                             ;   in Loop: Header=BB369_523 Depth=1
	v_and_b32_e32 v5, 0x7f, v1
	v_cmp_ne_u32_e64 s[4:5], s29, v5
	v_mov_b32_e32 v2, 0x7f800001
	s_and_saveexec_b64 s[26:27], s[4:5]
	s_cbranch_execz .LBB369_1169
; %bb.1168:                             ;   in Loop: Header=BB369_523 Depth=1
	v_and_b32_e32 v2, 7, v1
	v_ffbh_u32_e32 v2, v2
	v_min_u32_e32 v2, 32, v2
	v_subrev_u32_e32 v29, 28, v2
	v_cmp_gt_u32_e64 s[4:5], 8, v5
	v_lshrrev_b32_e32 v27, 3, v5
	v_sub_u32_e32 v2, 29, v2
	v_cndmask_b32_e64 v5, 0, v29, s[4:5]
	v_cndmask_b32_e64 v2, v27, v2, s[4:5]
	v_mov_b32_e32 v27, v57
	v_lshlrev_b64 v[56:57], v5, v[10:11]
	v_mov_b32_e32 v57, v27
	v_lshlrev_b32_e32 v5, 20, v56
	v_bfrev_b32_e32 v56, 60
	v_lshlrev_b32_e32 v27, 24, v10
	v_and_b32_e32 v5, 0x700000, v5
	v_and_b32_e32 v27, 0x80000000, v27
	v_lshl_add_u32 v2, v2, 23, v56
	v_or3_b32 v2, v27, v2, v5
.LBB369_1169:                           ;   in Loop: Header=BB369_523 Depth=1
	s_or_b64 exec, exec, s[26:27]
.LBB369_1170:                           ;   in Loop: Header=BB369_523 Depth=1
	s_or_b64 exec, exec, s[24:25]
.LBB369_1171:                           ;   in Loop: Header=BB369_523 Depth=1
	s_or_b64 exec, exec, s[12:13]
	v_mul_f32_e32 v2, v26, v2
	v_and_b32_e32 v5, 0x7f800000, v2
	v_cmp_ne_u32_e64 s[4:5], s15, v5
                                        ; implicit-def: $vgpr5
	s_and_saveexec_b64 s[12:13], s[4:5]
	s_xor_b64 s[4:5], exec, s[12:13]
; %bb.1172:                             ;   in Loop: Header=BB369_523 Depth=1
	v_bfe_u32 v5, v2, 16, 1
	v_add3_u32 v5, v2, v5, s21
                                        ; implicit-def: $vgpr2
; %bb.1173:                             ;   in Loop: Header=BB369_523 Depth=1
	s_andn2_saveexec_b64 s[12:13], s[4:5]
; %bb.1174:                             ;   in Loop: Header=BB369_523 Depth=1
	v_or_b32_e32 v5, 0x10000, v2
	v_cmp_eq_u32_sdwa s[4:5], v2, v11 src0_sel:WORD_0 src1_sel:DWORD
	v_cndmask_b32_e64 v5, v5, v2, s[4:5]
; %bb.1175:                             ;   in Loop: Header=BB369_523 Depth=1
	s_or_b64 exec, exec, s[12:13]
	v_lshrrev_b16_e32 v2, 8, v10
	v_cmp_ne_u16_e64 s[4:5], 0, v2
	v_mov_b32_e32 v27, 0
	s_and_saveexec_b64 s[12:13], s[4:5]
	s_cbranch_execz .LBB369_1181
; %bb.1176:                             ;   in Loop: Header=BB369_523 Depth=1
	v_cmp_ne_u16_e64 s[4:5], s28, v2
	v_bfrev_b32_e32 v27, 1
	s_and_saveexec_b64 s[24:25], s[4:5]
	s_cbranch_execz .LBB369_1180
; %bb.1177:                             ;   in Loop: Header=BB369_523 Depth=1
	v_and_b32_e32 v29, 0x7f, v2
	v_cmp_ne_u32_e64 s[4:5], s29, v29
	v_mov_b32_e32 v27, 0x7f800001
	s_and_saveexec_b64 s[26:27], s[4:5]
	s_cbranch_execz .LBB369_1179
; %bb.1178:                             ;   in Loop: Header=BB369_523 Depth=1
	v_and_b32_e32 v27, 7, v2
	v_ffbh_u32_e32 v56, v27
	v_accvgpr_write_b32 a19, v31
	v_min_u32_e32 v31, 32, v56
	v_subrev_u32_e32 v56, 28, v31
	v_accvgpr_write_b32 a9, v57
	v_lshlrev_b64 v[56:57], v56, v[2:3]
	v_lshrrev_b32_e32 v34, 3, v29
	v_sub_u32_e32 v2, 29, v31
	v_and_b32_e32 v31, 7, v56
	v_cmp_gt_u32_e64 s[4:5], 8, v29
	v_bfrev_b32_e32 v56, 60
	v_cndmask_b32_e64 v2, v34, v2, s[4:5]
	v_cndmask_b32_e64 v27, v27, v31, s[4:5]
	v_lshlrev_b32_e32 v10, 16, v10
	v_lshlrev_b32_e32 v27, 20, v27
	v_and_b32_e32 v10, 0x80000000, v10
	v_lshl_add_u32 v2, v2, 23, v56
	v_accvgpr_read_b32 v57, a9
	v_accvgpr_read_b32 v31, a19
	v_or3_b32 v27, v10, v2, v27
.LBB369_1179:                           ;   in Loop: Header=BB369_523 Depth=1
	s_or_b64 exec, exec, s[26:27]
.LBB369_1180:                           ;   in Loop: Header=BB369_523 Depth=1
	s_or_b64 exec, exec, s[24:25]
.LBB369_1181:                           ;   in Loop: Header=BB369_523 Depth=1
	s_or_b64 exec, exec, s[12:13]
	v_mul_f32_e32 v2, v26, v27
	v_and_b32_e32 v10, 0x7f800000, v2
	v_cmp_ne_u32_e64 s[4:5], s15, v10
                                        ; implicit-def: $vgpr10
	s_and_saveexec_b64 s[12:13], s[4:5]
	s_xor_b64 s[4:5], exec, s[12:13]
; %bb.1182:                             ;   in Loop: Header=BB369_523 Depth=1
	v_bfe_u32 v10, v2, 16, 1
	v_add3_u32 v10, v2, v10, s21
                                        ; implicit-def: $vgpr2
; %bb.1183:                             ;   in Loop: Header=BB369_523 Depth=1
	s_andn2_saveexec_b64 s[12:13], s[4:5]
; %bb.1184:                             ;   in Loop: Header=BB369_523 Depth=1
	v_or_b32_e32 v10, 0x10000, v2
	v_cmp_eq_u32_sdwa s[4:5], v2, v11 src0_sel:WORD_0 src1_sel:DWORD
	v_cndmask_b32_e64 v10, v10, v2, s[4:5]
; %bb.1185:                             ;   in Loop: Header=BB369_523 Depth=1
	s_or_b64 exec, exec, s[12:13]
	v_lshrrev_b32_e32 v2, 16, v1
	v_cmp_ne_u16_sdwa s[4:5], v2, v11 src0_sel:BYTE_0 src1_sel:DWORD
	v_mov_b32_e32 v27, 0
	s_and_saveexec_b64 s[12:13], s[4:5]
	s_cbranch_execz .LBB369_1191
; %bb.1186:                             ;   in Loop: Header=BB369_523 Depth=1
	v_cmp_ne_u16_sdwa s[4:5], v2, s28 src0_sel:BYTE_0 src1_sel:DWORD
	v_bfrev_b32_e32 v27, 1
	s_and_saveexec_b64 s[24:25], s[4:5]
	s_cbranch_execz .LBB369_1190
; %bb.1187:                             ;   in Loop: Header=BB369_523 Depth=1
	v_bfe_u32 v29, v1, 16, 7
	v_cmp_ne_u32_e64 s[4:5], s29, v29
	v_mov_b32_e32 v27, 0x7f800001
	s_and_saveexec_b64 s[26:27], s[4:5]
	s_cbranch_execz .LBB369_1189
; %bb.1188:                             ;   in Loop: Header=BB369_523 Depth=1
	v_and_b32_e32 v27, 7, v2
	v_ffbh_u32_e32 v34, v27
	v_min_u32_e32 v34, 32, v34
	v_subrev_u32_e32 v56, 28, v34
	v_accvgpr_write_b32 a9, v57
	v_lshlrev_b64 v[56:57], v56, v[2:3]
	v_accvgpr_write_b32 a19, v31
	v_lshrrev_b32_e32 v31, 3, v29
	v_sub_u32_e32 v34, 29, v34
	v_and_b32_e32 v56, 7, v56
	v_cmp_gt_u32_e64 s[4:5], 8, v29
	v_cndmask_b32_e64 v29, v31, v34, s[4:5]
	v_cndmask_b32_e64 v27, v27, v56, s[4:5]
	v_bfrev_b32_e32 v56, 60
	v_lshlrev_b32_e32 v2, 24, v2
	v_lshlrev_b32_e32 v27, 20, v27
	v_and_b32_e32 v2, 0x80000000, v2
	v_lshl_add_u32 v29, v29, 23, v56
	v_accvgpr_read_b32 v57, a9
	v_accvgpr_read_b32 v31, a19
	v_or3_b32 v27, v2, v29, v27
.LBB369_1189:                           ;   in Loop: Header=BB369_523 Depth=1
	s_or_b64 exec, exec, s[26:27]
.LBB369_1190:                           ;   in Loop: Header=BB369_523 Depth=1
	s_or_b64 exec, exec, s[24:25]
.LBB369_1191:                           ;   in Loop: Header=BB369_523 Depth=1
	s_or_b64 exec, exec, s[12:13]
	v_mul_f32_e32 v27, v26, v27
	v_and_b32_e32 v2, 0x7f800000, v27
	v_cmp_ne_u32_e64 s[4:5], s15, v2
                                        ; implicit-def: $vgpr2
	s_and_saveexec_b64 s[12:13], s[4:5]
	s_xor_b64 s[4:5], exec, s[12:13]
; %bb.1192:                             ;   in Loop: Header=BB369_523 Depth=1
	v_bfe_u32 v2, v27, 16, 1
	v_add3_u32 v2, v27, v2, s21
                                        ; implicit-def: $vgpr27
; %bb.1193:                             ;   in Loop: Header=BB369_523 Depth=1
	s_andn2_saveexec_b64 s[12:13], s[4:5]
; %bb.1194:                             ;   in Loop: Header=BB369_523 Depth=1
	v_or_b32_e32 v2, 0x10000, v27
	v_cmp_eq_u32_sdwa s[4:5], v27, v11 src0_sel:WORD_0 src1_sel:DWORD
	v_cndmask_b32_e64 v2, v2, v27, s[4:5]
; %bb.1195:                             ;   in Loop: Header=BB369_523 Depth=1
	s_or_b64 exec, exec, s[12:13]
	v_cmp_lt_u64_e64 s[4:5], s[8:9], v[0:1]
	v_mov_b32_e32 v27, 0
	s_and_saveexec_b64 s[12:13], s[4:5]
	s_cbranch_execz .LBB369_1201
; %bb.1196:                             ;   in Loop: Header=BB369_523 Depth=1
	v_lshrrev_b32_e32 v0, 24, v1
	v_cmp_ne_u32_e64 s[4:5], s28, v0
	v_bfrev_b32_e32 v27, 1
	s_and_saveexec_b64 s[24:25], s[4:5]
	s_cbranch_execz .LBB369_1200
; %bb.1197:                             ;   in Loop: Header=BB369_523 Depth=1
	v_bfe_u32 v1, v1, 24, 7
	v_cmp_ne_u32_e64 s[4:5], s29, v1
	v_mov_b32_e32 v27, 0x7f800001
	s_and_saveexec_b64 s[26:27], s[4:5]
	s_cbranch_execz .LBB369_1199
; %bb.1198:                             ;   in Loop: Header=BB369_523 Depth=1
	v_and_b32_e32 v27, 7, v0
	v_accvgpr_write_b32 a19, v31
	v_ffbh_u32_e32 v31, v27
	v_min_u32_e32 v31, 32, v31
	v_subrev_u32_e32 v34, 28, v31
	v_accvgpr_write_b32 a9, v57
	v_lshlrev_b64 v[56:57], v34, v[0:1]
	v_lshrrev_b32_e32 v29, 3, v1
	v_sub_u32_e32 v31, 29, v31
	v_and_b32_e32 v34, 7, v56
	v_cmp_gt_u32_e64 s[4:5], 8, v1
	v_bfrev_b32_e32 v56, 60
	v_cndmask_b32_e64 v1, v29, v31, s[4:5]
	v_cndmask_b32_e64 v27, v27, v34, s[4:5]
	v_lshlrev_b32_e32 v0, 24, v0
	v_lshlrev_b32_e32 v27, 20, v27
	v_and_b32_e32 v0, 0x80000000, v0
	v_lshl_add_u32 v1, v1, 23, v56
	v_accvgpr_read_b32 v57, a9
	v_accvgpr_read_b32 v31, a19
	v_or3_b32 v27, v0, v1, v27
.LBB369_1199:                           ;   in Loop: Header=BB369_523 Depth=1
	s_or_b64 exec, exec, s[26:27]
.LBB369_1200:                           ;   in Loop: Header=BB369_523 Depth=1
	s_or_b64 exec, exec, s[24:25]
.LBB369_1201:                           ;   in Loop: Header=BB369_523 Depth=1
	s_or_b64 exec, exec, s[12:13]
	v_mul_f32_e32 v0, v26, v27
	v_and_b32_e32 v1, 0x7f800000, v0
	v_cmp_ne_u32_e64 s[4:5], s15, v1
                                        ; implicit-def: $vgpr29
	s_and_saveexec_b64 s[12:13], s[4:5]
	s_xor_b64 s[4:5], exec, s[12:13]
; %bb.1202:                             ;   in Loop: Header=BB369_523 Depth=1
	v_bfe_u32 v1, v0, 16, 1
	v_add3_u32 v29, v0, v1, s21
                                        ; implicit-def: $vgpr0
; %bb.1203:                             ;   in Loop: Header=BB369_523 Depth=1
	s_andn2_saveexec_b64 s[12:13], s[4:5]
; %bb.1204:                             ;   in Loop: Header=BB369_523 Depth=1
	v_or_b32_e32 v1, 0x10000, v0
	v_cmp_eq_u32_sdwa s[4:5], v0, v11 src0_sel:WORD_0 src1_sel:DWORD
	v_cndmask_b32_e64 v29, v1, v0, s[4:5]
; %bb.1205:                             ;   in Loop: Header=BB369_523 Depth=1
	s_or_b64 exec, exec, s[12:13]
	v_lshrrev_b32_e32 v27, 16, v10
	v_lshrrev_b32_e32 v34, 16, v5
	;; [unrolled: 1-line block ×8, first 2 shown]
	s_and_saveexec_b64 s[4:5], vcc
	s_cbranch_execz .LBB369_1207
; %bb.1206:                             ;   in Loop: Header=BB369_523 Depth=1
	v_cmp_lt_i32_e32 vcc, v31, v32
	v_accvgpr_read_b32 v2, a25
	v_cndmask_b32_e32 v0, 0, v0, vcc
	v_cmp_lt_i32_e32 vcc, v2, v32
	v_accvgpr_read_b32 v2, a24
	v_cndmask_b32_e32 v1, 0, v1, vcc
	v_cmp_lt_i32_e32 vcc, v2, v32
	v_accvgpr_read_b32 v2, a23
	v_cndmask_b32_e32 v53, 0, v53, vcc
	v_cmp_lt_i32_e32 vcc, v2, v32
	v_accvgpr_read_b32 v2, a22
	v_cndmask_b32_e32 v10, 0, v10, vcc
	v_cmp_lt_i32_e32 vcc, v2, v32
	v_accvgpr_read_b32 v2, a21
	v_cndmask_b32_e32 v34, 0, v34, vcc
	v_cmp_lt_i32_e32 vcc, v2, v32
	v_accvgpr_read_b32 v2, a20
	v_cndmask_b32_e32 v27, 0, v27, vcc
	v_cmp_lt_i32_e32 vcc, v2, v32
	v_cndmask_b32_e32 v51, 0, v51, vcc
	v_cmp_lt_i32_e32 vcc, v17, v32
	v_cndmask_b32_e32 v5, 0, v5, vcc
.LBB369_1207:                           ;   in Loop: Header=BB369_523 Depth=1
	s_or_b64 exec, exec, s[4:5]
	v_lshlrev_b32_e32 v0, 16, v0
	v_mul_f32_e32 v2, v55, v0
	v_and_b32_e32 v0, 0x7f800000, v2
	v_cmp_ne_u32_e32 vcc, s15, v0
                                        ; implicit-def: $vgpr0
	s_and_saveexec_b64 s[4:5], vcc
	s_xor_b64 s[4:5], exec, s[4:5]
; %bb.1208:                             ;   in Loop: Header=BB369_523 Depth=1
	v_bfe_u32 v0, v2, 16, 1
	v_add3_u32 v0, v2, v0, s21
                                        ; implicit-def: $vgpr2
; %bb.1209:                             ;   in Loop: Header=BB369_523 Depth=1
	s_andn2_saveexec_b64 s[4:5], s[4:5]
; %bb.1210:                             ;   in Loop: Header=BB369_523 Depth=1
	v_or_b32_e32 v0, 0x10000, v2
	v_cmp_eq_u32_sdwa vcc, v2, v11 src0_sel:WORD_0 src1_sel:DWORD
	v_cndmask_b32_e32 v0, v0, v2, vcc
; %bb.1211:                             ;   in Loop: Header=BB369_523 Depth=1
	s_or_b64 exec, exec, s[4:5]
	v_lshlrev_b32_e32 v1, 16, v1
	v_mul_f32_e32 v2, v40, v1
	v_and_b32_e32 v1, 0x7f800000, v2
	v_cmp_ne_u32_e32 vcc, s15, v1
                                        ; implicit-def: $vgpr1
	s_and_saveexec_b64 s[4:5], vcc
	s_xor_b64 s[4:5], exec, s[4:5]
; %bb.1212:                             ;   in Loop: Header=BB369_523 Depth=1
	v_bfe_u32 v1, v2, 16, 1
	v_add3_u32 v1, v2, v1, s21
                                        ; implicit-def: $vgpr2
; %bb.1213:                             ;   in Loop: Header=BB369_523 Depth=1
	s_andn2_saveexec_b64 s[4:5], s[4:5]
; %bb.1214:                             ;   in Loop: Header=BB369_523 Depth=1
	v_or_b32_e32 v1, 0x10000, v2
	v_cmp_eq_u32_sdwa vcc, v2, v11 src0_sel:WORD_0 src1_sel:DWORD
	v_cndmask_b32_e32 v1, v1, v2, vcc
; %bb.1215:                             ;   in Loop: Header=BB369_523 Depth=1
	s_or_b64 exec, exec, s[4:5]
	v_lshlrev_b32_e32 v2, 16, v53
	v_mul_f32_e32 v29, v41, v2
	v_and_b32_e32 v2, 0x7f800000, v29
	v_cmp_ne_u32_e32 vcc, s15, v2
                                        ; implicit-def: $vgpr2
	s_and_saveexec_b64 s[4:5], vcc
	s_xor_b64 s[4:5], exec, s[4:5]
; %bb.1216:                             ;   in Loop: Header=BB369_523 Depth=1
	v_bfe_u32 v2, v29, 16, 1
	v_add3_u32 v2, v29, v2, s21
                                        ; implicit-def: $vgpr29
; %bb.1217:                             ;   in Loop: Header=BB369_523 Depth=1
	s_andn2_saveexec_b64 s[4:5], s[4:5]
; %bb.1218:                             ;   in Loop: Header=BB369_523 Depth=1
	v_or_b32_e32 v2, 0x10000, v29
	v_cmp_eq_u32_sdwa vcc, v29, v11 src0_sel:WORD_0 src1_sel:DWORD
	v_cndmask_b32_e32 v2, v2, v29, vcc
; %bb.1219:                             ;   in Loop: Header=BB369_523 Depth=1
	s_or_b64 exec, exec, s[4:5]
	v_lshlrev_b32_e32 v10, 16, v10
	v_mul_f32_e32 v29, v42, v10
	v_and_b32_e32 v10, 0x7f800000, v29
	v_cmp_ne_u32_e32 vcc, s15, v10
                                        ; implicit-def: $vgpr10
	s_and_saveexec_b64 s[4:5], vcc
	s_xor_b64 s[4:5], exec, s[4:5]
; %bb.1220:                             ;   in Loop: Header=BB369_523 Depth=1
	v_bfe_u32 v10, v29, 16, 1
	v_add3_u32 v10, v29, v10, s21
                                        ; implicit-def: $vgpr29
; %bb.1221:                             ;   in Loop: Header=BB369_523 Depth=1
	s_andn2_saveexec_b64 s[4:5], s[4:5]
; %bb.1222:                             ;   in Loop: Header=BB369_523 Depth=1
	v_or_b32_e32 v10, 0x10000, v29
	v_cmp_eq_u32_sdwa vcc, v29, v11 src0_sel:WORD_0 src1_sel:DWORD
	v_cndmask_b32_e32 v10, v10, v29, vcc
; %bb.1223:                             ;   in Loop: Header=BB369_523 Depth=1
	s_or_b64 exec, exec, s[4:5]
	v_lshlrev_b32_e32 v29, 16, v34
	v_mul_f32_e32 v29, v43, v29
	v_and_b32_e32 v31, 0x7f800000, v29
	v_cmp_ne_u32_e32 vcc, s15, v31
                                        ; implicit-def: $vgpr52
	s_and_saveexec_b64 s[4:5], vcc
	s_xor_b64 s[4:5], exec, s[4:5]
; %bb.1224:                             ;   in Loop: Header=BB369_523 Depth=1
	v_bfe_u32 v31, v29, 16, 1
	v_add3_u32 v52, v29, v31, s21
                                        ; implicit-def: $vgpr29
; %bb.1225:                             ;   in Loop: Header=BB369_523 Depth=1
	s_andn2_saveexec_b64 s[4:5], s[4:5]
; %bb.1226:                             ;   in Loop: Header=BB369_523 Depth=1
	v_or_b32_e32 v31, 0x10000, v29
	v_cmp_eq_u32_sdwa vcc, v29, v11 src0_sel:WORD_0 src1_sel:DWORD
	v_cndmask_b32_e32 v52, v31, v29, vcc
; %bb.1227:                             ;   in Loop: Header=BB369_523 Depth=1
	s_or_b64 exec, exec, s[4:5]
	v_lshlrev_b32_e32 v27, 16, v27
	v_mul_f32_e32 v29, v44, v27
	v_and_b32_e32 v27, 0x7f800000, v29
	v_cmp_ne_u32_e32 vcc, s15, v27
                                        ; implicit-def: $vgpr27
	s_and_saveexec_b64 s[4:5], vcc
	s_xor_b64 s[4:5], exec, s[4:5]
; %bb.1228:                             ;   in Loop: Header=BB369_523 Depth=1
	v_bfe_u32 v27, v29, 16, 1
	v_add3_u32 v27, v29, v27, s21
                                        ; implicit-def: $vgpr29
; %bb.1229:                             ;   in Loop: Header=BB369_523 Depth=1
	s_andn2_saveexec_b64 s[4:5], s[4:5]
; %bb.1230:                             ;   in Loop: Header=BB369_523 Depth=1
	v_or_b32_e32 v27, 0x10000, v29
	v_cmp_eq_u32_sdwa vcc, v29, v11 src0_sel:WORD_0 src1_sel:DWORD
	v_cndmask_b32_e32 v27, v27, v29, vcc
; %bb.1231:                             ;   in Loop: Header=BB369_523 Depth=1
	s_or_b64 exec, exec, s[4:5]
	v_lshlrev_b32_e32 v29, 16, v51
	v_mul_f32_e32 v29, v45, v29
	v_and_b32_e32 v31, 0x7f800000, v29
	v_cmp_ne_u32_e32 vcc, s15, v31
                                        ; implicit-def: $vgpr34
	s_and_saveexec_b64 s[4:5], vcc
	s_xor_b64 s[4:5], exec, s[4:5]
; %bb.1232:                             ;   in Loop: Header=BB369_523 Depth=1
	v_bfe_u32 v31, v29, 16, 1
	v_add3_u32 v34, v29, v31, s21
                                        ; implicit-def: $vgpr29
; %bb.1233:                             ;   in Loop: Header=BB369_523 Depth=1
	s_andn2_saveexec_b64 s[4:5], s[4:5]
; %bb.1234:                             ;   in Loop: Header=BB369_523 Depth=1
	v_or_b32_e32 v31, 0x10000, v29
	v_cmp_eq_u32_sdwa vcc, v29, v11 src0_sel:WORD_0 src1_sel:DWORD
	v_cndmask_b32_e32 v34, v31, v29, vcc
; %bb.1235:                             ;   in Loop: Header=BB369_523 Depth=1
	s_or_b64 exec, exec, s[4:5]
	v_lshlrev_b32_e32 v5, 16, v5
	v_mul_f32_e32 v29, v46, v5
	v_and_b32_e32 v5, 0x7f800000, v29
	v_cmp_ne_u32_e32 vcc, s15, v5
                                        ; implicit-def: $vgpr5
	s_and_saveexec_b64 s[4:5], vcc
	s_xor_b64 s[4:5], exec, s[4:5]
; %bb.1236:                             ;   in Loop: Header=BB369_523 Depth=1
	v_bfe_u32 v5, v29, 16, 1
	v_add3_u32 v5, v29, v5, s21
                                        ; implicit-def: $vgpr29
; %bb.1237:                             ;   in Loop: Header=BB369_523 Depth=1
	s_andn2_saveexec_b64 s[4:5], s[4:5]
	s_cbranch_execz .LBB369_522
; %bb.1238:                             ;   in Loop: Header=BB369_523 Depth=1
	v_or_b32_e32 v5, 0x10000, v29
	v_cmp_eq_u32_sdwa vcc, v29, v11 src0_sel:WORD_0 src1_sel:DWORD
	v_cndmask_b32_e32 v5, v5, v29, vcc
	s_branch .LBB369_522
.LBB369_1239:
	s_or_b64 exec, exec, s[10:11]
	v_accvgpr_read_b32 v22, a5
	v_accvgpr_read_b32 v23, a6
	;; [unrolled: 1-line block ×3, first 2 shown]
.LBB369_1240:
	s_or_b64 exec, exec, s[6:7]
	s_waitcnt lgkmcnt(0)
	s_barrier
	buffer_load_dword v9, off, s[0:3], s32 offset:196 ; 4-byte Folded Reload
	ds_bpermute_b32 v0, v23, v20
	ds_bpermute_b32 v1, v23, v21
	;; [unrolled: 1-line block ×6, first 2 shown]
	s_waitcnt lgkmcnt(0)
	v_pk_add_f32 v[2:3], v[20:21], v[0:1]
	v_pk_add_f32 v[0:1], v[18:19], v[4:5]
	v_pk_add_f32 v[6:7], v[12:13], v[6:7]
	s_waitcnt vmcnt(0)
	v_and_b32_e32 v4, 0x3c1, v9
	v_cmp_eq_u32_e32 vcc, 64, v4
	s_and_saveexec_b64 s[4:5], vcc
	s_cbranch_execz .LBB369_1242
; %bb.1241:
	s_ashr_i32 s21, s20, 31
	s_lshl_b64 s[6:7], s[20:21], 2
	s_getpc_b64 s[8:9]
	s_add_u32 s8, s8, llvm.amdgcn.dynlds.offset.table@rel32@lo+4
	s_addc_u32 s9, s9, llvm.amdgcn.dynlds.offset.table@rel32@hi+12
	s_add_u32 s6, s6, s8
	s_addc_u32 s7, s7, s9
	s_load_dword s6, s[6:7], 0x0
	s_waitcnt lgkmcnt(0)
	v_lshl_add_u32 v4, v22, 1, s6
	ds_write2_b32 v4, v2, v3 offset1:32
	ds_write2_b32 v4, v0, v1 offset0:64 offset1:96
	ds_write2_b32 v4, v6, v7 offset0:128 offset1:160
.LBB369_1242:
	s_or_b64 exec, exec, s[4:5]
	v_cmp_gt_u32_e32 vcc, 64, v9
	s_waitcnt lgkmcnt(0)
	s_barrier
	s_and_saveexec_b64 s[6:7], vcc
	s_cbranch_execz .LBB369_1251
; %bb.1243:
	v_cmp_eq_u32_e64 s[4:5], 0, v8
	v_lshrrev_b32_e32 v4, 1, v9
	s_and_saveexec_b64 s[8:9], s[4:5]
	s_cbranch_execnz .LBB369_1279
; %bb.1244:
	s_or_b64 exec, exec, s[8:9]
	s_and_saveexec_b64 s[8:9], s[4:5]
	s_cbranch_execnz .LBB369_1280
.LBB369_1245:
	s_or_b64 exec, exec, s[8:9]
	s_and_saveexec_b64 s[8:9], s[4:5]
	s_cbranch_execnz .LBB369_1281
.LBB369_1246:
	s_or_b64 exec, exec, s[8:9]
	s_and_saveexec_b64 s[8:9], s[4:5]
	s_cbranch_execnz .LBB369_1282
.LBB369_1247:
	s_or_b64 exec, exec, s[8:9]
	s_and_saveexec_b64 s[8:9], s[4:5]
	s_cbranch_execnz .LBB369_1283
.LBB369_1248:
	s_or_b64 exec, exec, s[8:9]
	s_and_saveexec_b64 s[8:9], s[4:5]
	s_cbranch_execz .LBB369_1250
.LBB369_1249:
	s_ashr_i32 s21, s20, 31
	s_lshl_b64 s[4:5], s[20:21], 2
	s_getpc_b64 s[10:11]
	s_add_u32 s10, s10, llvm.amdgcn.dynlds.offset.table@rel32@lo+4
	s_addc_u32 s11, s11, llvm.amdgcn.dynlds.offset.table@rel32@hi+12
	s_add_u32 s4, s4, s10
	s_addc_u32 s5, s5, s11
	s_load_dword s4, s[4:5], 0x0
	s_waitcnt lgkmcnt(0)
	v_lshl_add_u32 v4, v4, 2, s4
	ds_read_b32 v4, v4 offset:640
	s_waitcnt lgkmcnt(0)
	v_add_f32_e32 v7, v7, v4
.LBB369_1250:
	s_or_b64 exec, exec, s[8:9]
.LBB369_1251:
	s_or_b64 exec, exec, s[6:7]
	s_barrier
	s_and_b64 exec, exec, vcc
	s_cbranch_execz .LBB369_1278
; %bb.1252:
	v_cmp_eq_u32_e32 vcc, 0, v8
	s_and_b64 exec, exec, vcc
	s_cbranch_execz .LBB369_1278
; %bb.1253:
	s_mov_b32 s4, 0x7f800000
	v_and_b32_e32 v4, 0x7f800000, v2
	v_cmp_ne_u32_e32 vcc, s4, v4
                                        ; implicit-def: $vgpr4
	s_and_saveexec_b64 s[4:5], vcc
	s_xor_b64 s[4:5], exec, s[4:5]
; %bb.1254:
	v_bfe_u32 v4, v2, 16, 1
	s_movk_i32 s6, 0x7fff
	v_add3_u32 v4, v2, v4, s6
; %bb.1255:
	s_andn2_saveexec_b64 s[4:5], s[4:5]
; %bb.1256:
	v_mov_b32_e32 v4, 0
	v_or_b32_e32 v5, 0x10000, v2
	v_cmp_eq_u32_sdwa vcc, v2, v4 src0_sel:WORD_0 src1_sel:DWORD
	v_cndmask_b32_e32 v4, v5, v2, vcc
; %bb.1257:
	s_or_b64 exec, exec, s[4:5]
	buffer_load_dword v5, off, s[0:3], s32 offset:204 ; 4-byte Folded Reload
	buffer_load_dword v8, off, s[0:3], s32 offset:200 ; 4-byte Folded Reload
	s_mul_i32 s4, s23, s18
	s_mul_i32 s4, s4, s19
	s_mulk_i32 s4, 0xc0
	s_mul_i32 s6, s22, s23
	s_mul_i32 s8, s14, 0xc0
	s_ashr_i32 s5, s4, 31
	s_ashr_i32 s7, s6, 31
	;; [unrolled: 1-line block ×3, first 2 shown]
	s_lshl_b64 s[4:5], s[4:5], 1
	s_lshl_b64 s[6:7], s[6:7], 1
	;; [unrolled: 1-line block ×3, first 2 shown]
	s_add_u32 s6, s8, s6
	s_addc_u32 s7, s9, s7
	s_add_u32 s4, s6, s4
	s_addc_u32 s5, s7, s5
	v_mov_b32_e32 v2, s5
	s_waitcnt vmcnt(1)
	v_add_co_u32_e32 v5, vcc, s4, v5
	s_waitcnt vmcnt(0)
	v_addc_co_u32_e32 v2, vcc, v2, v8, vcc
	v_and_b32_e32 v8, 0x3fe, v9
	v_add_co_u32_e32 v8, vcc, v5, v8
	v_addc_co_u32_e32 v9, vcc, 0, v2, vcc
	s_mov_b32 s4, 0x7f800000
	v_and_b32_e32 v2, 0x7f800000, v3
	v_cmp_ne_u32_e32 vcc, s4, v2
	flat_store_short_d16_hi v[8:9], v4
                                        ; implicit-def: $vgpr2
	s_and_saveexec_b64 s[4:5], vcc
	s_xor_b64 s[4:5], exec, s[4:5]
; %bb.1258:
	v_bfe_u32 v2, v3, 16, 1
	s_movk_i32 s6, 0x7fff
	v_add3_u32 v2, v3, v2, s6
; %bb.1259:
	s_andn2_saveexec_b64 s[4:5], s[4:5]
; %bb.1260:
	v_mov_b32_e32 v2, 0
	v_or_b32_e32 v4, 0x10000, v3
	v_cmp_eq_u32_sdwa vcc, v3, v2 src0_sel:WORD_0 src1_sel:DWORD
	v_cndmask_b32_e32 v2, v4, v3, vcc
; %bb.1261:
	s_or_b64 exec, exec, s[4:5]
	flat_store_short_d16_hi v[8:9], v2 offset:64
	s_mov_b32 s4, 0x7f800000
	v_and_b32_e32 v2, 0x7f800000, v0
	v_cmp_ne_u32_e32 vcc, s4, v2
                                        ; implicit-def: $vgpr2
	s_and_saveexec_b64 s[4:5], vcc
	s_xor_b64 s[4:5], exec, s[4:5]
; %bb.1262:
	v_bfe_u32 v2, v0, 16, 1
	s_movk_i32 s6, 0x7fff
	v_add3_u32 v2, v0, v2, s6
; %bb.1263:
	s_andn2_saveexec_b64 s[4:5], s[4:5]
; %bb.1264:
	v_mov_b32_e32 v2, 0
	v_or_b32_e32 v3, 0x10000, v0
	v_cmp_eq_u32_sdwa vcc, v0, v2 src0_sel:WORD_0 src1_sel:DWORD
	v_cndmask_b32_e32 v2, v3, v0, vcc
; %bb.1265:
	s_or_b64 exec, exec, s[4:5]
	s_mov_b32 s4, 0x7f800000
	v_and_b32_e32 v0, 0x7f800000, v1
	v_cmp_ne_u32_e32 vcc, s4, v0
	flat_store_short_d16_hi v[8:9], v2 offset:128
                                        ; implicit-def: $vgpr0
	s_and_saveexec_b64 s[4:5], vcc
	s_xor_b64 s[4:5], exec, s[4:5]
; %bb.1266:
	v_bfe_u32 v0, v1, 16, 1
	s_movk_i32 s6, 0x7fff
	v_add3_u32 v0, v1, v0, s6
; %bb.1267:
	s_andn2_saveexec_b64 s[4:5], s[4:5]
; %bb.1268:
	v_mov_b32_e32 v0, 0
	v_or_b32_e32 v2, 0x10000, v1
	v_cmp_eq_u32_sdwa vcc, v1, v0 src0_sel:WORD_0 src1_sel:DWORD
	v_cndmask_b32_e32 v0, v2, v1, vcc
; %bb.1269:
	s_or_b64 exec, exec, s[4:5]
	flat_store_short_d16_hi v[8:9], v0 offset:192
	s_mov_b32 s4, 0x7f800000
	v_and_b32_e32 v0, 0x7f800000, v6
	v_cmp_ne_u32_e32 vcc, s4, v0
                                        ; implicit-def: $vgpr0
	s_and_saveexec_b64 s[4:5], vcc
	s_xor_b64 s[4:5], exec, s[4:5]
; %bb.1270:
	v_bfe_u32 v0, v6, 16, 1
	s_movk_i32 s6, 0x7fff
	v_add3_u32 v0, v6, v0, s6
; %bb.1271:
	s_andn2_saveexec_b64 s[4:5], s[4:5]
; %bb.1272:
	v_mov_b32_e32 v0, 0
	v_or_b32_e32 v1, 0x10000, v6
	v_cmp_eq_u32_sdwa vcc, v6, v0 src0_sel:WORD_0 src1_sel:DWORD
	v_cndmask_b32_e32 v0, v1, v6, vcc
; %bb.1273:
	s_or_b64 exec, exec, s[4:5]
	flat_store_short_d16_hi v[8:9], v0 offset:256
	s_mov_b32 s4, 0x7f800000
	v_and_b32_e32 v0, 0x7f800000, v7
	v_cmp_ne_u32_e32 vcc, s4, v0
                                        ; implicit-def: $vgpr0
	s_and_saveexec_b64 s[4:5], vcc
	s_xor_b64 s[4:5], exec, s[4:5]
; %bb.1274:
	v_bfe_u32 v0, v7, 16, 1
	s_movk_i32 s6, 0x7fff
	v_add3_u32 v0, v7, v0, s6
                                        ; implicit-def: $vgpr2_vgpr3_vgpr4_vgpr5_vgpr6_vgpr7
; %bb.1275:
	s_andn2_saveexec_b64 s[4:5], s[4:5]
; %bb.1276:
	v_mov_b32_e32 v0, 0
	v_or_b32_e32 v1, 0x10000, v7
	v_cmp_eq_u32_sdwa vcc, v7, v0 src0_sel:WORD_0 src1_sel:DWORD
	v_cndmask_b32_e32 v0, v1, v7, vcc
; %bb.1277:
	s_or_b64 exec, exec, s[4:5]
	flat_store_short_d16_hi v[8:9], v0 offset:320
.LBB369_1278:
	s_or_b64 exec, exec, s[16:17]
	buffer_load_dword a63, off, s[0:3], s32 ; 4-byte Folded Reload
	buffer_load_dword a62, off, s[0:3], s32 offset:4 ; 4-byte Folded Reload
	buffer_load_dword a61, off, s[0:3], s32 offset:8 ; 4-byte Folded Reload
	;; [unrolled: 1-line block ×46, first 2 shown]
	v_readlane_b32 s30, v63, 6
	v_readlane_b32 s31, v63, 7
	;; [unrolled: 1-line block ×8, first 2 shown]
	s_or_saveexec_b64 s[4:5], -1
	buffer_load_dword v63, off, s[0:3], s32 offset:264 ; 4-byte Folded Reload
	s_mov_b64 exec, s[4:5]
	s_waitcnt vmcnt(0) lgkmcnt(0)
	s_setpc_b64 s[30:31]
.LBB369_1279:
	s_ashr_i32 s21, s20, 31
	s_lshl_b64 s[10:11], s[20:21], 2
	s_getpc_b64 s[12:13]
	s_add_u32 s12, s12, llvm.amdgcn.dynlds.offset.table@rel32@lo+4
	s_addc_u32 s13, s13, llvm.amdgcn.dynlds.offset.table@rel32@hi+12
	s_add_u32 s10, s10, s12
	s_addc_u32 s11, s11, s13
	s_load_dword s10, s[10:11], 0x0
	s_waitcnt lgkmcnt(0)
	v_lshl_add_u32 v5, v4, 2, s10
	ds_read_b32 v5, v5
	s_waitcnt lgkmcnt(0)
	v_add_f32_e32 v2, v2, v5
	s_or_b64 exec, exec, s[8:9]
	s_and_saveexec_b64 s[8:9], s[4:5]
	s_cbranch_execz .LBB369_1245
.LBB369_1280:
	s_ashr_i32 s21, s20, 31
	s_lshl_b64 s[10:11], s[20:21], 2
	s_getpc_b64 s[12:13]
	s_add_u32 s12, s12, llvm.amdgcn.dynlds.offset.table@rel32@lo+4
	s_addc_u32 s13, s13, llvm.amdgcn.dynlds.offset.table@rel32@hi+12
	s_add_u32 s10, s10, s12
	s_addc_u32 s11, s11, s13
	s_load_dword s10, s[10:11], 0x0
	s_waitcnt lgkmcnt(0)
	v_lshl_add_u32 v5, v4, 2, s10
	ds_read_b32 v5, v5 offset:128
	s_waitcnt lgkmcnt(0)
	v_add_f32_e32 v3, v3, v5
	s_or_b64 exec, exec, s[8:9]
	s_and_saveexec_b64 s[8:9], s[4:5]
	s_cbranch_execz .LBB369_1246
.LBB369_1281:
	s_ashr_i32 s21, s20, 31
	s_lshl_b64 s[10:11], s[20:21], 2
	s_getpc_b64 s[12:13]
	s_add_u32 s12, s12, llvm.amdgcn.dynlds.offset.table@rel32@lo+4
	s_addc_u32 s13, s13, llvm.amdgcn.dynlds.offset.table@rel32@hi+12
	s_add_u32 s10, s10, s12
	s_addc_u32 s11, s11, s13
	s_load_dword s10, s[10:11], 0x0
	s_waitcnt lgkmcnt(0)
	v_lshl_add_u32 v5, v4, 2, s10
	ds_read_b32 v5, v5 offset:256
	s_waitcnt lgkmcnt(0)
	v_add_f32_e32 v0, v0, v5
	s_or_b64 exec, exec, s[8:9]
	s_and_saveexec_b64 s[8:9], s[4:5]
	s_cbranch_execz .LBB369_1247
.LBB369_1282:
	s_ashr_i32 s21, s20, 31
	s_lshl_b64 s[10:11], s[20:21], 2
	s_getpc_b64 s[12:13]
	s_add_u32 s12, s12, llvm.amdgcn.dynlds.offset.table@rel32@lo+4
	s_addc_u32 s13, s13, llvm.amdgcn.dynlds.offset.table@rel32@hi+12
	s_add_u32 s10, s10, s12
	s_addc_u32 s11, s11, s13
	s_load_dword s10, s[10:11], 0x0
	s_waitcnt lgkmcnt(0)
	v_lshl_add_u32 v5, v4, 2, s10
	ds_read_b32 v5, v5 offset:384
	s_waitcnt lgkmcnt(0)
	v_add_f32_e32 v1, v1, v5
	s_or_b64 exec, exec, s[8:9]
	s_and_saveexec_b64 s[8:9], s[4:5]
	s_cbranch_execz .LBB369_1248
.LBB369_1283:
	s_ashr_i32 s21, s20, 31
	s_lshl_b64 s[10:11], s[20:21], 2
	s_getpc_b64 s[12:13]
	s_add_u32 s12, s12, llvm.amdgcn.dynlds.offset.table@rel32@lo+4
	s_addc_u32 s13, s13, llvm.amdgcn.dynlds.offset.table@rel32@hi+12
	s_add_u32 s10, s10, s12
	s_addc_u32 s11, s11, s13
	s_load_dword s10, s[10:11], 0x0
	s_waitcnt lgkmcnt(0)
	v_lshl_add_u32 v5, v4, 2, s10
	ds_read_b32 v5, v5 offset:512
	s_waitcnt lgkmcnt(0)
	v_add_f32_e32 v6, v6, v5
	s_or_b64 exec, exec, s[8:9]
	s_and_saveexec_b64 s[8:9], s[4:5]
	s_cbranch_execnz .LBB369_1249
	s_branch .LBB369_1250
.Lfunc_end369:
	.size	_ZN4vllm22paged_attention_kernelI14__hip_bfloat16hLi192ELi16ELi128ELNS_18Fp8KVCacheDataTypeE1ELb0ELi512EEEvPfS3_PT_PKS4_PKT0_SA_ifPKiSC_iPKfiiiSE_SE_iiiii, .Lfunc_end369-_ZN4vllm22paged_attention_kernelI14__hip_bfloat16hLi192ELi16ELi128ELNS_18Fp8KVCacheDataTypeE1ELb0ELi512EEEvPfS3_PT_PKS4_PKT0_SA_ifPKiSC_iPKfiiiSE_SE_iiiii
                                        ; -- End function
	.section	.AMDGPU.csdata,"",@progbits
; Function info:
; codeLenInByte = 39652
; NumSgprs: 44
; NumVgprs: 64
; NumAgprs: 64
; TotalNumVgprs: 128
; ScratchSize: 272
; MemoryBound: 0
	.section	.text._ZN4vllm25paged_attention_v2_kernelI14__hip_bfloat16hLi192ELi16ELi128ELNS_18Fp8KVCacheDataTypeE1ELb0ELi512EEEvPfS3_PT_PKS4_PKT0_SA_ifPKiSC_iPKfiiiSE_SE_iiiii,"axG",@progbits,_ZN4vllm25paged_attention_v2_kernelI14__hip_bfloat16hLi192ELi16ELi128ELNS_18Fp8KVCacheDataTypeE1ELb0ELi512EEEvPfS3_PT_PKS4_PKT0_SA_ifPKiSC_iPKfiiiSE_SE_iiiii,comdat
	.protected	_ZN4vllm25paged_attention_v2_kernelI14__hip_bfloat16hLi192ELi16ELi128ELNS_18Fp8KVCacheDataTypeE1ELb0ELi512EEEvPfS3_PT_PKS4_PKT0_SA_ifPKiSC_iPKfiiiSE_SE_iiiii ; -- Begin function _ZN4vllm25paged_attention_v2_kernelI14__hip_bfloat16hLi192ELi16ELi128ELNS_18Fp8KVCacheDataTypeE1ELb0ELi512EEEvPfS3_PT_PKS4_PKT0_SA_ifPKiSC_iPKfiiiSE_SE_iiiii
	.globl	_ZN4vllm25paged_attention_v2_kernelI14__hip_bfloat16hLi192ELi16ELi128ELNS_18Fp8KVCacheDataTypeE1ELb0ELi512EEEvPfS3_PT_PKS4_PKT0_SA_ifPKiSC_iPKfiiiSE_SE_iiiii
	.p2align	8
	.type	_ZN4vllm25paged_attention_v2_kernelI14__hip_bfloat16hLi192ELi16ELi128ELNS_18Fp8KVCacheDataTypeE1ELb0ELi512EEEvPfS3_PT_PKS4_PKT0_SA_ifPKiSC_iPKfiiiSE_SE_iiiii,@function
_ZN4vllm25paged_attention_v2_kernelI14__hip_bfloat16hLi192ELi16ELi128ELNS_18Fp8KVCacheDataTypeE1ELb0ELi512EEEvPfS3_PT_PKS4_PKT0_SA_ifPKiSC_iPKfiiiSE_SE_iiiii: ; @_ZN4vllm25paged_attention_v2_kernelI14__hip_bfloat16hLi192ELi16ELi128ELNS_18Fp8KVCacheDataTypeE1ELb0ELi512EEEvPfS3_PT_PKS4_PKT0_SA_ifPKiSC_iPKfiiiSE_SE_iiiii
; %bb.0:
	s_add_u32 flat_scratch_lo, s6, s11
	s_addc_u32 flat_scratch_hi, s7, 0
	s_add_u32 s0, s0, s11
	s_load_dwordx8 s[24:31], s[4:5], 0x0
	s_load_dwordx8 s[16:23], s[4:5], 0x20
	s_load_dwordx2 s[6:7], s[4:5], 0x40
	s_load_dwordx2 s[34:35], s[4:5], 0x50
	s_load_dword s11, s[4:5], 0x48
	s_load_dwordx8 s[36:43], s[4:5], 0x58
	s_addc_u32 s1, s1, 0
	s_mov_b32 s12, s8
	s_add_u32 s8, s4, 0x90
	s_mov_b32 s13, s9
	s_addc_u32 s9, s5, 0
	s_mov_b32 s14, s10
	s_mov_b32 s15, 12
	v_mov_b32_e32 v31, v0
	s_waitcnt lgkmcnt(0)
	v_mov_b32_e32 v0, s24
	v_mov_b32_e32 v1, s25
	;; [unrolled: 1-line block ×28, first 2 shown]
	s_mov_b32 s32, 0
	s_getpc_b64 s[4:5]
	s_add_u32 s4, s4, _ZN4vllm22paged_attention_kernelI14__hip_bfloat16hLi192ELi16ELi128ELNS_18Fp8KVCacheDataTypeE1ELb0ELi512EEEvPfS3_PT_PKS4_PKT0_SA_ifPKiSC_iPKfiiiSE_SE_iiiii@rel32@lo+4
	s_addc_u32 s5, s5, _ZN4vllm22paged_attention_kernelI14__hip_bfloat16hLi192ELi16ELi128ELNS_18Fp8KVCacheDataTypeE1ELb0ELi512EEEvPfS3_PT_PKS4_PKT0_SA_ifPKiSC_iPKfiiiSE_SE_iiiii@rel32@hi+12
	s_swappc_b64 s[30:31], s[4:5]
	s_endpgm
	.section	.rodata,"a",@progbits
	.p2align	6, 0x0
	.amdhsa_kernel _ZN4vllm25paged_attention_v2_kernelI14__hip_bfloat16hLi192ELi16ELi128ELNS_18Fp8KVCacheDataTypeE1ELb0ELi512EEEvPfS3_PT_PKS4_PKT0_SA_ifPKiSC_iPKfiiiSE_SE_iiiii
		.amdhsa_group_segment_fixed_size 400
		.amdhsa_private_segment_fixed_size 272
		.amdhsa_kernarg_size 400
		.amdhsa_user_sgpr_count 8
		.amdhsa_user_sgpr_private_segment_buffer 1
		.amdhsa_user_sgpr_dispatch_ptr 0
		.amdhsa_user_sgpr_queue_ptr 0
		.amdhsa_user_sgpr_kernarg_segment_ptr 1
		.amdhsa_user_sgpr_dispatch_id 0
		.amdhsa_user_sgpr_flat_scratch_init 1
		.amdhsa_user_sgpr_kernarg_preload_length 0
		.amdhsa_user_sgpr_kernarg_preload_offset 0
		.amdhsa_user_sgpr_private_segment_size 0
		.amdhsa_uses_dynamic_stack 0
		.amdhsa_system_sgpr_private_segment_wavefront_offset 1
		.amdhsa_system_sgpr_workgroup_id_x 1
		.amdhsa_system_sgpr_workgroup_id_y 1
		.amdhsa_system_sgpr_workgroup_id_z 1
		.amdhsa_system_sgpr_workgroup_info 0
		.amdhsa_system_vgpr_workitem_id 0
		.amdhsa_next_free_vgpr 128
		.amdhsa_next_free_sgpr 44
		.amdhsa_accum_offset 64
		.amdhsa_reserve_vcc 1
		.amdhsa_reserve_flat_scratch 1
		.amdhsa_float_round_mode_32 0
		.amdhsa_float_round_mode_16_64 0
		.amdhsa_float_denorm_mode_32 3
		.amdhsa_float_denorm_mode_16_64 3
		.amdhsa_dx10_clamp 1
		.amdhsa_ieee_mode 1
		.amdhsa_fp16_overflow 0
		.amdhsa_tg_split 0
		.amdhsa_exception_fp_ieee_invalid_op 0
		.amdhsa_exception_fp_denorm_src 0
		.amdhsa_exception_fp_ieee_div_zero 0
		.amdhsa_exception_fp_ieee_overflow 0
		.amdhsa_exception_fp_ieee_underflow 0
		.amdhsa_exception_fp_ieee_inexact 0
		.amdhsa_exception_int_div_zero 0
	.end_amdhsa_kernel
	.section	.text._ZN4vllm25paged_attention_v2_kernelI14__hip_bfloat16hLi192ELi16ELi128ELNS_18Fp8KVCacheDataTypeE1ELb0ELi512EEEvPfS3_PT_PKS4_PKT0_SA_ifPKiSC_iPKfiiiSE_SE_iiiii,"axG",@progbits,_ZN4vllm25paged_attention_v2_kernelI14__hip_bfloat16hLi192ELi16ELi128ELNS_18Fp8KVCacheDataTypeE1ELb0ELi512EEEvPfS3_PT_PKS4_PKT0_SA_ifPKiSC_iPKfiiiSE_SE_iiiii,comdat
.Lfunc_end370:
	.size	_ZN4vllm25paged_attention_v2_kernelI14__hip_bfloat16hLi192ELi16ELi128ELNS_18Fp8KVCacheDataTypeE1ELb0ELi512EEEvPfS3_PT_PKS4_PKT0_SA_ifPKiSC_iPKfiiiSE_SE_iiiii, .Lfunc_end370-_ZN4vllm25paged_attention_v2_kernelI14__hip_bfloat16hLi192ELi16ELi128ELNS_18Fp8KVCacheDataTypeE1ELb0ELi512EEEvPfS3_PT_PKS4_PKT0_SA_ifPKiSC_iPKfiiiSE_SE_iiiii
                                        ; -- End function
	.section	.AMDGPU.csdata,"",@progbits
; Kernel info:
; codeLenInByte = 244
; NumSgprs: 50
; NumVgprs: 64
; NumAgprs: 64
; TotalNumVgprs: 128
; ScratchSize: 272
; MemoryBound: 0
; FloatMode: 240
; IeeeMode: 1
; LDSByteSize: 400 bytes/workgroup (compile time only)
; SGPRBlocks: 6
; VGPRBlocks: 15
; NumSGPRsForWavesPerEU: 50
; NumVGPRsForWavesPerEU: 128
; AccumOffset: 64
; Occupancy: 4
; WaveLimiterHint : 1
; COMPUTE_PGM_RSRC2:SCRATCH_EN: 1
; COMPUTE_PGM_RSRC2:USER_SGPR: 8
; COMPUTE_PGM_RSRC2:TRAP_HANDLER: 0
; COMPUTE_PGM_RSRC2:TGID_X_EN: 1
; COMPUTE_PGM_RSRC2:TGID_Y_EN: 1
; COMPUTE_PGM_RSRC2:TGID_Z_EN: 1
; COMPUTE_PGM_RSRC2:TIDIG_COMP_CNT: 0
; COMPUTE_PGM_RSRC3_GFX90A:ACCUM_OFFSET: 15
; COMPUTE_PGM_RSRC3_GFX90A:TG_SPLIT: 0
	.text
	.p2align	2                               ; -- Begin function _ZN4vllm22paged_attention_kernelI14__hip_bfloat16hLi256ELi16ELi128ELNS_18Fp8KVCacheDataTypeE1ELb0ELi512EEEvPfS3_PT_PKS4_PKT0_SA_ifPKiSC_iPKfiiiSE_SE_iiiii
	.type	_ZN4vllm22paged_attention_kernelI14__hip_bfloat16hLi256ELi16ELi128ELNS_18Fp8KVCacheDataTypeE1ELb0ELi512EEEvPfS3_PT_PKS4_PKT0_SA_ifPKiSC_iPKfiiiSE_SE_iiiii,@function
_ZN4vllm22paged_attention_kernelI14__hip_bfloat16hLi256ELi16ELi128ELNS_18Fp8KVCacheDataTypeE1ELb0ELi512EEEvPfS3_PT_PKS4_PKT0_SA_ifPKiSC_iPKfiiiSE_SE_iiiii: ; @_ZN4vllm22paged_attention_kernelI14__hip_bfloat16hLi256ELi16ELi128ELNS_18Fp8KVCacheDataTypeE1ELb0ELi512EEEvPfS3_PT_PKS4_PKT0_SA_ifPKiSC_iPKfiiiSE_SE_iiiii
; %bb.0:
	s_waitcnt vmcnt(0) expcnt(0) lgkmcnt(0)
	s_or_saveexec_b64 s[4:5], -1
	buffer_store_dword v63, off, s[0:3], s32 offset:392 ; 4-byte Folded Spill
	s_mov_b64 exec, s[4:5]
	buffer_store_dword v40, off, s[0:3], s32 offset:184 ; 4-byte Folded Spill
	buffer_store_dword v41, off, s[0:3], s32 offset:180 ; 4-byte Folded Spill
	buffer_store_dword v42, off, s[0:3], s32 offset:176 ; 4-byte Folded Spill
	buffer_store_dword v43, off, s[0:3], s32 offset:172 ; 4-byte Folded Spill
	buffer_store_dword v44, off, s[0:3], s32 offset:168 ; 4-byte Folded Spill
	buffer_store_dword v45, off, s[0:3], s32 offset:164 ; 4-byte Folded Spill
	buffer_store_dword v46, off, s[0:3], s32 offset:160 ; 4-byte Folded Spill
	buffer_store_dword v47, off, s[0:3], s32 offset:156 ; 4-byte Folded Spill
	buffer_store_dword v56, off, s[0:3], s32 offset:152 ; 4-byte Folded Spill
	buffer_store_dword v57, off, s[0:3], s32 offset:148 ; 4-byte Folded Spill
	buffer_store_dword v58, off, s[0:3], s32 offset:144 ; 4-byte Folded Spill
	buffer_store_dword v59, off, s[0:3], s32 offset:140 ; 4-byte Folded Spill
	buffer_store_dword v60, off, s[0:3], s32 offset:136 ; 4-byte Folded Spill
	buffer_store_dword v61, off, s[0:3], s32 offset:132 ; 4-byte Folded Spill
	buffer_store_dword v62, off, s[0:3], s32 offset:128 ; 4-byte Folded Spill
	buffer_store_dword a32, off, s[0:3], s32 offset:124 ; 4-byte Folded Spill
	buffer_store_dword a33, off, s[0:3], s32 offset:120 ; 4-byte Folded Spill
	buffer_store_dword a34, off, s[0:3], s32 offset:116 ; 4-byte Folded Spill
	buffer_store_dword a35, off, s[0:3], s32 offset:112 ; 4-byte Folded Spill
	buffer_store_dword a36, off, s[0:3], s32 offset:108 ; 4-byte Folded Spill
	buffer_store_dword a37, off, s[0:3], s32 offset:104 ; 4-byte Folded Spill
	buffer_store_dword a38, off, s[0:3], s32 offset:100 ; 4-byte Folded Spill
	buffer_store_dword a39, off, s[0:3], s32 offset:96 ; 4-byte Folded Spill
	buffer_store_dword a40, off, s[0:3], s32 offset:92 ; 4-byte Folded Spill
	buffer_store_dword a41, off, s[0:3], s32 offset:88 ; 4-byte Folded Spill
	buffer_store_dword a42, off, s[0:3], s32 offset:84 ; 4-byte Folded Spill
	buffer_store_dword a43, off, s[0:3], s32 offset:80 ; 4-byte Folded Spill
	buffer_store_dword a44, off, s[0:3], s32 offset:76 ; 4-byte Folded Spill
	buffer_store_dword a45, off, s[0:3], s32 offset:72 ; 4-byte Folded Spill
	buffer_store_dword a46, off, s[0:3], s32 offset:68 ; 4-byte Folded Spill
	buffer_store_dword a47, off, s[0:3], s32 offset:64 ; 4-byte Folded Spill
	buffer_store_dword a48, off, s[0:3], s32 offset:60 ; 4-byte Folded Spill
	buffer_store_dword a49, off, s[0:3], s32 offset:56 ; 4-byte Folded Spill
	buffer_store_dword a50, off, s[0:3], s32 offset:52 ; 4-byte Folded Spill
	buffer_store_dword a51, off, s[0:3], s32 offset:48 ; 4-byte Folded Spill
	buffer_store_dword a52, off, s[0:3], s32 offset:44 ; 4-byte Folded Spill
	buffer_store_dword a53, off, s[0:3], s32 offset:40 ; 4-byte Folded Spill
	buffer_store_dword a54, off, s[0:3], s32 offset:36 ; 4-byte Folded Spill
	buffer_store_dword a55, off, s[0:3], s32 offset:32 ; 4-byte Folded Spill
	buffer_store_dword a56, off, s[0:3], s32 offset:28 ; 4-byte Folded Spill
	buffer_store_dword a57, off, s[0:3], s32 offset:24 ; 4-byte Folded Spill
	buffer_store_dword a58, off, s[0:3], s32 offset:20 ; 4-byte Folded Spill
	buffer_store_dword a59, off, s[0:3], s32 offset:16 ; 4-byte Folded Spill
	buffer_store_dword a60, off, s[0:3], s32 offset:12 ; 4-byte Folded Spill
	buffer_store_dword a61, off, s[0:3], s32 offset:8 ; 4-byte Folded Spill
	buffer_store_dword a62, off, s[0:3], s32 offset:4 ; 4-byte Folded Spill
	buffer_store_dword a63, off, s[0:3], s32 ; 4-byte Folded Spill
	v_writelane_b32 v63, s34, 0
	v_writelane_b32 v63, s35, 1
	;; [unrolled: 1-line block ×8, first 2 shown]
	s_mov_b32 s18, s13
	s_ashr_i32 s19, s13, 31
	s_lshl_b64 s[4:5], s[18:19], 2
	v_mov_b32_e32 v33, v1
	v_mov_b32_e32 v34, v0
	;; [unrolled: 1-line block ×3, first 2 shown]
	v_add_co_u32_e32 v0, vcc, s4, v16
	buffer_store_dword v5, off, s[0:3], s32 offset:312 ; 4-byte Folded Spill
	buffer_store_dword v4, off, s[0:3], s32 offset:316 ; 4-byte Folded Spill
	v_addc_co_u32_e32 v1, vcc, v17, v1, vcc
	flat_load_dword v32, v[0:1]
	v_accvgpr_write_b32 a22, v24
	s_lshl_b32 s36, s14, 9
	v_accvgpr_write_b32 a23, v25
	v_accvgpr_write_b32 a4, v22
	v_mov_b32_e32 v29, v20
	v_mov_b32_e32 v28, v19
	;; [unrolled: 1-line block ×3, first 2 shown]
	v_accvgpr_write_b32 a21, v13
	v_mov_b32_e32 v35, v3
	v_mov_b32_e32 v36, v2
	s_waitcnt vmcnt(0) lgkmcnt(0)
	v_cmp_lt_i32_e32 vcc, s36, v32
	s_and_saveexec_b64 s[16:17], vcc
	s_cbranch_execz .LBB371_1676
; %bb.1:
	v_sub_u32_e32 v0, 0, v12
	v_max_i32_e32 v0, v12, v0
	v_cvt_f32_u32_e32 v1, v0
	s_load_dword s4, s[8:9], 0x10
	s_load_dword s6, s[8:9], 0x0
	v_sub_u32_e32 v3, 0, v0
	s_mov_b32 s20, s15
	v_rcp_iflag_f32_e32 v1, v1
	s_waitcnt lgkmcnt(0)
	s_lshr_b32 s4, s4, 16
	s_cmp_lg_u32 s4, 0
	s_cselect_b64 s[4:5], -1, 0
	v_mul_f32_e32 v1, 0x4f7ffffe, v1
	v_cvt_u32_f32_e32 v1, v1
	s_cmp_lg_u64 s[4:5], 0
	s_addc_u32 s19, s6, 0
	s_abs_i32 s4, s19
	v_mul_lo_u32 v3, v3, v1
	v_mul_hi_u32 v3, v1, v3
	v_add_u32_e32 v1, v1, v3
	v_mul_hi_u32 v1, s4, v1
	v_mul_lo_u32 v3, v1, v0
	v_sub_u32_e32 v3, s4, v3
	v_add_u32_e32 v4, 1, v1
	v_cmp_ge_u32_e32 vcc, v3, v0
	v_cndmask_b32_e32 v1, v1, v4, vcc
	v_sub_u32_e32 v4, v3, v0
	v_cndmask_b32_e32 v3, v3, v4, vcc
	v_xor_b32_e32 v2, s19, v12
	v_add_u32_e32 v4, 1, v1
	v_cmp_ge_u32_e32 vcc, v3, v0
	v_ashrrev_i32_e32 v2, 31, v2
	v_cndmask_b32_e32 v0, v1, v4, vcc
	v_xor_b32_e32 v0, v0, v2
	v_sub_u32_e32 v0, v0, v2
	v_sub_u32_e32 v1, 0, v0
	v_max_i32_e32 v1, v0, v1
	v_cvt_f32_u32_e32 v2, v1
	v_sub_u32_e32 v3, 0, v1
	s_abs_i32 s6, s12
	v_cmp_ne_u64_e32 vcc, 0, v[28:29]
	v_rcp_iflag_f32_e32 v2, v2
	v_mul_f32_e32 v2, 0x4f7ffffe, v2
	v_cvt_u32_f32_e32 v2, v2
	v_mul_lo_u32 v3, v3, v2
	v_mul_hi_u32 v3, v2, v3
	v_add_u32_e32 v2, v2, v3
	v_mad_u64_u32 v[16:17], s[4:5], s6, v2, 0
	v_mov_b32_e32 v2, 0
	buffer_store_dword v2, off, s[0:3], s32 offset:292 ; 4-byte Folded Spill
	s_and_saveexec_b64 s[4:5], vcc
	s_cbranch_execz .LBB371_3
; %bb.2:
	s_ashr_i32 s13, s12, 31
	s_lshl_b64 s[10:11], s[12:13], 2
	v_mov_b32_e32 v3, s11
	v_add_co_u32_e32 v2, vcc, s10, v28
	v_addc_co_u32_e32 v3, vcc, v29, v3, vcc
	flat_load_dword v2, v[2:3]
	s_waitcnt vmcnt(0) lgkmcnt(0)
	buffer_store_dword v2, off, s[0:3], s32 offset:292 ; 4-byte Folded Spill
.LBB371_3:
	s_or_b64 exec, exec, s[4:5]
	v_and_b32_e32 v14, 0x3ff, v31
	s_movk_i32 s4, 0x80
	s_ashr_i32 s7, s12, 31
	v_ashrrev_i32_e32 v2, 31, v0
	v_and_b32_e32 v0, 3, v14
	s_lshl_b32 s22, s12, 8
	v_cmp_gt_u32_e32 vcc, s4, v14
	s_and_saveexec_b64 s[4:5], vcc
	s_cbranch_execz .LBB371_5
; %bb.4:
	v_mul_lo_u32 v4, s18, v21
	v_ashrrev_i32_e32 v5, 31, v4
	v_lshlrev_b64 v[4:5], 1, v[4:5]
	v_add_co_u32_e32 v3, vcc, v6, v4
	s_ashr_i32 s23, s22, 31
	v_addc_co_u32_e32 v4, vcc, v7, v5, vcc
	s_lshl_b64 s[10:11], s[22:23], 1
	v_mov_b32_e32 v5, s11
	v_add_co_u32_e32 v3, vcc, s10, v3
	v_addc_co_u32_e32 v5, vcc, v4, v5, vcc
	v_lshlrev_b32_e32 v4, 2, v14
	v_add_co_u32_e32 v4, vcc, v3, v4
	v_addc_co_u32_e32 v5, vcc, 0, v5, vcc
	flat_load_dword v3, v[4:5]
	v_and_b32_e32 v4, 0x3fc, v14
	v_lshl_add_u32 v4, v0, 7, v4
	s_waitcnt vmcnt(0) lgkmcnt(0)
	ds_write_b32 v4, v3
.LBB371_5:
	s_or_b64 exec, exec, s[4:5]
	v_add_u32_e32 v3, 15, v32
	v_ashrrev_i32_e32 v4, 31, v3
	v_lshrrev_b32_e32 v4, 28, v4
	v_add_u32_e32 v3, v3, v4
	v_ashrrev_i32_e32 v31, 4, v3
	v_mul_lo_u32 v3, v17, v1
	v_sub_u32_e32 v3, s6, v3
	v_add_u32_e32 v4, 1, v17
	v_cmp_ge_u32_e32 vcc, v3, v1
	v_sub_u32_e32 v5, v3, v1
	v_cndmask_b32_e32 v4, v17, v4, vcc
	v_cndmask_b32_e32 v3, v3, v5, vcc
	s_lshl_b32 s15, s14, 5
	v_add_u32_e32 v5, 1, v4
	v_cmp_ge_u32_e32 vcc, v3, v1
	s_add_i32 s4, s15, 32
	v_lshrrev_b32_e32 v29, 6, v14
	v_xor_b32_e32 v2, s7, v2
	v_cndmask_b32_e32 v1, v4, v5, vcc
	v_min_i32_e32 v12, s4, v31
	v_xor_b32_e32 v1, v1, v2
	v_mul_lo_u32 v6, s18, v18
	v_or_b32_e32 v16, s15, v29
	v_sub_u32_e32 v2, v1, v2
	v_ashrrev_i32_e32 v7, 31, v6
	v_cmp_lt_i32_e64 s[4:5], v16, v12
	v_cmp_ge_i32_e32 vcc, v16, v12
	v_mbcnt_lo_u32_b32 v1, -1, 0
	s_waitcnt lgkmcnt(0)
	s_barrier
	buffer_store_dword v12, off, s[0:3], s32 offset:188 ; 4-byte Folded Spill
                                        ; implicit-def: $sgpr21
                                        ; implicit-def: $vgpr20
                                        ; implicit-def: $vgpr21
	s_and_saveexec_b64 s[6:7], vcc
	s_xor_b64 s[6:7], exec, s[6:7]
; %bb.6:
	v_mbcnt_hi_u32_b32 v20, -1, v1
	v_and_b32_e32 v0, 64, v20
	v_add_u32_e32 v21, 64, v0
	s_mov_b32 s21, 0xff7fffff
                                        ; implicit-def: $vgpr0
                                        ; kill: killed $vgpr0
                                        ; implicit-def: $agpr21
                                        ; implicit-def: $agpr22
                                        ; implicit-def: $vgpr8
                                        ; implicit-def: $vgpr9
                                        ; implicit-def: $vgpr0
                                        ; implicit-def: $vgpr1
; %bb.7:
	s_or_saveexec_b64 s[10:11], s[6:7]
	s_load_dword s23, s[8:9], 0x14
	s_load_dword s13, s[8:9], 0x8
	v_mul_lo_u32 v37, v2, v23
	v_mov_b32_e32 v13, s21
	v_ashrrev_i32_e32 v17, 31, v16
	v_ashrrev_i32_e32 v48, 31, v37
	v_lshlrev_b64 v[38:39], 2, v[6:7]
	buffer_store_dword v14, off, s[0:3], s32 offset:308 ; 4-byte Folded Spill
	s_xor_b64 exec, exec, s[10:11]
	s_cbranch_execz .LBB371_653
; %bb.8:
	buffer_store_dword v31, off, s[0:3], s32 offset:320 ; 4-byte Folded Spill
	buffer_store_dword v36, off, s[0:3], s32 offset:356 ; 4-byte Folded Spill
	;; [unrolled: 1-line block ×8, first 2 shown]
	s_nop 0
	buffer_store_dword v27, off, s[0:3], s32 offset:380 ; 4-byte Folded Spill
	v_lshlrev_b32_e32 v6, 7, v0
	ds_read_b128 v[2:5], v6
	ds_read_b128 v[50:53], v6 offset:16
	ds_read_b128 v[18:21], v6 offset:32
	;; [unrolled: 1-line block ×3, first 2 shown]
	s_ashr_i32 s21, s20, 31
	s_waitcnt lgkmcnt(0)
	v_lshlrev_b32_e32 v27, 16, v3
	v_and_b32_e32 v3, 0xffff0000, v3
	buffer_store_dword v3, off, s[0:3], s32 offset:192 ; 4-byte Folded Spill
	v_lshlrev_b32_e32 v3, 16, v4
	buffer_store_dword v3, off, s[0:3], s32 offset:196 ; 4-byte Folded Spill
	v_and_b32_e32 v3, 0xffff0000, v4
	buffer_store_dword v3, off, s[0:3], s32 offset:200 ; 4-byte Folded Spill
	v_lshlrev_b32_e32 v3, 16, v5
	buffer_store_dword v3, off, s[0:3], s32 offset:204 ; 4-byte Folded Spill
	;; [unrolled: 4-line block ×10, first 2 shown]
	v_and_b32_e32 v3, 0xffff0000, v21
	v_lshlrev_b32_e32 v26, 16, v2
	v_and_b32_e32 v2, 0xffff0000, v2
	buffer_store_dword v3, off, s[0:3], s32 offset:272 ; 4-byte Folded Spill
	v_lshlrev_b32_e32 v3, 16, v22
	buffer_store_dword v3, off, s[0:3], s32 offset:276 ; 4-byte Folded Spill
	v_and_b32_e32 v3, 0xffff0000, v22
	v_mov_b32_e32 v22, v2
	v_lshlrev_b32_e32 v2, 16, v23
	buffer_store_dword v2, off, s[0:3], s32 offset:284 ; 4-byte Folded Spill
	v_and_b32_e32 v2, 0xffff0000, v23
	buffer_store_dword v2, off, s[0:3], s32 offset:288 ; 4-byte Folded Spill
	v_lshlrev_b32_e32 v2, 16, v24
	buffer_store_dword v3, off, s[0:3], s32 offset:280 ; 4-byte Folded Spill
	v_accvgpr_write_b32 a54, v2
	ds_read_b128 v[2:5], v6 offset:64
	ds_read_b128 v[18:21], v6 offset:80
	v_and_b32_e32 v7, 0xffff0000, v24
	v_accvgpr_write_b32 a55, v7
	v_lshlrev_b32_e32 v7, 16, v25
	v_accvgpr_write_b32 a56, v7
	v_and_b32_e32 v7, 0xffff0000, v25
	v_accvgpr_write_b32 a57, v7
	s_waitcnt lgkmcnt(1)
	v_lshlrev_b32_e32 v7, 16, v2
	v_and_b32_e32 v2, 0xffff0000, v2
	v_accvgpr_write_b32 a59, v2
	v_lshlrev_b32_e32 v2, 16, v3
	v_accvgpr_write_b32 a60, v2
	v_and_b32_e32 v2, 0xffff0000, v3
	v_accvgpr_write_b32 a61, v2
	v_lshlrev_b32_e32 v2, 16, v4
	v_accvgpr_write_b32 a62, v2
	;; [unrolled: 4-line block ×3, first 2 shown]
	v_and_b32_e32 v2, 0xffff0000, v5
	v_accvgpr_write_b32 a17, v2
	s_waitcnt lgkmcnt(0)
	v_lshlrev_b32_e32 v2, 16, v18
	v_accvgpr_write_b32 a20, v2
	v_and_b32_e32 v2, 0xffff0000, v18
	v_accvgpr_write_b32 a18, v2
	v_lshlrev_b32_e32 v2, 16, v19
	v_accvgpr_write_b32 a19, v2
	v_and_b32_e32 v2, 0xffff0000, v19
	v_accvgpr_write_b32 a25, v2
	;; [unrolled: 4-line block ×4, first 2 shown]
	ds_read_b128 v[2:5], v6 offset:96
	ds_read_b128 v[18:21], v6 offset:112
	buffer_store_dword v37, off, s[0:3], s32 offset:324 ; 4-byte Folded Spill
	buffer_store_dword v48, off, s[0:3], s32 offset:328 ; 4-byte Folded Spill
	s_lshl_b64 s[8:9], s[20:21], 2
	s_waitcnt lgkmcnt(1)
	v_lshlrev_b32_e32 v6, 16, v2
	v_and_b32_e32 v2, 0xffff0000, v2
	v_accvgpr_write_b32 a13, v2
	v_lshlrev_b32_e32 v2, 16, v3
	v_accvgpr_write_b32 a14, v2
	v_and_b32_e32 v2, 0xffff0000, v3
	v_accvgpr_write_b32 a11, v2
	v_lshlrev_b32_e32 v2, 16, v4
	v_accvgpr_write_b32 a12, v2
	v_and_b32_e32 v2, 0xffff0000, v4
	v_accvgpr_write_b32 a7, v2
	v_lshlrev_b32_e32 v2, 16, v5
	v_accvgpr_write_b32 a10, v2
	v_and_b32_e32 v2, 0xffff0000, v5
	v_accvgpr_write_b32 a8, v2
	s_waitcnt lgkmcnt(0)
	v_lshlrev_b32_e32 v2, 16, v18
	v_accvgpr_write_b32 a9, v2
	v_and_b32_e32 v2, 0xffff0000, v18
	v_accvgpr_write_b32 a6, v2
	v_lshlrev_b32_e32 v2, 16, v19
	v_accvgpr_write_b32 a5, v2
	v_and_b32_e32 v2, 0xffff0000, v19
	v_accvgpr_write_b32 a26, v2
	;; [unrolled: 4-line block ×4, first 2 shown]
	v_add_co_u32_e32 v2, vcc, v8, v37
	v_bfe_u32 v4, v14, 2, 4
	v_addc_co_u32_e32 v3, vcc, v9, v48, vcc
	v_lshlrev_b32_e32 v5, 4, v4
	v_add_co_u32_e32 v2, vcc, v2, v5
	v_addc_co_u32_e32 v3, vcc, 0, v3, vcc
	v_accvgpr_write_b32 a31, v3
	v_accvgpr_write_b32 a30, v2
	v_lshlrev_b64 v[2:3], 2, v[16:17]
	v_add_co_u32_e32 v2, vcc, v38, v2
	buffer_store_dword v38, off, s[0:3], s32 offset:332 ; 4-byte Folded Spill
	s_nop 0
	buffer_store_dword v39, off, s[0:3], s32 offset:336 ; 4-byte Folded Spill
	s_getpc_b64 s[24:25]
	s_add_u32 s24, s24, llvm.amdgcn.dynlds.offset.table@rel32@lo+4
	s_addc_u32 s25, s25, llvm.amdgcn.dynlds.offset.table@rel32@hi+12
	s_add_u32 s24, s8, s24
	v_accvgpr_write_b32 a58, v7
	v_accvgpr_write_b32 a1, v6
	s_addc_u32 s25, s9, s25
	s_mov_b64 s[26:27], 0
	s_movk_i32 s21, 0x80
	s_movk_i32 s37, 0x7f
	s_mov_b32 s38, 0x7f800000
	s_movk_i32 s39, 0x7fff
	v_mov_b32_e32 v37, 0
	v_mov_b32_e32 v13, 0xff7fffff
	v_bfrev_b32_e32 v5, 60
	buffer_store_dword v30, off, s[0:3], s32 offset:384 ; 4-byte Folded Spill
	buffer_store_dword v15, off, s[0:3], s32 offset:388 ; 4-byte Folded Spill
	;; [unrolled: 1-line block ×3, first 2 shown]
	v_addc_co_u32_e32 v3, vcc, v39, v3, vcc
	v_add_co_u32_e32 v18, vcc, v30, v2
	v_mbcnt_hi_u32_b32 v2, -1, v1
	v_and_b32_e32 v1, 64, v2
	v_addc_co_u32_e32 v19, vcc, v15, v3, vcc
	v_add_u32_e32 v3, 64, v1
	v_xor_b32_e32 v1, 2, v2
	v_cmp_lt_i32_e32 vcc, v1, v3
	v_cndmask_b32_e32 v1, v2, v1, vcc
	v_lshlrev_b32_e32 v1, 2, v1
	v_accvgpr_write_b32 a32, v1
	v_xor_b32_e32 v1, 1, v2
	v_cmp_lt_i32_e32 vcc, v1, v3
	v_cndmask_b32_e32 v1, v2, v1, vcc
	v_lshlrev_b32_e32 v1, 2, v1
	v_accvgpr_write_b32 a33, v1
	buffer_load_dword v1, off, s[0:3], s32 offset:292 ; 4-byte Folded Reload
	v_cmp_eq_u32_e32 vcc, 0, v0
	v_lshlrev_b32_e32 v0, 1, v0
	v_accvgpr_write_b32 a34, v0
	buffer_store_dword v3, off, s[0:3], s32 offset:340 ; 4-byte Folded Spill
	buffer_store_dword v2, off, s[0:3], s32 offset:344 ; 4-byte Folded Spill
	buffer_store_dword v26, off, s[0:3], s32 offset:300 ; 4-byte Folded Spill
	buffer_store_dword v22, off, s[0:3], s32 offset:304 ; 4-byte Folded Spill
	buffer_store_dword v27, off, s[0:3], s32 offset:296 ; 4-byte Folded Spill
	s_waitcnt vmcnt(5)
	v_cmp_neq_f32_e64 s[6:7], 0, v1
	v_lshlrev_b32_e32 v1, 4, v29
	v_add3_u32 v61, s36, v1, v4
	v_lshlrev_b32_e32 v1, 2, v4
	v_lshl_or_b32 v62, v29, 6, v1
	v_mov_b32_e32 v4, v16
	s_branch .LBB371_10
.LBB371_9:                              ;   in Loop: Header=BB371_10 Depth=1
	s_or_b64 exec, exec, s[28:29]
	buffer_load_dword v0, off, s[0:3], s32 offset:188 ; 4-byte Folded Reload
	v_add_co_u32_e64 v18, s[8:9], 8, v18
	v_add_u32_e32 v4, 2, v4
	v_addc_co_u32_e64 v19, s[8:9], 0, v19, s[8:9]
	v_add_u32_e32 v61, 32, v61
	v_add_u32_e32 v62, 0x80, v62
	s_waitcnt vmcnt(0)
	v_cmp_ge_i32_e64 s[8:9], v4, v0
	s_or_b64 s[26:27], s[8:9], s[26:27]
	s_andn2_b64 exec, exec, s[26:27]
	s_cbranch_execz .LBB371_652
.LBB371_10:                             ; =>This Inner Loop Header: Depth=1
	flat_load_dword v0, v[18:19]
	v_accvgpr_read_b32 v6, a30
	v_accvgpr_read_b32 v2, a4
	;; [unrolled: 1-line block ×3, first 2 shown]
	s_waitcnt vmcnt(0) lgkmcnt(0)
	v_mad_i64_i32 v[0:1], s[8:9], v0, v2, v[6:7]
	v_accvgpr_read_b32 v2, a34
	v_add_co_u32_e64 v20, s[8:9], v0, v2
	v_addc_co_u32_e64 v21, s[8:9], 0, v1, s[8:9]
	v_accvgpr_read_b32 v2, a22
	flat_load_ushort v0, v[20:21]
	v_accvgpr_read_b32 v3, a23
	flat_load_dword v6, v[2:3]
	s_waitcnt vmcnt(0) lgkmcnt(0)
	v_and_b32_e32 v28, 0xffff, v0
	v_cmp_ne_u16_sdwa s[8:9], v0, v37 src0_sel:BYTE_0 src1_sel:DWORD
	v_mov_b32_e32 v0, 0
	s_and_saveexec_b64 s[28:29], s[8:9]
	s_cbranch_execz .LBB371_16
; %bb.11:                               ;   in Loop: Header=BB371_10 Depth=1
	v_cmp_ne_u16_sdwa s[8:9], v28, s21 src0_sel:BYTE_0 src1_sel:DWORD
	v_bfrev_b32_e32 v0, 1
	s_and_saveexec_b64 s[30:31], s[8:9]
	s_cbranch_execz .LBB371_15
; %bb.12:                               ;   in Loop: Header=BB371_10 Depth=1
	v_and_b32_e32 v1, 0x7f, v28
	v_cmp_ne_u32_e64 s[8:9], s37, v1
	v_mov_b32_e32 v0, 0x7f800001
	s_and_saveexec_b64 s[34:35], s[8:9]
	s_cbranch_execz .LBB371_14
; %bb.13:                               ;   in Loop: Header=BB371_10 Depth=1
	v_and_b32_e32 v0, 7, v28
	v_ffbh_u32_e32 v2, v0
	v_min_u32_e32 v8, 32, v2
	v_subrev_u32_e32 v2, 28, v8
	v_lshlrev_b64 v[2:3], v2, v[28:29]
	v_lshrrev_b32_e32 v7, 3, v1
	v_sub_u32_e32 v3, 29, v8
	v_and_b32_e32 v2, 7, v2
	v_cmp_gt_u32_e64 s[8:9], 8, v1
	v_cndmask_b32_e64 v1, v7, v3, s[8:9]
	v_cndmask_b32_e64 v0, v0, v2, s[8:9]
	v_lshlrev_b32_e32 v2, 24, v28
	v_lshlrev_b32_e32 v0, 20, v0
	v_and_b32_e32 v2, 0x80000000, v2
	v_lshl_add_u32 v1, v1, 23, v5
	v_or3_b32 v0, v2, v1, v0
.LBB371_14:                             ;   in Loop: Header=BB371_10 Depth=1
	s_or_b64 exec, exec, s[34:35]
.LBB371_15:                             ;   in Loop: Header=BB371_10 Depth=1
	s_or_b64 exec, exec, s[30:31]
.LBB371_16:                             ;   in Loop: Header=BB371_10 Depth=1
	s_or_b64 exec, exec, s[28:29]
	v_mul_f32_e32 v0, v6, v0
	v_and_b32_e32 v1, 0x7f800000, v0
	v_cmp_ne_u32_e64 s[8:9], s38, v1
                                        ; implicit-def: $agpr35
	s_and_saveexec_b64 s[28:29], s[8:9]
	s_xor_b64 s[8:9], exec, s[28:29]
; %bb.17:                               ;   in Loop: Header=BB371_10 Depth=1
	v_bfe_u32 v1, v0, 16, 1
	v_add3_u32 v0, v0, v1, s39
	v_accvgpr_write_b32 a35, v0
                                        ; implicit-def: $vgpr0
; %bb.18:                               ;   in Loop: Header=BB371_10 Depth=1
	s_andn2_saveexec_b64 s[28:29], s[8:9]
; %bb.19:                               ;   in Loop: Header=BB371_10 Depth=1
	v_or_b32_e32 v1, 0x10000, v0
	v_cmp_eq_u32_sdwa s[8:9], v0, v37 src0_sel:WORD_0 src1_sel:DWORD
	v_cndmask_b32_e64 v0, v1, v0, s[8:9]
	v_accvgpr_write_b32 a35, v0
; %bb.20:                               ;   in Loop: Header=BB371_10 Depth=1
	s_or_b64 exec, exec, s[28:29]
	v_lshrrev_b16_e32 v30, 8, v28
	v_cmp_ne_u16_e64 s[8:9], 0, v30
	v_mov_b32_e32 v0, 0
	s_and_saveexec_b64 s[28:29], s[8:9]
	s_cbranch_execz .LBB371_26
; %bb.21:                               ;   in Loop: Header=BB371_10 Depth=1
	v_cmp_ne_u16_e64 s[8:9], s21, v30
	v_bfrev_b32_e32 v0, 1
	s_and_saveexec_b64 s[30:31], s[8:9]
	s_cbranch_execz .LBB371_25
; %bb.22:                               ;   in Loop: Header=BB371_10 Depth=1
	v_and_b32_e32 v1, 0x7f, v30
	v_cmp_ne_u32_e64 s[8:9], s37, v1
	v_mov_b32_e32 v0, 0x7f800001
	s_and_saveexec_b64 s[34:35], s[8:9]
	s_cbranch_execz .LBB371_24
; %bb.23:                               ;   in Loop: Header=BB371_10 Depth=1
	v_and_b32_e32 v0, 7, v30
	v_ffbh_u32_e32 v2, v0
	v_min_u32_e32 v8, 32, v2
	v_subrev_u32_e32 v2, 28, v8
	v_lshlrev_b64 v[2:3], v2, v[30:31]
	v_lshrrev_b32_e32 v7, 3, v1
	v_sub_u32_e32 v3, 29, v8
	v_and_b32_e32 v2, 7, v2
	v_cmp_gt_u32_e64 s[8:9], 8, v1
	v_cndmask_b32_e64 v1, v7, v3, s[8:9]
	v_cndmask_b32_e64 v0, v0, v2, s[8:9]
	v_lshlrev_b32_e32 v2, 16, v28
	v_lshlrev_b32_e32 v0, 20, v0
	v_and_b32_e32 v2, 0x80000000, v2
	v_lshl_add_u32 v1, v1, 23, v5
	v_or3_b32 v0, v2, v1, v0
.LBB371_24:                             ;   in Loop: Header=BB371_10 Depth=1
	s_or_b64 exec, exec, s[34:35]
.LBB371_25:                             ;   in Loop: Header=BB371_10 Depth=1
	s_or_b64 exec, exec, s[30:31]
.LBB371_26:                             ;   in Loop: Header=BB371_10 Depth=1
	s_or_b64 exec, exec, s[28:29]
	v_mul_f32_e32 v0, v6, v0
	v_and_b32_e32 v1, 0x7f800000, v0
	v_cmp_ne_u32_e64 s[8:9], s38, v1
                                        ; implicit-def: $agpr36
	s_and_saveexec_b64 s[28:29], s[8:9]
	s_xor_b64 s[8:9], exec, s[28:29]
; %bb.27:                               ;   in Loop: Header=BB371_10 Depth=1
	v_bfe_u32 v1, v0, 16, 1
	v_add3_u32 v0, v0, v1, s39
	v_accvgpr_write_b32 a36, v0
                                        ; implicit-def: $vgpr0
; %bb.28:                               ;   in Loop: Header=BB371_10 Depth=1
	s_andn2_saveexec_b64 s[28:29], s[8:9]
; %bb.29:                               ;   in Loop: Header=BB371_10 Depth=1
	v_or_b32_e32 v1, 0x10000, v0
	v_cmp_eq_u32_sdwa s[8:9], v0, v37 src0_sel:WORD_0 src1_sel:DWORD
	v_cndmask_b32_e64 v0, v1, v0, s[8:9]
	v_accvgpr_write_b32 a36, v0
; %bb.30:                               ;   in Loop: Header=BB371_10 Depth=1
	s_or_b64 exec, exec, s[28:29]
	flat_load_ushort v0, v[20:21] offset:8
	s_waitcnt vmcnt(0) lgkmcnt(0)
	v_and_b32_e32 v28, 0xffff, v0
	v_cmp_ne_u16_sdwa s[8:9], v0, v37 src0_sel:BYTE_0 src1_sel:DWORD
	v_mov_b32_e32 v0, 0
	s_and_saveexec_b64 s[28:29], s[8:9]
	s_cbranch_execz .LBB371_36
; %bb.31:                               ;   in Loop: Header=BB371_10 Depth=1
	v_cmp_ne_u16_sdwa s[8:9], v28, s21 src0_sel:BYTE_0 src1_sel:DWORD
	v_bfrev_b32_e32 v0, 1
	s_and_saveexec_b64 s[30:31], s[8:9]
	s_cbranch_execz .LBB371_35
; %bb.32:                               ;   in Loop: Header=BB371_10 Depth=1
	v_and_b32_e32 v1, 0x7f, v28
	v_cmp_ne_u32_e64 s[8:9], s37, v1
	v_mov_b32_e32 v0, 0x7f800001
	s_and_saveexec_b64 s[34:35], s[8:9]
	s_cbranch_execz .LBB371_34
; %bb.33:                               ;   in Loop: Header=BB371_10 Depth=1
	v_and_b32_e32 v0, 7, v28
	v_ffbh_u32_e32 v2, v0
	v_min_u32_e32 v8, 32, v2
	v_subrev_u32_e32 v2, 28, v8
	v_lshlrev_b64 v[2:3], v2, v[28:29]
	v_lshrrev_b32_e32 v7, 3, v1
	v_sub_u32_e32 v3, 29, v8
	v_and_b32_e32 v2, 7, v2
	v_cmp_gt_u32_e64 s[8:9], 8, v1
	v_cndmask_b32_e64 v1, v7, v3, s[8:9]
	v_cndmask_b32_e64 v0, v0, v2, s[8:9]
	v_lshlrev_b32_e32 v2, 24, v28
	v_lshlrev_b32_e32 v0, 20, v0
	v_and_b32_e32 v2, 0x80000000, v2
	v_lshl_add_u32 v1, v1, 23, v5
	v_or3_b32 v0, v2, v1, v0
.LBB371_34:                             ;   in Loop: Header=BB371_10 Depth=1
	s_or_b64 exec, exec, s[34:35]
.LBB371_35:                             ;   in Loop: Header=BB371_10 Depth=1
	s_or_b64 exec, exec, s[30:31]
.LBB371_36:                             ;   in Loop: Header=BB371_10 Depth=1
	s_or_b64 exec, exec, s[28:29]
	v_mul_f32_e32 v0, v6, v0
	v_and_b32_e32 v1, 0x7f800000, v0
	v_cmp_ne_u32_e64 s[8:9], s38, v1
                                        ; implicit-def: $agpr37
	s_and_saveexec_b64 s[28:29], s[8:9]
	s_xor_b64 s[8:9], exec, s[28:29]
; %bb.37:                               ;   in Loop: Header=BB371_10 Depth=1
	v_bfe_u32 v1, v0, 16, 1
	v_add3_u32 v0, v0, v1, s39
	v_accvgpr_write_b32 a37, v0
                                        ; implicit-def: $vgpr0
; %bb.38:                               ;   in Loop: Header=BB371_10 Depth=1
	s_andn2_saveexec_b64 s[28:29], s[8:9]
; %bb.39:                               ;   in Loop: Header=BB371_10 Depth=1
	v_or_b32_e32 v1, 0x10000, v0
	v_cmp_eq_u32_sdwa s[8:9], v0, v37 src0_sel:WORD_0 src1_sel:DWORD
	v_cndmask_b32_e64 v0, v1, v0, s[8:9]
	v_accvgpr_write_b32 a37, v0
; %bb.40:                               ;   in Loop: Header=BB371_10 Depth=1
	s_or_b64 exec, exec, s[28:29]
	v_lshrrev_b16_e32 v30, 8, v28
	v_cmp_ne_u16_e64 s[8:9], 0, v30
	v_mov_b32_e32 v0, 0
	s_and_saveexec_b64 s[28:29], s[8:9]
	s_cbranch_execz .LBB371_46
; %bb.41:                               ;   in Loop: Header=BB371_10 Depth=1
	v_cmp_ne_u16_e64 s[8:9], s21, v30
	v_bfrev_b32_e32 v0, 1
	s_and_saveexec_b64 s[30:31], s[8:9]
	s_cbranch_execz .LBB371_45
; %bb.42:                               ;   in Loop: Header=BB371_10 Depth=1
	v_and_b32_e32 v1, 0x7f, v30
	v_cmp_ne_u32_e64 s[8:9], s37, v1
	v_mov_b32_e32 v0, 0x7f800001
	s_and_saveexec_b64 s[34:35], s[8:9]
	s_cbranch_execz .LBB371_44
; %bb.43:                               ;   in Loop: Header=BB371_10 Depth=1
	v_and_b32_e32 v0, 7, v30
	v_ffbh_u32_e32 v2, v0
	v_min_u32_e32 v8, 32, v2
	v_subrev_u32_e32 v2, 28, v8
	v_lshlrev_b64 v[2:3], v2, v[30:31]
	v_lshrrev_b32_e32 v7, 3, v1
	v_sub_u32_e32 v3, 29, v8
	v_and_b32_e32 v2, 7, v2
	v_cmp_gt_u32_e64 s[8:9], 8, v1
	v_cndmask_b32_e64 v1, v7, v3, s[8:9]
	v_cndmask_b32_e64 v0, v0, v2, s[8:9]
	v_lshlrev_b32_e32 v2, 16, v28
	v_lshlrev_b32_e32 v0, 20, v0
	v_and_b32_e32 v2, 0x80000000, v2
	v_lshl_add_u32 v1, v1, 23, v5
	v_or3_b32 v0, v2, v1, v0
.LBB371_44:                             ;   in Loop: Header=BB371_10 Depth=1
	s_or_b64 exec, exec, s[34:35]
.LBB371_45:                             ;   in Loop: Header=BB371_10 Depth=1
	s_or_b64 exec, exec, s[30:31]
.LBB371_46:                             ;   in Loop: Header=BB371_10 Depth=1
	s_or_b64 exec, exec, s[28:29]
	v_mul_f32_e32 v0, v6, v0
	v_and_b32_e32 v1, 0x7f800000, v0
	v_cmp_ne_u32_e64 s[8:9], s38, v1
                                        ; implicit-def: $agpr38
	s_and_saveexec_b64 s[28:29], s[8:9]
	s_xor_b64 s[8:9], exec, s[28:29]
; %bb.47:                               ;   in Loop: Header=BB371_10 Depth=1
	v_bfe_u32 v1, v0, 16, 1
	v_add3_u32 v0, v0, v1, s39
	v_accvgpr_write_b32 a38, v0
                                        ; implicit-def: $vgpr0
; %bb.48:                               ;   in Loop: Header=BB371_10 Depth=1
	s_andn2_saveexec_b64 s[28:29], s[8:9]
; %bb.49:                               ;   in Loop: Header=BB371_10 Depth=1
	v_or_b32_e32 v1, 0x10000, v0
	v_cmp_eq_u32_sdwa s[8:9], v0, v37 src0_sel:WORD_0 src1_sel:DWORD
	v_cndmask_b32_e64 v0, v1, v0, s[8:9]
	v_accvgpr_write_b32 a38, v0
; %bb.50:                               ;   in Loop: Header=BB371_10 Depth=1
	s_or_b64 exec, exec, s[28:29]
	flat_load_ushort v0, v[20:21] offset:256
	s_waitcnt vmcnt(0) lgkmcnt(0)
	v_and_b32_e32 v28, 0xffff, v0
	v_cmp_ne_u16_sdwa s[8:9], v0, v37 src0_sel:BYTE_0 src1_sel:DWORD
	v_mov_b32_e32 v0, 0
	s_and_saveexec_b64 s[28:29], s[8:9]
	s_cbranch_execz .LBB371_56
; %bb.51:                               ;   in Loop: Header=BB371_10 Depth=1
	v_cmp_ne_u16_sdwa s[8:9], v28, s21 src0_sel:BYTE_0 src1_sel:DWORD
	v_bfrev_b32_e32 v0, 1
	s_and_saveexec_b64 s[30:31], s[8:9]
	s_cbranch_execz .LBB371_55
; %bb.52:                               ;   in Loop: Header=BB371_10 Depth=1
	v_and_b32_e32 v1, 0x7f, v28
	v_cmp_ne_u32_e64 s[8:9], s37, v1
	v_mov_b32_e32 v0, 0x7f800001
	s_and_saveexec_b64 s[34:35], s[8:9]
	s_cbranch_execz .LBB371_54
; %bb.53:                               ;   in Loop: Header=BB371_10 Depth=1
	v_and_b32_e32 v0, 7, v28
	v_ffbh_u32_e32 v2, v0
	v_min_u32_e32 v8, 32, v2
	v_subrev_u32_e32 v2, 28, v8
	v_lshlrev_b64 v[2:3], v2, v[28:29]
	v_lshrrev_b32_e32 v7, 3, v1
	v_sub_u32_e32 v3, 29, v8
	v_and_b32_e32 v2, 7, v2
	v_cmp_gt_u32_e64 s[8:9], 8, v1
	v_cndmask_b32_e64 v1, v7, v3, s[8:9]
	v_cndmask_b32_e64 v0, v0, v2, s[8:9]
	v_lshlrev_b32_e32 v2, 24, v28
	v_lshlrev_b32_e32 v0, 20, v0
	v_and_b32_e32 v2, 0x80000000, v2
	v_lshl_add_u32 v1, v1, 23, v5
	v_or3_b32 v0, v2, v1, v0
.LBB371_54:                             ;   in Loop: Header=BB371_10 Depth=1
	s_or_b64 exec, exec, s[34:35]
.LBB371_55:                             ;   in Loop: Header=BB371_10 Depth=1
	s_or_b64 exec, exec, s[30:31]
.LBB371_56:                             ;   in Loop: Header=BB371_10 Depth=1
	s_or_b64 exec, exec, s[28:29]
	v_mul_f32_e32 v0, v6, v0
	v_and_b32_e32 v1, 0x7f800000, v0
	v_cmp_ne_u32_e64 s[8:9], s38, v1
                                        ; implicit-def: $agpr39
	s_and_saveexec_b64 s[28:29], s[8:9]
	s_xor_b64 s[8:9], exec, s[28:29]
; %bb.57:                               ;   in Loop: Header=BB371_10 Depth=1
	v_bfe_u32 v1, v0, 16, 1
	v_add3_u32 v0, v0, v1, s39
	v_accvgpr_write_b32 a39, v0
                                        ; implicit-def: $vgpr0
; %bb.58:                               ;   in Loop: Header=BB371_10 Depth=1
	s_andn2_saveexec_b64 s[28:29], s[8:9]
; %bb.59:                               ;   in Loop: Header=BB371_10 Depth=1
	v_or_b32_e32 v1, 0x10000, v0
	v_cmp_eq_u32_sdwa s[8:9], v0, v37 src0_sel:WORD_0 src1_sel:DWORD
	v_cndmask_b32_e64 v0, v1, v0, s[8:9]
	v_accvgpr_write_b32 a39, v0
; %bb.60:                               ;   in Loop: Header=BB371_10 Depth=1
	s_or_b64 exec, exec, s[28:29]
	v_lshrrev_b16_e32 v30, 8, v28
	v_cmp_ne_u16_e64 s[8:9], 0, v30
	v_mov_b32_e32 v0, 0
	s_and_saveexec_b64 s[28:29], s[8:9]
	s_cbranch_execz .LBB371_66
; %bb.61:                               ;   in Loop: Header=BB371_10 Depth=1
	v_cmp_ne_u16_e64 s[8:9], s21, v30
	v_bfrev_b32_e32 v0, 1
	s_and_saveexec_b64 s[30:31], s[8:9]
	s_cbranch_execz .LBB371_65
; %bb.62:                               ;   in Loop: Header=BB371_10 Depth=1
	v_and_b32_e32 v1, 0x7f, v30
	v_cmp_ne_u32_e64 s[8:9], s37, v1
	v_mov_b32_e32 v0, 0x7f800001
	s_and_saveexec_b64 s[34:35], s[8:9]
	s_cbranch_execz .LBB371_64
; %bb.63:                               ;   in Loop: Header=BB371_10 Depth=1
	v_and_b32_e32 v0, 7, v30
	v_ffbh_u32_e32 v2, v0
	v_min_u32_e32 v8, 32, v2
	v_subrev_u32_e32 v2, 28, v8
	v_lshlrev_b64 v[2:3], v2, v[30:31]
	v_lshrrev_b32_e32 v7, 3, v1
	v_sub_u32_e32 v3, 29, v8
	v_and_b32_e32 v2, 7, v2
	v_cmp_gt_u32_e64 s[8:9], 8, v1
	v_cndmask_b32_e64 v1, v7, v3, s[8:9]
	v_cndmask_b32_e64 v0, v0, v2, s[8:9]
	v_lshlrev_b32_e32 v2, 16, v28
	v_lshlrev_b32_e32 v0, 20, v0
	v_and_b32_e32 v2, 0x80000000, v2
	v_lshl_add_u32 v1, v1, 23, v5
	v_or3_b32 v0, v2, v1, v0
.LBB371_64:                             ;   in Loop: Header=BB371_10 Depth=1
	s_or_b64 exec, exec, s[34:35]
.LBB371_65:                             ;   in Loop: Header=BB371_10 Depth=1
	s_or_b64 exec, exec, s[30:31]
.LBB371_66:                             ;   in Loop: Header=BB371_10 Depth=1
	s_or_b64 exec, exec, s[28:29]
	v_mul_f32_e32 v0, v6, v0
	v_and_b32_e32 v1, 0x7f800000, v0
	v_cmp_ne_u32_e64 s[8:9], s38, v1
                                        ; implicit-def: $agpr40
	s_and_saveexec_b64 s[28:29], s[8:9]
	s_xor_b64 s[8:9], exec, s[28:29]
; %bb.67:                               ;   in Loop: Header=BB371_10 Depth=1
	v_bfe_u32 v1, v0, 16, 1
	v_add3_u32 v0, v0, v1, s39
	v_accvgpr_write_b32 a40, v0
                                        ; implicit-def: $vgpr0
; %bb.68:                               ;   in Loop: Header=BB371_10 Depth=1
	s_andn2_saveexec_b64 s[28:29], s[8:9]
; %bb.69:                               ;   in Loop: Header=BB371_10 Depth=1
	v_or_b32_e32 v1, 0x10000, v0
	v_cmp_eq_u32_sdwa s[8:9], v0, v37 src0_sel:WORD_0 src1_sel:DWORD
	v_cndmask_b32_e64 v0, v1, v0, s[8:9]
	v_accvgpr_write_b32 a40, v0
; %bb.70:                               ;   in Loop: Header=BB371_10 Depth=1
	s_or_b64 exec, exec, s[28:29]
	flat_load_ushort v0, v[20:21] offset:264
	s_waitcnt vmcnt(0) lgkmcnt(0)
	v_and_b32_e32 v28, 0xffff, v0
	v_cmp_ne_u16_sdwa s[8:9], v0, v37 src0_sel:BYTE_0 src1_sel:DWORD
	v_mov_b32_e32 v0, 0
	s_and_saveexec_b64 s[28:29], s[8:9]
	s_cbranch_execz .LBB371_76
; %bb.71:                               ;   in Loop: Header=BB371_10 Depth=1
	v_cmp_ne_u16_sdwa s[8:9], v28, s21 src0_sel:BYTE_0 src1_sel:DWORD
	v_bfrev_b32_e32 v0, 1
	s_and_saveexec_b64 s[30:31], s[8:9]
	s_cbranch_execz .LBB371_75
; %bb.72:                               ;   in Loop: Header=BB371_10 Depth=1
	v_and_b32_e32 v1, 0x7f, v28
	v_cmp_ne_u32_e64 s[8:9], s37, v1
	v_mov_b32_e32 v0, 0x7f800001
	s_and_saveexec_b64 s[34:35], s[8:9]
	s_cbranch_execz .LBB371_74
; %bb.73:                               ;   in Loop: Header=BB371_10 Depth=1
	v_and_b32_e32 v0, 7, v28
	v_ffbh_u32_e32 v2, v0
	v_min_u32_e32 v8, 32, v2
	v_subrev_u32_e32 v2, 28, v8
	v_lshlrev_b64 v[2:3], v2, v[28:29]
	v_lshrrev_b32_e32 v7, 3, v1
	v_sub_u32_e32 v3, 29, v8
	v_and_b32_e32 v2, 7, v2
	v_cmp_gt_u32_e64 s[8:9], 8, v1
	v_cndmask_b32_e64 v1, v7, v3, s[8:9]
	v_cndmask_b32_e64 v0, v0, v2, s[8:9]
	v_lshlrev_b32_e32 v2, 24, v28
	v_lshlrev_b32_e32 v0, 20, v0
	v_and_b32_e32 v2, 0x80000000, v2
	v_lshl_add_u32 v1, v1, 23, v5
	v_or3_b32 v0, v2, v1, v0
.LBB371_74:                             ;   in Loop: Header=BB371_10 Depth=1
	s_or_b64 exec, exec, s[34:35]
.LBB371_75:                             ;   in Loop: Header=BB371_10 Depth=1
	s_or_b64 exec, exec, s[30:31]
.LBB371_76:                             ;   in Loop: Header=BB371_10 Depth=1
	s_or_b64 exec, exec, s[28:29]
	v_mul_f32_e32 v0, v6, v0
	v_and_b32_e32 v1, 0x7f800000, v0
	v_cmp_ne_u32_e64 s[8:9], s38, v1
                                        ; implicit-def: $agpr41
	s_and_saveexec_b64 s[28:29], s[8:9]
	s_xor_b64 s[8:9], exec, s[28:29]
; %bb.77:                               ;   in Loop: Header=BB371_10 Depth=1
	v_bfe_u32 v1, v0, 16, 1
	v_add3_u32 v0, v0, v1, s39
	v_accvgpr_write_b32 a41, v0
                                        ; implicit-def: $vgpr0
; %bb.78:                               ;   in Loop: Header=BB371_10 Depth=1
	s_andn2_saveexec_b64 s[28:29], s[8:9]
; %bb.79:                               ;   in Loop: Header=BB371_10 Depth=1
	v_or_b32_e32 v1, 0x10000, v0
	v_cmp_eq_u32_sdwa s[8:9], v0, v37 src0_sel:WORD_0 src1_sel:DWORD
	v_cndmask_b32_e64 v0, v1, v0, s[8:9]
	v_accvgpr_write_b32 a41, v0
; %bb.80:                               ;   in Loop: Header=BB371_10 Depth=1
	s_or_b64 exec, exec, s[28:29]
	v_lshrrev_b16_e32 v30, 8, v28
	v_cmp_ne_u16_e64 s[8:9], 0, v30
	v_mov_b32_e32 v0, 0
	s_and_saveexec_b64 s[28:29], s[8:9]
	s_cbranch_execz .LBB371_86
; %bb.81:                               ;   in Loop: Header=BB371_10 Depth=1
	v_cmp_ne_u16_e64 s[8:9], s21, v30
	v_bfrev_b32_e32 v0, 1
	s_and_saveexec_b64 s[30:31], s[8:9]
	s_cbranch_execz .LBB371_85
; %bb.82:                               ;   in Loop: Header=BB371_10 Depth=1
	v_and_b32_e32 v1, 0x7f, v30
	v_cmp_ne_u32_e64 s[8:9], s37, v1
	v_mov_b32_e32 v0, 0x7f800001
	s_and_saveexec_b64 s[34:35], s[8:9]
	s_cbranch_execz .LBB371_84
; %bb.83:                               ;   in Loop: Header=BB371_10 Depth=1
	v_and_b32_e32 v0, 7, v30
	v_ffbh_u32_e32 v2, v0
	v_min_u32_e32 v8, 32, v2
	v_subrev_u32_e32 v2, 28, v8
	v_lshlrev_b64 v[2:3], v2, v[30:31]
	v_lshrrev_b32_e32 v7, 3, v1
	v_sub_u32_e32 v3, 29, v8
	v_and_b32_e32 v2, 7, v2
	v_cmp_gt_u32_e64 s[8:9], 8, v1
	v_cndmask_b32_e64 v1, v7, v3, s[8:9]
	v_cndmask_b32_e64 v0, v0, v2, s[8:9]
	v_lshlrev_b32_e32 v2, 16, v28
	v_lshlrev_b32_e32 v0, 20, v0
	v_and_b32_e32 v2, 0x80000000, v2
	v_lshl_add_u32 v1, v1, 23, v5
	v_or3_b32 v0, v2, v1, v0
.LBB371_84:                             ;   in Loop: Header=BB371_10 Depth=1
	s_or_b64 exec, exec, s[34:35]
.LBB371_85:                             ;   in Loop: Header=BB371_10 Depth=1
	s_or_b64 exec, exec, s[30:31]
.LBB371_86:                             ;   in Loop: Header=BB371_10 Depth=1
	s_or_b64 exec, exec, s[28:29]
	v_mul_f32_e32 v0, v6, v0
	v_and_b32_e32 v1, 0x7f800000, v0
	v_cmp_ne_u32_e64 s[8:9], s38, v1
                                        ; implicit-def: $agpr42
	s_and_saveexec_b64 s[28:29], s[8:9]
	s_xor_b64 s[8:9], exec, s[28:29]
; %bb.87:                               ;   in Loop: Header=BB371_10 Depth=1
	v_bfe_u32 v1, v0, 16, 1
	v_add3_u32 v0, v0, v1, s39
	v_accvgpr_write_b32 a42, v0
                                        ; implicit-def: $vgpr0
; %bb.88:                               ;   in Loop: Header=BB371_10 Depth=1
	s_andn2_saveexec_b64 s[28:29], s[8:9]
; %bb.89:                               ;   in Loop: Header=BB371_10 Depth=1
	v_or_b32_e32 v1, 0x10000, v0
	v_cmp_eq_u32_sdwa s[8:9], v0, v37 src0_sel:WORD_0 src1_sel:DWORD
	v_cndmask_b32_e64 v0, v1, v0, s[8:9]
	v_accvgpr_write_b32 a42, v0
; %bb.90:                               ;   in Loop: Header=BB371_10 Depth=1
	s_or_b64 exec, exec, s[28:29]
	flat_load_ushort v0, v[20:21] offset:512
	s_waitcnt vmcnt(0) lgkmcnt(0)
	v_and_b32_e32 v28, 0xffff, v0
	v_cmp_ne_u16_sdwa s[8:9], v0, v37 src0_sel:BYTE_0 src1_sel:DWORD
	v_mov_b32_e32 v0, 0
	s_and_saveexec_b64 s[28:29], s[8:9]
	s_cbranch_execz .LBB371_96
; %bb.91:                               ;   in Loop: Header=BB371_10 Depth=1
	v_cmp_ne_u16_sdwa s[8:9], v28, s21 src0_sel:BYTE_0 src1_sel:DWORD
	v_bfrev_b32_e32 v0, 1
	s_and_saveexec_b64 s[30:31], s[8:9]
	s_cbranch_execz .LBB371_95
; %bb.92:                               ;   in Loop: Header=BB371_10 Depth=1
	v_and_b32_e32 v1, 0x7f, v28
	v_cmp_ne_u32_e64 s[8:9], s37, v1
	v_mov_b32_e32 v0, 0x7f800001
	s_and_saveexec_b64 s[34:35], s[8:9]
	s_cbranch_execz .LBB371_94
; %bb.93:                               ;   in Loop: Header=BB371_10 Depth=1
	v_and_b32_e32 v0, 7, v28
	v_ffbh_u32_e32 v2, v0
	v_min_u32_e32 v8, 32, v2
	v_subrev_u32_e32 v2, 28, v8
	v_lshlrev_b64 v[2:3], v2, v[28:29]
	v_lshrrev_b32_e32 v7, 3, v1
	v_sub_u32_e32 v3, 29, v8
	v_and_b32_e32 v2, 7, v2
	v_cmp_gt_u32_e64 s[8:9], 8, v1
	v_cndmask_b32_e64 v1, v7, v3, s[8:9]
	v_cndmask_b32_e64 v0, v0, v2, s[8:9]
	v_lshlrev_b32_e32 v2, 24, v28
	v_lshlrev_b32_e32 v0, 20, v0
	v_and_b32_e32 v2, 0x80000000, v2
	v_lshl_add_u32 v1, v1, 23, v5
	v_or3_b32 v0, v2, v1, v0
.LBB371_94:                             ;   in Loop: Header=BB371_10 Depth=1
	s_or_b64 exec, exec, s[34:35]
.LBB371_95:                             ;   in Loop: Header=BB371_10 Depth=1
	s_or_b64 exec, exec, s[30:31]
.LBB371_96:                             ;   in Loop: Header=BB371_10 Depth=1
	s_or_b64 exec, exec, s[28:29]
	v_mul_f32_e32 v0, v6, v0
	v_and_b32_e32 v1, 0x7f800000, v0
	v_cmp_ne_u32_e64 s[8:9], s38, v1
                                        ; implicit-def: $agpr43
	s_and_saveexec_b64 s[28:29], s[8:9]
	s_xor_b64 s[8:9], exec, s[28:29]
; %bb.97:                               ;   in Loop: Header=BB371_10 Depth=1
	v_bfe_u32 v1, v0, 16, 1
	v_add3_u32 v0, v0, v1, s39
	v_accvgpr_write_b32 a43, v0
                                        ; implicit-def: $vgpr0
; %bb.98:                               ;   in Loop: Header=BB371_10 Depth=1
	s_andn2_saveexec_b64 s[28:29], s[8:9]
; %bb.99:                               ;   in Loop: Header=BB371_10 Depth=1
	v_or_b32_e32 v1, 0x10000, v0
	v_cmp_eq_u32_sdwa s[8:9], v0, v37 src0_sel:WORD_0 src1_sel:DWORD
	v_cndmask_b32_e64 v0, v1, v0, s[8:9]
	v_accvgpr_write_b32 a43, v0
; %bb.100:                              ;   in Loop: Header=BB371_10 Depth=1
	s_or_b64 exec, exec, s[28:29]
	v_lshrrev_b16_e32 v30, 8, v28
	v_cmp_ne_u16_e64 s[8:9], 0, v30
	v_mov_b32_e32 v0, 0
	s_and_saveexec_b64 s[28:29], s[8:9]
	s_cbranch_execz .LBB371_106
; %bb.101:                              ;   in Loop: Header=BB371_10 Depth=1
	v_cmp_ne_u16_e64 s[8:9], s21, v30
	v_bfrev_b32_e32 v0, 1
	s_and_saveexec_b64 s[30:31], s[8:9]
	s_cbranch_execz .LBB371_105
; %bb.102:                              ;   in Loop: Header=BB371_10 Depth=1
	v_and_b32_e32 v1, 0x7f, v30
	v_cmp_ne_u32_e64 s[8:9], s37, v1
	v_mov_b32_e32 v0, 0x7f800001
	s_and_saveexec_b64 s[34:35], s[8:9]
	s_cbranch_execz .LBB371_104
; %bb.103:                              ;   in Loop: Header=BB371_10 Depth=1
	v_and_b32_e32 v2, 7, v30
	v_ffbh_u32_e32 v0, v2
	v_min_u32_e32 v7, 32, v0
	v_subrev_u32_e32 v0, 28, v7
	v_lshrrev_b32_e32 v3, 3, v1
	v_cmp_gt_u32_e64 s[8:9], 8, v1
	v_lshlrev_b64 v[0:1], v0, v[30:31]
	v_sub_u32_e32 v1, 29, v7
	v_and_b32_e32 v0, 7, v0
	v_cndmask_b32_e64 v1, v3, v1, s[8:9]
	v_cndmask_b32_e64 v0, v2, v0, s[8:9]
	v_lshlrev_b32_e32 v2, 16, v28
	v_lshlrev_b32_e32 v0, 20, v0
	v_and_b32_e32 v2, 0x80000000, v2
	v_lshl_add_u32 v1, v1, 23, v5
	v_or3_b32 v0, v2, v1, v0
.LBB371_104:                            ;   in Loop: Header=BB371_10 Depth=1
	s_or_b64 exec, exec, s[34:35]
.LBB371_105:                            ;   in Loop: Header=BB371_10 Depth=1
	s_or_b64 exec, exec, s[30:31]
.LBB371_106:                            ;   in Loop: Header=BB371_10 Depth=1
	s_or_b64 exec, exec, s[28:29]
	v_mul_f32_e32 v0, v6, v0
	v_and_b32_e32 v1, 0x7f800000, v0
	v_cmp_ne_u32_e64 s[8:9], s38, v1
                                        ; implicit-def: $agpr44
	s_and_saveexec_b64 s[28:29], s[8:9]
	s_xor_b64 s[8:9], exec, s[28:29]
; %bb.107:                              ;   in Loop: Header=BB371_10 Depth=1
	v_bfe_u32 v1, v0, 16, 1
	v_add3_u32 v0, v0, v1, s39
	v_accvgpr_write_b32 a44, v0
                                        ; implicit-def: $vgpr0
; %bb.108:                              ;   in Loop: Header=BB371_10 Depth=1
	s_andn2_saveexec_b64 s[28:29], s[8:9]
; %bb.109:                              ;   in Loop: Header=BB371_10 Depth=1
	v_or_b32_e32 v1, 0x10000, v0
	v_cmp_eq_u32_sdwa s[8:9], v0, v37 src0_sel:WORD_0 src1_sel:DWORD
	v_cndmask_b32_e64 v0, v1, v0, s[8:9]
	v_accvgpr_write_b32 a44, v0
; %bb.110:                              ;   in Loop: Header=BB371_10 Depth=1
	s_or_b64 exec, exec, s[28:29]
	flat_load_ushort v0, v[20:21] offset:520
	s_waitcnt vmcnt(0) lgkmcnt(0)
	v_and_b32_e32 v28, 0xffff, v0
	v_cmp_ne_u16_sdwa s[8:9], v0, v37 src0_sel:BYTE_0 src1_sel:DWORD
	v_mov_b32_e32 v0, 0
	s_and_saveexec_b64 s[28:29], s[8:9]
	s_cbranch_execz .LBB371_116
; %bb.111:                              ;   in Loop: Header=BB371_10 Depth=1
	v_cmp_ne_u16_sdwa s[8:9], v28, s21 src0_sel:BYTE_0 src1_sel:DWORD
	v_bfrev_b32_e32 v0, 1
	s_and_saveexec_b64 s[30:31], s[8:9]
	s_cbranch_execz .LBB371_115
; %bb.112:                              ;   in Loop: Header=BB371_10 Depth=1
	v_and_b32_e32 v1, 0x7f, v28
	v_cmp_ne_u32_e64 s[8:9], s37, v1
	v_mov_b32_e32 v0, 0x7f800001
	s_and_saveexec_b64 s[34:35], s[8:9]
	s_cbranch_execz .LBB371_114
; %bb.113:                              ;   in Loop: Header=BB371_10 Depth=1
	v_and_b32_e32 v2, 7, v28
	v_ffbh_u32_e32 v0, v2
	v_min_u32_e32 v7, 32, v0
	v_subrev_u32_e32 v0, 28, v7
	v_lshrrev_b32_e32 v3, 3, v1
	v_cmp_gt_u32_e64 s[8:9], 8, v1
	v_lshlrev_b64 v[0:1], v0, v[28:29]
	v_sub_u32_e32 v1, 29, v7
	v_and_b32_e32 v0, 7, v0
	v_cndmask_b32_e64 v1, v3, v1, s[8:9]
	v_cndmask_b32_e64 v0, v2, v0, s[8:9]
	v_lshlrev_b32_e32 v2, 24, v28
	v_lshlrev_b32_e32 v0, 20, v0
	v_and_b32_e32 v2, 0x80000000, v2
	v_lshl_add_u32 v1, v1, 23, v5
	v_or3_b32 v0, v2, v1, v0
.LBB371_114:                            ;   in Loop: Header=BB371_10 Depth=1
	s_or_b64 exec, exec, s[34:35]
.LBB371_115:                            ;   in Loop: Header=BB371_10 Depth=1
	s_or_b64 exec, exec, s[30:31]
.LBB371_116:                            ;   in Loop: Header=BB371_10 Depth=1
	s_or_b64 exec, exec, s[28:29]
	v_mul_f32_e32 v0, v6, v0
	v_and_b32_e32 v1, 0x7f800000, v0
	v_cmp_ne_u32_e64 s[8:9], s38, v1
                                        ; implicit-def: $agpr45
	s_and_saveexec_b64 s[28:29], s[8:9]
	s_xor_b64 s[8:9], exec, s[28:29]
; %bb.117:                              ;   in Loop: Header=BB371_10 Depth=1
	v_bfe_u32 v1, v0, 16, 1
	v_add3_u32 v0, v0, v1, s39
	v_accvgpr_write_b32 a45, v0
                                        ; implicit-def: $vgpr0
; %bb.118:                              ;   in Loop: Header=BB371_10 Depth=1
	s_andn2_saveexec_b64 s[28:29], s[8:9]
; %bb.119:                              ;   in Loop: Header=BB371_10 Depth=1
	v_or_b32_e32 v1, 0x10000, v0
	v_cmp_eq_u32_sdwa s[8:9], v0, v37 src0_sel:WORD_0 src1_sel:DWORD
	v_cndmask_b32_e64 v0, v1, v0, s[8:9]
	v_accvgpr_write_b32 a45, v0
; %bb.120:                              ;   in Loop: Header=BB371_10 Depth=1
	s_or_b64 exec, exec, s[28:29]
	v_lshrrev_b16_e32 v30, 8, v28
	v_cmp_ne_u16_e64 s[8:9], 0, v30
	v_mov_b32_e32 v0, 0
	s_and_saveexec_b64 s[28:29], s[8:9]
	s_cbranch_execz .LBB371_126
; %bb.121:                              ;   in Loop: Header=BB371_10 Depth=1
	v_cmp_ne_u16_e64 s[8:9], s21, v30
	v_bfrev_b32_e32 v0, 1
	s_and_saveexec_b64 s[30:31], s[8:9]
	s_cbranch_execz .LBB371_125
; %bb.122:                              ;   in Loop: Header=BB371_10 Depth=1
	v_and_b32_e32 v1, 0x7f, v30
	v_cmp_ne_u32_e64 s[8:9], s37, v1
	v_mov_b32_e32 v0, 0x7f800001
	s_and_saveexec_b64 s[34:35], s[8:9]
	s_cbranch_execz .LBB371_124
; %bb.123:                              ;   in Loop: Header=BB371_10 Depth=1
	v_and_b32_e32 v2, 7, v30
	v_ffbh_u32_e32 v0, v2
	v_min_u32_e32 v7, 32, v0
	v_subrev_u32_e32 v0, 28, v7
	v_lshrrev_b32_e32 v3, 3, v1
	v_cmp_gt_u32_e64 s[8:9], 8, v1
	v_lshlrev_b64 v[0:1], v0, v[30:31]
	v_sub_u32_e32 v1, 29, v7
	v_and_b32_e32 v0, 7, v0
	v_cndmask_b32_e64 v1, v3, v1, s[8:9]
	v_cndmask_b32_e64 v0, v2, v0, s[8:9]
	v_lshlrev_b32_e32 v2, 16, v28
	v_lshlrev_b32_e32 v0, 20, v0
	v_and_b32_e32 v2, 0x80000000, v2
	v_lshl_add_u32 v1, v1, 23, v5
	v_or3_b32 v0, v2, v1, v0
.LBB371_124:                            ;   in Loop: Header=BB371_10 Depth=1
	s_or_b64 exec, exec, s[34:35]
.LBB371_125:                            ;   in Loop: Header=BB371_10 Depth=1
	s_or_b64 exec, exec, s[30:31]
.LBB371_126:                            ;   in Loop: Header=BB371_10 Depth=1
	s_or_b64 exec, exec, s[28:29]
	v_mul_f32_e32 v0, v6, v0
	v_and_b32_e32 v1, 0x7f800000, v0
	v_cmp_ne_u32_e64 s[8:9], s38, v1
                                        ; implicit-def: $agpr46
	s_and_saveexec_b64 s[28:29], s[8:9]
	s_xor_b64 s[8:9], exec, s[28:29]
; %bb.127:                              ;   in Loop: Header=BB371_10 Depth=1
	v_bfe_u32 v1, v0, 16, 1
	v_add3_u32 v0, v0, v1, s39
	v_accvgpr_write_b32 a46, v0
                                        ; implicit-def: $vgpr0
; %bb.128:                              ;   in Loop: Header=BB371_10 Depth=1
	s_andn2_saveexec_b64 s[28:29], s[8:9]
; %bb.129:                              ;   in Loop: Header=BB371_10 Depth=1
	v_or_b32_e32 v1, 0x10000, v0
	v_cmp_eq_u32_sdwa s[8:9], v0, v37 src0_sel:WORD_0 src1_sel:DWORD
	v_cndmask_b32_e64 v0, v1, v0, s[8:9]
	v_accvgpr_write_b32 a46, v0
; %bb.130:                              ;   in Loop: Header=BB371_10 Depth=1
	s_or_b64 exec, exec, s[28:29]
	flat_load_ushort v0, v[20:21] offset:768
	s_waitcnt vmcnt(0) lgkmcnt(0)
	v_and_b32_e32 v28, 0xffff, v0
	v_cmp_ne_u16_sdwa s[8:9], v0, v37 src0_sel:BYTE_0 src1_sel:DWORD
	v_mov_b32_e32 v0, 0
	s_and_saveexec_b64 s[28:29], s[8:9]
	s_cbranch_execz .LBB371_136
; %bb.131:                              ;   in Loop: Header=BB371_10 Depth=1
	v_cmp_ne_u16_sdwa s[8:9], v28, s21 src0_sel:BYTE_0 src1_sel:DWORD
	v_bfrev_b32_e32 v0, 1
	s_and_saveexec_b64 s[30:31], s[8:9]
	s_cbranch_execz .LBB371_135
; %bb.132:                              ;   in Loop: Header=BB371_10 Depth=1
	v_and_b32_e32 v1, 0x7f, v28
	v_cmp_ne_u32_e64 s[8:9], s37, v1
	v_mov_b32_e32 v0, 0x7f800001
	s_and_saveexec_b64 s[34:35], s[8:9]
	s_cbranch_execz .LBB371_134
; %bb.133:                              ;   in Loop: Header=BB371_10 Depth=1
	v_and_b32_e32 v2, 7, v28
	v_ffbh_u32_e32 v0, v2
	v_min_u32_e32 v7, 32, v0
	v_subrev_u32_e32 v0, 28, v7
	v_lshrrev_b32_e32 v3, 3, v1
	v_cmp_gt_u32_e64 s[8:9], 8, v1
	v_lshlrev_b64 v[0:1], v0, v[28:29]
	v_sub_u32_e32 v1, 29, v7
	v_and_b32_e32 v0, 7, v0
	v_cndmask_b32_e64 v1, v3, v1, s[8:9]
	v_cndmask_b32_e64 v0, v2, v0, s[8:9]
	v_lshlrev_b32_e32 v2, 24, v28
	v_lshlrev_b32_e32 v0, 20, v0
	v_and_b32_e32 v2, 0x80000000, v2
	v_lshl_add_u32 v1, v1, 23, v5
	v_or3_b32 v0, v2, v1, v0
.LBB371_134:                            ;   in Loop: Header=BB371_10 Depth=1
	s_or_b64 exec, exec, s[34:35]
.LBB371_135:                            ;   in Loop: Header=BB371_10 Depth=1
	s_or_b64 exec, exec, s[30:31]
.LBB371_136:                            ;   in Loop: Header=BB371_10 Depth=1
	s_or_b64 exec, exec, s[28:29]
	v_mul_f32_e32 v0, v6, v0
	v_and_b32_e32 v1, 0x7f800000, v0
	v_cmp_ne_u32_e64 s[8:9], s38, v1
                                        ; implicit-def: $agpr47
	s_and_saveexec_b64 s[28:29], s[8:9]
	s_xor_b64 s[8:9], exec, s[28:29]
; %bb.137:                              ;   in Loop: Header=BB371_10 Depth=1
	v_bfe_u32 v1, v0, 16, 1
	v_add3_u32 v0, v0, v1, s39
	v_accvgpr_write_b32 a47, v0
                                        ; implicit-def: $vgpr0
; %bb.138:                              ;   in Loop: Header=BB371_10 Depth=1
	s_andn2_saveexec_b64 s[28:29], s[8:9]
; %bb.139:                              ;   in Loop: Header=BB371_10 Depth=1
	v_or_b32_e32 v1, 0x10000, v0
	v_cmp_eq_u32_sdwa s[8:9], v0, v37 src0_sel:WORD_0 src1_sel:DWORD
	v_cndmask_b32_e64 v0, v1, v0, s[8:9]
	v_accvgpr_write_b32 a47, v0
; %bb.140:                              ;   in Loop: Header=BB371_10 Depth=1
	s_or_b64 exec, exec, s[28:29]
	v_lshrrev_b16_e32 v30, 8, v28
	v_cmp_ne_u16_e64 s[8:9], 0, v30
	v_mov_b32_e32 v0, 0
	s_and_saveexec_b64 s[28:29], s[8:9]
	s_cbranch_execz .LBB371_146
; %bb.141:                              ;   in Loop: Header=BB371_10 Depth=1
	v_cmp_ne_u16_e64 s[8:9], s21, v30
	v_bfrev_b32_e32 v0, 1
	s_and_saveexec_b64 s[30:31], s[8:9]
	s_cbranch_execz .LBB371_145
; %bb.142:                              ;   in Loop: Header=BB371_10 Depth=1
	v_and_b32_e32 v1, 0x7f, v30
	v_cmp_ne_u32_e64 s[8:9], s37, v1
	v_mov_b32_e32 v0, 0x7f800001
	s_and_saveexec_b64 s[34:35], s[8:9]
	s_cbranch_execz .LBB371_144
; %bb.143:                              ;   in Loop: Header=BB371_10 Depth=1
	v_and_b32_e32 v2, 7, v30
	v_ffbh_u32_e32 v0, v2
	v_min_u32_e32 v7, 32, v0
	v_subrev_u32_e32 v0, 28, v7
	v_lshrrev_b32_e32 v3, 3, v1
	v_cmp_gt_u32_e64 s[8:9], 8, v1
	v_lshlrev_b64 v[0:1], v0, v[30:31]
	v_sub_u32_e32 v1, 29, v7
	v_and_b32_e32 v0, 7, v0
	v_cndmask_b32_e64 v1, v3, v1, s[8:9]
	v_cndmask_b32_e64 v0, v2, v0, s[8:9]
	v_lshlrev_b32_e32 v2, 16, v28
	v_lshlrev_b32_e32 v0, 20, v0
	v_and_b32_e32 v2, 0x80000000, v2
	v_lshl_add_u32 v1, v1, 23, v5
	v_or3_b32 v0, v2, v1, v0
.LBB371_144:                            ;   in Loop: Header=BB371_10 Depth=1
	s_or_b64 exec, exec, s[34:35]
.LBB371_145:                            ;   in Loop: Header=BB371_10 Depth=1
	s_or_b64 exec, exec, s[30:31]
.LBB371_146:                            ;   in Loop: Header=BB371_10 Depth=1
	s_or_b64 exec, exec, s[28:29]
	v_mul_f32_e32 v0, v6, v0
	v_and_b32_e32 v1, 0x7f800000, v0
	v_cmp_ne_u32_e64 s[8:9], s38, v1
                                        ; implicit-def: $agpr48
	s_and_saveexec_b64 s[28:29], s[8:9]
	s_xor_b64 s[8:9], exec, s[28:29]
; %bb.147:                              ;   in Loop: Header=BB371_10 Depth=1
	v_bfe_u32 v1, v0, 16, 1
	v_add3_u32 v0, v0, v1, s39
	v_accvgpr_write_b32 a48, v0
                                        ; implicit-def: $vgpr0
; %bb.148:                              ;   in Loop: Header=BB371_10 Depth=1
	s_andn2_saveexec_b64 s[28:29], s[8:9]
; %bb.149:                              ;   in Loop: Header=BB371_10 Depth=1
	v_or_b32_e32 v1, 0x10000, v0
	v_cmp_eq_u32_sdwa s[8:9], v0, v37 src0_sel:WORD_0 src1_sel:DWORD
	v_cndmask_b32_e64 v0, v1, v0, s[8:9]
	v_accvgpr_write_b32 a48, v0
; %bb.150:                              ;   in Loop: Header=BB371_10 Depth=1
	s_or_b64 exec, exec, s[28:29]
	flat_load_ushort v0, v[20:21] offset:776
	s_waitcnt vmcnt(0) lgkmcnt(0)
	v_and_b32_e32 v28, 0xffff, v0
	v_cmp_ne_u16_sdwa s[8:9], v0, v37 src0_sel:BYTE_0 src1_sel:DWORD
	v_mov_b32_e32 v0, 0
	s_and_saveexec_b64 s[28:29], s[8:9]
	s_cbranch_execz .LBB371_156
; %bb.151:                              ;   in Loop: Header=BB371_10 Depth=1
	v_cmp_ne_u16_sdwa s[8:9], v28, s21 src0_sel:BYTE_0 src1_sel:DWORD
	v_bfrev_b32_e32 v0, 1
	s_and_saveexec_b64 s[30:31], s[8:9]
	s_cbranch_execz .LBB371_155
; %bb.152:                              ;   in Loop: Header=BB371_10 Depth=1
	v_and_b32_e32 v1, 0x7f, v28
	v_cmp_ne_u32_e64 s[8:9], s37, v1
	v_mov_b32_e32 v0, 0x7f800001
	s_and_saveexec_b64 s[34:35], s[8:9]
	s_cbranch_execz .LBB371_154
; %bb.153:                              ;   in Loop: Header=BB371_10 Depth=1
	v_and_b32_e32 v2, 7, v28
	v_ffbh_u32_e32 v0, v2
	v_min_u32_e32 v7, 32, v0
	v_subrev_u32_e32 v0, 28, v7
	v_lshrrev_b32_e32 v3, 3, v1
	v_cmp_gt_u32_e64 s[8:9], 8, v1
	v_lshlrev_b64 v[0:1], v0, v[28:29]
	v_sub_u32_e32 v1, 29, v7
	v_and_b32_e32 v0, 7, v0
	v_cndmask_b32_e64 v1, v3, v1, s[8:9]
	v_cndmask_b32_e64 v0, v2, v0, s[8:9]
	v_lshlrev_b32_e32 v2, 24, v28
	v_lshlrev_b32_e32 v0, 20, v0
	v_and_b32_e32 v2, 0x80000000, v2
	v_lshl_add_u32 v1, v1, 23, v5
	v_or3_b32 v0, v2, v1, v0
.LBB371_154:                            ;   in Loop: Header=BB371_10 Depth=1
	s_or_b64 exec, exec, s[34:35]
.LBB371_155:                            ;   in Loop: Header=BB371_10 Depth=1
	s_or_b64 exec, exec, s[30:31]
.LBB371_156:                            ;   in Loop: Header=BB371_10 Depth=1
	s_or_b64 exec, exec, s[28:29]
	v_mul_f32_e32 v0, v6, v0
	v_and_b32_e32 v1, 0x7f800000, v0
	v_cmp_ne_u32_e64 s[8:9], s38, v1
                                        ; implicit-def: $agpr49
	s_and_saveexec_b64 s[28:29], s[8:9]
	s_xor_b64 s[8:9], exec, s[28:29]
; %bb.157:                              ;   in Loop: Header=BB371_10 Depth=1
	v_bfe_u32 v1, v0, 16, 1
	v_add3_u32 v0, v0, v1, s39
	v_accvgpr_write_b32 a49, v0
                                        ; implicit-def: $vgpr0
; %bb.158:                              ;   in Loop: Header=BB371_10 Depth=1
	s_andn2_saveexec_b64 s[28:29], s[8:9]
; %bb.159:                              ;   in Loop: Header=BB371_10 Depth=1
	v_or_b32_e32 v1, 0x10000, v0
	v_cmp_eq_u32_sdwa s[8:9], v0, v37 src0_sel:WORD_0 src1_sel:DWORD
	v_cndmask_b32_e64 v0, v1, v0, s[8:9]
	v_accvgpr_write_b32 a49, v0
; %bb.160:                              ;   in Loop: Header=BB371_10 Depth=1
	s_or_b64 exec, exec, s[28:29]
	v_lshrrev_b16_e32 v30, 8, v28
	v_cmp_ne_u16_e64 s[8:9], 0, v30
	v_mov_b32_e32 v0, 0
	s_and_saveexec_b64 s[28:29], s[8:9]
	s_cbranch_execz .LBB371_166
; %bb.161:                              ;   in Loop: Header=BB371_10 Depth=1
	v_cmp_ne_u16_e64 s[8:9], s21, v30
	v_bfrev_b32_e32 v0, 1
	s_and_saveexec_b64 s[30:31], s[8:9]
	s_cbranch_execz .LBB371_165
; %bb.162:                              ;   in Loop: Header=BB371_10 Depth=1
	v_and_b32_e32 v1, 0x7f, v30
	v_cmp_ne_u32_e64 s[8:9], s37, v1
	v_mov_b32_e32 v0, 0x7f800001
	s_and_saveexec_b64 s[34:35], s[8:9]
	s_cbranch_execz .LBB371_164
; %bb.163:                              ;   in Loop: Header=BB371_10 Depth=1
	v_and_b32_e32 v2, 7, v30
	v_ffbh_u32_e32 v0, v2
	v_min_u32_e32 v7, 32, v0
	v_subrev_u32_e32 v0, 28, v7
	v_lshrrev_b32_e32 v3, 3, v1
	v_cmp_gt_u32_e64 s[8:9], 8, v1
	v_lshlrev_b64 v[0:1], v0, v[30:31]
	v_sub_u32_e32 v1, 29, v7
	v_and_b32_e32 v0, 7, v0
	v_cndmask_b32_e64 v1, v3, v1, s[8:9]
	v_cndmask_b32_e64 v0, v2, v0, s[8:9]
	v_lshlrev_b32_e32 v2, 16, v28
	v_lshlrev_b32_e32 v0, 20, v0
	v_and_b32_e32 v2, 0x80000000, v2
	v_lshl_add_u32 v1, v1, 23, v5
	v_or3_b32 v0, v2, v1, v0
.LBB371_164:                            ;   in Loop: Header=BB371_10 Depth=1
	s_or_b64 exec, exec, s[34:35]
.LBB371_165:                            ;   in Loop: Header=BB371_10 Depth=1
	s_or_b64 exec, exec, s[30:31]
.LBB371_166:                            ;   in Loop: Header=BB371_10 Depth=1
	s_or_b64 exec, exec, s[28:29]
	v_mul_f32_e32 v0, v6, v0
	v_and_b32_e32 v1, 0x7f800000, v0
	v_cmp_ne_u32_e64 s[8:9], s38, v1
                                        ; implicit-def: $agpr50
	s_and_saveexec_b64 s[28:29], s[8:9]
	s_xor_b64 s[8:9], exec, s[28:29]
; %bb.167:                              ;   in Loop: Header=BB371_10 Depth=1
	v_bfe_u32 v1, v0, 16, 1
	v_add3_u32 v0, v0, v1, s39
	v_accvgpr_write_b32 a50, v0
                                        ; implicit-def: $vgpr0
; %bb.168:                              ;   in Loop: Header=BB371_10 Depth=1
	s_andn2_saveexec_b64 s[28:29], s[8:9]
; %bb.169:                              ;   in Loop: Header=BB371_10 Depth=1
	v_or_b32_e32 v1, 0x10000, v0
	v_cmp_eq_u32_sdwa s[8:9], v0, v37 src0_sel:WORD_0 src1_sel:DWORD
	v_cndmask_b32_e64 v0, v1, v0, s[8:9]
	v_accvgpr_write_b32 a50, v0
; %bb.170:                              ;   in Loop: Header=BB371_10 Depth=1
	s_or_b64 exec, exec, s[28:29]
	flat_load_ushort v0, v[20:21] offset:1024
	s_waitcnt vmcnt(0) lgkmcnt(0)
	v_and_b32_e32 v28, 0xffff, v0
	v_cmp_ne_u16_sdwa s[8:9], v0, v37 src0_sel:BYTE_0 src1_sel:DWORD
	v_mov_b32_e32 v0, 0
	s_and_saveexec_b64 s[28:29], s[8:9]
	s_cbranch_execz .LBB371_176
; %bb.171:                              ;   in Loop: Header=BB371_10 Depth=1
	v_cmp_ne_u16_sdwa s[8:9], v28, s21 src0_sel:BYTE_0 src1_sel:DWORD
	v_bfrev_b32_e32 v0, 1
	s_and_saveexec_b64 s[30:31], s[8:9]
	s_cbranch_execz .LBB371_175
; %bb.172:                              ;   in Loop: Header=BB371_10 Depth=1
	v_and_b32_e32 v1, 0x7f, v28
	v_cmp_ne_u32_e64 s[8:9], s37, v1
	v_mov_b32_e32 v0, 0x7f800001
	s_and_saveexec_b64 s[34:35], s[8:9]
	s_cbranch_execz .LBB371_174
; %bb.173:                              ;   in Loop: Header=BB371_10 Depth=1
	v_and_b32_e32 v2, 7, v28
	v_ffbh_u32_e32 v0, v2
	v_min_u32_e32 v7, 32, v0
	v_subrev_u32_e32 v0, 28, v7
	v_lshrrev_b32_e32 v3, 3, v1
	v_cmp_gt_u32_e64 s[8:9], 8, v1
	v_lshlrev_b64 v[0:1], v0, v[28:29]
	v_sub_u32_e32 v1, 29, v7
	v_and_b32_e32 v0, 7, v0
	v_cndmask_b32_e64 v1, v3, v1, s[8:9]
	v_cndmask_b32_e64 v0, v2, v0, s[8:9]
	v_lshlrev_b32_e32 v2, 24, v28
	v_lshlrev_b32_e32 v0, 20, v0
	v_and_b32_e32 v2, 0x80000000, v2
	v_lshl_add_u32 v1, v1, 23, v5
	v_or3_b32 v0, v2, v1, v0
.LBB371_174:                            ;   in Loop: Header=BB371_10 Depth=1
	s_or_b64 exec, exec, s[34:35]
.LBB371_175:                            ;   in Loop: Header=BB371_10 Depth=1
	s_or_b64 exec, exec, s[30:31]
.LBB371_176:                            ;   in Loop: Header=BB371_10 Depth=1
	s_or_b64 exec, exec, s[28:29]
	v_mul_f32_e32 v0, v6, v0
	v_and_b32_e32 v1, 0x7f800000, v0
	v_cmp_ne_u32_e64 s[8:9], s38, v1
                                        ; implicit-def: $agpr51
	s_and_saveexec_b64 s[28:29], s[8:9]
	s_xor_b64 s[8:9], exec, s[28:29]
; %bb.177:                              ;   in Loop: Header=BB371_10 Depth=1
	v_bfe_u32 v1, v0, 16, 1
	v_add3_u32 v0, v0, v1, s39
	v_accvgpr_write_b32 a51, v0
                                        ; implicit-def: $vgpr0
; %bb.178:                              ;   in Loop: Header=BB371_10 Depth=1
	s_andn2_saveexec_b64 s[28:29], s[8:9]
; %bb.179:                              ;   in Loop: Header=BB371_10 Depth=1
	v_or_b32_e32 v1, 0x10000, v0
	v_cmp_eq_u32_sdwa s[8:9], v0, v37 src0_sel:WORD_0 src1_sel:DWORD
	v_cndmask_b32_e64 v0, v1, v0, s[8:9]
	v_accvgpr_write_b32 a51, v0
; %bb.180:                              ;   in Loop: Header=BB371_10 Depth=1
	s_or_b64 exec, exec, s[28:29]
	v_lshrrev_b16_e32 v30, 8, v28
	v_cmp_ne_u16_e64 s[8:9], 0, v30
	v_mov_b32_e32 v0, 0
	s_and_saveexec_b64 s[28:29], s[8:9]
	s_cbranch_execz .LBB371_186
; %bb.181:                              ;   in Loop: Header=BB371_10 Depth=1
	v_cmp_ne_u16_e64 s[8:9], s21, v30
	v_bfrev_b32_e32 v0, 1
	s_and_saveexec_b64 s[30:31], s[8:9]
	s_cbranch_execz .LBB371_185
; %bb.182:                              ;   in Loop: Header=BB371_10 Depth=1
	v_and_b32_e32 v1, 0x7f, v30
	v_cmp_ne_u32_e64 s[8:9], s37, v1
	v_mov_b32_e32 v0, 0x7f800001
	s_and_saveexec_b64 s[34:35], s[8:9]
	s_cbranch_execz .LBB371_184
; %bb.183:                              ;   in Loop: Header=BB371_10 Depth=1
	v_and_b32_e32 v2, 7, v30
	v_ffbh_u32_e32 v0, v2
	v_min_u32_e32 v7, 32, v0
	v_subrev_u32_e32 v0, 28, v7
	v_lshrrev_b32_e32 v3, 3, v1
	v_cmp_gt_u32_e64 s[8:9], 8, v1
	v_lshlrev_b64 v[0:1], v0, v[30:31]
	v_sub_u32_e32 v1, 29, v7
	v_and_b32_e32 v0, 7, v0
	v_cndmask_b32_e64 v1, v3, v1, s[8:9]
	v_cndmask_b32_e64 v0, v2, v0, s[8:9]
	v_lshlrev_b32_e32 v2, 16, v28
	v_lshlrev_b32_e32 v0, 20, v0
	v_and_b32_e32 v2, 0x80000000, v2
	v_lshl_add_u32 v1, v1, 23, v5
	v_or3_b32 v0, v2, v1, v0
.LBB371_184:                            ;   in Loop: Header=BB371_10 Depth=1
	s_or_b64 exec, exec, s[34:35]
.LBB371_185:                            ;   in Loop: Header=BB371_10 Depth=1
	s_or_b64 exec, exec, s[30:31]
.LBB371_186:                            ;   in Loop: Header=BB371_10 Depth=1
	s_or_b64 exec, exec, s[28:29]
	v_mul_f32_e32 v0, v6, v0
	v_and_b32_e32 v1, 0x7f800000, v0
	v_cmp_ne_u32_e64 s[8:9], s38, v1
                                        ; implicit-def: $agpr52
	s_and_saveexec_b64 s[28:29], s[8:9]
	s_xor_b64 s[8:9], exec, s[28:29]
; %bb.187:                              ;   in Loop: Header=BB371_10 Depth=1
	v_bfe_u32 v1, v0, 16, 1
	v_add3_u32 v0, v0, v1, s39
	v_accvgpr_write_b32 a52, v0
                                        ; implicit-def: $vgpr0
; %bb.188:                              ;   in Loop: Header=BB371_10 Depth=1
	s_andn2_saveexec_b64 s[28:29], s[8:9]
; %bb.189:                              ;   in Loop: Header=BB371_10 Depth=1
	v_or_b32_e32 v1, 0x10000, v0
	v_cmp_eq_u32_sdwa s[8:9], v0, v37 src0_sel:WORD_0 src1_sel:DWORD
	v_cndmask_b32_e64 v0, v1, v0, s[8:9]
	v_accvgpr_write_b32 a52, v0
; %bb.190:                              ;   in Loop: Header=BB371_10 Depth=1
	s_or_b64 exec, exec, s[28:29]
	flat_load_ushort v0, v[20:21] offset:1032
	s_waitcnt vmcnt(0) lgkmcnt(0)
	v_and_b32_e32 v28, 0xffff, v0
	v_cmp_ne_u16_sdwa s[8:9], v0, v37 src0_sel:BYTE_0 src1_sel:DWORD
	v_mov_b32_e32 v0, 0
	s_and_saveexec_b64 s[28:29], s[8:9]
	s_cbranch_execz .LBB371_196
; %bb.191:                              ;   in Loop: Header=BB371_10 Depth=1
	v_cmp_ne_u16_sdwa s[8:9], v28, s21 src0_sel:BYTE_0 src1_sel:DWORD
	v_bfrev_b32_e32 v0, 1
	s_and_saveexec_b64 s[30:31], s[8:9]
	s_cbranch_execz .LBB371_195
; %bb.192:                              ;   in Loop: Header=BB371_10 Depth=1
	v_and_b32_e32 v1, 0x7f, v28
	v_cmp_ne_u32_e64 s[8:9], s37, v1
	v_mov_b32_e32 v0, 0x7f800001
	s_and_saveexec_b64 s[34:35], s[8:9]
	s_cbranch_execz .LBB371_194
; %bb.193:                              ;   in Loop: Header=BB371_10 Depth=1
	v_and_b32_e32 v2, 7, v28
	v_ffbh_u32_e32 v0, v2
	v_min_u32_e32 v7, 32, v0
	v_subrev_u32_e32 v0, 28, v7
	v_lshrrev_b32_e32 v3, 3, v1
	v_cmp_gt_u32_e64 s[8:9], 8, v1
	v_lshlrev_b64 v[0:1], v0, v[28:29]
	v_sub_u32_e32 v1, 29, v7
	v_and_b32_e32 v0, 7, v0
	v_cndmask_b32_e64 v1, v3, v1, s[8:9]
	v_cndmask_b32_e64 v0, v2, v0, s[8:9]
	v_lshlrev_b32_e32 v2, 24, v28
	v_lshlrev_b32_e32 v0, 20, v0
	v_and_b32_e32 v2, 0x80000000, v2
	v_lshl_add_u32 v1, v1, 23, v5
	v_or3_b32 v0, v2, v1, v0
.LBB371_194:                            ;   in Loop: Header=BB371_10 Depth=1
	s_or_b64 exec, exec, s[34:35]
.LBB371_195:                            ;   in Loop: Header=BB371_10 Depth=1
	s_or_b64 exec, exec, s[30:31]
.LBB371_196:                            ;   in Loop: Header=BB371_10 Depth=1
	s_or_b64 exec, exec, s[28:29]
	v_mul_f32_e32 v0, v6, v0
	v_and_b32_e32 v1, 0x7f800000, v0
	v_cmp_ne_u32_e64 s[8:9], s38, v1
                                        ; implicit-def: $agpr53
	s_and_saveexec_b64 s[28:29], s[8:9]
	s_xor_b64 s[8:9], exec, s[28:29]
; %bb.197:                              ;   in Loop: Header=BB371_10 Depth=1
	v_bfe_u32 v1, v0, 16, 1
	v_add3_u32 v0, v0, v1, s39
	v_accvgpr_write_b32 a53, v0
                                        ; implicit-def: $vgpr0
; %bb.198:                              ;   in Loop: Header=BB371_10 Depth=1
	s_andn2_saveexec_b64 s[28:29], s[8:9]
; %bb.199:                              ;   in Loop: Header=BB371_10 Depth=1
	v_or_b32_e32 v1, 0x10000, v0
	v_cmp_eq_u32_sdwa s[8:9], v0, v37 src0_sel:WORD_0 src1_sel:DWORD
	v_cndmask_b32_e64 v0, v1, v0, s[8:9]
	v_accvgpr_write_b32 a53, v0
; %bb.200:                              ;   in Loop: Header=BB371_10 Depth=1
	s_or_b64 exec, exec, s[28:29]
	v_lshrrev_b16_e32 v30, 8, v28
	v_cmp_ne_u16_e64 s[8:9], 0, v30
	v_mov_b32_e32 v0, 0
	s_and_saveexec_b64 s[28:29], s[8:9]
	s_cbranch_execz .LBB371_206
; %bb.201:                              ;   in Loop: Header=BB371_10 Depth=1
	v_cmp_ne_u16_e64 s[8:9], s21, v30
	v_bfrev_b32_e32 v0, 1
	s_and_saveexec_b64 s[30:31], s[8:9]
	s_cbranch_execz .LBB371_205
; %bb.202:                              ;   in Loop: Header=BB371_10 Depth=1
	v_and_b32_e32 v1, 0x7f, v30
	v_cmp_ne_u32_e64 s[8:9], s37, v1
	v_mov_b32_e32 v0, 0x7f800001
	s_and_saveexec_b64 s[34:35], s[8:9]
	s_cbranch_execz .LBB371_204
; %bb.203:                              ;   in Loop: Header=BB371_10 Depth=1
	v_and_b32_e32 v2, 7, v30
	v_ffbh_u32_e32 v0, v2
	v_min_u32_e32 v7, 32, v0
	v_subrev_u32_e32 v0, 28, v7
	v_lshrrev_b32_e32 v3, 3, v1
	v_cmp_gt_u32_e64 s[8:9], 8, v1
	v_lshlrev_b64 v[0:1], v0, v[30:31]
	v_sub_u32_e32 v1, 29, v7
	v_and_b32_e32 v0, 7, v0
	v_cndmask_b32_e64 v1, v3, v1, s[8:9]
	v_cndmask_b32_e64 v0, v2, v0, s[8:9]
	v_lshlrev_b32_e32 v2, 16, v28
	v_lshlrev_b32_e32 v0, 20, v0
	v_and_b32_e32 v2, 0x80000000, v2
	v_lshl_add_u32 v1, v1, 23, v5
	v_or3_b32 v0, v2, v1, v0
.LBB371_204:                            ;   in Loop: Header=BB371_10 Depth=1
	s_or_b64 exec, exec, s[34:35]
.LBB371_205:                            ;   in Loop: Header=BB371_10 Depth=1
	s_or_b64 exec, exec, s[30:31]
.LBB371_206:                            ;   in Loop: Header=BB371_10 Depth=1
	s_or_b64 exec, exec, s[28:29]
	v_mul_f32_e32 v0, v6, v0
	v_and_b32_e32 v1, 0x7f800000, v0
	v_cmp_ne_u32_e64 s[8:9], s38, v1
                                        ; implicit-def: $vgpr48
	s_and_saveexec_b64 s[28:29], s[8:9]
	s_xor_b64 s[8:9], exec, s[28:29]
; %bb.207:                              ;   in Loop: Header=BB371_10 Depth=1
	v_bfe_u32 v1, v0, 16, 1
	v_add3_u32 v48, v0, v1, s39
                                        ; implicit-def: $vgpr0
; %bb.208:                              ;   in Loop: Header=BB371_10 Depth=1
	s_andn2_saveexec_b64 s[28:29], s[8:9]
; %bb.209:                              ;   in Loop: Header=BB371_10 Depth=1
	v_or_b32_e32 v1, 0x10000, v0
	v_cmp_eq_u32_sdwa s[8:9], v0, v37 src0_sel:WORD_0 src1_sel:DWORD
	v_cndmask_b32_e64 v48, v1, v0, s[8:9]
; %bb.210:                              ;   in Loop: Header=BB371_10 Depth=1
	s_or_b64 exec, exec, s[28:29]
	flat_load_ushort v0, v[20:21] offset:1280
	s_waitcnt vmcnt(0) lgkmcnt(0)
	v_and_b32_e32 v28, 0xffff, v0
	v_cmp_ne_u16_sdwa s[8:9], v0, v37 src0_sel:BYTE_0 src1_sel:DWORD
	v_mov_b32_e32 v0, 0
	s_and_saveexec_b64 s[28:29], s[8:9]
	s_cbranch_execz .LBB371_216
; %bb.211:                              ;   in Loop: Header=BB371_10 Depth=1
	v_cmp_ne_u16_sdwa s[8:9], v28, s21 src0_sel:BYTE_0 src1_sel:DWORD
	v_bfrev_b32_e32 v0, 1
	s_and_saveexec_b64 s[30:31], s[8:9]
	s_cbranch_execz .LBB371_215
; %bb.212:                              ;   in Loop: Header=BB371_10 Depth=1
	v_and_b32_e32 v1, 0x7f, v28
	v_cmp_ne_u32_e64 s[8:9], s37, v1
	v_mov_b32_e32 v0, 0x7f800001
	s_and_saveexec_b64 s[34:35], s[8:9]
	s_cbranch_execz .LBB371_214
; %bb.213:                              ;   in Loop: Header=BB371_10 Depth=1
	v_and_b32_e32 v2, 7, v28
	v_ffbh_u32_e32 v0, v2
	v_min_u32_e32 v7, 32, v0
	v_subrev_u32_e32 v0, 28, v7
	v_lshrrev_b32_e32 v3, 3, v1
	v_cmp_gt_u32_e64 s[8:9], 8, v1
	v_lshlrev_b64 v[0:1], v0, v[28:29]
	v_sub_u32_e32 v1, 29, v7
	v_and_b32_e32 v0, 7, v0
	v_cndmask_b32_e64 v1, v3, v1, s[8:9]
	v_cndmask_b32_e64 v0, v2, v0, s[8:9]
	v_lshlrev_b32_e32 v2, 24, v28
	v_lshlrev_b32_e32 v0, 20, v0
	v_and_b32_e32 v2, 0x80000000, v2
	v_lshl_add_u32 v1, v1, 23, v5
	v_or3_b32 v0, v2, v1, v0
.LBB371_214:                            ;   in Loop: Header=BB371_10 Depth=1
	s_or_b64 exec, exec, s[34:35]
.LBB371_215:                            ;   in Loop: Header=BB371_10 Depth=1
	s_or_b64 exec, exec, s[30:31]
.LBB371_216:                            ;   in Loop: Header=BB371_10 Depth=1
	s_or_b64 exec, exec, s[28:29]
	v_mul_f32_e32 v0, v6, v0
	v_and_b32_e32 v1, 0x7f800000, v0
	v_cmp_ne_u32_e64 s[8:9], s38, v1
                                        ; implicit-def: $vgpr49
	s_and_saveexec_b64 s[28:29], s[8:9]
	s_xor_b64 s[8:9], exec, s[28:29]
; %bb.217:                              ;   in Loop: Header=BB371_10 Depth=1
	v_bfe_u32 v1, v0, 16, 1
	v_add3_u32 v49, v0, v1, s39
                                        ; implicit-def: $vgpr0
; %bb.218:                              ;   in Loop: Header=BB371_10 Depth=1
	s_andn2_saveexec_b64 s[28:29], s[8:9]
; %bb.219:                              ;   in Loop: Header=BB371_10 Depth=1
	v_or_b32_e32 v1, 0x10000, v0
	v_cmp_eq_u32_sdwa s[8:9], v0, v37 src0_sel:WORD_0 src1_sel:DWORD
	v_cndmask_b32_e64 v49, v1, v0, s[8:9]
; %bb.220:                              ;   in Loop: Header=BB371_10 Depth=1
	s_or_b64 exec, exec, s[28:29]
	v_lshrrev_b16_e32 v30, 8, v28
	v_cmp_ne_u16_e64 s[8:9], 0, v30
	v_mov_b32_e32 v0, 0
	s_and_saveexec_b64 s[28:29], s[8:9]
	s_cbranch_execz .LBB371_226
; %bb.221:                              ;   in Loop: Header=BB371_10 Depth=1
	v_cmp_ne_u16_e64 s[8:9], s21, v30
	v_bfrev_b32_e32 v0, 1
	s_and_saveexec_b64 s[30:31], s[8:9]
	s_cbranch_execz .LBB371_225
; %bb.222:                              ;   in Loop: Header=BB371_10 Depth=1
	v_and_b32_e32 v1, 0x7f, v30
	v_cmp_ne_u32_e64 s[8:9], s37, v1
	v_mov_b32_e32 v0, 0x7f800001
	s_and_saveexec_b64 s[34:35], s[8:9]
	s_cbranch_execz .LBB371_224
; %bb.223:                              ;   in Loop: Header=BB371_10 Depth=1
	v_and_b32_e32 v2, 7, v30
	v_ffbh_u32_e32 v0, v2
	v_min_u32_e32 v7, 32, v0
	v_subrev_u32_e32 v0, 28, v7
	v_lshrrev_b32_e32 v3, 3, v1
	v_cmp_gt_u32_e64 s[8:9], 8, v1
	v_lshlrev_b64 v[0:1], v0, v[30:31]
	v_sub_u32_e32 v1, 29, v7
	v_and_b32_e32 v0, 7, v0
	v_cndmask_b32_e64 v1, v3, v1, s[8:9]
	v_cndmask_b32_e64 v0, v2, v0, s[8:9]
	v_lshlrev_b32_e32 v2, 16, v28
	v_lshlrev_b32_e32 v0, 20, v0
	v_and_b32_e32 v2, 0x80000000, v2
	v_lshl_add_u32 v1, v1, 23, v5
	v_or3_b32 v0, v2, v1, v0
.LBB371_224:                            ;   in Loop: Header=BB371_10 Depth=1
	s_or_b64 exec, exec, s[34:35]
.LBB371_225:                            ;   in Loop: Header=BB371_10 Depth=1
	s_or_b64 exec, exec, s[30:31]
.LBB371_226:                            ;   in Loop: Header=BB371_10 Depth=1
	s_or_b64 exec, exec, s[28:29]
	v_mul_f32_e32 v0, v6, v0
	v_and_b32_e32 v1, 0x7f800000, v0
	v_cmp_ne_u32_e64 s[8:9], s38, v1
                                        ; implicit-def: $vgpr50
	s_and_saveexec_b64 s[28:29], s[8:9]
	s_xor_b64 s[8:9], exec, s[28:29]
; %bb.227:                              ;   in Loop: Header=BB371_10 Depth=1
	v_bfe_u32 v1, v0, 16, 1
	v_add3_u32 v50, v0, v1, s39
                                        ; implicit-def: $vgpr0
; %bb.228:                              ;   in Loop: Header=BB371_10 Depth=1
	s_andn2_saveexec_b64 s[28:29], s[8:9]
; %bb.229:                              ;   in Loop: Header=BB371_10 Depth=1
	v_or_b32_e32 v1, 0x10000, v0
	v_cmp_eq_u32_sdwa s[8:9], v0, v37 src0_sel:WORD_0 src1_sel:DWORD
	v_cndmask_b32_e64 v50, v1, v0, s[8:9]
; %bb.230:                              ;   in Loop: Header=BB371_10 Depth=1
	s_or_b64 exec, exec, s[28:29]
	flat_load_ushort v0, v[20:21] offset:1288
	s_waitcnt vmcnt(0) lgkmcnt(0)
	v_and_b32_e32 v28, 0xffff, v0
	v_cmp_ne_u16_sdwa s[8:9], v0, v37 src0_sel:BYTE_0 src1_sel:DWORD
	v_mov_b32_e32 v0, 0
	s_and_saveexec_b64 s[28:29], s[8:9]
	s_cbranch_execz .LBB371_236
; %bb.231:                              ;   in Loop: Header=BB371_10 Depth=1
	v_cmp_ne_u16_sdwa s[8:9], v28, s21 src0_sel:BYTE_0 src1_sel:DWORD
	v_bfrev_b32_e32 v0, 1
	s_and_saveexec_b64 s[30:31], s[8:9]
	s_cbranch_execz .LBB371_235
; %bb.232:                              ;   in Loop: Header=BB371_10 Depth=1
	v_and_b32_e32 v1, 0x7f, v28
	v_cmp_ne_u32_e64 s[8:9], s37, v1
	v_mov_b32_e32 v0, 0x7f800001
	s_and_saveexec_b64 s[34:35], s[8:9]
	s_cbranch_execz .LBB371_234
; %bb.233:                              ;   in Loop: Header=BB371_10 Depth=1
	v_and_b32_e32 v2, 7, v28
	v_ffbh_u32_e32 v0, v2
	v_min_u32_e32 v7, 32, v0
	v_subrev_u32_e32 v0, 28, v7
	v_lshrrev_b32_e32 v3, 3, v1
	v_cmp_gt_u32_e64 s[8:9], 8, v1
	v_lshlrev_b64 v[0:1], v0, v[28:29]
	v_sub_u32_e32 v1, 29, v7
	v_and_b32_e32 v0, 7, v0
	v_cndmask_b32_e64 v1, v3, v1, s[8:9]
	v_cndmask_b32_e64 v0, v2, v0, s[8:9]
	v_lshlrev_b32_e32 v2, 24, v28
	v_lshlrev_b32_e32 v0, 20, v0
	v_and_b32_e32 v2, 0x80000000, v2
	v_lshl_add_u32 v1, v1, 23, v5
	v_or3_b32 v0, v2, v1, v0
.LBB371_234:                            ;   in Loop: Header=BB371_10 Depth=1
	s_or_b64 exec, exec, s[34:35]
.LBB371_235:                            ;   in Loop: Header=BB371_10 Depth=1
	s_or_b64 exec, exec, s[30:31]
.LBB371_236:                            ;   in Loop: Header=BB371_10 Depth=1
	s_or_b64 exec, exec, s[28:29]
	v_mul_f32_e32 v0, v6, v0
	v_and_b32_e32 v1, 0x7f800000, v0
	v_cmp_ne_u32_e64 s[8:9], s38, v1
                                        ; implicit-def: $vgpr51
	s_and_saveexec_b64 s[28:29], s[8:9]
	s_xor_b64 s[8:9], exec, s[28:29]
; %bb.237:                              ;   in Loop: Header=BB371_10 Depth=1
	v_bfe_u32 v1, v0, 16, 1
	v_add3_u32 v51, v0, v1, s39
                                        ; implicit-def: $vgpr0
; %bb.238:                              ;   in Loop: Header=BB371_10 Depth=1
	s_andn2_saveexec_b64 s[28:29], s[8:9]
; %bb.239:                              ;   in Loop: Header=BB371_10 Depth=1
	v_or_b32_e32 v1, 0x10000, v0
	v_cmp_eq_u32_sdwa s[8:9], v0, v37 src0_sel:WORD_0 src1_sel:DWORD
	v_cndmask_b32_e64 v51, v1, v0, s[8:9]
; %bb.240:                              ;   in Loop: Header=BB371_10 Depth=1
	s_or_b64 exec, exec, s[28:29]
	v_lshrrev_b16_e32 v30, 8, v28
	v_cmp_ne_u16_e64 s[8:9], 0, v30
	v_mov_b32_e32 v0, 0
	s_and_saveexec_b64 s[28:29], s[8:9]
	s_cbranch_execz .LBB371_246
; %bb.241:                              ;   in Loop: Header=BB371_10 Depth=1
	v_cmp_ne_u16_e64 s[8:9], s21, v30
	v_bfrev_b32_e32 v0, 1
	s_and_saveexec_b64 s[30:31], s[8:9]
	s_cbranch_execz .LBB371_245
; %bb.242:                              ;   in Loop: Header=BB371_10 Depth=1
	v_and_b32_e32 v1, 0x7f, v30
	v_cmp_ne_u32_e64 s[8:9], s37, v1
	v_mov_b32_e32 v0, 0x7f800001
	s_and_saveexec_b64 s[34:35], s[8:9]
	s_cbranch_execz .LBB371_244
; %bb.243:                              ;   in Loop: Header=BB371_10 Depth=1
	v_and_b32_e32 v2, 7, v30
	v_ffbh_u32_e32 v0, v2
	v_min_u32_e32 v7, 32, v0
	v_subrev_u32_e32 v0, 28, v7
	v_lshrrev_b32_e32 v3, 3, v1
	v_cmp_gt_u32_e64 s[8:9], 8, v1
	v_lshlrev_b64 v[0:1], v0, v[30:31]
	v_sub_u32_e32 v1, 29, v7
	v_and_b32_e32 v0, 7, v0
	v_cndmask_b32_e64 v1, v3, v1, s[8:9]
	v_cndmask_b32_e64 v0, v2, v0, s[8:9]
	v_lshlrev_b32_e32 v2, 16, v28
	v_lshlrev_b32_e32 v0, 20, v0
	v_and_b32_e32 v2, 0x80000000, v2
	v_lshl_add_u32 v1, v1, 23, v5
	v_or3_b32 v0, v2, v1, v0
.LBB371_244:                            ;   in Loop: Header=BB371_10 Depth=1
	s_or_b64 exec, exec, s[34:35]
.LBB371_245:                            ;   in Loop: Header=BB371_10 Depth=1
	s_or_b64 exec, exec, s[30:31]
.LBB371_246:                            ;   in Loop: Header=BB371_10 Depth=1
	s_or_b64 exec, exec, s[28:29]
	v_mul_f32_e32 v0, v6, v0
	v_and_b32_e32 v1, 0x7f800000, v0
	v_cmp_ne_u32_e64 s[8:9], s38, v1
                                        ; implicit-def: $vgpr52
	s_and_saveexec_b64 s[28:29], s[8:9]
	s_xor_b64 s[8:9], exec, s[28:29]
; %bb.247:                              ;   in Loop: Header=BB371_10 Depth=1
	v_bfe_u32 v1, v0, 16, 1
	v_add3_u32 v52, v0, v1, s39
                                        ; implicit-def: $vgpr0
; %bb.248:                              ;   in Loop: Header=BB371_10 Depth=1
	s_andn2_saveexec_b64 s[28:29], s[8:9]
; %bb.249:                              ;   in Loop: Header=BB371_10 Depth=1
	v_or_b32_e32 v1, 0x10000, v0
	v_cmp_eq_u32_sdwa s[8:9], v0, v37 src0_sel:WORD_0 src1_sel:DWORD
	v_cndmask_b32_e64 v52, v1, v0, s[8:9]
; %bb.250:                              ;   in Loop: Header=BB371_10 Depth=1
	s_or_b64 exec, exec, s[28:29]
	flat_load_ushort v0, v[20:21] offset:1536
	s_waitcnt vmcnt(0) lgkmcnt(0)
	v_and_b32_e32 v28, 0xffff, v0
	v_cmp_ne_u16_sdwa s[8:9], v0, v37 src0_sel:BYTE_0 src1_sel:DWORD
	v_mov_b32_e32 v0, 0
	s_and_saveexec_b64 s[28:29], s[8:9]
	s_cbranch_execz .LBB371_256
; %bb.251:                              ;   in Loop: Header=BB371_10 Depth=1
	v_cmp_ne_u16_sdwa s[8:9], v28, s21 src0_sel:BYTE_0 src1_sel:DWORD
	v_bfrev_b32_e32 v0, 1
	s_and_saveexec_b64 s[30:31], s[8:9]
	s_cbranch_execz .LBB371_255
; %bb.252:                              ;   in Loop: Header=BB371_10 Depth=1
	v_and_b32_e32 v1, 0x7f, v28
	v_cmp_ne_u32_e64 s[8:9], s37, v1
	v_mov_b32_e32 v0, 0x7f800001
	s_and_saveexec_b64 s[34:35], s[8:9]
	s_cbranch_execz .LBB371_254
; %bb.253:                              ;   in Loop: Header=BB371_10 Depth=1
	v_and_b32_e32 v2, 7, v28
	v_ffbh_u32_e32 v0, v2
	v_min_u32_e32 v7, 32, v0
	v_subrev_u32_e32 v0, 28, v7
	v_lshrrev_b32_e32 v3, 3, v1
	v_cmp_gt_u32_e64 s[8:9], 8, v1
	v_lshlrev_b64 v[0:1], v0, v[28:29]
	v_sub_u32_e32 v1, 29, v7
	v_and_b32_e32 v0, 7, v0
	v_cndmask_b32_e64 v1, v3, v1, s[8:9]
	v_cndmask_b32_e64 v0, v2, v0, s[8:9]
	v_lshlrev_b32_e32 v2, 24, v28
	v_lshlrev_b32_e32 v0, 20, v0
	v_and_b32_e32 v2, 0x80000000, v2
	v_lshl_add_u32 v1, v1, 23, v5
	v_or3_b32 v0, v2, v1, v0
.LBB371_254:                            ;   in Loop: Header=BB371_10 Depth=1
	s_or_b64 exec, exec, s[34:35]
.LBB371_255:                            ;   in Loop: Header=BB371_10 Depth=1
	s_or_b64 exec, exec, s[30:31]
.LBB371_256:                            ;   in Loop: Header=BB371_10 Depth=1
	s_or_b64 exec, exec, s[28:29]
	v_mul_f32_e32 v0, v6, v0
	v_and_b32_e32 v1, 0x7f800000, v0
	v_cmp_ne_u32_e64 s[8:9], s38, v1
                                        ; implicit-def: $vgpr53
	s_and_saveexec_b64 s[28:29], s[8:9]
	s_xor_b64 s[8:9], exec, s[28:29]
; %bb.257:                              ;   in Loop: Header=BB371_10 Depth=1
	v_bfe_u32 v1, v0, 16, 1
	v_add3_u32 v53, v0, v1, s39
                                        ; implicit-def: $vgpr0
; %bb.258:                              ;   in Loop: Header=BB371_10 Depth=1
	s_andn2_saveexec_b64 s[28:29], s[8:9]
; %bb.259:                              ;   in Loop: Header=BB371_10 Depth=1
	v_or_b32_e32 v1, 0x10000, v0
	v_cmp_eq_u32_sdwa s[8:9], v0, v37 src0_sel:WORD_0 src1_sel:DWORD
	v_cndmask_b32_e64 v53, v1, v0, s[8:9]
; %bb.260:                              ;   in Loop: Header=BB371_10 Depth=1
	s_or_b64 exec, exec, s[28:29]
	v_lshrrev_b16_e32 v30, 8, v28
	v_cmp_ne_u16_e64 s[8:9], 0, v30
	v_mov_b32_e32 v0, 0
	s_and_saveexec_b64 s[28:29], s[8:9]
	s_cbranch_execz .LBB371_266
; %bb.261:                              ;   in Loop: Header=BB371_10 Depth=1
	v_cmp_ne_u16_e64 s[8:9], s21, v30
	v_bfrev_b32_e32 v0, 1
	s_and_saveexec_b64 s[30:31], s[8:9]
	s_cbranch_execz .LBB371_265
; %bb.262:                              ;   in Loop: Header=BB371_10 Depth=1
	v_and_b32_e32 v1, 0x7f, v30
	v_cmp_ne_u32_e64 s[8:9], s37, v1
	v_mov_b32_e32 v0, 0x7f800001
	s_and_saveexec_b64 s[34:35], s[8:9]
	s_cbranch_execz .LBB371_264
; %bb.263:                              ;   in Loop: Header=BB371_10 Depth=1
	v_and_b32_e32 v2, 7, v30
	v_ffbh_u32_e32 v0, v2
	v_min_u32_e32 v7, 32, v0
	v_subrev_u32_e32 v0, 28, v7
	v_lshrrev_b32_e32 v3, 3, v1
	v_cmp_gt_u32_e64 s[8:9], 8, v1
	v_lshlrev_b64 v[0:1], v0, v[30:31]
	v_sub_u32_e32 v1, 29, v7
	v_and_b32_e32 v0, 7, v0
	v_cndmask_b32_e64 v1, v3, v1, s[8:9]
	v_cndmask_b32_e64 v0, v2, v0, s[8:9]
	v_lshlrev_b32_e32 v2, 16, v28
	v_lshlrev_b32_e32 v0, 20, v0
	v_and_b32_e32 v2, 0x80000000, v2
	v_lshl_add_u32 v1, v1, 23, v5
	v_or3_b32 v0, v2, v1, v0
.LBB371_264:                            ;   in Loop: Header=BB371_10 Depth=1
	s_or_b64 exec, exec, s[34:35]
.LBB371_265:                            ;   in Loop: Header=BB371_10 Depth=1
	s_or_b64 exec, exec, s[30:31]
.LBB371_266:                            ;   in Loop: Header=BB371_10 Depth=1
	s_or_b64 exec, exec, s[28:29]
	v_mul_f32_e32 v0, v6, v0
	v_and_b32_e32 v1, 0x7f800000, v0
	v_cmp_ne_u32_e64 s[8:9], s38, v1
                                        ; implicit-def: $vgpr54
	s_and_saveexec_b64 s[28:29], s[8:9]
	s_xor_b64 s[8:9], exec, s[28:29]
; %bb.267:                              ;   in Loop: Header=BB371_10 Depth=1
	v_bfe_u32 v1, v0, 16, 1
	v_add3_u32 v54, v0, v1, s39
                                        ; implicit-def: $vgpr0
; %bb.268:                              ;   in Loop: Header=BB371_10 Depth=1
	s_andn2_saveexec_b64 s[28:29], s[8:9]
; %bb.269:                              ;   in Loop: Header=BB371_10 Depth=1
	v_or_b32_e32 v1, 0x10000, v0
	v_cmp_eq_u32_sdwa s[8:9], v0, v37 src0_sel:WORD_0 src1_sel:DWORD
	v_cndmask_b32_e64 v54, v1, v0, s[8:9]
; %bb.270:                              ;   in Loop: Header=BB371_10 Depth=1
	s_or_b64 exec, exec, s[28:29]
	flat_load_ushort v0, v[20:21] offset:1544
	s_waitcnt vmcnt(0) lgkmcnt(0)
	v_and_b32_e32 v28, 0xffff, v0
	v_cmp_ne_u16_sdwa s[8:9], v0, v37 src0_sel:BYTE_0 src1_sel:DWORD
	v_mov_b32_e32 v0, 0
	s_and_saveexec_b64 s[28:29], s[8:9]
	s_cbranch_execz .LBB371_276
; %bb.271:                              ;   in Loop: Header=BB371_10 Depth=1
	v_cmp_ne_u16_sdwa s[8:9], v28, s21 src0_sel:BYTE_0 src1_sel:DWORD
	v_bfrev_b32_e32 v0, 1
	s_and_saveexec_b64 s[30:31], s[8:9]
	s_cbranch_execz .LBB371_275
; %bb.272:                              ;   in Loop: Header=BB371_10 Depth=1
	v_and_b32_e32 v1, 0x7f, v28
	v_cmp_ne_u32_e64 s[8:9], s37, v1
	v_mov_b32_e32 v0, 0x7f800001
	s_and_saveexec_b64 s[34:35], s[8:9]
	s_cbranch_execz .LBB371_274
; %bb.273:                              ;   in Loop: Header=BB371_10 Depth=1
	v_and_b32_e32 v2, 7, v28
	v_ffbh_u32_e32 v0, v2
	v_min_u32_e32 v7, 32, v0
	v_subrev_u32_e32 v0, 28, v7
	v_lshrrev_b32_e32 v3, 3, v1
	v_cmp_gt_u32_e64 s[8:9], 8, v1
	v_lshlrev_b64 v[0:1], v0, v[28:29]
	v_sub_u32_e32 v1, 29, v7
	v_and_b32_e32 v0, 7, v0
	v_cndmask_b32_e64 v1, v3, v1, s[8:9]
	v_cndmask_b32_e64 v0, v2, v0, s[8:9]
	v_lshlrev_b32_e32 v2, 24, v28
	v_lshlrev_b32_e32 v0, 20, v0
	v_and_b32_e32 v2, 0x80000000, v2
	v_lshl_add_u32 v1, v1, 23, v5
	v_or3_b32 v0, v2, v1, v0
.LBB371_274:                            ;   in Loop: Header=BB371_10 Depth=1
	s_or_b64 exec, exec, s[34:35]
.LBB371_275:                            ;   in Loop: Header=BB371_10 Depth=1
	s_or_b64 exec, exec, s[30:31]
.LBB371_276:                            ;   in Loop: Header=BB371_10 Depth=1
	s_or_b64 exec, exec, s[28:29]
	v_mul_f32_e32 v0, v6, v0
	v_and_b32_e32 v1, 0x7f800000, v0
	v_cmp_ne_u32_e64 s[8:9], s38, v1
                                        ; implicit-def: $vgpr55
	s_and_saveexec_b64 s[28:29], s[8:9]
	s_xor_b64 s[8:9], exec, s[28:29]
; %bb.277:                              ;   in Loop: Header=BB371_10 Depth=1
	v_bfe_u32 v1, v0, 16, 1
	v_add3_u32 v55, v0, v1, s39
                                        ; implicit-def: $vgpr0
; %bb.278:                              ;   in Loop: Header=BB371_10 Depth=1
	s_andn2_saveexec_b64 s[28:29], s[8:9]
; %bb.279:                              ;   in Loop: Header=BB371_10 Depth=1
	v_or_b32_e32 v1, 0x10000, v0
	v_cmp_eq_u32_sdwa s[8:9], v0, v37 src0_sel:WORD_0 src1_sel:DWORD
	v_cndmask_b32_e64 v55, v1, v0, s[8:9]
; %bb.280:                              ;   in Loop: Header=BB371_10 Depth=1
	s_or_b64 exec, exec, s[28:29]
	v_lshrrev_b16_e32 v30, 8, v28
	v_cmp_ne_u16_e64 s[8:9], 0, v30
	v_mov_b32_e32 v0, 0
	s_and_saveexec_b64 s[28:29], s[8:9]
	s_cbranch_execz .LBB371_286
; %bb.281:                              ;   in Loop: Header=BB371_10 Depth=1
	v_cmp_ne_u16_e64 s[8:9], s21, v30
	v_bfrev_b32_e32 v0, 1
	s_and_saveexec_b64 s[30:31], s[8:9]
	s_cbranch_execz .LBB371_285
; %bb.282:                              ;   in Loop: Header=BB371_10 Depth=1
	v_and_b32_e32 v1, 0x7f, v30
	v_cmp_ne_u32_e64 s[8:9], s37, v1
	v_mov_b32_e32 v0, 0x7f800001
	s_and_saveexec_b64 s[34:35], s[8:9]
	s_cbranch_execz .LBB371_284
; %bb.283:                              ;   in Loop: Header=BB371_10 Depth=1
	v_and_b32_e32 v2, 7, v30
	v_ffbh_u32_e32 v0, v2
	v_min_u32_e32 v7, 32, v0
	v_subrev_u32_e32 v0, 28, v7
	v_lshrrev_b32_e32 v3, 3, v1
	v_cmp_gt_u32_e64 s[8:9], 8, v1
	v_lshlrev_b64 v[0:1], v0, v[30:31]
	v_sub_u32_e32 v1, 29, v7
	v_and_b32_e32 v0, 7, v0
	v_cndmask_b32_e64 v1, v3, v1, s[8:9]
	v_cndmask_b32_e64 v0, v2, v0, s[8:9]
	v_lshlrev_b32_e32 v2, 16, v28
	v_lshlrev_b32_e32 v0, 20, v0
	v_and_b32_e32 v2, 0x80000000, v2
	v_lshl_add_u32 v1, v1, 23, v5
	v_or3_b32 v0, v2, v1, v0
.LBB371_284:                            ;   in Loop: Header=BB371_10 Depth=1
	s_or_b64 exec, exec, s[34:35]
.LBB371_285:                            ;   in Loop: Header=BB371_10 Depth=1
	s_or_b64 exec, exec, s[30:31]
.LBB371_286:                            ;   in Loop: Header=BB371_10 Depth=1
	s_or_b64 exec, exec, s[28:29]
	v_mul_f32_e32 v0, v6, v0
	v_and_b32_e32 v1, 0x7f800000, v0
	v_cmp_ne_u32_e64 s[8:9], s38, v1
                                        ; implicit-def: $vgpr40
	s_and_saveexec_b64 s[28:29], s[8:9]
	s_xor_b64 s[8:9], exec, s[28:29]
; %bb.287:                              ;   in Loop: Header=BB371_10 Depth=1
	v_bfe_u32 v1, v0, 16, 1
	v_add3_u32 v40, v0, v1, s39
                                        ; implicit-def: $vgpr0
; %bb.288:                              ;   in Loop: Header=BB371_10 Depth=1
	s_andn2_saveexec_b64 s[28:29], s[8:9]
; %bb.289:                              ;   in Loop: Header=BB371_10 Depth=1
	v_or_b32_e32 v1, 0x10000, v0
	v_cmp_eq_u32_sdwa s[8:9], v0, v37 src0_sel:WORD_0 src1_sel:DWORD
	v_cndmask_b32_e64 v40, v1, v0, s[8:9]
; %bb.290:                              ;   in Loop: Header=BB371_10 Depth=1
	s_or_b64 exec, exec, s[28:29]
	flat_load_ushort v0, v[20:21] offset:1792
	s_waitcnt vmcnt(0) lgkmcnt(0)
	v_and_b32_e32 v28, 0xffff, v0
	v_cmp_ne_u16_sdwa s[8:9], v0, v37 src0_sel:BYTE_0 src1_sel:DWORD
	v_mov_b32_e32 v0, 0
	s_and_saveexec_b64 s[28:29], s[8:9]
	s_cbranch_execz .LBB371_296
; %bb.291:                              ;   in Loop: Header=BB371_10 Depth=1
	v_cmp_ne_u16_sdwa s[8:9], v28, s21 src0_sel:BYTE_0 src1_sel:DWORD
	v_bfrev_b32_e32 v0, 1
	s_and_saveexec_b64 s[30:31], s[8:9]
	s_cbranch_execz .LBB371_295
; %bb.292:                              ;   in Loop: Header=BB371_10 Depth=1
	v_and_b32_e32 v1, 0x7f, v28
	v_cmp_ne_u32_e64 s[8:9], s37, v1
	v_mov_b32_e32 v0, 0x7f800001
	s_and_saveexec_b64 s[34:35], s[8:9]
	s_cbranch_execz .LBB371_294
; %bb.293:                              ;   in Loop: Header=BB371_10 Depth=1
	v_and_b32_e32 v2, 7, v28
	v_ffbh_u32_e32 v0, v2
	v_min_u32_e32 v7, 32, v0
	v_subrev_u32_e32 v0, 28, v7
	v_lshrrev_b32_e32 v3, 3, v1
	v_cmp_gt_u32_e64 s[8:9], 8, v1
	v_lshlrev_b64 v[0:1], v0, v[28:29]
	v_sub_u32_e32 v1, 29, v7
	v_and_b32_e32 v0, 7, v0
	v_cndmask_b32_e64 v1, v3, v1, s[8:9]
	v_cndmask_b32_e64 v0, v2, v0, s[8:9]
	v_lshlrev_b32_e32 v2, 24, v28
	v_lshlrev_b32_e32 v0, 20, v0
	v_and_b32_e32 v2, 0x80000000, v2
	v_lshl_add_u32 v1, v1, 23, v5
	v_or3_b32 v0, v2, v1, v0
.LBB371_294:                            ;   in Loop: Header=BB371_10 Depth=1
	s_or_b64 exec, exec, s[34:35]
.LBB371_295:                            ;   in Loop: Header=BB371_10 Depth=1
	s_or_b64 exec, exec, s[30:31]
.LBB371_296:                            ;   in Loop: Header=BB371_10 Depth=1
	s_or_b64 exec, exec, s[28:29]
	v_mul_f32_e32 v0, v6, v0
	v_and_b32_e32 v1, 0x7f800000, v0
	v_cmp_ne_u32_e64 s[8:9], s38, v1
                                        ; implicit-def: $vgpr41
	s_and_saveexec_b64 s[28:29], s[8:9]
	s_xor_b64 s[8:9], exec, s[28:29]
; %bb.297:                              ;   in Loop: Header=BB371_10 Depth=1
	v_bfe_u32 v1, v0, 16, 1
	v_add3_u32 v41, v0, v1, s39
                                        ; implicit-def: $vgpr0
; %bb.298:                              ;   in Loop: Header=BB371_10 Depth=1
	s_andn2_saveexec_b64 s[28:29], s[8:9]
; %bb.299:                              ;   in Loop: Header=BB371_10 Depth=1
	v_or_b32_e32 v1, 0x10000, v0
	v_cmp_eq_u32_sdwa s[8:9], v0, v37 src0_sel:WORD_0 src1_sel:DWORD
	v_cndmask_b32_e64 v41, v1, v0, s[8:9]
; %bb.300:                              ;   in Loop: Header=BB371_10 Depth=1
	s_or_b64 exec, exec, s[28:29]
	v_lshrrev_b16_e32 v30, 8, v28
	v_cmp_ne_u16_e64 s[8:9], 0, v30
	v_mov_b32_e32 v0, 0
	s_and_saveexec_b64 s[28:29], s[8:9]
	s_cbranch_execz .LBB371_306
; %bb.301:                              ;   in Loop: Header=BB371_10 Depth=1
	v_cmp_ne_u16_e64 s[8:9], s21, v30
	v_bfrev_b32_e32 v0, 1
	s_and_saveexec_b64 s[30:31], s[8:9]
	s_cbranch_execz .LBB371_305
; %bb.302:                              ;   in Loop: Header=BB371_10 Depth=1
	v_and_b32_e32 v1, 0x7f, v30
	v_cmp_ne_u32_e64 s[8:9], s37, v1
	v_mov_b32_e32 v0, 0x7f800001
	s_and_saveexec_b64 s[34:35], s[8:9]
	s_cbranch_execz .LBB371_304
; %bb.303:                              ;   in Loop: Header=BB371_10 Depth=1
	v_and_b32_e32 v2, 7, v30
	v_ffbh_u32_e32 v0, v2
	v_min_u32_e32 v7, 32, v0
	v_subrev_u32_e32 v0, 28, v7
	v_lshrrev_b32_e32 v3, 3, v1
	v_cmp_gt_u32_e64 s[8:9], 8, v1
	v_lshlrev_b64 v[0:1], v0, v[30:31]
	v_sub_u32_e32 v1, 29, v7
	v_and_b32_e32 v0, 7, v0
	v_cndmask_b32_e64 v1, v3, v1, s[8:9]
	v_cndmask_b32_e64 v0, v2, v0, s[8:9]
	v_lshlrev_b32_e32 v2, 16, v28
	v_lshlrev_b32_e32 v0, 20, v0
	v_and_b32_e32 v2, 0x80000000, v2
	v_lshl_add_u32 v1, v1, 23, v5
	v_or3_b32 v0, v2, v1, v0
.LBB371_304:                            ;   in Loop: Header=BB371_10 Depth=1
	s_or_b64 exec, exec, s[34:35]
.LBB371_305:                            ;   in Loop: Header=BB371_10 Depth=1
	s_or_b64 exec, exec, s[30:31]
.LBB371_306:                            ;   in Loop: Header=BB371_10 Depth=1
	s_or_b64 exec, exec, s[28:29]
	v_mul_f32_e32 v0, v6, v0
	v_and_b32_e32 v1, 0x7f800000, v0
	v_cmp_ne_u32_e64 s[8:9], s38, v1
                                        ; implicit-def: $vgpr42
	s_and_saveexec_b64 s[28:29], s[8:9]
	s_xor_b64 s[8:9], exec, s[28:29]
; %bb.307:                              ;   in Loop: Header=BB371_10 Depth=1
	v_bfe_u32 v1, v0, 16, 1
	v_add3_u32 v42, v0, v1, s39
                                        ; implicit-def: $vgpr0
; %bb.308:                              ;   in Loop: Header=BB371_10 Depth=1
	s_andn2_saveexec_b64 s[28:29], s[8:9]
; %bb.309:                              ;   in Loop: Header=BB371_10 Depth=1
	v_or_b32_e32 v1, 0x10000, v0
	v_cmp_eq_u32_sdwa s[8:9], v0, v37 src0_sel:WORD_0 src1_sel:DWORD
	v_cndmask_b32_e64 v42, v1, v0, s[8:9]
; %bb.310:                              ;   in Loop: Header=BB371_10 Depth=1
	s_or_b64 exec, exec, s[28:29]
	flat_load_ushort v0, v[20:21] offset:1800
	s_waitcnt vmcnt(0) lgkmcnt(0)
	v_and_b32_e32 v28, 0xffff, v0
	v_cmp_ne_u16_sdwa s[8:9], v0, v37 src0_sel:BYTE_0 src1_sel:DWORD
	v_mov_b32_e32 v0, 0
	s_and_saveexec_b64 s[28:29], s[8:9]
	s_cbranch_execz .LBB371_316
; %bb.311:                              ;   in Loop: Header=BB371_10 Depth=1
	v_cmp_ne_u16_sdwa s[8:9], v28, s21 src0_sel:BYTE_0 src1_sel:DWORD
	v_bfrev_b32_e32 v0, 1
	s_and_saveexec_b64 s[30:31], s[8:9]
	s_cbranch_execz .LBB371_315
; %bb.312:                              ;   in Loop: Header=BB371_10 Depth=1
	v_and_b32_e32 v1, 0x7f, v28
	v_cmp_ne_u32_e64 s[8:9], s37, v1
	v_mov_b32_e32 v0, 0x7f800001
	s_and_saveexec_b64 s[34:35], s[8:9]
	s_cbranch_execz .LBB371_314
; %bb.313:                              ;   in Loop: Header=BB371_10 Depth=1
	v_and_b32_e32 v2, 7, v28
	v_ffbh_u32_e32 v0, v2
	v_min_u32_e32 v7, 32, v0
	v_subrev_u32_e32 v0, 28, v7
	v_lshrrev_b32_e32 v3, 3, v1
	v_cmp_gt_u32_e64 s[8:9], 8, v1
	v_lshlrev_b64 v[0:1], v0, v[28:29]
	v_sub_u32_e32 v1, 29, v7
	v_and_b32_e32 v0, 7, v0
	v_cndmask_b32_e64 v1, v3, v1, s[8:9]
	v_cndmask_b32_e64 v0, v2, v0, s[8:9]
	v_lshlrev_b32_e32 v2, 24, v28
	v_lshlrev_b32_e32 v0, 20, v0
	v_and_b32_e32 v2, 0x80000000, v2
	v_lshl_add_u32 v1, v1, 23, v5
	v_or3_b32 v0, v2, v1, v0
.LBB371_314:                            ;   in Loop: Header=BB371_10 Depth=1
	s_or_b64 exec, exec, s[34:35]
.LBB371_315:                            ;   in Loop: Header=BB371_10 Depth=1
	s_or_b64 exec, exec, s[30:31]
.LBB371_316:                            ;   in Loop: Header=BB371_10 Depth=1
	s_or_b64 exec, exec, s[28:29]
	v_mul_f32_e32 v0, v6, v0
	v_and_b32_e32 v1, 0x7f800000, v0
	v_cmp_ne_u32_e64 s[8:9], s38, v1
                                        ; implicit-def: $vgpr43
	s_and_saveexec_b64 s[28:29], s[8:9]
	s_xor_b64 s[8:9], exec, s[28:29]
; %bb.317:                              ;   in Loop: Header=BB371_10 Depth=1
	v_bfe_u32 v1, v0, 16, 1
	v_add3_u32 v43, v0, v1, s39
                                        ; implicit-def: $vgpr0
; %bb.318:                              ;   in Loop: Header=BB371_10 Depth=1
	s_andn2_saveexec_b64 s[28:29], s[8:9]
; %bb.319:                              ;   in Loop: Header=BB371_10 Depth=1
	v_or_b32_e32 v1, 0x10000, v0
	v_cmp_eq_u32_sdwa s[8:9], v0, v37 src0_sel:WORD_0 src1_sel:DWORD
	v_cndmask_b32_e64 v43, v1, v0, s[8:9]
; %bb.320:                              ;   in Loop: Header=BB371_10 Depth=1
	s_or_b64 exec, exec, s[28:29]
	v_lshrrev_b16_e32 v30, 8, v28
	v_cmp_ne_u16_e64 s[8:9], 0, v30
	v_mov_b32_e32 v0, 0
	s_and_saveexec_b64 s[28:29], s[8:9]
	s_cbranch_execz .LBB371_326
; %bb.321:                              ;   in Loop: Header=BB371_10 Depth=1
	v_cmp_ne_u16_e64 s[8:9], s21, v30
	v_bfrev_b32_e32 v0, 1
	s_and_saveexec_b64 s[30:31], s[8:9]
	s_cbranch_execz .LBB371_325
; %bb.322:                              ;   in Loop: Header=BB371_10 Depth=1
	v_and_b32_e32 v1, 0x7f, v30
	v_cmp_ne_u32_e64 s[8:9], s37, v1
	v_mov_b32_e32 v0, 0x7f800001
	s_and_saveexec_b64 s[34:35], s[8:9]
	s_cbranch_execz .LBB371_324
; %bb.323:                              ;   in Loop: Header=BB371_10 Depth=1
	v_and_b32_e32 v2, 7, v30
	v_ffbh_u32_e32 v0, v2
	v_min_u32_e32 v7, 32, v0
	v_subrev_u32_e32 v0, 28, v7
	v_lshrrev_b32_e32 v3, 3, v1
	v_cmp_gt_u32_e64 s[8:9], 8, v1
	v_lshlrev_b64 v[0:1], v0, v[30:31]
	v_sub_u32_e32 v1, 29, v7
	v_and_b32_e32 v0, 7, v0
	v_cndmask_b32_e64 v1, v3, v1, s[8:9]
	v_cndmask_b32_e64 v0, v2, v0, s[8:9]
	v_lshlrev_b32_e32 v2, 16, v28
	v_lshlrev_b32_e32 v0, 20, v0
	v_and_b32_e32 v2, 0x80000000, v2
	v_lshl_add_u32 v1, v1, 23, v5
	v_or3_b32 v0, v2, v1, v0
.LBB371_324:                            ;   in Loop: Header=BB371_10 Depth=1
	s_or_b64 exec, exec, s[34:35]
.LBB371_325:                            ;   in Loop: Header=BB371_10 Depth=1
	s_or_b64 exec, exec, s[30:31]
.LBB371_326:                            ;   in Loop: Header=BB371_10 Depth=1
	s_or_b64 exec, exec, s[28:29]
	v_mul_f32_e32 v0, v6, v0
	v_and_b32_e32 v1, 0x7f800000, v0
	v_cmp_ne_u32_e64 s[8:9], s38, v1
                                        ; implicit-def: $vgpr44
	s_and_saveexec_b64 s[28:29], s[8:9]
	s_xor_b64 s[8:9], exec, s[28:29]
; %bb.327:                              ;   in Loop: Header=BB371_10 Depth=1
	v_bfe_u32 v1, v0, 16, 1
	v_add3_u32 v44, v0, v1, s39
                                        ; implicit-def: $vgpr0
; %bb.328:                              ;   in Loop: Header=BB371_10 Depth=1
	s_andn2_saveexec_b64 s[28:29], s[8:9]
; %bb.329:                              ;   in Loop: Header=BB371_10 Depth=1
	v_or_b32_e32 v1, 0x10000, v0
	v_cmp_eq_u32_sdwa s[8:9], v0, v37 src0_sel:WORD_0 src1_sel:DWORD
	v_cndmask_b32_e64 v44, v1, v0, s[8:9]
; %bb.330:                              ;   in Loop: Header=BB371_10 Depth=1
	s_or_b64 exec, exec, s[28:29]
	flat_load_ushort v0, v[20:21] offset:2048
	s_waitcnt vmcnt(0) lgkmcnt(0)
	v_and_b32_e32 v28, 0xffff, v0
	v_cmp_ne_u16_sdwa s[8:9], v0, v37 src0_sel:BYTE_0 src1_sel:DWORD
	v_mov_b32_e32 v0, 0
	s_and_saveexec_b64 s[28:29], s[8:9]
	s_cbranch_execz .LBB371_336
; %bb.331:                              ;   in Loop: Header=BB371_10 Depth=1
	v_cmp_ne_u16_sdwa s[8:9], v28, s21 src0_sel:BYTE_0 src1_sel:DWORD
	v_bfrev_b32_e32 v0, 1
	s_and_saveexec_b64 s[30:31], s[8:9]
	s_cbranch_execz .LBB371_335
; %bb.332:                              ;   in Loop: Header=BB371_10 Depth=1
	v_and_b32_e32 v1, 0x7f, v28
	v_cmp_ne_u32_e64 s[8:9], s37, v1
	v_mov_b32_e32 v0, 0x7f800001
	s_and_saveexec_b64 s[34:35], s[8:9]
	s_cbranch_execz .LBB371_334
; %bb.333:                              ;   in Loop: Header=BB371_10 Depth=1
	v_and_b32_e32 v2, 7, v28
	v_ffbh_u32_e32 v0, v2
	v_min_u32_e32 v7, 32, v0
	v_subrev_u32_e32 v0, 28, v7
	v_lshrrev_b32_e32 v3, 3, v1
	v_cmp_gt_u32_e64 s[8:9], 8, v1
	v_lshlrev_b64 v[0:1], v0, v[28:29]
	v_sub_u32_e32 v1, 29, v7
	v_and_b32_e32 v0, 7, v0
	v_cndmask_b32_e64 v1, v3, v1, s[8:9]
	v_cndmask_b32_e64 v0, v2, v0, s[8:9]
	v_lshlrev_b32_e32 v2, 24, v28
	v_lshlrev_b32_e32 v0, 20, v0
	v_and_b32_e32 v2, 0x80000000, v2
	v_lshl_add_u32 v1, v1, 23, v5
	v_or3_b32 v0, v2, v1, v0
.LBB371_334:                            ;   in Loop: Header=BB371_10 Depth=1
	s_or_b64 exec, exec, s[34:35]
.LBB371_335:                            ;   in Loop: Header=BB371_10 Depth=1
	s_or_b64 exec, exec, s[30:31]
.LBB371_336:                            ;   in Loop: Header=BB371_10 Depth=1
	s_or_b64 exec, exec, s[28:29]
	v_mul_f32_e32 v0, v6, v0
	v_and_b32_e32 v1, 0x7f800000, v0
	v_cmp_ne_u32_e64 s[8:9], s38, v1
                                        ; implicit-def: $vgpr45
	s_and_saveexec_b64 s[28:29], s[8:9]
	s_xor_b64 s[8:9], exec, s[28:29]
; %bb.337:                              ;   in Loop: Header=BB371_10 Depth=1
	v_bfe_u32 v1, v0, 16, 1
	v_add3_u32 v45, v0, v1, s39
                                        ; implicit-def: $vgpr0
; %bb.338:                              ;   in Loop: Header=BB371_10 Depth=1
	s_andn2_saveexec_b64 s[28:29], s[8:9]
; %bb.339:                              ;   in Loop: Header=BB371_10 Depth=1
	v_or_b32_e32 v1, 0x10000, v0
	v_cmp_eq_u32_sdwa s[8:9], v0, v37 src0_sel:WORD_0 src1_sel:DWORD
	v_cndmask_b32_e64 v45, v1, v0, s[8:9]
; %bb.340:                              ;   in Loop: Header=BB371_10 Depth=1
	s_or_b64 exec, exec, s[28:29]
	v_lshrrev_b16_e32 v30, 8, v28
	v_cmp_ne_u16_e64 s[8:9], 0, v30
	v_mov_b32_e32 v0, 0
	s_and_saveexec_b64 s[28:29], s[8:9]
	s_cbranch_execz .LBB371_346
; %bb.341:                              ;   in Loop: Header=BB371_10 Depth=1
	v_cmp_ne_u16_e64 s[8:9], s21, v30
	v_bfrev_b32_e32 v0, 1
	s_and_saveexec_b64 s[30:31], s[8:9]
	s_cbranch_execz .LBB371_345
; %bb.342:                              ;   in Loop: Header=BB371_10 Depth=1
	v_and_b32_e32 v1, 0x7f, v30
	v_cmp_ne_u32_e64 s[8:9], s37, v1
	v_mov_b32_e32 v0, 0x7f800001
	s_and_saveexec_b64 s[34:35], s[8:9]
	s_cbranch_execz .LBB371_344
; %bb.343:                              ;   in Loop: Header=BB371_10 Depth=1
	v_and_b32_e32 v2, 7, v30
	v_ffbh_u32_e32 v0, v2
	v_min_u32_e32 v7, 32, v0
	v_subrev_u32_e32 v0, 28, v7
	v_lshrrev_b32_e32 v3, 3, v1
	v_cmp_gt_u32_e64 s[8:9], 8, v1
	v_lshlrev_b64 v[0:1], v0, v[30:31]
	v_sub_u32_e32 v1, 29, v7
	v_and_b32_e32 v0, 7, v0
	v_cndmask_b32_e64 v1, v3, v1, s[8:9]
	v_cndmask_b32_e64 v0, v2, v0, s[8:9]
	v_lshlrev_b32_e32 v2, 16, v28
	v_lshlrev_b32_e32 v0, 20, v0
	v_and_b32_e32 v2, 0x80000000, v2
	v_lshl_add_u32 v1, v1, 23, v5
	v_or3_b32 v0, v2, v1, v0
.LBB371_344:                            ;   in Loop: Header=BB371_10 Depth=1
	s_or_b64 exec, exec, s[34:35]
.LBB371_345:                            ;   in Loop: Header=BB371_10 Depth=1
	s_or_b64 exec, exec, s[30:31]
.LBB371_346:                            ;   in Loop: Header=BB371_10 Depth=1
	s_or_b64 exec, exec, s[28:29]
	v_mul_f32_e32 v0, v6, v0
	v_and_b32_e32 v1, 0x7f800000, v0
	v_cmp_ne_u32_e64 s[8:9], s38, v1
                                        ; implicit-def: $vgpr46
	s_and_saveexec_b64 s[28:29], s[8:9]
	s_xor_b64 s[8:9], exec, s[28:29]
; %bb.347:                              ;   in Loop: Header=BB371_10 Depth=1
	v_bfe_u32 v1, v0, 16, 1
	v_add3_u32 v46, v0, v1, s39
                                        ; implicit-def: $vgpr0
; %bb.348:                              ;   in Loop: Header=BB371_10 Depth=1
	s_andn2_saveexec_b64 s[28:29], s[8:9]
; %bb.349:                              ;   in Loop: Header=BB371_10 Depth=1
	v_or_b32_e32 v1, 0x10000, v0
	v_cmp_eq_u32_sdwa s[8:9], v0, v37 src0_sel:WORD_0 src1_sel:DWORD
	v_cndmask_b32_e64 v46, v1, v0, s[8:9]
; %bb.350:                              ;   in Loop: Header=BB371_10 Depth=1
	s_or_b64 exec, exec, s[28:29]
	flat_load_ushort v0, v[20:21] offset:2056
	s_waitcnt vmcnt(0) lgkmcnt(0)
	v_and_b32_e32 v28, 0xffff, v0
	v_cmp_ne_u16_sdwa s[8:9], v0, v37 src0_sel:BYTE_0 src1_sel:DWORD
	v_mov_b32_e32 v0, 0
	s_and_saveexec_b64 s[28:29], s[8:9]
	s_cbranch_execz .LBB371_356
; %bb.351:                              ;   in Loop: Header=BB371_10 Depth=1
	v_cmp_ne_u16_sdwa s[8:9], v28, s21 src0_sel:BYTE_0 src1_sel:DWORD
	v_bfrev_b32_e32 v0, 1
	s_and_saveexec_b64 s[30:31], s[8:9]
	s_cbranch_execz .LBB371_355
; %bb.352:                              ;   in Loop: Header=BB371_10 Depth=1
	v_and_b32_e32 v1, 0x7f, v28
	v_cmp_ne_u32_e64 s[8:9], s37, v1
	v_mov_b32_e32 v0, 0x7f800001
	s_and_saveexec_b64 s[34:35], s[8:9]
	s_cbranch_execz .LBB371_354
; %bb.353:                              ;   in Loop: Header=BB371_10 Depth=1
	v_and_b32_e32 v2, 7, v28
	v_ffbh_u32_e32 v0, v2
	v_min_u32_e32 v7, 32, v0
	v_subrev_u32_e32 v0, 28, v7
	v_lshrrev_b32_e32 v3, 3, v1
	v_cmp_gt_u32_e64 s[8:9], 8, v1
	v_lshlrev_b64 v[0:1], v0, v[28:29]
	v_sub_u32_e32 v1, 29, v7
	v_and_b32_e32 v0, 7, v0
	v_cndmask_b32_e64 v1, v3, v1, s[8:9]
	v_cndmask_b32_e64 v0, v2, v0, s[8:9]
	v_lshlrev_b32_e32 v2, 24, v28
	v_lshlrev_b32_e32 v0, 20, v0
	v_and_b32_e32 v2, 0x80000000, v2
	v_lshl_add_u32 v1, v1, 23, v5
	v_or3_b32 v0, v2, v1, v0
.LBB371_354:                            ;   in Loop: Header=BB371_10 Depth=1
	s_or_b64 exec, exec, s[34:35]
.LBB371_355:                            ;   in Loop: Header=BB371_10 Depth=1
	s_or_b64 exec, exec, s[30:31]
.LBB371_356:                            ;   in Loop: Header=BB371_10 Depth=1
	s_or_b64 exec, exec, s[28:29]
	v_mul_f32_e32 v0, v6, v0
	v_and_b32_e32 v1, 0x7f800000, v0
	v_cmp_ne_u32_e64 s[8:9], s38, v1
                                        ; implicit-def: $vgpr47
	s_and_saveexec_b64 s[28:29], s[8:9]
	s_xor_b64 s[8:9], exec, s[28:29]
; %bb.357:                              ;   in Loop: Header=BB371_10 Depth=1
	v_bfe_u32 v1, v0, 16, 1
	v_add3_u32 v47, v0, v1, s39
                                        ; implicit-def: $vgpr0
; %bb.358:                              ;   in Loop: Header=BB371_10 Depth=1
	s_andn2_saveexec_b64 s[28:29], s[8:9]
; %bb.359:                              ;   in Loop: Header=BB371_10 Depth=1
	v_or_b32_e32 v1, 0x10000, v0
	v_cmp_eq_u32_sdwa s[8:9], v0, v37 src0_sel:WORD_0 src1_sel:DWORD
	v_cndmask_b32_e64 v47, v1, v0, s[8:9]
; %bb.360:                              ;   in Loop: Header=BB371_10 Depth=1
	s_or_b64 exec, exec, s[28:29]
	v_lshrrev_b16_e32 v30, 8, v28
	v_cmp_ne_u16_e64 s[8:9], 0, v30
	v_mov_b32_e32 v0, 0
	s_and_saveexec_b64 s[28:29], s[8:9]
	s_cbranch_execz .LBB371_366
; %bb.361:                              ;   in Loop: Header=BB371_10 Depth=1
	v_cmp_ne_u16_e64 s[8:9], s21, v30
	v_bfrev_b32_e32 v0, 1
	s_and_saveexec_b64 s[30:31], s[8:9]
	s_cbranch_execz .LBB371_365
; %bb.362:                              ;   in Loop: Header=BB371_10 Depth=1
	v_and_b32_e32 v1, 0x7f, v30
	v_cmp_ne_u32_e64 s[8:9], s37, v1
	v_mov_b32_e32 v0, 0x7f800001
	s_and_saveexec_b64 s[34:35], s[8:9]
	s_cbranch_execz .LBB371_364
; %bb.363:                              ;   in Loop: Header=BB371_10 Depth=1
	v_and_b32_e32 v2, 7, v30
	v_ffbh_u32_e32 v0, v2
	v_min_u32_e32 v7, 32, v0
	v_subrev_u32_e32 v0, 28, v7
	v_lshrrev_b32_e32 v3, 3, v1
	v_cmp_gt_u32_e64 s[8:9], 8, v1
	v_lshlrev_b64 v[0:1], v0, v[30:31]
	v_sub_u32_e32 v1, 29, v7
	v_and_b32_e32 v0, 7, v0
	v_cndmask_b32_e64 v1, v3, v1, s[8:9]
	v_cndmask_b32_e64 v0, v2, v0, s[8:9]
	v_lshlrev_b32_e32 v2, 16, v28
	v_lshlrev_b32_e32 v0, 20, v0
	v_and_b32_e32 v2, 0x80000000, v2
	v_lshl_add_u32 v1, v1, 23, v5
	v_or3_b32 v0, v2, v1, v0
.LBB371_364:                            ;   in Loop: Header=BB371_10 Depth=1
	s_or_b64 exec, exec, s[34:35]
.LBB371_365:                            ;   in Loop: Header=BB371_10 Depth=1
	s_or_b64 exec, exec, s[30:31]
.LBB371_366:                            ;   in Loop: Header=BB371_10 Depth=1
	s_or_b64 exec, exec, s[28:29]
	v_mul_f32_e32 v0, v6, v0
	v_and_b32_e32 v1, 0x7f800000, v0
	v_cmp_ne_u32_e64 s[8:9], s38, v1
                                        ; implicit-def: $vgpr56
	s_and_saveexec_b64 s[28:29], s[8:9]
	s_xor_b64 s[8:9], exec, s[28:29]
; %bb.367:                              ;   in Loop: Header=BB371_10 Depth=1
	v_bfe_u32 v1, v0, 16, 1
	v_add3_u32 v56, v0, v1, s39
                                        ; implicit-def: $vgpr0
; %bb.368:                              ;   in Loop: Header=BB371_10 Depth=1
	s_andn2_saveexec_b64 s[28:29], s[8:9]
; %bb.369:                              ;   in Loop: Header=BB371_10 Depth=1
	v_or_b32_e32 v1, 0x10000, v0
	v_cmp_eq_u32_sdwa s[8:9], v0, v37 src0_sel:WORD_0 src1_sel:DWORD
	v_cndmask_b32_e64 v56, v1, v0, s[8:9]
; %bb.370:                              ;   in Loop: Header=BB371_10 Depth=1
	s_or_b64 exec, exec, s[28:29]
	flat_load_ushort v0, v[20:21] offset:2304
	s_waitcnt vmcnt(0) lgkmcnt(0)
	v_and_b32_e32 v28, 0xffff, v0
	v_cmp_ne_u16_sdwa s[8:9], v0, v37 src0_sel:BYTE_0 src1_sel:DWORD
	v_mov_b32_e32 v0, 0
	s_and_saveexec_b64 s[28:29], s[8:9]
	s_cbranch_execz .LBB371_376
; %bb.371:                              ;   in Loop: Header=BB371_10 Depth=1
	v_cmp_ne_u16_sdwa s[8:9], v28, s21 src0_sel:BYTE_0 src1_sel:DWORD
	v_bfrev_b32_e32 v0, 1
	s_and_saveexec_b64 s[30:31], s[8:9]
	s_cbranch_execz .LBB371_375
; %bb.372:                              ;   in Loop: Header=BB371_10 Depth=1
	v_and_b32_e32 v1, 0x7f, v28
	v_cmp_ne_u32_e64 s[8:9], s37, v1
	v_mov_b32_e32 v0, 0x7f800001
	s_and_saveexec_b64 s[34:35], s[8:9]
	s_cbranch_execz .LBB371_374
; %bb.373:                              ;   in Loop: Header=BB371_10 Depth=1
	v_and_b32_e32 v2, 7, v28
	v_ffbh_u32_e32 v0, v2
	v_min_u32_e32 v7, 32, v0
	v_subrev_u32_e32 v0, 28, v7
	v_lshrrev_b32_e32 v3, 3, v1
	v_cmp_gt_u32_e64 s[8:9], 8, v1
	v_lshlrev_b64 v[0:1], v0, v[28:29]
	v_sub_u32_e32 v1, 29, v7
	v_and_b32_e32 v0, 7, v0
	v_cndmask_b32_e64 v1, v3, v1, s[8:9]
	v_cndmask_b32_e64 v0, v2, v0, s[8:9]
	v_lshlrev_b32_e32 v2, 24, v28
	v_lshlrev_b32_e32 v0, 20, v0
	v_and_b32_e32 v2, 0x80000000, v2
	v_lshl_add_u32 v1, v1, 23, v5
	v_or3_b32 v0, v2, v1, v0
.LBB371_374:                            ;   in Loop: Header=BB371_10 Depth=1
	s_or_b64 exec, exec, s[34:35]
.LBB371_375:                            ;   in Loop: Header=BB371_10 Depth=1
	s_or_b64 exec, exec, s[30:31]
.LBB371_376:                            ;   in Loop: Header=BB371_10 Depth=1
	s_or_b64 exec, exec, s[28:29]
	v_mul_f32_e32 v0, v6, v0
	v_and_b32_e32 v1, 0x7f800000, v0
	v_cmp_ne_u32_e64 s[8:9], s38, v1
                                        ; implicit-def: $vgpr57
	s_and_saveexec_b64 s[28:29], s[8:9]
	s_xor_b64 s[8:9], exec, s[28:29]
; %bb.377:                              ;   in Loop: Header=BB371_10 Depth=1
	v_bfe_u32 v1, v0, 16, 1
	v_add3_u32 v57, v0, v1, s39
                                        ; implicit-def: $vgpr0
; %bb.378:                              ;   in Loop: Header=BB371_10 Depth=1
	s_andn2_saveexec_b64 s[28:29], s[8:9]
; %bb.379:                              ;   in Loop: Header=BB371_10 Depth=1
	v_or_b32_e32 v1, 0x10000, v0
	v_cmp_eq_u32_sdwa s[8:9], v0, v37 src0_sel:WORD_0 src1_sel:DWORD
	v_cndmask_b32_e64 v57, v1, v0, s[8:9]
; %bb.380:                              ;   in Loop: Header=BB371_10 Depth=1
	s_or_b64 exec, exec, s[28:29]
	v_lshrrev_b16_e32 v30, 8, v28
	v_cmp_ne_u16_e64 s[8:9], 0, v30
	v_mov_b32_e32 v0, 0
	s_and_saveexec_b64 s[28:29], s[8:9]
	s_cbranch_execz .LBB371_386
; %bb.381:                              ;   in Loop: Header=BB371_10 Depth=1
	v_cmp_ne_u16_e64 s[8:9], s21, v30
	v_bfrev_b32_e32 v0, 1
	s_and_saveexec_b64 s[30:31], s[8:9]
	s_cbranch_execz .LBB371_385
; %bb.382:                              ;   in Loop: Header=BB371_10 Depth=1
	v_and_b32_e32 v1, 0x7f, v30
	v_cmp_ne_u32_e64 s[8:9], s37, v1
	v_mov_b32_e32 v0, 0x7f800001
	s_and_saveexec_b64 s[34:35], s[8:9]
	s_cbranch_execz .LBB371_384
; %bb.383:                              ;   in Loop: Header=BB371_10 Depth=1
	v_and_b32_e32 v2, 7, v30
	v_ffbh_u32_e32 v0, v2
	v_min_u32_e32 v7, 32, v0
	v_subrev_u32_e32 v0, 28, v7
	v_lshrrev_b32_e32 v3, 3, v1
	v_cmp_gt_u32_e64 s[8:9], 8, v1
	v_lshlrev_b64 v[0:1], v0, v[30:31]
	v_sub_u32_e32 v1, 29, v7
	v_and_b32_e32 v0, 7, v0
	v_cndmask_b32_e64 v1, v3, v1, s[8:9]
	v_cndmask_b32_e64 v0, v2, v0, s[8:9]
	v_lshlrev_b32_e32 v2, 16, v28
	v_lshlrev_b32_e32 v0, 20, v0
	v_and_b32_e32 v2, 0x80000000, v2
	v_lshl_add_u32 v1, v1, 23, v5
	v_or3_b32 v0, v2, v1, v0
.LBB371_384:                            ;   in Loop: Header=BB371_10 Depth=1
	s_or_b64 exec, exec, s[34:35]
.LBB371_385:                            ;   in Loop: Header=BB371_10 Depth=1
	s_or_b64 exec, exec, s[30:31]
.LBB371_386:                            ;   in Loop: Header=BB371_10 Depth=1
	s_or_b64 exec, exec, s[28:29]
	v_mul_f32_e32 v0, v6, v0
	v_and_b32_e32 v1, 0x7f800000, v0
	v_cmp_ne_u32_e64 s[8:9], s38, v1
                                        ; implicit-def: $vgpr59
	s_and_saveexec_b64 s[28:29], s[8:9]
	s_xor_b64 s[8:9], exec, s[28:29]
; %bb.387:                              ;   in Loop: Header=BB371_10 Depth=1
	v_bfe_u32 v1, v0, 16, 1
	v_add3_u32 v59, v0, v1, s39
                                        ; implicit-def: $vgpr0
; %bb.388:                              ;   in Loop: Header=BB371_10 Depth=1
	s_andn2_saveexec_b64 s[28:29], s[8:9]
; %bb.389:                              ;   in Loop: Header=BB371_10 Depth=1
	v_or_b32_e32 v1, 0x10000, v0
	v_cmp_eq_u32_sdwa s[8:9], v0, v37 src0_sel:WORD_0 src1_sel:DWORD
	v_cndmask_b32_e64 v59, v1, v0, s[8:9]
; %bb.390:                              ;   in Loop: Header=BB371_10 Depth=1
	s_or_b64 exec, exec, s[28:29]
	flat_load_ushort v0, v[20:21] offset:2312
	s_waitcnt vmcnt(0) lgkmcnt(0)
	v_and_b32_e32 v28, 0xffff, v0
	v_cmp_ne_u16_sdwa s[8:9], v0, v37 src0_sel:BYTE_0 src1_sel:DWORD
	v_mov_b32_e32 v0, 0
	s_and_saveexec_b64 s[28:29], s[8:9]
	s_cbranch_execz .LBB371_396
; %bb.391:                              ;   in Loop: Header=BB371_10 Depth=1
	v_cmp_ne_u16_sdwa s[8:9], v28, s21 src0_sel:BYTE_0 src1_sel:DWORD
	v_bfrev_b32_e32 v0, 1
	s_and_saveexec_b64 s[30:31], s[8:9]
	s_cbranch_execz .LBB371_395
; %bb.392:                              ;   in Loop: Header=BB371_10 Depth=1
	v_and_b32_e32 v1, 0x7f, v28
	v_cmp_ne_u32_e64 s[8:9], s37, v1
	v_mov_b32_e32 v0, 0x7f800001
	s_and_saveexec_b64 s[34:35], s[8:9]
	s_cbranch_execz .LBB371_394
; %bb.393:                              ;   in Loop: Header=BB371_10 Depth=1
	v_and_b32_e32 v2, 7, v28
	v_ffbh_u32_e32 v0, v2
	v_min_u32_e32 v7, 32, v0
	v_subrev_u32_e32 v0, 28, v7
	v_lshrrev_b32_e32 v3, 3, v1
	v_cmp_gt_u32_e64 s[8:9], 8, v1
	v_lshlrev_b64 v[0:1], v0, v[28:29]
	v_sub_u32_e32 v1, 29, v7
	v_and_b32_e32 v0, 7, v0
	v_cndmask_b32_e64 v1, v3, v1, s[8:9]
	v_cndmask_b32_e64 v0, v2, v0, s[8:9]
	v_lshlrev_b32_e32 v2, 24, v28
	v_lshlrev_b32_e32 v0, 20, v0
	v_and_b32_e32 v2, 0x80000000, v2
	v_lshl_add_u32 v1, v1, 23, v5
	v_or3_b32 v0, v2, v1, v0
.LBB371_394:                            ;   in Loop: Header=BB371_10 Depth=1
	s_or_b64 exec, exec, s[34:35]
.LBB371_395:                            ;   in Loop: Header=BB371_10 Depth=1
	s_or_b64 exec, exec, s[30:31]
.LBB371_396:                            ;   in Loop: Header=BB371_10 Depth=1
	s_or_b64 exec, exec, s[28:29]
	v_mul_f32_e32 v0, v6, v0
	v_and_b32_e32 v1, 0x7f800000, v0
	v_cmp_ne_u32_e64 s[8:9], s38, v1
                                        ; implicit-def: $vgpr60
	s_and_saveexec_b64 s[28:29], s[8:9]
	s_xor_b64 s[8:9], exec, s[28:29]
; %bb.397:                              ;   in Loop: Header=BB371_10 Depth=1
	v_bfe_u32 v1, v0, 16, 1
	v_add3_u32 v60, v0, v1, s39
                                        ; implicit-def: $vgpr0
; %bb.398:                              ;   in Loop: Header=BB371_10 Depth=1
	s_andn2_saveexec_b64 s[28:29], s[8:9]
; %bb.399:                              ;   in Loop: Header=BB371_10 Depth=1
	v_or_b32_e32 v1, 0x10000, v0
	v_cmp_eq_u32_sdwa s[8:9], v0, v37 src0_sel:WORD_0 src1_sel:DWORD
	v_cndmask_b32_e64 v60, v1, v0, s[8:9]
; %bb.400:                              ;   in Loop: Header=BB371_10 Depth=1
	s_or_b64 exec, exec, s[28:29]
	v_lshrrev_b16_e32 v30, 8, v28
	v_cmp_ne_u16_e64 s[8:9], 0, v30
	v_mov_b32_e32 v0, 0
	s_and_saveexec_b64 s[28:29], s[8:9]
	s_cbranch_execz .LBB371_406
; %bb.401:                              ;   in Loop: Header=BB371_10 Depth=1
	v_cmp_ne_u16_e64 s[8:9], s21, v30
	v_bfrev_b32_e32 v0, 1
	s_and_saveexec_b64 s[30:31], s[8:9]
	s_cbranch_execz .LBB371_405
; %bb.402:                              ;   in Loop: Header=BB371_10 Depth=1
	v_and_b32_e32 v1, 0x7f, v30
	v_cmp_ne_u32_e64 s[8:9], s37, v1
	v_mov_b32_e32 v0, 0x7f800001
	s_and_saveexec_b64 s[34:35], s[8:9]
	s_cbranch_execz .LBB371_404
; %bb.403:                              ;   in Loop: Header=BB371_10 Depth=1
	v_and_b32_e32 v2, 7, v30
	v_ffbh_u32_e32 v0, v2
	v_min_u32_e32 v7, 32, v0
	v_subrev_u32_e32 v0, 28, v7
	v_lshrrev_b32_e32 v3, 3, v1
	v_cmp_gt_u32_e64 s[8:9], 8, v1
	v_lshlrev_b64 v[0:1], v0, v[30:31]
	v_sub_u32_e32 v1, 29, v7
	v_and_b32_e32 v0, 7, v0
	v_cndmask_b32_e64 v1, v3, v1, s[8:9]
	v_cndmask_b32_e64 v0, v2, v0, s[8:9]
	v_lshlrev_b32_e32 v2, 16, v28
	v_lshlrev_b32_e32 v0, 20, v0
	v_and_b32_e32 v2, 0x80000000, v2
	v_lshl_add_u32 v1, v1, 23, v5
	v_or3_b32 v0, v2, v1, v0
.LBB371_404:                            ;   in Loop: Header=BB371_10 Depth=1
	s_or_b64 exec, exec, s[34:35]
.LBB371_405:                            ;   in Loop: Header=BB371_10 Depth=1
	s_or_b64 exec, exec, s[30:31]
.LBB371_406:                            ;   in Loop: Header=BB371_10 Depth=1
	s_or_b64 exec, exec, s[28:29]
	v_mul_f32_e32 v0, v6, v0
	v_and_b32_e32 v1, 0x7f800000, v0
	v_cmp_ne_u32_e64 s[8:9], s38, v1
                                        ; implicit-def: $vgpr12
	s_and_saveexec_b64 s[28:29], s[8:9]
	s_xor_b64 s[8:9], exec, s[28:29]
; %bb.407:                              ;   in Loop: Header=BB371_10 Depth=1
	v_bfe_u32 v1, v0, 16, 1
	v_add3_u32 v12, v0, v1, s39
                                        ; implicit-def: $vgpr0
; %bb.408:                              ;   in Loop: Header=BB371_10 Depth=1
	s_andn2_saveexec_b64 s[28:29], s[8:9]
; %bb.409:                              ;   in Loop: Header=BB371_10 Depth=1
	v_or_b32_e32 v1, 0x10000, v0
	v_cmp_eq_u32_sdwa s[8:9], v0, v37 src0_sel:WORD_0 src1_sel:DWORD
	v_cndmask_b32_e64 v12, v1, v0, s[8:9]
; %bb.410:                              ;   in Loop: Header=BB371_10 Depth=1
	s_or_b64 exec, exec, s[28:29]
	flat_load_ushort v0, v[20:21] offset:2560
	s_waitcnt vmcnt(0) lgkmcnt(0)
	v_and_b32_e32 v28, 0xffff, v0
	v_cmp_ne_u16_sdwa s[8:9], v0, v37 src0_sel:BYTE_0 src1_sel:DWORD
	v_mov_b32_e32 v0, 0
	s_and_saveexec_b64 s[28:29], s[8:9]
	s_cbranch_execz .LBB371_416
; %bb.411:                              ;   in Loop: Header=BB371_10 Depth=1
	v_cmp_ne_u16_sdwa s[8:9], v28, s21 src0_sel:BYTE_0 src1_sel:DWORD
	v_bfrev_b32_e32 v0, 1
	s_and_saveexec_b64 s[30:31], s[8:9]
	s_cbranch_execz .LBB371_415
; %bb.412:                              ;   in Loop: Header=BB371_10 Depth=1
	v_and_b32_e32 v1, 0x7f, v28
	v_cmp_ne_u32_e64 s[8:9], s37, v1
	v_mov_b32_e32 v0, 0x7f800001
	s_and_saveexec_b64 s[34:35], s[8:9]
	s_cbranch_execz .LBB371_414
; %bb.413:                              ;   in Loop: Header=BB371_10 Depth=1
	v_and_b32_e32 v2, 7, v28
	v_ffbh_u32_e32 v0, v2
	v_min_u32_e32 v7, 32, v0
	v_subrev_u32_e32 v0, 28, v7
	v_lshrrev_b32_e32 v3, 3, v1
	v_cmp_gt_u32_e64 s[8:9], 8, v1
	v_lshlrev_b64 v[0:1], v0, v[28:29]
	v_sub_u32_e32 v1, 29, v7
	v_and_b32_e32 v0, 7, v0
	v_cndmask_b32_e64 v1, v3, v1, s[8:9]
	v_cndmask_b32_e64 v0, v2, v0, s[8:9]
	v_lshlrev_b32_e32 v2, 24, v28
	v_lshlrev_b32_e32 v0, 20, v0
	v_and_b32_e32 v2, 0x80000000, v2
	v_lshl_add_u32 v1, v1, 23, v5
	v_or3_b32 v0, v2, v1, v0
.LBB371_414:                            ;   in Loop: Header=BB371_10 Depth=1
	s_or_b64 exec, exec, s[34:35]
.LBB371_415:                            ;   in Loop: Header=BB371_10 Depth=1
	s_or_b64 exec, exec, s[30:31]
.LBB371_416:                            ;   in Loop: Header=BB371_10 Depth=1
	s_or_b64 exec, exec, s[28:29]
	v_mul_f32_e32 v0, v6, v0
	v_and_b32_e32 v1, 0x7f800000, v0
	v_cmp_ne_u32_e64 s[8:9], s38, v1
                                        ; implicit-def: $vgpr33
	s_and_saveexec_b64 s[28:29], s[8:9]
	s_xor_b64 s[8:9], exec, s[28:29]
; %bb.417:                              ;   in Loop: Header=BB371_10 Depth=1
	v_bfe_u32 v1, v0, 16, 1
	v_add3_u32 v33, v0, v1, s39
                                        ; implicit-def: $vgpr0
; %bb.418:                              ;   in Loop: Header=BB371_10 Depth=1
	s_andn2_saveexec_b64 s[28:29], s[8:9]
; %bb.419:                              ;   in Loop: Header=BB371_10 Depth=1
	v_or_b32_e32 v1, 0x10000, v0
	v_cmp_eq_u32_sdwa s[8:9], v0, v37 src0_sel:WORD_0 src1_sel:DWORD
	v_cndmask_b32_e64 v33, v1, v0, s[8:9]
; %bb.420:                              ;   in Loop: Header=BB371_10 Depth=1
	s_or_b64 exec, exec, s[28:29]
	v_lshrrev_b16_e32 v30, 8, v28
	v_cmp_ne_u16_e64 s[8:9], 0, v30
	v_mov_b32_e32 v0, 0
	s_and_saveexec_b64 s[28:29], s[8:9]
	s_cbranch_execz .LBB371_426
; %bb.421:                              ;   in Loop: Header=BB371_10 Depth=1
	v_cmp_ne_u16_e64 s[8:9], s21, v30
	v_bfrev_b32_e32 v0, 1
	s_and_saveexec_b64 s[30:31], s[8:9]
	s_cbranch_execz .LBB371_425
; %bb.422:                              ;   in Loop: Header=BB371_10 Depth=1
	v_and_b32_e32 v1, 0x7f, v30
	v_cmp_ne_u32_e64 s[8:9], s37, v1
	v_mov_b32_e32 v0, 0x7f800001
	s_and_saveexec_b64 s[34:35], s[8:9]
	s_cbranch_execz .LBB371_424
; %bb.423:                              ;   in Loop: Header=BB371_10 Depth=1
	v_and_b32_e32 v2, 7, v30
	v_ffbh_u32_e32 v0, v2
	v_min_u32_e32 v7, 32, v0
	v_subrev_u32_e32 v0, 28, v7
	v_lshrrev_b32_e32 v3, 3, v1
	v_cmp_gt_u32_e64 s[8:9], 8, v1
	v_lshlrev_b64 v[0:1], v0, v[30:31]
	v_sub_u32_e32 v1, 29, v7
	v_and_b32_e32 v0, 7, v0
	v_cndmask_b32_e64 v1, v3, v1, s[8:9]
	v_cndmask_b32_e64 v0, v2, v0, s[8:9]
	v_lshlrev_b32_e32 v2, 16, v28
	v_lshlrev_b32_e32 v0, 20, v0
	v_and_b32_e32 v2, 0x80000000, v2
	v_lshl_add_u32 v1, v1, 23, v5
	v_or3_b32 v0, v2, v1, v0
.LBB371_424:                            ;   in Loop: Header=BB371_10 Depth=1
	s_or_b64 exec, exec, s[34:35]
.LBB371_425:                            ;   in Loop: Header=BB371_10 Depth=1
	s_or_b64 exec, exec, s[30:31]
.LBB371_426:                            ;   in Loop: Header=BB371_10 Depth=1
	s_or_b64 exec, exec, s[28:29]
	v_mul_f32_e32 v0, v6, v0
	v_and_b32_e32 v1, 0x7f800000, v0
	v_cmp_ne_u32_e64 s[8:9], s38, v1
                                        ; implicit-def: $vgpr23
	s_and_saveexec_b64 s[28:29], s[8:9]
	s_xor_b64 s[8:9], exec, s[28:29]
; %bb.427:                              ;   in Loop: Header=BB371_10 Depth=1
	v_bfe_u32 v1, v0, 16, 1
	v_add3_u32 v23, v0, v1, s39
                                        ; implicit-def: $vgpr0
; %bb.428:                              ;   in Loop: Header=BB371_10 Depth=1
	s_andn2_saveexec_b64 s[28:29], s[8:9]
; %bb.429:                              ;   in Loop: Header=BB371_10 Depth=1
	v_or_b32_e32 v1, 0x10000, v0
	v_cmp_eq_u32_sdwa s[8:9], v0, v37 src0_sel:WORD_0 src1_sel:DWORD
	v_cndmask_b32_e64 v23, v1, v0, s[8:9]
; %bb.430:                              ;   in Loop: Header=BB371_10 Depth=1
	s_or_b64 exec, exec, s[28:29]
	flat_load_ushort v0, v[20:21] offset:2568
	s_waitcnt vmcnt(0) lgkmcnt(0)
	v_and_b32_e32 v28, 0xffff, v0
	v_cmp_ne_u16_sdwa s[8:9], v0, v37 src0_sel:BYTE_0 src1_sel:DWORD
	v_mov_b32_e32 v0, 0
	s_and_saveexec_b64 s[28:29], s[8:9]
	s_cbranch_execz .LBB371_436
; %bb.431:                              ;   in Loop: Header=BB371_10 Depth=1
	v_cmp_ne_u16_sdwa s[8:9], v28, s21 src0_sel:BYTE_0 src1_sel:DWORD
	v_bfrev_b32_e32 v0, 1
	s_and_saveexec_b64 s[30:31], s[8:9]
	s_cbranch_execz .LBB371_435
; %bb.432:                              ;   in Loop: Header=BB371_10 Depth=1
	v_and_b32_e32 v1, 0x7f, v28
	v_cmp_ne_u32_e64 s[8:9], s37, v1
	v_mov_b32_e32 v0, 0x7f800001
	s_and_saveexec_b64 s[34:35], s[8:9]
	s_cbranch_execz .LBB371_434
; %bb.433:                              ;   in Loop: Header=BB371_10 Depth=1
	v_and_b32_e32 v2, 7, v28
	v_ffbh_u32_e32 v0, v2
	v_min_u32_e32 v7, 32, v0
	v_subrev_u32_e32 v0, 28, v7
	v_lshrrev_b32_e32 v3, 3, v1
	v_cmp_gt_u32_e64 s[8:9], 8, v1
	v_lshlrev_b64 v[0:1], v0, v[28:29]
	v_sub_u32_e32 v1, 29, v7
	v_and_b32_e32 v0, 7, v0
	v_cndmask_b32_e64 v1, v3, v1, s[8:9]
	v_cndmask_b32_e64 v0, v2, v0, s[8:9]
	v_lshlrev_b32_e32 v2, 24, v28
	v_lshlrev_b32_e32 v0, 20, v0
	v_and_b32_e32 v2, 0x80000000, v2
	v_lshl_add_u32 v1, v1, 23, v5
	v_or3_b32 v0, v2, v1, v0
.LBB371_434:                            ;   in Loop: Header=BB371_10 Depth=1
	s_or_b64 exec, exec, s[34:35]
.LBB371_435:                            ;   in Loop: Header=BB371_10 Depth=1
	s_or_b64 exec, exec, s[30:31]
.LBB371_436:                            ;   in Loop: Header=BB371_10 Depth=1
	s_or_b64 exec, exec, s[28:29]
	v_mul_f32_e32 v0, v6, v0
	v_and_b32_e32 v1, 0x7f800000, v0
	v_cmp_ne_u32_e64 s[8:9], s38, v1
                                        ; implicit-def: $vgpr38
	s_and_saveexec_b64 s[28:29], s[8:9]
	s_xor_b64 s[8:9], exec, s[28:29]
; %bb.437:                              ;   in Loop: Header=BB371_10 Depth=1
	v_bfe_u32 v1, v0, 16, 1
	v_add3_u32 v38, v0, v1, s39
                                        ; implicit-def: $vgpr0
; %bb.438:                              ;   in Loop: Header=BB371_10 Depth=1
	s_andn2_saveexec_b64 s[28:29], s[8:9]
; %bb.439:                              ;   in Loop: Header=BB371_10 Depth=1
	v_or_b32_e32 v1, 0x10000, v0
	v_cmp_eq_u32_sdwa s[8:9], v0, v37 src0_sel:WORD_0 src1_sel:DWORD
	v_cndmask_b32_e64 v38, v1, v0, s[8:9]
; %bb.440:                              ;   in Loop: Header=BB371_10 Depth=1
	s_or_b64 exec, exec, s[28:29]
	v_lshrrev_b16_e32 v30, 8, v28
	v_cmp_ne_u16_e64 s[8:9], 0, v30
	v_mov_b32_e32 v0, 0
	s_and_saveexec_b64 s[28:29], s[8:9]
	s_cbranch_execz .LBB371_446
; %bb.441:                              ;   in Loop: Header=BB371_10 Depth=1
	v_cmp_ne_u16_e64 s[8:9], s21, v30
	v_bfrev_b32_e32 v0, 1
	s_and_saveexec_b64 s[30:31], s[8:9]
	s_cbranch_execz .LBB371_445
; %bb.442:                              ;   in Loop: Header=BB371_10 Depth=1
	v_and_b32_e32 v1, 0x7f, v30
	v_cmp_ne_u32_e64 s[8:9], s37, v1
	v_mov_b32_e32 v0, 0x7f800001
	s_and_saveexec_b64 s[34:35], s[8:9]
	s_cbranch_execz .LBB371_444
; %bb.443:                              ;   in Loop: Header=BB371_10 Depth=1
	v_and_b32_e32 v2, 7, v30
	v_ffbh_u32_e32 v0, v2
	v_min_u32_e32 v7, 32, v0
	v_subrev_u32_e32 v0, 28, v7
	v_lshrrev_b32_e32 v3, 3, v1
	v_cmp_gt_u32_e64 s[8:9], 8, v1
	v_lshlrev_b64 v[0:1], v0, v[30:31]
	v_sub_u32_e32 v1, 29, v7
	v_and_b32_e32 v0, 7, v0
	v_cndmask_b32_e64 v1, v3, v1, s[8:9]
	v_cndmask_b32_e64 v0, v2, v0, s[8:9]
	v_lshlrev_b32_e32 v2, 16, v28
	v_lshlrev_b32_e32 v0, 20, v0
	v_and_b32_e32 v2, 0x80000000, v2
	v_lshl_add_u32 v1, v1, 23, v5
	v_or3_b32 v0, v2, v1, v0
.LBB371_444:                            ;   in Loop: Header=BB371_10 Depth=1
	s_or_b64 exec, exec, s[34:35]
.LBB371_445:                            ;   in Loop: Header=BB371_10 Depth=1
	s_or_b64 exec, exec, s[30:31]
.LBB371_446:                            ;   in Loop: Header=BB371_10 Depth=1
	s_or_b64 exec, exec, s[28:29]
	v_mul_f32_e32 v0, v6, v0
	v_and_b32_e32 v1, 0x7f800000, v0
	v_cmp_ne_u32_e64 s[8:9], s38, v1
                                        ; implicit-def: $vgpr8
	s_and_saveexec_b64 s[28:29], s[8:9]
	s_xor_b64 s[8:9], exec, s[28:29]
; %bb.447:                              ;   in Loop: Header=BB371_10 Depth=1
	v_bfe_u32 v1, v0, 16, 1
	v_add3_u32 v8, v0, v1, s39
                                        ; implicit-def: $vgpr0
; %bb.448:                              ;   in Loop: Header=BB371_10 Depth=1
	s_andn2_saveexec_b64 s[28:29], s[8:9]
; %bb.449:                              ;   in Loop: Header=BB371_10 Depth=1
	v_or_b32_e32 v1, 0x10000, v0
	v_cmp_eq_u32_sdwa s[8:9], v0, v37 src0_sel:WORD_0 src1_sel:DWORD
	v_cndmask_b32_e64 v8, v1, v0, s[8:9]
; %bb.450:                              ;   in Loop: Header=BB371_10 Depth=1
	s_or_b64 exec, exec, s[28:29]
	flat_load_ushort v0, v[20:21] offset:2816
	s_waitcnt vmcnt(0) lgkmcnt(0)
	v_and_b32_e32 v28, 0xffff, v0
	v_cmp_ne_u16_sdwa s[8:9], v0, v37 src0_sel:BYTE_0 src1_sel:DWORD
	v_mov_b32_e32 v0, 0
	s_and_saveexec_b64 s[28:29], s[8:9]
	s_cbranch_execz .LBB371_456
; %bb.451:                              ;   in Loop: Header=BB371_10 Depth=1
	v_cmp_ne_u16_sdwa s[8:9], v28, s21 src0_sel:BYTE_0 src1_sel:DWORD
	v_bfrev_b32_e32 v0, 1
	s_and_saveexec_b64 s[30:31], s[8:9]
	s_cbranch_execz .LBB371_455
; %bb.452:                              ;   in Loop: Header=BB371_10 Depth=1
	v_and_b32_e32 v1, 0x7f, v28
	v_cmp_ne_u32_e64 s[8:9], s37, v1
	v_mov_b32_e32 v0, 0x7f800001
	s_and_saveexec_b64 s[34:35], s[8:9]
	s_cbranch_execz .LBB371_454
; %bb.453:                              ;   in Loop: Header=BB371_10 Depth=1
	v_and_b32_e32 v2, 7, v28
	v_ffbh_u32_e32 v0, v2
	v_min_u32_e32 v7, 32, v0
	v_subrev_u32_e32 v0, 28, v7
	v_lshrrev_b32_e32 v3, 3, v1
	v_cmp_gt_u32_e64 s[8:9], 8, v1
	v_lshlrev_b64 v[0:1], v0, v[28:29]
	v_sub_u32_e32 v1, 29, v7
	v_and_b32_e32 v0, 7, v0
	v_cndmask_b32_e64 v1, v3, v1, s[8:9]
	v_cndmask_b32_e64 v0, v2, v0, s[8:9]
	v_lshlrev_b32_e32 v2, 24, v28
	v_lshlrev_b32_e32 v0, 20, v0
	v_and_b32_e32 v2, 0x80000000, v2
	v_lshl_add_u32 v1, v1, 23, v5
	v_or3_b32 v0, v2, v1, v0
.LBB371_454:                            ;   in Loop: Header=BB371_10 Depth=1
	s_or_b64 exec, exec, s[34:35]
.LBB371_455:                            ;   in Loop: Header=BB371_10 Depth=1
	s_or_b64 exec, exec, s[30:31]
.LBB371_456:                            ;   in Loop: Header=BB371_10 Depth=1
	s_or_b64 exec, exec, s[28:29]
	v_mul_f32_e32 v0, v6, v0
	v_and_b32_e32 v1, 0x7f800000, v0
	v_cmp_ne_u32_e64 s[8:9], s38, v1
                                        ; implicit-def: $vgpr9
	s_and_saveexec_b64 s[28:29], s[8:9]
	s_xor_b64 s[8:9], exec, s[28:29]
; %bb.457:                              ;   in Loop: Header=BB371_10 Depth=1
	v_bfe_u32 v1, v0, 16, 1
	v_add3_u32 v9, v0, v1, s39
                                        ; implicit-def: $vgpr0
; %bb.458:                              ;   in Loop: Header=BB371_10 Depth=1
	s_andn2_saveexec_b64 s[28:29], s[8:9]
; %bb.459:                              ;   in Loop: Header=BB371_10 Depth=1
	v_or_b32_e32 v1, 0x10000, v0
	v_cmp_eq_u32_sdwa s[8:9], v0, v37 src0_sel:WORD_0 src1_sel:DWORD
	v_cndmask_b32_e64 v9, v1, v0, s[8:9]
; %bb.460:                              ;   in Loop: Header=BB371_10 Depth=1
	s_or_b64 exec, exec, s[28:29]
	v_lshrrev_b16_e32 v30, 8, v28
	v_cmp_ne_u16_e64 s[8:9], 0, v30
	v_mov_b32_e32 v0, 0
	s_and_saveexec_b64 s[28:29], s[8:9]
	s_cbranch_execz .LBB371_466
; %bb.461:                              ;   in Loop: Header=BB371_10 Depth=1
	v_cmp_ne_u16_e64 s[8:9], s21, v30
	v_bfrev_b32_e32 v0, 1
	s_and_saveexec_b64 s[30:31], s[8:9]
	s_cbranch_execz .LBB371_465
; %bb.462:                              ;   in Loop: Header=BB371_10 Depth=1
	v_and_b32_e32 v1, 0x7f, v30
	v_cmp_ne_u32_e64 s[8:9], s37, v1
	v_mov_b32_e32 v0, 0x7f800001
	s_and_saveexec_b64 s[34:35], s[8:9]
	s_cbranch_execz .LBB371_464
; %bb.463:                              ;   in Loop: Header=BB371_10 Depth=1
	v_and_b32_e32 v2, 7, v30
	v_ffbh_u32_e32 v0, v2
	v_min_u32_e32 v7, 32, v0
	v_subrev_u32_e32 v0, 28, v7
	v_lshrrev_b32_e32 v3, 3, v1
	v_cmp_gt_u32_e64 s[8:9], 8, v1
	v_lshlrev_b64 v[0:1], v0, v[30:31]
	v_sub_u32_e32 v1, 29, v7
	v_and_b32_e32 v0, 7, v0
	v_cndmask_b32_e64 v1, v3, v1, s[8:9]
	v_cndmask_b32_e64 v0, v2, v0, s[8:9]
	v_lshlrev_b32_e32 v2, 16, v28
	v_lshlrev_b32_e32 v0, 20, v0
	v_and_b32_e32 v2, 0x80000000, v2
	v_lshl_add_u32 v1, v1, 23, v5
	v_or3_b32 v0, v2, v1, v0
.LBB371_464:                            ;   in Loop: Header=BB371_10 Depth=1
	s_or_b64 exec, exec, s[34:35]
.LBB371_465:                            ;   in Loop: Header=BB371_10 Depth=1
	s_or_b64 exec, exec, s[30:31]
.LBB371_466:                            ;   in Loop: Header=BB371_10 Depth=1
	s_or_b64 exec, exec, s[28:29]
	v_mul_f32_e32 v0, v6, v0
	v_and_b32_e32 v1, 0x7f800000, v0
	v_cmp_ne_u32_e64 s[8:9], s38, v1
                                        ; implicit-def: $vgpr58
	s_and_saveexec_b64 s[28:29], s[8:9]
	s_xor_b64 s[8:9], exec, s[28:29]
; %bb.467:                              ;   in Loop: Header=BB371_10 Depth=1
	v_bfe_u32 v1, v0, 16, 1
	v_add3_u32 v58, v0, v1, s39
                                        ; implicit-def: $vgpr0
; %bb.468:                              ;   in Loop: Header=BB371_10 Depth=1
	s_andn2_saveexec_b64 s[28:29], s[8:9]
; %bb.469:                              ;   in Loop: Header=BB371_10 Depth=1
	v_or_b32_e32 v1, 0x10000, v0
	v_cmp_eq_u32_sdwa s[8:9], v0, v37 src0_sel:WORD_0 src1_sel:DWORD
	v_cndmask_b32_e64 v58, v1, v0, s[8:9]
; %bb.470:                              ;   in Loop: Header=BB371_10 Depth=1
	s_or_b64 exec, exec, s[28:29]
	flat_load_ushort v0, v[20:21] offset:2824
	s_waitcnt vmcnt(0) lgkmcnt(0)
	v_and_b32_e32 v28, 0xffff, v0
	v_cmp_ne_u16_sdwa s[8:9], v0, v37 src0_sel:BYTE_0 src1_sel:DWORD
	v_mov_b32_e32 v0, 0
	s_and_saveexec_b64 s[28:29], s[8:9]
	s_cbranch_execz .LBB371_476
; %bb.471:                              ;   in Loop: Header=BB371_10 Depth=1
	v_cmp_ne_u16_sdwa s[8:9], v28, s21 src0_sel:BYTE_0 src1_sel:DWORD
	v_bfrev_b32_e32 v0, 1
	s_and_saveexec_b64 s[30:31], s[8:9]
	s_cbranch_execz .LBB371_475
; %bb.472:                              ;   in Loop: Header=BB371_10 Depth=1
	v_and_b32_e32 v1, 0x7f, v28
	v_cmp_ne_u32_e64 s[8:9], s37, v1
	v_mov_b32_e32 v0, 0x7f800001
	s_and_saveexec_b64 s[34:35], s[8:9]
	s_cbranch_execz .LBB371_474
; %bb.473:                              ;   in Loop: Header=BB371_10 Depth=1
	v_and_b32_e32 v2, 7, v28
	v_ffbh_u32_e32 v0, v2
	v_min_u32_e32 v7, 32, v0
	v_subrev_u32_e32 v0, 28, v7
	v_lshrrev_b32_e32 v3, 3, v1
	v_cmp_gt_u32_e64 s[8:9], 8, v1
	v_lshlrev_b64 v[0:1], v0, v[28:29]
	v_sub_u32_e32 v1, 29, v7
	v_and_b32_e32 v0, 7, v0
	v_cndmask_b32_e64 v1, v3, v1, s[8:9]
	v_cndmask_b32_e64 v0, v2, v0, s[8:9]
	v_lshlrev_b32_e32 v2, 24, v28
	v_lshlrev_b32_e32 v0, 20, v0
	v_and_b32_e32 v2, 0x80000000, v2
	v_lshl_add_u32 v1, v1, 23, v5
	v_or3_b32 v0, v2, v1, v0
.LBB371_474:                            ;   in Loop: Header=BB371_10 Depth=1
	s_or_b64 exec, exec, s[34:35]
.LBB371_475:                            ;   in Loop: Header=BB371_10 Depth=1
	s_or_b64 exec, exec, s[30:31]
.LBB371_476:                            ;   in Loop: Header=BB371_10 Depth=1
	s_or_b64 exec, exec, s[28:29]
	v_mul_f32_e32 v0, v6, v0
	v_and_b32_e32 v1, 0x7f800000, v0
	v_cmp_ne_u32_e64 s[8:9], s38, v1
                                        ; implicit-def: $vgpr25
	s_and_saveexec_b64 s[28:29], s[8:9]
	s_xor_b64 s[8:9], exec, s[28:29]
; %bb.477:                              ;   in Loop: Header=BB371_10 Depth=1
	v_bfe_u32 v1, v0, 16, 1
	v_add3_u32 v25, v0, v1, s39
                                        ; implicit-def: $vgpr0
; %bb.478:                              ;   in Loop: Header=BB371_10 Depth=1
	s_andn2_saveexec_b64 s[28:29], s[8:9]
; %bb.479:                              ;   in Loop: Header=BB371_10 Depth=1
	v_or_b32_e32 v1, 0x10000, v0
	v_cmp_eq_u32_sdwa s[8:9], v0, v37 src0_sel:WORD_0 src1_sel:DWORD
	v_cndmask_b32_e64 v25, v1, v0, s[8:9]
; %bb.480:                              ;   in Loop: Header=BB371_10 Depth=1
	s_or_b64 exec, exec, s[28:29]
	v_lshrrev_b16_e32 v30, 8, v28
	v_cmp_ne_u16_e64 s[8:9], 0, v30
	v_mov_b32_e32 v0, 0
	s_and_saveexec_b64 s[28:29], s[8:9]
	s_cbranch_execz .LBB371_486
; %bb.481:                              ;   in Loop: Header=BB371_10 Depth=1
	v_cmp_ne_u16_e64 s[8:9], s21, v30
	v_bfrev_b32_e32 v0, 1
	s_and_saveexec_b64 s[30:31], s[8:9]
	s_cbranch_execz .LBB371_485
; %bb.482:                              ;   in Loop: Header=BB371_10 Depth=1
	v_and_b32_e32 v1, 0x7f, v30
	v_cmp_ne_u32_e64 s[8:9], s37, v1
	v_mov_b32_e32 v0, 0x7f800001
	s_and_saveexec_b64 s[34:35], s[8:9]
	s_cbranch_execz .LBB371_484
; %bb.483:                              ;   in Loop: Header=BB371_10 Depth=1
	v_and_b32_e32 v2, 7, v30
	v_ffbh_u32_e32 v0, v2
	v_min_u32_e32 v7, 32, v0
	v_subrev_u32_e32 v0, 28, v7
	v_lshrrev_b32_e32 v3, 3, v1
	v_cmp_gt_u32_e64 s[8:9], 8, v1
	v_lshlrev_b64 v[0:1], v0, v[30:31]
	v_sub_u32_e32 v1, 29, v7
	v_and_b32_e32 v0, 7, v0
	v_cndmask_b32_e64 v1, v3, v1, s[8:9]
	v_cndmask_b32_e64 v0, v2, v0, s[8:9]
	v_lshlrev_b32_e32 v2, 16, v28
	v_lshlrev_b32_e32 v0, 20, v0
	v_and_b32_e32 v2, 0x80000000, v2
	v_lshl_add_u32 v1, v1, 23, v5
	v_or3_b32 v0, v2, v1, v0
.LBB371_484:                            ;   in Loop: Header=BB371_10 Depth=1
	s_or_b64 exec, exec, s[34:35]
.LBB371_485:                            ;   in Loop: Header=BB371_10 Depth=1
	s_or_b64 exec, exec, s[30:31]
.LBB371_486:                            ;   in Loop: Header=BB371_10 Depth=1
	s_or_b64 exec, exec, s[28:29]
	v_mul_f32_e32 v0, v6, v0
	v_and_b32_e32 v1, 0x7f800000, v0
	v_cmp_ne_u32_e64 s[8:9], s38, v1
                                        ; implicit-def: $vgpr24
	s_and_saveexec_b64 s[28:29], s[8:9]
	s_xor_b64 s[8:9], exec, s[28:29]
; %bb.487:                              ;   in Loop: Header=BB371_10 Depth=1
	v_bfe_u32 v1, v0, 16, 1
	v_add3_u32 v24, v0, v1, s39
                                        ; implicit-def: $vgpr0
; %bb.488:                              ;   in Loop: Header=BB371_10 Depth=1
	s_andn2_saveexec_b64 s[28:29], s[8:9]
; %bb.489:                              ;   in Loop: Header=BB371_10 Depth=1
	v_or_b32_e32 v1, 0x10000, v0
	v_cmp_eq_u32_sdwa s[8:9], v0, v37 src0_sel:WORD_0 src1_sel:DWORD
	v_cndmask_b32_e64 v24, v1, v0, s[8:9]
; %bb.490:                              ;   in Loop: Header=BB371_10 Depth=1
	s_or_b64 exec, exec, s[28:29]
	flat_load_ushort v0, v[20:21] offset:3072
	s_waitcnt vmcnt(0) lgkmcnt(0)
	v_and_b32_e32 v28, 0xffff, v0
	v_cmp_ne_u16_sdwa s[8:9], v0, v37 src0_sel:BYTE_0 src1_sel:DWORD
	v_mov_b32_e32 v0, 0
	s_and_saveexec_b64 s[28:29], s[8:9]
	s_cbranch_execz .LBB371_496
; %bb.491:                              ;   in Loop: Header=BB371_10 Depth=1
	v_cmp_ne_u16_sdwa s[8:9], v28, s21 src0_sel:BYTE_0 src1_sel:DWORD
	v_bfrev_b32_e32 v0, 1
	s_and_saveexec_b64 s[30:31], s[8:9]
	s_cbranch_execz .LBB371_495
; %bb.492:                              ;   in Loop: Header=BB371_10 Depth=1
	v_and_b32_e32 v1, 0x7f, v28
	v_cmp_ne_u32_e64 s[8:9], s37, v1
	v_mov_b32_e32 v0, 0x7f800001
	s_and_saveexec_b64 s[34:35], s[8:9]
	s_cbranch_execz .LBB371_494
; %bb.493:                              ;   in Loop: Header=BB371_10 Depth=1
	v_and_b32_e32 v2, 7, v28
	v_ffbh_u32_e32 v0, v2
	v_min_u32_e32 v7, 32, v0
	v_subrev_u32_e32 v0, 28, v7
	v_lshrrev_b32_e32 v3, 3, v1
	v_cmp_gt_u32_e64 s[8:9], 8, v1
	v_lshlrev_b64 v[0:1], v0, v[28:29]
	v_sub_u32_e32 v1, 29, v7
	v_and_b32_e32 v0, 7, v0
	v_cndmask_b32_e64 v1, v3, v1, s[8:9]
	v_cndmask_b32_e64 v0, v2, v0, s[8:9]
	v_lshlrev_b32_e32 v2, 24, v28
	v_lshlrev_b32_e32 v0, 20, v0
	v_and_b32_e32 v2, 0x80000000, v2
	v_lshl_add_u32 v1, v1, 23, v5
	v_or3_b32 v0, v2, v1, v0
.LBB371_494:                            ;   in Loop: Header=BB371_10 Depth=1
	s_or_b64 exec, exec, s[34:35]
.LBB371_495:                            ;   in Loop: Header=BB371_10 Depth=1
	s_or_b64 exec, exec, s[30:31]
.LBB371_496:                            ;   in Loop: Header=BB371_10 Depth=1
	s_or_b64 exec, exec, s[28:29]
	v_mul_f32_e32 v0, v6, v0
	v_and_b32_e32 v1, 0x7f800000, v0
	v_cmp_ne_u32_e64 s[8:9], s38, v1
                                        ; implicit-def: $vgpr34
	s_and_saveexec_b64 s[28:29], s[8:9]
	s_xor_b64 s[8:9], exec, s[28:29]
; %bb.497:                              ;   in Loop: Header=BB371_10 Depth=1
	v_bfe_u32 v1, v0, 16, 1
	v_add3_u32 v34, v0, v1, s39
                                        ; implicit-def: $vgpr0
; %bb.498:                              ;   in Loop: Header=BB371_10 Depth=1
	s_andn2_saveexec_b64 s[28:29], s[8:9]
; %bb.499:                              ;   in Loop: Header=BB371_10 Depth=1
	v_or_b32_e32 v1, 0x10000, v0
	v_cmp_eq_u32_sdwa s[8:9], v0, v37 src0_sel:WORD_0 src1_sel:DWORD
	v_cndmask_b32_e64 v34, v1, v0, s[8:9]
; %bb.500:                              ;   in Loop: Header=BB371_10 Depth=1
	s_or_b64 exec, exec, s[28:29]
	v_lshrrev_b16_e32 v30, 8, v28
	v_cmp_ne_u16_e64 s[8:9], 0, v30
	v_mov_b32_e32 v0, 0
	s_and_saveexec_b64 s[28:29], s[8:9]
	s_cbranch_execz .LBB371_506
; %bb.501:                              ;   in Loop: Header=BB371_10 Depth=1
	v_cmp_ne_u16_e64 s[8:9], s21, v30
	v_bfrev_b32_e32 v0, 1
	s_and_saveexec_b64 s[30:31], s[8:9]
	s_cbranch_execz .LBB371_505
; %bb.502:                              ;   in Loop: Header=BB371_10 Depth=1
	v_and_b32_e32 v1, 0x7f, v30
	v_cmp_ne_u32_e64 s[8:9], s37, v1
	v_mov_b32_e32 v0, 0x7f800001
	s_and_saveexec_b64 s[34:35], s[8:9]
	s_cbranch_execz .LBB371_504
; %bb.503:                              ;   in Loop: Header=BB371_10 Depth=1
	v_and_b32_e32 v2, 7, v30
	v_ffbh_u32_e32 v0, v2
	v_min_u32_e32 v7, 32, v0
	v_subrev_u32_e32 v0, 28, v7
	v_lshrrev_b32_e32 v3, 3, v1
	v_cmp_gt_u32_e64 s[8:9], 8, v1
	v_lshlrev_b64 v[0:1], v0, v[30:31]
	v_sub_u32_e32 v1, 29, v7
	v_and_b32_e32 v0, 7, v0
	v_cndmask_b32_e64 v1, v3, v1, s[8:9]
	v_cndmask_b32_e64 v0, v2, v0, s[8:9]
	v_lshlrev_b32_e32 v2, 16, v28
	v_lshlrev_b32_e32 v0, 20, v0
	v_and_b32_e32 v2, 0x80000000, v2
	v_lshl_add_u32 v1, v1, 23, v5
	v_or3_b32 v0, v2, v1, v0
.LBB371_504:                            ;   in Loop: Header=BB371_10 Depth=1
	s_or_b64 exec, exec, s[34:35]
.LBB371_505:                            ;   in Loop: Header=BB371_10 Depth=1
	s_or_b64 exec, exec, s[30:31]
.LBB371_506:                            ;   in Loop: Header=BB371_10 Depth=1
	s_or_b64 exec, exec, s[28:29]
	v_mul_f32_e32 v0, v6, v0
	v_and_b32_e32 v1, 0x7f800000, v0
	v_cmp_ne_u32_e64 s[8:9], s38, v1
                                        ; implicit-def: $vgpr7
	s_and_saveexec_b64 s[28:29], s[8:9]
	s_xor_b64 s[8:9], exec, s[28:29]
; %bb.507:                              ;   in Loop: Header=BB371_10 Depth=1
	v_bfe_u32 v1, v0, 16, 1
	v_add3_u32 v7, v0, v1, s39
                                        ; implicit-def: $vgpr0
; %bb.508:                              ;   in Loop: Header=BB371_10 Depth=1
	s_andn2_saveexec_b64 s[28:29], s[8:9]
; %bb.509:                              ;   in Loop: Header=BB371_10 Depth=1
	v_or_b32_e32 v1, 0x10000, v0
	v_cmp_eq_u32_sdwa s[8:9], v0, v37 src0_sel:WORD_0 src1_sel:DWORD
	v_cndmask_b32_e64 v7, v1, v0, s[8:9]
; %bb.510:                              ;   in Loop: Header=BB371_10 Depth=1
	s_or_b64 exec, exec, s[28:29]
	flat_load_ushort v0, v[20:21] offset:3080
	s_waitcnt vmcnt(0) lgkmcnt(0)
	v_and_b32_e32 v28, 0xffff, v0
	v_cmp_ne_u16_sdwa s[8:9], v0, v37 src0_sel:BYTE_0 src1_sel:DWORD
	v_mov_b32_e32 v0, 0
	s_and_saveexec_b64 s[28:29], s[8:9]
	s_cbranch_execz .LBB371_516
; %bb.511:                              ;   in Loop: Header=BB371_10 Depth=1
	v_cmp_ne_u16_sdwa s[8:9], v28, s21 src0_sel:BYTE_0 src1_sel:DWORD
	v_bfrev_b32_e32 v0, 1
	s_and_saveexec_b64 s[30:31], s[8:9]
	s_cbranch_execz .LBB371_515
; %bb.512:                              ;   in Loop: Header=BB371_10 Depth=1
	v_and_b32_e32 v1, 0x7f, v28
	v_cmp_ne_u32_e64 s[8:9], s37, v1
	v_mov_b32_e32 v0, 0x7f800001
	s_and_saveexec_b64 s[34:35], s[8:9]
	s_cbranch_execz .LBB371_514
; %bb.513:                              ;   in Loop: Header=BB371_10 Depth=1
	v_and_b32_e32 v2, 7, v28
	v_ffbh_u32_e32 v0, v2
	v_min_u32_e32 v10, 32, v0
	v_subrev_u32_e32 v0, 28, v10
	v_lshrrev_b32_e32 v3, 3, v1
	v_cmp_gt_u32_e64 s[8:9], 8, v1
	v_lshlrev_b64 v[0:1], v0, v[28:29]
	v_sub_u32_e32 v1, 29, v10
	v_and_b32_e32 v0, 7, v0
	v_cndmask_b32_e64 v1, v3, v1, s[8:9]
	v_cndmask_b32_e64 v0, v2, v0, s[8:9]
	v_lshlrev_b32_e32 v2, 24, v28
	v_lshlrev_b32_e32 v0, 20, v0
	v_and_b32_e32 v2, 0x80000000, v2
	v_lshl_add_u32 v1, v1, 23, v5
	v_or3_b32 v0, v2, v1, v0
.LBB371_514:                            ;   in Loop: Header=BB371_10 Depth=1
	s_or_b64 exec, exec, s[34:35]
.LBB371_515:                            ;   in Loop: Header=BB371_10 Depth=1
	s_or_b64 exec, exec, s[30:31]
.LBB371_516:                            ;   in Loop: Header=BB371_10 Depth=1
	s_or_b64 exec, exec, s[28:29]
	v_mul_f32_e32 v0, v6, v0
	v_and_b32_e32 v1, 0x7f800000, v0
	v_cmp_ne_u32_e64 s[8:9], s38, v1
                                        ; implicit-def: $vgpr36
	s_and_saveexec_b64 s[28:29], s[8:9]
	s_xor_b64 s[8:9], exec, s[28:29]
; %bb.517:                              ;   in Loop: Header=BB371_10 Depth=1
	v_bfe_u32 v1, v0, 16, 1
	v_add3_u32 v36, v0, v1, s39
                                        ; implicit-def: $vgpr0
; %bb.518:                              ;   in Loop: Header=BB371_10 Depth=1
	s_andn2_saveexec_b64 s[28:29], s[8:9]
; %bb.519:                              ;   in Loop: Header=BB371_10 Depth=1
	v_or_b32_e32 v1, 0x10000, v0
	v_cmp_eq_u32_sdwa s[8:9], v0, v37 src0_sel:WORD_0 src1_sel:DWORD
	v_cndmask_b32_e64 v36, v1, v0, s[8:9]
; %bb.520:                              ;   in Loop: Header=BB371_10 Depth=1
	s_or_b64 exec, exec, s[28:29]
	v_lshrrev_b16_e32 v30, 8, v28
	v_cmp_ne_u16_e64 s[8:9], 0, v30
	v_mov_b32_e32 v0, 0
	s_and_saveexec_b64 s[28:29], s[8:9]
	s_cbranch_execz .LBB371_526
; %bb.521:                              ;   in Loop: Header=BB371_10 Depth=1
	v_cmp_ne_u16_e64 s[8:9], s21, v30
	v_bfrev_b32_e32 v0, 1
	s_and_saveexec_b64 s[30:31], s[8:9]
	s_cbranch_execz .LBB371_525
; %bb.522:                              ;   in Loop: Header=BB371_10 Depth=1
	v_and_b32_e32 v1, 0x7f, v30
	v_cmp_ne_u32_e64 s[8:9], s37, v1
	v_mov_b32_e32 v0, 0x7f800001
	s_and_saveexec_b64 s[34:35], s[8:9]
	s_cbranch_execz .LBB371_524
; %bb.523:                              ;   in Loop: Header=BB371_10 Depth=1
	v_and_b32_e32 v2, 7, v30
	v_ffbh_u32_e32 v0, v2
	v_min_u32_e32 v10, 32, v0
	v_subrev_u32_e32 v0, 28, v10
	v_lshrrev_b32_e32 v3, 3, v1
	v_cmp_gt_u32_e64 s[8:9], 8, v1
	v_lshlrev_b64 v[0:1], v0, v[30:31]
	v_sub_u32_e32 v1, 29, v10
	v_and_b32_e32 v0, 7, v0
	v_cndmask_b32_e64 v1, v3, v1, s[8:9]
	v_cndmask_b32_e64 v0, v2, v0, s[8:9]
	v_lshlrev_b32_e32 v2, 16, v28
	v_lshlrev_b32_e32 v0, 20, v0
	v_and_b32_e32 v2, 0x80000000, v2
	v_lshl_add_u32 v1, v1, 23, v5
	v_or3_b32 v0, v2, v1, v0
.LBB371_524:                            ;   in Loop: Header=BB371_10 Depth=1
	s_or_b64 exec, exec, s[34:35]
.LBB371_525:                            ;   in Loop: Header=BB371_10 Depth=1
	s_or_b64 exec, exec, s[30:31]
.LBB371_526:                            ;   in Loop: Header=BB371_10 Depth=1
	s_or_b64 exec, exec, s[28:29]
	v_mul_f32_e32 v0, v6, v0
	v_and_b32_e32 v1, 0x7f800000, v0
	v_cmp_ne_u32_e64 s[8:9], s38, v1
                                        ; implicit-def: $vgpr35
	s_and_saveexec_b64 s[28:29], s[8:9]
	s_xor_b64 s[8:9], exec, s[28:29]
; %bb.527:                              ;   in Loop: Header=BB371_10 Depth=1
	v_bfe_u32 v1, v0, 16, 1
	v_add3_u32 v35, v0, v1, s39
                                        ; implicit-def: $vgpr0
; %bb.528:                              ;   in Loop: Header=BB371_10 Depth=1
	s_andn2_saveexec_b64 s[28:29], s[8:9]
; %bb.529:                              ;   in Loop: Header=BB371_10 Depth=1
	v_or_b32_e32 v1, 0x10000, v0
	v_cmp_eq_u32_sdwa s[8:9], v0, v37 src0_sel:WORD_0 src1_sel:DWORD
	v_cndmask_b32_e64 v35, v1, v0, s[8:9]
; %bb.530:                              ;   in Loop: Header=BB371_10 Depth=1
	s_or_b64 exec, exec, s[28:29]
	flat_load_ushort v0, v[20:21] offset:3328
	s_waitcnt vmcnt(0) lgkmcnt(0)
	v_and_b32_e32 v28, 0xffff, v0
	v_cmp_ne_u16_sdwa s[8:9], v0, v37 src0_sel:BYTE_0 src1_sel:DWORD
	v_mov_b32_e32 v0, 0
	s_and_saveexec_b64 s[28:29], s[8:9]
	s_cbranch_execz .LBB371_536
; %bb.531:                              ;   in Loop: Header=BB371_10 Depth=1
	v_cmp_ne_u16_sdwa s[8:9], v28, s21 src0_sel:BYTE_0 src1_sel:DWORD
	v_bfrev_b32_e32 v0, 1
	s_and_saveexec_b64 s[30:31], s[8:9]
	s_cbranch_execz .LBB371_535
; %bb.532:                              ;   in Loop: Header=BB371_10 Depth=1
	v_and_b32_e32 v1, 0x7f, v28
	v_cmp_ne_u32_e64 s[8:9], s37, v1
	v_mov_b32_e32 v0, 0x7f800001
	s_and_saveexec_b64 s[34:35], s[8:9]
	s_cbranch_execz .LBB371_534
; %bb.533:                              ;   in Loop: Header=BB371_10 Depth=1
	v_and_b32_e32 v2, 7, v28
	v_ffbh_u32_e32 v0, v2
	v_min_u32_e32 v10, 32, v0
	v_subrev_u32_e32 v0, 28, v10
	v_lshrrev_b32_e32 v3, 3, v1
	v_cmp_gt_u32_e64 s[8:9], 8, v1
	v_lshlrev_b64 v[0:1], v0, v[28:29]
	v_sub_u32_e32 v1, 29, v10
	v_and_b32_e32 v0, 7, v0
	v_cndmask_b32_e64 v1, v3, v1, s[8:9]
	v_cndmask_b32_e64 v0, v2, v0, s[8:9]
	v_lshlrev_b32_e32 v2, 24, v28
	v_lshlrev_b32_e32 v0, 20, v0
	v_and_b32_e32 v2, 0x80000000, v2
	v_lshl_add_u32 v1, v1, 23, v5
	v_or3_b32 v0, v2, v1, v0
.LBB371_534:                            ;   in Loop: Header=BB371_10 Depth=1
	s_or_b64 exec, exec, s[34:35]
.LBB371_535:                            ;   in Loop: Header=BB371_10 Depth=1
	s_or_b64 exec, exec, s[30:31]
.LBB371_536:                            ;   in Loop: Header=BB371_10 Depth=1
	s_or_b64 exec, exec, s[28:29]
	v_mul_f32_e32 v0, v6, v0
	v_and_b32_e32 v1, 0x7f800000, v0
	v_cmp_ne_u32_e64 s[8:9], s38, v1
                                        ; implicit-def: $vgpr11
	s_and_saveexec_b64 s[28:29], s[8:9]
	s_xor_b64 s[8:9], exec, s[28:29]
; %bb.537:                              ;   in Loop: Header=BB371_10 Depth=1
	v_bfe_u32 v1, v0, 16, 1
	v_add3_u32 v11, v0, v1, s39
                                        ; implicit-def: $vgpr0
; %bb.538:                              ;   in Loop: Header=BB371_10 Depth=1
	s_andn2_saveexec_b64 s[28:29], s[8:9]
; %bb.539:                              ;   in Loop: Header=BB371_10 Depth=1
	v_or_b32_e32 v1, 0x10000, v0
	v_cmp_eq_u32_sdwa s[8:9], v0, v37 src0_sel:WORD_0 src1_sel:DWORD
	v_cndmask_b32_e64 v11, v1, v0, s[8:9]
; %bb.540:                              ;   in Loop: Header=BB371_10 Depth=1
	s_or_b64 exec, exec, s[28:29]
	v_lshrrev_b16_e32 v30, 8, v28
	v_cmp_ne_u16_e64 s[8:9], 0, v30
	v_mov_b32_e32 v0, 0
	s_and_saveexec_b64 s[28:29], s[8:9]
	s_cbranch_execz .LBB371_546
; %bb.541:                              ;   in Loop: Header=BB371_10 Depth=1
	v_cmp_ne_u16_e64 s[8:9], s21, v30
	v_bfrev_b32_e32 v0, 1
	s_and_saveexec_b64 s[30:31], s[8:9]
	s_cbranch_execz .LBB371_545
; %bb.542:                              ;   in Loop: Header=BB371_10 Depth=1
	v_and_b32_e32 v1, 0x7f, v30
	v_cmp_ne_u32_e64 s[8:9], s37, v1
	v_mov_b32_e32 v0, 0x7f800001
	s_and_saveexec_b64 s[34:35], s[8:9]
	s_cbranch_execz .LBB371_544
; %bb.543:                              ;   in Loop: Header=BB371_10 Depth=1
	v_and_b32_e32 v2, 7, v30
	v_ffbh_u32_e32 v0, v2
	v_min_u32_e32 v10, 32, v0
	v_subrev_u32_e32 v0, 28, v10
	v_lshrrev_b32_e32 v3, 3, v1
	v_cmp_gt_u32_e64 s[8:9], 8, v1
	v_lshlrev_b64 v[0:1], v0, v[30:31]
	v_sub_u32_e32 v1, 29, v10
	v_and_b32_e32 v0, 7, v0
	v_cndmask_b32_e64 v1, v3, v1, s[8:9]
	v_cndmask_b32_e64 v0, v2, v0, s[8:9]
	v_lshlrev_b32_e32 v2, 16, v28
	v_lshlrev_b32_e32 v0, 20, v0
	v_and_b32_e32 v2, 0x80000000, v2
	v_lshl_add_u32 v1, v1, 23, v5
	v_or3_b32 v0, v2, v1, v0
.LBB371_544:                            ;   in Loop: Header=BB371_10 Depth=1
	s_or_b64 exec, exec, s[34:35]
.LBB371_545:                            ;   in Loop: Header=BB371_10 Depth=1
	s_or_b64 exec, exec, s[30:31]
.LBB371_546:                            ;   in Loop: Header=BB371_10 Depth=1
	s_or_b64 exec, exec, s[28:29]
	v_mul_f32_e32 v0, v6, v0
	v_and_b32_e32 v1, 0x7f800000, v0
	v_cmp_ne_u32_e64 s[8:9], s38, v1
                                        ; implicit-def: $vgpr10
	s_and_saveexec_b64 s[28:29], s[8:9]
	s_xor_b64 s[8:9], exec, s[28:29]
; %bb.547:                              ;   in Loop: Header=BB371_10 Depth=1
	v_bfe_u32 v1, v0, 16, 1
	v_add3_u32 v10, v0, v1, s39
                                        ; implicit-def: $vgpr0
; %bb.548:                              ;   in Loop: Header=BB371_10 Depth=1
	s_andn2_saveexec_b64 s[28:29], s[8:9]
; %bb.549:                              ;   in Loop: Header=BB371_10 Depth=1
	v_or_b32_e32 v1, 0x10000, v0
	v_cmp_eq_u32_sdwa s[8:9], v0, v37 src0_sel:WORD_0 src1_sel:DWORD
	v_cndmask_b32_e64 v10, v1, v0, s[8:9]
; %bb.550:                              ;   in Loop: Header=BB371_10 Depth=1
	s_or_b64 exec, exec, s[28:29]
	flat_load_ushort v0, v[20:21] offset:3336
	s_waitcnt vmcnt(0) lgkmcnt(0)
	v_and_b32_e32 v28, 0xffff, v0
	v_cmp_ne_u16_sdwa s[8:9], v0, v37 src0_sel:BYTE_0 src1_sel:DWORD
	v_mov_b32_e32 v0, 0
	s_and_saveexec_b64 s[28:29], s[8:9]
	s_cbranch_execz .LBB371_556
; %bb.551:                              ;   in Loop: Header=BB371_10 Depth=1
	v_cmp_ne_u16_sdwa s[8:9], v28, s21 src0_sel:BYTE_0 src1_sel:DWORD
	v_bfrev_b32_e32 v0, 1
	s_and_saveexec_b64 s[30:31], s[8:9]
	s_cbranch_execz .LBB371_555
; %bb.552:                              ;   in Loop: Header=BB371_10 Depth=1
	v_and_b32_e32 v1, 0x7f, v28
	v_cmp_ne_u32_e64 s[8:9], s37, v1
	v_mov_b32_e32 v0, 0x7f800001
	s_and_saveexec_b64 s[34:35], s[8:9]
	s_cbranch_execz .LBB371_554
; %bb.553:                              ;   in Loop: Header=BB371_10 Depth=1
	v_and_b32_e32 v2, 7, v28
	v_ffbh_u32_e32 v0, v2
	v_min_u32_e32 v14, 32, v0
	v_subrev_u32_e32 v0, 28, v14
	v_lshrrev_b32_e32 v3, 3, v1
	v_cmp_gt_u32_e64 s[8:9], 8, v1
	v_lshlrev_b64 v[0:1], v0, v[28:29]
	v_sub_u32_e32 v1, 29, v14
	v_and_b32_e32 v0, 7, v0
	v_cndmask_b32_e64 v1, v3, v1, s[8:9]
	v_cndmask_b32_e64 v0, v2, v0, s[8:9]
	v_lshlrev_b32_e32 v2, 24, v28
	v_lshlrev_b32_e32 v0, 20, v0
	v_and_b32_e32 v2, 0x80000000, v2
	v_lshl_add_u32 v1, v1, 23, v5
	v_or3_b32 v0, v2, v1, v0
.LBB371_554:                            ;   in Loop: Header=BB371_10 Depth=1
	s_or_b64 exec, exec, s[34:35]
.LBB371_555:                            ;   in Loop: Header=BB371_10 Depth=1
	s_or_b64 exec, exec, s[30:31]
.LBB371_556:                            ;   in Loop: Header=BB371_10 Depth=1
	s_or_b64 exec, exec, s[28:29]
	v_mul_f32_e32 v0, v6, v0
	v_and_b32_e32 v1, 0x7f800000, v0
	v_cmp_ne_u32_e64 s[8:9], s38, v1
                                        ; implicit-def: $vgpr1
	s_and_saveexec_b64 s[28:29], s[8:9]
	s_xor_b64 s[8:9], exec, s[28:29]
; %bb.557:                              ;   in Loop: Header=BB371_10 Depth=1
	v_bfe_u32 v1, v0, 16, 1
	v_add3_u32 v1, v0, v1, s39
                                        ; implicit-def: $vgpr0
; %bb.558:                              ;   in Loop: Header=BB371_10 Depth=1
	s_andn2_saveexec_b64 s[28:29], s[8:9]
; %bb.559:                              ;   in Loop: Header=BB371_10 Depth=1
	v_or_b32_e32 v1, 0x10000, v0
	v_cmp_eq_u32_sdwa s[8:9], v0, v37 src0_sel:WORD_0 src1_sel:DWORD
	v_cndmask_b32_e64 v1, v1, v0, s[8:9]
; %bb.560:                              ;   in Loop: Header=BB371_10 Depth=1
	s_or_b64 exec, exec, s[28:29]
	v_lshrrev_b16_e32 v30, 8, v28
	v_cmp_ne_u16_e64 s[8:9], 0, v30
	v_mov_b32_e32 v0, 0
	s_and_saveexec_b64 s[28:29], s[8:9]
	s_cbranch_execz .LBB371_566
; %bb.561:                              ;   in Loop: Header=BB371_10 Depth=1
	v_cmp_ne_u16_e64 s[8:9], s21, v30
	v_bfrev_b32_e32 v0, 1
	s_and_saveexec_b64 s[30:31], s[8:9]
	s_cbranch_execz .LBB371_565
; %bb.562:                              ;   in Loop: Header=BB371_10 Depth=1
	v_and_b32_e32 v2, 0x7f, v30
	v_cmp_ne_u32_e64 s[8:9], s37, v2
	v_mov_b32_e32 v0, 0x7f800001
	s_and_saveexec_b64 s[34:35], s[8:9]
	s_cbranch_execz .LBB371_564
; %bb.563:                              ;   in Loop: Header=BB371_10 Depth=1
	v_and_b32_e32 v0, 7, v30
	v_lshrrev_b32_e32 v14, 3, v2
	v_cmp_gt_u32_e64 s[8:9], 8, v2
	v_ffbh_u32_e32 v2, v0
	v_min_u32_e32 v15, 32, v2
	v_subrev_u32_e32 v2, 28, v15
	v_lshlrev_b64 v[2:3], v2, v[30:31]
	v_sub_u32_e32 v3, 29, v15
	v_and_b32_e32 v2, 7, v2
	v_cndmask_b32_e64 v3, v14, v3, s[8:9]
	v_cndmask_b32_e64 v0, v0, v2, s[8:9]
	v_lshlrev_b32_e32 v2, 16, v28
	v_lshlrev_b32_e32 v0, 20, v0
	v_and_b32_e32 v2, 0x80000000, v2
	v_lshl_add_u32 v3, v3, 23, v5
	v_or3_b32 v0, v2, v3, v0
.LBB371_564:                            ;   in Loop: Header=BB371_10 Depth=1
	s_or_b64 exec, exec, s[34:35]
.LBB371_565:                            ;   in Loop: Header=BB371_10 Depth=1
	s_or_b64 exec, exec, s[30:31]
.LBB371_566:                            ;   in Loop: Header=BB371_10 Depth=1
	s_or_b64 exec, exec, s[28:29]
	v_mul_f32_e32 v2, v6, v0
	v_and_b32_e32 v0, 0x7f800000, v2
	v_cmp_ne_u32_e64 s[8:9], s38, v0
                                        ; implicit-def: $vgpr0
	s_and_saveexec_b64 s[28:29], s[8:9]
	s_xor_b64 s[8:9], exec, s[28:29]
; %bb.567:                              ;   in Loop: Header=BB371_10 Depth=1
	v_bfe_u32 v0, v2, 16, 1
	v_add3_u32 v0, v2, v0, s39
                                        ; implicit-def: $vgpr2
; %bb.568:                              ;   in Loop: Header=BB371_10 Depth=1
	s_andn2_saveexec_b64 s[28:29], s[8:9]
; %bb.569:                              ;   in Loop: Header=BB371_10 Depth=1
	v_or_b32_e32 v0, 0x10000, v2
	v_cmp_eq_u32_sdwa s[8:9], v2, v37 src0_sel:WORD_0 src1_sel:DWORD
	v_cndmask_b32_e64 v0, v0, v2, s[8:9]
; %bb.570:                              ;   in Loop: Header=BB371_10 Depth=1
	s_or_b64 exec, exec, s[28:29]
	flat_load_ushort v2, v[20:21] offset:3584
	s_waitcnt vmcnt(0) lgkmcnt(0)
	v_and_b32_e32 v28, 0xffff, v2
	v_cmp_ne_u16_sdwa s[8:9], v2, v37 src0_sel:BYTE_0 src1_sel:DWORD
	v_mov_b32_e32 v2, 0
	s_and_saveexec_b64 s[28:29], s[8:9]
	s_cbranch_execz .LBB371_576
; %bb.571:                              ;   in Loop: Header=BB371_10 Depth=1
	v_cmp_ne_u16_sdwa s[8:9], v28, s21 src0_sel:BYTE_0 src1_sel:DWORD
	v_bfrev_b32_e32 v2, 1
	s_and_saveexec_b64 s[30:31], s[8:9]
	s_cbranch_execz .LBB371_575
; %bb.572:                              ;   in Loop: Header=BB371_10 Depth=1
	v_and_b32_e32 v3, 0x7f, v28
	v_cmp_ne_u32_e64 s[8:9], s37, v3
	v_mov_b32_e32 v2, 0x7f800001
	s_and_saveexec_b64 s[34:35], s[8:9]
	s_cbranch_execz .LBB371_574
; %bb.573:                              ;   in Loop: Header=BB371_10 Depth=1
	v_and_b32_e32 v14, 7, v28
	v_ffbh_u32_e32 v2, v14
	v_min_u32_e32 v29, 32, v2
	v_subrev_u32_e32 v2, 28, v29
	v_lshrrev_b32_e32 v15, 3, v3
	v_cmp_gt_u32_e64 s[8:9], 8, v3
	v_lshlrev_b64 v[2:3], v2, v[28:29]
	v_sub_u32_e32 v3, 29, v29
	v_and_b32_e32 v2, 7, v2
	v_cndmask_b32_e64 v3, v15, v3, s[8:9]
	v_cndmask_b32_e64 v2, v14, v2, s[8:9]
	v_lshlrev_b32_e32 v14, 24, v28
	v_lshlrev_b32_e32 v2, 20, v2
	v_and_b32_e32 v14, 0x80000000, v14
	v_lshl_add_u32 v3, v3, 23, v5
	v_or3_b32 v2, v14, v3, v2
.LBB371_574:                            ;   in Loop: Header=BB371_10 Depth=1
	s_or_b64 exec, exec, s[34:35]
.LBB371_575:                            ;   in Loop: Header=BB371_10 Depth=1
	s_or_b64 exec, exec, s[30:31]
.LBB371_576:                            ;   in Loop: Header=BB371_10 Depth=1
	s_or_b64 exec, exec, s[28:29]
	v_mul_f32_e32 v2, v6, v2
	v_and_b32_e32 v3, 0x7f800000, v2
	v_cmp_ne_u32_e64 s[8:9], s38, v3
                                        ; implicit-def: $vgpr3
	s_and_saveexec_b64 s[28:29], s[8:9]
	s_xor_b64 s[8:9], exec, s[28:29]
; %bb.577:                              ;   in Loop: Header=BB371_10 Depth=1
	v_bfe_u32 v3, v2, 16, 1
	v_add3_u32 v3, v2, v3, s39
                                        ; implicit-def: $vgpr2
; %bb.578:                              ;   in Loop: Header=BB371_10 Depth=1
	s_andn2_saveexec_b64 s[28:29], s[8:9]
; %bb.579:                              ;   in Loop: Header=BB371_10 Depth=1
	v_or_b32_e32 v3, 0x10000, v2
	v_cmp_eq_u32_sdwa s[8:9], v2, v37 src0_sel:WORD_0 src1_sel:DWORD
	v_cndmask_b32_e64 v3, v3, v2, s[8:9]
; %bb.580:                              ;   in Loop: Header=BB371_10 Depth=1
	s_or_b64 exec, exec, s[28:29]
	v_lshrrev_b16_e32 v30, 8, v28
	v_cmp_ne_u16_e64 s[8:9], 0, v30
	v_mov_b32_e32 v2, 0
	s_and_saveexec_b64 s[28:29], s[8:9]
	s_cbranch_execz .LBB371_586
; %bb.581:                              ;   in Loop: Header=BB371_10 Depth=1
	v_cmp_ne_u16_e64 s[8:9], s21, v30
	v_bfrev_b32_e32 v2, 1
	s_and_saveexec_b64 s[30:31], s[8:9]
	s_cbranch_execz .LBB371_585
; %bb.582:                              ;   in Loop: Header=BB371_10 Depth=1
	v_and_b32_e32 v15, 0x7f, v30
	v_cmp_ne_u32_e64 s[8:9], s37, v15
	v_mov_b32_e32 v2, 0x7f800001
	s_and_saveexec_b64 s[34:35], s[8:9]
	s_cbranch_execz .LBB371_584
; %bb.583:                              ;   in Loop: Header=BB371_10 Depth=1
	v_and_b32_e32 v2, 7, v30
	v_ffbh_u32_e32 v14, v2
	v_min_u32_e32 v31, 32, v14
	v_subrev_u32_e32 v14, 28, v31
	v_lshrrev_b32_e32 v29, 3, v15
	v_cmp_gt_u32_e64 s[8:9], 8, v15
	v_lshlrev_b64 v[14:15], v14, v[30:31]
	v_sub_u32_e32 v15, 29, v31
	v_and_b32_e32 v14, 7, v14
	v_cndmask_b32_e64 v15, v29, v15, s[8:9]
	v_cndmask_b32_e64 v2, v2, v14, s[8:9]
	v_lshlrev_b32_e32 v14, 16, v28
	v_lshlrev_b32_e32 v2, 20, v2
	v_and_b32_e32 v14, 0x80000000, v14
	v_lshl_add_u32 v15, v15, 23, v5
	v_or3_b32 v2, v14, v15, v2
.LBB371_584:                            ;   in Loop: Header=BB371_10 Depth=1
	s_or_b64 exec, exec, s[34:35]
.LBB371_585:                            ;   in Loop: Header=BB371_10 Depth=1
	s_or_b64 exec, exec, s[30:31]
.LBB371_586:                            ;   in Loop: Header=BB371_10 Depth=1
	s_or_b64 exec, exec, s[28:29]
	v_mul_f32_e32 v15, v6, v2
	v_and_b32_e32 v2, 0x7f800000, v15
	v_cmp_ne_u32_e64 s[8:9], s38, v2
                                        ; implicit-def: $vgpr2
	s_and_saveexec_b64 s[28:29], s[8:9]
	s_xor_b64 s[8:9], exec, s[28:29]
; %bb.587:                              ;   in Loop: Header=BB371_10 Depth=1
	v_bfe_u32 v2, v15, 16, 1
	v_add3_u32 v2, v15, v2, s39
                                        ; implicit-def: $vgpr15
; %bb.588:                              ;   in Loop: Header=BB371_10 Depth=1
	s_andn2_saveexec_b64 s[28:29], s[8:9]
; %bb.589:                              ;   in Loop: Header=BB371_10 Depth=1
	v_or_b32_e32 v2, 0x10000, v15
	v_cmp_eq_u32_sdwa s[8:9], v15, v37 src0_sel:WORD_0 src1_sel:DWORD
	v_cndmask_b32_e64 v2, v2, v15, s[8:9]
; %bb.590:                              ;   in Loop: Header=BB371_10 Depth=1
	s_or_b64 exec, exec, s[28:29]
	flat_load_ushort v14, v[20:21] offset:3592
	v_mov_b32_e32 v29, 0
	s_waitcnt vmcnt(0) lgkmcnt(0)
	v_and_b32_e32 v28, 0xffff, v14
	v_cmp_ne_u16_sdwa s[8:9], v14, v37 src0_sel:BYTE_0 src1_sel:DWORD
	s_and_saveexec_b64 s[28:29], s[8:9]
	s_cbranch_execz .LBB371_596
; %bb.591:                              ;   in Loop: Header=BB371_10 Depth=1
	v_cmp_ne_u16_sdwa s[8:9], v28, s21 src0_sel:BYTE_0 src1_sel:DWORD
	v_bfrev_b32_e32 v29, 1
	s_and_saveexec_b64 s[30:31], s[8:9]
	s_cbranch_execz .LBB371_595
; %bb.592:                              ;   in Loop: Header=BB371_10 Depth=1
	v_and_b32_e32 v15, 0x7f, v28
	v_cmp_ne_u32_e64 s[8:9], s37, v15
	v_mov_b32_e32 v29, 0x7f800001
	s_and_saveexec_b64 s[34:35], s[8:9]
	s_cbranch_execz .LBB371_594
; %bb.593:                              ;   in Loop: Header=BB371_10 Depth=1
	v_and_b32_e32 v29, 7, v28
	v_ffbh_u32_e32 v14, v29
	v_min_u32_e32 v31, 32, v14
	v_subrev_u32_e32 v14, 28, v31
	v_lshrrev_b32_e32 v30, 3, v15
	v_cmp_gt_u32_e64 s[8:9], 8, v15
	v_lshlrev_b64 v[14:15], v14, v[28:29]
	v_sub_u32_e32 v15, 29, v31
	v_and_b32_e32 v14, 7, v14
	v_cndmask_b32_e64 v15, v30, v15, s[8:9]
	v_cndmask_b32_e64 v14, v29, v14, s[8:9]
	v_lshlrev_b32_e32 v29, 24, v28
	v_lshlrev_b32_e32 v14, 20, v14
	v_and_b32_e32 v29, 0x80000000, v29
	v_lshl_add_u32 v15, v15, 23, v5
	v_or3_b32 v29, v29, v15, v14
.LBB371_594:                            ;   in Loop: Header=BB371_10 Depth=1
	s_or_b64 exec, exec, s[34:35]
.LBB371_595:                            ;   in Loop: Header=BB371_10 Depth=1
	s_or_b64 exec, exec, s[30:31]
.LBB371_596:                            ;   in Loop: Header=BB371_10 Depth=1
	s_or_b64 exec, exec, s[28:29]
	v_mul_f32_e32 v15, v6, v29
	v_and_b32_e32 v14, 0x7f800000, v15
	v_cmp_ne_u32_e64 s[8:9], s38, v14
                                        ; implicit-def: $vgpr29
	s_and_saveexec_b64 s[28:29], s[8:9]
	s_xor_b64 s[8:9], exec, s[28:29]
; %bb.597:                              ;   in Loop: Header=BB371_10 Depth=1
	v_bfe_u32 v14, v15, 16, 1
	v_add3_u32 v29, v15, v14, s39
                                        ; implicit-def: $vgpr15
; %bb.598:                              ;   in Loop: Header=BB371_10 Depth=1
	s_andn2_saveexec_b64 s[28:29], s[8:9]
; %bb.599:                              ;   in Loop: Header=BB371_10 Depth=1
	v_or_b32_e32 v14, 0x10000, v15
	v_cmp_eq_u32_sdwa s[8:9], v15, v37 src0_sel:WORD_0 src1_sel:DWORD
	v_cndmask_b32_e64 v29, v14, v15, s[8:9]
; %bb.600:                              ;   in Loop: Header=BB371_10 Depth=1
	s_or_b64 exec, exec, s[28:29]
	v_lshrrev_b16_e32 v30, 8, v28
	v_cmp_ne_u16_e64 s[8:9], 0, v30
	v_mov_b32_e32 v31, 0
	s_and_saveexec_b64 s[28:29], s[8:9]
	s_cbranch_execz .LBB371_606
; %bb.601:                              ;   in Loop: Header=BB371_10 Depth=1
	v_cmp_ne_u16_e64 s[8:9], s21, v30
	v_bfrev_b32_e32 v31, 1
	s_and_saveexec_b64 s[30:31], s[8:9]
	s_cbranch_execz .LBB371_605
; %bb.602:                              ;   in Loop: Header=BB371_10 Depth=1
	v_and_b32_e32 v15, 0x7f, v30
	v_cmp_ne_u32_e64 s[8:9], s37, v15
	v_mov_b32_e32 v31, 0x7f800001
	s_and_saveexec_b64 s[34:35], s[8:9]
	s_cbranch_execz .LBB371_604
; %bb.603:                              ;   in Loop: Header=BB371_10 Depth=1
	v_and_b32_e32 v31, 7, v30
	v_ffbh_u32_e32 v14, v31
	v_min_u32_e32 v27, 32, v14
	v_subrev_u32_e32 v14, 28, v27
	v_lshrrev_b32_e32 v39, 3, v15
	v_cmp_gt_u32_e64 s[8:9], 8, v15
	v_lshlrev_b64 v[14:15], v14, v[30:31]
	v_sub_u32_e32 v15, 29, v27
	v_and_b32_e32 v14, 7, v14
	v_cndmask_b32_e64 v15, v39, v15, s[8:9]
	v_cndmask_b32_e64 v14, v31, v14, s[8:9]
	v_lshlrev_b32_e32 v27, 16, v28
	v_lshlrev_b32_e32 v14, 20, v14
	v_and_b32_e32 v27, 0x80000000, v27
	v_lshl_add_u32 v15, v15, 23, v5
	v_or3_b32 v31, v27, v15, v14
	buffer_load_dword v27, off, s[0:3], s32 offset:296 ; 4-byte Folded Reload
.LBB371_604:                            ;   in Loop: Header=BB371_10 Depth=1
	s_or_b64 exec, exec, s[34:35]
.LBB371_605:                            ;   in Loop: Header=BB371_10 Depth=1
	s_or_b64 exec, exec, s[30:31]
.LBB371_606:                            ;   in Loop: Header=BB371_10 Depth=1
	s_or_b64 exec, exec, s[28:29]
	v_mul_f32_e32 v15, v6, v31
	v_and_b32_e32 v14, 0x7f800000, v15
	v_cmp_ne_u32_e64 s[8:9], s38, v14
                                        ; implicit-def: $vgpr31
	s_and_saveexec_b64 s[28:29], s[8:9]
	s_xor_b64 s[8:9], exec, s[28:29]
; %bb.607:                              ;   in Loop: Header=BB371_10 Depth=1
	v_bfe_u32 v14, v15, 16, 1
	v_add3_u32 v31, v15, v14, s39
                                        ; implicit-def: $vgpr15
; %bb.608:                              ;   in Loop: Header=BB371_10 Depth=1
	s_andn2_saveexec_b64 s[28:29], s[8:9]
; %bb.609:                              ;   in Loop: Header=BB371_10 Depth=1
	v_or_b32_e32 v14, 0x10000, v15
	v_cmp_eq_u32_sdwa s[8:9], v15, v37 src0_sel:WORD_0 src1_sel:DWORD
	v_cndmask_b32_e64 v31, v14, v15, s[8:9]
; %bb.610:                              ;   in Loop: Header=BB371_10 Depth=1
	s_or_b64 exec, exec, s[28:29]
	flat_load_ushort v14, v[20:21] offset:3840
	v_mov_b32_e32 v30, 0
	s_waitcnt vmcnt(0) lgkmcnt(0)
	v_and_b32_e32 v28, 0xffff, v14
	v_cmp_ne_u16_sdwa s[8:9], v14, v37 src0_sel:BYTE_0 src1_sel:DWORD
	s_and_saveexec_b64 s[28:29], s[8:9]
	s_cbranch_execz .LBB371_616
; %bb.611:                              ;   in Loop: Header=BB371_10 Depth=1
	v_cmp_ne_u16_sdwa s[8:9], v28, s21 src0_sel:BYTE_0 src1_sel:DWORD
	v_bfrev_b32_e32 v30, 1
	s_and_saveexec_b64 s[30:31], s[8:9]
	s_cbranch_execz .LBB371_615
; %bb.612:                              ;   in Loop: Header=BB371_10 Depth=1
	v_and_b32_e32 v15, 0x7f, v28
	v_cmp_ne_u32_e64 s[8:9], s37, v15
	v_mov_b32_e32 v30, 0x7f800001
	s_and_saveexec_b64 s[34:35], s[8:9]
	s_cbranch_execz .LBB371_614
; %bb.613:                              ;   in Loop: Header=BB371_10 Depth=1
	v_and_b32_e32 v27, 7, v28
	v_ffbh_u32_e32 v14, v27
	v_min_u32_e32 v39, 32, v14
	v_subrev_u32_e32 v14, 28, v39
	v_lshrrev_b32_e32 v30, 3, v15
	v_cmp_gt_u32_e64 s[8:9], 8, v15
	v_lshlrev_b64 v[14:15], v14, v[28:29]
	v_sub_u32_e32 v15, 29, v39
	v_and_b32_e32 v14, 7, v14
	v_cndmask_b32_e64 v15, v30, v15, s[8:9]
	v_cndmask_b32_e64 v14, v27, v14, s[8:9]
	v_lshlrev_b32_e32 v27, 24, v28
	v_lshlrev_b32_e32 v14, 20, v14
	v_and_b32_e32 v27, 0x80000000, v27
	v_lshl_add_u32 v15, v15, 23, v5
	v_or3_b32 v30, v27, v15, v14
	buffer_load_dword v27, off, s[0:3], s32 offset:296 ; 4-byte Folded Reload
.LBB371_614:                            ;   in Loop: Header=BB371_10 Depth=1
	s_or_b64 exec, exec, s[34:35]
.LBB371_615:                            ;   in Loop: Header=BB371_10 Depth=1
	s_or_b64 exec, exec, s[30:31]
.LBB371_616:                            ;   in Loop: Header=BB371_10 Depth=1
	s_or_b64 exec, exec, s[28:29]
	v_mul_f32_e32 v15, v6, v30
	v_and_b32_e32 v14, 0x7f800000, v15
	v_cmp_ne_u32_e64 s[8:9], s38, v14
                                        ; implicit-def: $vgpr39
	s_and_saveexec_b64 s[28:29], s[8:9]
	s_xor_b64 s[8:9], exec, s[28:29]
; %bb.617:                              ;   in Loop: Header=BB371_10 Depth=1
	v_bfe_u32 v14, v15, 16, 1
	v_add3_u32 v39, v15, v14, s39
                                        ; implicit-def: $vgpr15
; %bb.618:                              ;   in Loop: Header=BB371_10 Depth=1
	s_andn2_saveexec_b64 s[28:29], s[8:9]
; %bb.619:                              ;   in Loop: Header=BB371_10 Depth=1
	v_or_b32_e32 v14, 0x10000, v15
	v_cmp_eq_u32_sdwa s[8:9], v15, v37 src0_sel:WORD_0 src1_sel:DWORD
	v_cndmask_b32_e64 v39, v14, v15, s[8:9]
; %bb.620:                              ;   in Loop: Header=BB371_10 Depth=1
	s_or_b64 exec, exec, s[28:29]
	v_lshrrev_b16_e32 v30, 8, v28
	v_cmp_ne_u16_e64 s[8:9], 0, v30
	v_mov_b32_e32 v15, 0
	s_and_saveexec_b64 s[28:29], s[8:9]
	s_cbranch_execz .LBB371_626
; %bb.621:                              ;   in Loop: Header=BB371_10 Depth=1
	v_cmp_ne_u16_e64 s[8:9], s21, v30
	v_bfrev_b32_e32 v15, 1
	s_and_saveexec_b64 s[30:31], s[8:9]
	s_cbranch_execz .LBB371_625
; %bb.622:                              ;   in Loop: Header=BB371_10 Depth=1
	v_and_b32_e32 v14, 0x7f, v30
	v_cmp_ne_u32_e64 s[8:9], s37, v14
	v_mov_b32_e32 v15, 0x7f800001
	s_and_saveexec_b64 s[34:35], s[8:9]
	s_cbranch_execz .LBB371_624
; %bb.623:                              ;   in Loop: Header=BB371_10 Depth=1
	s_waitcnt vmcnt(0)
	v_and_b32_e32 v27, 7, v30
	v_lshrrev_b32_e32 v26, 3, v14
	v_cmp_gt_u32_e64 s[8:9], 8, v14
	v_ffbh_u32_e32 v14, v27
	v_min_u32_e32 v22, 32, v14
	v_subrev_u32_e32 v14, 28, v22
	v_lshlrev_b64 v[14:15], v14, v[30:31]
	v_sub_u32_e32 v15, 29, v22
	v_and_b32_e32 v14, 7, v14
	v_cndmask_b32_e64 v15, v26, v15, s[8:9]
	v_cndmask_b32_e64 v14, v27, v14, s[8:9]
	v_lshlrev_b32_e32 v22, 16, v28
	v_lshlrev_b32_e32 v14, 20, v14
	v_and_b32_e32 v22, 0x80000000, v22
	v_lshl_add_u32 v15, v15, 23, v5
	buffer_load_dword v26, off, s[0:3], s32 offset:300 ; 4-byte Folded Reload
	v_or3_b32 v15, v22, v15, v14
	buffer_load_dword v22, off, s[0:3], s32 offset:304 ; 4-byte Folded Reload
	buffer_load_dword v27, off, s[0:3], s32 offset:296 ; 4-byte Folded Reload
.LBB371_624:                            ;   in Loop: Header=BB371_10 Depth=1
	s_or_b64 exec, exec, s[34:35]
.LBB371_625:                            ;   in Loop: Header=BB371_10 Depth=1
	s_or_b64 exec, exec, s[30:31]
.LBB371_626:                            ;   in Loop: Header=BB371_10 Depth=1
	s_or_b64 exec, exec, s[28:29]
	v_mul_f32_e32 v15, v6, v15
	v_and_b32_e32 v14, 0x7f800000, v15
	v_cmp_ne_u32_e64 s[8:9], s38, v14
                                        ; implicit-def: $vgpr30
	s_and_saveexec_b64 s[28:29], s[8:9]
	s_xor_b64 s[8:9], exec, s[28:29]
; %bb.627:                              ;   in Loop: Header=BB371_10 Depth=1
	v_bfe_u32 v14, v15, 16, 1
	v_add3_u32 v30, v15, v14, s39
                                        ; implicit-def: $vgpr15
; %bb.628:                              ;   in Loop: Header=BB371_10 Depth=1
	s_andn2_saveexec_b64 s[28:29], s[8:9]
; %bb.629:                              ;   in Loop: Header=BB371_10 Depth=1
	v_or_b32_e32 v14, 0x10000, v15
	v_cmp_eq_u32_sdwa s[8:9], v15, v37 src0_sel:WORD_0 src1_sel:DWORD
	v_cndmask_b32_e64 v30, v14, v15, s[8:9]
; %bb.630:                              ;   in Loop: Header=BB371_10 Depth=1
	s_or_b64 exec, exec, s[28:29]
	flat_load_ushort v14, v[20:21] offset:3848
	v_mov_b32_e32 v15, 0
	s_waitcnt vmcnt(0) lgkmcnt(0)
	v_and_b32_e32 v20, 0xffff, v14
	v_cmp_ne_u16_sdwa s[8:9], v14, v37 src0_sel:BYTE_0 src1_sel:DWORD
	s_and_saveexec_b64 s[28:29], s[8:9]
	s_cbranch_execz .LBB371_636
; %bb.631:                              ;   in Loop: Header=BB371_10 Depth=1
	v_cmp_ne_u16_sdwa s[8:9], v20, s21 src0_sel:BYTE_0 src1_sel:DWORD
	v_bfrev_b32_e32 v15, 1
	s_and_saveexec_b64 s[30:31], s[8:9]
	s_cbranch_execz .LBB371_635
; %bb.632:                              ;   in Loop: Header=BB371_10 Depth=1
	v_and_b32_e32 v14, 0x7f, v20
	v_cmp_ne_u32_e64 s[8:9], s37, v14
	v_mov_b32_e32 v15, 0x7f800001
	s_and_saveexec_b64 s[34:35], s[8:9]
	s_cbranch_execz .LBB371_634
; %bb.633:                              ;   in Loop: Header=BB371_10 Depth=1
	v_and_b32_e32 v21, 7, v20
	v_lshrrev_b32_e32 v22, 3, v14
	v_cmp_gt_u32_e64 s[8:9], 8, v14
	v_ffbh_u32_e32 v14, v21
	v_min_u32_e32 v26, 32, v14
	v_subrev_u32_e32 v14, 28, v26
	v_lshlrev_b64 v[14:15], v14, v[20:21]
	v_sub_u32_e32 v15, 29, v26
	buffer_load_dword v26, off, s[0:3], s32 offset:300 ; 4-byte Folded Reload
	v_cndmask_b32_e64 v15, v22, v15, s[8:9]
	buffer_load_dword v22, off, s[0:3], s32 offset:304 ; 4-byte Folded Reload
	v_and_b32_e32 v14, 7, v14
	v_cndmask_b32_e64 v14, v21, v14, s[8:9]
	v_lshlrev_b32_e32 v21, 24, v20
	v_lshlrev_b32_e32 v14, 20, v14
	v_and_b32_e32 v21, 0x80000000, v21
	v_lshl_add_u32 v15, v15, 23, v5
	v_or3_b32 v15, v21, v15, v14
.LBB371_634:                            ;   in Loop: Header=BB371_10 Depth=1
	s_or_b64 exec, exec, s[34:35]
.LBB371_635:                            ;   in Loop: Header=BB371_10 Depth=1
	s_or_b64 exec, exec, s[30:31]
.LBB371_636:                            ;   in Loop: Header=BB371_10 Depth=1
	s_or_b64 exec, exec, s[28:29]
	v_mul_f32_e32 v15, v6, v15
	v_and_b32_e32 v14, 0x7f800000, v15
	v_cmp_ne_u32_e64 s[8:9], s38, v14
                                        ; implicit-def: $vgpr21
	s_and_saveexec_b64 s[28:29], s[8:9]
	s_xor_b64 s[8:9], exec, s[28:29]
; %bb.637:                              ;   in Loop: Header=BB371_10 Depth=1
	v_bfe_u32 v14, v15, 16, 1
	v_add3_u32 v21, v15, v14, s39
                                        ; implicit-def: $vgpr15
; %bb.638:                              ;   in Loop: Header=BB371_10 Depth=1
	s_andn2_saveexec_b64 s[28:29], s[8:9]
; %bb.639:                              ;   in Loop: Header=BB371_10 Depth=1
	v_or_b32_e32 v14, 0x10000, v15
	v_cmp_eq_u32_sdwa s[8:9], v15, v37 src0_sel:WORD_0 src1_sel:DWORD
	v_cndmask_b32_e64 v21, v14, v15, s[8:9]
; %bb.640:                              ;   in Loop: Header=BB371_10 Depth=1
	s_or_b64 exec, exec, s[28:29]
	v_lshrrev_b16_e32 v28, 8, v20
	v_cmp_ne_u16_e64 s[8:9], 0, v28
	v_mov_b32_e32 v15, 0
	s_and_saveexec_b64 s[28:29], s[8:9]
	s_cbranch_execz .LBB371_646
; %bb.641:                              ;   in Loop: Header=BB371_10 Depth=1
	v_cmp_ne_u16_e64 s[8:9], s21, v28
	v_bfrev_b32_e32 v15, 1
	s_and_saveexec_b64 s[30:31], s[8:9]
	s_cbranch_execz .LBB371_645
; %bb.642:                              ;   in Loop: Header=BB371_10 Depth=1
	v_and_b32_e32 v14, 0x7f, v28
	v_cmp_ne_u32_e64 s[8:9], s37, v14
	v_mov_b32_e32 v15, 0x7f800001
	s_and_saveexec_b64 s[34:35], s[8:9]
	s_cbranch_execz .LBB371_644
; %bb.643:                              ;   in Loop: Header=BB371_10 Depth=1
	s_waitcnt vmcnt(0)
	v_and_b32_e32 v22, 7, v28
	v_lshrrev_b32_e32 v26, 3, v14
	v_cmp_gt_u32_e64 s[8:9], 8, v14
	v_ffbh_u32_e32 v14, v22
	v_min_u32_e32 v27, 32, v14
	v_subrev_u32_e32 v14, 28, v27
	v_lshlrev_b64 v[14:15], v14, v[28:29]
	v_sub_u32_e32 v15, 29, v27
	v_and_b32_e32 v14, 7, v14
	buffer_load_dword v27, off, s[0:3], s32 offset:296 ; 4-byte Folded Reload
	v_cndmask_b32_e64 v15, v26, v15, s[8:9]
	buffer_load_dword v26, off, s[0:3], s32 offset:300 ; 4-byte Folded Reload
	v_cndmask_b32_e64 v14, v22, v14, s[8:9]
	buffer_load_dword v22, off, s[0:3], s32 offset:304 ; 4-byte Folded Reload
	v_lshlrev_b32_e32 v20, 16, v20
	v_lshlrev_b32_e32 v14, 20, v14
	v_and_b32_e32 v20, 0x80000000, v20
	v_lshl_add_u32 v15, v15, 23, v5
	v_or3_b32 v15, v20, v15, v14
.LBB371_644:                            ;   in Loop: Header=BB371_10 Depth=1
	s_or_b64 exec, exec, s[34:35]
.LBB371_645:                            ;   in Loop: Header=BB371_10 Depth=1
	s_or_b64 exec, exec, s[30:31]
.LBB371_646:                            ;   in Loop: Header=BB371_10 Depth=1
	s_or_b64 exec, exec, s[28:29]
	v_mul_f32_e32 v15, v6, v15
	v_and_b32_e32 v6, 0x7f800000, v15
	v_cmp_ne_u32_e64 s[8:9], s38, v6
                                        ; implicit-def: $vgpr6
	s_and_saveexec_b64 s[28:29], s[8:9]
	s_xor_b64 s[8:9], exec, s[28:29]
; %bb.647:                              ;   in Loop: Header=BB371_10 Depth=1
	v_bfe_u32 v6, v15, 16, 1
	v_add3_u32 v6, v15, v6, s39
                                        ; implicit-def: $vgpr15
; %bb.648:                              ;   in Loop: Header=BB371_10 Depth=1
	s_andn2_saveexec_b64 s[28:29], s[8:9]
; %bb.649:                              ;   in Loop: Header=BB371_10 Depth=1
	v_or_b32_e32 v6, 0x10000, v15
	v_cmp_eq_u32_sdwa s[8:9], v15, v37 src0_sel:WORD_0 src1_sel:DWORD
	v_cndmask_b32_e64 v6, v6, v15, s[8:9]
; %bb.650:                              ;   in Loop: Header=BB371_10 Depth=1
	s_or_b64 exec, exec, s[28:29]
	buffer_load_dword v28, off, s[0:3], s32 offset:192 ; 4-byte Folded Reload
	v_accvgpr_read_b32 v14, a37
	v_and_b32_e32 v14, 0xffff0000, v14
	v_accvgpr_read_b32 v15, a35
	v_and_b32_e32 v15, 0xffff0000, v15
	s_waitcnt vmcnt(3)
	v_mul_f32_e32 v20, v27, v14
	v_accvgpr_read_b32 v14, a38
	s_waitcnt vmcnt(2)
	v_fmac_f32_e32 v20, v26, v15
	v_and_b32_e32 v14, 0xffff0000, v14
	v_accvgpr_read_b32 v15, a36
	v_and_b32_e32 v15, 0xffff0000, v15
	v_and_b32_e32 v12, 0xffff0000, v12
	;; [unrolled: 1-line block ×6, first 2 shown]
	s_waitcnt vmcnt(0)
	v_mul_f32_e32 v28, v28, v14
	v_fmac_f32_e32 v28, v22, v15
	buffer_load_dword v15, off, s[0:3], s32 offset:196 ; 4-byte Folded Reload
	v_accvgpr_read_b32 v14, a39
	v_and_b32_e32 v14, 0xffff0000, v14
	s_waitcnt vmcnt(0)
	v_fmac_f32_e32 v20, v15, v14
	buffer_load_dword v15, off, s[0:3], s32 offset:200 ; 4-byte Folded Reload
	v_accvgpr_read_b32 v14, a40
	v_and_b32_e32 v14, 0xffff0000, v14
	s_waitcnt vmcnt(0)
	;; [unrolled: 5-line block ×15, first 2 shown]
	v_fmac_f32_e32 v20, v15, v14
	buffer_load_dword v15, off, s[0:3], s32 offset:256 ; 4-byte Folded Reload
	v_and_b32_e32 v14, 0xffff0000, v48
	s_waitcnt vmcnt(0)
	v_fmac_f32_e32 v28, v15, v14
	buffer_load_dword v15, off, s[0:3], s32 offset:260 ; 4-byte Folded Reload
	v_and_b32_e32 v14, 0xffff0000, v49
	s_waitcnt vmcnt(0)
	;; [unrolled: 4-line block ×9, first 2 shown]
	v_fmac_f32_e32 v28, v15, v14
	v_and_b32_e32 v14, 0xffff0000, v41
	v_accvgpr_read_b32 v15, a54
	v_fmac_f32_e32 v20, v15, v14
	v_and_b32_e32 v14, 0xffff0000, v42
	v_accvgpr_read_b32 v15, a55
	v_fmac_f32_e32 v28, v15, v14
	v_and_b32_e32 v14, 0xffff0000, v43
	v_accvgpr_read_b32 v15, a56
	v_fmac_f32_e32 v20, v15, v14
	v_and_b32_e32 v14, 0xffff0000, v44
	v_accvgpr_read_b32 v15, a57
	v_fmac_f32_e32 v28, v15, v14
	v_and_b32_e32 v14, 0xffff0000, v45
	v_accvgpr_read_b32 v15, a58
	v_fmac_f32_e32 v20, v15, v14
	v_and_b32_e32 v14, 0xffff0000, v46
	v_accvgpr_read_b32 v15, a59
	v_fmac_f32_e32 v28, v15, v14
	v_and_b32_e32 v14, 0xffff0000, v47
	v_accvgpr_read_b32 v15, a60
	v_fmac_f32_e32 v20, v15, v14
	v_and_b32_e32 v14, 0xffff0000, v56
	v_accvgpr_read_b32 v15, a61
	v_fmac_f32_e32 v28, v15, v14
	v_and_b32_e32 v14, 0xffff0000, v57
	v_accvgpr_read_b32 v15, a62
	v_fmac_f32_e32 v20, v15, v14
	v_and_b32_e32 v14, 0xffff0000, v59
	v_accvgpr_read_b32 v15, a63
	v_fmac_f32_e32 v28, v15, v14
	v_and_b32_e32 v14, 0xffff0000, v60
	v_accvgpr_read_b32 v15, a16
	v_fmac_f32_e32 v20, v15, v14
	v_accvgpr_read_b32 v14, a17
	v_fmac_f32_e32 v28, v14, v12
	v_and_b32_e32 v12, 0xffff0000, v33
	v_accvgpr_read_b32 v14, a20
	v_fmac_f32_e32 v20, v14, v12
	v_and_b32_e32 v12, 0xffff0000, v23
	;; [unrolled: 3-line block ×3, first 2 shown]
	v_accvgpr_read_b32 v14, a19
	v_fmac_f32_e32 v20, v14, v12
	v_accvgpr_read_b32 v12, a25
	v_fmac_f32_e32 v28, v12, v8
	v_and_b32_e32 v8, 0xffff0000, v9
	v_accvgpr_read_b32 v9, a24
	v_fmac_f32_e32 v20, v9, v8
	v_and_b32_e32 v8, 0xffff0000, v58
	;; [unrolled: 3-line block ×5, first 2 shown]
	v_accvgpr_read_b32 v9, a1
	v_fmac_f32_e32 v20, v9, v8
	v_accvgpr_read_b32 v8, a13
	v_fmac_f32_e32 v28, v8, v7
	v_and_b32_e32 v7, 0xffff0000, v36
	v_accvgpr_read_b32 v8, a14
	v_fmac_f32_e32 v20, v8, v7
	v_and_b32_e32 v7, 0xffff0000, v35
	;; [unrolled: 3-line block ×4, first 2 shown]
	v_accvgpr_read_b32 v8, a7
	v_fmac_f32_e32 v28, v8, v7
	v_accvgpr_read_b32 v7, a10
	v_fmac_f32_e32 v20, v7, v1
	;; [unrolled: 2-line block ×3, first 2 shown]
	v_and_b32_e32 v0, 0xffff0000, v3
	v_accvgpr_read_b32 v1, a9
	v_fmac_f32_e32 v20, v1, v0
	v_and_b32_e32 v0, 0xffff0000, v2
	v_accvgpr_read_b32 v1, a6
	v_fmac_f32_e32 v28, v1, v0
	;; [unrolled: 3-line block ×8, first 2 shown]
	v_add_f32_e32 v0, v20, v28
	v_accvgpr_read_b32 v1, a32
	ds_bpermute_b32 v1, v1, v0
	s_waitcnt lgkmcnt(0)
	v_add_f32_e32 v0, v0, v1
	v_accvgpr_read_b32 v1, a33
	ds_bpermute_b32 v1, v1, v0
	s_and_saveexec_b64 s[28:29], vcc
	s_cbranch_execz .LBB371_9
; %bb.651:                              ;   in Loop: Header=BB371_10 Depth=1
	s_waitcnt lgkmcnt(0)
	v_add_f32_e32 v0, v0, v1
	buffer_load_dword v1, off, s[0:3], s32 offset:292 ; 4-byte Folded Reload
	v_sub_u32_e32 v2, 1, v32
	v_add_u32_e32 v2, v2, v61
	v_cvt_f32_i32_e32 v2, v2
	s_load_dword s8, s[24:25], 0x0
	v_accvgpr_read_b32 v3, a21
	s_waitcnt vmcnt(0)
	v_mul_f32_e32 v1, v1, v2
	v_cndmask_b32_e64 v1, 0, v1, s[6:7]
	s_waitcnt lgkmcnt(0)
	v_add_u32_e32 v2, s8, v62
	v_fmac_f32_e32 v1, v0, v3
	v_cmp_lt_i32_e64 s[8:9], v61, v32
	v_cndmask_b32_e64 v0, 0, v1, s[8:9]
	ds_write_b32 v2, v0
	v_max_f32_e32 v0, v13, v13
	v_max_f32_e32 v0, v0, v1
	v_cndmask_b32_e64 v13, v13, v0, s[8:9]
	s_branch .LBB371_9
.LBB371_652:
	s_or_b64 exec, exec, s[26:27]
	buffer_load_dword v14, off, s[0:3], s32 offset:308 ; 4-byte Folded Reload
	buffer_load_dword v15, off, s[0:3], s32 offset:388 ; 4-byte Folded Reload
	;; [unrolled: 1-line block ×19, first 2 shown]
.LBB371_653:
	s_or_b64 exec, exec, s[10:11]
	s_waitcnt vmcnt(1)
	v_xor_b32_e32 v0, 32, v20
	s_waitcnt vmcnt(0)
	v_cmp_lt_i32_e32 vcc, v0, v21
	v_cndmask_b32_e32 v0, v20, v0, vcc
	v_lshlrev_b32_e32 v2, 2, v0
	ds_bpermute_b32 v0, v2, v13
	v_xor_b32_e32 v3, 16, v20
	s_waitcnt lgkmcnt(0)
	v_max_f32_e32 v1, v13, v13
	v_cmp_lt_i32_e32 vcc, v3, v21
	v_xor_b32_e32 v4, 8, v20
	v_max_f32_e32 v0, v0, v0
	v_max_f32_e32 v0, v1, v0
	v_cndmask_b32_e32 v1, v20, v3, vcc
	v_lshlrev_b32_e32 v3, 2, v1
	ds_bpermute_b32 v1, v3, v0
	v_cmp_lt_i32_e32 vcc, v4, v21
	v_and_b32_e32 v22, 63, v14
	s_lshr_b32 s23, s23, 16
	s_waitcnt lgkmcnt(0)
	v_max_f32_e32 v1, v1, v1
	v_max_f32_e32 v0, v0, v1
	v_cndmask_b32_e32 v1, v20, v4, vcc
	v_lshlrev_b32_e32 v6, 2, v1
	ds_bpermute_b32 v1, v6, v0
	v_xor_b32_e32 v4, 4, v20
	v_cmp_lt_i32_e32 vcc, v4, v21
	s_waitcnt lgkmcnt(0)
	v_max_f32_e32 v1, v1, v1
	v_max_f32_e32 v0, v0, v1
	v_cndmask_b32_e32 v1, v20, v4, vcc
	v_lshlrev_b32_e32 v8, 2, v1
	ds_bpermute_b32 v1, v8, v0
	v_cmp_eq_u32_e32 vcc, 0, v22
	v_lshlrev_b32_e32 v4, 2, v29
	s_and_saveexec_b64 s[6:7], vcc
	s_cbranch_execz .LBB371_655
; %bb.654:
	s_waitcnt lgkmcnt(0)
	v_max_f32_e32 v1, v1, v1
	v_max_f32_e32 v0, v0, v0
	;; [unrolled: 1-line block ×3, first 2 shown]
	ds_write_b32 v4, v0 offset:512
.LBB371_655:
	s_or_b64 exec, exec, s[6:7]
	v_cmp_gt_u32_e64 s[6:7], 2, v22
	v_mov_b32_e32 v0, 0xff7fffff
	v_lshlrev_b32_e32 v5, 2, v22
	s_waitcnt lgkmcnt(0)
	s_barrier
	s_and_saveexec_b64 s[8:9], s[6:7]
	s_cbranch_execz .LBB371_657
; %bb.656:
	ds_read_b32 v0, v5 offset:512
.LBB371_657:
	s_or_b64 exec, exec, s[8:9]
	buffer_load_dword v7, off, s[0:3], s32 offset:188 ; 4-byte Folded Reload
	v_xor_b32_e32 v1, 1, v20
	v_cmp_lt_i32_e64 s[8:9], v1, v21
	v_cndmask_b32_e64 v1, v20, v1, s[8:9]
	v_lshlrev_b32_e32 v23, 2, v1
	s_waitcnt lgkmcnt(0)
	ds_bpermute_b32 v1, v23, v0
	v_max_f32_e32 v0, v0, v0
	v_mov_b32_e32 v19, 0
	s_waitcnt lgkmcnt(0)
	v_max_f32_e32 v1, v1, v1
	v_max_f32_e32 v0, v0, v1
	v_lshlrev_b32_e32 v1, 2, v20
	v_and_b32_e32 v9, 0xffffff00, v1
	ds_bpermute_b32 v0, v9, v0
	s_waitcnt vmcnt(0)
	v_subrev_u32_e32 v7, s15, v7
	v_lshl_add_u32 v7, v7, 4, s36
	v_min_i32_e32 v7, v7, v32
	v_subrev_u32_e32 v1, s36, v7
	v_cmp_lt_i32_e64 s[8:9], v14, v1
	s_and_saveexec_b64 s[24:25], s[8:9]
	s_cbranch_execz .LBB371_661
; %bb.658:
	s_ashr_i32 s21, s20, 31
	s_lshl_b64 s[10:11], s[20:21], 2
	s_getpc_b64 s[26:27]
	s_add_u32 s26, s26, llvm.amdgcn.dynlds.offset.table@rel32@lo+4
	s_addc_u32 s27, s27, llvm.amdgcn.dynlds.offset.table@rel32@hi+12
	s_add_u32 s10, s10, s26
	s_addc_u32 s11, s11, s27
	s_load_dword s10, s[10:11], 0x0
	s_mov_b64 s[26:27], 0
	v_mov_b32_e32 v19, 0
	v_mov_b32_e32 v12, v14
	s_waitcnt lgkmcnt(0)
	v_lshl_add_u32 v18, v14, 2, s10
.LBB371_659:                            ; =>This Inner Loop Header: Depth=1
	ds_read_b32 v13, v18
	v_add_u32_e32 v12, 0x80, v12
	v_cmp_ge_i32_e64 s[10:11], v12, v1
	s_or_b64 s[26:27], s[10:11], s[26:27]
	s_waitcnt lgkmcnt(0)
	v_sub_f32_e32 v13, v13, v0
	v_mul_f32_e32 v13, 0x3fb8aa3b, v13
	v_exp_f32_e32 v13, v13
	ds_write_b32 v18, v13
	v_add_f32_e32 v19, v19, v13
	v_add_u32_e32 v18, 0x200, v18
	s_andn2_b64 exec, exec, s[26:27]
	s_cbranch_execnz .LBB371_659
; %bb.660:
	s_or_b64 exec, exec, s[26:27]
.LBB371_661:
	s_or_b64 exec, exec, s[24:25]
	ds_bpermute_b32 v2, v2, v19
	s_waitcnt lgkmcnt(0)
	v_add_f32_e32 v2, v19, v2
	ds_bpermute_b32 v3, v3, v2
	s_waitcnt lgkmcnt(0)
	v_add_f32_e32 v2, v2, v3
	ds_bpermute_b32 v3, v6, v2
	v_xor_b32_e32 v6, 2, v20
	v_cmp_lt_i32_e64 s[10:11], v6, v21
	v_cndmask_b32_e64 v6, v20, v6, s[10:11]
	s_waitcnt lgkmcnt(0)
	v_add_f32_e32 v2, v2, v3
	ds_bpermute_b32 v3, v8, v2
	s_waitcnt lgkmcnt(0)
	v_add_f32_e32 v2, v2, v3
	v_lshlrev_b32_e32 v3, 2, v6
	ds_bpermute_b32 v3, v3, v2
	s_waitcnt lgkmcnt(0)
	v_add_f32_e32 v2, v2, v3
	ds_bpermute_b32 v3, v23, v2
	s_waitcnt lgkmcnt(0)
	v_add_f32_e32 v2, v2, v3
	s_and_saveexec_b64 s[10:11], vcc
	s_cbranch_execz .LBB371_663
; %bb.662:
	ds_write_b32 v4, v2 offset:520
.LBB371_663:
	s_or_b64 exec, exec, s[10:11]
	s_waitcnt lgkmcnt(0)
	s_barrier
	s_and_saveexec_b64 s[10:11], s[6:7]
	s_cbranch_execz .LBB371_665
; %bb.664:
	ds_read_b32 v2, v5 offset:520
.LBB371_665:
	s_or_b64 exec, exec, s[10:11]
	s_waitcnt lgkmcnt(0)
	ds_bpermute_b32 v3, v23, v2
	s_waitcnt lgkmcnt(0)
	v_add_f32_e32 v2, v2, v3
	ds_bpermute_b32 v2, v9, v2
	s_and_saveexec_b64 s[6:7], s[8:9]
	s_cbranch_execz .LBB371_678
; %bb.666:
	s_waitcnt lgkmcnt(0)
	v_add_f32_e32 v3, 0x358637bd, v2
	v_div_scale_f32 v4, s[8:9], v3, v3, 1.0
	v_rcp_f32_e32 v5, v4
	v_div_scale_f32 v6, vcc, 1.0, v3, 1.0
	s_movk_i32 s8, 0x7f
	v_fma_f32 v8, -v4, v5, 1.0
	v_fmac_f32_e32 v5, v8, v5
	v_mul_f32_e32 v8, v6, v5
	v_fma_f32 v9, -v4, v8, v6
	v_fmac_f32_e32 v8, v9, v5
	v_fma_f32 v4, -v4, v8, v6
	v_div_fmas_f32 v4, v4, v5, v8
	v_div_fixup_f32 v8, v4, v3, 1.0
	v_xad_u32 v3, v14, -1, v7
	v_subrev_u32_e32 v4, s36, v3
	v_cmp_lt_u32_e32 vcc, s8, v4
	s_mov_b64 s[10:11], -1
	v_mov_b32_e32 v3, v14
	s_and_saveexec_b64 s[8:9], vcc
	s_cbranch_execz .LBB371_675
; %bb.667:
	v_lshrrev_b32_e32 v3, 7, v4
	v_add_u32_e32 v5, -1, v3
	v_lshrrev_b32_e32 v4, 1, v5
	v_mov_b32_e32 v9, v8
	v_add_u32_e32 v4, 1, v4
	v_cmp_lt_u32_e32 vcc, 13, v5
	v_mov_b32_e32 v7, 0
	s_and_saveexec_b64 s[10:11], vcc
	s_cbranch_execz .LBB371_671
; %bb.668:
	s_ashr_i32 s21, s20, 31
	s_lshl_b64 s[24:25], s[20:21], 2
	s_getpc_b64 s[26:27]
	s_add_u32 s26, s26, llvm.amdgcn.dynlds.offset.table@rel32@lo+4
	s_addc_u32 s27, s27, llvm.amdgcn.dynlds.offset.table@rel32@hi+12
	s_add_u32 s24, s24, s26
	s_addc_u32 s25, s25, s27
	s_load_dword s21, s[24:25], 0x0
	v_and_b32_e32 v5, -8, v4
	s_mov_b32 s15, 0
	s_mov_b64 s[24:25], 0
	s_waitcnt lgkmcnt(0)
	v_lshl_add_u32 v6, v14, 2, s21
.LBB371_669:                            ; =>This Inner Loop Header: Depth=1
	ds_read2st64_b32 v[24:25], v6 offset1:2
	ds_read2st64_b32 v[12:13], v6 offset0:4 offset1:6
	ds_read2st64_b32 v[20:21], v6 offset0:8 offset1:10
	;; [unrolled: 1-line block ×3, first 2 shown]
	v_add_u32_e32 v5, -8, v5
	s_waitcnt lgkmcnt(3)
	v_pk_mul_f32 v[24:25], v[8:9], v[24:25]
	s_waitcnt lgkmcnt(2)
	v_pk_mul_f32 v[12:13], v[8:9], v[12:13]
	ds_write2st64_b32 v6, v24, v25 offset1:2
	ds_write2st64_b32 v6, v12, v13 offset0:4 offset1:6
	ds_read2st64_b32 v[12:13], v6 offset0:16 offset1:18
	s_waitcnt lgkmcnt(4)
	v_pk_mul_f32 v[20:21], v[8:9], v[20:21]
	s_waitcnt lgkmcnt(3)
	v_pk_mul_f32 v[18:19], v[8:9], v[18:19]
	ds_write2st64_b32 v6, v20, v21 offset0:8 offset1:10
	ds_write2st64_b32 v6, v18, v19 offset0:12 offset1:14
	s_waitcnt lgkmcnt(2)
	v_pk_mul_f32 v[12:13], v[8:9], v[12:13]
	ds_read2st64_b32 v[20:21], v6 offset0:20 offset1:22
	ds_read2st64_b32 v[18:19], v6 offset0:24 offset1:26
	ds_write2st64_b32 v6, v12, v13 offset0:16 offset1:18
	ds_read2st64_b32 v[12:13], v6 offset0:28 offset1:30
	s_add_i32 s15, s15, 16
	s_waitcnt lgkmcnt(3)
	v_pk_mul_f32 v[20:21], v[8:9], v[20:21]
	s_waitcnt lgkmcnt(2)
	v_pk_mul_f32 v[18:19], v[8:9], v[18:19]
	v_cmp_eq_u32_e32 vcc, 0, v5
	s_waitcnt lgkmcnt(0)
	v_pk_mul_f32 v[12:13], v[8:9], v[12:13]
	ds_write2st64_b32 v6, v20, v21 offset0:20 offset1:22
	ds_write2st64_b32 v6, v18, v19 offset0:24 offset1:26
	;; [unrolled: 1-line block ×3, first 2 shown]
	v_add_u32_e32 v6, 0x2000, v6
	s_or_b64 s[24:25], vcc, s[24:25]
	v_mov_b32_e32 v7, s15
	s_andn2_b64 exec, exec, s[24:25]
	s_cbranch_execnz .LBB371_669
; %bb.670:
	s_or_b64 exec, exec, s[24:25]
	buffer_load_dword v14, off, s[0:3], s32 offset:308 ; 4-byte Folded Reload
.LBB371_671:
	s_or_b64 exec, exec, s[10:11]
	v_and_b32_e32 v4, 7, v4
	v_cmp_ne_u32_e32 vcc, 0, v4
	s_and_saveexec_b64 s[10:11], vcc
	s_cbranch_execz .LBB371_674
; %bb.672:
	s_ashr_i32 s21, s20, 31
	s_lshl_b64 s[24:25], s[20:21], 2
	s_getpc_b64 s[26:27]
	s_add_u32 s26, s26, llvm.amdgcn.dynlds.offset.table@rel32@lo+4
	s_addc_u32 s27, s27, llvm.amdgcn.dynlds.offset.table@rel32@hi+12
	s_add_u32 s24, s24, s26
	s_addc_u32 s25, s25, s27
	s_load_dword s15, s[24:25], 0x0
	v_lshlrev_b32_e32 v5, 9, v7
	s_waitcnt vmcnt(0)
	v_lshlrev_b32_e32 v6, 2, v14
	s_mov_b64 s[24:25], 0
	s_waitcnt lgkmcnt(0)
	v_add3_u32 v5, v5, v6, s15
.LBB371_673:                            ; =>This Inner Loop Header: Depth=1
	ds_read2st64_b32 v[6:7], v5 offset1:2
	v_add_u32_e32 v4, -1, v4
	v_cmp_eq_u32_e32 vcc, 0, v4
	s_or_b64 s[24:25], vcc, s[24:25]
	s_waitcnt lgkmcnt(0)
	v_pk_mul_f32 v[6:7], v[8:9], v[6:7]
	ds_write2st64_b32 v5, v6, v7 offset1:2
	v_add_u32_e32 v5, 0x400, v5
	s_andn2_b64 exec, exec, s[24:25]
	s_cbranch_execnz .LBB371_673
.LBB371_674:
	s_or_b64 exec, exec, s[10:11]
	v_add_u32_e32 v4, 1, v3
	v_and_b32_e32 v5, 0x3fffffe, v4
	v_cmp_ne_u32_e32 vcc, v4, v5
	s_waitcnt vmcnt(0)
	v_lshl_add_u32 v3, v5, 7, v14
	s_orn2_b64 s[10:11], vcc, exec
.LBB371_675:
	s_or_b64 exec, exec, s[8:9]
	s_and_b64 exec, exec, s[10:11]
	s_cbranch_execz .LBB371_678
; %bb.676:
	s_ashr_i32 s21, s20, 31
	s_lshl_b64 s[8:9], s[20:21], 2
	s_getpc_b64 s[10:11]
	s_add_u32 s10, s10, llvm.amdgcn.dynlds.offset.table@rel32@lo+4
	s_addc_u32 s11, s11, llvm.amdgcn.dynlds.offset.table@rel32@hi+12
	s_add_u32 s8, s8, s10
	s_addc_u32 s9, s9, s11
	s_load_dword s8, s[8:9], 0x0
	s_waitcnt lgkmcnt(0)
	v_lshl_add_u32 v4, v3, 2, s8
	s_mov_b64 s[8:9], 0
.LBB371_677:                            ; =>This Inner Loop Header: Depth=1
	ds_read_b32 v5, v4
	v_add_u32_e32 v3, 0x80, v3
	v_cmp_ge_i32_e32 vcc, v3, v1
	s_or_b64 s[8:9], vcc, s[8:9]
	s_waitcnt lgkmcnt(0)
	v_mul_f32_e32 v5, v8, v5
	ds_write_b32 v4, v5
	v_add_u32_e32 v4, 0x200, v4
	s_andn2_b64 exec, exec, s[8:9]
	s_cbranch_execnz .LBB371_677
.LBB371_678:
	s_or_b64 exec, exec, s[6:7]
	v_cmp_ne_u16_e64 s[6:7], s23, 0
	s_cmp_lg_u64 s[6:7], 0
	s_addc_u32 s23, s13, 0
	v_cmp_eq_u32_e32 vcc, 0, v14
	s_waitcnt lgkmcnt(0)
	s_barrier
	s_and_saveexec_b64 s[6:7], vcc
	s_cbranch_execz .LBB371_680
; %bb.679:
	s_mul_i32 s8, s23, s18
	s_mul_i32 s8, s8, s19
	;; [unrolled: 1-line block ×3, first 2 shown]
	s_ashr_i32 s9, s8, 31
	s_ashr_i32 s11, s10, 31
	;; [unrolled: 1-line block ×3, first 2 shown]
	s_lshl_b64 s[8:9], s[8:9], 2
	s_lshl_b64 s[10:11], s[10:11], 2
	;; [unrolled: 1-line block ×3, first 2 shown]
	s_add_u32 s10, s12, s10
	s_addc_u32 s11, s13, s11
	s_add_u32 s8, s10, s8
	s_addc_u32 s9, s11, s9
	v_mov_b32_e32 v1, s9
	v_add_co_u32_e32 v4, vcc, s8, v36
	v_addc_co_u32_e32 v5, vcc, v1, v35, vcc
	flat_store_dword v[4:5], v0
	v_add_co_u32_e32 v0, vcc, s8, v34
	v_addc_co_u32_e32 v1, vcc, v1, v33, vcc
	flat_store_dword v[0:1], v2
.LBB371_680:
	s_or_b64 exec, exec, s[6:7]
	v_mov_b32_e32 v13, 0
	v_and_b32_e32 v28, 1, v14
	v_mov_b32_e32 v12, 0
	v_mov_b32_e32 v19, 0
	;; [unrolled: 1-line block ×7, first 2 shown]
	s_and_saveexec_b64 s[6:7], s[4:5]
	s_cbranch_execz .LBB371_1628
; %bb.681:
	buffer_load_dword v0, off, s[0:3], s32 offset:308 ; 4-byte Folded Reload
	flat_load_dword v33, v[26:27]
	v_add_co_u32_e32 v1, vcc, v10, v37
	s_ashr_i32 s21, s20, 31
	v_addc_co_u32_e32 v3, vcc, v11, v48, vcc
	s_lshl_b64 s[4:5], s[20:21], 2
	s_getpc_b64 s[8:9]
	s_add_u32 s8, s8, llvm.amdgcn.dynlds.offset.table@rel32@lo+4
	s_addc_u32 s9, s9, llvm.amdgcn.dynlds.offset.table@rel32@hi+12
	s_add_u32 s4, s4, s8
	s_addc_u32 s5, s5, s9
	s_load_dword s4, s[4:5], 0x0
	s_mov_b32 s8, -1
	v_add_u32_e32 v4, -1, v31
	v_accvgpr_write_b32 a6, v23
	v_accvgpr_write_b32 a5, v22
	s_mov_b32 s9, 0xffffff
	v_accvgpr_write_b32 a8, v4
	v_mov_b32_e32 v11, 0
	v_accvgpr_write_b32 a7, v28
	s_mov_b64 s[10:11], 0
	s_mov_b32 s15, 0x7f800000
	s_movk_i32 s21, 0x7fff
	s_movk_i32 s28, 0x80
	;; [unrolled: 1-line block ×3, first 2 shown]
	v_mov_b32_e32 v24, 0
	v_mov_b32_e32 v25, 0
	;; [unrolled: 1-line block ×8, first 2 shown]
	s_waitcnt vmcnt(0)
	v_lshlrev_b32_e32 v0, 3, v0
	v_and_b32_e32 v2, 8, v0
	v_and_b32_e32 v0, 0x1f8, v0
	v_add_co_u32_e32 v0, vcc, v1, v0
	v_addc_co_u32_e32 v1, vcc, 0, v3, vcc
	v_accvgpr_write_b32 a11, v1
	v_accvgpr_write_b32 a10, v0
	v_lshlrev_b64 v[0:1], 2, v[16:17]
	v_add_co_u32_e32 v0, vcc, v38, v0
	v_addc_co_u32_e32 v1, vcc, v39, v1, vcc
	v_add_co_u32_e32 v14, vcc, v30, v0
	v_lshl_add_u32 v0, v29, 4, s36
	v_add3_u32 v17, v0, v2, 7
	v_lshlrev_b32_e32 v0, 5, v28
	v_lshl_or_b32 v0, v29, 6, v0
	v_addc_co_u32_e32 v15, vcc, v15, v1, vcc
	s_waitcnt lgkmcnt(0)
	v_add_u32_e32 v35, s4, v0
	s_branch .LBB371_683
.LBB371_682:                            ;   in Loop: Header=BB371_683 Depth=1
	s_or_b64 exec, exec, s[4:5]
	v_and_b32_e32 v27, 0xffff0000, v37
	v_and_b32_e32 v26, 0xffff0000, v38
	;; [unrolled: 1-line block ×4, first 2 shown]
	v_pk_add_f32 v[26:27], v[36:37], v[26:27]
	v_accvgpr_read_b32 v36, a18
	v_accvgpr_read_b32 v38, a17
	v_and_b32_e32 v37, 0xffff0000, v36
	v_accvgpr_read_b32 v36, a16
	v_and_b32_e32 v39, 0xffff0000, v38
	;; [unrolled: 2-line block ×3, first 2 shown]
	v_and_b32_e32 v38, 0xffff0000, v38
	v_pk_add_f32 v[36:37], v[38:39], v[36:37]
	v_add_f32_e32 v26, v26, v27
	v_add_f32_e32 v26, v26, v36
	;; [unrolled: 1-line block ×3, first 2 shown]
	v_accvgpr_read_b32 v26, a29
	v_accvgpr_read_b32 v36, a28
	v_and_b32_e32 v27, 0xffff0000, v26
	v_accvgpr_read_b32 v26, a27
	v_and_b32_e32 v37, 0xffff0000, v36
	;; [unrolled: 2-line block ×3, first 2 shown]
	v_and_b32_e32 v36, 0xffff0000, v36
	v_pk_add_f32 v[26:27], v[36:37], v[26:27]
	v_accvgpr_read_b32 v36, a1
	v_accvgpr_read_b32 v38, a0
	v_and_b32_e32 v37, 0xffff0000, v36
	v_accvgpr_read_b32 v36, a31
	v_and_b32_e32 v39, 0xffff0000, v38
	;; [unrolled: 2-line block ×3, first 2 shown]
	v_and_b32_e32 v38, 0xffff0000, v38
	v_pk_add_f32 v[36:37], v[38:39], v[36:37]
	v_add_f32_e32 v26, v26, v27
	v_add_f32_e32 v26, v26, v36
	;; [unrolled: 1-line block ×3, first 2 shown]
	v_accvgpr_read_b32 v26, a33
	v_accvgpr_read_b32 v36, a32
	v_and_b32_e32 v27, 0xffff0000, v26
	v_accvgpr_read_b32 v26, a3
	v_and_b32_e32 v37, 0xffff0000, v36
	;; [unrolled: 2-line block ×3, first 2 shown]
	v_and_b32_e32 v36, 0xffff0000, v36
	v_pk_add_f32 v[26:27], v[36:37], v[26:27]
	v_accvgpr_read_b32 v36, a37
	v_accvgpr_read_b32 v38, a36
	v_and_b32_e32 v37, 0xffff0000, v36
	v_accvgpr_read_b32 v36, a35
	v_and_b32_e32 v39, 0xffff0000, v38
	;; [unrolled: 2-line block ×3, first 2 shown]
	v_and_b32_e32 v38, 0xffff0000, v38
	v_pk_add_f32 v[36:37], v[38:39], v[36:37]
	v_add_f32_e32 v26, v26, v27
	v_add_f32_e32 v26, v26, v36
	;; [unrolled: 1-line block ×4, first 2 shown]
	v_accvgpr_read_b32 v38, a41
	v_accvgpr_read_b32 v48, a40
	v_add_f32_e32 v20, v20, v26
	v_accvgpr_read_b32 v26, a45
	v_accvgpr_read_b32 v36, a44
	v_and_b32_e32 v39, 0xffff0000, v38
	v_accvgpr_read_b32 v38, a39
	v_and_b32_e32 v43, 0xffff0000, v48
	;; [unrolled: 2-line block ×5, first 2 shown]
	v_and_b32_e32 v42, 0xffff0000, v48
	v_and_b32_e32 v26, 0xffff0000, v26
	;; [unrolled: 1-line block ×3, first 2 shown]
	v_pk_add_f32 v[38:39], v[42:43], v[38:39]
	v_pk_add_f32 v[26:27], v[36:37], v[26:27]
	v_add_f32_e32 v36, v38, v39
	v_add_f32_e32 v26, v36, v26
	;; [unrolled: 1-line block ×3, first 2 shown]
	v_and_b32_e32 v37, 0xffff0000, v59
	v_and_b32_e32 v36, 0xffff0000, v57
	;; [unrolled: 1-line block ×4, first 2 shown]
	v_add_f32_e32 v21, v21, v26
	v_and_b32_e32 v27, 0xffff0000, v5
	v_and_b32_e32 v26, 0xffff0000, v61
	;; [unrolled: 1-line block ×4, first 2 shown]
	v_pk_add_f32 v[36:37], v[38:39], v[36:37]
	v_pk_add_f32 v[4:5], v[4:5], v[26:27]
	v_add_f32_e32 v26, v36, v37
	v_add_f32_e32 v4, v26, v4
	;; [unrolled: 1-line block ×3, first 2 shown]
	v_and_b32_e32 v37, 0xffff0000, v52
	v_and_b32_e32 v36, 0xffff0000, v50
	;; [unrolled: 1-line block ×4, first 2 shown]
	v_add_f32_e32 v18, v18, v4
	v_and_b32_e32 v5, 0xffff0000, v40
	v_and_b32_e32 v4, 0xffff0000, v54
	v_and_b32_e32 v27, 0xffff0000, v55
	v_and_b32_e32 v26, 0xffff0000, v53
	v_pk_add_f32 v[36:37], v[38:39], v[36:37]
	v_pk_add_f32 v[4:5], v[26:27], v[4:5]
	v_add_f32_e32 v26, v36, v37
	v_add_f32_e32 v4, v26, v4
	;; [unrolled: 1-line block ×3, first 2 shown]
	v_and_b32_e32 v27, 0xffff0000, v28
	v_and_b32_e32 v26, 0xffff0000, v30
	;; [unrolled: 1-line block ×6, first 2 shown]
	v_add_f32_e32 v19, v19, v4
	v_and_b32_e32 v5, 0xffff0000, v34
	v_and_b32_e32 v4, 0xffff0000, v23
	v_pk_add_f32 v[28:29], v[30:31], v[28:29]
	v_pk_add_f32 v[4:5], v[26:27], v[4:5]
	v_add_f32_e32 v3, v28, v29
	v_add_f32_e32 v3, v3, v4
	v_and_b32_e32 v7, 0xffff0000, v7
	v_and_b32_e32 v6, 0xffff0000, v1
	;; [unrolled: 1-line block ×4, first 2 shown]
	v_add_f32_e32 v3, v3, v5
	v_and_b32_e32 v5, 0xffff0000, v10
	v_and_b32_e32 v4, 0xffff0000, v22
	v_and_b32_e32 v9, 0xffff0000, v9
	v_and_b32_e32 v8, 0xffff0000, v8
	v_pk_add_f32 v[0:1], v[0:1], v[6:7]
	v_add_f32_e32 v12, v12, v3
	v_pk_add_f32 v[2:3], v[8:9], v[4:5]
	v_add_f32_e32 v0, v0, v1
	v_add_f32_e32 v0, v0, v2
	v_add_f32_e32 v0, v0, v3
	v_add_f32_e32 v13, v13, v0
	buffer_load_dword v0, off, s[0:3], s32 offset:188 ; 4-byte Folded Reload
	v_add_co_u32_e32 v14, vcc, 8, v14
	v_add_u32_e32 v16, 2, v16
	v_addc_co_u32_e32 v15, vcc, 0, v15, vcc
	v_add_f32_e32 v25, v25, v41
	v_add_u32_e32 v17, 32, v17
	v_add_u32_e32 v35, 0x80, v35
	s_waitcnt vmcnt(0)
	v_cmp_ge_i32_e32 vcc, v16, v0
	s_or_b64 s[10:11], vcc, s[10:11]
	s_andn2_b64 exec, exec, s[10:11]
	s_cbranch_execz .LBB371_1627
.LBB371_683:                            ; =>This Inner Loop Header: Depth=1
	flat_load_dword v10, v[14:15]
	ds_read2_b64 v[6:9], v35 offset1:1
	ds_read2_b64 v[0:3], v35 offset0:2 offset1:3
                                        ; implicit-def: $vgpr27
	s_waitcnt lgkmcnt(0)
	v_and_b32_e32 v4, 0x7f800000, v6
	v_cmp_ne_u32_e32 vcc, s15, v4
	s_and_saveexec_b64 s[4:5], vcc
	s_xor_b64 s[4:5], exec, s[4:5]
; %bb.684:                              ;   in Loop: Header=BB371_683 Depth=1
	v_bfe_u32 v4, v6, 16, 1
	v_add3_u32 v27, v6, v4, s21
; %bb.685:                              ;   in Loop: Header=BB371_683 Depth=1
	s_andn2_saveexec_b64 s[4:5], s[4:5]
; %bb.686:                              ;   in Loop: Header=BB371_683 Depth=1
	v_or_b32_e32 v4, 0x10000, v6
	v_cmp_eq_u32_sdwa vcc, v6, v11 src0_sel:WORD_0 src1_sel:DWORD
	v_cndmask_b32_e32 v27, v4, v6, vcc
; %bb.687:                              ;   in Loop: Header=BB371_683 Depth=1
	s_or_b64 exec, exec, s[4:5]
	v_and_b32_e32 v4, 0x7f800000, v7
	v_cmp_ne_u32_e32 vcc, s15, v4
                                        ; implicit-def: $vgpr26
	s_and_saveexec_b64 s[4:5], vcc
	s_xor_b64 s[4:5], exec, s[4:5]
; %bb.688:                              ;   in Loop: Header=BB371_683 Depth=1
	v_bfe_u32 v4, v7, 16, 1
	v_add3_u32 v26, v7, v4, s21
; %bb.689:                              ;   in Loop: Header=BB371_683 Depth=1
	s_andn2_saveexec_b64 s[4:5], s[4:5]
; %bb.690:                              ;   in Loop: Header=BB371_683 Depth=1
	v_or_b32_e32 v4, 0x10000, v7
	v_cmp_eq_u32_sdwa vcc, v7, v11 src0_sel:WORD_0 src1_sel:DWORD
	v_cndmask_b32_e32 v26, v4, v7, vcc
; %bb.691:                              ;   in Loop: Header=BB371_683 Depth=1
	s_or_b64 exec, exec, s[4:5]
	v_and_b32_e32 v4, 0x7f800000, v8
	v_cmp_ne_u32_e32 vcc, s15, v4
                                        ; implicit-def: $vgpr23
	s_and_saveexec_b64 s[4:5], vcc
	s_xor_b64 s[4:5], exec, s[4:5]
; %bb.692:                              ;   in Loop: Header=BB371_683 Depth=1
	v_bfe_u32 v4, v8, 16, 1
	v_add3_u32 v23, v8, v4, s21
; %bb.693:                              ;   in Loop: Header=BB371_683 Depth=1
	s_andn2_saveexec_b64 s[4:5], s[4:5]
; %bb.694:                              ;   in Loop: Header=BB371_683 Depth=1
	v_or_b32_e32 v4, 0x10000, v8
	v_cmp_eq_u32_sdwa vcc, v8, v11 src0_sel:WORD_0 src1_sel:DWORD
	v_cndmask_b32_e32 v23, v4, v8, vcc
; %bb.695:                              ;   in Loop: Header=BB371_683 Depth=1
	s_or_b64 exec, exec, s[4:5]
	v_and_b32_e32 v4, 0x7f800000, v9
	v_cmp_ne_u32_e32 vcc, s15, v4
                                        ; implicit-def: $vgpr22
	s_and_saveexec_b64 s[4:5], vcc
	s_xor_b64 s[4:5], exec, s[4:5]
; %bb.696:                              ;   in Loop: Header=BB371_683 Depth=1
	v_bfe_u32 v4, v9, 16, 1
	v_add3_u32 v22, v9, v4, s21
                                        ; implicit-def: $vgpr6_vgpr7_vgpr8_vgpr9
; %bb.697:                              ;   in Loop: Header=BB371_683 Depth=1
	s_andn2_saveexec_b64 s[4:5], s[4:5]
; %bb.698:                              ;   in Loop: Header=BB371_683 Depth=1
	v_or_b32_e32 v4, 0x10000, v9
	v_cmp_eq_u32_sdwa vcc, v9, v11 src0_sel:WORD_0 src1_sel:DWORD
	v_cndmask_b32_e32 v22, v4, v9, vcc
; %bb.699:                              ;   in Loop: Header=BB371_683 Depth=1
	s_or_b64 exec, exec, s[4:5]
	v_and_b32_e32 v4, 0x7f800000, v0
	v_cmp_ne_u32_e32 vcc, s15, v4
                                        ; implicit-def: $vgpr8
	s_and_saveexec_b64 s[4:5], vcc
	s_xor_b64 s[4:5], exec, s[4:5]
; %bb.700:                              ;   in Loop: Header=BB371_683 Depth=1
	v_bfe_u32 v4, v0, 16, 1
	v_add3_u32 v8, v0, v4, s21
; %bb.701:                              ;   in Loop: Header=BB371_683 Depth=1
	s_andn2_saveexec_b64 s[4:5], s[4:5]
; %bb.702:                              ;   in Loop: Header=BB371_683 Depth=1
	v_or_b32_e32 v4, 0x10000, v0
	v_cmp_eq_u32_sdwa vcc, v0, v11 src0_sel:WORD_0 src1_sel:DWORD
	v_cndmask_b32_e32 v8, v4, v0, vcc
; %bb.703:                              ;   in Loop: Header=BB371_683 Depth=1
	s_or_b64 exec, exec, s[4:5]
	v_and_b32_e32 v0, 0x7f800000, v1
	v_cmp_ne_u32_e32 vcc, s15, v0
                                        ; implicit-def: $vgpr7
	s_and_saveexec_b64 s[4:5], vcc
	s_xor_b64 s[4:5], exec, s[4:5]
; %bb.704:                              ;   in Loop: Header=BB371_683 Depth=1
	v_bfe_u32 v0, v1, 16, 1
	v_add3_u32 v7, v1, v0, s21
; %bb.705:                              ;   in Loop: Header=BB371_683 Depth=1
	s_andn2_saveexec_b64 s[4:5], s[4:5]
; %bb.706:                              ;   in Loop: Header=BB371_683 Depth=1
	v_or_b32_e32 v0, 0x10000, v1
	v_cmp_eq_u32_sdwa vcc, v1, v11 src0_sel:WORD_0 src1_sel:DWORD
	v_cndmask_b32_e32 v7, v0, v1, vcc
; %bb.707:                              ;   in Loop: Header=BB371_683 Depth=1
	s_or_b64 exec, exec, s[4:5]
	v_and_b32_e32 v0, 0x7f800000, v2
	v_cmp_ne_u32_e32 vcc, s15, v0
                                        ; implicit-def: $vgpr5
	s_and_saveexec_b64 s[4:5], vcc
	s_xor_b64 s[4:5], exec, s[4:5]
; %bb.708:                              ;   in Loop: Header=BB371_683 Depth=1
	v_bfe_u32 v0, v2, 16, 1
	v_add3_u32 v5, v2, v0, s21
; %bb.709:                              ;   in Loop: Header=BB371_683 Depth=1
	s_andn2_saveexec_b64 s[4:5], s[4:5]
; %bb.710:                              ;   in Loop: Header=BB371_683 Depth=1
	v_or_b32_e32 v0, 0x10000, v2
	v_cmp_eq_u32_sdwa vcc, v2, v11 src0_sel:WORD_0 src1_sel:DWORD
	v_cndmask_b32_e32 v5, v0, v2, vcc
; %bb.711:                              ;   in Loop: Header=BB371_683 Depth=1
	s_or_b64 exec, exec, s[4:5]
	v_and_b32_e32 v0, 0x7f800000, v3
	v_cmp_ne_u32_e32 vcc, s15, v0
                                        ; implicit-def: $vgpr4
	s_and_saveexec_b64 s[4:5], vcc
	s_xor_b64 s[4:5], exec, s[4:5]
; %bb.712:                              ;   in Loop: Header=BB371_683 Depth=1
	v_bfe_u32 v0, v3, 16, 1
	v_add3_u32 v4, v3, v0, s21
                                        ; implicit-def: $vgpr0_vgpr1_vgpr2_vgpr3
; %bb.713:                              ;   in Loop: Header=BB371_683 Depth=1
	s_andn2_saveexec_b64 s[4:5], s[4:5]
; %bb.714:                              ;   in Loop: Header=BB371_683 Depth=1
	v_or_b32_e32 v0, 0x10000, v3
	v_cmp_eq_u32_sdwa vcc, v3, v11 src0_sel:WORD_0 src1_sel:DWORD
	v_cndmask_b32_e32 v4, v0, v3, vcc
; %bb.715:                              ;   in Loop: Header=BB371_683 Depth=1
	s_or_b64 exec, exec, s[4:5]
	v_accvgpr_read_b32 v2, a10
	v_accvgpr_read_b32 v0, a4
	;; [unrolled: 1-line block ×3, first 2 shown]
	s_waitcnt vmcnt(0)
	v_mad_i64_i32 v[0:1], s[4:5], v10, v0, v[2:3]
	flat_load_dwordx2 v[2:3], v[0:1]
	v_mov_b32_e32 v6, 0
	s_waitcnt vmcnt(0) lgkmcnt(0)
	v_cmp_ne_u16_sdwa s[12:13], v2, v11 src0_sel:BYTE_0 src1_sel:DWORD
	s_and_saveexec_b64 s[4:5], s[12:13]
	s_cbranch_execz .LBB371_721
; %bb.716:                              ;   in Loop: Header=BB371_683 Depth=1
	v_cmp_ne_u16_sdwa s[24:25], v2, s28 src0_sel:BYTE_0 src1_sel:DWORD
	v_bfrev_b32_e32 v6, 1
	s_and_saveexec_b64 s[12:13], s[24:25]
	s_cbranch_execz .LBB371_720
; %bb.717:                              ;   in Loop: Header=BB371_683 Depth=1
	v_and_b32_e32 v9, 0x7f, v2
	v_cmp_ne_u32_e32 vcc, s29, v9
	v_mov_b32_e32 v6, 0x7f800001
	s_and_saveexec_b64 s[24:25], vcc
	s_cbranch_execz .LBB371_719
; %bb.718:                              ;   in Loop: Header=BB371_683 Depth=1
	v_and_b32_e32 v6, 7, v2
	v_ffbh_u32_e32 v6, v6
	v_min_u32_e32 v6, 32, v6
	v_subrev_u32_e32 v28, 28, v6
	v_cmp_gt_u32_e32 vcc, 8, v9
	v_lshrrev_b32_e32 v10, 3, v9
	v_cndmask_b32_e32 v9, 0, v28, vcc
	v_sub_u32_e32 v6, 29, v6
	v_lshlrev_b64 v[28:29], v9, v[2:3]
	v_cndmask_b32_e32 v6, v10, v6, vcc
	v_lshlrev_b32_e32 v9, 20, v28
	v_lshlrev_b32_e32 v10, 24, v2
	v_bfrev_b32_e32 v28, 60
	v_and_b32_e32 v9, 0x700000, v9
	v_and_b32_e32 v10, 0x80000000, v10
	v_lshl_add_u32 v6, v6, 23, v28
	v_or3_b32 v6, v10, v6, v9
.LBB371_719:                            ;   in Loop: Header=BB371_683 Depth=1
	s_or_b64 exec, exec, s[24:25]
.LBB371_720:                            ;   in Loop: Header=BB371_683 Depth=1
	s_or_b64 exec, exec, s[12:13]
.LBB371_721:                            ;   in Loop: Header=BB371_683 Depth=1
	s_or_b64 exec, exec, s[4:5]
	v_mul_f32_e32 v6, v33, v6
	v_and_b32_e32 v9, 0x7f800000, v6
	v_cmp_ne_u32_e32 vcc, s15, v9
                                        ; implicit-def: $vgpr9
	s_and_saveexec_b64 s[4:5], vcc
	s_xor_b64 s[4:5], exec, s[4:5]
; %bb.722:                              ;   in Loop: Header=BB371_683 Depth=1
	v_bfe_u32 v9, v6, 16, 1
	v_add3_u32 v9, v6, v9, s21
                                        ; implicit-def: $vgpr6
; %bb.723:                              ;   in Loop: Header=BB371_683 Depth=1
	s_andn2_saveexec_b64 s[4:5], s[4:5]
; %bb.724:                              ;   in Loop: Header=BB371_683 Depth=1
	v_or_b32_e32 v9, 0x10000, v6
	v_cmp_eq_u32_sdwa vcc, v6, v11 src0_sel:WORD_0 src1_sel:DWORD
	v_cndmask_b32_e32 v9, v9, v6, vcc
; %bb.725:                              ;   in Loop: Header=BB371_683 Depth=1
	s_or_b64 exec, exec, s[4:5]
	v_lshrrev_b16_e32 v6, 8, v2
	v_cmp_ne_u16_e32 vcc, 0, v6
	v_mov_b32_e32 v10, 0
	s_and_saveexec_b64 s[4:5], vcc
	s_cbranch_execz .LBB371_731
; %bb.726:                              ;   in Loop: Header=BB371_683 Depth=1
	v_cmp_ne_u16_e32 vcc, s28, v6
	v_bfrev_b32_e32 v10, 1
	s_and_saveexec_b64 s[12:13], vcc
	s_cbranch_execz .LBB371_730
; %bb.727:                              ;   in Loop: Header=BB371_683 Depth=1
	v_and_b32_e32 v28, 0x7f, v6
	v_cmp_ne_u32_e32 vcc, s29, v28
	v_mov_b32_e32 v10, 0x7f800001
	s_and_saveexec_b64 s[24:25], vcc
	s_cbranch_execz .LBB371_729
; %bb.728:                              ;   in Loop: Header=BB371_683 Depth=1
	v_and_b32_e32 v10, 7, v6
	v_ffbh_u32_e32 v30, v10
	v_min_u32_e32 v34, 32, v30
	v_subrev_u32_e32 v30, 28, v34
	v_lshlrev_b64 v[30:31], v30, v[6:7]
	v_lshrrev_b32_e32 v29, 3, v28
	v_sub_u32_e32 v6, 29, v34
	v_and_b32_e32 v30, 7, v30
	v_cmp_gt_u32_e32 vcc, 8, v28
	v_cndmask_b32_e32 v6, v29, v6, vcc
	v_cndmask_b32_e32 v10, v10, v30, vcc
	v_lshlrev_b32_e32 v28, 16, v2
	v_bfrev_b32_e32 v29, 60
	v_lshlrev_b32_e32 v10, 20, v10
	v_and_b32_e32 v28, 0x80000000, v28
	v_lshl_add_u32 v6, v6, 23, v29
	v_or3_b32 v10, v28, v6, v10
.LBB371_729:                            ;   in Loop: Header=BB371_683 Depth=1
	s_or_b64 exec, exec, s[24:25]
.LBB371_730:                            ;   in Loop: Header=BB371_683 Depth=1
	s_or_b64 exec, exec, s[12:13]
.LBB371_731:                            ;   in Loop: Header=BB371_683 Depth=1
	s_or_b64 exec, exec, s[4:5]
	v_mul_f32_e32 v6, v33, v10
	v_and_b32_e32 v10, 0x7f800000, v6
	v_cmp_ne_u32_e32 vcc, s15, v10
                                        ; implicit-def: $vgpr28
	s_and_saveexec_b64 s[4:5], vcc
	s_xor_b64 s[4:5], exec, s[4:5]
; %bb.732:                              ;   in Loop: Header=BB371_683 Depth=1
	v_bfe_u32 v10, v6, 16, 1
	v_add3_u32 v28, v6, v10, s21
                                        ; implicit-def: $vgpr6
; %bb.733:                              ;   in Loop: Header=BB371_683 Depth=1
	s_andn2_saveexec_b64 s[4:5], s[4:5]
; %bb.734:                              ;   in Loop: Header=BB371_683 Depth=1
	v_or_b32_e32 v10, 0x10000, v6
	v_cmp_eq_u32_sdwa vcc, v6, v11 src0_sel:WORD_0 src1_sel:DWORD
	v_cndmask_b32_e32 v28, v10, v6, vcc
; %bb.735:                              ;   in Loop: Header=BB371_683 Depth=1
	s_or_b64 exec, exec, s[4:5]
	v_lshrrev_b32_e32 v6, 16, v2
	v_cmp_ne_u16_sdwa s[12:13], v6, v11 src0_sel:BYTE_0 src1_sel:DWORD
	v_mov_b32_e32 v10, 0
	s_and_saveexec_b64 s[4:5], s[12:13]
	s_cbranch_execz .LBB371_741
; %bb.736:                              ;   in Loop: Header=BB371_683 Depth=1
	v_cmp_ne_u16_sdwa s[24:25], v6, s28 src0_sel:BYTE_0 src1_sel:DWORD
	v_bfrev_b32_e32 v10, 1
	s_and_saveexec_b64 s[12:13], s[24:25]
	s_cbranch_execz .LBB371_740
; %bb.737:                              ;   in Loop: Header=BB371_683 Depth=1
	v_bfe_u32 v29, v2, 16, 7
	v_cmp_ne_u32_e32 vcc, s29, v29
	v_mov_b32_e32 v10, 0x7f800001
	s_and_saveexec_b64 s[24:25], vcc
	s_cbranch_execz .LBB371_739
; %bb.738:                              ;   in Loop: Header=BB371_683 Depth=1
	v_and_b32_e32 v10, 7, v6
	v_ffbh_u32_e32 v30, v10
	v_min_u32_e32 v36, 32, v30
	v_subrev_u32_e32 v30, 28, v36
	v_lshlrev_b64 v[30:31], v30, v[6:7]
	v_lshrrev_b32_e32 v34, 3, v29
	v_sub_u32_e32 v31, 29, v36
	v_and_b32_e32 v30, 7, v30
	v_cmp_gt_u32_e32 vcc, 8, v29
	v_cndmask_b32_e32 v29, v34, v31, vcc
	v_cndmask_b32_e32 v10, v10, v30, vcc
	v_lshlrev_b32_e32 v6, 24, v6
	v_bfrev_b32_e32 v30, 60
	v_lshlrev_b32_e32 v10, 20, v10
	v_and_b32_e32 v6, 0x80000000, v6
	v_lshl_add_u32 v29, v29, 23, v30
	v_or3_b32 v10, v6, v29, v10
.LBB371_739:                            ;   in Loop: Header=BB371_683 Depth=1
	s_or_b64 exec, exec, s[24:25]
.LBB371_740:                            ;   in Loop: Header=BB371_683 Depth=1
	s_or_b64 exec, exec, s[12:13]
.LBB371_741:                            ;   in Loop: Header=BB371_683 Depth=1
	s_or_b64 exec, exec, s[4:5]
	v_mul_f32_e32 v6, v33, v10
	v_and_b32_e32 v10, 0x7f800000, v6
	v_cmp_ne_u32_e32 vcc, s15, v10
                                        ; implicit-def: $vgpr29
	s_and_saveexec_b64 s[4:5], vcc
	s_xor_b64 s[4:5], exec, s[4:5]
; %bb.742:                              ;   in Loop: Header=BB371_683 Depth=1
	v_bfe_u32 v10, v6, 16, 1
	v_add3_u32 v29, v6, v10, s21
                                        ; implicit-def: $vgpr6
; %bb.743:                              ;   in Loop: Header=BB371_683 Depth=1
	s_andn2_saveexec_b64 s[4:5], s[4:5]
; %bb.744:                              ;   in Loop: Header=BB371_683 Depth=1
	v_or_b32_e32 v10, 0x10000, v6
	v_cmp_eq_u32_sdwa vcc, v6, v11 src0_sel:WORD_0 src1_sel:DWORD
	v_cndmask_b32_e32 v29, v10, v6, vcc
; %bb.745:                              ;   in Loop: Header=BB371_683 Depth=1
	s_or_b64 exec, exec, s[4:5]
	v_cmp_lt_u32_e32 vcc, s9, v2
	v_mov_b32_e32 v10, 0
	s_and_saveexec_b64 s[4:5], vcc
	s_cbranch_execz .LBB371_751
; %bb.746:                              ;   in Loop: Header=BB371_683 Depth=1
	v_lshrrev_b32_e32 v6, 24, v2
	v_cmp_ne_u32_e32 vcc, s28, v6
	v_bfrev_b32_e32 v10, 1
	s_and_saveexec_b64 s[12:13], vcc
	s_cbranch_execz .LBB371_750
; %bb.747:                              ;   in Loop: Header=BB371_683 Depth=1
	v_bfe_u32 v30, v2, 24, 7
	v_cmp_ne_u32_e32 vcc, s29, v30
	v_mov_b32_e32 v10, 0x7f800001
	s_and_saveexec_b64 s[24:25], vcc
	s_cbranch_execz .LBB371_749
; %bb.748:                              ;   in Loop: Header=BB371_683 Depth=1
	v_and_b32_e32 v10, 7, v6
	v_ffbh_u32_e32 v34, v10
	v_min_u32_e32 v34, 32, v34
	v_subrev_u32_e32 v36, 28, v34
	v_lshlrev_b64 v[36:37], v36, v[6:7]
	v_lshrrev_b32_e32 v31, 3, v30
	v_sub_u32_e32 v34, 29, v34
	v_and_b32_e32 v36, 7, v36
	v_cmp_gt_u32_e32 vcc, 8, v30
	v_cndmask_b32_e32 v30, v31, v34, vcc
	v_cndmask_b32_e32 v10, v10, v36, vcc
	v_lshlrev_b32_e32 v6, 24, v6
	v_bfrev_b32_e32 v31, 60
	v_lshlrev_b32_e32 v10, 20, v10
	v_and_b32_e32 v6, 0x80000000, v6
	v_lshl_add_u32 v30, v30, 23, v31
	v_or3_b32 v10, v6, v30, v10
.LBB371_749:                            ;   in Loop: Header=BB371_683 Depth=1
	s_or_b64 exec, exec, s[24:25]
.LBB371_750:                            ;   in Loop: Header=BB371_683 Depth=1
	s_or_b64 exec, exec, s[12:13]
.LBB371_751:                            ;   in Loop: Header=BB371_683 Depth=1
	s_or_b64 exec, exec, s[4:5]
	v_mul_f32_e32 v6, v33, v10
	v_and_b32_e32 v10, 0x7f800000, v6
	v_cmp_ne_u32_e32 vcc, s15, v10
                                        ; implicit-def: $vgpr30
	s_and_saveexec_b64 s[4:5], vcc
	s_xor_b64 s[4:5], exec, s[4:5]
; %bb.752:                              ;   in Loop: Header=BB371_683 Depth=1
	v_bfe_u32 v10, v6, 16, 1
	v_add3_u32 v30, v6, v10, s21
                                        ; implicit-def: $vgpr6
; %bb.753:                              ;   in Loop: Header=BB371_683 Depth=1
	s_andn2_saveexec_b64 s[4:5], s[4:5]
; %bb.754:                              ;   in Loop: Header=BB371_683 Depth=1
	v_or_b32_e32 v10, 0x10000, v6
	v_cmp_eq_u32_sdwa vcc, v6, v11 src0_sel:WORD_0 src1_sel:DWORD
	v_cndmask_b32_e32 v30, v10, v6, vcc
; %bb.755:                              ;   in Loop: Header=BB371_683 Depth=1
	s_or_b64 exec, exec, s[4:5]
	v_mov_b32_e32 v10, v3
	v_cmp_ne_u16_sdwa s[12:13], v3, v11 src0_sel:BYTE_0 src1_sel:DWORD
	v_mov_b32_e32 v6, 0
	s_and_saveexec_b64 s[4:5], s[12:13]
	s_cbranch_execz .LBB371_761
; %bb.756:                              ;   in Loop: Header=BB371_683 Depth=1
	v_cmp_ne_u16_sdwa s[24:25], v3, s28 src0_sel:BYTE_0 src1_sel:DWORD
	v_bfrev_b32_e32 v6, 1
	s_and_saveexec_b64 s[12:13], s[24:25]
	s_cbranch_execz .LBB371_760
; %bb.757:                              ;   in Loop: Header=BB371_683 Depth=1
	v_and_b32_e32 v31, 0x7f, v3
	v_cmp_ne_u32_e32 vcc, s29, v31
	v_mov_b32_e32 v6, 0x7f800001
	s_and_saveexec_b64 s[24:25], vcc
	s_cbranch_execz .LBB371_759
; %bb.758:                              ;   in Loop: Header=BB371_683 Depth=1
	v_and_b32_e32 v6, 7, v3
	v_ffbh_u32_e32 v6, v6
	v_min_u32_e32 v6, 32, v6
	v_subrev_u32_e32 v36, 28, v6
	v_cmp_gt_u32_e32 vcc, 8, v31
	v_lshrrev_b32_e32 v34, 3, v31
	v_cndmask_b32_e32 v31, 0, v36, vcc
	v_sub_u32_e32 v6, 29, v6
	v_lshlrev_b64 v[36:37], v31, v[10:11]
	v_cndmask_b32_e32 v6, v34, v6, vcc
	v_lshlrev_b32_e32 v31, 20, v36
	v_lshlrev_b32_e32 v34, 24, v10
	v_bfrev_b32_e32 v36, 60
	v_and_b32_e32 v31, 0x700000, v31
	v_and_b32_e32 v34, 0x80000000, v34
	v_lshl_add_u32 v6, v6, 23, v36
	v_or3_b32 v6, v34, v6, v31
.LBB371_759:                            ;   in Loop: Header=BB371_683 Depth=1
	s_or_b64 exec, exec, s[24:25]
.LBB371_760:                            ;   in Loop: Header=BB371_683 Depth=1
	s_or_b64 exec, exec, s[12:13]
.LBB371_761:                            ;   in Loop: Header=BB371_683 Depth=1
	s_or_b64 exec, exec, s[4:5]
	v_mul_f32_e32 v6, v33, v6
	v_and_b32_e32 v31, 0x7f800000, v6
	v_cmp_ne_u32_e32 vcc, s15, v31
                                        ; implicit-def: $vgpr31
	s_and_saveexec_b64 s[4:5], vcc
	s_xor_b64 s[4:5], exec, s[4:5]
; %bb.762:                              ;   in Loop: Header=BB371_683 Depth=1
	v_bfe_u32 v31, v6, 16, 1
	v_add3_u32 v31, v6, v31, s21
                                        ; implicit-def: $vgpr6
; %bb.763:                              ;   in Loop: Header=BB371_683 Depth=1
	s_andn2_saveexec_b64 s[4:5], s[4:5]
; %bb.764:                              ;   in Loop: Header=BB371_683 Depth=1
	v_or_b32_e32 v31, 0x10000, v6
	v_cmp_eq_u32_sdwa vcc, v6, v11 src0_sel:WORD_0 src1_sel:DWORD
	v_cndmask_b32_e32 v31, v31, v6, vcc
; %bb.765:                              ;   in Loop: Header=BB371_683 Depth=1
	s_or_b64 exec, exec, s[4:5]
	v_lshrrev_b16_e32 v6, 8, v10
	v_cmp_ne_u16_e32 vcc, 0, v6
	v_mov_b32_e32 v34, 0
	s_and_saveexec_b64 s[4:5], vcc
	s_cbranch_execz .LBB371_771
; %bb.766:                              ;   in Loop: Header=BB371_683 Depth=1
	v_cmp_ne_u16_e32 vcc, s28, v6
	v_bfrev_b32_e32 v34, 1
	s_and_saveexec_b64 s[12:13], vcc
	s_cbranch_execz .LBB371_770
; %bb.767:                              ;   in Loop: Header=BB371_683 Depth=1
	v_and_b32_e32 v37, 0x7f, v6
	v_cmp_ne_u32_e32 vcc, s29, v37
	v_mov_b32_e32 v34, 0x7f800001
	s_and_saveexec_b64 s[24:25], vcc
	s_cbranch_execz .LBB371_769
; %bb.768:                              ;   in Loop: Header=BB371_683 Depth=1
	v_and_b32_e32 v34, 7, v6
	v_ffbh_u32_e32 v38, v34
	v_min_u32_e32 v48, 32, v38
	v_subrev_u32_e32 v38, 28, v48
	v_lshlrev_b64 v[38:39], v38, v[6:7]
	v_lshrrev_b32_e32 v36, 3, v37
	v_sub_u32_e32 v6, 29, v48
	v_and_b32_e32 v38, 7, v38
	v_cmp_gt_u32_e32 vcc, 8, v37
	v_cndmask_b32_e32 v6, v36, v6, vcc
	v_cndmask_b32_e32 v34, v34, v38, vcc
	v_lshlrev_b32_e32 v10, 16, v10
	v_bfrev_b32_e32 v36, 60
	v_lshlrev_b32_e32 v34, 20, v34
	v_and_b32_e32 v10, 0x80000000, v10
	v_lshl_add_u32 v6, v6, 23, v36
	v_or3_b32 v34, v10, v6, v34
.LBB371_769:                            ;   in Loop: Header=BB371_683 Depth=1
	s_or_b64 exec, exec, s[24:25]
.LBB371_770:                            ;   in Loop: Header=BB371_683 Depth=1
	s_or_b64 exec, exec, s[12:13]
.LBB371_771:                            ;   in Loop: Header=BB371_683 Depth=1
	s_or_b64 exec, exec, s[4:5]
	v_mul_f32_e32 v6, v33, v34
	v_and_b32_e32 v10, 0x7f800000, v6
	v_cmp_ne_u32_e32 vcc, s15, v10
                                        ; implicit-def: $vgpr10
	s_and_saveexec_b64 s[4:5], vcc
	s_xor_b64 s[4:5], exec, s[4:5]
; %bb.772:                              ;   in Loop: Header=BB371_683 Depth=1
	v_bfe_u32 v10, v6, 16, 1
	v_add3_u32 v10, v6, v10, s21
                                        ; implicit-def: $vgpr6
; %bb.773:                              ;   in Loop: Header=BB371_683 Depth=1
	s_andn2_saveexec_b64 s[4:5], s[4:5]
; %bb.774:                              ;   in Loop: Header=BB371_683 Depth=1
	v_or_b32_e32 v10, 0x10000, v6
	v_cmp_eq_u32_sdwa vcc, v6, v11 src0_sel:WORD_0 src1_sel:DWORD
	v_cndmask_b32_e32 v10, v10, v6, vcc
; %bb.775:                              ;   in Loop: Header=BB371_683 Depth=1
	s_or_b64 exec, exec, s[4:5]
	v_lshrrev_b32_e32 v6, 16, v3
	v_cmp_ne_u16_sdwa s[12:13], v6, v11 src0_sel:BYTE_0 src1_sel:DWORD
	v_mov_b32_e32 v34, 0
	s_and_saveexec_b64 s[4:5], s[12:13]
	s_cbranch_execz .LBB371_781
; %bb.776:                              ;   in Loop: Header=BB371_683 Depth=1
	v_cmp_ne_u16_sdwa s[24:25], v6, s28 src0_sel:BYTE_0 src1_sel:DWORD
	v_bfrev_b32_e32 v34, 1
	s_and_saveexec_b64 s[12:13], s[24:25]
	s_cbranch_execz .LBB371_780
; %bb.777:                              ;   in Loop: Header=BB371_683 Depth=1
	v_bfe_u32 v37, v3, 16, 7
	v_cmp_ne_u32_e32 vcc, s29, v37
	v_mov_b32_e32 v34, 0x7f800001
	s_and_saveexec_b64 s[24:25], vcc
	s_cbranch_execz .LBB371_779
; %bb.778:                              ;   in Loop: Header=BB371_683 Depth=1
	v_and_b32_e32 v34, 7, v6
	v_ffbh_u32_e32 v38, v34
	v_min_u32_e32 v48, 32, v38
	v_subrev_u32_e32 v38, 28, v48
	v_lshlrev_b64 v[38:39], v38, v[6:7]
	v_lshrrev_b32_e32 v36, 3, v37
	v_sub_u32_e32 v39, 29, v48
	v_and_b32_e32 v38, 7, v38
	v_cmp_gt_u32_e32 vcc, 8, v37
	v_cndmask_b32_e32 v36, v36, v39, vcc
	v_cndmask_b32_e32 v34, v34, v38, vcc
	v_lshlrev_b32_e32 v6, 24, v6
	v_bfrev_b32_e32 v37, 60
	v_lshlrev_b32_e32 v34, 20, v34
	v_and_b32_e32 v6, 0x80000000, v6
	v_lshl_add_u32 v36, v36, 23, v37
	v_or3_b32 v34, v6, v36, v34
.LBB371_779:                            ;   in Loop: Header=BB371_683 Depth=1
	s_or_b64 exec, exec, s[24:25]
.LBB371_780:                            ;   in Loop: Header=BB371_683 Depth=1
	s_or_b64 exec, exec, s[12:13]
.LBB371_781:                            ;   in Loop: Header=BB371_683 Depth=1
	s_or_b64 exec, exec, s[4:5]
	v_mul_f32_e32 v6, v33, v34
	v_and_b32_e32 v34, 0x7f800000, v6
	v_cmp_ne_u32_e32 vcc, s15, v34
                                        ; implicit-def: $vgpr34
	s_and_saveexec_b64 s[4:5], vcc
	s_xor_b64 s[4:5], exec, s[4:5]
; %bb.782:                              ;   in Loop: Header=BB371_683 Depth=1
	v_bfe_u32 v34, v6, 16, 1
	v_add3_u32 v34, v6, v34, s21
                                        ; implicit-def: $vgpr6
; %bb.783:                              ;   in Loop: Header=BB371_683 Depth=1
	s_andn2_saveexec_b64 s[4:5], s[4:5]
; %bb.784:                              ;   in Loop: Header=BB371_683 Depth=1
	v_or_b32_e32 v34, 0x10000, v6
	v_cmp_eq_u32_sdwa vcc, v6, v11 src0_sel:WORD_0 src1_sel:DWORD
	v_cndmask_b32_e32 v34, v34, v6, vcc
; %bb.785:                              ;   in Loop: Header=BB371_683 Depth=1
	s_or_b64 exec, exec, s[4:5]
	v_cmp_lt_u64_e32 vcc, s[8:9], v[2:3]
	v_mov_b32_e32 v6, 0
	s_and_saveexec_b64 s[4:5], vcc
	s_cbranch_execz .LBB371_791
; %bb.786:                              ;   in Loop: Header=BB371_683 Depth=1
	v_lshrrev_b32_e32 v2, 24, v3
	v_cmp_ne_u32_e32 vcc, s28, v2
	v_bfrev_b32_e32 v6, 1
	s_and_saveexec_b64 s[12:13], vcc
	s_cbranch_execz .LBB371_790
; %bb.787:                              ;   in Loop: Header=BB371_683 Depth=1
	v_bfe_u32 v3, v3, 24, 7
	v_cmp_ne_u32_e32 vcc, s29, v3
	v_mov_b32_e32 v6, 0x7f800001
	s_and_saveexec_b64 s[24:25], vcc
	s_cbranch_execz .LBB371_789
; %bb.788:                              ;   in Loop: Header=BB371_683 Depth=1
	v_and_b32_e32 v6, 7, v2
	v_ffbh_u32_e32 v36, v6
	v_min_u32_e32 v39, 32, v36
	v_subrev_u32_e32 v36, 28, v39
	v_lshlrev_b64 v[36:37], v36, v[2:3]
	v_lshrrev_b32_e32 v38, 3, v3
	v_sub_u32_e32 v37, 29, v39
	v_and_b32_e32 v36, 7, v36
	v_cmp_gt_u32_e32 vcc, 8, v3
	v_cndmask_b32_e32 v3, v38, v37, vcc
	v_cndmask_b32_e32 v6, v6, v36, vcc
	v_lshlrev_b32_e32 v2, 24, v2
	v_bfrev_b32_e32 v36, 60
	v_lshlrev_b32_e32 v6, 20, v6
	v_and_b32_e32 v2, 0x80000000, v2
	v_lshl_add_u32 v3, v3, 23, v36
	v_or3_b32 v6, v2, v3, v6
.LBB371_789:                            ;   in Loop: Header=BB371_683 Depth=1
	s_or_b64 exec, exec, s[24:25]
.LBB371_790:                            ;   in Loop: Header=BB371_683 Depth=1
	s_or_b64 exec, exec, s[12:13]
.LBB371_791:                            ;   in Loop: Header=BB371_683 Depth=1
	s_or_b64 exec, exec, s[4:5]
	v_mul_f32_e32 v3, v33, v6
	v_and_b32_e32 v2, 0x7f800000, v3
	v_cmp_ne_u32_e32 vcc, s15, v2
                                        ; implicit-def: $vgpr2
	s_and_saveexec_b64 s[4:5], vcc
	s_xor_b64 s[4:5], exec, s[4:5]
; %bb.792:                              ;   in Loop: Header=BB371_683 Depth=1
	v_bfe_u32 v2, v3, 16, 1
	v_add3_u32 v2, v3, v2, s21
                                        ; implicit-def: $vgpr3
; %bb.793:                              ;   in Loop: Header=BB371_683 Depth=1
	s_andn2_saveexec_b64 s[4:5], s[4:5]
; %bb.794:                              ;   in Loop: Header=BB371_683 Depth=1
	v_or_b32_e32 v2, 0x10000, v3
	v_cmp_eq_u32_sdwa vcc, v3, v11 src0_sel:WORD_0 src1_sel:DWORD
	v_cndmask_b32_e32 v2, v2, v3, vcc
; %bb.795:                              ;   in Loop: Header=BB371_683 Depth=1
	s_or_b64 exec, exec, s[4:5]
	v_lshrrev_b32_e32 v6, 16, v10
	v_lshrrev_b32_e32 v10, 16, v31
	v_add_u32_e32 v31, -6, v17
	v_accvgpr_write_b32 a25, v31
	v_add_u32_e32 v31, -5, v17
	v_accvgpr_write_b32 a24, v31
	;; [unrolled: 2-line block ×4, first 2 shown]
	v_add_u32_e32 v31, -2, v17
	v_accvgpr_read_b32 v3, a8
	v_accvgpr_write_b32 a21, v31
	v_add_u32_e32 v31, -1, v17
	v_cmp_eq_u32_e32 vcc, v3, v16
	v_add_u32_e32 v36, -7, v17
	v_lshrrev_b32_e32 v30, 16, v30
	v_lshrrev_b32_e32 v29, 16, v29
	;; [unrolled: 1-line block ×6, first 2 shown]
	v_accvgpr_write_b32 a20, v31
	s_and_saveexec_b64 s[12:13], vcc
	s_cbranch_execz .LBB371_797
; %bb.796:                              ;   in Loop: Header=BB371_683 Depth=1
	v_cmp_lt_i32_e64 s[4:5], v36, v32
	v_accvgpr_read_b32 v31, a25
	v_cndmask_b32_e64 v9, 0, v9, s[4:5]
	v_cmp_lt_i32_e64 s[4:5], v31, v32
	v_accvgpr_read_b32 v31, a24
	v_cndmask_b32_e64 v28, 0, v28, s[4:5]
	;; [unrolled: 3-line block ×6, first 2 shown]
	v_cmp_lt_i32_e64 s[4:5], v31, v32
	v_cndmask_b32_e64 v3, 0, v3, s[4:5]
	v_cmp_lt_i32_e64 s[4:5], v17, v32
	v_cndmask_b32_e64 v2, 0, v2, s[4:5]
.LBB371_797:                            ;   in Loop: Header=BB371_683 Depth=1
	s_or_b64 exec, exec, s[12:13]
	v_and_b32_e32 v41, 0xffff0000, v27
	v_lshlrev_b32_e32 v9, 16, v9
	v_mul_f32_e32 v9, v41, v9
	v_and_b32_e32 v27, 0x7f800000, v9
	v_cmp_ne_u32_e64 s[4:5], s15, v27
                                        ; implicit-def: $vgpr48
	s_and_saveexec_b64 s[12:13], s[4:5]
	s_xor_b64 s[4:5], exec, s[12:13]
; %bb.798:                              ;   in Loop: Header=BB371_683 Depth=1
	v_bfe_u32 v27, v9, 16, 1
	v_add3_u32 v48, v9, v27, s21
                                        ; implicit-def: $vgpr9
; %bb.799:                              ;   in Loop: Header=BB371_683 Depth=1
	s_andn2_saveexec_b64 s[12:13], s[4:5]
; %bb.800:                              ;   in Loop: Header=BB371_683 Depth=1
	v_or_b32_e32 v27, 0x10000, v9
	v_cmp_eq_u32_sdwa s[4:5], v9, v11 src0_sel:WORD_0 src1_sel:DWORD
	v_cndmask_b32_e64 v48, v27, v9, s[4:5]
; %bb.801:                              ;   in Loop: Header=BB371_683 Depth=1
	s_or_b64 exec, exec, s[12:13]
	v_and_b32_e32 v42, 0xffff0000, v26
	v_lshlrev_b32_e32 v9, 16, v28
	v_mul_f32_e32 v9, v42, v9
	v_and_b32_e32 v26, 0x7f800000, v9
	v_cmp_ne_u32_e64 s[4:5], s15, v26
                                        ; implicit-def: $vgpr38
	s_and_saveexec_b64 s[12:13], s[4:5]
	s_xor_b64 s[4:5], exec, s[12:13]
; %bb.802:                              ;   in Loop: Header=BB371_683 Depth=1
	v_bfe_u32 v26, v9, 16, 1
	v_add3_u32 v38, v9, v26, s21
                                        ; implicit-def: $vgpr9
; %bb.803:                              ;   in Loop: Header=BB371_683 Depth=1
	s_andn2_saveexec_b64 s[12:13], s[4:5]
; %bb.804:                              ;   in Loop: Header=BB371_683 Depth=1
	v_or_b32_e32 v26, 0x10000, v9
	v_cmp_eq_u32_sdwa s[4:5], v9, v11 src0_sel:WORD_0 src1_sel:DWORD
	v_cndmask_b32_e64 v38, v26, v9, s[4:5]
; %bb.805:                              ;   in Loop: Header=BB371_683 Depth=1
	s_or_b64 exec, exec, s[12:13]
	v_and_b32_e32 v43, 0xffff0000, v23
	v_lshlrev_b32_e32 v9, 16, v29
	v_mul_f32_e32 v9, v43, v9
	v_and_b32_e32 v23, 0x7f800000, v9
	v_cmp_ne_u32_e64 s[4:5], s15, v23
                                        ; implicit-def: $vgpr39
	s_and_saveexec_b64 s[12:13], s[4:5]
	s_xor_b64 s[4:5], exec, s[12:13]
; %bb.806:                              ;   in Loop: Header=BB371_683 Depth=1
	v_bfe_u32 v23, v9, 16, 1
	v_add3_u32 v39, v9, v23, s21
                                        ; implicit-def: $vgpr9
; %bb.807:                              ;   in Loop: Header=BB371_683 Depth=1
	s_andn2_saveexec_b64 s[12:13], s[4:5]
; %bb.808:                              ;   in Loop: Header=BB371_683 Depth=1
	v_or_b32_e32 v23, 0x10000, v9
	v_cmp_eq_u32_sdwa s[4:5], v9, v11 src0_sel:WORD_0 src1_sel:DWORD
	v_cndmask_b32_e64 v39, v23, v9, s[4:5]
; %bb.809:                              ;   in Loop: Header=BB371_683 Depth=1
	s_or_b64 exec, exec, s[12:13]
	v_and_b32_e32 v44, 0xffff0000, v22
	v_lshlrev_b32_e32 v9, 16, v30
	v_mul_f32_e32 v9, v44, v9
	v_and_b32_e32 v22, 0x7f800000, v9
	v_cmp_ne_u32_e64 s[4:5], s15, v22
                                        ; implicit-def: $vgpr37
	s_and_saveexec_b64 s[12:13], s[4:5]
	s_xor_b64 s[4:5], exec, s[12:13]
; %bb.810:                              ;   in Loop: Header=BB371_683 Depth=1
	v_bfe_u32 v22, v9, 16, 1
	v_add3_u32 v37, v9, v22, s21
                                        ; implicit-def: $vgpr9
; %bb.811:                              ;   in Loop: Header=BB371_683 Depth=1
	s_andn2_saveexec_b64 s[12:13], s[4:5]
; %bb.812:                              ;   in Loop: Header=BB371_683 Depth=1
	v_or_b32_e32 v22, 0x10000, v9
	v_cmp_eq_u32_sdwa s[4:5], v9, v11 src0_sel:WORD_0 src1_sel:DWORD
	v_cndmask_b32_e64 v37, v22, v9, s[4:5]
; %bb.813:                              ;   in Loop: Header=BB371_683 Depth=1
	s_or_b64 exec, exec, s[12:13]
	v_and_b32_e32 v45, 0xffff0000, v8
	v_lshlrev_b32_e32 v8, 16, v10
	v_mul_f32_e32 v8, v45, v8
	v_and_b32_e32 v9, 0x7f800000, v8
	v_cmp_ne_u32_e64 s[4:5], s15, v9
                                        ; implicit-def: $agpr15
	s_and_saveexec_b64 s[12:13], s[4:5]
	s_xor_b64 s[4:5], exec, s[12:13]
; %bb.814:                              ;   in Loop: Header=BB371_683 Depth=1
	v_bfe_u32 v9, v8, 16, 1
	v_add3_u32 v8, v8, v9, s21
	v_accvgpr_write_b32 a15, v8
                                        ; implicit-def: $vgpr8
; %bb.815:                              ;   in Loop: Header=BB371_683 Depth=1
	s_andn2_saveexec_b64 s[12:13], s[4:5]
; %bb.816:                              ;   in Loop: Header=BB371_683 Depth=1
	v_or_b32_e32 v9, 0x10000, v8
	v_cmp_eq_u32_sdwa s[4:5], v8, v11 src0_sel:WORD_0 src1_sel:DWORD
	v_cndmask_b32_e64 v8, v9, v8, s[4:5]
	v_accvgpr_write_b32 a15, v8
; %bb.817:                              ;   in Loop: Header=BB371_683 Depth=1
	s_or_b64 exec, exec, s[12:13]
	v_and_b32_e32 v46, 0xffff0000, v7
	v_lshlrev_b32_e32 v6, 16, v6
	v_mul_f32_e32 v6, v46, v6
	v_and_b32_e32 v7, 0x7f800000, v6
	v_cmp_ne_u32_e64 s[4:5], s15, v7
                                        ; implicit-def: $agpr16
	s_and_saveexec_b64 s[12:13], s[4:5]
	s_xor_b64 s[4:5], exec, s[12:13]
; %bb.818:                              ;   in Loop: Header=BB371_683 Depth=1
	v_bfe_u32 v7, v6, 16, 1
	v_add3_u32 v6, v6, v7, s21
	v_accvgpr_write_b32 a16, v6
                                        ; implicit-def: $vgpr6
; %bb.819:                              ;   in Loop: Header=BB371_683 Depth=1
	s_andn2_saveexec_b64 s[12:13], s[4:5]
; %bb.820:                              ;   in Loop: Header=BB371_683 Depth=1
	v_or_b32_e32 v7, 0x10000, v6
	v_cmp_eq_u32_sdwa s[4:5], v6, v11 src0_sel:WORD_0 src1_sel:DWORD
	v_cndmask_b32_e64 v6, v7, v6, s[4:5]
	v_accvgpr_write_b32 a16, v6
; %bb.821:                              ;   in Loop: Header=BB371_683 Depth=1
	s_or_b64 exec, exec, s[12:13]
	v_and_b32_e32 v47, 0xffff0000, v5
	v_lshlrev_b32_e32 v3, 16, v3
	v_mul_f32_e32 v3, v47, v3
	v_and_b32_e32 v5, 0x7f800000, v3
	v_cmp_ne_u32_e64 s[4:5], s15, v5
                                        ; implicit-def: $agpr17
	s_and_saveexec_b64 s[12:13], s[4:5]
	s_xor_b64 s[4:5], exec, s[12:13]
; %bb.822:                              ;   in Loop: Header=BB371_683 Depth=1
	v_bfe_u32 v5, v3, 16, 1
	v_add3_u32 v3, v3, v5, s21
	v_accvgpr_write_b32 a17, v3
                                        ; implicit-def: $vgpr3
; %bb.823:                              ;   in Loop: Header=BB371_683 Depth=1
	s_andn2_saveexec_b64 s[12:13], s[4:5]
; %bb.824:                              ;   in Loop: Header=BB371_683 Depth=1
	v_or_b32_e32 v5, 0x10000, v3
	v_cmp_eq_u32_sdwa s[4:5], v3, v11 src0_sel:WORD_0 src1_sel:DWORD
	v_cndmask_b32_e64 v3, v5, v3, s[4:5]
	v_accvgpr_write_b32 a17, v3
; %bb.825:                              ;   in Loop: Header=BB371_683 Depth=1
	s_or_b64 exec, exec, s[12:13]
	v_and_b32_e32 v56, 0xffff0000, v4
	v_lshlrev_b32_e32 v2, 16, v2
	v_mul_f32_e32 v2, v56, v2
	v_and_b32_e32 v3, 0x7f800000, v2
	v_cmp_ne_u32_e64 s[4:5], s15, v3
                                        ; implicit-def: $agpr18
	s_and_saveexec_b64 s[12:13], s[4:5]
	s_xor_b64 s[4:5], exec, s[12:13]
; %bb.826:                              ;   in Loop: Header=BB371_683 Depth=1
	v_bfe_u32 v3, v2, 16, 1
	v_add3_u32 v2, v2, v3, s21
	v_accvgpr_write_b32 a18, v2
                                        ; implicit-def: $vgpr2
; %bb.827:                              ;   in Loop: Header=BB371_683 Depth=1
	s_andn2_saveexec_b64 s[12:13], s[4:5]
; %bb.828:                              ;   in Loop: Header=BB371_683 Depth=1
	v_or_b32_e32 v3, 0x10000, v2
	v_cmp_eq_u32_sdwa s[4:5], v2, v11 src0_sel:WORD_0 src1_sel:DWORD
	v_cndmask_b32_e64 v2, v3, v2, s[4:5]
	v_accvgpr_write_b32 a18, v2
; %bb.829:                              ;   in Loop: Header=BB371_683 Depth=1
	s_or_b64 exec, exec, s[12:13]
	flat_load_dwordx2 v[2:3], v[0:1] offset:512
	v_mov_b32_e32 v4, 0
	s_waitcnt vmcnt(0) lgkmcnt(0)
	v_cmp_ne_u16_sdwa s[4:5], v2, v11 src0_sel:BYTE_0 src1_sel:DWORD
	s_and_saveexec_b64 s[12:13], s[4:5]
	s_cbranch_execz .LBB371_835
; %bb.830:                              ;   in Loop: Header=BB371_683 Depth=1
	v_cmp_ne_u16_sdwa s[4:5], v2, s28 src0_sel:BYTE_0 src1_sel:DWORD
	v_bfrev_b32_e32 v4, 1
	s_and_saveexec_b64 s[24:25], s[4:5]
	s_cbranch_execz .LBB371_834
; %bb.831:                              ;   in Loop: Header=BB371_683 Depth=1
	v_and_b32_e32 v5, 0x7f, v2
	v_cmp_ne_u32_e64 s[4:5], s29, v5
	v_mov_b32_e32 v4, 0x7f800001
	s_and_saveexec_b64 s[26:27], s[4:5]
	s_cbranch_execz .LBB371_833
; %bb.832:                              ;   in Loop: Header=BB371_683 Depth=1
	v_and_b32_e32 v4, 7, v2
	v_ffbh_u32_e32 v4, v4
	v_min_u32_e32 v4, 32, v4
	v_lshrrev_b32_e32 v6, 3, v5
	v_subrev_u32_e32 v7, 28, v4
	v_sub_u32_e32 v4, 29, v4
	v_cmp_gt_u32_e64 s[4:5], 8, v5
	v_cndmask_b32_e64 v6, v6, v4, s[4:5]
	v_cndmask_b32_e64 v4, 0, v7, s[4:5]
	v_lshlrev_b64 v[4:5], v4, v[2:3]
	v_lshlrev_b32_e32 v4, 20, v4
	v_lshlrev_b32_e32 v5, 24, v2
	v_bfrev_b32_e32 v7, 60
	v_and_b32_e32 v4, 0x700000, v4
	v_and_b32_e32 v5, 0x80000000, v5
	v_lshl_add_u32 v6, v6, 23, v7
	v_or3_b32 v4, v5, v6, v4
.LBB371_833:                            ;   in Loop: Header=BB371_683 Depth=1
	s_or_b64 exec, exec, s[26:27]
.LBB371_834:                            ;   in Loop: Header=BB371_683 Depth=1
	s_or_b64 exec, exec, s[24:25]
.LBB371_835:                            ;   in Loop: Header=BB371_683 Depth=1
	s_or_b64 exec, exec, s[12:13]
	v_mul_f32_e32 v5, v33, v4
	v_and_b32_e32 v4, 0x7f800000, v5
	v_cmp_ne_u32_e64 s[4:5], s15, v4
                                        ; implicit-def: $vgpr4
	s_and_saveexec_b64 s[12:13], s[4:5]
	s_xor_b64 s[4:5], exec, s[12:13]
; %bb.836:                              ;   in Loop: Header=BB371_683 Depth=1
	v_bfe_u32 v4, v5, 16, 1
	v_add3_u32 v4, v5, v4, s21
                                        ; implicit-def: $vgpr5
; %bb.837:                              ;   in Loop: Header=BB371_683 Depth=1
	s_andn2_saveexec_b64 s[12:13], s[4:5]
; %bb.838:                              ;   in Loop: Header=BB371_683 Depth=1
	v_or_b32_e32 v4, 0x10000, v5
	v_cmp_eq_u32_sdwa s[4:5], v5, v11 src0_sel:WORD_0 src1_sel:DWORD
	v_cndmask_b32_e64 v4, v4, v5, s[4:5]
; %bb.839:                              ;   in Loop: Header=BB371_683 Depth=1
	s_or_b64 exec, exec, s[12:13]
	v_lshrrev_b16_e32 v6, 8, v2
	v_cmp_ne_u16_e64 s[4:5], 0, v6
	v_mov_b32_e32 v5, 0
	s_and_saveexec_b64 s[12:13], s[4:5]
	s_cbranch_execz .LBB371_845
; %bb.840:                              ;   in Loop: Header=BB371_683 Depth=1
	v_cmp_ne_u16_e64 s[4:5], s28, v6
	v_bfrev_b32_e32 v5, 1
	s_and_saveexec_b64 s[24:25], s[4:5]
	s_cbranch_execz .LBB371_844
; %bb.841:                              ;   in Loop: Header=BB371_683 Depth=1
	v_and_b32_e32 v7, 0x7f, v6
	v_cmp_ne_u32_e64 s[4:5], s29, v7
	v_mov_b32_e32 v5, 0x7f800001
	s_and_saveexec_b64 s[26:27], s[4:5]
	s_cbranch_execz .LBB371_843
; %bb.842:                              ;   in Loop: Header=BB371_683 Depth=1
	v_and_b32_e32 v5, 7, v6
	v_ffbh_u32_e32 v8, v5
	v_min_u32_e32 v22, 32, v8
	v_subrev_u32_e32 v8, 28, v22
	v_lshlrev_b64 v[8:9], v8, v[6:7]
	v_lshrrev_b32_e32 v10, 3, v7
	v_sub_u32_e32 v6, 29, v22
	v_and_b32_e32 v8, 7, v8
	v_cmp_gt_u32_e64 s[4:5], 8, v7
	v_cndmask_b32_e64 v6, v10, v6, s[4:5]
	v_cndmask_b32_e64 v5, v5, v8, s[4:5]
	v_lshlrev_b32_e32 v7, 16, v2
	v_bfrev_b32_e32 v8, 60
	v_lshlrev_b32_e32 v5, 20, v5
	v_and_b32_e32 v7, 0x80000000, v7
	v_lshl_add_u32 v6, v6, 23, v8
	v_or3_b32 v5, v7, v6, v5
.LBB371_843:                            ;   in Loop: Header=BB371_683 Depth=1
	s_or_b64 exec, exec, s[26:27]
.LBB371_844:                            ;   in Loop: Header=BB371_683 Depth=1
	s_or_b64 exec, exec, s[24:25]
.LBB371_845:                            ;   in Loop: Header=BB371_683 Depth=1
	s_or_b64 exec, exec, s[12:13]
	v_mul_f32_e32 v6, v33, v5
	v_and_b32_e32 v5, 0x7f800000, v6
	v_cmp_ne_u32_e64 s[4:5], s15, v5
                                        ; implicit-def: $vgpr5
	s_and_saveexec_b64 s[12:13], s[4:5]
	s_xor_b64 s[4:5], exec, s[12:13]
; %bb.846:                              ;   in Loop: Header=BB371_683 Depth=1
	v_bfe_u32 v5, v6, 16, 1
	v_add3_u32 v5, v6, v5, s21
                                        ; implicit-def: $vgpr6
; %bb.847:                              ;   in Loop: Header=BB371_683 Depth=1
	s_andn2_saveexec_b64 s[12:13], s[4:5]
; %bb.848:                              ;   in Loop: Header=BB371_683 Depth=1
	v_or_b32_e32 v5, 0x10000, v6
	v_cmp_eq_u32_sdwa s[4:5], v6, v11 src0_sel:WORD_0 src1_sel:DWORD
	v_cndmask_b32_e64 v5, v5, v6, s[4:5]
; %bb.849:                              ;   in Loop: Header=BB371_683 Depth=1
	s_or_b64 exec, exec, s[12:13]
	v_lshrrev_b32_e32 v6, 16, v2
	v_cmp_ne_u16_sdwa s[4:5], v6, v11 src0_sel:BYTE_0 src1_sel:DWORD
	v_mov_b32_e32 v7, 0
	s_and_saveexec_b64 s[12:13], s[4:5]
	s_cbranch_execz .LBB371_855
; %bb.850:                              ;   in Loop: Header=BB371_683 Depth=1
	v_cmp_ne_u16_sdwa s[4:5], v6, s28 src0_sel:BYTE_0 src1_sel:DWORD
	v_bfrev_b32_e32 v7, 1
	s_and_saveexec_b64 s[24:25], s[4:5]
	s_cbranch_execz .LBB371_854
; %bb.851:                              ;   in Loop: Header=BB371_683 Depth=1
	v_bfe_u32 v8, v2, 16, 7
	v_cmp_ne_u32_e64 s[4:5], s29, v8
	v_mov_b32_e32 v7, 0x7f800001
	s_and_saveexec_b64 s[26:27], s[4:5]
	s_cbranch_execz .LBB371_853
; %bb.852:                              ;   in Loop: Header=BB371_683 Depth=1
	v_and_b32_e32 v7, 7, v6
	v_ffbh_u32_e32 v10, v7
	v_min_u32_e32 v10, 32, v10
	v_subrev_u32_e32 v22, 28, v10
	v_lshlrev_b64 v[22:23], v22, v[6:7]
	v_lshrrev_b32_e32 v9, 3, v8
	v_sub_u32_e32 v10, 29, v10
	v_and_b32_e32 v22, 7, v22
	v_cmp_gt_u32_e64 s[4:5], 8, v8
	v_cndmask_b32_e64 v8, v9, v10, s[4:5]
	v_cndmask_b32_e64 v7, v7, v22, s[4:5]
	v_lshlrev_b32_e32 v6, 24, v6
	v_bfrev_b32_e32 v9, 60
	v_lshlrev_b32_e32 v7, 20, v7
	v_and_b32_e32 v6, 0x80000000, v6
	v_lshl_add_u32 v8, v8, 23, v9
	v_or3_b32 v7, v6, v8, v7
.LBB371_853:                            ;   in Loop: Header=BB371_683 Depth=1
	s_or_b64 exec, exec, s[26:27]
.LBB371_854:                            ;   in Loop: Header=BB371_683 Depth=1
	s_or_b64 exec, exec, s[24:25]
.LBB371_855:                            ;   in Loop: Header=BB371_683 Depth=1
	s_or_b64 exec, exec, s[12:13]
	v_mul_f32_e32 v6, v33, v7
	v_and_b32_e32 v7, 0x7f800000, v6
	v_cmp_ne_u32_e64 s[4:5], s15, v7
                                        ; implicit-def: $vgpr7
	s_and_saveexec_b64 s[12:13], s[4:5]
	s_xor_b64 s[4:5], exec, s[12:13]
; %bb.856:                              ;   in Loop: Header=BB371_683 Depth=1
	v_bfe_u32 v7, v6, 16, 1
	v_add3_u32 v7, v6, v7, s21
                                        ; implicit-def: $vgpr6
; %bb.857:                              ;   in Loop: Header=BB371_683 Depth=1
	s_andn2_saveexec_b64 s[12:13], s[4:5]
; %bb.858:                              ;   in Loop: Header=BB371_683 Depth=1
	v_or_b32_e32 v7, 0x10000, v6
	v_cmp_eq_u32_sdwa s[4:5], v6, v11 src0_sel:WORD_0 src1_sel:DWORD
	v_cndmask_b32_e64 v7, v7, v6, s[4:5]
; %bb.859:                              ;   in Loop: Header=BB371_683 Depth=1
	s_or_b64 exec, exec, s[12:13]
	v_cmp_lt_u32_e64 s[4:5], s9, v2
	v_mov_b32_e32 v8, 0
	s_and_saveexec_b64 s[12:13], s[4:5]
	s_cbranch_execz .LBB371_865
; %bb.860:                              ;   in Loop: Header=BB371_683 Depth=1
	v_lshrrev_b32_e32 v6, 24, v2
	v_cmp_ne_u32_e64 s[4:5], s28, v6
	v_bfrev_b32_e32 v8, 1
	s_and_saveexec_b64 s[24:25], s[4:5]
	s_cbranch_execz .LBB371_864
; %bb.861:                              ;   in Loop: Header=BB371_683 Depth=1
	v_bfe_u32 v9, v2, 24, 7
	v_cmp_ne_u32_e64 s[4:5], s29, v9
	v_mov_b32_e32 v8, 0x7f800001
	s_and_saveexec_b64 s[26:27], s[4:5]
	s_cbranch_execz .LBB371_863
; %bb.862:                              ;   in Loop: Header=BB371_683 Depth=1
	v_and_b32_e32 v8, 7, v6
	v_ffbh_u32_e32 v22, v8
	v_min_u32_e32 v26, 32, v22
	v_subrev_u32_e32 v22, 28, v26
	v_lshlrev_b64 v[22:23], v22, v[6:7]
	v_lshrrev_b32_e32 v10, 3, v9
	v_sub_u32_e32 v23, 29, v26
	v_and_b32_e32 v22, 7, v22
	v_cmp_gt_u32_e64 s[4:5], 8, v9
	v_cndmask_b32_e64 v9, v10, v23, s[4:5]
	v_cndmask_b32_e64 v8, v8, v22, s[4:5]
	v_lshlrev_b32_e32 v6, 24, v6
	v_bfrev_b32_e32 v10, 60
	v_lshlrev_b32_e32 v8, 20, v8
	v_and_b32_e32 v6, 0x80000000, v6
	v_lshl_add_u32 v9, v9, 23, v10
	v_or3_b32 v8, v6, v9, v8
.LBB371_863:                            ;   in Loop: Header=BB371_683 Depth=1
	s_or_b64 exec, exec, s[26:27]
.LBB371_864:                            ;   in Loop: Header=BB371_683 Depth=1
	s_or_b64 exec, exec, s[24:25]
.LBB371_865:                            ;   in Loop: Header=BB371_683 Depth=1
	s_or_b64 exec, exec, s[12:13]
	v_mul_f32_e32 v6, v33, v8
	v_and_b32_e32 v8, 0x7f800000, v6
	v_cmp_ne_u32_e64 s[4:5], s15, v8
                                        ; implicit-def: $vgpr8
	s_and_saveexec_b64 s[12:13], s[4:5]
	s_xor_b64 s[4:5], exec, s[12:13]
; %bb.866:                              ;   in Loop: Header=BB371_683 Depth=1
	v_bfe_u32 v8, v6, 16, 1
	v_add3_u32 v8, v6, v8, s21
                                        ; implicit-def: $vgpr6
; %bb.867:                              ;   in Loop: Header=BB371_683 Depth=1
	s_andn2_saveexec_b64 s[12:13], s[4:5]
; %bb.868:                              ;   in Loop: Header=BB371_683 Depth=1
	v_or_b32_e32 v8, 0x10000, v6
	v_cmp_eq_u32_sdwa s[4:5], v6, v11 src0_sel:WORD_0 src1_sel:DWORD
	v_cndmask_b32_e64 v8, v8, v6, s[4:5]
; %bb.869:                              ;   in Loop: Header=BB371_683 Depth=1
	s_or_b64 exec, exec, s[12:13]
	v_mov_b32_e32 v10, v3
	v_cmp_ne_u16_sdwa s[4:5], v3, v11 src0_sel:BYTE_0 src1_sel:DWORD
	v_mov_b32_e32 v6, 0
	s_and_saveexec_b64 s[12:13], s[4:5]
	s_cbranch_execz .LBB371_875
; %bb.870:                              ;   in Loop: Header=BB371_683 Depth=1
	v_cmp_ne_u16_sdwa s[4:5], v3, s28 src0_sel:BYTE_0 src1_sel:DWORD
	v_bfrev_b32_e32 v6, 1
	s_and_saveexec_b64 s[24:25], s[4:5]
	s_cbranch_execz .LBB371_874
; %bb.871:                              ;   in Loop: Header=BB371_683 Depth=1
	v_and_b32_e32 v9, 0x7f, v3
	v_cmp_ne_u32_e64 s[4:5], s29, v9
	v_mov_b32_e32 v6, 0x7f800001
	s_and_saveexec_b64 s[26:27], s[4:5]
	s_cbranch_execz .LBB371_873
; %bb.872:                              ;   in Loop: Header=BB371_683 Depth=1
	v_and_b32_e32 v6, 7, v3
	v_ffbh_u32_e32 v6, v6
	v_min_u32_e32 v6, 32, v6
	v_subrev_u32_e32 v23, 28, v6
	v_cmp_gt_u32_e64 s[4:5], 8, v9
	v_lshrrev_b32_e32 v22, 3, v9
	v_sub_u32_e32 v6, 29, v6
	v_cndmask_b32_e64 v9, 0, v23, s[4:5]
	v_cndmask_b32_e64 v6, v22, v6, s[4:5]
	v_lshlrev_b64 v[22:23], v9, v[10:11]
	v_lshlrev_b32_e32 v9, 20, v22
	v_lshlrev_b32_e32 v22, 24, v10
	v_bfrev_b32_e32 v23, 60
	v_and_b32_e32 v9, 0x700000, v9
	v_and_b32_e32 v22, 0x80000000, v22
	v_lshl_add_u32 v6, v6, 23, v23
	v_or3_b32 v6, v22, v6, v9
.LBB371_873:                            ;   in Loop: Header=BB371_683 Depth=1
	s_or_b64 exec, exec, s[26:27]
.LBB371_874:                            ;   in Loop: Header=BB371_683 Depth=1
	s_or_b64 exec, exec, s[24:25]
.LBB371_875:                            ;   in Loop: Header=BB371_683 Depth=1
	s_or_b64 exec, exec, s[12:13]
	v_mul_f32_e32 v6, v33, v6
	v_and_b32_e32 v9, 0x7f800000, v6
	v_cmp_ne_u32_e64 s[4:5], s15, v9
                                        ; implicit-def: $vgpr9
	s_and_saveexec_b64 s[12:13], s[4:5]
	s_xor_b64 s[4:5], exec, s[12:13]
; %bb.876:                              ;   in Loop: Header=BB371_683 Depth=1
	v_bfe_u32 v9, v6, 16, 1
	v_add3_u32 v9, v6, v9, s21
                                        ; implicit-def: $vgpr6
; %bb.877:                              ;   in Loop: Header=BB371_683 Depth=1
	s_andn2_saveexec_b64 s[12:13], s[4:5]
; %bb.878:                              ;   in Loop: Header=BB371_683 Depth=1
	v_or_b32_e32 v9, 0x10000, v6
	v_cmp_eq_u32_sdwa s[4:5], v6, v11 src0_sel:WORD_0 src1_sel:DWORD
	v_cndmask_b32_e64 v9, v9, v6, s[4:5]
; %bb.879:                              ;   in Loop: Header=BB371_683 Depth=1
	s_or_b64 exec, exec, s[12:13]
	v_lshrrev_b16_e32 v6, 8, v10
	v_cmp_ne_u16_e64 s[4:5], 0, v6
	v_mov_b32_e32 v22, 0
	s_and_saveexec_b64 s[12:13], s[4:5]
	s_cbranch_execz .LBB371_885
; %bb.880:                              ;   in Loop: Header=BB371_683 Depth=1
	v_cmp_ne_u16_e64 s[4:5], s28, v6
	v_bfrev_b32_e32 v22, 1
	s_and_saveexec_b64 s[24:25], s[4:5]
	s_cbranch_execz .LBB371_884
; %bb.881:                              ;   in Loop: Header=BB371_683 Depth=1
	v_and_b32_e32 v23, 0x7f, v6
	v_cmp_ne_u32_e64 s[4:5], s29, v23
	v_mov_b32_e32 v22, 0x7f800001
	s_and_saveexec_b64 s[26:27], s[4:5]
	s_cbranch_execz .LBB371_883
; %bb.882:                              ;   in Loop: Header=BB371_683 Depth=1
	v_and_b32_e32 v22, 7, v6
	v_ffbh_u32_e32 v26, v22
	v_min_u32_e32 v29, 32, v26
	v_subrev_u32_e32 v26, 28, v29
	v_lshlrev_b64 v[26:27], v26, v[6:7]
	v_lshrrev_b32_e32 v28, 3, v23
	v_sub_u32_e32 v6, 29, v29
	v_and_b32_e32 v26, 7, v26
	v_cmp_gt_u32_e64 s[4:5], 8, v23
	v_cndmask_b32_e64 v6, v28, v6, s[4:5]
	v_cndmask_b32_e64 v22, v22, v26, s[4:5]
	v_lshlrev_b32_e32 v10, 16, v10
	v_bfrev_b32_e32 v23, 60
	v_lshlrev_b32_e32 v22, 20, v22
	v_and_b32_e32 v10, 0x80000000, v10
	v_lshl_add_u32 v6, v6, 23, v23
	v_or3_b32 v22, v10, v6, v22
.LBB371_883:                            ;   in Loop: Header=BB371_683 Depth=1
	s_or_b64 exec, exec, s[26:27]
.LBB371_884:                            ;   in Loop: Header=BB371_683 Depth=1
	s_or_b64 exec, exec, s[24:25]
.LBB371_885:                            ;   in Loop: Header=BB371_683 Depth=1
	s_or_b64 exec, exec, s[12:13]
	v_mul_f32_e32 v6, v33, v22
	v_and_b32_e32 v10, 0x7f800000, v6
	v_cmp_ne_u32_e64 s[4:5], s15, v10
                                        ; implicit-def: $vgpr10
	s_and_saveexec_b64 s[12:13], s[4:5]
	s_xor_b64 s[4:5], exec, s[12:13]
; %bb.886:                              ;   in Loop: Header=BB371_683 Depth=1
	v_bfe_u32 v10, v6, 16, 1
	v_add3_u32 v10, v6, v10, s21
                                        ; implicit-def: $vgpr6
; %bb.887:                              ;   in Loop: Header=BB371_683 Depth=1
	s_andn2_saveexec_b64 s[12:13], s[4:5]
; %bb.888:                              ;   in Loop: Header=BB371_683 Depth=1
	v_or_b32_e32 v10, 0x10000, v6
	v_cmp_eq_u32_sdwa s[4:5], v6, v11 src0_sel:WORD_0 src1_sel:DWORD
	v_cndmask_b32_e64 v10, v10, v6, s[4:5]
; %bb.889:                              ;   in Loop: Header=BB371_683 Depth=1
	s_or_b64 exec, exec, s[12:13]
	v_lshrrev_b32_e32 v6, 16, v3
	v_cmp_ne_u16_sdwa s[4:5], v6, v11 src0_sel:BYTE_0 src1_sel:DWORD
	v_mov_b32_e32 v22, 0
	s_and_saveexec_b64 s[12:13], s[4:5]
	s_cbranch_execz .LBB371_895
; %bb.890:                              ;   in Loop: Header=BB371_683 Depth=1
	v_cmp_ne_u16_sdwa s[4:5], v6, s28 src0_sel:BYTE_0 src1_sel:DWORD
	v_bfrev_b32_e32 v22, 1
	s_and_saveexec_b64 s[24:25], s[4:5]
	s_cbranch_execz .LBB371_894
; %bb.891:                              ;   in Loop: Header=BB371_683 Depth=1
	v_bfe_u32 v23, v3, 16, 7
	v_cmp_ne_u32_e64 s[4:5], s29, v23
	v_mov_b32_e32 v22, 0x7f800001
	s_and_saveexec_b64 s[26:27], s[4:5]
	s_cbranch_execz .LBB371_893
; %bb.892:                              ;   in Loop: Header=BB371_683 Depth=1
	v_and_b32_e32 v22, 7, v6
	v_ffbh_u32_e32 v26, v22
	v_min_u32_e32 v29, 32, v26
	v_subrev_u32_e32 v26, 28, v29
	v_lshlrev_b64 v[26:27], v26, v[6:7]
	v_lshrrev_b32_e32 v28, 3, v23
	v_sub_u32_e32 v27, 29, v29
	v_and_b32_e32 v26, 7, v26
	v_cmp_gt_u32_e64 s[4:5], 8, v23
	v_cndmask_b32_e64 v23, v28, v27, s[4:5]
	v_cndmask_b32_e64 v22, v22, v26, s[4:5]
	v_lshlrev_b32_e32 v6, 24, v6
	v_bfrev_b32_e32 v26, 60
	v_lshlrev_b32_e32 v22, 20, v22
	v_and_b32_e32 v6, 0x80000000, v6
	v_lshl_add_u32 v23, v23, 23, v26
	v_or3_b32 v22, v6, v23, v22
.LBB371_893:                            ;   in Loop: Header=BB371_683 Depth=1
	s_or_b64 exec, exec, s[26:27]
.LBB371_894:                            ;   in Loop: Header=BB371_683 Depth=1
	s_or_b64 exec, exec, s[24:25]
.LBB371_895:                            ;   in Loop: Header=BB371_683 Depth=1
	s_or_b64 exec, exec, s[12:13]
	v_mul_f32_e32 v6, v33, v22
	v_and_b32_e32 v22, 0x7f800000, v6
	v_cmp_ne_u32_e64 s[4:5], s15, v22
                                        ; implicit-def: $vgpr22
	s_and_saveexec_b64 s[12:13], s[4:5]
	s_xor_b64 s[4:5], exec, s[12:13]
; %bb.896:                              ;   in Loop: Header=BB371_683 Depth=1
	v_bfe_u32 v22, v6, 16, 1
	v_add3_u32 v22, v6, v22, s21
                                        ; implicit-def: $vgpr6
; %bb.897:                              ;   in Loop: Header=BB371_683 Depth=1
	s_andn2_saveexec_b64 s[12:13], s[4:5]
; %bb.898:                              ;   in Loop: Header=BB371_683 Depth=1
	v_or_b32_e32 v22, 0x10000, v6
	v_cmp_eq_u32_sdwa s[4:5], v6, v11 src0_sel:WORD_0 src1_sel:DWORD
	v_cndmask_b32_e64 v22, v22, v6, s[4:5]
; %bb.899:                              ;   in Loop: Header=BB371_683 Depth=1
	s_or_b64 exec, exec, s[12:13]
	v_cmp_lt_u64_e64 s[4:5], s[8:9], v[2:3]
	v_mov_b32_e32 v6, 0
	s_and_saveexec_b64 s[12:13], s[4:5]
	s_cbranch_execz .LBB371_905
; %bb.900:                              ;   in Loop: Header=BB371_683 Depth=1
	v_lshrrev_b32_e32 v2, 24, v3
	v_cmp_ne_u32_e64 s[4:5], s28, v2
	v_bfrev_b32_e32 v6, 1
	s_and_saveexec_b64 s[24:25], s[4:5]
	s_cbranch_execz .LBB371_904
; %bb.901:                              ;   in Loop: Header=BB371_683 Depth=1
	v_bfe_u32 v3, v3, 24, 7
	v_cmp_ne_u32_e64 s[4:5], s29, v3
	v_mov_b32_e32 v6, 0x7f800001
	s_and_saveexec_b64 s[26:27], s[4:5]
	s_cbranch_execz .LBB371_903
; %bb.902:                              ;   in Loop: Header=BB371_683 Depth=1
	v_and_b32_e32 v6, 7, v2
	v_ffbh_u32_e32 v26, v6
	v_min_u32_e32 v28, 32, v26
	v_subrev_u32_e32 v26, 28, v28
	v_lshlrev_b64 v[26:27], v26, v[2:3]
	v_lshrrev_b32_e32 v23, 3, v3
	v_sub_u32_e32 v27, 29, v28
	v_and_b32_e32 v26, 7, v26
	v_cmp_gt_u32_e64 s[4:5], 8, v3
	v_cndmask_b32_e64 v3, v23, v27, s[4:5]
	v_cndmask_b32_e64 v6, v6, v26, s[4:5]
	v_lshlrev_b32_e32 v2, 24, v2
	v_bfrev_b32_e32 v23, 60
	v_lshlrev_b32_e32 v6, 20, v6
	v_and_b32_e32 v2, 0x80000000, v2
	v_lshl_add_u32 v3, v3, 23, v23
	v_or3_b32 v6, v2, v3, v6
.LBB371_903:                            ;   in Loop: Header=BB371_683 Depth=1
	s_or_b64 exec, exec, s[26:27]
.LBB371_904:                            ;   in Loop: Header=BB371_683 Depth=1
	s_or_b64 exec, exec, s[24:25]
.LBB371_905:                            ;   in Loop: Header=BB371_683 Depth=1
	s_or_b64 exec, exec, s[12:13]
	v_mul_f32_e32 v3, v33, v6
	v_and_b32_e32 v2, 0x7f800000, v3
	v_cmp_ne_u32_e64 s[4:5], s15, v2
                                        ; implicit-def: $vgpr2
	s_and_saveexec_b64 s[12:13], s[4:5]
	s_xor_b64 s[4:5], exec, s[12:13]
; %bb.906:                              ;   in Loop: Header=BB371_683 Depth=1
	v_bfe_u32 v2, v3, 16, 1
	v_add3_u32 v2, v3, v2, s21
                                        ; implicit-def: $vgpr3
; %bb.907:                              ;   in Loop: Header=BB371_683 Depth=1
	s_andn2_saveexec_b64 s[12:13], s[4:5]
; %bb.908:                              ;   in Loop: Header=BB371_683 Depth=1
	v_or_b32_e32 v2, 0x10000, v3
	v_cmp_eq_u32_sdwa s[4:5], v3, v11 src0_sel:WORD_0 src1_sel:DWORD
	v_cndmask_b32_e64 v2, v2, v3, s[4:5]
; %bb.909:                              ;   in Loop: Header=BB371_683 Depth=1
	s_or_b64 exec, exec, s[12:13]
	v_lshrrev_b32_e32 v6, 16, v10
	v_lshrrev_b32_e32 v9, 16, v9
	;; [unrolled: 1-line block ×8, first 2 shown]
	s_and_saveexec_b64 s[12:13], vcc
	s_cbranch_execz .LBB371_911
; %bb.910:                              ;   in Loop: Header=BB371_683 Depth=1
	v_cmp_lt_i32_e64 s[4:5], v36, v32
	v_accvgpr_read_b32 v10, a25
	v_cndmask_b32_e64 v4, 0, v4, s[4:5]
	v_cmp_lt_i32_e64 s[4:5], v10, v32
	v_accvgpr_read_b32 v10, a24
	v_cndmask_b32_e64 v5, 0, v5, s[4:5]
	;; [unrolled: 3-line block ×6, first 2 shown]
	v_cmp_lt_i32_e64 s[4:5], v10, v32
	v_cndmask_b32_e64 v3, 0, v3, s[4:5]
	v_cmp_lt_i32_e64 s[4:5], v17, v32
	v_cndmask_b32_e64 v2, 0, v2, s[4:5]
.LBB371_911:                            ;   in Loop: Header=BB371_683 Depth=1
	s_or_b64 exec, exec, s[12:13]
	v_lshlrev_b32_e32 v4, 16, v4
	v_mul_f32_e32 v4, v41, v4
	v_and_b32_e32 v10, 0x7f800000, v4
	v_cmp_ne_u32_e64 s[4:5], s15, v10
                                        ; implicit-def: $agpr26
	s_and_saveexec_b64 s[12:13], s[4:5]
	s_xor_b64 s[4:5], exec, s[12:13]
; %bb.912:                              ;   in Loop: Header=BB371_683 Depth=1
	v_bfe_u32 v10, v4, 16, 1
	v_add3_u32 v4, v4, v10, s21
	v_accvgpr_write_b32 a26, v4
                                        ; implicit-def: $vgpr4
; %bb.913:                              ;   in Loop: Header=BB371_683 Depth=1
	s_andn2_saveexec_b64 s[12:13], s[4:5]
; %bb.914:                              ;   in Loop: Header=BB371_683 Depth=1
	v_or_b32_e32 v10, 0x10000, v4
	v_cmp_eq_u32_sdwa s[4:5], v4, v11 src0_sel:WORD_0 src1_sel:DWORD
	v_cndmask_b32_e64 v4, v10, v4, s[4:5]
	v_accvgpr_write_b32 a26, v4
; %bb.915:                              ;   in Loop: Header=BB371_683 Depth=1
	s_or_b64 exec, exec, s[12:13]
	v_lshlrev_b32_e32 v4, 16, v5
	v_mul_f32_e32 v4, v42, v4
	v_and_b32_e32 v5, 0x7f800000, v4
	v_cmp_ne_u32_e64 s[4:5], s15, v5
                                        ; implicit-def: $agpr27
	s_and_saveexec_b64 s[12:13], s[4:5]
	s_xor_b64 s[4:5], exec, s[12:13]
; %bb.916:                              ;   in Loop: Header=BB371_683 Depth=1
	v_bfe_u32 v5, v4, 16, 1
	v_add3_u32 v4, v4, v5, s21
	v_accvgpr_write_b32 a27, v4
                                        ; implicit-def: $vgpr4
; %bb.917:                              ;   in Loop: Header=BB371_683 Depth=1
	s_andn2_saveexec_b64 s[12:13], s[4:5]
; %bb.918:                              ;   in Loop: Header=BB371_683 Depth=1
	v_or_b32_e32 v5, 0x10000, v4
	v_cmp_eq_u32_sdwa s[4:5], v4, v11 src0_sel:WORD_0 src1_sel:DWORD
	v_cndmask_b32_e64 v4, v5, v4, s[4:5]
	v_accvgpr_write_b32 a27, v4
; %bb.919:                              ;   in Loop: Header=BB371_683 Depth=1
	s_or_b64 exec, exec, s[12:13]
	v_lshlrev_b32_e32 v4, 16, v7
	v_mul_f32_e32 v4, v43, v4
	v_and_b32_e32 v5, 0x7f800000, v4
	v_cmp_ne_u32_e64 s[4:5], s15, v5
                                        ; implicit-def: $agpr28
	s_and_saveexec_b64 s[12:13], s[4:5]
	s_xor_b64 s[4:5], exec, s[12:13]
; %bb.920:                              ;   in Loop: Header=BB371_683 Depth=1
	v_bfe_u32 v5, v4, 16, 1
	v_add3_u32 v4, v4, v5, s21
	v_accvgpr_write_b32 a28, v4
                                        ; implicit-def: $vgpr4
; %bb.921:                              ;   in Loop: Header=BB371_683 Depth=1
	s_andn2_saveexec_b64 s[12:13], s[4:5]
; %bb.922:                              ;   in Loop: Header=BB371_683 Depth=1
	v_or_b32_e32 v5, 0x10000, v4
	v_cmp_eq_u32_sdwa s[4:5], v4, v11 src0_sel:WORD_0 src1_sel:DWORD
	v_cndmask_b32_e64 v4, v5, v4, s[4:5]
	v_accvgpr_write_b32 a28, v4
; %bb.923:                              ;   in Loop: Header=BB371_683 Depth=1
	s_or_b64 exec, exec, s[12:13]
	v_lshlrev_b32_e32 v4, 16, v8
	v_mul_f32_e32 v4, v44, v4
	v_and_b32_e32 v5, 0x7f800000, v4
	v_cmp_ne_u32_e64 s[4:5], s15, v5
                                        ; implicit-def: $agpr29
	s_and_saveexec_b64 s[12:13], s[4:5]
	s_xor_b64 s[4:5], exec, s[12:13]
; %bb.924:                              ;   in Loop: Header=BB371_683 Depth=1
	v_bfe_u32 v5, v4, 16, 1
	v_add3_u32 v4, v4, v5, s21
	v_accvgpr_write_b32 a29, v4
                                        ; implicit-def: $vgpr4
; %bb.925:                              ;   in Loop: Header=BB371_683 Depth=1
	s_andn2_saveexec_b64 s[12:13], s[4:5]
; %bb.926:                              ;   in Loop: Header=BB371_683 Depth=1
	v_or_b32_e32 v5, 0x10000, v4
	v_cmp_eq_u32_sdwa s[4:5], v4, v11 src0_sel:WORD_0 src1_sel:DWORD
	v_cndmask_b32_e64 v4, v5, v4, s[4:5]
	v_accvgpr_write_b32 a29, v4
; %bb.927:                              ;   in Loop: Header=BB371_683 Depth=1
	s_or_b64 exec, exec, s[12:13]
	v_lshlrev_b32_e32 v4, 16, v9
	v_mul_f32_e32 v4, v45, v4
	v_and_b32_e32 v5, 0x7f800000, v4
	v_cmp_ne_u32_e64 s[4:5], s15, v5
                                        ; implicit-def: $agpr30
	s_and_saveexec_b64 s[12:13], s[4:5]
	s_xor_b64 s[4:5], exec, s[12:13]
; %bb.928:                              ;   in Loop: Header=BB371_683 Depth=1
	v_bfe_u32 v5, v4, 16, 1
	v_add3_u32 v4, v4, v5, s21
	v_accvgpr_write_b32 a30, v4
                                        ; implicit-def: $vgpr4
; %bb.929:                              ;   in Loop: Header=BB371_683 Depth=1
	s_andn2_saveexec_b64 s[12:13], s[4:5]
; %bb.930:                              ;   in Loop: Header=BB371_683 Depth=1
	v_or_b32_e32 v5, 0x10000, v4
	v_cmp_eq_u32_sdwa s[4:5], v4, v11 src0_sel:WORD_0 src1_sel:DWORD
	v_cndmask_b32_e64 v4, v5, v4, s[4:5]
	v_accvgpr_write_b32 a30, v4
; %bb.931:                              ;   in Loop: Header=BB371_683 Depth=1
	s_or_b64 exec, exec, s[12:13]
	v_lshlrev_b32_e32 v4, 16, v6
	v_mul_f32_e32 v4, v46, v4
	v_and_b32_e32 v5, 0x7f800000, v4
	v_cmp_ne_u32_e64 s[4:5], s15, v5
                                        ; implicit-def: $agpr31
	s_and_saveexec_b64 s[12:13], s[4:5]
	s_xor_b64 s[4:5], exec, s[12:13]
; %bb.932:                              ;   in Loop: Header=BB371_683 Depth=1
	v_bfe_u32 v5, v4, 16, 1
	v_add3_u32 v4, v4, v5, s21
	v_accvgpr_write_b32 a31, v4
                                        ; implicit-def: $vgpr4
; %bb.933:                              ;   in Loop: Header=BB371_683 Depth=1
	s_andn2_saveexec_b64 s[12:13], s[4:5]
; %bb.934:                              ;   in Loop: Header=BB371_683 Depth=1
	v_or_b32_e32 v5, 0x10000, v4
	v_cmp_eq_u32_sdwa s[4:5], v4, v11 src0_sel:WORD_0 src1_sel:DWORD
	v_cndmask_b32_e64 v4, v5, v4, s[4:5]
	v_accvgpr_write_b32 a31, v4
; %bb.935:                              ;   in Loop: Header=BB371_683 Depth=1
	s_or_b64 exec, exec, s[12:13]
	v_lshlrev_b32_e32 v3, 16, v3
	v_mul_f32_e32 v3, v47, v3
	v_and_b32_e32 v4, 0x7f800000, v3
	v_cmp_ne_u32_e64 s[4:5], s15, v4
                                        ; implicit-def: $agpr0
	s_and_saveexec_b64 s[12:13], s[4:5]
	s_xor_b64 s[4:5], exec, s[12:13]
; %bb.936:                              ;   in Loop: Header=BB371_683 Depth=1
	v_bfe_u32 v4, v3, 16, 1
	v_add3_u32 v3, v3, v4, s21
	v_accvgpr_write_b32 a0, v3
                                        ; implicit-def: $vgpr3
; %bb.937:                              ;   in Loop: Header=BB371_683 Depth=1
	s_andn2_saveexec_b64 s[12:13], s[4:5]
; %bb.938:                              ;   in Loop: Header=BB371_683 Depth=1
	v_or_b32_e32 v4, 0x10000, v3
	v_cmp_eq_u32_sdwa s[4:5], v3, v11 src0_sel:WORD_0 src1_sel:DWORD
	v_cndmask_b32_e64 v3, v4, v3, s[4:5]
	v_accvgpr_write_b32 a0, v3
; %bb.939:                              ;   in Loop: Header=BB371_683 Depth=1
	s_or_b64 exec, exec, s[12:13]
	v_lshlrev_b32_e32 v2, 16, v2
	v_mul_f32_e32 v2, v56, v2
	v_and_b32_e32 v3, 0x7f800000, v2
	v_cmp_ne_u32_e64 s[4:5], s15, v3
                                        ; implicit-def: $agpr1
	s_and_saveexec_b64 s[12:13], s[4:5]
	s_xor_b64 s[4:5], exec, s[12:13]
; %bb.940:                              ;   in Loop: Header=BB371_683 Depth=1
	v_bfe_u32 v3, v2, 16, 1
	v_add3_u32 v2, v2, v3, s21
	v_accvgpr_write_b32 a1, v2
                                        ; implicit-def: $vgpr2
; %bb.941:                              ;   in Loop: Header=BB371_683 Depth=1
	s_andn2_saveexec_b64 s[12:13], s[4:5]
; %bb.942:                              ;   in Loop: Header=BB371_683 Depth=1
	v_or_b32_e32 v3, 0x10000, v2
	v_cmp_eq_u32_sdwa s[4:5], v2, v11 src0_sel:WORD_0 src1_sel:DWORD
	v_cndmask_b32_e64 v2, v3, v2, s[4:5]
	v_accvgpr_write_b32 a1, v2
; %bb.943:                              ;   in Loop: Header=BB371_683 Depth=1
	s_or_b64 exec, exec, s[12:13]
	flat_load_dwordx2 v[2:3], v[0:1] offset:1024
	v_mov_b32_e32 v4, 0
	s_waitcnt vmcnt(0) lgkmcnt(0)
	v_cmp_ne_u16_sdwa s[4:5], v2, v11 src0_sel:BYTE_0 src1_sel:DWORD
	s_and_saveexec_b64 s[12:13], s[4:5]
	s_cbranch_execz .LBB371_949
; %bb.944:                              ;   in Loop: Header=BB371_683 Depth=1
	v_cmp_ne_u16_sdwa s[4:5], v2, s28 src0_sel:BYTE_0 src1_sel:DWORD
	v_bfrev_b32_e32 v4, 1
	s_and_saveexec_b64 s[24:25], s[4:5]
	s_cbranch_execz .LBB371_948
; %bb.945:                              ;   in Loop: Header=BB371_683 Depth=1
	v_and_b32_e32 v5, 0x7f, v2
	v_cmp_ne_u32_e64 s[4:5], s29, v5
	v_mov_b32_e32 v4, 0x7f800001
	s_and_saveexec_b64 s[26:27], s[4:5]
	s_cbranch_execz .LBB371_947
; %bb.946:                              ;   in Loop: Header=BB371_683 Depth=1
	v_and_b32_e32 v4, 7, v2
	v_ffbh_u32_e32 v4, v4
	v_min_u32_e32 v4, 32, v4
	v_lshrrev_b32_e32 v6, 3, v5
	v_subrev_u32_e32 v7, 28, v4
	v_sub_u32_e32 v4, 29, v4
	v_cmp_gt_u32_e64 s[4:5], 8, v5
	v_cndmask_b32_e64 v6, v6, v4, s[4:5]
	v_cndmask_b32_e64 v4, 0, v7, s[4:5]
	v_lshlrev_b64 v[4:5], v4, v[2:3]
	v_lshlrev_b32_e32 v4, 20, v4
	v_lshlrev_b32_e32 v5, 24, v2
	v_bfrev_b32_e32 v7, 60
	v_and_b32_e32 v4, 0x700000, v4
	v_and_b32_e32 v5, 0x80000000, v5
	v_lshl_add_u32 v6, v6, 23, v7
	v_or3_b32 v4, v5, v6, v4
.LBB371_947:                            ;   in Loop: Header=BB371_683 Depth=1
	s_or_b64 exec, exec, s[26:27]
.LBB371_948:                            ;   in Loop: Header=BB371_683 Depth=1
	s_or_b64 exec, exec, s[24:25]
.LBB371_949:                            ;   in Loop: Header=BB371_683 Depth=1
	s_or_b64 exec, exec, s[12:13]
	v_mul_f32_e32 v5, v33, v4
	v_and_b32_e32 v4, 0x7f800000, v5
	v_cmp_ne_u32_e64 s[4:5], s15, v4
                                        ; implicit-def: $vgpr4
	s_and_saveexec_b64 s[12:13], s[4:5]
	s_xor_b64 s[4:5], exec, s[12:13]
; %bb.950:                              ;   in Loop: Header=BB371_683 Depth=1
	v_bfe_u32 v4, v5, 16, 1
	v_add3_u32 v4, v5, v4, s21
                                        ; implicit-def: $vgpr5
; %bb.951:                              ;   in Loop: Header=BB371_683 Depth=1
	s_andn2_saveexec_b64 s[12:13], s[4:5]
; %bb.952:                              ;   in Loop: Header=BB371_683 Depth=1
	v_or_b32_e32 v4, 0x10000, v5
	v_cmp_eq_u32_sdwa s[4:5], v5, v11 src0_sel:WORD_0 src1_sel:DWORD
	v_cndmask_b32_e64 v4, v4, v5, s[4:5]
; %bb.953:                              ;   in Loop: Header=BB371_683 Depth=1
	s_or_b64 exec, exec, s[12:13]
	v_lshrrev_b16_e32 v6, 8, v2
	v_cmp_ne_u16_e64 s[4:5], 0, v6
	v_mov_b32_e32 v5, 0
	s_and_saveexec_b64 s[12:13], s[4:5]
	s_cbranch_execz .LBB371_959
; %bb.954:                              ;   in Loop: Header=BB371_683 Depth=1
	v_cmp_ne_u16_e64 s[4:5], s28, v6
	v_bfrev_b32_e32 v5, 1
	s_and_saveexec_b64 s[24:25], s[4:5]
	s_cbranch_execz .LBB371_958
; %bb.955:                              ;   in Loop: Header=BB371_683 Depth=1
	v_and_b32_e32 v7, 0x7f, v6
	v_cmp_ne_u32_e64 s[4:5], s29, v7
	v_mov_b32_e32 v5, 0x7f800001
	s_and_saveexec_b64 s[26:27], s[4:5]
	s_cbranch_execz .LBB371_957
; %bb.956:                              ;   in Loop: Header=BB371_683 Depth=1
	v_and_b32_e32 v5, 7, v6
	v_ffbh_u32_e32 v8, v5
	v_min_u32_e32 v22, 32, v8
	v_subrev_u32_e32 v8, 28, v22
	v_lshlrev_b64 v[8:9], v8, v[6:7]
	v_lshrrev_b32_e32 v10, 3, v7
	v_sub_u32_e32 v6, 29, v22
	v_and_b32_e32 v8, 7, v8
	v_cmp_gt_u32_e64 s[4:5], 8, v7
	v_cndmask_b32_e64 v6, v10, v6, s[4:5]
	v_cndmask_b32_e64 v5, v5, v8, s[4:5]
	v_lshlrev_b32_e32 v7, 16, v2
	v_bfrev_b32_e32 v8, 60
	v_lshlrev_b32_e32 v5, 20, v5
	v_and_b32_e32 v7, 0x80000000, v7
	v_lshl_add_u32 v6, v6, 23, v8
	v_or3_b32 v5, v7, v6, v5
.LBB371_957:                            ;   in Loop: Header=BB371_683 Depth=1
	s_or_b64 exec, exec, s[26:27]
.LBB371_958:                            ;   in Loop: Header=BB371_683 Depth=1
	s_or_b64 exec, exec, s[24:25]
.LBB371_959:                            ;   in Loop: Header=BB371_683 Depth=1
	s_or_b64 exec, exec, s[12:13]
	v_mul_f32_e32 v6, v33, v5
	v_and_b32_e32 v5, 0x7f800000, v6
	v_cmp_ne_u32_e64 s[4:5], s15, v5
                                        ; implicit-def: $vgpr5
	s_and_saveexec_b64 s[12:13], s[4:5]
	s_xor_b64 s[4:5], exec, s[12:13]
; %bb.960:                              ;   in Loop: Header=BB371_683 Depth=1
	v_bfe_u32 v5, v6, 16, 1
	v_add3_u32 v5, v6, v5, s21
                                        ; implicit-def: $vgpr6
; %bb.961:                              ;   in Loop: Header=BB371_683 Depth=1
	s_andn2_saveexec_b64 s[12:13], s[4:5]
; %bb.962:                              ;   in Loop: Header=BB371_683 Depth=1
	v_or_b32_e32 v5, 0x10000, v6
	v_cmp_eq_u32_sdwa s[4:5], v6, v11 src0_sel:WORD_0 src1_sel:DWORD
	v_cndmask_b32_e64 v5, v5, v6, s[4:5]
; %bb.963:                              ;   in Loop: Header=BB371_683 Depth=1
	s_or_b64 exec, exec, s[12:13]
	v_lshrrev_b32_e32 v6, 16, v2
	v_cmp_ne_u16_sdwa s[4:5], v6, v11 src0_sel:BYTE_0 src1_sel:DWORD
	v_mov_b32_e32 v7, 0
	s_and_saveexec_b64 s[12:13], s[4:5]
	s_cbranch_execz .LBB371_969
; %bb.964:                              ;   in Loop: Header=BB371_683 Depth=1
	v_cmp_ne_u16_sdwa s[4:5], v6, s28 src0_sel:BYTE_0 src1_sel:DWORD
	v_bfrev_b32_e32 v7, 1
	s_and_saveexec_b64 s[24:25], s[4:5]
	s_cbranch_execz .LBB371_968
; %bb.965:                              ;   in Loop: Header=BB371_683 Depth=1
	v_bfe_u32 v8, v2, 16, 7
	v_cmp_ne_u32_e64 s[4:5], s29, v8
	v_mov_b32_e32 v7, 0x7f800001
	s_and_saveexec_b64 s[26:27], s[4:5]
	s_cbranch_execz .LBB371_967
; %bb.966:                              ;   in Loop: Header=BB371_683 Depth=1
	v_and_b32_e32 v7, 7, v6
	v_ffbh_u32_e32 v10, v7
	v_min_u32_e32 v10, 32, v10
	v_subrev_u32_e32 v22, 28, v10
	v_lshlrev_b64 v[22:23], v22, v[6:7]
	v_lshrrev_b32_e32 v9, 3, v8
	v_sub_u32_e32 v10, 29, v10
	v_and_b32_e32 v22, 7, v22
	v_cmp_gt_u32_e64 s[4:5], 8, v8
	v_cndmask_b32_e64 v8, v9, v10, s[4:5]
	v_cndmask_b32_e64 v7, v7, v22, s[4:5]
	v_lshlrev_b32_e32 v6, 24, v6
	v_bfrev_b32_e32 v9, 60
	v_lshlrev_b32_e32 v7, 20, v7
	v_and_b32_e32 v6, 0x80000000, v6
	v_lshl_add_u32 v8, v8, 23, v9
	v_or3_b32 v7, v6, v8, v7
.LBB371_967:                            ;   in Loop: Header=BB371_683 Depth=1
	s_or_b64 exec, exec, s[26:27]
.LBB371_968:                            ;   in Loop: Header=BB371_683 Depth=1
	s_or_b64 exec, exec, s[24:25]
.LBB371_969:                            ;   in Loop: Header=BB371_683 Depth=1
	s_or_b64 exec, exec, s[12:13]
	v_mul_f32_e32 v6, v33, v7
	v_and_b32_e32 v7, 0x7f800000, v6
	v_cmp_ne_u32_e64 s[4:5], s15, v7
                                        ; implicit-def: $vgpr7
	s_and_saveexec_b64 s[12:13], s[4:5]
	s_xor_b64 s[4:5], exec, s[12:13]
; %bb.970:                              ;   in Loop: Header=BB371_683 Depth=1
	v_bfe_u32 v7, v6, 16, 1
	v_add3_u32 v7, v6, v7, s21
                                        ; implicit-def: $vgpr6
; %bb.971:                              ;   in Loop: Header=BB371_683 Depth=1
	s_andn2_saveexec_b64 s[12:13], s[4:5]
; %bb.972:                              ;   in Loop: Header=BB371_683 Depth=1
	v_or_b32_e32 v7, 0x10000, v6
	v_cmp_eq_u32_sdwa s[4:5], v6, v11 src0_sel:WORD_0 src1_sel:DWORD
	v_cndmask_b32_e64 v7, v7, v6, s[4:5]
; %bb.973:                              ;   in Loop: Header=BB371_683 Depth=1
	s_or_b64 exec, exec, s[12:13]
	v_cmp_lt_u32_e64 s[4:5], s9, v2
	v_mov_b32_e32 v8, 0
	s_and_saveexec_b64 s[12:13], s[4:5]
	s_cbranch_execz .LBB371_979
; %bb.974:                              ;   in Loop: Header=BB371_683 Depth=1
	v_lshrrev_b32_e32 v6, 24, v2
	v_cmp_ne_u32_e64 s[4:5], s28, v6
	v_bfrev_b32_e32 v8, 1
	s_and_saveexec_b64 s[24:25], s[4:5]
	s_cbranch_execz .LBB371_978
; %bb.975:                              ;   in Loop: Header=BB371_683 Depth=1
	v_bfe_u32 v9, v2, 24, 7
	v_cmp_ne_u32_e64 s[4:5], s29, v9
	v_mov_b32_e32 v8, 0x7f800001
	s_and_saveexec_b64 s[26:27], s[4:5]
	s_cbranch_execz .LBB371_977
; %bb.976:                              ;   in Loop: Header=BB371_683 Depth=1
	v_and_b32_e32 v8, 7, v6
	v_ffbh_u32_e32 v22, v8
	v_min_u32_e32 v26, 32, v22
	v_subrev_u32_e32 v22, 28, v26
	v_lshlrev_b64 v[22:23], v22, v[6:7]
	v_lshrrev_b32_e32 v10, 3, v9
	v_sub_u32_e32 v23, 29, v26
	v_and_b32_e32 v22, 7, v22
	v_cmp_gt_u32_e64 s[4:5], 8, v9
	v_cndmask_b32_e64 v9, v10, v23, s[4:5]
	v_cndmask_b32_e64 v8, v8, v22, s[4:5]
	v_lshlrev_b32_e32 v6, 24, v6
	v_bfrev_b32_e32 v10, 60
	v_lshlrev_b32_e32 v8, 20, v8
	v_and_b32_e32 v6, 0x80000000, v6
	v_lshl_add_u32 v9, v9, 23, v10
	v_or3_b32 v8, v6, v9, v8
.LBB371_977:                            ;   in Loop: Header=BB371_683 Depth=1
	s_or_b64 exec, exec, s[26:27]
.LBB371_978:                            ;   in Loop: Header=BB371_683 Depth=1
	s_or_b64 exec, exec, s[24:25]
.LBB371_979:                            ;   in Loop: Header=BB371_683 Depth=1
	s_or_b64 exec, exec, s[12:13]
	v_mul_f32_e32 v6, v33, v8
	v_and_b32_e32 v8, 0x7f800000, v6
	v_cmp_ne_u32_e64 s[4:5], s15, v8
                                        ; implicit-def: $vgpr8
	s_and_saveexec_b64 s[12:13], s[4:5]
	s_xor_b64 s[4:5], exec, s[12:13]
; %bb.980:                              ;   in Loop: Header=BB371_683 Depth=1
	v_bfe_u32 v8, v6, 16, 1
	v_add3_u32 v8, v6, v8, s21
                                        ; implicit-def: $vgpr6
; %bb.981:                              ;   in Loop: Header=BB371_683 Depth=1
	s_andn2_saveexec_b64 s[12:13], s[4:5]
; %bb.982:                              ;   in Loop: Header=BB371_683 Depth=1
	v_or_b32_e32 v8, 0x10000, v6
	v_cmp_eq_u32_sdwa s[4:5], v6, v11 src0_sel:WORD_0 src1_sel:DWORD
	v_cndmask_b32_e64 v8, v8, v6, s[4:5]
; %bb.983:                              ;   in Loop: Header=BB371_683 Depth=1
	s_or_b64 exec, exec, s[12:13]
	v_mov_b32_e32 v10, v3
	v_cmp_ne_u16_sdwa s[4:5], v3, v11 src0_sel:BYTE_0 src1_sel:DWORD
	v_mov_b32_e32 v6, 0
	s_and_saveexec_b64 s[12:13], s[4:5]
	s_cbranch_execz .LBB371_989
; %bb.984:                              ;   in Loop: Header=BB371_683 Depth=1
	v_cmp_ne_u16_sdwa s[4:5], v3, s28 src0_sel:BYTE_0 src1_sel:DWORD
	v_bfrev_b32_e32 v6, 1
	s_and_saveexec_b64 s[24:25], s[4:5]
	s_cbranch_execz .LBB371_988
; %bb.985:                              ;   in Loop: Header=BB371_683 Depth=1
	v_and_b32_e32 v9, 0x7f, v3
	v_cmp_ne_u32_e64 s[4:5], s29, v9
	v_mov_b32_e32 v6, 0x7f800001
	s_and_saveexec_b64 s[26:27], s[4:5]
	s_cbranch_execz .LBB371_987
; %bb.986:                              ;   in Loop: Header=BB371_683 Depth=1
	v_and_b32_e32 v6, 7, v3
	v_ffbh_u32_e32 v6, v6
	v_min_u32_e32 v6, 32, v6
	v_subrev_u32_e32 v23, 28, v6
	v_cmp_gt_u32_e64 s[4:5], 8, v9
	v_lshrrev_b32_e32 v22, 3, v9
	v_sub_u32_e32 v6, 29, v6
	v_cndmask_b32_e64 v9, 0, v23, s[4:5]
	v_cndmask_b32_e64 v6, v22, v6, s[4:5]
	v_lshlrev_b64 v[22:23], v9, v[10:11]
	v_lshlrev_b32_e32 v9, 20, v22
	v_lshlrev_b32_e32 v22, 24, v10
	v_bfrev_b32_e32 v23, 60
	v_and_b32_e32 v9, 0x700000, v9
	v_and_b32_e32 v22, 0x80000000, v22
	v_lshl_add_u32 v6, v6, 23, v23
	v_or3_b32 v6, v22, v6, v9
.LBB371_987:                            ;   in Loop: Header=BB371_683 Depth=1
	s_or_b64 exec, exec, s[26:27]
.LBB371_988:                            ;   in Loop: Header=BB371_683 Depth=1
	s_or_b64 exec, exec, s[24:25]
.LBB371_989:                            ;   in Loop: Header=BB371_683 Depth=1
	s_or_b64 exec, exec, s[12:13]
	v_mul_f32_e32 v6, v33, v6
	v_and_b32_e32 v9, 0x7f800000, v6
	v_cmp_ne_u32_e64 s[4:5], s15, v9
                                        ; implicit-def: $vgpr9
	s_and_saveexec_b64 s[12:13], s[4:5]
	s_xor_b64 s[4:5], exec, s[12:13]
; %bb.990:                              ;   in Loop: Header=BB371_683 Depth=1
	v_bfe_u32 v9, v6, 16, 1
	v_add3_u32 v9, v6, v9, s21
                                        ; implicit-def: $vgpr6
; %bb.991:                              ;   in Loop: Header=BB371_683 Depth=1
	s_andn2_saveexec_b64 s[12:13], s[4:5]
; %bb.992:                              ;   in Loop: Header=BB371_683 Depth=1
	v_or_b32_e32 v9, 0x10000, v6
	v_cmp_eq_u32_sdwa s[4:5], v6, v11 src0_sel:WORD_0 src1_sel:DWORD
	v_cndmask_b32_e64 v9, v9, v6, s[4:5]
; %bb.993:                              ;   in Loop: Header=BB371_683 Depth=1
	s_or_b64 exec, exec, s[12:13]
	v_lshrrev_b16_e32 v6, 8, v10
	v_cmp_ne_u16_e64 s[4:5], 0, v6
	v_mov_b32_e32 v22, 0
	s_and_saveexec_b64 s[12:13], s[4:5]
	s_cbranch_execz .LBB371_999
; %bb.994:                              ;   in Loop: Header=BB371_683 Depth=1
	v_cmp_ne_u16_e64 s[4:5], s28, v6
	v_bfrev_b32_e32 v22, 1
	s_and_saveexec_b64 s[24:25], s[4:5]
	s_cbranch_execz .LBB371_998
; %bb.995:                              ;   in Loop: Header=BB371_683 Depth=1
	v_and_b32_e32 v23, 0x7f, v6
	v_cmp_ne_u32_e64 s[4:5], s29, v23
	v_mov_b32_e32 v22, 0x7f800001
	s_and_saveexec_b64 s[26:27], s[4:5]
	s_cbranch_execz .LBB371_997
; %bb.996:                              ;   in Loop: Header=BB371_683 Depth=1
	v_and_b32_e32 v22, 7, v6
	v_ffbh_u32_e32 v26, v22
	v_min_u32_e32 v29, 32, v26
	v_subrev_u32_e32 v26, 28, v29
	v_lshlrev_b64 v[26:27], v26, v[6:7]
	v_lshrrev_b32_e32 v28, 3, v23
	v_sub_u32_e32 v6, 29, v29
	v_and_b32_e32 v26, 7, v26
	v_cmp_gt_u32_e64 s[4:5], 8, v23
	v_cndmask_b32_e64 v6, v28, v6, s[4:5]
	v_cndmask_b32_e64 v22, v22, v26, s[4:5]
	v_lshlrev_b32_e32 v10, 16, v10
	v_bfrev_b32_e32 v23, 60
	v_lshlrev_b32_e32 v22, 20, v22
	v_and_b32_e32 v10, 0x80000000, v10
	v_lshl_add_u32 v6, v6, 23, v23
	v_or3_b32 v22, v10, v6, v22
.LBB371_997:                            ;   in Loop: Header=BB371_683 Depth=1
	s_or_b64 exec, exec, s[26:27]
.LBB371_998:                            ;   in Loop: Header=BB371_683 Depth=1
	s_or_b64 exec, exec, s[24:25]
.LBB371_999:                            ;   in Loop: Header=BB371_683 Depth=1
	s_or_b64 exec, exec, s[12:13]
	v_mul_f32_e32 v6, v33, v22
	v_and_b32_e32 v10, 0x7f800000, v6
	v_cmp_ne_u32_e64 s[4:5], s15, v10
                                        ; implicit-def: $vgpr10
	s_and_saveexec_b64 s[12:13], s[4:5]
	s_xor_b64 s[4:5], exec, s[12:13]
; %bb.1000:                             ;   in Loop: Header=BB371_683 Depth=1
	v_bfe_u32 v10, v6, 16, 1
	v_add3_u32 v10, v6, v10, s21
                                        ; implicit-def: $vgpr6
; %bb.1001:                             ;   in Loop: Header=BB371_683 Depth=1
	s_andn2_saveexec_b64 s[12:13], s[4:5]
; %bb.1002:                             ;   in Loop: Header=BB371_683 Depth=1
	v_or_b32_e32 v10, 0x10000, v6
	v_cmp_eq_u32_sdwa s[4:5], v6, v11 src0_sel:WORD_0 src1_sel:DWORD
	v_cndmask_b32_e64 v10, v10, v6, s[4:5]
; %bb.1003:                             ;   in Loop: Header=BB371_683 Depth=1
	s_or_b64 exec, exec, s[12:13]
	v_lshrrev_b32_e32 v6, 16, v3
	v_cmp_ne_u16_sdwa s[4:5], v6, v11 src0_sel:BYTE_0 src1_sel:DWORD
	v_mov_b32_e32 v22, 0
	s_and_saveexec_b64 s[12:13], s[4:5]
	s_cbranch_execz .LBB371_1009
; %bb.1004:                             ;   in Loop: Header=BB371_683 Depth=1
	v_cmp_ne_u16_sdwa s[4:5], v6, s28 src0_sel:BYTE_0 src1_sel:DWORD
	v_bfrev_b32_e32 v22, 1
	s_and_saveexec_b64 s[24:25], s[4:5]
	s_cbranch_execz .LBB371_1008
; %bb.1005:                             ;   in Loop: Header=BB371_683 Depth=1
	v_bfe_u32 v23, v3, 16, 7
	v_cmp_ne_u32_e64 s[4:5], s29, v23
	v_mov_b32_e32 v22, 0x7f800001
	s_and_saveexec_b64 s[26:27], s[4:5]
	s_cbranch_execz .LBB371_1007
; %bb.1006:                             ;   in Loop: Header=BB371_683 Depth=1
	v_and_b32_e32 v22, 7, v6
	v_ffbh_u32_e32 v26, v22
	v_min_u32_e32 v29, 32, v26
	v_subrev_u32_e32 v26, 28, v29
	v_lshlrev_b64 v[26:27], v26, v[6:7]
	v_lshrrev_b32_e32 v28, 3, v23
	v_sub_u32_e32 v27, 29, v29
	v_and_b32_e32 v26, 7, v26
	v_cmp_gt_u32_e64 s[4:5], 8, v23
	v_cndmask_b32_e64 v23, v28, v27, s[4:5]
	v_cndmask_b32_e64 v22, v22, v26, s[4:5]
	v_lshlrev_b32_e32 v6, 24, v6
	v_bfrev_b32_e32 v26, 60
	v_lshlrev_b32_e32 v22, 20, v22
	v_and_b32_e32 v6, 0x80000000, v6
	v_lshl_add_u32 v23, v23, 23, v26
	v_or3_b32 v22, v6, v23, v22
.LBB371_1007:                           ;   in Loop: Header=BB371_683 Depth=1
	s_or_b64 exec, exec, s[26:27]
.LBB371_1008:                           ;   in Loop: Header=BB371_683 Depth=1
	s_or_b64 exec, exec, s[24:25]
.LBB371_1009:                           ;   in Loop: Header=BB371_683 Depth=1
	s_or_b64 exec, exec, s[12:13]
	v_mul_f32_e32 v6, v33, v22
	v_and_b32_e32 v22, 0x7f800000, v6
	v_cmp_ne_u32_e64 s[4:5], s15, v22
                                        ; implicit-def: $vgpr22
	s_and_saveexec_b64 s[12:13], s[4:5]
	s_xor_b64 s[4:5], exec, s[12:13]
; %bb.1010:                             ;   in Loop: Header=BB371_683 Depth=1
	v_bfe_u32 v22, v6, 16, 1
	v_add3_u32 v22, v6, v22, s21
                                        ; implicit-def: $vgpr6
; %bb.1011:                             ;   in Loop: Header=BB371_683 Depth=1
	s_andn2_saveexec_b64 s[12:13], s[4:5]
; %bb.1012:                             ;   in Loop: Header=BB371_683 Depth=1
	v_or_b32_e32 v22, 0x10000, v6
	v_cmp_eq_u32_sdwa s[4:5], v6, v11 src0_sel:WORD_0 src1_sel:DWORD
	v_cndmask_b32_e64 v22, v22, v6, s[4:5]
; %bb.1013:                             ;   in Loop: Header=BB371_683 Depth=1
	s_or_b64 exec, exec, s[12:13]
	v_cmp_lt_u64_e64 s[4:5], s[8:9], v[2:3]
	v_mov_b32_e32 v6, 0
	s_and_saveexec_b64 s[12:13], s[4:5]
	s_cbranch_execz .LBB371_1019
; %bb.1014:                             ;   in Loop: Header=BB371_683 Depth=1
	v_lshrrev_b32_e32 v2, 24, v3
	v_cmp_ne_u32_e64 s[4:5], s28, v2
	v_bfrev_b32_e32 v6, 1
	s_and_saveexec_b64 s[24:25], s[4:5]
	s_cbranch_execz .LBB371_1018
; %bb.1015:                             ;   in Loop: Header=BB371_683 Depth=1
	v_bfe_u32 v3, v3, 24, 7
	v_cmp_ne_u32_e64 s[4:5], s29, v3
	v_mov_b32_e32 v6, 0x7f800001
	s_and_saveexec_b64 s[26:27], s[4:5]
	s_cbranch_execz .LBB371_1017
; %bb.1016:                             ;   in Loop: Header=BB371_683 Depth=1
	v_and_b32_e32 v6, 7, v2
	v_ffbh_u32_e32 v26, v6
	v_min_u32_e32 v28, 32, v26
	v_subrev_u32_e32 v26, 28, v28
	v_lshlrev_b64 v[26:27], v26, v[2:3]
	v_lshrrev_b32_e32 v23, 3, v3
	v_sub_u32_e32 v27, 29, v28
	v_and_b32_e32 v26, 7, v26
	v_cmp_gt_u32_e64 s[4:5], 8, v3
	v_cndmask_b32_e64 v3, v23, v27, s[4:5]
	v_cndmask_b32_e64 v6, v6, v26, s[4:5]
	v_lshlrev_b32_e32 v2, 24, v2
	v_bfrev_b32_e32 v23, 60
	v_lshlrev_b32_e32 v6, 20, v6
	v_and_b32_e32 v2, 0x80000000, v2
	v_lshl_add_u32 v3, v3, 23, v23
	v_or3_b32 v6, v2, v3, v6
.LBB371_1017:                           ;   in Loop: Header=BB371_683 Depth=1
	s_or_b64 exec, exec, s[26:27]
.LBB371_1018:                           ;   in Loop: Header=BB371_683 Depth=1
	s_or_b64 exec, exec, s[24:25]
.LBB371_1019:                           ;   in Loop: Header=BB371_683 Depth=1
	s_or_b64 exec, exec, s[12:13]
	v_mul_f32_e32 v3, v33, v6
	v_and_b32_e32 v2, 0x7f800000, v3
	v_cmp_ne_u32_e64 s[4:5], s15, v2
                                        ; implicit-def: $vgpr2
	s_and_saveexec_b64 s[12:13], s[4:5]
	s_xor_b64 s[4:5], exec, s[12:13]
; %bb.1020:                             ;   in Loop: Header=BB371_683 Depth=1
	v_bfe_u32 v2, v3, 16, 1
	v_add3_u32 v2, v3, v2, s21
                                        ; implicit-def: $vgpr3
; %bb.1021:                             ;   in Loop: Header=BB371_683 Depth=1
	s_andn2_saveexec_b64 s[12:13], s[4:5]
; %bb.1022:                             ;   in Loop: Header=BB371_683 Depth=1
	v_or_b32_e32 v2, 0x10000, v3
	v_cmp_eq_u32_sdwa s[4:5], v3, v11 src0_sel:WORD_0 src1_sel:DWORD
	v_cndmask_b32_e64 v2, v2, v3, s[4:5]
; %bb.1023:                             ;   in Loop: Header=BB371_683 Depth=1
	s_or_b64 exec, exec, s[12:13]
	v_lshrrev_b32_e32 v6, 16, v10
	v_lshrrev_b32_e32 v9, 16, v9
	;; [unrolled: 1-line block ×8, first 2 shown]
	s_and_saveexec_b64 s[12:13], vcc
	s_cbranch_execz .LBB371_1025
; %bb.1024:                             ;   in Loop: Header=BB371_683 Depth=1
	v_cmp_lt_i32_e64 s[4:5], v36, v32
	v_accvgpr_read_b32 v10, a25
	v_cndmask_b32_e64 v4, 0, v4, s[4:5]
	v_cmp_lt_i32_e64 s[4:5], v10, v32
	v_accvgpr_read_b32 v10, a24
	v_cndmask_b32_e64 v5, 0, v5, s[4:5]
	;; [unrolled: 3-line block ×6, first 2 shown]
	v_cmp_lt_i32_e64 s[4:5], v10, v32
	v_cndmask_b32_e64 v3, 0, v3, s[4:5]
	v_cmp_lt_i32_e64 s[4:5], v17, v32
	v_cndmask_b32_e64 v2, 0, v2, s[4:5]
.LBB371_1025:                           ;   in Loop: Header=BB371_683 Depth=1
	s_or_b64 exec, exec, s[12:13]
	v_lshlrev_b32_e32 v4, 16, v4
	v_mul_f32_e32 v4, v41, v4
	v_and_b32_e32 v10, 0x7f800000, v4
	v_cmp_ne_u32_e64 s[4:5], s15, v10
                                        ; implicit-def: $agpr2
	s_and_saveexec_b64 s[12:13], s[4:5]
	s_xor_b64 s[4:5], exec, s[12:13]
; %bb.1026:                             ;   in Loop: Header=BB371_683 Depth=1
	v_bfe_u32 v10, v4, 16, 1
	v_add3_u32 v4, v4, v10, s21
	v_accvgpr_write_b32 a2, v4
                                        ; implicit-def: $vgpr4
; %bb.1027:                             ;   in Loop: Header=BB371_683 Depth=1
	s_andn2_saveexec_b64 s[12:13], s[4:5]
; %bb.1028:                             ;   in Loop: Header=BB371_683 Depth=1
	v_or_b32_e32 v10, 0x10000, v4
	v_cmp_eq_u32_sdwa s[4:5], v4, v11 src0_sel:WORD_0 src1_sel:DWORD
	v_cndmask_b32_e64 v4, v10, v4, s[4:5]
	v_accvgpr_write_b32 a2, v4
; %bb.1029:                             ;   in Loop: Header=BB371_683 Depth=1
	s_or_b64 exec, exec, s[12:13]
	v_lshlrev_b32_e32 v4, 16, v5
	v_mul_f32_e32 v4, v42, v4
	v_and_b32_e32 v5, 0x7f800000, v4
	v_cmp_ne_u32_e64 s[4:5], s15, v5
                                        ; implicit-def: $agpr3
	s_and_saveexec_b64 s[12:13], s[4:5]
	s_xor_b64 s[4:5], exec, s[12:13]
; %bb.1030:                             ;   in Loop: Header=BB371_683 Depth=1
	v_bfe_u32 v5, v4, 16, 1
	v_add3_u32 v4, v4, v5, s21
	v_accvgpr_write_b32 a3, v4
                                        ; implicit-def: $vgpr4
; %bb.1031:                             ;   in Loop: Header=BB371_683 Depth=1
	s_andn2_saveexec_b64 s[12:13], s[4:5]
; %bb.1032:                             ;   in Loop: Header=BB371_683 Depth=1
	v_or_b32_e32 v5, 0x10000, v4
	v_cmp_eq_u32_sdwa s[4:5], v4, v11 src0_sel:WORD_0 src1_sel:DWORD
	v_cndmask_b32_e64 v4, v5, v4, s[4:5]
	v_accvgpr_write_b32 a3, v4
; %bb.1033:                             ;   in Loop: Header=BB371_683 Depth=1
	s_or_b64 exec, exec, s[12:13]
	v_lshlrev_b32_e32 v4, 16, v7
	v_mul_f32_e32 v4, v43, v4
	v_and_b32_e32 v5, 0x7f800000, v4
	v_cmp_ne_u32_e64 s[4:5], s15, v5
                                        ; implicit-def: $agpr32
	s_and_saveexec_b64 s[12:13], s[4:5]
	s_xor_b64 s[4:5], exec, s[12:13]
; %bb.1034:                             ;   in Loop: Header=BB371_683 Depth=1
	v_bfe_u32 v5, v4, 16, 1
	v_add3_u32 v4, v4, v5, s21
	v_accvgpr_write_b32 a32, v4
                                        ; implicit-def: $vgpr4
; %bb.1035:                             ;   in Loop: Header=BB371_683 Depth=1
	s_andn2_saveexec_b64 s[12:13], s[4:5]
; %bb.1036:                             ;   in Loop: Header=BB371_683 Depth=1
	v_or_b32_e32 v5, 0x10000, v4
	v_cmp_eq_u32_sdwa s[4:5], v4, v11 src0_sel:WORD_0 src1_sel:DWORD
	v_cndmask_b32_e64 v4, v5, v4, s[4:5]
	v_accvgpr_write_b32 a32, v4
; %bb.1037:                             ;   in Loop: Header=BB371_683 Depth=1
	s_or_b64 exec, exec, s[12:13]
	v_lshlrev_b32_e32 v4, 16, v8
	v_mul_f32_e32 v4, v44, v4
	v_and_b32_e32 v5, 0x7f800000, v4
	v_cmp_ne_u32_e64 s[4:5], s15, v5
                                        ; implicit-def: $agpr33
	s_and_saveexec_b64 s[12:13], s[4:5]
	s_xor_b64 s[4:5], exec, s[12:13]
; %bb.1038:                             ;   in Loop: Header=BB371_683 Depth=1
	v_bfe_u32 v5, v4, 16, 1
	v_add3_u32 v4, v4, v5, s21
	v_accvgpr_write_b32 a33, v4
                                        ; implicit-def: $vgpr4
; %bb.1039:                             ;   in Loop: Header=BB371_683 Depth=1
	s_andn2_saveexec_b64 s[12:13], s[4:5]
; %bb.1040:                             ;   in Loop: Header=BB371_683 Depth=1
	v_or_b32_e32 v5, 0x10000, v4
	v_cmp_eq_u32_sdwa s[4:5], v4, v11 src0_sel:WORD_0 src1_sel:DWORD
	v_cndmask_b32_e64 v4, v5, v4, s[4:5]
	v_accvgpr_write_b32 a33, v4
; %bb.1041:                             ;   in Loop: Header=BB371_683 Depth=1
	s_or_b64 exec, exec, s[12:13]
	v_lshlrev_b32_e32 v4, 16, v9
	v_mul_f32_e32 v4, v45, v4
	v_and_b32_e32 v5, 0x7f800000, v4
	v_cmp_ne_u32_e64 s[4:5], s15, v5
                                        ; implicit-def: $agpr34
	s_and_saveexec_b64 s[12:13], s[4:5]
	s_xor_b64 s[4:5], exec, s[12:13]
; %bb.1042:                             ;   in Loop: Header=BB371_683 Depth=1
	v_bfe_u32 v5, v4, 16, 1
	v_add3_u32 v4, v4, v5, s21
	v_accvgpr_write_b32 a34, v4
                                        ; implicit-def: $vgpr4
; %bb.1043:                             ;   in Loop: Header=BB371_683 Depth=1
	s_andn2_saveexec_b64 s[12:13], s[4:5]
; %bb.1044:                             ;   in Loop: Header=BB371_683 Depth=1
	v_or_b32_e32 v5, 0x10000, v4
	v_cmp_eq_u32_sdwa s[4:5], v4, v11 src0_sel:WORD_0 src1_sel:DWORD
	v_cndmask_b32_e64 v4, v5, v4, s[4:5]
	v_accvgpr_write_b32 a34, v4
; %bb.1045:                             ;   in Loop: Header=BB371_683 Depth=1
	s_or_b64 exec, exec, s[12:13]
	v_lshlrev_b32_e32 v4, 16, v6
	v_mul_f32_e32 v4, v46, v4
	v_and_b32_e32 v5, 0x7f800000, v4
	v_cmp_ne_u32_e64 s[4:5], s15, v5
                                        ; implicit-def: $agpr35
	s_and_saveexec_b64 s[12:13], s[4:5]
	s_xor_b64 s[4:5], exec, s[12:13]
; %bb.1046:                             ;   in Loop: Header=BB371_683 Depth=1
	v_bfe_u32 v5, v4, 16, 1
	v_add3_u32 v4, v4, v5, s21
	v_accvgpr_write_b32 a35, v4
                                        ; implicit-def: $vgpr4
; %bb.1047:                             ;   in Loop: Header=BB371_683 Depth=1
	s_andn2_saveexec_b64 s[12:13], s[4:5]
; %bb.1048:                             ;   in Loop: Header=BB371_683 Depth=1
	v_or_b32_e32 v5, 0x10000, v4
	v_cmp_eq_u32_sdwa s[4:5], v4, v11 src0_sel:WORD_0 src1_sel:DWORD
	v_cndmask_b32_e64 v4, v5, v4, s[4:5]
	v_accvgpr_write_b32 a35, v4
; %bb.1049:                             ;   in Loop: Header=BB371_683 Depth=1
	s_or_b64 exec, exec, s[12:13]
	v_lshlrev_b32_e32 v3, 16, v3
	v_mul_f32_e32 v3, v47, v3
	v_and_b32_e32 v4, 0x7f800000, v3
	v_cmp_ne_u32_e64 s[4:5], s15, v4
                                        ; implicit-def: $agpr36
	s_and_saveexec_b64 s[12:13], s[4:5]
	s_xor_b64 s[4:5], exec, s[12:13]
; %bb.1050:                             ;   in Loop: Header=BB371_683 Depth=1
	v_bfe_u32 v4, v3, 16, 1
	v_add3_u32 v3, v3, v4, s21
	v_accvgpr_write_b32 a36, v3
                                        ; implicit-def: $vgpr3
; %bb.1051:                             ;   in Loop: Header=BB371_683 Depth=1
	s_andn2_saveexec_b64 s[12:13], s[4:5]
; %bb.1052:                             ;   in Loop: Header=BB371_683 Depth=1
	v_or_b32_e32 v4, 0x10000, v3
	v_cmp_eq_u32_sdwa s[4:5], v3, v11 src0_sel:WORD_0 src1_sel:DWORD
	v_cndmask_b32_e64 v3, v4, v3, s[4:5]
	v_accvgpr_write_b32 a36, v3
; %bb.1053:                             ;   in Loop: Header=BB371_683 Depth=1
	s_or_b64 exec, exec, s[12:13]
	v_lshlrev_b32_e32 v2, 16, v2
	v_mul_f32_e32 v2, v56, v2
	v_and_b32_e32 v3, 0x7f800000, v2
	v_cmp_ne_u32_e64 s[4:5], s15, v3
                                        ; implicit-def: $agpr37
	s_and_saveexec_b64 s[12:13], s[4:5]
	s_xor_b64 s[4:5], exec, s[12:13]
; %bb.1054:                             ;   in Loop: Header=BB371_683 Depth=1
	v_bfe_u32 v3, v2, 16, 1
	v_add3_u32 v2, v2, v3, s21
	v_accvgpr_write_b32 a37, v2
                                        ; implicit-def: $vgpr2
; %bb.1055:                             ;   in Loop: Header=BB371_683 Depth=1
	s_andn2_saveexec_b64 s[12:13], s[4:5]
; %bb.1056:                             ;   in Loop: Header=BB371_683 Depth=1
	v_or_b32_e32 v3, 0x10000, v2
	v_cmp_eq_u32_sdwa s[4:5], v2, v11 src0_sel:WORD_0 src1_sel:DWORD
	v_cndmask_b32_e64 v2, v3, v2, s[4:5]
	v_accvgpr_write_b32 a37, v2
; %bb.1057:                             ;   in Loop: Header=BB371_683 Depth=1
	s_or_b64 exec, exec, s[12:13]
	flat_load_dwordx2 v[2:3], v[0:1] offset:1536
	v_mov_b32_e32 v4, 0
	s_waitcnt vmcnt(0) lgkmcnt(0)
	v_cmp_ne_u16_sdwa s[4:5], v2, v11 src0_sel:BYTE_0 src1_sel:DWORD
	s_and_saveexec_b64 s[12:13], s[4:5]
	s_cbranch_execz .LBB371_1063
; %bb.1058:                             ;   in Loop: Header=BB371_683 Depth=1
	v_cmp_ne_u16_sdwa s[4:5], v2, s28 src0_sel:BYTE_0 src1_sel:DWORD
	v_bfrev_b32_e32 v4, 1
	s_and_saveexec_b64 s[24:25], s[4:5]
	s_cbranch_execz .LBB371_1062
; %bb.1059:                             ;   in Loop: Header=BB371_683 Depth=1
	v_and_b32_e32 v5, 0x7f, v2
	v_cmp_ne_u32_e64 s[4:5], s29, v5
	v_mov_b32_e32 v4, 0x7f800001
	s_and_saveexec_b64 s[26:27], s[4:5]
	s_cbranch_execz .LBB371_1061
; %bb.1060:                             ;   in Loop: Header=BB371_683 Depth=1
	v_and_b32_e32 v4, 7, v2
	v_ffbh_u32_e32 v4, v4
	v_min_u32_e32 v4, 32, v4
	v_lshrrev_b32_e32 v6, 3, v5
	v_subrev_u32_e32 v7, 28, v4
	v_sub_u32_e32 v4, 29, v4
	v_cmp_gt_u32_e64 s[4:5], 8, v5
	v_cndmask_b32_e64 v6, v6, v4, s[4:5]
	v_cndmask_b32_e64 v4, 0, v7, s[4:5]
	v_lshlrev_b64 v[4:5], v4, v[2:3]
	v_lshlrev_b32_e32 v4, 20, v4
	v_lshlrev_b32_e32 v5, 24, v2
	v_bfrev_b32_e32 v7, 60
	v_and_b32_e32 v4, 0x700000, v4
	v_and_b32_e32 v5, 0x80000000, v5
	v_lshl_add_u32 v6, v6, 23, v7
	v_or3_b32 v4, v5, v6, v4
.LBB371_1061:                           ;   in Loop: Header=BB371_683 Depth=1
	s_or_b64 exec, exec, s[26:27]
.LBB371_1062:                           ;   in Loop: Header=BB371_683 Depth=1
	s_or_b64 exec, exec, s[24:25]
.LBB371_1063:                           ;   in Loop: Header=BB371_683 Depth=1
	s_or_b64 exec, exec, s[12:13]
	v_mul_f32_e32 v5, v33, v4
	v_and_b32_e32 v4, 0x7f800000, v5
	v_cmp_ne_u32_e64 s[4:5], s15, v4
                                        ; implicit-def: $vgpr4
	s_and_saveexec_b64 s[12:13], s[4:5]
	s_xor_b64 s[4:5], exec, s[12:13]
; %bb.1064:                             ;   in Loop: Header=BB371_683 Depth=1
	v_bfe_u32 v4, v5, 16, 1
	v_add3_u32 v4, v5, v4, s21
                                        ; implicit-def: $vgpr5
; %bb.1065:                             ;   in Loop: Header=BB371_683 Depth=1
	s_andn2_saveexec_b64 s[12:13], s[4:5]
; %bb.1066:                             ;   in Loop: Header=BB371_683 Depth=1
	v_or_b32_e32 v4, 0x10000, v5
	v_cmp_eq_u32_sdwa s[4:5], v5, v11 src0_sel:WORD_0 src1_sel:DWORD
	v_cndmask_b32_e64 v4, v4, v5, s[4:5]
; %bb.1067:                             ;   in Loop: Header=BB371_683 Depth=1
	s_or_b64 exec, exec, s[12:13]
	v_lshrrev_b16_e32 v6, 8, v2
	v_cmp_ne_u16_e64 s[4:5], 0, v6
	v_mov_b32_e32 v5, 0
	s_and_saveexec_b64 s[12:13], s[4:5]
	s_cbranch_execz .LBB371_1073
; %bb.1068:                             ;   in Loop: Header=BB371_683 Depth=1
	v_cmp_ne_u16_e64 s[4:5], s28, v6
	v_bfrev_b32_e32 v5, 1
	s_and_saveexec_b64 s[24:25], s[4:5]
	s_cbranch_execz .LBB371_1072
; %bb.1069:                             ;   in Loop: Header=BB371_683 Depth=1
	v_and_b32_e32 v7, 0x7f, v6
	v_cmp_ne_u32_e64 s[4:5], s29, v7
	v_mov_b32_e32 v5, 0x7f800001
	s_and_saveexec_b64 s[26:27], s[4:5]
	s_cbranch_execz .LBB371_1071
; %bb.1070:                             ;   in Loop: Header=BB371_683 Depth=1
	v_and_b32_e32 v5, 7, v6
	v_ffbh_u32_e32 v8, v5
	v_min_u32_e32 v22, 32, v8
	v_subrev_u32_e32 v8, 28, v22
	v_lshlrev_b64 v[8:9], v8, v[6:7]
	v_lshrrev_b32_e32 v10, 3, v7
	v_sub_u32_e32 v6, 29, v22
	v_and_b32_e32 v8, 7, v8
	v_cmp_gt_u32_e64 s[4:5], 8, v7
	v_cndmask_b32_e64 v6, v10, v6, s[4:5]
	v_cndmask_b32_e64 v5, v5, v8, s[4:5]
	v_lshlrev_b32_e32 v7, 16, v2
	v_bfrev_b32_e32 v8, 60
	v_lshlrev_b32_e32 v5, 20, v5
	v_and_b32_e32 v7, 0x80000000, v7
	v_lshl_add_u32 v6, v6, 23, v8
	v_or3_b32 v5, v7, v6, v5
.LBB371_1071:                           ;   in Loop: Header=BB371_683 Depth=1
	s_or_b64 exec, exec, s[26:27]
.LBB371_1072:                           ;   in Loop: Header=BB371_683 Depth=1
	s_or_b64 exec, exec, s[24:25]
.LBB371_1073:                           ;   in Loop: Header=BB371_683 Depth=1
	s_or_b64 exec, exec, s[12:13]
	v_mul_f32_e32 v6, v33, v5
	v_and_b32_e32 v5, 0x7f800000, v6
	v_cmp_ne_u32_e64 s[4:5], s15, v5
                                        ; implicit-def: $vgpr5
	s_and_saveexec_b64 s[12:13], s[4:5]
	s_xor_b64 s[4:5], exec, s[12:13]
; %bb.1074:                             ;   in Loop: Header=BB371_683 Depth=1
	v_bfe_u32 v5, v6, 16, 1
	v_add3_u32 v5, v6, v5, s21
                                        ; implicit-def: $vgpr6
; %bb.1075:                             ;   in Loop: Header=BB371_683 Depth=1
	s_andn2_saveexec_b64 s[12:13], s[4:5]
; %bb.1076:                             ;   in Loop: Header=BB371_683 Depth=1
	v_or_b32_e32 v5, 0x10000, v6
	v_cmp_eq_u32_sdwa s[4:5], v6, v11 src0_sel:WORD_0 src1_sel:DWORD
	v_cndmask_b32_e64 v5, v5, v6, s[4:5]
; %bb.1077:                             ;   in Loop: Header=BB371_683 Depth=1
	s_or_b64 exec, exec, s[12:13]
	v_lshrrev_b32_e32 v6, 16, v2
	v_cmp_ne_u16_sdwa s[4:5], v6, v11 src0_sel:BYTE_0 src1_sel:DWORD
	v_mov_b32_e32 v7, 0
	s_and_saveexec_b64 s[12:13], s[4:5]
	s_cbranch_execz .LBB371_1083
; %bb.1078:                             ;   in Loop: Header=BB371_683 Depth=1
	v_cmp_ne_u16_sdwa s[4:5], v6, s28 src0_sel:BYTE_0 src1_sel:DWORD
	v_bfrev_b32_e32 v7, 1
	s_and_saveexec_b64 s[24:25], s[4:5]
	s_cbranch_execz .LBB371_1082
; %bb.1079:                             ;   in Loop: Header=BB371_683 Depth=1
	v_bfe_u32 v8, v2, 16, 7
	v_cmp_ne_u32_e64 s[4:5], s29, v8
	v_mov_b32_e32 v7, 0x7f800001
	s_and_saveexec_b64 s[26:27], s[4:5]
	s_cbranch_execz .LBB371_1081
; %bb.1080:                             ;   in Loop: Header=BB371_683 Depth=1
	v_and_b32_e32 v7, 7, v6
	v_ffbh_u32_e32 v10, v7
	v_min_u32_e32 v10, 32, v10
	v_subrev_u32_e32 v22, 28, v10
	v_lshlrev_b64 v[22:23], v22, v[6:7]
	v_lshrrev_b32_e32 v9, 3, v8
	v_sub_u32_e32 v10, 29, v10
	v_and_b32_e32 v22, 7, v22
	v_cmp_gt_u32_e64 s[4:5], 8, v8
	v_cndmask_b32_e64 v8, v9, v10, s[4:5]
	v_cndmask_b32_e64 v7, v7, v22, s[4:5]
	v_lshlrev_b32_e32 v6, 24, v6
	v_bfrev_b32_e32 v9, 60
	v_lshlrev_b32_e32 v7, 20, v7
	v_and_b32_e32 v6, 0x80000000, v6
	v_lshl_add_u32 v8, v8, 23, v9
	v_or3_b32 v7, v6, v8, v7
.LBB371_1081:                           ;   in Loop: Header=BB371_683 Depth=1
	s_or_b64 exec, exec, s[26:27]
.LBB371_1082:                           ;   in Loop: Header=BB371_683 Depth=1
	s_or_b64 exec, exec, s[24:25]
.LBB371_1083:                           ;   in Loop: Header=BB371_683 Depth=1
	s_or_b64 exec, exec, s[12:13]
	v_mul_f32_e32 v6, v33, v7
	v_and_b32_e32 v7, 0x7f800000, v6
	v_cmp_ne_u32_e64 s[4:5], s15, v7
                                        ; implicit-def: $vgpr7
	s_and_saveexec_b64 s[12:13], s[4:5]
	s_xor_b64 s[4:5], exec, s[12:13]
; %bb.1084:                             ;   in Loop: Header=BB371_683 Depth=1
	v_bfe_u32 v7, v6, 16, 1
	v_add3_u32 v7, v6, v7, s21
                                        ; implicit-def: $vgpr6
; %bb.1085:                             ;   in Loop: Header=BB371_683 Depth=1
	s_andn2_saveexec_b64 s[12:13], s[4:5]
; %bb.1086:                             ;   in Loop: Header=BB371_683 Depth=1
	v_or_b32_e32 v7, 0x10000, v6
	v_cmp_eq_u32_sdwa s[4:5], v6, v11 src0_sel:WORD_0 src1_sel:DWORD
	v_cndmask_b32_e64 v7, v7, v6, s[4:5]
; %bb.1087:                             ;   in Loop: Header=BB371_683 Depth=1
	s_or_b64 exec, exec, s[12:13]
	v_cmp_lt_u32_e64 s[4:5], s9, v2
	v_mov_b32_e32 v8, 0
	s_and_saveexec_b64 s[12:13], s[4:5]
	s_cbranch_execz .LBB371_1093
; %bb.1088:                             ;   in Loop: Header=BB371_683 Depth=1
	v_lshrrev_b32_e32 v6, 24, v2
	v_cmp_ne_u32_e64 s[4:5], s28, v6
	v_bfrev_b32_e32 v8, 1
	s_and_saveexec_b64 s[24:25], s[4:5]
	s_cbranch_execz .LBB371_1092
; %bb.1089:                             ;   in Loop: Header=BB371_683 Depth=1
	v_bfe_u32 v9, v2, 24, 7
	v_cmp_ne_u32_e64 s[4:5], s29, v9
	v_mov_b32_e32 v8, 0x7f800001
	s_and_saveexec_b64 s[26:27], s[4:5]
	s_cbranch_execz .LBB371_1091
; %bb.1090:                             ;   in Loop: Header=BB371_683 Depth=1
	v_and_b32_e32 v8, 7, v6
	v_ffbh_u32_e32 v22, v8
	v_min_u32_e32 v26, 32, v22
	v_subrev_u32_e32 v22, 28, v26
	v_lshlrev_b64 v[22:23], v22, v[6:7]
	v_lshrrev_b32_e32 v10, 3, v9
	v_sub_u32_e32 v23, 29, v26
	v_and_b32_e32 v22, 7, v22
	v_cmp_gt_u32_e64 s[4:5], 8, v9
	v_cndmask_b32_e64 v9, v10, v23, s[4:5]
	v_cndmask_b32_e64 v8, v8, v22, s[4:5]
	v_lshlrev_b32_e32 v6, 24, v6
	v_bfrev_b32_e32 v10, 60
	v_lshlrev_b32_e32 v8, 20, v8
	v_and_b32_e32 v6, 0x80000000, v6
	v_lshl_add_u32 v9, v9, 23, v10
	v_or3_b32 v8, v6, v9, v8
.LBB371_1091:                           ;   in Loop: Header=BB371_683 Depth=1
	s_or_b64 exec, exec, s[26:27]
.LBB371_1092:                           ;   in Loop: Header=BB371_683 Depth=1
	s_or_b64 exec, exec, s[24:25]
.LBB371_1093:                           ;   in Loop: Header=BB371_683 Depth=1
	s_or_b64 exec, exec, s[12:13]
	v_mul_f32_e32 v6, v33, v8
	v_and_b32_e32 v8, 0x7f800000, v6
	v_cmp_ne_u32_e64 s[4:5], s15, v8
                                        ; implicit-def: $vgpr8
	s_and_saveexec_b64 s[12:13], s[4:5]
	s_xor_b64 s[4:5], exec, s[12:13]
; %bb.1094:                             ;   in Loop: Header=BB371_683 Depth=1
	v_bfe_u32 v8, v6, 16, 1
	v_add3_u32 v8, v6, v8, s21
                                        ; implicit-def: $vgpr6
; %bb.1095:                             ;   in Loop: Header=BB371_683 Depth=1
	s_andn2_saveexec_b64 s[12:13], s[4:5]
; %bb.1096:                             ;   in Loop: Header=BB371_683 Depth=1
	v_or_b32_e32 v8, 0x10000, v6
	v_cmp_eq_u32_sdwa s[4:5], v6, v11 src0_sel:WORD_0 src1_sel:DWORD
	v_cndmask_b32_e64 v8, v8, v6, s[4:5]
; %bb.1097:                             ;   in Loop: Header=BB371_683 Depth=1
	s_or_b64 exec, exec, s[12:13]
	v_mov_b32_e32 v10, v3
	v_cmp_ne_u16_sdwa s[4:5], v3, v11 src0_sel:BYTE_0 src1_sel:DWORD
	v_mov_b32_e32 v6, 0
	s_and_saveexec_b64 s[12:13], s[4:5]
	s_cbranch_execz .LBB371_1103
; %bb.1098:                             ;   in Loop: Header=BB371_683 Depth=1
	v_cmp_ne_u16_sdwa s[4:5], v3, s28 src0_sel:BYTE_0 src1_sel:DWORD
	v_bfrev_b32_e32 v6, 1
	s_and_saveexec_b64 s[24:25], s[4:5]
	s_cbranch_execz .LBB371_1102
; %bb.1099:                             ;   in Loop: Header=BB371_683 Depth=1
	v_and_b32_e32 v9, 0x7f, v3
	v_cmp_ne_u32_e64 s[4:5], s29, v9
	v_mov_b32_e32 v6, 0x7f800001
	s_and_saveexec_b64 s[26:27], s[4:5]
	s_cbranch_execz .LBB371_1101
; %bb.1100:                             ;   in Loop: Header=BB371_683 Depth=1
	v_and_b32_e32 v6, 7, v3
	v_ffbh_u32_e32 v6, v6
	v_min_u32_e32 v6, 32, v6
	v_subrev_u32_e32 v23, 28, v6
	v_cmp_gt_u32_e64 s[4:5], 8, v9
	v_lshrrev_b32_e32 v22, 3, v9
	v_sub_u32_e32 v6, 29, v6
	v_cndmask_b32_e64 v9, 0, v23, s[4:5]
	v_cndmask_b32_e64 v6, v22, v6, s[4:5]
	v_lshlrev_b64 v[22:23], v9, v[10:11]
	v_lshlrev_b32_e32 v9, 20, v22
	v_lshlrev_b32_e32 v22, 24, v10
	v_bfrev_b32_e32 v23, 60
	v_and_b32_e32 v9, 0x700000, v9
	v_and_b32_e32 v22, 0x80000000, v22
	v_lshl_add_u32 v6, v6, 23, v23
	v_or3_b32 v6, v22, v6, v9
.LBB371_1101:                           ;   in Loop: Header=BB371_683 Depth=1
	s_or_b64 exec, exec, s[26:27]
.LBB371_1102:                           ;   in Loop: Header=BB371_683 Depth=1
	s_or_b64 exec, exec, s[24:25]
.LBB371_1103:                           ;   in Loop: Header=BB371_683 Depth=1
	s_or_b64 exec, exec, s[12:13]
	v_mul_f32_e32 v6, v33, v6
	v_and_b32_e32 v9, 0x7f800000, v6
	v_cmp_ne_u32_e64 s[4:5], s15, v9
                                        ; implicit-def: $vgpr9
	s_and_saveexec_b64 s[12:13], s[4:5]
	s_xor_b64 s[4:5], exec, s[12:13]
; %bb.1104:                             ;   in Loop: Header=BB371_683 Depth=1
	v_bfe_u32 v9, v6, 16, 1
	v_add3_u32 v9, v6, v9, s21
                                        ; implicit-def: $vgpr6
; %bb.1105:                             ;   in Loop: Header=BB371_683 Depth=1
	s_andn2_saveexec_b64 s[12:13], s[4:5]
; %bb.1106:                             ;   in Loop: Header=BB371_683 Depth=1
	v_or_b32_e32 v9, 0x10000, v6
	v_cmp_eq_u32_sdwa s[4:5], v6, v11 src0_sel:WORD_0 src1_sel:DWORD
	v_cndmask_b32_e64 v9, v9, v6, s[4:5]
; %bb.1107:                             ;   in Loop: Header=BB371_683 Depth=1
	s_or_b64 exec, exec, s[12:13]
	v_lshrrev_b16_e32 v6, 8, v10
	v_cmp_ne_u16_e64 s[4:5], 0, v6
	v_mov_b32_e32 v22, 0
	s_and_saveexec_b64 s[12:13], s[4:5]
	s_cbranch_execz .LBB371_1113
; %bb.1108:                             ;   in Loop: Header=BB371_683 Depth=1
	v_cmp_ne_u16_e64 s[4:5], s28, v6
	v_bfrev_b32_e32 v22, 1
	s_and_saveexec_b64 s[24:25], s[4:5]
	s_cbranch_execz .LBB371_1112
; %bb.1109:                             ;   in Loop: Header=BB371_683 Depth=1
	v_and_b32_e32 v23, 0x7f, v6
	v_cmp_ne_u32_e64 s[4:5], s29, v23
	v_mov_b32_e32 v22, 0x7f800001
	s_and_saveexec_b64 s[26:27], s[4:5]
	s_cbranch_execz .LBB371_1111
; %bb.1110:                             ;   in Loop: Header=BB371_683 Depth=1
	v_and_b32_e32 v22, 7, v6
	v_ffbh_u32_e32 v26, v22
	v_min_u32_e32 v29, 32, v26
	v_subrev_u32_e32 v26, 28, v29
	v_lshlrev_b64 v[26:27], v26, v[6:7]
	v_lshrrev_b32_e32 v28, 3, v23
	v_sub_u32_e32 v6, 29, v29
	v_and_b32_e32 v26, 7, v26
	v_cmp_gt_u32_e64 s[4:5], 8, v23
	v_cndmask_b32_e64 v6, v28, v6, s[4:5]
	v_cndmask_b32_e64 v22, v22, v26, s[4:5]
	v_lshlrev_b32_e32 v10, 16, v10
	v_bfrev_b32_e32 v23, 60
	v_lshlrev_b32_e32 v22, 20, v22
	v_and_b32_e32 v10, 0x80000000, v10
	v_lshl_add_u32 v6, v6, 23, v23
	v_or3_b32 v22, v10, v6, v22
.LBB371_1111:                           ;   in Loop: Header=BB371_683 Depth=1
	s_or_b64 exec, exec, s[26:27]
.LBB371_1112:                           ;   in Loop: Header=BB371_683 Depth=1
	s_or_b64 exec, exec, s[24:25]
.LBB371_1113:                           ;   in Loop: Header=BB371_683 Depth=1
	s_or_b64 exec, exec, s[12:13]
	v_mul_f32_e32 v6, v33, v22
	v_and_b32_e32 v10, 0x7f800000, v6
	v_cmp_ne_u32_e64 s[4:5], s15, v10
                                        ; implicit-def: $vgpr10
	s_and_saveexec_b64 s[12:13], s[4:5]
	s_xor_b64 s[4:5], exec, s[12:13]
; %bb.1114:                             ;   in Loop: Header=BB371_683 Depth=1
	v_bfe_u32 v10, v6, 16, 1
	v_add3_u32 v10, v6, v10, s21
                                        ; implicit-def: $vgpr6
; %bb.1115:                             ;   in Loop: Header=BB371_683 Depth=1
	s_andn2_saveexec_b64 s[12:13], s[4:5]
; %bb.1116:                             ;   in Loop: Header=BB371_683 Depth=1
	v_or_b32_e32 v10, 0x10000, v6
	v_cmp_eq_u32_sdwa s[4:5], v6, v11 src0_sel:WORD_0 src1_sel:DWORD
	v_cndmask_b32_e64 v10, v10, v6, s[4:5]
; %bb.1117:                             ;   in Loop: Header=BB371_683 Depth=1
	s_or_b64 exec, exec, s[12:13]
	v_lshrrev_b32_e32 v6, 16, v3
	v_cmp_ne_u16_sdwa s[4:5], v6, v11 src0_sel:BYTE_0 src1_sel:DWORD
	v_mov_b32_e32 v22, 0
	s_and_saveexec_b64 s[12:13], s[4:5]
	s_cbranch_execz .LBB371_1123
; %bb.1118:                             ;   in Loop: Header=BB371_683 Depth=1
	v_cmp_ne_u16_sdwa s[4:5], v6, s28 src0_sel:BYTE_0 src1_sel:DWORD
	v_bfrev_b32_e32 v22, 1
	s_and_saveexec_b64 s[24:25], s[4:5]
	s_cbranch_execz .LBB371_1122
; %bb.1119:                             ;   in Loop: Header=BB371_683 Depth=1
	v_bfe_u32 v23, v3, 16, 7
	v_cmp_ne_u32_e64 s[4:5], s29, v23
	v_mov_b32_e32 v22, 0x7f800001
	s_and_saveexec_b64 s[26:27], s[4:5]
	s_cbranch_execz .LBB371_1121
; %bb.1120:                             ;   in Loop: Header=BB371_683 Depth=1
	v_and_b32_e32 v22, 7, v6
	v_ffbh_u32_e32 v26, v22
	v_min_u32_e32 v29, 32, v26
	v_subrev_u32_e32 v26, 28, v29
	v_lshlrev_b64 v[26:27], v26, v[6:7]
	v_lshrrev_b32_e32 v28, 3, v23
	v_sub_u32_e32 v27, 29, v29
	v_and_b32_e32 v26, 7, v26
	v_cmp_gt_u32_e64 s[4:5], 8, v23
	v_cndmask_b32_e64 v23, v28, v27, s[4:5]
	v_cndmask_b32_e64 v22, v22, v26, s[4:5]
	v_lshlrev_b32_e32 v6, 24, v6
	v_bfrev_b32_e32 v26, 60
	v_lshlrev_b32_e32 v22, 20, v22
	v_and_b32_e32 v6, 0x80000000, v6
	v_lshl_add_u32 v23, v23, 23, v26
	v_or3_b32 v22, v6, v23, v22
.LBB371_1121:                           ;   in Loop: Header=BB371_683 Depth=1
	s_or_b64 exec, exec, s[26:27]
.LBB371_1122:                           ;   in Loop: Header=BB371_683 Depth=1
	s_or_b64 exec, exec, s[24:25]
.LBB371_1123:                           ;   in Loop: Header=BB371_683 Depth=1
	s_or_b64 exec, exec, s[12:13]
	v_mul_f32_e32 v6, v33, v22
	v_and_b32_e32 v22, 0x7f800000, v6
	v_cmp_ne_u32_e64 s[4:5], s15, v22
                                        ; implicit-def: $vgpr22
	s_and_saveexec_b64 s[12:13], s[4:5]
	s_xor_b64 s[4:5], exec, s[12:13]
; %bb.1124:                             ;   in Loop: Header=BB371_683 Depth=1
	v_bfe_u32 v22, v6, 16, 1
	v_add3_u32 v22, v6, v22, s21
                                        ; implicit-def: $vgpr6
; %bb.1125:                             ;   in Loop: Header=BB371_683 Depth=1
	s_andn2_saveexec_b64 s[12:13], s[4:5]
; %bb.1126:                             ;   in Loop: Header=BB371_683 Depth=1
	v_or_b32_e32 v22, 0x10000, v6
	v_cmp_eq_u32_sdwa s[4:5], v6, v11 src0_sel:WORD_0 src1_sel:DWORD
	v_cndmask_b32_e64 v22, v22, v6, s[4:5]
; %bb.1127:                             ;   in Loop: Header=BB371_683 Depth=1
	s_or_b64 exec, exec, s[12:13]
	v_cmp_lt_u64_e64 s[4:5], s[8:9], v[2:3]
	v_mov_b32_e32 v6, 0
	s_and_saveexec_b64 s[12:13], s[4:5]
	s_cbranch_execz .LBB371_1133
; %bb.1128:                             ;   in Loop: Header=BB371_683 Depth=1
	v_lshrrev_b32_e32 v2, 24, v3
	v_cmp_ne_u32_e64 s[4:5], s28, v2
	v_bfrev_b32_e32 v6, 1
	s_and_saveexec_b64 s[24:25], s[4:5]
	s_cbranch_execz .LBB371_1132
; %bb.1129:                             ;   in Loop: Header=BB371_683 Depth=1
	v_bfe_u32 v3, v3, 24, 7
	v_cmp_ne_u32_e64 s[4:5], s29, v3
	v_mov_b32_e32 v6, 0x7f800001
	s_and_saveexec_b64 s[26:27], s[4:5]
	s_cbranch_execz .LBB371_1131
; %bb.1130:                             ;   in Loop: Header=BB371_683 Depth=1
	v_and_b32_e32 v6, 7, v2
	v_ffbh_u32_e32 v26, v6
	v_min_u32_e32 v28, 32, v26
	v_subrev_u32_e32 v26, 28, v28
	v_lshlrev_b64 v[26:27], v26, v[2:3]
	v_lshrrev_b32_e32 v23, 3, v3
	v_sub_u32_e32 v27, 29, v28
	v_and_b32_e32 v26, 7, v26
	v_cmp_gt_u32_e64 s[4:5], 8, v3
	v_cndmask_b32_e64 v3, v23, v27, s[4:5]
	v_cndmask_b32_e64 v6, v6, v26, s[4:5]
	v_lshlrev_b32_e32 v2, 24, v2
	v_bfrev_b32_e32 v23, 60
	v_lshlrev_b32_e32 v6, 20, v6
	v_and_b32_e32 v2, 0x80000000, v2
	v_lshl_add_u32 v3, v3, 23, v23
	v_or3_b32 v6, v2, v3, v6
.LBB371_1131:                           ;   in Loop: Header=BB371_683 Depth=1
	s_or_b64 exec, exec, s[26:27]
.LBB371_1132:                           ;   in Loop: Header=BB371_683 Depth=1
	s_or_b64 exec, exec, s[24:25]
.LBB371_1133:                           ;   in Loop: Header=BB371_683 Depth=1
	s_or_b64 exec, exec, s[12:13]
	v_mul_f32_e32 v3, v33, v6
	v_and_b32_e32 v2, 0x7f800000, v3
	v_cmp_ne_u32_e64 s[4:5], s15, v2
                                        ; implicit-def: $vgpr2
	s_and_saveexec_b64 s[12:13], s[4:5]
	s_xor_b64 s[4:5], exec, s[12:13]
; %bb.1134:                             ;   in Loop: Header=BB371_683 Depth=1
	v_bfe_u32 v2, v3, 16, 1
	v_add3_u32 v2, v3, v2, s21
                                        ; implicit-def: $vgpr3
; %bb.1135:                             ;   in Loop: Header=BB371_683 Depth=1
	s_andn2_saveexec_b64 s[12:13], s[4:5]
; %bb.1136:                             ;   in Loop: Header=BB371_683 Depth=1
	v_or_b32_e32 v2, 0x10000, v3
	v_cmp_eq_u32_sdwa s[4:5], v3, v11 src0_sel:WORD_0 src1_sel:DWORD
	v_cndmask_b32_e64 v2, v2, v3, s[4:5]
; %bb.1137:                             ;   in Loop: Header=BB371_683 Depth=1
	s_or_b64 exec, exec, s[12:13]
	v_lshrrev_b32_e32 v6, 16, v10
	v_lshrrev_b32_e32 v9, 16, v9
	;; [unrolled: 1-line block ×8, first 2 shown]
	s_and_saveexec_b64 s[12:13], vcc
	s_cbranch_execz .LBB371_1139
; %bb.1138:                             ;   in Loop: Header=BB371_683 Depth=1
	v_cmp_lt_i32_e64 s[4:5], v36, v32
	v_accvgpr_read_b32 v10, a25
	v_cndmask_b32_e64 v4, 0, v4, s[4:5]
	v_cmp_lt_i32_e64 s[4:5], v10, v32
	v_accvgpr_read_b32 v10, a24
	v_cndmask_b32_e64 v5, 0, v5, s[4:5]
	;; [unrolled: 3-line block ×6, first 2 shown]
	v_cmp_lt_i32_e64 s[4:5], v10, v32
	v_cndmask_b32_e64 v3, 0, v3, s[4:5]
	v_cmp_lt_i32_e64 s[4:5], v17, v32
	v_cndmask_b32_e64 v2, 0, v2, s[4:5]
.LBB371_1139:                           ;   in Loop: Header=BB371_683 Depth=1
	s_or_b64 exec, exec, s[12:13]
	v_lshlrev_b32_e32 v4, 16, v4
	v_mul_f32_e32 v4, v41, v4
	v_and_b32_e32 v10, 0x7f800000, v4
	v_cmp_ne_u32_e64 s[4:5], s15, v10
                                        ; implicit-def: $agpr38
	s_and_saveexec_b64 s[12:13], s[4:5]
	s_xor_b64 s[4:5], exec, s[12:13]
; %bb.1140:                             ;   in Loop: Header=BB371_683 Depth=1
	v_bfe_u32 v10, v4, 16, 1
	v_add3_u32 v4, v4, v10, s21
	v_accvgpr_write_b32 a38, v4
                                        ; implicit-def: $vgpr4
; %bb.1141:                             ;   in Loop: Header=BB371_683 Depth=1
	s_andn2_saveexec_b64 s[12:13], s[4:5]
; %bb.1142:                             ;   in Loop: Header=BB371_683 Depth=1
	v_or_b32_e32 v10, 0x10000, v4
	v_cmp_eq_u32_sdwa s[4:5], v4, v11 src0_sel:WORD_0 src1_sel:DWORD
	v_cndmask_b32_e64 v4, v10, v4, s[4:5]
	v_accvgpr_write_b32 a38, v4
; %bb.1143:                             ;   in Loop: Header=BB371_683 Depth=1
	s_or_b64 exec, exec, s[12:13]
	v_lshlrev_b32_e32 v4, 16, v5
	v_mul_f32_e32 v4, v42, v4
	v_and_b32_e32 v5, 0x7f800000, v4
	v_cmp_ne_u32_e64 s[4:5], s15, v5
                                        ; implicit-def: $agpr39
	s_and_saveexec_b64 s[12:13], s[4:5]
	s_xor_b64 s[4:5], exec, s[12:13]
; %bb.1144:                             ;   in Loop: Header=BB371_683 Depth=1
	v_bfe_u32 v5, v4, 16, 1
	v_add3_u32 v4, v4, v5, s21
	v_accvgpr_write_b32 a39, v4
                                        ; implicit-def: $vgpr4
; %bb.1145:                             ;   in Loop: Header=BB371_683 Depth=1
	s_andn2_saveexec_b64 s[12:13], s[4:5]
; %bb.1146:                             ;   in Loop: Header=BB371_683 Depth=1
	v_or_b32_e32 v5, 0x10000, v4
	v_cmp_eq_u32_sdwa s[4:5], v4, v11 src0_sel:WORD_0 src1_sel:DWORD
	v_cndmask_b32_e64 v4, v5, v4, s[4:5]
	v_accvgpr_write_b32 a39, v4
; %bb.1147:                             ;   in Loop: Header=BB371_683 Depth=1
	s_or_b64 exec, exec, s[12:13]
	v_lshlrev_b32_e32 v4, 16, v7
	v_mul_f32_e32 v4, v43, v4
	v_and_b32_e32 v5, 0x7f800000, v4
	v_cmp_ne_u32_e64 s[4:5], s15, v5
                                        ; implicit-def: $agpr40
	s_and_saveexec_b64 s[12:13], s[4:5]
	s_xor_b64 s[4:5], exec, s[12:13]
; %bb.1148:                             ;   in Loop: Header=BB371_683 Depth=1
	v_bfe_u32 v5, v4, 16, 1
	v_add3_u32 v4, v4, v5, s21
	v_accvgpr_write_b32 a40, v4
                                        ; implicit-def: $vgpr4
; %bb.1149:                             ;   in Loop: Header=BB371_683 Depth=1
	s_andn2_saveexec_b64 s[12:13], s[4:5]
; %bb.1150:                             ;   in Loop: Header=BB371_683 Depth=1
	v_or_b32_e32 v5, 0x10000, v4
	v_cmp_eq_u32_sdwa s[4:5], v4, v11 src0_sel:WORD_0 src1_sel:DWORD
	v_cndmask_b32_e64 v4, v5, v4, s[4:5]
	v_accvgpr_write_b32 a40, v4
; %bb.1151:                             ;   in Loop: Header=BB371_683 Depth=1
	s_or_b64 exec, exec, s[12:13]
	v_lshlrev_b32_e32 v4, 16, v8
	v_mul_f32_e32 v4, v44, v4
	v_and_b32_e32 v5, 0x7f800000, v4
	v_cmp_ne_u32_e64 s[4:5], s15, v5
                                        ; implicit-def: $agpr41
	s_and_saveexec_b64 s[12:13], s[4:5]
	s_xor_b64 s[4:5], exec, s[12:13]
; %bb.1152:                             ;   in Loop: Header=BB371_683 Depth=1
	v_bfe_u32 v5, v4, 16, 1
	v_add3_u32 v4, v4, v5, s21
	v_accvgpr_write_b32 a41, v4
                                        ; implicit-def: $vgpr4
; %bb.1153:                             ;   in Loop: Header=BB371_683 Depth=1
	s_andn2_saveexec_b64 s[12:13], s[4:5]
; %bb.1154:                             ;   in Loop: Header=BB371_683 Depth=1
	v_or_b32_e32 v5, 0x10000, v4
	v_cmp_eq_u32_sdwa s[4:5], v4, v11 src0_sel:WORD_0 src1_sel:DWORD
	v_cndmask_b32_e64 v4, v5, v4, s[4:5]
	v_accvgpr_write_b32 a41, v4
; %bb.1155:                             ;   in Loop: Header=BB371_683 Depth=1
	s_or_b64 exec, exec, s[12:13]
	v_lshlrev_b32_e32 v4, 16, v9
	v_mul_f32_e32 v4, v45, v4
	v_and_b32_e32 v5, 0x7f800000, v4
	v_cmp_ne_u32_e64 s[4:5], s15, v5
                                        ; implicit-def: $agpr42
	s_and_saveexec_b64 s[12:13], s[4:5]
	s_xor_b64 s[4:5], exec, s[12:13]
; %bb.1156:                             ;   in Loop: Header=BB371_683 Depth=1
	v_bfe_u32 v5, v4, 16, 1
	v_add3_u32 v4, v4, v5, s21
	v_accvgpr_write_b32 a42, v4
                                        ; implicit-def: $vgpr4
; %bb.1157:                             ;   in Loop: Header=BB371_683 Depth=1
	s_andn2_saveexec_b64 s[12:13], s[4:5]
; %bb.1158:                             ;   in Loop: Header=BB371_683 Depth=1
	v_or_b32_e32 v5, 0x10000, v4
	v_cmp_eq_u32_sdwa s[4:5], v4, v11 src0_sel:WORD_0 src1_sel:DWORD
	v_cndmask_b32_e64 v4, v5, v4, s[4:5]
	v_accvgpr_write_b32 a42, v4
; %bb.1159:                             ;   in Loop: Header=BB371_683 Depth=1
	s_or_b64 exec, exec, s[12:13]
	v_lshlrev_b32_e32 v4, 16, v6
	v_mul_f32_e32 v4, v46, v4
	v_and_b32_e32 v5, 0x7f800000, v4
	v_cmp_ne_u32_e64 s[4:5], s15, v5
                                        ; implicit-def: $agpr43
	s_and_saveexec_b64 s[12:13], s[4:5]
	s_xor_b64 s[4:5], exec, s[12:13]
; %bb.1160:                             ;   in Loop: Header=BB371_683 Depth=1
	v_bfe_u32 v5, v4, 16, 1
	v_add3_u32 v4, v4, v5, s21
	v_accvgpr_write_b32 a43, v4
                                        ; implicit-def: $vgpr4
; %bb.1161:                             ;   in Loop: Header=BB371_683 Depth=1
	s_andn2_saveexec_b64 s[12:13], s[4:5]
; %bb.1162:                             ;   in Loop: Header=BB371_683 Depth=1
	v_or_b32_e32 v5, 0x10000, v4
	v_cmp_eq_u32_sdwa s[4:5], v4, v11 src0_sel:WORD_0 src1_sel:DWORD
	v_cndmask_b32_e64 v4, v5, v4, s[4:5]
	v_accvgpr_write_b32 a43, v4
; %bb.1163:                             ;   in Loop: Header=BB371_683 Depth=1
	s_or_b64 exec, exec, s[12:13]
	v_lshlrev_b32_e32 v3, 16, v3
	v_mul_f32_e32 v3, v47, v3
	v_and_b32_e32 v4, 0x7f800000, v3
	v_cmp_ne_u32_e64 s[4:5], s15, v4
                                        ; implicit-def: $agpr44
	s_and_saveexec_b64 s[12:13], s[4:5]
	s_xor_b64 s[4:5], exec, s[12:13]
; %bb.1164:                             ;   in Loop: Header=BB371_683 Depth=1
	v_bfe_u32 v4, v3, 16, 1
	v_add3_u32 v3, v3, v4, s21
	v_accvgpr_write_b32 a44, v3
                                        ; implicit-def: $vgpr3
; %bb.1165:                             ;   in Loop: Header=BB371_683 Depth=1
	s_andn2_saveexec_b64 s[12:13], s[4:5]
; %bb.1166:                             ;   in Loop: Header=BB371_683 Depth=1
	v_or_b32_e32 v4, 0x10000, v3
	v_cmp_eq_u32_sdwa s[4:5], v3, v11 src0_sel:WORD_0 src1_sel:DWORD
	v_cndmask_b32_e64 v3, v4, v3, s[4:5]
	v_accvgpr_write_b32 a44, v3
; %bb.1167:                             ;   in Loop: Header=BB371_683 Depth=1
	s_or_b64 exec, exec, s[12:13]
	v_lshlrev_b32_e32 v2, 16, v2
	v_mul_f32_e32 v2, v56, v2
	v_and_b32_e32 v3, 0x7f800000, v2
	v_cmp_ne_u32_e64 s[4:5], s15, v3
                                        ; implicit-def: $agpr45
	s_and_saveexec_b64 s[12:13], s[4:5]
	s_xor_b64 s[4:5], exec, s[12:13]
; %bb.1168:                             ;   in Loop: Header=BB371_683 Depth=1
	v_bfe_u32 v3, v2, 16, 1
	v_add3_u32 v2, v2, v3, s21
	v_accvgpr_write_b32 a45, v2
                                        ; implicit-def: $vgpr2
; %bb.1169:                             ;   in Loop: Header=BB371_683 Depth=1
	s_andn2_saveexec_b64 s[12:13], s[4:5]
; %bb.1170:                             ;   in Loop: Header=BB371_683 Depth=1
	v_or_b32_e32 v3, 0x10000, v2
	v_cmp_eq_u32_sdwa s[4:5], v2, v11 src0_sel:WORD_0 src1_sel:DWORD
	v_cndmask_b32_e64 v2, v3, v2, s[4:5]
	v_accvgpr_write_b32 a45, v2
; %bb.1171:                             ;   in Loop: Header=BB371_683 Depth=1
	s_or_b64 exec, exec, s[12:13]
	flat_load_dwordx2 v[2:3], v[0:1] offset:2048
	v_mov_b32_e32 v4, 0
	s_waitcnt vmcnt(0) lgkmcnt(0)
	v_cmp_ne_u16_sdwa s[4:5], v2, v11 src0_sel:BYTE_0 src1_sel:DWORD
	s_and_saveexec_b64 s[12:13], s[4:5]
	s_cbranch_execz .LBB371_1177
; %bb.1172:                             ;   in Loop: Header=BB371_683 Depth=1
	v_cmp_ne_u16_sdwa s[4:5], v2, s28 src0_sel:BYTE_0 src1_sel:DWORD
	v_bfrev_b32_e32 v4, 1
	s_and_saveexec_b64 s[24:25], s[4:5]
	s_cbranch_execz .LBB371_1176
; %bb.1173:                             ;   in Loop: Header=BB371_683 Depth=1
	v_and_b32_e32 v5, 0x7f, v2
	v_cmp_ne_u32_e64 s[4:5], s29, v5
	v_mov_b32_e32 v4, 0x7f800001
	s_and_saveexec_b64 s[26:27], s[4:5]
	s_cbranch_execz .LBB371_1175
; %bb.1174:                             ;   in Loop: Header=BB371_683 Depth=1
	v_and_b32_e32 v4, 7, v2
	v_ffbh_u32_e32 v4, v4
	v_min_u32_e32 v4, 32, v4
	v_lshrrev_b32_e32 v6, 3, v5
	v_subrev_u32_e32 v7, 28, v4
	v_sub_u32_e32 v4, 29, v4
	v_cmp_gt_u32_e64 s[4:5], 8, v5
	v_cndmask_b32_e64 v6, v6, v4, s[4:5]
	v_cndmask_b32_e64 v4, 0, v7, s[4:5]
	v_lshlrev_b64 v[4:5], v4, v[2:3]
	v_lshlrev_b32_e32 v4, 20, v4
	v_lshlrev_b32_e32 v5, 24, v2
	v_bfrev_b32_e32 v7, 60
	v_and_b32_e32 v4, 0x700000, v4
	v_and_b32_e32 v5, 0x80000000, v5
	v_lshl_add_u32 v6, v6, 23, v7
	v_or3_b32 v4, v5, v6, v4
.LBB371_1175:                           ;   in Loop: Header=BB371_683 Depth=1
	s_or_b64 exec, exec, s[26:27]
.LBB371_1176:                           ;   in Loop: Header=BB371_683 Depth=1
	s_or_b64 exec, exec, s[24:25]
.LBB371_1177:                           ;   in Loop: Header=BB371_683 Depth=1
	s_or_b64 exec, exec, s[12:13]
	v_mul_f32_e32 v5, v33, v4
	v_and_b32_e32 v4, 0x7f800000, v5
	v_cmp_ne_u32_e64 s[4:5], s15, v4
                                        ; implicit-def: $vgpr4
	s_and_saveexec_b64 s[12:13], s[4:5]
	s_xor_b64 s[4:5], exec, s[12:13]
; %bb.1178:                             ;   in Loop: Header=BB371_683 Depth=1
	v_bfe_u32 v4, v5, 16, 1
	v_add3_u32 v4, v5, v4, s21
                                        ; implicit-def: $vgpr5
; %bb.1179:                             ;   in Loop: Header=BB371_683 Depth=1
	s_andn2_saveexec_b64 s[12:13], s[4:5]
; %bb.1180:                             ;   in Loop: Header=BB371_683 Depth=1
	v_or_b32_e32 v4, 0x10000, v5
	v_cmp_eq_u32_sdwa s[4:5], v5, v11 src0_sel:WORD_0 src1_sel:DWORD
	v_cndmask_b32_e64 v4, v4, v5, s[4:5]
; %bb.1181:                             ;   in Loop: Header=BB371_683 Depth=1
	s_or_b64 exec, exec, s[12:13]
	v_lshrrev_b16_e32 v6, 8, v2
	v_cmp_ne_u16_e64 s[4:5], 0, v6
	v_mov_b32_e32 v5, 0
	s_and_saveexec_b64 s[12:13], s[4:5]
	s_cbranch_execz .LBB371_1187
; %bb.1182:                             ;   in Loop: Header=BB371_683 Depth=1
	v_cmp_ne_u16_e64 s[4:5], s28, v6
	v_bfrev_b32_e32 v5, 1
	s_and_saveexec_b64 s[24:25], s[4:5]
	s_cbranch_execz .LBB371_1186
; %bb.1183:                             ;   in Loop: Header=BB371_683 Depth=1
	v_and_b32_e32 v7, 0x7f, v6
	v_cmp_ne_u32_e64 s[4:5], s29, v7
	v_mov_b32_e32 v5, 0x7f800001
	s_and_saveexec_b64 s[26:27], s[4:5]
	s_cbranch_execz .LBB371_1185
; %bb.1184:                             ;   in Loop: Header=BB371_683 Depth=1
	v_and_b32_e32 v5, 7, v6
	v_ffbh_u32_e32 v8, v5
	v_min_u32_e32 v22, 32, v8
	v_subrev_u32_e32 v8, 28, v22
	v_lshlrev_b64 v[8:9], v8, v[6:7]
	v_lshrrev_b32_e32 v10, 3, v7
	v_sub_u32_e32 v6, 29, v22
	v_and_b32_e32 v8, 7, v8
	v_cmp_gt_u32_e64 s[4:5], 8, v7
	v_cndmask_b32_e64 v6, v10, v6, s[4:5]
	v_cndmask_b32_e64 v5, v5, v8, s[4:5]
	v_lshlrev_b32_e32 v7, 16, v2
	v_bfrev_b32_e32 v8, 60
	v_lshlrev_b32_e32 v5, 20, v5
	v_and_b32_e32 v7, 0x80000000, v7
	v_lshl_add_u32 v6, v6, 23, v8
	v_or3_b32 v5, v7, v6, v5
.LBB371_1185:                           ;   in Loop: Header=BB371_683 Depth=1
	s_or_b64 exec, exec, s[26:27]
.LBB371_1186:                           ;   in Loop: Header=BB371_683 Depth=1
	s_or_b64 exec, exec, s[24:25]
.LBB371_1187:                           ;   in Loop: Header=BB371_683 Depth=1
	s_or_b64 exec, exec, s[12:13]
	v_mul_f32_e32 v6, v33, v5
	v_and_b32_e32 v5, 0x7f800000, v6
	v_cmp_ne_u32_e64 s[4:5], s15, v5
                                        ; implicit-def: $vgpr5
	s_and_saveexec_b64 s[12:13], s[4:5]
	s_xor_b64 s[4:5], exec, s[12:13]
; %bb.1188:                             ;   in Loop: Header=BB371_683 Depth=1
	v_bfe_u32 v5, v6, 16, 1
	v_add3_u32 v5, v6, v5, s21
                                        ; implicit-def: $vgpr6
; %bb.1189:                             ;   in Loop: Header=BB371_683 Depth=1
	s_andn2_saveexec_b64 s[12:13], s[4:5]
; %bb.1190:                             ;   in Loop: Header=BB371_683 Depth=1
	v_or_b32_e32 v5, 0x10000, v6
	v_cmp_eq_u32_sdwa s[4:5], v6, v11 src0_sel:WORD_0 src1_sel:DWORD
	v_cndmask_b32_e64 v5, v5, v6, s[4:5]
; %bb.1191:                             ;   in Loop: Header=BB371_683 Depth=1
	s_or_b64 exec, exec, s[12:13]
	v_lshrrev_b32_e32 v6, 16, v2
	v_cmp_ne_u16_sdwa s[4:5], v6, v11 src0_sel:BYTE_0 src1_sel:DWORD
	v_mov_b32_e32 v7, 0
	s_and_saveexec_b64 s[12:13], s[4:5]
	s_cbranch_execz .LBB371_1197
; %bb.1192:                             ;   in Loop: Header=BB371_683 Depth=1
	v_cmp_ne_u16_sdwa s[4:5], v6, s28 src0_sel:BYTE_0 src1_sel:DWORD
	v_bfrev_b32_e32 v7, 1
	s_and_saveexec_b64 s[24:25], s[4:5]
	s_cbranch_execz .LBB371_1196
; %bb.1193:                             ;   in Loop: Header=BB371_683 Depth=1
	v_bfe_u32 v8, v2, 16, 7
	v_cmp_ne_u32_e64 s[4:5], s29, v8
	v_mov_b32_e32 v7, 0x7f800001
	s_and_saveexec_b64 s[26:27], s[4:5]
	s_cbranch_execz .LBB371_1195
; %bb.1194:                             ;   in Loop: Header=BB371_683 Depth=1
	v_and_b32_e32 v7, 7, v6
	v_ffbh_u32_e32 v10, v7
	v_min_u32_e32 v10, 32, v10
	v_subrev_u32_e32 v22, 28, v10
	v_lshlrev_b64 v[22:23], v22, v[6:7]
	v_lshrrev_b32_e32 v9, 3, v8
	v_sub_u32_e32 v10, 29, v10
	v_and_b32_e32 v22, 7, v22
	v_cmp_gt_u32_e64 s[4:5], 8, v8
	v_cndmask_b32_e64 v8, v9, v10, s[4:5]
	v_cndmask_b32_e64 v7, v7, v22, s[4:5]
	v_lshlrev_b32_e32 v6, 24, v6
	v_bfrev_b32_e32 v9, 60
	v_lshlrev_b32_e32 v7, 20, v7
	v_and_b32_e32 v6, 0x80000000, v6
	v_lshl_add_u32 v8, v8, 23, v9
	v_or3_b32 v7, v6, v8, v7
.LBB371_1195:                           ;   in Loop: Header=BB371_683 Depth=1
	s_or_b64 exec, exec, s[26:27]
.LBB371_1196:                           ;   in Loop: Header=BB371_683 Depth=1
	s_or_b64 exec, exec, s[24:25]
.LBB371_1197:                           ;   in Loop: Header=BB371_683 Depth=1
	s_or_b64 exec, exec, s[12:13]
	v_mul_f32_e32 v6, v33, v7
	v_and_b32_e32 v7, 0x7f800000, v6
	v_cmp_ne_u32_e64 s[4:5], s15, v7
                                        ; implicit-def: $vgpr23
	s_and_saveexec_b64 s[12:13], s[4:5]
	s_xor_b64 s[4:5], exec, s[12:13]
; %bb.1198:                             ;   in Loop: Header=BB371_683 Depth=1
	v_bfe_u32 v7, v6, 16, 1
	v_add3_u32 v23, v6, v7, s21
                                        ; implicit-def: $vgpr6
; %bb.1199:                             ;   in Loop: Header=BB371_683 Depth=1
	s_andn2_saveexec_b64 s[12:13], s[4:5]
; %bb.1200:                             ;   in Loop: Header=BB371_683 Depth=1
	v_or_b32_e32 v7, 0x10000, v6
	v_cmp_eq_u32_sdwa s[4:5], v6, v11 src0_sel:WORD_0 src1_sel:DWORD
	v_cndmask_b32_e64 v23, v7, v6, s[4:5]
; %bb.1201:                             ;   in Loop: Header=BB371_683 Depth=1
	s_or_b64 exec, exec, s[12:13]
	v_cmp_lt_u32_e64 s[4:5], s9, v2
	v_mov_b32_e32 v7, 0
	s_and_saveexec_b64 s[12:13], s[4:5]
	s_cbranch_execz .LBB371_1207
; %bb.1202:                             ;   in Loop: Header=BB371_683 Depth=1
	v_lshrrev_b32_e32 v6, 24, v2
	v_cmp_ne_u32_e64 s[4:5], s28, v6
	v_bfrev_b32_e32 v7, 1
	s_and_saveexec_b64 s[24:25], s[4:5]
	s_cbranch_execz .LBB371_1206
; %bb.1203:                             ;   in Loop: Header=BB371_683 Depth=1
	v_bfe_u32 v8, v2, 24, 7
	v_cmp_ne_u32_e64 s[4:5], s29, v8
	v_mov_b32_e32 v7, 0x7f800001
	s_and_saveexec_b64 s[26:27], s[4:5]
	s_cbranch_execz .LBB371_1205
; %bb.1204:                             ;   in Loop: Header=BB371_683 Depth=1
	v_and_b32_e32 v7, 7, v6
	v_ffbh_u32_e32 v10, v7
	v_min_u32_e32 v10, 32, v10
	v_subrev_u32_e32 v22, 28, v10
	v_lshlrev_b64 v[26:27], v22, v[6:7]
	v_lshrrev_b32_e32 v9, 3, v8
	v_sub_u32_e32 v10, 29, v10
	v_and_b32_e32 v22, 7, v26
	v_cmp_gt_u32_e64 s[4:5], 8, v8
	v_cndmask_b32_e64 v8, v9, v10, s[4:5]
	v_cndmask_b32_e64 v7, v7, v22, s[4:5]
	v_lshlrev_b32_e32 v6, 24, v6
	v_bfrev_b32_e32 v9, 60
	v_lshlrev_b32_e32 v7, 20, v7
	v_and_b32_e32 v6, 0x80000000, v6
	v_lshl_add_u32 v8, v8, 23, v9
	v_or3_b32 v7, v6, v8, v7
.LBB371_1205:                           ;   in Loop: Header=BB371_683 Depth=1
	s_or_b64 exec, exec, s[26:27]
.LBB371_1206:                           ;   in Loop: Header=BB371_683 Depth=1
	s_or_b64 exec, exec, s[24:25]
.LBB371_1207:                           ;   in Loop: Header=BB371_683 Depth=1
	s_or_b64 exec, exec, s[12:13]
	v_mul_f32_e32 v6, v33, v7
	v_and_b32_e32 v7, 0x7f800000, v6
	v_cmp_ne_u32_e64 s[4:5], s15, v7
                                        ; implicit-def: $vgpr7
	s_and_saveexec_b64 s[12:13], s[4:5]
	s_xor_b64 s[4:5], exec, s[12:13]
; %bb.1208:                             ;   in Loop: Header=BB371_683 Depth=1
	v_bfe_u32 v7, v6, 16, 1
	v_add3_u32 v7, v6, v7, s21
                                        ; implicit-def: $vgpr6
; %bb.1209:                             ;   in Loop: Header=BB371_683 Depth=1
	s_andn2_saveexec_b64 s[12:13], s[4:5]
; %bb.1210:                             ;   in Loop: Header=BB371_683 Depth=1
	v_or_b32_e32 v7, 0x10000, v6
	v_cmp_eq_u32_sdwa s[4:5], v6, v11 src0_sel:WORD_0 src1_sel:DWORD
	v_cndmask_b32_e64 v7, v7, v6, s[4:5]
; %bb.1211:                             ;   in Loop: Header=BB371_683 Depth=1
	s_or_b64 exec, exec, s[12:13]
	v_mov_b32_e32 v10, v3
	v_cmp_ne_u16_sdwa s[4:5], v3, v11 src0_sel:BYTE_0 src1_sel:DWORD
	v_mov_b32_e32 v6, 0
	s_and_saveexec_b64 s[12:13], s[4:5]
	s_cbranch_execz .LBB371_1217
; %bb.1212:                             ;   in Loop: Header=BB371_683 Depth=1
	v_cmp_ne_u16_sdwa s[4:5], v3, s28 src0_sel:BYTE_0 src1_sel:DWORD
	v_bfrev_b32_e32 v6, 1
	s_and_saveexec_b64 s[24:25], s[4:5]
	s_cbranch_execz .LBB371_1216
; %bb.1213:                             ;   in Loop: Header=BB371_683 Depth=1
	v_and_b32_e32 v8, 0x7f, v3
	v_cmp_ne_u32_e64 s[4:5], s29, v8
	v_mov_b32_e32 v6, 0x7f800001
	s_and_saveexec_b64 s[26:27], s[4:5]
	s_cbranch_execz .LBB371_1215
; %bb.1214:                             ;   in Loop: Header=BB371_683 Depth=1
	v_and_b32_e32 v6, 7, v3
	v_ffbh_u32_e32 v6, v6
	v_min_u32_e32 v6, 32, v6
	v_subrev_u32_e32 v22, 28, v6
	v_cmp_gt_u32_e64 s[4:5], 8, v8
	v_lshrrev_b32_e32 v9, 3, v8
	v_sub_u32_e32 v6, 29, v6
	v_cndmask_b32_e64 v8, 0, v22, s[4:5]
	v_cndmask_b32_e64 v6, v9, v6, s[4:5]
	v_lshlrev_b64 v[8:9], v8, v[10:11]
	v_lshlrev_b32_e32 v8, 20, v8
	v_lshlrev_b32_e32 v9, 24, v10
	v_bfrev_b32_e32 v22, 60
	v_and_b32_e32 v8, 0x700000, v8
	v_and_b32_e32 v9, 0x80000000, v9
	v_lshl_add_u32 v6, v6, 23, v22
	v_or3_b32 v6, v9, v6, v8
.LBB371_1215:                           ;   in Loop: Header=BB371_683 Depth=1
	s_or_b64 exec, exec, s[26:27]
.LBB371_1216:                           ;   in Loop: Header=BB371_683 Depth=1
	s_or_b64 exec, exec, s[24:25]
.LBB371_1217:                           ;   in Loop: Header=BB371_683 Depth=1
	s_or_b64 exec, exec, s[12:13]
	v_mul_f32_e32 v6, v33, v6
	v_and_b32_e32 v8, 0x7f800000, v6
	v_cmp_ne_u32_e64 s[4:5], s15, v8
                                        ; implicit-def: $vgpr22
	s_and_saveexec_b64 s[12:13], s[4:5]
	s_xor_b64 s[4:5], exec, s[12:13]
; %bb.1218:                             ;   in Loop: Header=BB371_683 Depth=1
	v_bfe_u32 v8, v6, 16, 1
	v_add3_u32 v22, v6, v8, s21
                                        ; implicit-def: $vgpr6
; %bb.1219:                             ;   in Loop: Header=BB371_683 Depth=1
	s_andn2_saveexec_b64 s[12:13], s[4:5]
; %bb.1220:                             ;   in Loop: Header=BB371_683 Depth=1
	v_or_b32_e32 v8, 0x10000, v6
	v_cmp_eq_u32_sdwa s[4:5], v6, v11 src0_sel:WORD_0 src1_sel:DWORD
	v_cndmask_b32_e64 v22, v8, v6, s[4:5]
; %bb.1221:                             ;   in Loop: Header=BB371_683 Depth=1
	s_or_b64 exec, exec, s[12:13]
	v_lshrrev_b16_e32 v6, 8, v10
	v_cmp_ne_u16_e64 s[4:5], 0, v6
	v_mov_b32_e32 v8, 0
	s_and_saveexec_b64 s[12:13], s[4:5]
	s_cbranch_execz .LBB371_1227
; %bb.1222:                             ;   in Loop: Header=BB371_683 Depth=1
	v_cmp_ne_u16_e64 s[4:5], s28, v6
	v_bfrev_b32_e32 v8, 1
	s_and_saveexec_b64 s[24:25], s[4:5]
	s_cbranch_execz .LBB371_1226
; %bb.1223:                             ;   in Loop: Header=BB371_683 Depth=1
	v_and_b32_e32 v9, 0x7f, v6
	v_cmp_ne_u32_e64 s[4:5], s29, v9
	v_mov_b32_e32 v8, 0x7f800001
	s_and_saveexec_b64 s[26:27], s[4:5]
	s_cbranch_execz .LBB371_1225
; %bb.1224:                             ;   in Loop: Header=BB371_683 Depth=1
	v_and_b32_e32 v8, 7, v6
	v_ffbh_u32_e32 v26, v8
	v_min_u32_e32 v29, 32, v26
	v_subrev_u32_e32 v26, 28, v29
	v_lshlrev_b64 v[26:27], v26, v[6:7]
	v_lshrrev_b32_e32 v28, 3, v9
	v_sub_u32_e32 v6, 29, v29
	v_and_b32_e32 v26, 7, v26
	v_cmp_gt_u32_e64 s[4:5], 8, v9
	v_cndmask_b32_e64 v6, v28, v6, s[4:5]
	v_cndmask_b32_e64 v8, v8, v26, s[4:5]
	v_lshlrev_b32_e32 v9, 16, v10
	v_bfrev_b32_e32 v10, 60
	v_lshlrev_b32_e32 v8, 20, v8
	v_and_b32_e32 v9, 0x80000000, v9
	v_lshl_add_u32 v6, v6, 23, v10
	v_or3_b32 v8, v9, v6, v8
.LBB371_1225:                           ;   in Loop: Header=BB371_683 Depth=1
	s_or_b64 exec, exec, s[26:27]
.LBB371_1226:                           ;   in Loop: Header=BB371_683 Depth=1
	s_or_b64 exec, exec, s[24:25]
.LBB371_1227:                           ;   in Loop: Header=BB371_683 Depth=1
	s_or_b64 exec, exec, s[12:13]
	v_mul_f32_e32 v6, v33, v8
	v_and_b32_e32 v8, 0x7f800000, v6
	v_cmp_ne_u32_e64 s[4:5], s15, v8
                                        ; implicit-def: $vgpr8
	s_and_saveexec_b64 s[12:13], s[4:5]
	s_xor_b64 s[4:5], exec, s[12:13]
; %bb.1228:                             ;   in Loop: Header=BB371_683 Depth=1
	v_bfe_u32 v8, v6, 16, 1
	v_add3_u32 v8, v6, v8, s21
                                        ; implicit-def: $vgpr6
; %bb.1229:                             ;   in Loop: Header=BB371_683 Depth=1
	s_andn2_saveexec_b64 s[12:13], s[4:5]
; %bb.1230:                             ;   in Loop: Header=BB371_683 Depth=1
	v_or_b32_e32 v8, 0x10000, v6
	v_cmp_eq_u32_sdwa s[4:5], v6, v11 src0_sel:WORD_0 src1_sel:DWORD
	v_cndmask_b32_e64 v8, v8, v6, s[4:5]
; %bb.1231:                             ;   in Loop: Header=BB371_683 Depth=1
	s_or_b64 exec, exec, s[12:13]
	v_lshrrev_b32_e32 v6, 16, v3
	v_cmp_ne_u16_sdwa s[4:5], v6, v11 src0_sel:BYTE_0 src1_sel:DWORD
	v_mov_b32_e32 v9, 0
	s_and_saveexec_b64 s[12:13], s[4:5]
	s_cbranch_execz .LBB371_1237
; %bb.1232:                             ;   in Loop: Header=BB371_683 Depth=1
	v_cmp_ne_u16_sdwa s[4:5], v6, s28 src0_sel:BYTE_0 src1_sel:DWORD
	v_bfrev_b32_e32 v9, 1
	s_and_saveexec_b64 s[24:25], s[4:5]
	s_cbranch_execz .LBB371_1236
; %bb.1233:                             ;   in Loop: Header=BB371_683 Depth=1
	v_bfe_u32 v10, v3, 16, 7
	v_cmp_ne_u32_e64 s[4:5], s29, v10
	v_mov_b32_e32 v9, 0x7f800001
	s_and_saveexec_b64 s[26:27], s[4:5]
	s_cbranch_execz .LBB371_1235
; %bb.1234:                             ;   in Loop: Header=BB371_683 Depth=1
	v_and_b32_e32 v9, 7, v6
	v_ffbh_u32_e32 v26, v9
	v_min_u32_e32 v29, 32, v26
	v_subrev_u32_e32 v26, 28, v29
	v_lshlrev_b64 v[26:27], v26, v[6:7]
	v_lshrrev_b32_e32 v28, 3, v10
	v_sub_u32_e32 v27, 29, v29
	v_and_b32_e32 v26, 7, v26
	v_cmp_gt_u32_e64 s[4:5], 8, v10
	v_cndmask_b32_e64 v10, v28, v27, s[4:5]
	v_cndmask_b32_e64 v9, v9, v26, s[4:5]
	v_lshlrev_b32_e32 v6, 24, v6
	v_bfrev_b32_e32 v26, 60
	v_lshlrev_b32_e32 v9, 20, v9
	v_and_b32_e32 v6, 0x80000000, v6
	v_lshl_add_u32 v10, v10, 23, v26
	v_or3_b32 v9, v6, v10, v9
.LBB371_1235:                           ;   in Loop: Header=BB371_683 Depth=1
	s_or_b64 exec, exec, s[26:27]
.LBB371_1236:                           ;   in Loop: Header=BB371_683 Depth=1
	s_or_b64 exec, exec, s[24:25]
.LBB371_1237:                           ;   in Loop: Header=BB371_683 Depth=1
	s_or_b64 exec, exec, s[12:13]
	v_mul_f32_e32 v6, v33, v9
	v_and_b32_e32 v9, 0x7f800000, v6
	v_cmp_ne_u32_e64 s[4:5], s15, v9
                                        ; implicit-def: $vgpr9
	s_and_saveexec_b64 s[12:13], s[4:5]
	s_xor_b64 s[4:5], exec, s[12:13]
; %bb.1238:                             ;   in Loop: Header=BB371_683 Depth=1
	v_bfe_u32 v9, v6, 16, 1
	v_add3_u32 v9, v6, v9, s21
                                        ; implicit-def: $vgpr6
; %bb.1239:                             ;   in Loop: Header=BB371_683 Depth=1
	s_andn2_saveexec_b64 s[12:13], s[4:5]
; %bb.1240:                             ;   in Loop: Header=BB371_683 Depth=1
	v_or_b32_e32 v9, 0x10000, v6
	v_cmp_eq_u32_sdwa s[4:5], v6, v11 src0_sel:WORD_0 src1_sel:DWORD
	v_cndmask_b32_e64 v9, v9, v6, s[4:5]
; %bb.1241:                             ;   in Loop: Header=BB371_683 Depth=1
	s_or_b64 exec, exec, s[12:13]
	v_cmp_lt_u64_e64 s[4:5], s[8:9], v[2:3]
	v_mov_b32_e32 v6, 0
	s_and_saveexec_b64 s[12:13], s[4:5]
	s_cbranch_execz .LBB371_1247
; %bb.1242:                             ;   in Loop: Header=BB371_683 Depth=1
	v_lshrrev_b32_e32 v2, 24, v3
	v_cmp_ne_u32_e64 s[4:5], s28, v2
	v_bfrev_b32_e32 v6, 1
	s_and_saveexec_b64 s[24:25], s[4:5]
	s_cbranch_execz .LBB371_1246
; %bb.1243:                             ;   in Loop: Header=BB371_683 Depth=1
	v_bfe_u32 v3, v3, 24, 7
	v_cmp_ne_u32_e64 s[4:5], s29, v3
	v_mov_b32_e32 v6, 0x7f800001
	s_and_saveexec_b64 s[26:27], s[4:5]
	s_cbranch_execz .LBB371_1245
; %bb.1244:                             ;   in Loop: Header=BB371_683 Depth=1
	v_and_b32_e32 v6, 7, v2
	v_ffbh_u32_e32 v26, v6
	v_min_u32_e32 v28, 32, v26
	v_subrev_u32_e32 v26, 28, v28
	v_lshlrev_b64 v[26:27], v26, v[2:3]
	v_lshrrev_b32_e32 v10, 3, v3
	v_sub_u32_e32 v27, 29, v28
	v_and_b32_e32 v26, 7, v26
	v_cmp_gt_u32_e64 s[4:5], 8, v3
	v_cndmask_b32_e64 v3, v10, v27, s[4:5]
	v_cndmask_b32_e64 v6, v6, v26, s[4:5]
	v_lshlrev_b32_e32 v2, 24, v2
	v_bfrev_b32_e32 v10, 60
	v_lshlrev_b32_e32 v6, 20, v6
	v_and_b32_e32 v2, 0x80000000, v2
	v_lshl_add_u32 v3, v3, 23, v10
	v_or3_b32 v6, v2, v3, v6
.LBB371_1245:                           ;   in Loop: Header=BB371_683 Depth=1
	s_or_b64 exec, exec, s[26:27]
.LBB371_1246:                           ;   in Loop: Header=BB371_683 Depth=1
	s_or_b64 exec, exec, s[24:25]
.LBB371_1247:                           ;   in Loop: Header=BB371_683 Depth=1
	s_or_b64 exec, exec, s[12:13]
	v_mul_f32_e32 v3, v33, v6
	v_and_b32_e32 v2, 0x7f800000, v3
	v_cmp_ne_u32_e64 s[4:5], s15, v2
                                        ; implicit-def: $vgpr2
	s_and_saveexec_b64 s[12:13], s[4:5]
	s_xor_b64 s[4:5], exec, s[12:13]
; %bb.1248:                             ;   in Loop: Header=BB371_683 Depth=1
	v_bfe_u32 v2, v3, 16, 1
	v_add3_u32 v2, v3, v2, s21
                                        ; implicit-def: $vgpr3
; %bb.1249:                             ;   in Loop: Header=BB371_683 Depth=1
	s_andn2_saveexec_b64 s[12:13], s[4:5]
; %bb.1250:                             ;   in Loop: Header=BB371_683 Depth=1
	v_or_b32_e32 v2, 0x10000, v3
	v_cmp_eq_u32_sdwa s[4:5], v3, v11 src0_sel:WORD_0 src1_sel:DWORD
	v_cndmask_b32_e64 v2, v2, v3, s[4:5]
; %bb.1251:                             ;   in Loop: Header=BB371_683 Depth=1
	s_or_b64 exec, exec, s[12:13]
	v_lshrrev_b32_e32 v6, 16, v8
	v_lshrrev_b32_e32 v8, 16, v22
	;; [unrolled: 1-line block ×8, first 2 shown]
	s_and_saveexec_b64 s[12:13], vcc
	s_cbranch_execz .LBB371_1253
; %bb.1252:                             ;   in Loop: Header=BB371_683 Depth=1
	v_cmp_lt_i32_e64 s[4:5], v36, v32
	v_accvgpr_read_b32 v9, a25
	v_cndmask_b32_e64 v4, 0, v4, s[4:5]
	v_cmp_lt_i32_e64 s[4:5], v9, v32
	v_accvgpr_read_b32 v9, a24
	v_cndmask_b32_e64 v5, 0, v5, s[4:5]
	;; [unrolled: 3-line block ×6, first 2 shown]
	v_cmp_lt_i32_e64 s[4:5], v9, v32
	v_cndmask_b32_e64 v3, 0, v3, s[4:5]
	v_cmp_lt_i32_e64 s[4:5], v17, v32
	v_cndmask_b32_e64 v2, 0, v2, s[4:5]
.LBB371_1253:                           ;   in Loop: Header=BB371_683 Depth=1
	s_or_b64 exec, exec, s[12:13]
	v_lshlrev_b32_e32 v4, 16, v4
	v_mul_f32_e32 v4, v41, v4
	v_and_b32_e32 v9, 0x7f800000, v4
	v_cmp_ne_u32_e64 s[4:5], s15, v9
                                        ; implicit-def: $vgpr49
	s_and_saveexec_b64 s[12:13], s[4:5]
	s_xor_b64 s[4:5], exec, s[12:13]
; %bb.1254:                             ;   in Loop: Header=BB371_683 Depth=1
	v_bfe_u32 v9, v4, 16, 1
	v_add3_u32 v49, v4, v9, s21
                                        ; implicit-def: $vgpr4
; %bb.1255:                             ;   in Loop: Header=BB371_683 Depth=1
	s_andn2_saveexec_b64 s[12:13], s[4:5]
; %bb.1256:                             ;   in Loop: Header=BB371_683 Depth=1
	v_or_b32_e32 v9, 0x10000, v4
	v_cmp_eq_u32_sdwa s[4:5], v4, v11 src0_sel:WORD_0 src1_sel:DWORD
	v_cndmask_b32_e64 v49, v9, v4, s[4:5]
; %bb.1257:                             ;   in Loop: Header=BB371_683 Depth=1
	s_or_b64 exec, exec, s[12:13]
	v_lshlrev_b32_e32 v4, 16, v5
	v_mul_f32_e32 v4, v42, v4
	v_and_b32_e32 v5, 0x7f800000, v4
	v_cmp_ne_u32_e64 s[4:5], s15, v5
                                        ; implicit-def: $vgpr57
	s_and_saveexec_b64 s[12:13], s[4:5]
	s_xor_b64 s[4:5], exec, s[12:13]
; %bb.1258:                             ;   in Loop: Header=BB371_683 Depth=1
	v_bfe_u32 v5, v4, 16, 1
	v_add3_u32 v57, v4, v5, s21
                                        ; implicit-def: $vgpr4
; %bb.1259:                             ;   in Loop: Header=BB371_683 Depth=1
	s_andn2_saveexec_b64 s[12:13], s[4:5]
; %bb.1260:                             ;   in Loop: Header=BB371_683 Depth=1
	v_or_b32_e32 v5, 0x10000, v4
	v_cmp_eq_u32_sdwa s[4:5], v4, v11 src0_sel:WORD_0 src1_sel:DWORD
	v_cndmask_b32_e64 v57, v5, v4, s[4:5]
; %bb.1261:                             ;   in Loop: Header=BB371_683 Depth=1
	s_or_b64 exec, exec, s[12:13]
	v_lshlrev_b32_e32 v4, 16, v10
	v_mul_f32_e32 v4, v43, v4
	v_and_b32_e32 v5, 0x7f800000, v4
	v_cmp_ne_u32_e64 s[4:5], s15, v5
                                        ; implicit-def: $vgpr58
	s_and_saveexec_b64 s[12:13], s[4:5]
	s_xor_b64 s[4:5], exec, s[12:13]
; %bb.1262:                             ;   in Loop: Header=BB371_683 Depth=1
	v_bfe_u32 v5, v4, 16, 1
	v_add3_u32 v58, v4, v5, s21
                                        ; implicit-def: $vgpr4
; %bb.1263:                             ;   in Loop: Header=BB371_683 Depth=1
	s_andn2_saveexec_b64 s[12:13], s[4:5]
; %bb.1264:                             ;   in Loop: Header=BB371_683 Depth=1
	v_or_b32_e32 v5, 0x10000, v4
	v_cmp_eq_u32_sdwa s[4:5], v4, v11 src0_sel:WORD_0 src1_sel:DWORD
	v_cndmask_b32_e64 v58, v5, v4, s[4:5]
; %bb.1265:                             ;   in Loop: Header=BB371_683 Depth=1
	s_or_b64 exec, exec, s[12:13]
	v_lshlrev_b32_e32 v4, 16, v7
	v_mul_f32_e32 v4, v44, v4
	v_and_b32_e32 v5, 0x7f800000, v4
	v_cmp_ne_u32_e64 s[4:5], s15, v5
                                        ; implicit-def: $vgpr59
	s_and_saveexec_b64 s[12:13], s[4:5]
	s_xor_b64 s[4:5], exec, s[12:13]
; %bb.1266:                             ;   in Loop: Header=BB371_683 Depth=1
	v_bfe_u32 v5, v4, 16, 1
	v_add3_u32 v59, v4, v5, s21
                                        ; implicit-def: $vgpr4
; %bb.1267:                             ;   in Loop: Header=BB371_683 Depth=1
	s_andn2_saveexec_b64 s[12:13], s[4:5]
; %bb.1268:                             ;   in Loop: Header=BB371_683 Depth=1
	v_or_b32_e32 v5, 0x10000, v4
	v_cmp_eq_u32_sdwa s[4:5], v4, v11 src0_sel:WORD_0 src1_sel:DWORD
	v_cndmask_b32_e64 v59, v5, v4, s[4:5]
; %bb.1269:                             ;   in Loop: Header=BB371_683 Depth=1
	s_or_b64 exec, exec, s[12:13]
	v_lshlrev_b32_e32 v4, 16, v8
	v_mul_f32_e32 v4, v45, v4
	v_and_b32_e32 v5, 0x7f800000, v4
	v_cmp_ne_u32_e64 s[4:5], s15, v5
                                        ; implicit-def: $vgpr60
	s_and_saveexec_b64 s[12:13], s[4:5]
	s_xor_b64 s[4:5], exec, s[12:13]
; %bb.1270:                             ;   in Loop: Header=BB371_683 Depth=1
	v_bfe_u32 v5, v4, 16, 1
	v_add3_u32 v60, v4, v5, s21
                                        ; implicit-def: $vgpr4
; %bb.1271:                             ;   in Loop: Header=BB371_683 Depth=1
	s_andn2_saveexec_b64 s[12:13], s[4:5]
; %bb.1272:                             ;   in Loop: Header=BB371_683 Depth=1
	v_or_b32_e32 v5, 0x10000, v4
	v_cmp_eq_u32_sdwa s[4:5], v4, v11 src0_sel:WORD_0 src1_sel:DWORD
	v_cndmask_b32_e64 v60, v5, v4, s[4:5]
; %bb.1273:                             ;   in Loop: Header=BB371_683 Depth=1
	s_or_b64 exec, exec, s[12:13]
	v_lshlrev_b32_e32 v4, 16, v6
	v_mul_f32_e32 v4, v46, v4
	v_and_b32_e32 v5, 0x7f800000, v4
	v_cmp_ne_u32_e64 s[4:5], s15, v5
                                        ; implicit-def: $vgpr61
	s_and_saveexec_b64 s[12:13], s[4:5]
	s_xor_b64 s[4:5], exec, s[12:13]
; %bb.1274:                             ;   in Loop: Header=BB371_683 Depth=1
	v_bfe_u32 v5, v4, 16, 1
	v_add3_u32 v61, v4, v5, s21
                                        ; implicit-def: $vgpr4
; %bb.1275:                             ;   in Loop: Header=BB371_683 Depth=1
	s_andn2_saveexec_b64 s[12:13], s[4:5]
; %bb.1276:                             ;   in Loop: Header=BB371_683 Depth=1
	v_or_b32_e32 v5, 0x10000, v4
	v_cmp_eq_u32_sdwa s[4:5], v4, v11 src0_sel:WORD_0 src1_sel:DWORD
	v_cndmask_b32_e64 v61, v5, v4, s[4:5]
; %bb.1277:                             ;   in Loop: Header=BB371_683 Depth=1
	s_or_b64 exec, exec, s[12:13]
	v_lshlrev_b32_e32 v3, 16, v3
	v_mul_f32_e32 v3, v47, v3
	v_and_b32_e32 v4, 0x7f800000, v3
	v_cmp_ne_u32_e64 s[4:5], s15, v4
                                        ; implicit-def: $vgpr4
	s_and_saveexec_b64 s[12:13], s[4:5]
	s_xor_b64 s[4:5], exec, s[12:13]
; %bb.1278:                             ;   in Loop: Header=BB371_683 Depth=1
	v_bfe_u32 v4, v3, 16, 1
	v_add3_u32 v4, v3, v4, s21
                                        ; implicit-def: $vgpr3
; %bb.1279:                             ;   in Loop: Header=BB371_683 Depth=1
	s_andn2_saveexec_b64 s[12:13], s[4:5]
; %bb.1280:                             ;   in Loop: Header=BB371_683 Depth=1
	v_or_b32_e32 v4, 0x10000, v3
	v_cmp_eq_u32_sdwa s[4:5], v3, v11 src0_sel:WORD_0 src1_sel:DWORD
	v_cndmask_b32_e64 v4, v4, v3, s[4:5]
; %bb.1281:                             ;   in Loop: Header=BB371_683 Depth=1
	s_or_b64 exec, exec, s[12:13]
	v_lshlrev_b32_e32 v2, 16, v2
	v_mul_f32_e32 v2, v56, v2
	v_and_b32_e32 v3, 0x7f800000, v2
	v_cmp_ne_u32_e64 s[4:5], s15, v3
                                        ; implicit-def: $vgpr5
	s_and_saveexec_b64 s[12:13], s[4:5]
	s_xor_b64 s[4:5], exec, s[12:13]
; %bb.1282:                             ;   in Loop: Header=BB371_683 Depth=1
	v_bfe_u32 v3, v2, 16, 1
	v_add3_u32 v5, v2, v3, s21
                                        ; implicit-def: $vgpr2
; %bb.1283:                             ;   in Loop: Header=BB371_683 Depth=1
	s_andn2_saveexec_b64 s[12:13], s[4:5]
; %bb.1284:                             ;   in Loop: Header=BB371_683 Depth=1
	v_or_b32_e32 v3, 0x10000, v2
	v_cmp_eq_u32_sdwa s[4:5], v2, v11 src0_sel:WORD_0 src1_sel:DWORD
	v_cndmask_b32_e64 v5, v3, v2, s[4:5]
; %bb.1285:                             ;   in Loop: Header=BB371_683 Depth=1
	s_or_b64 exec, exec, s[12:13]
	flat_load_dwordx2 v[2:3], v[0:1] offset:2560
	v_mov_b32_e32 v6, 0
	s_waitcnt vmcnt(0) lgkmcnt(0)
	v_cmp_ne_u16_sdwa s[4:5], v2, v11 src0_sel:BYTE_0 src1_sel:DWORD
	s_and_saveexec_b64 s[12:13], s[4:5]
	s_cbranch_execz .LBB371_1291
; %bb.1286:                             ;   in Loop: Header=BB371_683 Depth=1
	v_cmp_ne_u16_sdwa s[4:5], v2, s28 src0_sel:BYTE_0 src1_sel:DWORD
	v_bfrev_b32_e32 v6, 1
	s_and_saveexec_b64 s[24:25], s[4:5]
	s_cbranch_execz .LBB371_1290
; %bb.1287:                             ;   in Loop: Header=BB371_683 Depth=1
	v_and_b32_e32 v7, 0x7f, v2
	v_cmp_ne_u32_e64 s[4:5], s29, v7
	v_mov_b32_e32 v6, 0x7f800001
	s_and_saveexec_b64 s[26:27], s[4:5]
	s_cbranch_execz .LBB371_1289
; %bb.1288:                             ;   in Loop: Header=BB371_683 Depth=1
	v_and_b32_e32 v6, 7, v2
	v_ffbh_u32_e32 v6, v6
	v_min_u32_e32 v6, 32, v6
	v_lshrrev_b32_e32 v8, 3, v7
	v_subrev_u32_e32 v9, 28, v6
	v_sub_u32_e32 v6, 29, v6
	v_cmp_gt_u32_e64 s[4:5], 8, v7
	v_cndmask_b32_e64 v8, v8, v6, s[4:5]
	v_cndmask_b32_e64 v6, 0, v9, s[4:5]
	v_lshlrev_b64 v[6:7], v6, v[2:3]
	v_lshlrev_b32_e32 v6, 20, v6
	v_lshlrev_b32_e32 v7, 24, v2
	v_bfrev_b32_e32 v9, 60
	v_and_b32_e32 v6, 0x700000, v6
	v_and_b32_e32 v7, 0x80000000, v7
	v_lshl_add_u32 v8, v8, 23, v9
	v_or3_b32 v6, v7, v8, v6
.LBB371_1289:                           ;   in Loop: Header=BB371_683 Depth=1
	s_or_b64 exec, exec, s[26:27]
.LBB371_1290:                           ;   in Loop: Header=BB371_683 Depth=1
	s_or_b64 exec, exec, s[24:25]
.LBB371_1291:                           ;   in Loop: Header=BB371_683 Depth=1
	s_or_b64 exec, exec, s[12:13]
	v_mul_f32_e32 v6, v33, v6
	v_and_b32_e32 v7, 0x7f800000, v6
	v_cmp_ne_u32_e64 s[4:5], s15, v7
                                        ; implicit-def: $vgpr23
	s_and_saveexec_b64 s[12:13], s[4:5]
	s_xor_b64 s[4:5], exec, s[12:13]
; %bb.1292:                             ;   in Loop: Header=BB371_683 Depth=1
	v_bfe_u32 v7, v6, 16, 1
	v_add3_u32 v23, v6, v7, s21
                                        ; implicit-def: $vgpr6
; %bb.1293:                             ;   in Loop: Header=BB371_683 Depth=1
	s_andn2_saveexec_b64 s[12:13], s[4:5]
; %bb.1294:                             ;   in Loop: Header=BB371_683 Depth=1
	v_or_b32_e32 v7, 0x10000, v6
	v_cmp_eq_u32_sdwa s[4:5], v6, v11 src0_sel:WORD_0 src1_sel:DWORD
	v_cndmask_b32_e64 v23, v7, v6, s[4:5]
; %bb.1295:                             ;   in Loop: Header=BB371_683 Depth=1
	s_or_b64 exec, exec, s[12:13]
	v_lshrrev_b16_e32 v6, 8, v2
	v_cmp_ne_u16_e64 s[4:5], 0, v6
	v_mov_b32_e32 v7, 0
	s_and_saveexec_b64 s[12:13], s[4:5]
	s_cbranch_execz .LBB371_1301
; %bb.1296:                             ;   in Loop: Header=BB371_683 Depth=1
	v_cmp_ne_u16_e64 s[4:5], s28, v6
	v_bfrev_b32_e32 v7, 1
	s_and_saveexec_b64 s[24:25], s[4:5]
	s_cbranch_execz .LBB371_1300
; %bb.1297:                             ;   in Loop: Header=BB371_683 Depth=1
	v_and_b32_e32 v8, 0x7f, v6
	v_cmp_ne_u32_e64 s[4:5], s29, v8
	v_mov_b32_e32 v7, 0x7f800001
	s_and_saveexec_b64 s[26:27], s[4:5]
	s_cbranch_execz .LBB371_1299
; %bb.1298:                             ;   in Loop: Header=BB371_683 Depth=1
	v_and_b32_e32 v9, 7, v6
	v_ffbh_u32_e32 v7, v9
	v_min_u32_e32 v22, 32, v7
	v_subrev_u32_e32 v7, 28, v22
	v_lshlrev_b64 v[6:7], v7, v[6:7]
	v_lshrrev_b32_e32 v10, 3, v8
	v_sub_u32_e32 v7, 29, v22
	v_and_b32_e32 v6, 7, v6
	v_cmp_gt_u32_e64 s[4:5], 8, v8
	v_cndmask_b32_e64 v7, v10, v7, s[4:5]
	v_cndmask_b32_e64 v6, v9, v6, s[4:5]
	v_lshlrev_b32_e32 v8, 16, v2
	v_bfrev_b32_e32 v9, 60
	v_lshlrev_b32_e32 v6, 20, v6
	v_and_b32_e32 v8, 0x80000000, v8
	v_lshl_add_u32 v7, v7, 23, v9
	v_or3_b32 v7, v8, v7, v6
.LBB371_1299:                           ;   in Loop: Header=BB371_683 Depth=1
	s_or_b64 exec, exec, s[26:27]
.LBB371_1300:                           ;   in Loop: Header=BB371_683 Depth=1
	s_or_b64 exec, exec, s[24:25]
.LBB371_1301:                           ;   in Loop: Header=BB371_683 Depth=1
	s_or_b64 exec, exec, s[12:13]
	v_mul_f32_e32 v6, v33, v7
	v_and_b32_e32 v7, 0x7f800000, v6
	v_cmp_ne_u32_e64 s[4:5], s15, v7
                                        ; implicit-def: $vgpr26
	s_and_saveexec_b64 s[12:13], s[4:5]
	s_xor_b64 s[4:5], exec, s[12:13]
; %bb.1302:                             ;   in Loop: Header=BB371_683 Depth=1
	v_bfe_u32 v7, v6, 16, 1
	v_add3_u32 v26, v6, v7, s21
                                        ; implicit-def: $vgpr6
; %bb.1303:                             ;   in Loop: Header=BB371_683 Depth=1
	s_andn2_saveexec_b64 s[12:13], s[4:5]
; %bb.1304:                             ;   in Loop: Header=BB371_683 Depth=1
	v_or_b32_e32 v7, 0x10000, v6
	v_cmp_eq_u32_sdwa s[4:5], v6, v11 src0_sel:WORD_0 src1_sel:DWORD
	v_cndmask_b32_e64 v26, v7, v6, s[4:5]
; %bb.1305:                             ;   in Loop: Header=BB371_683 Depth=1
	s_or_b64 exec, exec, s[12:13]
	v_lshrrev_b32_e32 v6, 16, v2
	v_cmp_ne_u16_sdwa s[4:5], v6, v11 src0_sel:BYTE_0 src1_sel:DWORD
	v_mov_b32_e32 v7, 0
	s_and_saveexec_b64 s[12:13], s[4:5]
	s_cbranch_execz .LBB371_1311
; %bb.1306:                             ;   in Loop: Header=BB371_683 Depth=1
	v_cmp_ne_u16_sdwa s[4:5], v6, s28 src0_sel:BYTE_0 src1_sel:DWORD
	v_bfrev_b32_e32 v7, 1
	s_and_saveexec_b64 s[24:25], s[4:5]
	s_cbranch_execz .LBB371_1310
; %bb.1307:                             ;   in Loop: Header=BB371_683 Depth=1
	v_bfe_u32 v8, v2, 16, 7
	v_cmp_ne_u32_e64 s[4:5], s29, v8
	v_mov_b32_e32 v7, 0x7f800001
	s_and_saveexec_b64 s[26:27], s[4:5]
	s_cbranch_execz .LBB371_1309
; %bb.1308:                             ;   in Loop: Header=BB371_683 Depth=1
	v_and_b32_e32 v7, 7, v6
	v_ffbh_u32_e32 v10, v7
	v_min_u32_e32 v10, 32, v10
	v_subrev_u32_e32 v22, 28, v10
	v_lshlrev_b64 v[28:29], v22, v[6:7]
	v_lshrrev_b32_e32 v9, 3, v8
	v_sub_u32_e32 v10, 29, v10
	v_and_b32_e32 v22, 7, v28
	v_cmp_gt_u32_e64 s[4:5], 8, v8
	v_cndmask_b32_e64 v8, v9, v10, s[4:5]
	v_cndmask_b32_e64 v7, v7, v22, s[4:5]
	v_lshlrev_b32_e32 v6, 24, v6
	v_bfrev_b32_e32 v9, 60
	v_lshlrev_b32_e32 v7, 20, v7
	v_and_b32_e32 v6, 0x80000000, v6
	v_lshl_add_u32 v8, v8, 23, v9
	v_or3_b32 v7, v6, v8, v7
.LBB371_1309:                           ;   in Loop: Header=BB371_683 Depth=1
	s_or_b64 exec, exec, s[26:27]
.LBB371_1310:                           ;   in Loop: Header=BB371_683 Depth=1
	s_or_b64 exec, exec, s[24:25]
.LBB371_1311:                           ;   in Loop: Header=BB371_683 Depth=1
	s_or_b64 exec, exec, s[12:13]
	v_mul_f32_e32 v6, v33, v7
	v_and_b32_e32 v7, 0x7f800000, v6
	v_cmp_ne_u32_e64 s[4:5], s15, v7
                                        ; implicit-def: $vgpr27
	s_and_saveexec_b64 s[12:13], s[4:5]
	s_xor_b64 s[4:5], exec, s[12:13]
; %bb.1312:                             ;   in Loop: Header=BB371_683 Depth=1
	v_bfe_u32 v7, v6, 16, 1
	v_add3_u32 v27, v6, v7, s21
                                        ; implicit-def: $vgpr6
; %bb.1313:                             ;   in Loop: Header=BB371_683 Depth=1
	s_andn2_saveexec_b64 s[12:13], s[4:5]
; %bb.1314:                             ;   in Loop: Header=BB371_683 Depth=1
	v_or_b32_e32 v7, 0x10000, v6
	v_cmp_eq_u32_sdwa s[4:5], v6, v11 src0_sel:WORD_0 src1_sel:DWORD
	v_cndmask_b32_e64 v27, v7, v6, s[4:5]
; %bb.1315:                             ;   in Loop: Header=BB371_683 Depth=1
	s_or_b64 exec, exec, s[12:13]
	v_cmp_lt_u32_e64 s[4:5], s9, v2
	v_mov_b32_e32 v7, 0
	s_and_saveexec_b64 s[12:13], s[4:5]
	s_cbranch_execz .LBB371_1321
; %bb.1316:                             ;   in Loop: Header=BB371_683 Depth=1
	v_lshrrev_b32_e32 v6, 24, v2
	v_cmp_ne_u32_e64 s[4:5], s28, v6
	v_bfrev_b32_e32 v7, 1
	s_and_saveexec_b64 s[24:25], s[4:5]
	s_cbranch_execz .LBB371_1320
; %bb.1317:                             ;   in Loop: Header=BB371_683 Depth=1
	v_bfe_u32 v8, v2, 24, 7
	v_cmp_ne_u32_e64 s[4:5], s29, v8
	v_mov_b32_e32 v7, 0x7f800001
	s_and_saveexec_b64 s[26:27], s[4:5]
	s_cbranch_execz .LBB371_1319
; %bb.1318:                             ;   in Loop: Header=BB371_683 Depth=1
	v_and_b32_e32 v7, 7, v6
	v_ffbh_u32_e32 v10, v7
	v_min_u32_e32 v10, 32, v10
	v_subrev_u32_e32 v22, 28, v10
	v_lshlrev_b64 v[28:29], v22, v[6:7]
	v_lshrrev_b32_e32 v9, 3, v8
	v_sub_u32_e32 v10, 29, v10
	v_and_b32_e32 v22, 7, v28
	v_cmp_gt_u32_e64 s[4:5], 8, v8
	v_cndmask_b32_e64 v8, v9, v10, s[4:5]
	v_cndmask_b32_e64 v7, v7, v22, s[4:5]
	v_lshlrev_b32_e32 v6, 24, v6
	v_bfrev_b32_e32 v9, 60
	v_lshlrev_b32_e32 v7, 20, v7
	v_and_b32_e32 v6, 0x80000000, v6
	v_lshl_add_u32 v8, v8, 23, v9
	v_or3_b32 v7, v6, v8, v7
.LBB371_1319:                           ;   in Loop: Header=BB371_683 Depth=1
	s_or_b64 exec, exec, s[26:27]
.LBB371_1320:                           ;   in Loop: Header=BB371_683 Depth=1
	s_or_b64 exec, exec, s[24:25]
.LBB371_1321:                           ;   in Loop: Header=BB371_683 Depth=1
	s_or_b64 exec, exec, s[12:13]
	v_mul_f32_e32 v6, v33, v7
	v_and_b32_e32 v7, 0x7f800000, v6
	v_cmp_ne_u32_e64 s[4:5], s15, v7
                                        ; implicit-def: $vgpr7
	s_and_saveexec_b64 s[12:13], s[4:5]
	s_xor_b64 s[4:5], exec, s[12:13]
; %bb.1322:                             ;   in Loop: Header=BB371_683 Depth=1
	v_bfe_u32 v7, v6, 16, 1
	v_add3_u32 v7, v6, v7, s21
                                        ; implicit-def: $vgpr6
; %bb.1323:                             ;   in Loop: Header=BB371_683 Depth=1
	s_andn2_saveexec_b64 s[12:13], s[4:5]
; %bb.1324:                             ;   in Loop: Header=BB371_683 Depth=1
	v_or_b32_e32 v7, 0x10000, v6
	v_cmp_eq_u32_sdwa s[4:5], v6, v11 src0_sel:WORD_0 src1_sel:DWORD
	v_cndmask_b32_e64 v7, v7, v6, s[4:5]
; %bb.1325:                             ;   in Loop: Header=BB371_683 Depth=1
	s_or_b64 exec, exec, s[12:13]
	v_mov_b32_e32 v10, v3
	v_cmp_ne_u16_sdwa s[4:5], v3, v11 src0_sel:BYTE_0 src1_sel:DWORD
	v_mov_b32_e32 v6, 0
	s_and_saveexec_b64 s[12:13], s[4:5]
	s_cbranch_execz .LBB371_1331
; %bb.1326:                             ;   in Loop: Header=BB371_683 Depth=1
	v_cmp_ne_u16_sdwa s[4:5], v3, s28 src0_sel:BYTE_0 src1_sel:DWORD
	v_bfrev_b32_e32 v6, 1
	s_and_saveexec_b64 s[24:25], s[4:5]
	s_cbranch_execz .LBB371_1330
; %bb.1327:                             ;   in Loop: Header=BB371_683 Depth=1
	v_and_b32_e32 v8, 0x7f, v3
	v_cmp_ne_u32_e64 s[4:5], s29, v8
	v_mov_b32_e32 v6, 0x7f800001
	s_and_saveexec_b64 s[26:27], s[4:5]
	s_cbranch_execz .LBB371_1329
; %bb.1328:                             ;   in Loop: Header=BB371_683 Depth=1
	v_and_b32_e32 v6, 7, v3
	v_ffbh_u32_e32 v6, v6
	v_min_u32_e32 v6, 32, v6
	v_subrev_u32_e32 v22, 28, v6
	v_cmp_gt_u32_e64 s[4:5], 8, v8
	v_lshrrev_b32_e32 v9, 3, v8
	v_sub_u32_e32 v6, 29, v6
	v_cndmask_b32_e64 v8, 0, v22, s[4:5]
	v_cndmask_b32_e64 v6, v9, v6, s[4:5]
	v_lshlrev_b64 v[8:9], v8, v[10:11]
	v_lshlrev_b32_e32 v8, 20, v8
	v_lshlrev_b32_e32 v9, 24, v10
	v_bfrev_b32_e32 v22, 60
	v_and_b32_e32 v8, 0x700000, v8
	v_and_b32_e32 v9, 0x80000000, v9
	v_lshl_add_u32 v6, v6, 23, v22
	v_or3_b32 v6, v9, v6, v8
.LBB371_1329:                           ;   in Loop: Header=BB371_683 Depth=1
	s_or_b64 exec, exec, s[26:27]
.LBB371_1330:                           ;   in Loop: Header=BB371_683 Depth=1
	s_or_b64 exec, exec, s[24:25]
.LBB371_1331:                           ;   in Loop: Header=BB371_683 Depth=1
	s_or_b64 exec, exec, s[12:13]
	v_mul_f32_e32 v6, v33, v6
	v_and_b32_e32 v8, 0x7f800000, v6
	v_cmp_ne_u32_e64 s[4:5], s15, v8
                                        ; implicit-def: $vgpr22
	s_and_saveexec_b64 s[12:13], s[4:5]
	s_xor_b64 s[4:5], exec, s[12:13]
; %bb.1332:                             ;   in Loop: Header=BB371_683 Depth=1
	v_bfe_u32 v8, v6, 16, 1
	v_add3_u32 v22, v6, v8, s21
                                        ; implicit-def: $vgpr6
; %bb.1333:                             ;   in Loop: Header=BB371_683 Depth=1
	s_andn2_saveexec_b64 s[12:13], s[4:5]
; %bb.1334:                             ;   in Loop: Header=BB371_683 Depth=1
	v_or_b32_e32 v8, 0x10000, v6
	v_cmp_eq_u32_sdwa s[4:5], v6, v11 src0_sel:WORD_0 src1_sel:DWORD
	v_cndmask_b32_e64 v22, v8, v6, s[4:5]
; %bb.1335:                             ;   in Loop: Header=BB371_683 Depth=1
	s_or_b64 exec, exec, s[12:13]
	v_lshrrev_b16_e32 v6, 8, v10
	v_cmp_ne_u16_e64 s[4:5], 0, v6
	v_mov_b32_e32 v8, 0
	s_and_saveexec_b64 s[12:13], s[4:5]
	s_cbranch_execz .LBB371_1341
; %bb.1336:                             ;   in Loop: Header=BB371_683 Depth=1
	v_cmp_ne_u16_e64 s[4:5], s28, v6
	v_bfrev_b32_e32 v8, 1
	s_and_saveexec_b64 s[24:25], s[4:5]
	s_cbranch_execz .LBB371_1340
; %bb.1337:                             ;   in Loop: Header=BB371_683 Depth=1
	v_and_b32_e32 v9, 0x7f, v6
	v_cmp_ne_u32_e64 s[4:5], s29, v9
	v_mov_b32_e32 v8, 0x7f800001
	s_and_saveexec_b64 s[26:27], s[4:5]
	s_cbranch_execz .LBB371_1339
; %bb.1338:                             ;   in Loop: Header=BB371_683 Depth=1
	v_and_b32_e32 v8, 7, v6
	v_ffbh_u32_e32 v28, v8
	v_min_u32_e32 v31, 32, v28
	v_subrev_u32_e32 v28, 28, v31
	v_lshlrev_b64 v[28:29], v28, v[6:7]
	v_lshrrev_b32_e32 v30, 3, v9
	v_sub_u32_e32 v6, 29, v31
	v_and_b32_e32 v28, 7, v28
	v_cmp_gt_u32_e64 s[4:5], 8, v9
	v_cndmask_b32_e64 v6, v30, v6, s[4:5]
	v_cndmask_b32_e64 v8, v8, v28, s[4:5]
	v_lshlrev_b32_e32 v9, 16, v10
	v_bfrev_b32_e32 v10, 60
	v_lshlrev_b32_e32 v8, 20, v8
	v_and_b32_e32 v9, 0x80000000, v9
	v_lshl_add_u32 v6, v6, 23, v10
	v_or3_b32 v8, v9, v6, v8
.LBB371_1339:                           ;   in Loop: Header=BB371_683 Depth=1
	s_or_b64 exec, exec, s[26:27]
.LBB371_1340:                           ;   in Loop: Header=BB371_683 Depth=1
	s_or_b64 exec, exec, s[24:25]
.LBB371_1341:                           ;   in Loop: Header=BB371_683 Depth=1
	s_or_b64 exec, exec, s[12:13]
	v_mul_f32_e32 v6, v33, v8
	v_and_b32_e32 v8, 0x7f800000, v6
	v_cmp_ne_u32_e64 s[4:5], s15, v8
                                        ; implicit-def: $vgpr8
	s_and_saveexec_b64 s[12:13], s[4:5]
	s_xor_b64 s[4:5], exec, s[12:13]
; %bb.1342:                             ;   in Loop: Header=BB371_683 Depth=1
	v_bfe_u32 v8, v6, 16, 1
	v_add3_u32 v8, v6, v8, s21
                                        ; implicit-def: $vgpr6
; %bb.1343:                             ;   in Loop: Header=BB371_683 Depth=1
	s_andn2_saveexec_b64 s[12:13], s[4:5]
; %bb.1344:                             ;   in Loop: Header=BB371_683 Depth=1
	v_or_b32_e32 v8, 0x10000, v6
	v_cmp_eq_u32_sdwa s[4:5], v6, v11 src0_sel:WORD_0 src1_sel:DWORD
	v_cndmask_b32_e64 v8, v8, v6, s[4:5]
; %bb.1345:                             ;   in Loop: Header=BB371_683 Depth=1
	s_or_b64 exec, exec, s[12:13]
	v_lshrrev_b32_e32 v6, 16, v3
	v_cmp_ne_u16_sdwa s[4:5], v6, v11 src0_sel:BYTE_0 src1_sel:DWORD
	v_mov_b32_e32 v9, 0
	s_and_saveexec_b64 s[12:13], s[4:5]
	s_cbranch_execz .LBB371_1351
; %bb.1346:                             ;   in Loop: Header=BB371_683 Depth=1
	v_cmp_ne_u16_sdwa s[4:5], v6, s28 src0_sel:BYTE_0 src1_sel:DWORD
	v_bfrev_b32_e32 v9, 1
	s_and_saveexec_b64 s[24:25], s[4:5]
	s_cbranch_execz .LBB371_1350
; %bb.1347:                             ;   in Loop: Header=BB371_683 Depth=1
	v_bfe_u32 v10, v3, 16, 7
	v_cmp_ne_u32_e64 s[4:5], s29, v10
	v_mov_b32_e32 v9, 0x7f800001
	s_and_saveexec_b64 s[26:27], s[4:5]
	s_cbranch_execz .LBB371_1349
; %bb.1348:                             ;   in Loop: Header=BB371_683 Depth=1
	v_and_b32_e32 v9, 7, v6
	v_ffbh_u32_e32 v28, v9
	v_min_u32_e32 v31, 32, v28
	v_subrev_u32_e32 v28, 28, v31
	v_lshlrev_b64 v[28:29], v28, v[6:7]
	v_lshrrev_b32_e32 v30, 3, v10
	v_sub_u32_e32 v29, 29, v31
	v_and_b32_e32 v28, 7, v28
	v_cmp_gt_u32_e64 s[4:5], 8, v10
	v_cndmask_b32_e64 v10, v30, v29, s[4:5]
	v_cndmask_b32_e64 v9, v9, v28, s[4:5]
	v_lshlrev_b32_e32 v6, 24, v6
	v_bfrev_b32_e32 v28, 60
	v_lshlrev_b32_e32 v9, 20, v9
	v_and_b32_e32 v6, 0x80000000, v6
	v_lshl_add_u32 v10, v10, 23, v28
	v_or3_b32 v9, v6, v10, v9
.LBB371_1349:                           ;   in Loop: Header=BB371_683 Depth=1
	s_or_b64 exec, exec, s[26:27]
.LBB371_1350:                           ;   in Loop: Header=BB371_683 Depth=1
	s_or_b64 exec, exec, s[24:25]
.LBB371_1351:                           ;   in Loop: Header=BB371_683 Depth=1
	s_or_b64 exec, exec, s[12:13]
	v_mul_f32_e32 v6, v33, v9
	v_and_b32_e32 v9, 0x7f800000, v6
	v_cmp_ne_u32_e64 s[4:5], s15, v9
                                        ; implicit-def: $vgpr9
	s_and_saveexec_b64 s[12:13], s[4:5]
	s_xor_b64 s[4:5], exec, s[12:13]
; %bb.1352:                             ;   in Loop: Header=BB371_683 Depth=1
	v_bfe_u32 v9, v6, 16, 1
	v_add3_u32 v9, v6, v9, s21
                                        ; implicit-def: $vgpr6
; %bb.1353:                             ;   in Loop: Header=BB371_683 Depth=1
	s_andn2_saveexec_b64 s[12:13], s[4:5]
; %bb.1354:                             ;   in Loop: Header=BB371_683 Depth=1
	v_or_b32_e32 v9, 0x10000, v6
	v_cmp_eq_u32_sdwa s[4:5], v6, v11 src0_sel:WORD_0 src1_sel:DWORD
	v_cndmask_b32_e64 v9, v9, v6, s[4:5]
; %bb.1355:                             ;   in Loop: Header=BB371_683 Depth=1
	s_or_b64 exec, exec, s[12:13]
	v_cmp_lt_u64_e64 s[4:5], s[8:9], v[2:3]
	v_mov_b32_e32 v6, 0
	s_and_saveexec_b64 s[12:13], s[4:5]
	s_cbranch_execz .LBB371_1361
; %bb.1356:                             ;   in Loop: Header=BB371_683 Depth=1
	v_lshrrev_b32_e32 v2, 24, v3
	v_cmp_ne_u32_e64 s[4:5], s28, v2
	v_bfrev_b32_e32 v6, 1
	s_and_saveexec_b64 s[24:25], s[4:5]
	s_cbranch_execz .LBB371_1360
; %bb.1357:                             ;   in Loop: Header=BB371_683 Depth=1
	v_bfe_u32 v3, v3, 24, 7
	v_cmp_ne_u32_e64 s[4:5], s29, v3
	v_mov_b32_e32 v6, 0x7f800001
	s_and_saveexec_b64 s[26:27], s[4:5]
	s_cbranch_execz .LBB371_1359
; %bb.1358:                             ;   in Loop: Header=BB371_683 Depth=1
	v_and_b32_e32 v6, 7, v2
	v_ffbh_u32_e32 v28, v6
	v_min_u32_e32 v30, 32, v28
	v_subrev_u32_e32 v28, 28, v30
	v_lshlrev_b64 v[28:29], v28, v[2:3]
	v_lshrrev_b32_e32 v10, 3, v3
	v_sub_u32_e32 v29, 29, v30
	v_and_b32_e32 v28, 7, v28
	v_cmp_gt_u32_e64 s[4:5], 8, v3
	v_cndmask_b32_e64 v3, v10, v29, s[4:5]
	v_cndmask_b32_e64 v6, v6, v28, s[4:5]
	v_lshlrev_b32_e32 v2, 24, v2
	v_bfrev_b32_e32 v10, 60
	v_lshlrev_b32_e32 v6, 20, v6
	v_and_b32_e32 v2, 0x80000000, v2
	v_lshl_add_u32 v3, v3, 23, v10
	v_or3_b32 v6, v2, v3, v6
.LBB371_1359:                           ;   in Loop: Header=BB371_683 Depth=1
	s_or_b64 exec, exec, s[26:27]
.LBB371_1360:                           ;   in Loop: Header=BB371_683 Depth=1
	s_or_b64 exec, exec, s[24:25]
.LBB371_1361:                           ;   in Loop: Header=BB371_683 Depth=1
	s_or_b64 exec, exec, s[12:13]
	v_mul_f32_e32 v3, v33, v6
	v_and_b32_e32 v2, 0x7f800000, v3
	v_cmp_ne_u32_e64 s[4:5], s15, v2
                                        ; implicit-def: $vgpr2
	s_and_saveexec_b64 s[12:13], s[4:5]
	s_xor_b64 s[4:5], exec, s[12:13]
; %bb.1362:                             ;   in Loop: Header=BB371_683 Depth=1
	v_bfe_u32 v2, v3, 16, 1
	v_add3_u32 v2, v3, v2, s21
                                        ; implicit-def: $vgpr3
; %bb.1363:                             ;   in Loop: Header=BB371_683 Depth=1
	s_andn2_saveexec_b64 s[12:13], s[4:5]
; %bb.1364:                             ;   in Loop: Header=BB371_683 Depth=1
	v_or_b32_e32 v2, 0x10000, v3
	v_cmp_eq_u32_sdwa s[4:5], v3, v11 src0_sel:WORD_0 src1_sel:DWORD
	v_cndmask_b32_e64 v2, v2, v3, s[4:5]
; %bb.1365:                             ;   in Loop: Header=BB371_683 Depth=1
	s_or_b64 exec, exec, s[12:13]
	v_lshrrev_b32_e32 v6, 16, v8
	v_lshrrev_b32_e32 v8, 16, v22
	;; [unrolled: 1-line block ×8, first 2 shown]
	s_and_saveexec_b64 s[12:13], vcc
	s_cbranch_execz .LBB371_1367
; %bb.1366:                             ;   in Loop: Header=BB371_683 Depth=1
	v_cmp_lt_i32_e64 s[4:5], v36, v32
	v_accvgpr_read_b32 v9, a25
	v_cndmask_b32_e64 v23, 0, v23, s[4:5]
	v_cmp_lt_i32_e64 s[4:5], v9, v32
	v_accvgpr_read_b32 v9, a24
	v_cndmask_b32_e64 v22, 0, v22, s[4:5]
	;; [unrolled: 3-line block ×6, first 2 shown]
	v_cmp_lt_i32_e64 s[4:5], v9, v32
	v_cndmask_b32_e64 v3, 0, v3, s[4:5]
	v_cmp_lt_i32_e64 s[4:5], v17, v32
	v_cndmask_b32_e64 v2, 0, v2, s[4:5]
.LBB371_1367:                           ;   in Loop: Header=BB371_683 Depth=1
	s_or_b64 exec, exec, s[12:13]
	v_lshlrev_b32_e32 v9, 16, v23
	v_mul_f32_e32 v9, v41, v9
	v_and_b32_e32 v23, 0x7f800000, v9
	v_cmp_ne_u32_e64 s[4:5], s15, v23
                                        ; implicit-def: $vgpr29
	s_and_saveexec_b64 s[12:13], s[4:5]
	s_xor_b64 s[4:5], exec, s[12:13]
; %bb.1368:                             ;   in Loop: Header=BB371_683 Depth=1
	v_bfe_u32 v23, v9, 16, 1
	v_add3_u32 v29, v9, v23, s21
                                        ; implicit-def: $vgpr9
; %bb.1369:                             ;   in Loop: Header=BB371_683 Depth=1
	s_andn2_saveexec_b64 s[12:13], s[4:5]
; %bb.1370:                             ;   in Loop: Header=BB371_683 Depth=1
	v_or_b32_e32 v23, 0x10000, v9
	v_cmp_eq_u32_sdwa s[4:5], v9, v11 src0_sel:WORD_0 src1_sel:DWORD
	v_cndmask_b32_e64 v29, v23, v9, s[4:5]
; %bb.1371:                             ;   in Loop: Header=BB371_683 Depth=1
	s_or_b64 exec, exec, s[12:13]
	v_lshlrev_b32_e32 v9, 16, v22
	v_mul_f32_e32 v9, v42, v9
	v_and_b32_e32 v22, 0x7f800000, v9
	v_cmp_ne_u32_e64 s[4:5], s15, v22
                                        ; implicit-def: $vgpr50
	s_and_saveexec_b64 s[12:13], s[4:5]
	s_xor_b64 s[4:5], exec, s[12:13]
; %bb.1372:                             ;   in Loop: Header=BB371_683 Depth=1
	v_bfe_u32 v22, v9, 16, 1
	v_add3_u32 v50, v9, v22, s21
                                        ; implicit-def: $vgpr9
; %bb.1373:                             ;   in Loop: Header=BB371_683 Depth=1
	s_andn2_saveexec_b64 s[12:13], s[4:5]
; %bb.1374:                             ;   in Loop: Header=BB371_683 Depth=1
	v_or_b32_e32 v22, 0x10000, v9
	v_cmp_eq_u32_sdwa s[4:5], v9, v11 src0_sel:WORD_0 src1_sel:DWORD
	v_cndmask_b32_e64 v50, v22, v9, s[4:5]
; %bb.1375:                             ;   in Loop: Header=BB371_683 Depth=1
	s_or_b64 exec, exec, s[12:13]
	v_lshlrev_b32_e32 v9, 16, v10
	v_mul_f32_e32 v9, v43, v9
	v_and_b32_e32 v10, 0x7f800000, v9
	v_cmp_ne_u32_e64 s[4:5], s15, v10
                                        ; implicit-def: $vgpr51
	s_and_saveexec_b64 s[12:13], s[4:5]
	s_xor_b64 s[4:5], exec, s[12:13]
; %bb.1376:                             ;   in Loop: Header=BB371_683 Depth=1
	v_bfe_u32 v10, v9, 16, 1
	v_add3_u32 v51, v9, v10, s21
                                        ; implicit-def: $vgpr9
; %bb.1377:                             ;   in Loop: Header=BB371_683 Depth=1
	s_andn2_saveexec_b64 s[12:13], s[4:5]
; %bb.1378:                             ;   in Loop: Header=BB371_683 Depth=1
	v_or_b32_e32 v10, 0x10000, v9
	v_cmp_eq_u32_sdwa s[4:5], v9, v11 src0_sel:WORD_0 src1_sel:DWORD
	v_cndmask_b32_e64 v51, v10, v9, s[4:5]
; %bb.1379:                             ;   in Loop: Header=BB371_683 Depth=1
	s_or_b64 exec, exec, s[12:13]
	v_lshlrev_b32_e32 v7, 16, v7
	v_mul_f32_e32 v7, v44, v7
	v_and_b32_e32 v9, 0x7f800000, v7
	v_cmp_ne_u32_e64 s[4:5], s15, v9
                                        ; implicit-def: $vgpr52
	s_and_saveexec_b64 s[12:13], s[4:5]
	s_xor_b64 s[4:5], exec, s[12:13]
; %bb.1380:                             ;   in Loop: Header=BB371_683 Depth=1
	v_bfe_u32 v9, v7, 16, 1
	v_add3_u32 v52, v7, v9, s21
                                        ; implicit-def: $vgpr7
; %bb.1381:                             ;   in Loop: Header=BB371_683 Depth=1
	s_andn2_saveexec_b64 s[12:13], s[4:5]
; %bb.1382:                             ;   in Loop: Header=BB371_683 Depth=1
	v_or_b32_e32 v9, 0x10000, v7
	v_cmp_eq_u32_sdwa s[4:5], v7, v11 src0_sel:WORD_0 src1_sel:DWORD
	v_cndmask_b32_e64 v52, v9, v7, s[4:5]
; %bb.1383:                             ;   in Loop: Header=BB371_683 Depth=1
	s_or_b64 exec, exec, s[12:13]
	v_lshlrev_b32_e32 v7, 16, v8
	v_mul_f32_e32 v7, v45, v7
	v_and_b32_e32 v8, 0x7f800000, v7
	v_cmp_ne_u32_e64 s[4:5], s15, v8
                                        ; implicit-def: $vgpr53
	s_and_saveexec_b64 s[12:13], s[4:5]
	s_xor_b64 s[4:5], exec, s[12:13]
; %bb.1384:                             ;   in Loop: Header=BB371_683 Depth=1
	v_bfe_u32 v8, v7, 16, 1
	v_add3_u32 v53, v7, v8, s21
                                        ; implicit-def: $vgpr7
; %bb.1385:                             ;   in Loop: Header=BB371_683 Depth=1
	s_andn2_saveexec_b64 s[12:13], s[4:5]
; %bb.1386:                             ;   in Loop: Header=BB371_683 Depth=1
	v_or_b32_e32 v8, 0x10000, v7
	v_cmp_eq_u32_sdwa s[4:5], v7, v11 src0_sel:WORD_0 src1_sel:DWORD
	v_cndmask_b32_e64 v53, v8, v7, s[4:5]
; %bb.1387:                             ;   in Loop: Header=BB371_683 Depth=1
	s_or_b64 exec, exec, s[12:13]
	v_lshlrev_b32_e32 v6, 16, v6
	v_mul_f32_e32 v6, v46, v6
	v_and_b32_e32 v7, 0x7f800000, v6
	v_cmp_ne_u32_e64 s[4:5], s15, v7
                                        ; implicit-def: $vgpr54
	s_and_saveexec_b64 s[12:13], s[4:5]
	s_xor_b64 s[4:5], exec, s[12:13]
; %bb.1388:                             ;   in Loop: Header=BB371_683 Depth=1
	v_bfe_u32 v7, v6, 16, 1
	v_add3_u32 v54, v6, v7, s21
                                        ; implicit-def: $vgpr6
; %bb.1389:                             ;   in Loop: Header=BB371_683 Depth=1
	s_andn2_saveexec_b64 s[12:13], s[4:5]
; %bb.1390:                             ;   in Loop: Header=BB371_683 Depth=1
	v_or_b32_e32 v7, 0x10000, v6
	v_cmp_eq_u32_sdwa s[4:5], v6, v11 src0_sel:WORD_0 src1_sel:DWORD
	v_cndmask_b32_e64 v54, v7, v6, s[4:5]
; %bb.1391:                             ;   in Loop: Header=BB371_683 Depth=1
	s_or_b64 exec, exec, s[12:13]
	v_lshlrev_b32_e32 v3, 16, v3
	v_mul_f32_e32 v3, v47, v3
	v_and_b32_e32 v6, 0x7f800000, v3
	v_cmp_ne_u32_e64 s[4:5], s15, v6
                                        ; implicit-def: $vgpr55
	s_and_saveexec_b64 s[12:13], s[4:5]
	s_xor_b64 s[4:5], exec, s[12:13]
; %bb.1392:                             ;   in Loop: Header=BB371_683 Depth=1
	v_bfe_u32 v6, v3, 16, 1
	v_add3_u32 v55, v3, v6, s21
                                        ; implicit-def: $vgpr3
; %bb.1393:                             ;   in Loop: Header=BB371_683 Depth=1
	s_andn2_saveexec_b64 s[12:13], s[4:5]
; %bb.1394:                             ;   in Loop: Header=BB371_683 Depth=1
	v_or_b32_e32 v6, 0x10000, v3
	v_cmp_eq_u32_sdwa s[4:5], v3, v11 src0_sel:WORD_0 src1_sel:DWORD
	v_cndmask_b32_e64 v55, v6, v3, s[4:5]
; %bb.1395:                             ;   in Loop: Header=BB371_683 Depth=1
	s_or_b64 exec, exec, s[12:13]
	v_lshlrev_b32_e32 v2, 16, v2
	v_mul_f32_e32 v2, v56, v2
	v_and_b32_e32 v3, 0x7f800000, v2
	v_cmp_ne_u32_e64 s[4:5], s15, v3
                                        ; implicit-def: $vgpr40
	s_and_saveexec_b64 s[12:13], s[4:5]
	s_xor_b64 s[4:5], exec, s[12:13]
; %bb.1396:                             ;   in Loop: Header=BB371_683 Depth=1
	v_bfe_u32 v3, v2, 16, 1
	v_add3_u32 v40, v2, v3, s21
                                        ; implicit-def: $vgpr2
; %bb.1397:                             ;   in Loop: Header=BB371_683 Depth=1
	s_andn2_saveexec_b64 s[12:13], s[4:5]
; %bb.1398:                             ;   in Loop: Header=BB371_683 Depth=1
	v_or_b32_e32 v3, 0x10000, v2
	v_cmp_eq_u32_sdwa s[4:5], v2, v11 src0_sel:WORD_0 src1_sel:DWORD
	v_cndmask_b32_e64 v40, v3, v2, s[4:5]
; %bb.1399:                             ;   in Loop: Header=BB371_683 Depth=1
	s_or_b64 exec, exec, s[12:13]
	flat_load_dwordx2 v[2:3], v[0:1] offset:3072
	v_mov_b32_e32 v6, 0
	s_waitcnt vmcnt(0) lgkmcnt(0)
	v_cmp_ne_u16_sdwa s[4:5], v2, v11 src0_sel:BYTE_0 src1_sel:DWORD
	s_and_saveexec_b64 s[12:13], s[4:5]
	s_cbranch_execz .LBB371_1405
; %bb.1400:                             ;   in Loop: Header=BB371_683 Depth=1
	v_cmp_ne_u16_sdwa s[4:5], v2, s28 src0_sel:BYTE_0 src1_sel:DWORD
	v_bfrev_b32_e32 v6, 1
	s_and_saveexec_b64 s[24:25], s[4:5]
	s_cbranch_execz .LBB371_1404
; %bb.1401:                             ;   in Loop: Header=BB371_683 Depth=1
	v_and_b32_e32 v7, 0x7f, v2
	v_cmp_ne_u32_e64 s[4:5], s29, v7
	v_mov_b32_e32 v6, 0x7f800001
	s_and_saveexec_b64 s[26:27], s[4:5]
	s_cbranch_execz .LBB371_1403
; %bb.1402:                             ;   in Loop: Header=BB371_683 Depth=1
	v_and_b32_e32 v6, 7, v2
	v_ffbh_u32_e32 v6, v6
	v_min_u32_e32 v6, 32, v6
	v_lshrrev_b32_e32 v8, 3, v7
	v_subrev_u32_e32 v9, 28, v6
	v_sub_u32_e32 v6, 29, v6
	v_cmp_gt_u32_e64 s[4:5], 8, v7
	v_cndmask_b32_e64 v8, v8, v6, s[4:5]
	v_cndmask_b32_e64 v6, 0, v9, s[4:5]
	v_lshlrev_b64 v[6:7], v6, v[2:3]
	v_lshlrev_b32_e32 v6, 20, v6
	v_lshlrev_b32_e32 v7, 24, v2
	v_bfrev_b32_e32 v9, 60
	v_and_b32_e32 v6, 0x700000, v6
	v_and_b32_e32 v7, 0x80000000, v7
	v_lshl_add_u32 v8, v8, 23, v9
	v_or3_b32 v6, v7, v8, v6
.LBB371_1403:                           ;   in Loop: Header=BB371_683 Depth=1
	s_or_b64 exec, exec, s[26:27]
.LBB371_1404:                           ;   in Loop: Header=BB371_683 Depth=1
	s_or_b64 exec, exec, s[24:25]
.LBB371_1405:                           ;   in Loop: Header=BB371_683 Depth=1
	s_or_b64 exec, exec, s[12:13]
	v_mul_f32_e32 v6, v33, v6
	v_and_b32_e32 v7, 0x7f800000, v6
	v_cmp_ne_u32_e64 s[4:5], s15, v7
                                        ; implicit-def: $vgpr23
	s_and_saveexec_b64 s[12:13], s[4:5]
	s_xor_b64 s[4:5], exec, s[12:13]
; %bb.1406:                             ;   in Loop: Header=BB371_683 Depth=1
	v_bfe_u32 v7, v6, 16, 1
	v_add3_u32 v23, v6, v7, s21
                                        ; implicit-def: $vgpr6
; %bb.1407:                             ;   in Loop: Header=BB371_683 Depth=1
	s_andn2_saveexec_b64 s[12:13], s[4:5]
; %bb.1408:                             ;   in Loop: Header=BB371_683 Depth=1
	v_or_b32_e32 v7, 0x10000, v6
	v_cmp_eq_u32_sdwa s[4:5], v6, v11 src0_sel:WORD_0 src1_sel:DWORD
	v_cndmask_b32_e64 v23, v7, v6, s[4:5]
; %bb.1409:                             ;   in Loop: Header=BB371_683 Depth=1
	s_or_b64 exec, exec, s[12:13]
	v_lshrrev_b16_e32 v6, 8, v2
	v_cmp_ne_u16_e64 s[4:5], 0, v6
	v_mov_b32_e32 v7, 0
	s_and_saveexec_b64 s[12:13], s[4:5]
	s_cbranch_execz .LBB371_1415
; %bb.1410:                             ;   in Loop: Header=BB371_683 Depth=1
	v_cmp_ne_u16_e64 s[4:5], s28, v6
	v_bfrev_b32_e32 v7, 1
	s_and_saveexec_b64 s[24:25], s[4:5]
	s_cbranch_execz .LBB371_1414
; %bb.1411:                             ;   in Loop: Header=BB371_683 Depth=1
	v_and_b32_e32 v8, 0x7f, v6
	v_cmp_ne_u32_e64 s[4:5], s29, v8
	v_mov_b32_e32 v7, 0x7f800001
	s_and_saveexec_b64 s[26:27], s[4:5]
	s_cbranch_execz .LBB371_1413
; %bb.1412:                             ;   in Loop: Header=BB371_683 Depth=1
	v_and_b32_e32 v9, 7, v6
	v_ffbh_u32_e32 v7, v9
	v_min_u32_e32 v22, 32, v7
	v_subrev_u32_e32 v7, 28, v22
	v_lshlrev_b64 v[6:7], v7, v[6:7]
	v_lshrrev_b32_e32 v10, 3, v8
	v_sub_u32_e32 v7, 29, v22
	v_and_b32_e32 v6, 7, v6
	v_cmp_gt_u32_e64 s[4:5], 8, v8
	v_cndmask_b32_e64 v7, v10, v7, s[4:5]
	v_cndmask_b32_e64 v6, v9, v6, s[4:5]
	v_lshlrev_b32_e32 v8, 16, v2
	v_bfrev_b32_e32 v9, 60
	v_lshlrev_b32_e32 v6, 20, v6
	v_and_b32_e32 v8, 0x80000000, v8
	v_lshl_add_u32 v7, v7, 23, v9
	v_or3_b32 v7, v8, v7, v6
.LBB371_1413:                           ;   in Loop: Header=BB371_683 Depth=1
	s_or_b64 exec, exec, s[26:27]
.LBB371_1414:                           ;   in Loop: Header=BB371_683 Depth=1
	s_or_b64 exec, exec, s[24:25]
.LBB371_1415:                           ;   in Loop: Header=BB371_683 Depth=1
	s_or_b64 exec, exec, s[12:13]
	v_mul_f32_e32 v6, v33, v7
	v_and_b32_e32 v7, 0x7f800000, v6
	v_cmp_ne_u32_e64 s[4:5], s15, v7
                                        ; implicit-def: $vgpr26
	s_and_saveexec_b64 s[12:13], s[4:5]
	s_xor_b64 s[4:5], exec, s[12:13]
; %bb.1416:                             ;   in Loop: Header=BB371_683 Depth=1
	v_bfe_u32 v7, v6, 16, 1
	v_add3_u32 v26, v6, v7, s21
                                        ; implicit-def: $vgpr6
; %bb.1417:                             ;   in Loop: Header=BB371_683 Depth=1
	s_andn2_saveexec_b64 s[12:13], s[4:5]
; %bb.1418:                             ;   in Loop: Header=BB371_683 Depth=1
	v_or_b32_e32 v7, 0x10000, v6
	v_cmp_eq_u32_sdwa s[4:5], v6, v11 src0_sel:WORD_0 src1_sel:DWORD
	v_cndmask_b32_e64 v26, v7, v6, s[4:5]
; %bb.1419:                             ;   in Loop: Header=BB371_683 Depth=1
	s_or_b64 exec, exec, s[12:13]
	v_lshrrev_b32_e32 v6, 16, v2
	v_cmp_ne_u16_sdwa s[4:5], v6, v11 src0_sel:BYTE_0 src1_sel:DWORD
	v_mov_b32_e32 v7, 0
	s_and_saveexec_b64 s[12:13], s[4:5]
	s_cbranch_execz .LBB371_1425
; %bb.1420:                             ;   in Loop: Header=BB371_683 Depth=1
	v_cmp_ne_u16_sdwa s[4:5], v6, s28 src0_sel:BYTE_0 src1_sel:DWORD
	v_bfrev_b32_e32 v7, 1
	s_and_saveexec_b64 s[24:25], s[4:5]
	s_cbranch_execz .LBB371_1424
; %bb.1421:                             ;   in Loop: Header=BB371_683 Depth=1
	v_bfe_u32 v8, v2, 16, 7
	v_cmp_ne_u32_e64 s[4:5], s29, v8
	v_mov_b32_e32 v7, 0x7f800001
	s_and_saveexec_b64 s[26:27], s[4:5]
	s_cbranch_execz .LBB371_1423
; %bb.1422:                             ;   in Loop: Header=BB371_683 Depth=1
	v_and_b32_e32 v7, 7, v6
	v_ffbh_u32_e32 v10, v7
	v_min_u32_e32 v10, 32, v10
	v_subrev_u32_e32 v22, 28, v10
	v_lshlrev_b64 v[30:31], v22, v[6:7]
	v_lshrrev_b32_e32 v9, 3, v8
	v_sub_u32_e32 v10, 29, v10
	v_and_b32_e32 v22, 7, v30
	v_cmp_gt_u32_e64 s[4:5], 8, v8
	v_cndmask_b32_e64 v8, v9, v10, s[4:5]
	v_cndmask_b32_e64 v7, v7, v22, s[4:5]
	v_lshlrev_b32_e32 v6, 24, v6
	v_bfrev_b32_e32 v9, 60
	v_lshlrev_b32_e32 v7, 20, v7
	v_and_b32_e32 v6, 0x80000000, v6
	v_lshl_add_u32 v8, v8, 23, v9
	v_or3_b32 v7, v6, v8, v7
.LBB371_1423:                           ;   in Loop: Header=BB371_683 Depth=1
	s_or_b64 exec, exec, s[26:27]
.LBB371_1424:                           ;   in Loop: Header=BB371_683 Depth=1
	s_or_b64 exec, exec, s[24:25]
.LBB371_1425:                           ;   in Loop: Header=BB371_683 Depth=1
	s_or_b64 exec, exec, s[12:13]
	v_mul_f32_e32 v6, v33, v7
	v_and_b32_e32 v7, 0x7f800000, v6
	v_cmp_ne_u32_e64 s[4:5], s15, v7
                                        ; implicit-def: $vgpr27
	s_and_saveexec_b64 s[12:13], s[4:5]
	s_xor_b64 s[4:5], exec, s[12:13]
; %bb.1426:                             ;   in Loop: Header=BB371_683 Depth=1
	v_bfe_u32 v7, v6, 16, 1
	v_add3_u32 v27, v6, v7, s21
                                        ; implicit-def: $vgpr6
; %bb.1427:                             ;   in Loop: Header=BB371_683 Depth=1
	s_andn2_saveexec_b64 s[12:13], s[4:5]
; %bb.1428:                             ;   in Loop: Header=BB371_683 Depth=1
	v_or_b32_e32 v7, 0x10000, v6
	v_cmp_eq_u32_sdwa s[4:5], v6, v11 src0_sel:WORD_0 src1_sel:DWORD
	v_cndmask_b32_e64 v27, v7, v6, s[4:5]
; %bb.1429:                             ;   in Loop: Header=BB371_683 Depth=1
	s_or_b64 exec, exec, s[12:13]
	v_cmp_lt_u32_e64 s[4:5], s9, v2
	v_mov_b32_e32 v7, 0
	s_and_saveexec_b64 s[12:13], s[4:5]
	s_cbranch_execz .LBB371_1435
; %bb.1430:                             ;   in Loop: Header=BB371_683 Depth=1
	v_lshrrev_b32_e32 v6, 24, v2
	v_cmp_ne_u32_e64 s[4:5], s28, v6
	v_bfrev_b32_e32 v7, 1
	s_and_saveexec_b64 s[24:25], s[4:5]
	s_cbranch_execz .LBB371_1434
; %bb.1431:                             ;   in Loop: Header=BB371_683 Depth=1
	v_bfe_u32 v8, v2, 24, 7
	v_cmp_ne_u32_e64 s[4:5], s29, v8
	v_mov_b32_e32 v7, 0x7f800001
	s_and_saveexec_b64 s[26:27], s[4:5]
	s_cbranch_execz .LBB371_1433
; %bb.1432:                             ;   in Loop: Header=BB371_683 Depth=1
	v_and_b32_e32 v7, 7, v6
	v_ffbh_u32_e32 v10, v7
	v_min_u32_e32 v10, 32, v10
	v_subrev_u32_e32 v22, 28, v10
	v_lshlrev_b64 v[30:31], v22, v[6:7]
	v_lshrrev_b32_e32 v9, 3, v8
	v_sub_u32_e32 v10, 29, v10
	v_and_b32_e32 v22, 7, v30
	v_cmp_gt_u32_e64 s[4:5], 8, v8
	v_cndmask_b32_e64 v8, v9, v10, s[4:5]
	v_cndmask_b32_e64 v7, v7, v22, s[4:5]
	v_lshlrev_b32_e32 v6, 24, v6
	v_bfrev_b32_e32 v9, 60
	v_lshlrev_b32_e32 v7, 20, v7
	v_and_b32_e32 v6, 0x80000000, v6
	v_lshl_add_u32 v8, v8, 23, v9
	v_or3_b32 v7, v6, v8, v7
.LBB371_1433:                           ;   in Loop: Header=BB371_683 Depth=1
	s_or_b64 exec, exec, s[26:27]
.LBB371_1434:                           ;   in Loop: Header=BB371_683 Depth=1
	s_or_b64 exec, exec, s[24:25]
.LBB371_1435:                           ;   in Loop: Header=BB371_683 Depth=1
	s_or_b64 exec, exec, s[12:13]
	v_mul_f32_e32 v6, v33, v7
	v_and_b32_e32 v7, 0x7f800000, v6
	v_cmp_ne_u32_e64 s[4:5], s15, v7
                                        ; implicit-def: $vgpr7
	s_and_saveexec_b64 s[12:13], s[4:5]
	s_xor_b64 s[4:5], exec, s[12:13]
; %bb.1436:                             ;   in Loop: Header=BB371_683 Depth=1
	v_bfe_u32 v7, v6, 16, 1
	v_add3_u32 v7, v6, v7, s21
                                        ; implicit-def: $vgpr6
; %bb.1437:                             ;   in Loop: Header=BB371_683 Depth=1
	s_andn2_saveexec_b64 s[12:13], s[4:5]
; %bb.1438:                             ;   in Loop: Header=BB371_683 Depth=1
	v_or_b32_e32 v7, 0x10000, v6
	v_cmp_eq_u32_sdwa s[4:5], v6, v11 src0_sel:WORD_0 src1_sel:DWORD
	v_cndmask_b32_e64 v7, v7, v6, s[4:5]
; %bb.1439:                             ;   in Loop: Header=BB371_683 Depth=1
	s_or_b64 exec, exec, s[12:13]
	v_mov_b32_e32 v10, v3
	v_cmp_ne_u16_sdwa s[4:5], v3, v11 src0_sel:BYTE_0 src1_sel:DWORD
	v_mov_b32_e32 v6, 0
	s_and_saveexec_b64 s[12:13], s[4:5]
	s_cbranch_execz .LBB371_1445
; %bb.1440:                             ;   in Loop: Header=BB371_683 Depth=1
	v_cmp_ne_u16_sdwa s[4:5], v3, s28 src0_sel:BYTE_0 src1_sel:DWORD
	v_bfrev_b32_e32 v6, 1
	s_and_saveexec_b64 s[24:25], s[4:5]
	s_cbranch_execz .LBB371_1444
; %bb.1441:                             ;   in Loop: Header=BB371_683 Depth=1
	v_and_b32_e32 v8, 0x7f, v3
	v_cmp_ne_u32_e64 s[4:5], s29, v8
	v_mov_b32_e32 v6, 0x7f800001
	s_and_saveexec_b64 s[26:27], s[4:5]
	s_cbranch_execz .LBB371_1443
; %bb.1442:                             ;   in Loop: Header=BB371_683 Depth=1
	v_and_b32_e32 v6, 7, v3
	v_ffbh_u32_e32 v6, v6
	v_min_u32_e32 v6, 32, v6
	v_subrev_u32_e32 v22, 28, v6
	v_cmp_gt_u32_e64 s[4:5], 8, v8
	v_lshrrev_b32_e32 v9, 3, v8
	v_sub_u32_e32 v6, 29, v6
	v_cndmask_b32_e64 v8, 0, v22, s[4:5]
	v_cndmask_b32_e64 v6, v9, v6, s[4:5]
	v_lshlrev_b64 v[8:9], v8, v[10:11]
	v_lshlrev_b32_e32 v8, 20, v8
	v_lshlrev_b32_e32 v9, 24, v10
	v_bfrev_b32_e32 v22, 60
	v_and_b32_e32 v8, 0x700000, v8
	v_and_b32_e32 v9, 0x80000000, v9
	v_lshl_add_u32 v6, v6, 23, v22
	v_or3_b32 v6, v9, v6, v8
.LBB371_1443:                           ;   in Loop: Header=BB371_683 Depth=1
	s_or_b64 exec, exec, s[26:27]
.LBB371_1444:                           ;   in Loop: Header=BB371_683 Depth=1
	s_or_b64 exec, exec, s[24:25]
.LBB371_1445:                           ;   in Loop: Header=BB371_683 Depth=1
	s_or_b64 exec, exec, s[12:13]
	v_mul_f32_e32 v6, v33, v6
	v_and_b32_e32 v8, 0x7f800000, v6
	v_cmp_ne_u32_e64 s[4:5], s15, v8
                                        ; implicit-def: $vgpr22
	s_and_saveexec_b64 s[12:13], s[4:5]
	s_xor_b64 s[4:5], exec, s[12:13]
; %bb.1446:                             ;   in Loop: Header=BB371_683 Depth=1
	v_bfe_u32 v8, v6, 16, 1
	v_add3_u32 v22, v6, v8, s21
                                        ; implicit-def: $vgpr6
; %bb.1447:                             ;   in Loop: Header=BB371_683 Depth=1
	s_andn2_saveexec_b64 s[12:13], s[4:5]
; %bb.1448:                             ;   in Loop: Header=BB371_683 Depth=1
	v_or_b32_e32 v8, 0x10000, v6
	v_cmp_eq_u32_sdwa s[4:5], v6, v11 src0_sel:WORD_0 src1_sel:DWORD
	v_cndmask_b32_e64 v22, v8, v6, s[4:5]
; %bb.1449:                             ;   in Loop: Header=BB371_683 Depth=1
	s_or_b64 exec, exec, s[12:13]
	v_lshrrev_b16_e32 v6, 8, v10
	v_cmp_ne_u16_e64 s[4:5], 0, v6
	v_mov_b32_e32 v8, 0
	s_and_saveexec_b64 s[12:13], s[4:5]
	s_cbranch_execz .LBB371_1455
; %bb.1450:                             ;   in Loop: Header=BB371_683 Depth=1
	v_cmp_ne_u16_e64 s[4:5], s28, v6
	v_bfrev_b32_e32 v8, 1
	s_and_saveexec_b64 s[24:25], s[4:5]
	s_cbranch_execz .LBB371_1454
; %bb.1451:                             ;   in Loop: Header=BB371_683 Depth=1
	v_and_b32_e32 v9, 0x7f, v6
	v_cmp_ne_u32_e64 s[4:5], s29, v9
	v_mov_b32_e32 v8, 0x7f800001
	s_and_saveexec_b64 s[26:27], s[4:5]
	s_cbranch_execz .LBB371_1453
; %bb.1452:                             ;   in Loop: Header=BB371_683 Depth=1
	v_and_b32_e32 v8, 7, v6
	v_ffbh_u32_e32 v30, v8
	v_min_u32_e32 v34, 32, v30
	v_subrev_u32_e32 v30, 28, v34
	v_lshlrev_b64 v[30:31], v30, v[6:7]
	v_lshrrev_b32_e32 v28, 3, v9
	v_sub_u32_e32 v6, 29, v34
	v_and_b32_e32 v30, 7, v30
	v_cmp_gt_u32_e64 s[4:5], 8, v9
	v_cndmask_b32_e64 v6, v28, v6, s[4:5]
	v_cndmask_b32_e64 v8, v8, v30, s[4:5]
	v_lshlrev_b32_e32 v9, 16, v10
	v_bfrev_b32_e32 v10, 60
	v_lshlrev_b32_e32 v8, 20, v8
	v_and_b32_e32 v9, 0x80000000, v9
	v_lshl_add_u32 v6, v6, 23, v10
	v_or3_b32 v8, v9, v6, v8
.LBB371_1453:                           ;   in Loop: Header=BB371_683 Depth=1
	s_or_b64 exec, exec, s[26:27]
.LBB371_1454:                           ;   in Loop: Header=BB371_683 Depth=1
	s_or_b64 exec, exec, s[24:25]
.LBB371_1455:                           ;   in Loop: Header=BB371_683 Depth=1
	s_or_b64 exec, exec, s[12:13]
	v_mul_f32_e32 v6, v33, v8
	v_and_b32_e32 v8, 0x7f800000, v6
	v_cmp_ne_u32_e64 s[4:5], s15, v8
                                        ; implicit-def: $vgpr8
	s_and_saveexec_b64 s[12:13], s[4:5]
	s_xor_b64 s[4:5], exec, s[12:13]
; %bb.1456:                             ;   in Loop: Header=BB371_683 Depth=1
	v_bfe_u32 v8, v6, 16, 1
	v_add3_u32 v8, v6, v8, s21
                                        ; implicit-def: $vgpr6
; %bb.1457:                             ;   in Loop: Header=BB371_683 Depth=1
	s_andn2_saveexec_b64 s[12:13], s[4:5]
; %bb.1458:                             ;   in Loop: Header=BB371_683 Depth=1
	v_or_b32_e32 v8, 0x10000, v6
	v_cmp_eq_u32_sdwa s[4:5], v6, v11 src0_sel:WORD_0 src1_sel:DWORD
	v_cndmask_b32_e64 v8, v8, v6, s[4:5]
; %bb.1459:                             ;   in Loop: Header=BB371_683 Depth=1
	s_or_b64 exec, exec, s[12:13]
	v_lshrrev_b32_e32 v6, 16, v3
	v_cmp_ne_u16_sdwa s[4:5], v6, v11 src0_sel:BYTE_0 src1_sel:DWORD
	v_mov_b32_e32 v9, 0
	s_and_saveexec_b64 s[12:13], s[4:5]
	s_cbranch_execz .LBB371_1465
; %bb.1460:                             ;   in Loop: Header=BB371_683 Depth=1
	v_cmp_ne_u16_sdwa s[4:5], v6, s28 src0_sel:BYTE_0 src1_sel:DWORD
	v_bfrev_b32_e32 v9, 1
	s_and_saveexec_b64 s[24:25], s[4:5]
	s_cbranch_execz .LBB371_1464
; %bb.1461:                             ;   in Loop: Header=BB371_683 Depth=1
	v_bfe_u32 v10, v3, 16, 7
	v_cmp_ne_u32_e64 s[4:5], s29, v10
	v_mov_b32_e32 v9, 0x7f800001
	s_and_saveexec_b64 s[26:27], s[4:5]
	s_cbranch_execz .LBB371_1463
; %bb.1462:                             ;   in Loop: Header=BB371_683 Depth=1
	v_and_b32_e32 v9, 7, v6
	v_ffbh_u32_e32 v30, v9
	v_min_u32_e32 v34, 32, v30
	v_subrev_u32_e32 v30, 28, v34
	v_lshlrev_b64 v[30:31], v30, v[6:7]
	v_lshrrev_b32_e32 v28, 3, v10
	v_sub_u32_e32 v31, 29, v34
	v_and_b32_e32 v30, 7, v30
	v_cmp_gt_u32_e64 s[4:5], 8, v10
	v_cndmask_b32_e64 v10, v28, v31, s[4:5]
	v_cndmask_b32_e64 v9, v9, v30, s[4:5]
	v_lshlrev_b32_e32 v6, 24, v6
	v_bfrev_b32_e32 v28, 60
	v_lshlrev_b32_e32 v9, 20, v9
	v_and_b32_e32 v6, 0x80000000, v6
	v_lshl_add_u32 v10, v10, 23, v28
	v_or3_b32 v9, v6, v10, v9
.LBB371_1463:                           ;   in Loop: Header=BB371_683 Depth=1
	s_or_b64 exec, exec, s[26:27]
.LBB371_1464:                           ;   in Loop: Header=BB371_683 Depth=1
	s_or_b64 exec, exec, s[24:25]
.LBB371_1465:                           ;   in Loop: Header=BB371_683 Depth=1
	s_or_b64 exec, exec, s[12:13]
	v_mul_f32_e32 v9, v33, v9
	v_and_b32_e32 v6, 0x7f800000, v9
	v_cmp_ne_u32_e64 s[4:5], s15, v6
                                        ; implicit-def: $vgpr6
	s_and_saveexec_b64 s[12:13], s[4:5]
	s_xor_b64 s[4:5], exec, s[12:13]
; %bb.1466:                             ;   in Loop: Header=BB371_683 Depth=1
	v_bfe_u32 v6, v9, 16, 1
	v_add3_u32 v6, v9, v6, s21
                                        ; implicit-def: $vgpr9
; %bb.1467:                             ;   in Loop: Header=BB371_683 Depth=1
	s_andn2_saveexec_b64 s[12:13], s[4:5]
; %bb.1468:                             ;   in Loop: Header=BB371_683 Depth=1
	v_or_b32_e32 v6, 0x10000, v9
	v_cmp_eq_u32_sdwa s[4:5], v9, v11 src0_sel:WORD_0 src1_sel:DWORD
	v_cndmask_b32_e64 v6, v6, v9, s[4:5]
; %bb.1469:                             ;   in Loop: Header=BB371_683 Depth=1
	s_or_b64 exec, exec, s[12:13]
	v_cmp_lt_u64_e64 s[4:5], s[8:9], v[2:3]
	v_mov_b32_e32 v9, 0
	s_and_saveexec_b64 s[12:13], s[4:5]
	s_cbranch_execz .LBB371_1475
; %bb.1470:                             ;   in Loop: Header=BB371_683 Depth=1
	v_lshrrev_b32_e32 v2, 24, v3
	v_cmp_ne_u32_e64 s[4:5], s28, v2
	v_bfrev_b32_e32 v9, 1
	s_and_saveexec_b64 s[24:25], s[4:5]
	s_cbranch_execz .LBB371_1474
; %bb.1471:                             ;   in Loop: Header=BB371_683 Depth=1
	v_bfe_u32 v3, v3, 24, 7
	v_cmp_ne_u32_e64 s[4:5], s29, v3
	v_mov_b32_e32 v9, 0x7f800001
	s_and_saveexec_b64 s[26:27], s[4:5]
	s_cbranch_execz .LBB371_1473
; %bb.1472:                             ;   in Loop: Header=BB371_683 Depth=1
	v_and_b32_e32 v9, 7, v2
	v_ffbh_u32_e32 v28, v9
	v_min_u32_e32 v28, 32, v28
	v_subrev_u32_e32 v30, 28, v28
	v_lshlrev_b64 v[30:31], v30, v[2:3]
	v_lshrrev_b32_e32 v10, 3, v3
	v_sub_u32_e32 v28, 29, v28
	v_and_b32_e32 v30, 7, v30
	v_cmp_gt_u32_e64 s[4:5], 8, v3
	v_cndmask_b32_e64 v3, v10, v28, s[4:5]
	v_cndmask_b32_e64 v9, v9, v30, s[4:5]
	v_lshlrev_b32_e32 v2, 24, v2
	v_bfrev_b32_e32 v10, 60
	v_lshlrev_b32_e32 v9, 20, v9
	v_and_b32_e32 v2, 0x80000000, v2
	v_lshl_add_u32 v3, v3, 23, v10
	v_or3_b32 v9, v2, v3, v9
.LBB371_1473:                           ;   in Loop: Header=BB371_683 Depth=1
	s_or_b64 exec, exec, s[26:27]
.LBB371_1474:                           ;   in Loop: Header=BB371_683 Depth=1
	s_or_b64 exec, exec, s[24:25]
.LBB371_1475:                           ;   in Loop: Header=BB371_683 Depth=1
	s_or_b64 exec, exec, s[12:13]
	v_mul_f32_e32 v3, v33, v9
	v_and_b32_e32 v2, 0x7f800000, v3
	v_cmp_ne_u32_e64 s[4:5], s15, v2
                                        ; implicit-def: $vgpr2
	s_and_saveexec_b64 s[12:13], s[4:5]
	s_xor_b64 s[4:5], exec, s[12:13]
; %bb.1476:                             ;   in Loop: Header=BB371_683 Depth=1
	v_bfe_u32 v2, v3, 16, 1
	v_add3_u32 v2, v3, v2, s21
                                        ; implicit-def: $vgpr3
; %bb.1477:                             ;   in Loop: Header=BB371_683 Depth=1
	s_andn2_saveexec_b64 s[12:13], s[4:5]
; %bb.1478:                             ;   in Loop: Header=BB371_683 Depth=1
	v_or_b32_e32 v2, 0x10000, v3
	v_cmp_eq_u32_sdwa s[4:5], v3, v11 src0_sel:WORD_0 src1_sel:DWORD
	v_cndmask_b32_e64 v2, v2, v3, s[4:5]
; %bb.1479:                             ;   in Loop: Header=BB371_683 Depth=1
	s_or_b64 exec, exec, s[12:13]
	v_lshrrev_b32_e32 v8, 16, v8
	v_lshrrev_b32_e32 v9, 16, v22
	v_lshrrev_b32_e32 v10, 16, v7
	v_lshrrev_b32_e32 v22, 16, v27
	v_lshrrev_b32_e32 v26, 16, v26
	v_lshrrev_b32_e32 v3, 16, v23
	v_lshrrev_b32_e32 v7, 16, v6
	v_lshrrev_b32_e32 v2, 16, v2
	s_and_saveexec_b64 s[12:13], vcc
	s_cbranch_execz .LBB371_1481
; %bb.1480:                             ;   in Loop: Header=BB371_683 Depth=1
	v_cmp_lt_i32_e64 s[4:5], v36, v32
	v_accvgpr_read_b32 v6, a25
	v_cndmask_b32_e64 v3, 0, v3, s[4:5]
	v_cmp_lt_i32_e64 s[4:5], v6, v32
	v_accvgpr_read_b32 v6, a24
	v_cndmask_b32_e64 v26, 0, v26, s[4:5]
	;; [unrolled: 3-line block ×6, first 2 shown]
	v_cmp_lt_i32_e64 s[4:5], v6, v32
	v_cndmask_b32_e64 v7, 0, v7, s[4:5]
	v_cmp_lt_i32_e64 s[4:5], v17, v32
	v_cndmask_b32_e64 v2, 0, v2, s[4:5]
.LBB371_1481:                           ;   in Loop: Header=BB371_683 Depth=1
	s_or_b64 exec, exec, s[12:13]
	v_lshlrev_b32_e32 v3, 16, v3
	v_mul_f32_e32 v6, v41, v3
	v_and_b32_e32 v3, 0x7f800000, v6
	v_cmp_ne_u32_e64 s[4:5], s15, v3
                                        ; implicit-def: $vgpr3
	s_and_saveexec_b64 s[12:13], s[4:5]
	s_xor_b64 s[4:5], exec, s[12:13]
; %bb.1482:                             ;   in Loop: Header=BB371_683 Depth=1
	v_bfe_u32 v3, v6, 16, 1
	v_add3_u32 v3, v6, v3, s21
                                        ; implicit-def: $vgpr6
; %bb.1483:                             ;   in Loop: Header=BB371_683 Depth=1
	s_andn2_saveexec_b64 s[12:13], s[4:5]
; %bb.1484:                             ;   in Loop: Header=BB371_683 Depth=1
	v_or_b32_e32 v3, 0x10000, v6
	v_cmp_eq_u32_sdwa s[4:5], v6, v11 src0_sel:WORD_0 src1_sel:DWORD
	v_cndmask_b32_e64 v3, v3, v6, s[4:5]
; %bb.1485:                             ;   in Loop: Header=BB371_683 Depth=1
	s_or_b64 exec, exec, s[12:13]
	v_lshlrev_b32_e32 v6, 16, v26
	v_mul_f32_e32 v23, v42, v6
	v_and_b32_e32 v6, 0x7f800000, v23
	v_cmp_ne_u32_e64 s[4:5], s15, v6
                                        ; implicit-def: $vgpr6
	s_and_saveexec_b64 s[12:13], s[4:5]
	s_xor_b64 s[4:5], exec, s[12:13]
; %bb.1486:                             ;   in Loop: Header=BB371_683 Depth=1
	v_bfe_u32 v6, v23, 16, 1
	v_add3_u32 v6, v23, v6, s21
                                        ; implicit-def: $vgpr23
; %bb.1487:                             ;   in Loop: Header=BB371_683 Depth=1
	s_andn2_saveexec_b64 s[12:13], s[4:5]
; %bb.1488:                             ;   in Loop: Header=BB371_683 Depth=1
	v_or_b32_e32 v6, 0x10000, v23
	v_cmp_eq_u32_sdwa s[4:5], v23, v11 src0_sel:WORD_0 src1_sel:DWORD
	v_cndmask_b32_e64 v6, v6, v23, s[4:5]
; %bb.1489:                             ;   in Loop: Header=BB371_683 Depth=1
	s_or_b64 exec, exec, s[12:13]
	v_lshlrev_b32_e32 v22, 16, v22
	v_mul_f32_e32 v22, v43, v22
	v_and_b32_e32 v23, 0x7f800000, v22
	v_cmp_ne_u32_e64 s[4:5], s15, v23
                                        ; implicit-def: $vgpr31
	s_and_saveexec_b64 s[12:13], s[4:5]
	s_xor_b64 s[4:5], exec, s[12:13]
; %bb.1490:                             ;   in Loop: Header=BB371_683 Depth=1
	v_bfe_u32 v23, v22, 16, 1
	v_add3_u32 v31, v22, v23, s21
                                        ; implicit-def: $vgpr22
; %bb.1491:                             ;   in Loop: Header=BB371_683 Depth=1
	s_andn2_saveexec_b64 s[12:13], s[4:5]
; %bb.1492:                             ;   in Loop: Header=BB371_683 Depth=1
	v_or_b32_e32 v23, 0x10000, v22
	v_cmp_eq_u32_sdwa s[4:5], v22, v11 src0_sel:WORD_0 src1_sel:DWORD
	v_cndmask_b32_e64 v31, v23, v22, s[4:5]
; %bb.1493:                             ;   in Loop: Header=BB371_683 Depth=1
	s_or_b64 exec, exec, s[12:13]
	v_lshlrev_b32_e32 v10, 16, v10
	v_mul_f32_e32 v10, v44, v10
	v_and_b32_e32 v22, 0x7f800000, v10
	v_cmp_ne_u32_e64 s[4:5], s15, v22
                                        ; implicit-def: $vgpr62
	s_and_saveexec_b64 s[12:13], s[4:5]
	s_xor_b64 s[4:5], exec, s[12:13]
; %bb.1494:                             ;   in Loop: Header=BB371_683 Depth=1
	v_bfe_u32 v22, v10, 16, 1
	v_add3_u32 v62, v10, v22, s21
                                        ; implicit-def: $vgpr10
; %bb.1495:                             ;   in Loop: Header=BB371_683 Depth=1
	s_andn2_saveexec_b64 s[12:13], s[4:5]
; %bb.1496:                             ;   in Loop: Header=BB371_683 Depth=1
	v_or_b32_e32 v22, 0x10000, v10
	v_cmp_eq_u32_sdwa s[4:5], v10, v11 src0_sel:WORD_0 src1_sel:DWORD
	v_cndmask_b32_e64 v62, v22, v10, s[4:5]
; %bb.1497:                             ;   in Loop: Header=BB371_683 Depth=1
	s_or_b64 exec, exec, s[12:13]
	v_lshlrev_b32_e32 v9, 16, v9
	v_mul_f32_e32 v9, v45, v9
	v_and_b32_e32 v10, 0x7f800000, v9
	v_cmp_ne_u32_e64 s[4:5], s15, v10
                                        ; implicit-def: $vgpr30
	s_and_saveexec_b64 s[12:13], s[4:5]
	s_xor_b64 s[4:5], exec, s[12:13]
; %bb.1498:                             ;   in Loop: Header=BB371_683 Depth=1
	v_bfe_u32 v10, v9, 16, 1
	v_add3_u32 v30, v9, v10, s21
                                        ; implicit-def: $vgpr9
; %bb.1499:                             ;   in Loop: Header=BB371_683 Depth=1
	s_andn2_saveexec_b64 s[12:13], s[4:5]
; %bb.1500:                             ;   in Loop: Header=BB371_683 Depth=1
	v_or_b32_e32 v10, 0x10000, v9
	v_cmp_eq_u32_sdwa s[4:5], v9, v11 src0_sel:WORD_0 src1_sel:DWORD
	v_cndmask_b32_e64 v30, v10, v9, s[4:5]
; %bb.1501:                             ;   in Loop: Header=BB371_683 Depth=1
	s_or_b64 exec, exec, s[12:13]
	v_lshlrev_b32_e32 v8, 16, v8
	v_mul_f32_e32 v8, v46, v8
	v_and_b32_e32 v9, 0x7f800000, v8
	v_cmp_ne_u32_e64 s[4:5], s15, v9
                                        ; implicit-def: $vgpr23
	s_and_saveexec_b64 s[12:13], s[4:5]
	s_xor_b64 s[4:5], exec, s[12:13]
; %bb.1502:                             ;   in Loop: Header=BB371_683 Depth=1
	v_bfe_u32 v9, v8, 16, 1
	v_add3_u32 v23, v8, v9, s21
                                        ; implicit-def: $vgpr8
; %bb.1503:                             ;   in Loop: Header=BB371_683 Depth=1
	s_andn2_saveexec_b64 s[12:13], s[4:5]
; %bb.1504:                             ;   in Loop: Header=BB371_683 Depth=1
	v_or_b32_e32 v9, 0x10000, v8
	v_cmp_eq_u32_sdwa s[4:5], v8, v11 src0_sel:WORD_0 src1_sel:DWORD
	v_cndmask_b32_e64 v23, v9, v8, s[4:5]
; %bb.1505:                             ;   in Loop: Header=BB371_683 Depth=1
	s_or_b64 exec, exec, s[12:13]
	v_lshlrev_b32_e32 v7, 16, v7
	v_mul_f32_e32 v7, v47, v7
	v_and_b32_e32 v8, 0x7f800000, v7
	v_cmp_ne_u32_e64 s[4:5], s15, v8
                                        ; implicit-def: $vgpr28
	s_and_saveexec_b64 s[12:13], s[4:5]
	s_xor_b64 s[4:5], exec, s[12:13]
; %bb.1506:                             ;   in Loop: Header=BB371_683 Depth=1
	v_bfe_u32 v8, v7, 16, 1
	v_add3_u32 v28, v7, v8, s21
                                        ; implicit-def: $vgpr7
; %bb.1507:                             ;   in Loop: Header=BB371_683 Depth=1
	s_andn2_saveexec_b64 s[12:13], s[4:5]
; %bb.1508:                             ;   in Loop: Header=BB371_683 Depth=1
	v_or_b32_e32 v8, 0x10000, v7
	v_cmp_eq_u32_sdwa s[4:5], v7, v11 src0_sel:WORD_0 src1_sel:DWORD
	v_cndmask_b32_e64 v28, v8, v7, s[4:5]
; %bb.1509:                             ;   in Loop: Header=BB371_683 Depth=1
	s_or_b64 exec, exec, s[12:13]
	v_lshlrev_b32_e32 v2, 16, v2
	v_mul_f32_e32 v2, v56, v2
	v_and_b32_e32 v7, 0x7f800000, v2
	v_cmp_ne_u32_e64 s[4:5], s15, v7
                                        ; implicit-def: $vgpr34
	s_and_saveexec_b64 s[12:13], s[4:5]
	s_xor_b64 s[4:5], exec, s[12:13]
; %bb.1510:                             ;   in Loop: Header=BB371_683 Depth=1
	v_bfe_u32 v7, v2, 16, 1
	v_add3_u32 v34, v2, v7, s21
                                        ; implicit-def: $vgpr2
; %bb.1511:                             ;   in Loop: Header=BB371_683 Depth=1
	s_andn2_saveexec_b64 s[12:13], s[4:5]
; %bb.1512:                             ;   in Loop: Header=BB371_683 Depth=1
	v_or_b32_e32 v7, 0x10000, v2
	v_cmp_eq_u32_sdwa s[4:5], v2, v11 src0_sel:WORD_0 src1_sel:DWORD
	v_cndmask_b32_e64 v34, v7, v2, s[4:5]
; %bb.1513:                             ;   in Loop: Header=BB371_683 Depth=1
	s_or_b64 exec, exec, s[12:13]
	flat_load_dwordx2 v[0:1], v[0:1] offset:3584
	v_mov_b32_e32 v2, 0
	s_waitcnt vmcnt(0) lgkmcnt(0)
	v_cmp_ne_u16_sdwa s[4:5], v0, v11 src0_sel:BYTE_0 src1_sel:DWORD
	s_and_saveexec_b64 s[12:13], s[4:5]
	s_cbranch_execz .LBB371_1519
; %bb.1514:                             ;   in Loop: Header=BB371_683 Depth=1
	v_cmp_ne_u16_sdwa s[4:5], v0, s28 src0_sel:BYTE_0 src1_sel:DWORD
	v_bfrev_b32_e32 v2, 1
	s_and_saveexec_b64 s[24:25], s[4:5]
	s_cbranch_execz .LBB371_1518
; %bb.1515:                             ;   in Loop: Header=BB371_683 Depth=1
	v_and_b32_e32 v7, 0x7f, v0
	v_cmp_ne_u32_e64 s[4:5], s29, v7
	v_mov_b32_e32 v2, 0x7f800001
	s_and_saveexec_b64 s[26:27], s[4:5]
	s_cbranch_execz .LBB371_1517
; %bb.1516:                             ;   in Loop: Header=BB371_683 Depth=1
	v_and_b32_e32 v2, 7, v0
	v_ffbh_u32_e32 v2, v2
	v_min_u32_e32 v2, 32, v2
	v_subrev_u32_e32 v9, 28, v2
	v_cmp_gt_u32_e64 s[4:5], 8, v7
	v_lshrrev_b32_e32 v8, 3, v7
	v_sub_u32_e32 v2, 29, v2
	v_cndmask_b32_e64 v7, 0, v9, s[4:5]
	v_cndmask_b32_e64 v2, v8, v2, s[4:5]
	v_lshlrev_b64 v[8:9], v7, v[0:1]
	v_lshlrev_b32_e32 v7, 20, v8
	v_lshlrev_b32_e32 v8, 24, v0
	v_bfrev_b32_e32 v9, 60
	v_and_b32_e32 v7, 0x700000, v7
	v_and_b32_e32 v8, 0x80000000, v8
	v_lshl_add_u32 v2, v2, 23, v9
	v_or3_b32 v2, v8, v2, v7
.LBB371_1517:                           ;   in Loop: Header=BB371_683 Depth=1
	s_or_b64 exec, exec, s[26:27]
.LBB371_1518:                           ;   in Loop: Header=BB371_683 Depth=1
	s_or_b64 exec, exec, s[24:25]
.LBB371_1519:                           ;   in Loop: Header=BB371_683 Depth=1
	s_or_b64 exec, exec, s[12:13]
	v_mul_f32_e32 v2, v33, v2
	v_and_b32_e32 v7, 0x7f800000, v2
	v_cmp_ne_u32_e64 s[4:5], s15, v7
                                        ; implicit-def: $vgpr26
	s_and_saveexec_b64 s[12:13], s[4:5]
	s_xor_b64 s[4:5], exec, s[12:13]
; %bb.1520:                             ;   in Loop: Header=BB371_683 Depth=1
	v_bfe_u32 v7, v2, 16, 1
	v_add3_u32 v26, v2, v7, s21
                                        ; implicit-def: $vgpr2
; %bb.1521:                             ;   in Loop: Header=BB371_683 Depth=1
	s_andn2_saveexec_b64 s[12:13], s[4:5]
; %bb.1522:                             ;   in Loop: Header=BB371_683 Depth=1
	v_or_b32_e32 v7, 0x10000, v2
	v_cmp_eq_u32_sdwa s[4:5], v2, v11 src0_sel:WORD_0 src1_sel:DWORD
	v_cndmask_b32_e64 v26, v7, v2, s[4:5]
; %bb.1523:                             ;   in Loop: Header=BB371_683 Depth=1
	s_or_b64 exec, exec, s[12:13]
	v_lshrrev_b16_e32 v2, 8, v0
	v_mov_b32_e32 v7, 0
	v_cmp_ne_u16_e64 s[4:5], 0, v2
	s_mov_b64 s[12:13], exec
	s_and_b64 s[4:5], s[12:13], s[4:5]
	v_accvgpr_write_b32 a19, v36
	s_mov_b64 exec, s[4:5]
	s_cbranch_execz .LBB371_1529
; %bb.1524:                             ;   in Loop: Header=BB371_683 Depth=1
	v_cmp_ne_u16_e64 s[4:5], s28, v2
	v_bfrev_b32_e32 v7, 1
	s_and_saveexec_b64 s[24:25], s[4:5]
	s_cbranch_execz .LBB371_1528
; %bb.1525:                             ;   in Loop: Header=BB371_683 Depth=1
	v_and_b32_e32 v8, 0x7f, v2
	v_cmp_ne_u32_e64 s[4:5], s29, v8
	v_mov_b32_e32 v7, 0x7f800001
	s_and_saveexec_b64 s[26:27], s[4:5]
	s_cbranch_execz .LBB371_1527
; %bb.1526:                             ;   in Loop: Header=BB371_683 Depth=1
	v_and_b32_e32 v7, 7, v2
	v_ffbh_u32_e32 v10, v7
	v_min_u32_e32 v10, 32, v10
	v_subrev_u32_e32 v22, 28, v10
	v_mov_b32_e32 v27, v37
	v_lshlrev_b64 v[36:37], v22, v[2:3]
	v_lshrrev_b32_e32 v9, 3, v8
	v_sub_u32_e32 v2, 29, v10
	v_and_b32_e32 v10, 7, v36
	v_cmp_gt_u32_e64 s[4:5], 8, v8
	v_cndmask_b32_e64 v2, v9, v2, s[4:5]
	v_cndmask_b32_e64 v7, v7, v10, s[4:5]
	v_lshlrev_b32_e32 v8, 16, v0
	v_bfrev_b32_e32 v9, 60
	v_lshlrev_b32_e32 v7, 20, v7
	v_and_b32_e32 v8, 0x80000000, v8
	v_lshl_add_u32 v2, v2, 23, v9
	v_mov_b32_e32 v37, v27
	v_accvgpr_read_b32 v36, a19
	v_or3_b32 v7, v8, v2, v7
.LBB371_1527:                           ;   in Loop: Header=BB371_683 Depth=1
	s_or_b64 exec, exec, s[26:27]
.LBB371_1528:                           ;   in Loop: Header=BB371_683 Depth=1
	s_or_b64 exec, exec, s[24:25]
.LBB371_1529:                           ;   in Loop: Header=BB371_683 Depth=1
	s_or_b64 exec, exec, s[12:13]
	v_mul_f32_e32 v2, v33, v7
	v_and_b32_e32 v7, 0x7f800000, v2
	v_cmp_ne_u32_e64 s[4:5], s15, v7
                                        ; implicit-def: $vgpr27
	s_and_saveexec_b64 s[12:13], s[4:5]
	s_xor_b64 s[4:5], exec, s[12:13]
; %bb.1530:                             ;   in Loop: Header=BB371_683 Depth=1
	v_bfe_u32 v7, v2, 16, 1
	v_add3_u32 v27, v2, v7, s21
                                        ; implicit-def: $vgpr2
; %bb.1531:                             ;   in Loop: Header=BB371_683 Depth=1
	s_andn2_saveexec_b64 s[12:13], s[4:5]
; %bb.1532:                             ;   in Loop: Header=BB371_683 Depth=1
	v_or_b32_e32 v7, 0x10000, v2
	v_cmp_eq_u32_sdwa s[4:5], v2, v11 src0_sel:WORD_0 src1_sel:DWORD
	v_cndmask_b32_e64 v27, v7, v2, s[4:5]
; %bb.1533:                             ;   in Loop: Header=BB371_683 Depth=1
	s_or_b64 exec, exec, s[12:13]
	v_lshrrev_b32_e32 v2, 16, v0
	v_cmp_ne_u16_sdwa s[4:5], v2, v11 src0_sel:BYTE_0 src1_sel:DWORD
	v_mov_b32_e32 v7, 0
	s_and_saveexec_b64 s[12:13], s[4:5]
	s_cbranch_execz .LBB371_1539
; %bb.1534:                             ;   in Loop: Header=BB371_683 Depth=1
	v_cmp_ne_u16_sdwa s[4:5], v2, s28 src0_sel:BYTE_0 src1_sel:DWORD
	v_bfrev_b32_e32 v7, 1
	s_and_saveexec_b64 s[24:25], s[4:5]
	s_cbranch_execz .LBB371_1538
; %bb.1535:                             ;   in Loop: Header=BB371_683 Depth=1
	v_bfe_u32 v8, v0, 16, 7
	v_cmp_ne_u32_e64 s[4:5], s29, v8
	v_mov_b32_e32 v7, 0x7f800001
	s_and_saveexec_b64 s[26:27], s[4:5]
	s_cbranch_execz .LBB371_1537
; %bb.1536:                             ;   in Loop: Header=BB371_683 Depth=1
	v_and_b32_e32 v7, 7, v2
	v_ffbh_u32_e32 v10, v7
	v_min_u32_e32 v10, 32, v10
	v_subrev_u32_e32 v22, 28, v10
	v_accvgpr_write_b32 a9, v37
	v_lshlrev_b64 v[36:37], v22, v[2:3]
	v_lshrrev_b32_e32 v9, 3, v8
	v_sub_u32_e32 v10, 29, v10
	v_and_b32_e32 v22, 7, v36
	v_cmp_gt_u32_e64 s[4:5], 8, v8
	v_cndmask_b32_e64 v8, v9, v10, s[4:5]
	v_cndmask_b32_e64 v7, v7, v22, s[4:5]
	v_lshlrev_b32_e32 v2, 24, v2
	v_bfrev_b32_e32 v9, 60
	v_lshlrev_b32_e32 v7, 20, v7
	v_and_b32_e32 v2, 0x80000000, v2
	v_lshl_add_u32 v8, v8, 23, v9
	v_accvgpr_read_b32 v37, a9
	v_accvgpr_read_b32 v36, a19
	v_or3_b32 v7, v2, v8, v7
.LBB371_1537:                           ;   in Loop: Header=BB371_683 Depth=1
	s_or_b64 exec, exec, s[26:27]
.LBB371_1538:                           ;   in Loop: Header=BB371_683 Depth=1
	s_or_b64 exec, exec, s[24:25]
.LBB371_1539:                           ;   in Loop: Header=BB371_683 Depth=1
	s_or_b64 exec, exec, s[12:13]
	v_mul_f32_e32 v2, v33, v7
	v_and_b32_e32 v7, 0x7f800000, v2
	v_cmp_ne_u32_e64 s[4:5], s15, v7
                                        ; implicit-def: $vgpr7
	s_and_saveexec_b64 s[12:13], s[4:5]
	s_xor_b64 s[4:5], exec, s[12:13]
; %bb.1540:                             ;   in Loop: Header=BB371_683 Depth=1
	v_bfe_u32 v7, v2, 16, 1
	v_add3_u32 v7, v2, v7, s21
                                        ; implicit-def: $vgpr2
; %bb.1541:                             ;   in Loop: Header=BB371_683 Depth=1
	s_andn2_saveexec_b64 s[12:13], s[4:5]
; %bb.1542:                             ;   in Loop: Header=BB371_683 Depth=1
	v_or_b32_e32 v7, 0x10000, v2
	v_cmp_eq_u32_sdwa s[4:5], v2, v11 src0_sel:WORD_0 src1_sel:DWORD
	v_cndmask_b32_e64 v7, v7, v2, s[4:5]
; %bb.1543:                             ;   in Loop: Header=BB371_683 Depth=1
	s_or_b64 exec, exec, s[12:13]
	v_cmp_lt_u32_e64 s[4:5], s9, v0
	v_mov_b32_e32 v8, 0
	s_and_saveexec_b64 s[12:13], s[4:5]
	s_cbranch_execz .LBB371_1549
; %bb.1544:                             ;   in Loop: Header=BB371_683 Depth=1
	v_lshrrev_b32_e32 v2, 24, v0
	v_cmp_ne_u32_e64 s[4:5], s28, v2
	v_bfrev_b32_e32 v8, 1
	s_and_saveexec_b64 s[24:25], s[4:5]
	s_cbranch_execz .LBB371_1548
; %bb.1545:                             ;   in Loop: Header=BB371_683 Depth=1
	v_bfe_u32 v9, v0, 24, 7
	v_cmp_ne_u32_e64 s[4:5], s29, v9
	v_mov_b32_e32 v8, 0x7f800001
	s_and_saveexec_b64 s[26:27], s[4:5]
	s_cbranch_execz .LBB371_1547
; %bb.1546:                             ;   in Loop: Header=BB371_683 Depth=1
	v_and_b32_e32 v8, 7, v2
	v_ffbh_u32_e32 v22, v8
	v_min_u32_e32 v22, 32, v22
	v_subrev_u32_e32 v36, 28, v22
	v_accvgpr_write_b32 a9, v37
	v_lshlrev_b64 v[36:37], v36, v[2:3]
	v_lshrrev_b32_e32 v10, 3, v9
	v_sub_u32_e32 v22, 29, v22
	v_and_b32_e32 v36, 7, v36
	v_cmp_gt_u32_e64 s[4:5], 8, v9
	v_cndmask_b32_e64 v9, v10, v22, s[4:5]
	v_cndmask_b32_e64 v8, v8, v36, s[4:5]
	v_lshlrev_b32_e32 v2, 24, v2
	v_bfrev_b32_e32 v10, 60
	v_lshlrev_b32_e32 v8, 20, v8
	v_and_b32_e32 v2, 0x80000000, v2
	v_lshl_add_u32 v9, v9, 23, v10
	v_accvgpr_read_b32 v37, a9
	v_accvgpr_read_b32 v36, a19
	v_or3_b32 v8, v2, v9, v8
.LBB371_1547:                           ;   in Loop: Header=BB371_683 Depth=1
	s_or_b64 exec, exec, s[26:27]
.LBB371_1548:                           ;   in Loop: Header=BB371_683 Depth=1
	s_or_b64 exec, exec, s[24:25]
.LBB371_1549:                           ;   in Loop: Header=BB371_683 Depth=1
	s_or_b64 exec, exec, s[12:13]
	v_mul_f32_e32 v2, v33, v8
	v_and_b32_e32 v8, 0x7f800000, v2
	v_cmp_ne_u32_e64 s[4:5], s15, v8
                                        ; implicit-def: $vgpr22
	s_and_saveexec_b64 s[12:13], s[4:5]
	s_xor_b64 s[4:5], exec, s[12:13]
; %bb.1550:                             ;   in Loop: Header=BB371_683 Depth=1
	v_bfe_u32 v8, v2, 16, 1
	v_add3_u32 v22, v2, v8, s21
                                        ; implicit-def: $vgpr2
; %bb.1551:                             ;   in Loop: Header=BB371_683 Depth=1
	s_andn2_saveexec_b64 s[12:13], s[4:5]
; %bb.1552:                             ;   in Loop: Header=BB371_683 Depth=1
	v_or_b32_e32 v8, 0x10000, v2
	v_cmp_eq_u32_sdwa s[4:5], v2, v11 src0_sel:WORD_0 src1_sel:DWORD
	v_cndmask_b32_e64 v22, v8, v2, s[4:5]
; %bb.1553:                             ;   in Loop: Header=BB371_683 Depth=1
	s_or_b64 exec, exec, s[12:13]
	v_mov_b32_e32 v10, v1
	v_cmp_ne_u16_sdwa s[4:5], v1, v11 src0_sel:BYTE_0 src1_sel:DWORD
	v_mov_b32_e32 v2, 0
	s_and_saveexec_b64 s[12:13], s[4:5]
	s_cbranch_execz .LBB371_1559
; %bb.1554:                             ;   in Loop: Header=BB371_683 Depth=1
	v_cmp_ne_u16_sdwa s[4:5], v1, s28 src0_sel:BYTE_0 src1_sel:DWORD
	v_bfrev_b32_e32 v2, 1
	s_and_saveexec_b64 s[24:25], s[4:5]
	s_cbranch_execz .LBB371_1558
; %bb.1555:                             ;   in Loop: Header=BB371_683 Depth=1
	v_and_b32_e32 v8, 0x7f, v1
	v_cmp_ne_u32_e64 s[4:5], s29, v8
	v_mov_b32_e32 v2, 0x7f800001
	s_and_saveexec_b64 s[26:27], s[4:5]
	s_cbranch_execz .LBB371_1557
; %bb.1556:                             ;   in Loop: Header=BB371_683 Depth=1
	v_and_b32_e32 v2, 7, v1
	v_ffbh_u32_e32 v2, v2
	v_min_u32_e32 v2, 32, v2
	v_subrev_u32_e32 v36, 28, v2
	v_cmp_gt_u32_e64 s[4:5], 8, v8
	v_lshrrev_b32_e32 v9, 3, v8
	v_sub_u32_e32 v2, 29, v2
	v_cndmask_b32_e64 v8, 0, v36, s[4:5]
	v_cndmask_b32_e64 v2, v9, v2, s[4:5]
	v_lshlrev_b64 v[8:9], v8, v[10:11]
	v_lshlrev_b32_e32 v8, 20, v8
	v_lshlrev_b32_e32 v9, 24, v10
	v_bfrev_b32_e32 v36, 60
	v_and_b32_e32 v8, 0x700000, v8
	v_and_b32_e32 v9, 0x80000000, v9
	v_lshl_add_u32 v2, v2, 23, v36
	v_accvgpr_read_b32 v36, a19
	v_or3_b32 v2, v9, v2, v8
.LBB371_1557:                           ;   in Loop: Header=BB371_683 Depth=1
	s_or_b64 exec, exec, s[26:27]
.LBB371_1558:                           ;   in Loop: Header=BB371_683 Depth=1
	s_or_b64 exec, exec, s[24:25]
.LBB371_1559:                           ;   in Loop: Header=BB371_683 Depth=1
	s_or_b64 exec, exec, s[12:13]
	v_mul_f32_e32 v2, v33, v2
	v_and_b32_e32 v8, 0x7f800000, v2
	v_cmp_ne_u32_e64 s[4:5], s15, v8
                                        ; implicit-def: $vgpr8
	s_and_saveexec_b64 s[12:13], s[4:5]
	s_xor_b64 s[4:5], exec, s[12:13]
; %bb.1560:                             ;   in Loop: Header=BB371_683 Depth=1
	v_bfe_u32 v8, v2, 16, 1
	v_add3_u32 v8, v2, v8, s21
                                        ; implicit-def: $vgpr2
; %bb.1561:                             ;   in Loop: Header=BB371_683 Depth=1
	s_andn2_saveexec_b64 s[12:13], s[4:5]
; %bb.1562:                             ;   in Loop: Header=BB371_683 Depth=1
	v_or_b32_e32 v8, 0x10000, v2
	v_cmp_eq_u32_sdwa s[4:5], v2, v11 src0_sel:WORD_0 src1_sel:DWORD
	v_cndmask_b32_e64 v8, v8, v2, s[4:5]
; %bb.1563:                             ;   in Loop: Header=BB371_683 Depth=1
	s_or_b64 exec, exec, s[12:13]
	v_lshrrev_b16_e32 v2, 8, v10
	v_cmp_ne_u16_e64 s[4:5], 0, v2
	v_mov_b32_e32 v9, 0
	s_and_saveexec_b64 s[12:13], s[4:5]
	s_cbranch_execz .LBB371_1569
; %bb.1564:                             ;   in Loop: Header=BB371_683 Depth=1
	v_cmp_ne_u16_e64 s[4:5], s28, v2
	v_bfrev_b32_e32 v9, 1
	s_and_saveexec_b64 s[24:25], s[4:5]
	s_cbranch_execz .LBB371_1568
; %bb.1565:                             ;   in Loop: Header=BB371_683 Depth=1
	v_and_b32_e32 v36, 0x7f, v2
	v_cmp_ne_u32_e64 s[4:5], s29, v36
	v_mov_b32_e32 v9, 0x7f800001
	s_and_saveexec_b64 s[26:27], s[4:5]
	s_cbranch_execz .LBB371_1567
; %bb.1566:                             ;   in Loop: Header=BB371_683 Depth=1
	v_and_b32_e32 v9, 7, v2
	v_accvgpr_write_b32 a12, v38
	v_ffbh_u32_e32 v38, v9
	v_accvgpr_write_b32 a9, v48
	v_min_u32_e32 v48, 32, v38
	v_subrev_u32_e32 v38, 28, v48
	v_accvgpr_write_b32 a13, v39
	v_lshlrev_b64 v[38:39], v38, v[2:3]
	v_accvgpr_write_b32 a14, v37
	v_lshrrev_b32_e32 v37, 3, v36
	v_sub_u32_e32 v2, 29, v48
	v_and_b32_e32 v38, 7, v38
	v_cmp_gt_u32_e64 s[4:5], 8, v36
	v_cndmask_b32_e64 v2, v37, v2, s[4:5]
	v_cndmask_b32_e64 v9, v9, v38, s[4:5]
	v_lshlrev_b32_e32 v10, 16, v10
	v_bfrev_b32_e32 v36, 60
	v_lshlrev_b32_e32 v9, 20, v9
	v_and_b32_e32 v10, 0x80000000, v10
	v_lshl_add_u32 v2, v2, 23, v36
	v_accvgpr_read_b32 v39, a13
	v_accvgpr_read_b32 v48, a9
	;; [unrolled: 1-line block ×4, first 2 shown]
	v_or3_b32 v9, v10, v2, v9
.LBB371_1567:                           ;   in Loop: Header=BB371_683 Depth=1
	s_or_b64 exec, exec, s[26:27]
	v_accvgpr_read_b32 v36, a19
.LBB371_1568:                           ;   in Loop: Header=BB371_683 Depth=1
	s_or_b64 exec, exec, s[24:25]
.LBB371_1569:                           ;   in Loop: Header=BB371_683 Depth=1
	s_or_b64 exec, exec, s[12:13]
	v_mul_f32_e32 v2, v33, v9
	v_and_b32_e32 v9, 0x7f800000, v2
	v_cmp_ne_u32_e64 s[4:5], s15, v9
                                        ; implicit-def: $vgpr9
	s_and_saveexec_b64 s[12:13], s[4:5]
	s_xor_b64 s[4:5], exec, s[12:13]
; %bb.1570:                             ;   in Loop: Header=BB371_683 Depth=1
	v_bfe_u32 v9, v2, 16, 1
	v_add3_u32 v9, v2, v9, s21
                                        ; implicit-def: $vgpr2
; %bb.1571:                             ;   in Loop: Header=BB371_683 Depth=1
	s_andn2_saveexec_b64 s[12:13], s[4:5]
; %bb.1572:                             ;   in Loop: Header=BB371_683 Depth=1
	v_or_b32_e32 v9, 0x10000, v2
	v_cmp_eq_u32_sdwa s[4:5], v2, v11 src0_sel:WORD_0 src1_sel:DWORD
	v_cndmask_b32_e64 v9, v9, v2, s[4:5]
; %bb.1573:                             ;   in Loop: Header=BB371_683 Depth=1
	s_or_b64 exec, exec, s[12:13]
	v_lshrrev_b32_e32 v2, 16, v1
	v_cmp_ne_u16_sdwa s[4:5], v2, v11 src0_sel:BYTE_0 src1_sel:DWORD
	v_mov_b32_e32 v10, 0
	s_and_saveexec_b64 s[12:13], s[4:5]
	s_cbranch_execz .LBB371_1579
; %bb.1574:                             ;   in Loop: Header=BB371_683 Depth=1
	v_cmp_ne_u16_sdwa s[4:5], v2, s28 src0_sel:BYTE_0 src1_sel:DWORD
	v_bfrev_b32_e32 v10, 1
	s_and_saveexec_b64 s[24:25], s[4:5]
	s_cbranch_execz .LBB371_1578
; %bb.1575:                             ;   in Loop: Header=BB371_683 Depth=1
	v_bfe_u32 v36, v1, 16, 7
	v_cmp_ne_u32_e64 s[4:5], s29, v36
	v_mov_b32_e32 v10, 0x7f800001
	s_and_saveexec_b64 s[26:27], s[4:5]
	s_cbranch_execz .LBB371_1577
; %bb.1576:                             ;   in Loop: Header=BB371_683 Depth=1
	v_and_b32_e32 v10, 7, v2
	v_accvgpr_write_b32 a12, v38
	v_ffbh_u32_e32 v38, v10
	v_accvgpr_write_b32 a9, v48
	v_min_u32_e32 v48, 32, v38
	v_subrev_u32_e32 v38, 28, v48
	v_accvgpr_write_b32 a13, v39
	v_lshlrev_b64 v[38:39], v38, v[2:3]
	v_accvgpr_write_b32 a14, v37
	v_lshrrev_b32_e32 v37, 3, v36
	v_sub_u32_e32 v39, 29, v48
	v_and_b32_e32 v38, 7, v38
	v_cmp_gt_u32_e64 s[4:5], 8, v36
	v_cndmask_b32_e64 v36, v37, v39, s[4:5]
	v_cndmask_b32_e64 v10, v10, v38, s[4:5]
	v_lshlrev_b32_e32 v2, 24, v2
	v_bfrev_b32_e32 v37, 60
	v_lshlrev_b32_e32 v10, 20, v10
	v_and_b32_e32 v2, 0x80000000, v2
	v_lshl_add_u32 v36, v36, 23, v37
	v_accvgpr_read_b32 v48, a9
	v_accvgpr_read_b32 v39, a13
	;; [unrolled: 1-line block ×4, first 2 shown]
	v_or3_b32 v10, v2, v36, v10
.LBB371_1577:                           ;   in Loop: Header=BB371_683 Depth=1
	s_or_b64 exec, exec, s[26:27]
	v_accvgpr_read_b32 v36, a19
.LBB371_1578:                           ;   in Loop: Header=BB371_683 Depth=1
	s_or_b64 exec, exec, s[24:25]
.LBB371_1579:                           ;   in Loop: Header=BB371_683 Depth=1
	s_or_b64 exec, exec, s[12:13]
	v_mul_f32_e32 v10, v33, v10
	v_and_b32_e32 v2, 0x7f800000, v10
	v_cmp_ne_u32_e64 s[4:5], s15, v2
                                        ; implicit-def: $vgpr2
	s_and_saveexec_b64 s[12:13], s[4:5]
	s_xor_b64 s[4:5], exec, s[12:13]
; %bb.1580:                             ;   in Loop: Header=BB371_683 Depth=1
	v_bfe_u32 v2, v10, 16, 1
	v_add3_u32 v2, v10, v2, s21
                                        ; implicit-def: $vgpr10
; %bb.1581:                             ;   in Loop: Header=BB371_683 Depth=1
	s_andn2_saveexec_b64 s[12:13], s[4:5]
; %bb.1582:                             ;   in Loop: Header=BB371_683 Depth=1
	v_or_b32_e32 v2, 0x10000, v10
	v_cmp_eq_u32_sdwa s[4:5], v10, v11 src0_sel:WORD_0 src1_sel:DWORD
	v_cndmask_b32_e64 v2, v2, v10, s[4:5]
; %bb.1583:                             ;   in Loop: Header=BB371_683 Depth=1
	s_or_b64 exec, exec, s[12:13]
	v_cmp_lt_u64_e64 s[4:5], s[8:9], v[0:1]
	v_mov_b32_e32 v10, 0
	s_and_saveexec_b64 s[12:13], s[4:5]
	s_cbranch_execz .LBB371_1589
; %bb.1584:                             ;   in Loop: Header=BB371_683 Depth=1
	v_lshrrev_b32_e32 v0, 24, v1
	v_cmp_ne_u32_e64 s[4:5], s28, v0
	v_bfrev_b32_e32 v10, 1
	s_and_saveexec_b64 s[24:25], s[4:5]
	s_cbranch_execz .LBB371_1588
; %bb.1585:                             ;   in Loop: Header=BB371_683 Depth=1
	v_bfe_u32 v1, v1, 24, 7
	v_cmp_ne_u32_e64 s[4:5], s29, v1
	v_mov_b32_e32 v10, 0x7f800001
	s_and_saveexec_b64 s[26:27], s[4:5]
	s_cbranch_execz .LBB371_1587
; %bb.1586:                             ;   in Loop: Header=BB371_683 Depth=1
	v_and_b32_e32 v10, 7, v0
	v_ffbh_u32_e32 v36, v10
	v_accvgpr_write_b32 a12, v39
	v_min_u32_e32 v39, 32, v36
	v_subrev_u32_e32 v36, 28, v39
	v_accvgpr_write_b32 a13, v37
	v_lshlrev_b64 v[36:37], v36, v[0:1]
	v_accvgpr_write_b32 a9, v38
	v_lshrrev_b32_e32 v38, 3, v1
	v_sub_u32_e32 v37, 29, v39
	v_and_b32_e32 v36, 7, v36
	v_cmp_gt_u32_e64 s[4:5], 8, v1
	v_cndmask_b32_e64 v1, v38, v37, s[4:5]
	v_cndmask_b32_e64 v10, v10, v36, s[4:5]
	v_lshlrev_b32_e32 v0, 24, v0
	v_bfrev_b32_e32 v36, 60
	v_lshlrev_b32_e32 v10, 20, v10
	v_and_b32_e32 v0, 0x80000000, v0
	v_lshl_add_u32 v1, v1, 23, v36
	v_accvgpr_read_b32 v39, a12
	v_accvgpr_read_b32 v37, a13
	;; [unrolled: 1-line block ×4, first 2 shown]
	v_or3_b32 v10, v0, v1, v10
.LBB371_1587:                           ;   in Loop: Header=BB371_683 Depth=1
	s_or_b64 exec, exec, s[26:27]
.LBB371_1588:                           ;   in Loop: Header=BB371_683 Depth=1
	s_or_b64 exec, exec, s[24:25]
.LBB371_1589:                           ;   in Loop: Header=BB371_683 Depth=1
	s_or_b64 exec, exec, s[12:13]
	v_mul_f32_e32 v0, v33, v10
	v_and_b32_e32 v1, 0x7f800000, v0
	v_cmp_ne_u32_e64 s[4:5], s15, v1
                                        ; implicit-def: $vgpr10
	s_and_saveexec_b64 s[12:13], s[4:5]
	s_xor_b64 s[4:5], exec, s[12:13]
; %bb.1590:                             ;   in Loop: Header=BB371_683 Depth=1
	v_bfe_u32 v1, v0, 16, 1
	v_add3_u32 v10, v0, v1, s21
                                        ; implicit-def: $vgpr0
; %bb.1591:                             ;   in Loop: Header=BB371_683 Depth=1
	s_andn2_saveexec_b64 s[12:13], s[4:5]
; %bb.1592:                             ;   in Loop: Header=BB371_683 Depth=1
	v_or_b32_e32 v1, 0x10000, v0
	v_cmp_eq_u32_sdwa s[4:5], v0, v11 src0_sel:WORD_0 src1_sel:DWORD
	v_cndmask_b32_e64 v10, v1, v0, s[4:5]
; %bb.1593:                             ;   in Loop: Header=BB371_683 Depth=1
	s_or_b64 exec, exec, s[12:13]
	v_lshrrev_b32_e32 v9, 16, v9
	v_lshrrev_b32_e32 v8, 16, v8
	;; [unrolled: 1-line block ×8, first 2 shown]
	s_and_saveexec_b64 s[4:5], vcc
	s_cbranch_execz .LBB371_1595
; %bb.1594:                             ;   in Loop: Header=BB371_683 Depth=1
	v_cmp_lt_i32_e32 vcc, v36, v32
	v_accvgpr_read_b32 v2, a25
	v_cndmask_b32_e32 v0, 0, v0, vcc
	v_cmp_lt_i32_e32 vcc, v2, v32
	v_accvgpr_read_b32 v2, a24
	v_cndmask_b32_e32 v1, 0, v1, vcc
	;; [unrolled: 3-line block ×6, first 2 shown]
	v_cmp_lt_i32_e32 vcc, v2, v32
	v_cndmask_b32_e32 v26, 0, v26, vcc
	v_cmp_lt_i32_e32 vcc, v17, v32
	v_cndmask_b32_e32 v10, 0, v10, vcc
.LBB371_1595:                           ;   in Loop: Header=BB371_683 Depth=1
	s_or_b64 exec, exec, s[4:5]
	v_lshlrev_b32_e32 v0, 16, v0
	v_mul_f32_e32 v2, v41, v0
	v_and_b32_e32 v0, 0x7f800000, v2
	v_cmp_ne_u32_e32 vcc, s15, v0
                                        ; implicit-def: $vgpr0
	s_and_saveexec_b64 s[4:5], vcc
	s_xor_b64 s[4:5], exec, s[4:5]
; %bb.1596:                             ;   in Loop: Header=BB371_683 Depth=1
	v_bfe_u32 v0, v2, 16, 1
	v_add3_u32 v0, v2, v0, s21
                                        ; implicit-def: $vgpr2
; %bb.1597:                             ;   in Loop: Header=BB371_683 Depth=1
	s_andn2_saveexec_b64 s[4:5], s[4:5]
; %bb.1598:                             ;   in Loop: Header=BB371_683 Depth=1
	v_or_b32_e32 v0, 0x10000, v2
	v_cmp_eq_u32_sdwa vcc, v2, v11 src0_sel:WORD_0 src1_sel:DWORD
	v_cndmask_b32_e32 v0, v0, v2, vcc
; %bb.1599:                             ;   in Loop: Header=BB371_683 Depth=1
	s_or_b64 exec, exec, s[4:5]
	v_lshlrev_b32_e32 v1, 16, v1
	v_mul_f32_e32 v2, v42, v1
	v_and_b32_e32 v1, 0x7f800000, v2
	v_cmp_ne_u32_e32 vcc, s15, v1
                                        ; implicit-def: $vgpr1
	s_and_saveexec_b64 s[4:5], vcc
	s_xor_b64 s[4:5], exec, s[4:5]
; %bb.1600:                             ;   in Loop: Header=BB371_683 Depth=1
	v_bfe_u32 v1, v2, 16, 1
	v_add3_u32 v1, v2, v1, s21
                                        ; implicit-def: $vgpr2
; %bb.1601:                             ;   in Loop: Header=BB371_683 Depth=1
	s_andn2_saveexec_b64 s[4:5], s[4:5]
; %bb.1602:                             ;   in Loop: Header=BB371_683 Depth=1
	v_or_b32_e32 v1, 0x10000, v2
	v_cmp_eq_u32_sdwa vcc, v2, v11 src0_sel:WORD_0 src1_sel:DWORD
	v_cndmask_b32_e32 v1, v1, v2, vcc
; %bb.1603:                             ;   in Loop: Header=BB371_683 Depth=1
	s_or_b64 exec, exec, s[4:5]
	v_lshlrev_b32_e32 v2, 16, v7
	v_mul_f32_e32 v7, v43, v2
	v_and_b32_e32 v2, 0x7f800000, v7
	v_cmp_ne_u32_e32 vcc, s15, v2
                                        ; implicit-def: $vgpr2
	s_and_saveexec_b64 s[4:5], vcc
	s_xor_b64 s[4:5], exec, s[4:5]
; %bb.1604:                             ;   in Loop: Header=BB371_683 Depth=1
	v_bfe_u32 v2, v7, 16, 1
	v_add3_u32 v2, v7, v2, s21
                                        ; implicit-def: $vgpr7
; %bb.1605:                             ;   in Loop: Header=BB371_683 Depth=1
	s_andn2_saveexec_b64 s[4:5], s[4:5]
; %bb.1606:                             ;   in Loop: Header=BB371_683 Depth=1
	v_or_b32_e32 v2, 0x10000, v7
	v_cmp_eq_u32_sdwa vcc, v7, v11 src0_sel:WORD_0 src1_sel:DWORD
	v_cndmask_b32_e32 v2, v2, v7, vcc
; %bb.1607:                             ;   in Loop: Header=BB371_683 Depth=1
	s_or_b64 exec, exec, s[4:5]
	v_lshlrev_b32_e32 v7, 16, v22
	v_mul_f32_e32 v22, v44, v7
	v_and_b32_e32 v7, 0x7f800000, v22
	v_cmp_ne_u32_e32 vcc, s15, v7
                                        ; implicit-def: $vgpr7
	s_and_saveexec_b64 s[4:5], vcc
	s_xor_b64 s[4:5], exec, s[4:5]
; %bb.1608:                             ;   in Loop: Header=BB371_683 Depth=1
	v_bfe_u32 v7, v22, 16, 1
	v_add3_u32 v7, v22, v7, s21
                                        ; implicit-def: $vgpr22
; %bb.1609:                             ;   in Loop: Header=BB371_683 Depth=1
	s_andn2_saveexec_b64 s[4:5], s[4:5]
; %bb.1610:                             ;   in Loop: Header=BB371_683 Depth=1
	v_or_b32_e32 v7, 0x10000, v22
	v_cmp_eq_u32_sdwa vcc, v22, v11 src0_sel:WORD_0 src1_sel:DWORD
	v_cndmask_b32_e32 v7, v7, v22, vcc
; %bb.1611:                             ;   in Loop: Header=BB371_683 Depth=1
	s_or_b64 exec, exec, s[4:5]
	v_lshlrev_b32_e32 v8, 16, v8
	v_mul_f32_e32 v22, v45, v8
	v_and_b32_e32 v8, 0x7f800000, v22
	v_cmp_ne_u32_e32 vcc, s15, v8
                                        ; implicit-def: $vgpr8
	s_and_saveexec_b64 s[4:5], vcc
	s_xor_b64 s[4:5], exec, s[4:5]
; %bb.1612:                             ;   in Loop: Header=BB371_683 Depth=1
	v_bfe_u32 v8, v22, 16, 1
	v_add3_u32 v8, v22, v8, s21
                                        ; implicit-def: $vgpr22
; %bb.1613:                             ;   in Loop: Header=BB371_683 Depth=1
	s_andn2_saveexec_b64 s[4:5], s[4:5]
; %bb.1614:                             ;   in Loop: Header=BB371_683 Depth=1
	v_or_b32_e32 v8, 0x10000, v22
	v_cmp_eq_u32_sdwa vcc, v22, v11 src0_sel:WORD_0 src1_sel:DWORD
	v_cndmask_b32_e32 v8, v8, v22, vcc
; %bb.1615:                             ;   in Loop: Header=BB371_683 Depth=1
	s_or_b64 exec, exec, s[4:5]
	v_lshlrev_b32_e32 v9, 16, v9
	v_mul_f32_e32 v9, v46, v9
	v_and_b32_e32 v22, 0x7f800000, v9
	v_cmp_ne_u32_e32 vcc, s15, v22
                                        ; implicit-def: $vgpr22
	s_and_saveexec_b64 s[4:5], vcc
	s_xor_b64 s[4:5], exec, s[4:5]
; %bb.1616:                             ;   in Loop: Header=BB371_683 Depth=1
	v_bfe_u32 v22, v9, 16, 1
	v_add3_u32 v22, v9, v22, s21
                                        ; implicit-def: $vgpr9
; %bb.1617:                             ;   in Loop: Header=BB371_683 Depth=1
	s_andn2_saveexec_b64 s[4:5], s[4:5]
; %bb.1618:                             ;   in Loop: Header=BB371_683 Depth=1
	v_or_b32_e32 v22, 0x10000, v9
	v_cmp_eq_u32_sdwa vcc, v9, v11 src0_sel:WORD_0 src1_sel:DWORD
	v_cndmask_b32_e32 v22, v22, v9, vcc
; %bb.1619:                             ;   in Loop: Header=BB371_683 Depth=1
	s_or_b64 exec, exec, s[4:5]
	v_lshlrev_b32_e32 v9, 16, v26
	v_mul_f32_e32 v26, v47, v9
	v_and_b32_e32 v9, 0x7f800000, v26
	v_cmp_ne_u32_e32 vcc, s15, v9
                                        ; implicit-def: $vgpr9
	s_and_saveexec_b64 s[4:5], vcc
	s_xor_b64 s[4:5], exec, s[4:5]
; %bb.1620:                             ;   in Loop: Header=BB371_683 Depth=1
	v_bfe_u32 v9, v26, 16, 1
	v_add3_u32 v9, v26, v9, s21
                                        ; implicit-def: $vgpr26
; %bb.1621:                             ;   in Loop: Header=BB371_683 Depth=1
	s_andn2_saveexec_b64 s[4:5], s[4:5]
; %bb.1622:                             ;   in Loop: Header=BB371_683 Depth=1
	v_or_b32_e32 v9, 0x10000, v26
	v_cmp_eq_u32_sdwa vcc, v26, v11 src0_sel:WORD_0 src1_sel:DWORD
	v_cndmask_b32_e32 v9, v9, v26, vcc
; %bb.1623:                             ;   in Loop: Header=BB371_683 Depth=1
	s_or_b64 exec, exec, s[4:5]
	v_lshlrev_b32_e32 v10, 16, v10
	v_mul_f32_e32 v26, v56, v10
	v_and_b32_e32 v10, 0x7f800000, v26
	v_cmp_ne_u32_e32 vcc, s15, v10
                                        ; implicit-def: $vgpr10
	s_and_saveexec_b64 s[4:5], vcc
	s_xor_b64 s[4:5], exec, s[4:5]
; %bb.1624:                             ;   in Loop: Header=BB371_683 Depth=1
	v_bfe_u32 v10, v26, 16, 1
	v_add3_u32 v10, v26, v10, s21
                                        ; implicit-def: $vgpr26
; %bb.1625:                             ;   in Loop: Header=BB371_683 Depth=1
	s_andn2_saveexec_b64 s[4:5], s[4:5]
	s_cbranch_execz .LBB371_682
; %bb.1626:                             ;   in Loop: Header=BB371_683 Depth=1
	v_or_b32_e32 v10, 0x10000, v26
	v_cmp_eq_u32_sdwa vcc, v26, v11 src0_sel:WORD_0 src1_sel:DWORD
	v_cndmask_b32_e32 v10, v10, v26, vcc
	s_branch .LBB371_682
.LBB371_1627:
	s_or_b64 exec, exec, s[10:11]
	v_accvgpr_read_b32 v22, a5
	v_accvgpr_read_b32 v23, a6
	;; [unrolled: 1-line block ×3, first 2 shown]
.LBB371_1628:
	s_or_b64 exec, exec, s[6:7]
	s_waitcnt lgkmcnt(0)
	s_barrier
	buffer_load_dword v11, off, s[0:3], s32 offset:308 ; 4-byte Folded Reload
	ds_bpermute_b32 v0, v23, v24
	ds_bpermute_b32 v1, v23, v25
	;; [unrolled: 1-line block ×8, first 2 shown]
	s_waitcnt lgkmcnt(0)
	v_pk_add_f32 v[8:9], v[24:25], v[0:1]
	v_pk_add_f32 v[0:1], v[18:19], v[4:5]
	;; [unrolled: 1-line block ×4, first 2 shown]
	s_waitcnt vmcnt(0)
	v_and_b32_e32 v4, 0x3c1, v11
	v_cmp_eq_u32_e32 vcc, 64, v4
	s_and_saveexec_b64 s[4:5], vcc
	s_cbranch_execz .LBB371_1630
; %bb.1629:
	s_ashr_i32 s21, s20, 31
	s_lshl_b64 s[6:7], s[20:21], 2
	s_getpc_b64 s[8:9]
	s_add_u32 s8, s8, llvm.amdgcn.dynlds.offset.table@rel32@lo+4
	s_addc_u32 s9, s9, llvm.amdgcn.dynlds.offset.table@rel32@hi+12
	s_add_u32 s6, s6, s8
	s_addc_u32 s7, s7, s9
	s_load_dword s6, s[6:7], 0x0
	s_waitcnt lgkmcnt(0)
	v_lshl_add_u32 v4, v22, 1, s6
	ds_write2_b32 v4, v8, v9 offset1:32
	ds_write2_b32 v4, v2, v3 offset0:64 offset1:96
	ds_write2_b32 v4, v0, v1 offset0:128 offset1:160
	;; [unrolled: 1-line block ×3, first 2 shown]
.LBB371_1630:
	s_or_b64 exec, exec, s[4:5]
	v_cmp_gt_u32_e32 vcc, 64, v11
	s_waitcnt lgkmcnt(0)
	s_barrier
	s_and_saveexec_b64 s[6:7], vcc
	s_cbranch_execz .LBB371_1641
; %bb.1631:
	v_cmp_eq_u32_e64 s[4:5], 0, v28
	v_lshrrev_b32_e32 v4, 1, v11
	s_and_saveexec_b64 s[8:9], s[4:5]
	s_cbranch_execnz .LBB371_1677
; %bb.1632:
	s_or_b64 exec, exec, s[8:9]
	s_and_saveexec_b64 s[8:9], s[4:5]
	s_cbranch_execnz .LBB371_1678
.LBB371_1633:
	s_or_b64 exec, exec, s[8:9]
	s_and_saveexec_b64 s[8:9], s[4:5]
	s_cbranch_execnz .LBB371_1679
.LBB371_1634:
	s_or_b64 exec, exec, s[8:9]
	s_and_saveexec_b64 s[8:9], s[4:5]
	s_cbranch_execnz .LBB371_1680
.LBB371_1635:
	s_or_b64 exec, exec, s[8:9]
	s_and_saveexec_b64 s[8:9], s[4:5]
	s_cbranch_execnz .LBB371_1681
.LBB371_1636:
	s_or_b64 exec, exec, s[8:9]
	s_and_saveexec_b64 s[8:9], s[4:5]
	s_cbranch_execnz .LBB371_1682
.LBB371_1637:
	s_or_b64 exec, exec, s[8:9]
	s_and_saveexec_b64 s[8:9], s[4:5]
	s_cbranch_execnz .LBB371_1683
.LBB371_1638:
	s_or_b64 exec, exec, s[8:9]
	s_and_saveexec_b64 s[8:9], s[4:5]
	s_cbranch_execz .LBB371_1640
.LBB371_1639:
	s_ashr_i32 s21, s20, 31
	s_lshl_b64 s[4:5], s[20:21], 2
	s_getpc_b64 s[10:11]
	s_add_u32 s10, s10, llvm.amdgcn.dynlds.offset.table@rel32@lo+4
	s_addc_u32 s11, s11, llvm.amdgcn.dynlds.offset.table@rel32@hi+12
	s_add_u32 s4, s4, s10
	s_addc_u32 s5, s5, s11
	s_load_dword s4, s[4:5], 0x0
	s_waitcnt lgkmcnt(0)
	v_lshl_add_u32 v4, v4, 2, s4
	ds_read_b32 v4, v4 offset:896
	s_waitcnt lgkmcnt(0)
	v_add_f32_e32 v7, v7, v4
.LBB371_1640:
	s_or_b64 exec, exec, s[8:9]
.LBB371_1641:
	s_or_b64 exec, exec, s[6:7]
	s_barrier
	s_and_b64 exec, exec, vcc
	s_cbranch_execz .LBB371_1676
; %bb.1642:
	v_cmp_eq_u32_e32 vcc, 0, v28
	s_and_b64 exec, exec, vcc
	s_cbranch_execz .LBB371_1676
; %bb.1643:
	s_mov_b32 s4, 0x7f800000
	v_and_b32_e32 v4, 0x7f800000, v8
	v_cmp_ne_u32_e32 vcc, s4, v4
                                        ; implicit-def: $vgpr4
	s_and_saveexec_b64 s[4:5], vcc
	s_xor_b64 s[4:5], exec, s[4:5]
; %bb.1644:
	v_bfe_u32 v4, v8, 16, 1
	s_movk_i32 s6, 0x7fff
	v_add3_u32 v4, v8, v4, s6
; %bb.1645:
	s_andn2_saveexec_b64 s[4:5], s[4:5]
; %bb.1646:
	v_mov_b32_e32 v4, 0
	v_or_b32_e32 v5, 0x10000, v8
	v_cmp_eq_u32_sdwa vcc, v8, v4 src0_sel:WORD_0 src1_sel:DWORD
	v_cndmask_b32_e32 v4, v5, v8, vcc
; %bb.1647:
	s_or_b64 exec, exec, s[4:5]
	buffer_load_dword v8, off, s[0:3], s32 offset:316 ; 4-byte Folded Reload
	buffer_load_dword v10, off, s[0:3], s32 offset:312 ; 4-byte Folded Reload
	s_mul_i32 s4, s23, s18
	s_mul_i32 s4, s4, s19
	s_lshl_b32 s4, s4, 8
	s_mul_i32 s6, s22, s23
	s_lshl_b32 s8, s14, 8
	s_ashr_i32 s5, s4, 31
	s_ashr_i32 s7, s6, 31
	;; [unrolled: 1-line block ×3, first 2 shown]
	s_lshl_b64 s[4:5], s[4:5], 1
	s_lshl_b64 s[6:7], s[6:7], 1
	;; [unrolled: 1-line block ×3, first 2 shown]
	s_add_u32 s6, s8, s6
	s_addc_u32 s7, s9, s7
	s_add_u32 s4, s6, s4
	s_addc_u32 s5, s7, s5
	v_mov_b32_e32 v5, s5
	s_waitcnt vmcnt(1)
	v_add_co_u32_e32 v8, vcc, s4, v8
	s_waitcnt vmcnt(0)
	v_addc_co_u32_e32 v5, vcc, v5, v10, vcc
	v_and_b32_e32 v10, 0x3fe, v11
	v_add_co_u32_e32 v10, vcc, v8, v10
	v_addc_co_u32_e32 v11, vcc, 0, v5, vcc
	flat_store_short_d16_hi v[10:11], v4
	s_mov_b32 s4, 0x7f800000
	v_and_b32_e32 v4, 0x7f800000, v9
	v_cmp_ne_u32_e32 vcc, s4, v4
                                        ; implicit-def: $vgpr4
	s_and_saveexec_b64 s[4:5], vcc
	s_xor_b64 s[4:5], exec, s[4:5]
; %bb.1648:
	v_bfe_u32 v4, v9, 16, 1
	s_movk_i32 s6, 0x7fff
	v_add3_u32 v4, v9, v4, s6
; %bb.1649:
	s_andn2_saveexec_b64 s[4:5], s[4:5]
; %bb.1650:
	v_mov_b32_e32 v4, 0
	v_or_b32_e32 v5, 0x10000, v9
	v_cmp_eq_u32_sdwa vcc, v9, v4 src0_sel:WORD_0 src1_sel:DWORD
	v_cndmask_b32_e32 v4, v5, v9, vcc
; %bb.1651:
	s_or_b64 exec, exec, s[4:5]
	flat_store_short_d16_hi v[10:11], v4 offset:64
	s_mov_b32 s4, 0x7f800000
	v_and_b32_e32 v4, 0x7f800000, v2
	v_cmp_ne_u32_e32 vcc, s4, v4
                                        ; implicit-def: $vgpr4
	s_and_saveexec_b64 s[4:5], vcc
	s_xor_b64 s[4:5], exec, s[4:5]
; %bb.1652:
	v_bfe_u32 v4, v2, 16, 1
	s_movk_i32 s6, 0x7fff
	v_add3_u32 v4, v2, v4, s6
; %bb.1653:
	s_andn2_saveexec_b64 s[4:5], s[4:5]
; %bb.1654:
	v_mov_b32_e32 v4, 0
	v_or_b32_e32 v5, 0x10000, v2
	v_cmp_eq_u32_sdwa vcc, v2, v4 src0_sel:WORD_0 src1_sel:DWORD
	v_cndmask_b32_e32 v4, v5, v2, vcc
; %bb.1655:
	s_or_b64 exec, exec, s[4:5]
	s_mov_b32 s4, 0x7f800000
	v_and_b32_e32 v2, 0x7f800000, v3
	v_cmp_ne_u32_e32 vcc, s4, v2
	flat_store_short_d16_hi v[10:11], v4 offset:128
                                        ; implicit-def: $vgpr2
	s_and_saveexec_b64 s[4:5], vcc
	s_xor_b64 s[4:5], exec, s[4:5]
; %bb.1656:
	v_bfe_u32 v2, v3, 16, 1
	s_movk_i32 s6, 0x7fff
	v_add3_u32 v2, v3, v2, s6
; %bb.1657:
	s_andn2_saveexec_b64 s[4:5], s[4:5]
; %bb.1658:
	v_mov_b32_e32 v2, 0
	v_or_b32_e32 v4, 0x10000, v3
	v_cmp_eq_u32_sdwa vcc, v3, v2 src0_sel:WORD_0 src1_sel:DWORD
	v_cndmask_b32_e32 v2, v4, v3, vcc
; %bb.1659:
	s_or_b64 exec, exec, s[4:5]
	flat_store_short_d16_hi v[10:11], v2 offset:192
	s_mov_b32 s4, 0x7f800000
	v_and_b32_e32 v2, 0x7f800000, v0
	v_cmp_ne_u32_e32 vcc, s4, v2
                                        ; implicit-def: $vgpr2
	s_and_saveexec_b64 s[4:5], vcc
	s_xor_b64 s[4:5], exec, s[4:5]
; %bb.1660:
	v_bfe_u32 v2, v0, 16, 1
	s_movk_i32 s6, 0x7fff
	v_add3_u32 v2, v0, v2, s6
; %bb.1661:
	s_andn2_saveexec_b64 s[4:5], s[4:5]
; %bb.1662:
	v_mov_b32_e32 v2, 0
	v_or_b32_e32 v3, 0x10000, v0
	v_cmp_eq_u32_sdwa vcc, v0, v2 src0_sel:WORD_0 src1_sel:DWORD
	v_cndmask_b32_e32 v2, v3, v0, vcc
; %bb.1663:
	s_or_b64 exec, exec, s[4:5]
	s_mov_b32 s4, 0x7f800000
	v_and_b32_e32 v0, 0x7f800000, v1
	v_cmp_ne_u32_e32 vcc, s4, v0
	flat_store_short_d16_hi v[10:11], v2 offset:256
                                        ; implicit-def: $vgpr0
	s_and_saveexec_b64 s[4:5], vcc
	s_xor_b64 s[4:5], exec, s[4:5]
; %bb.1664:
	v_bfe_u32 v0, v1, 16, 1
	s_movk_i32 s6, 0x7fff
	v_add3_u32 v0, v1, v0, s6
; %bb.1665:
	s_andn2_saveexec_b64 s[4:5], s[4:5]
; %bb.1666:
	v_mov_b32_e32 v0, 0
	v_or_b32_e32 v2, 0x10000, v1
	v_cmp_eq_u32_sdwa vcc, v1, v0 src0_sel:WORD_0 src1_sel:DWORD
	v_cndmask_b32_e32 v0, v2, v1, vcc
; %bb.1667:
	s_or_b64 exec, exec, s[4:5]
	flat_store_short_d16_hi v[10:11], v0 offset:320
	s_mov_b32 s4, 0x7f800000
	v_and_b32_e32 v0, 0x7f800000, v6
	v_cmp_ne_u32_e32 vcc, s4, v0
                                        ; implicit-def: $vgpr0
	s_and_saveexec_b64 s[4:5], vcc
	s_xor_b64 s[4:5], exec, s[4:5]
; %bb.1668:
	v_bfe_u32 v0, v6, 16, 1
	s_movk_i32 s6, 0x7fff
	v_add3_u32 v0, v6, v0, s6
; %bb.1669:
	s_andn2_saveexec_b64 s[4:5], s[4:5]
; %bb.1670:
	v_mov_b32_e32 v0, 0
	v_or_b32_e32 v1, 0x10000, v6
	v_cmp_eq_u32_sdwa vcc, v6, v0 src0_sel:WORD_0 src1_sel:DWORD
	v_cndmask_b32_e32 v0, v1, v6, vcc
; %bb.1671:
	s_or_b64 exec, exec, s[4:5]
	flat_store_short_d16_hi v[10:11], v0 offset:384
	s_mov_b32 s4, 0x7f800000
	v_and_b32_e32 v0, 0x7f800000, v7
	v_cmp_ne_u32_e32 vcc, s4, v0
                                        ; implicit-def: $vgpr8
	s_and_saveexec_b64 s[4:5], vcc
	s_xor_b64 s[4:5], exec, s[4:5]
; %bb.1672:
	v_bfe_u32 v0, v7, 16, 1
	s_movk_i32 s6, 0x7fff
	v_add3_u32 v8, v7, v0, s6
                                        ; implicit-def: $vgpr0_vgpr1_vgpr2_vgpr3_vgpr4_vgpr5_vgpr6_vgpr7
; %bb.1673:
	s_andn2_saveexec_b64 s[4:5], s[4:5]
; %bb.1674:
	v_mov_b32_e32 v0, 0
	v_or_b32_e32 v1, 0x10000, v7
	v_cmp_eq_u32_sdwa vcc, v7, v0 src0_sel:WORD_0 src1_sel:DWORD
	v_cndmask_b32_e32 v8, v1, v7, vcc
; %bb.1675:
	s_or_b64 exec, exec, s[4:5]
	flat_store_short_d16_hi v[10:11], v8 offset:448
.LBB371_1676:
	s_or_b64 exec, exec, s[16:17]
	buffer_load_dword a63, off, s[0:3], s32 ; 4-byte Folded Reload
	buffer_load_dword a62, off, s[0:3], s32 offset:4 ; 4-byte Folded Reload
	buffer_load_dword a61, off, s[0:3], s32 offset:8 ; 4-byte Folded Reload
	;; [unrolled: 1-line block ×46, first 2 shown]
	v_readlane_b32 s30, v63, 6
	v_readlane_b32 s31, v63, 7
	;; [unrolled: 1-line block ×8, first 2 shown]
	s_or_saveexec_b64 s[4:5], -1
	buffer_load_dword v63, off, s[0:3], s32 offset:392 ; 4-byte Folded Reload
	s_mov_b64 exec, s[4:5]
	s_waitcnt vmcnt(0) lgkmcnt(0)
	s_setpc_b64 s[30:31]
.LBB371_1677:
	s_ashr_i32 s21, s20, 31
	s_lshl_b64 s[10:11], s[20:21], 2
	s_getpc_b64 s[12:13]
	s_add_u32 s12, s12, llvm.amdgcn.dynlds.offset.table@rel32@lo+4
	s_addc_u32 s13, s13, llvm.amdgcn.dynlds.offset.table@rel32@hi+12
	s_add_u32 s10, s10, s12
	s_addc_u32 s11, s11, s13
	s_load_dword s10, s[10:11], 0x0
	s_waitcnt lgkmcnt(0)
	v_lshl_add_u32 v5, v4, 2, s10
	ds_read_b32 v5, v5
	s_waitcnt lgkmcnt(0)
	v_add_f32_e32 v8, v8, v5
	s_or_b64 exec, exec, s[8:9]
	s_and_saveexec_b64 s[8:9], s[4:5]
	s_cbranch_execz .LBB371_1633
.LBB371_1678:
	s_ashr_i32 s21, s20, 31
	s_lshl_b64 s[10:11], s[20:21], 2
	s_getpc_b64 s[12:13]
	s_add_u32 s12, s12, llvm.amdgcn.dynlds.offset.table@rel32@lo+4
	s_addc_u32 s13, s13, llvm.amdgcn.dynlds.offset.table@rel32@hi+12
	s_add_u32 s10, s10, s12
	s_addc_u32 s11, s11, s13
	s_load_dword s10, s[10:11], 0x0
	s_waitcnt lgkmcnt(0)
	v_lshl_add_u32 v5, v4, 2, s10
	ds_read_b32 v5, v5 offset:128
	s_waitcnt lgkmcnt(0)
	v_add_f32_e32 v9, v9, v5
	s_or_b64 exec, exec, s[8:9]
	s_and_saveexec_b64 s[8:9], s[4:5]
	s_cbranch_execz .LBB371_1634
.LBB371_1679:
	s_ashr_i32 s21, s20, 31
	s_lshl_b64 s[10:11], s[20:21], 2
	s_getpc_b64 s[12:13]
	s_add_u32 s12, s12, llvm.amdgcn.dynlds.offset.table@rel32@lo+4
	s_addc_u32 s13, s13, llvm.amdgcn.dynlds.offset.table@rel32@hi+12
	s_add_u32 s10, s10, s12
	s_addc_u32 s11, s11, s13
	s_load_dword s10, s[10:11], 0x0
	s_waitcnt lgkmcnt(0)
	v_lshl_add_u32 v5, v4, 2, s10
	ds_read_b32 v5, v5 offset:256
	s_waitcnt lgkmcnt(0)
	v_add_f32_e32 v2, v2, v5
	s_or_b64 exec, exec, s[8:9]
	s_and_saveexec_b64 s[8:9], s[4:5]
	s_cbranch_execz .LBB371_1635
.LBB371_1680:
	s_ashr_i32 s21, s20, 31
	s_lshl_b64 s[10:11], s[20:21], 2
	s_getpc_b64 s[12:13]
	s_add_u32 s12, s12, llvm.amdgcn.dynlds.offset.table@rel32@lo+4
	s_addc_u32 s13, s13, llvm.amdgcn.dynlds.offset.table@rel32@hi+12
	s_add_u32 s10, s10, s12
	s_addc_u32 s11, s11, s13
	s_load_dword s10, s[10:11], 0x0
	s_waitcnt lgkmcnt(0)
	v_lshl_add_u32 v5, v4, 2, s10
	ds_read_b32 v5, v5 offset:384
	s_waitcnt lgkmcnt(0)
	v_add_f32_e32 v3, v3, v5
	s_or_b64 exec, exec, s[8:9]
	s_and_saveexec_b64 s[8:9], s[4:5]
	s_cbranch_execz .LBB371_1636
.LBB371_1681:
	s_ashr_i32 s21, s20, 31
	s_lshl_b64 s[10:11], s[20:21], 2
	s_getpc_b64 s[12:13]
	s_add_u32 s12, s12, llvm.amdgcn.dynlds.offset.table@rel32@lo+4
	s_addc_u32 s13, s13, llvm.amdgcn.dynlds.offset.table@rel32@hi+12
	s_add_u32 s10, s10, s12
	s_addc_u32 s11, s11, s13
	s_load_dword s10, s[10:11], 0x0
	s_waitcnt lgkmcnt(0)
	v_lshl_add_u32 v5, v4, 2, s10
	ds_read_b32 v5, v5 offset:512
	s_waitcnt lgkmcnt(0)
	v_add_f32_e32 v0, v0, v5
	s_or_b64 exec, exec, s[8:9]
	s_and_saveexec_b64 s[8:9], s[4:5]
	s_cbranch_execz .LBB371_1637
.LBB371_1682:
	s_ashr_i32 s21, s20, 31
	s_lshl_b64 s[10:11], s[20:21], 2
	s_getpc_b64 s[12:13]
	s_add_u32 s12, s12, llvm.amdgcn.dynlds.offset.table@rel32@lo+4
	s_addc_u32 s13, s13, llvm.amdgcn.dynlds.offset.table@rel32@hi+12
	s_add_u32 s10, s10, s12
	s_addc_u32 s11, s11, s13
	s_load_dword s10, s[10:11], 0x0
	s_waitcnt lgkmcnt(0)
	v_lshl_add_u32 v5, v4, 2, s10
	ds_read_b32 v5, v5 offset:640
	s_waitcnt lgkmcnt(0)
	v_add_f32_e32 v1, v1, v5
	s_or_b64 exec, exec, s[8:9]
	s_and_saveexec_b64 s[8:9], s[4:5]
	s_cbranch_execz .LBB371_1638
.LBB371_1683:
	s_ashr_i32 s21, s20, 31
	s_lshl_b64 s[10:11], s[20:21], 2
	s_getpc_b64 s[12:13]
	s_add_u32 s12, s12, llvm.amdgcn.dynlds.offset.table@rel32@lo+4
	s_addc_u32 s13, s13, llvm.amdgcn.dynlds.offset.table@rel32@hi+12
	s_add_u32 s10, s10, s12
	s_addc_u32 s11, s11, s13
	s_load_dword s10, s[10:11], 0x0
	s_waitcnt lgkmcnt(0)
	v_lshl_add_u32 v5, v4, 2, s10
	ds_read_b32 v5, v5 offset:768
	s_waitcnt lgkmcnt(0)
	v_add_f32_e32 v6, v6, v5
	s_or_b64 exec, exec, s[8:9]
	s_and_saveexec_b64 s[8:9], s[4:5]
	s_cbranch_execnz .LBB371_1639
	s_branch .LBB371_1640
.Lfunc_end371:
	.size	_ZN4vllm22paged_attention_kernelI14__hip_bfloat16hLi256ELi16ELi128ELNS_18Fp8KVCacheDataTypeE1ELb0ELi512EEEvPfS3_PT_PKS4_PKT0_SA_ifPKiSC_iPKfiiiSE_SE_iiiii, .Lfunc_end371-_ZN4vllm22paged_attention_kernelI14__hip_bfloat16hLi256ELi16ELi128ELNS_18Fp8KVCacheDataTypeE1ELb0ELi512EEEvPfS3_PT_PKS4_PKT0_SA_ifPKiSC_iPKfiiiSE_SE_iiiii
                                        ; -- End function
	.section	.AMDGPU.csdata,"",@progbits
; Function info:
; codeLenInByte = 52148
; NumSgprs: 44
; NumVgprs: 64
; NumAgprs: 64
; TotalNumVgprs: 128
; ScratchSize: 400
; MemoryBound: 0
	.section	.text._ZN4vllm25paged_attention_v2_kernelI14__hip_bfloat16hLi256ELi16ELi128ELNS_18Fp8KVCacheDataTypeE1ELb0ELi512EEEvPfS3_PT_PKS4_PKT0_SA_ifPKiSC_iPKfiiiSE_SE_iiiii,"axG",@progbits,_ZN4vllm25paged_attention_v2_kernelI14__hip_bfloat16hLi256ELi16ELi128ELNS_18Fp8KVCacheDataTypeE1ELb0ELi512EEEvPfS3_PT_PKS4_PKT0_SA_ifPKiSC_iPKfiiiSE_SE_iiiii,comdat
	.protected	_ZN4vllm25paged_attention_v2_kernelI14__hip_bfloat16hLi256ELi16ELi128ELNS_18Fp8KVCacheDataTypeE1ELb0ELi512EEEvPfS3_PT_PKS4_PKT0_SA_ifPKiSC_iPKfiiiSE_SE_iiiii ; -- Begin function _ZN4vllm25paged_attention_v2_kernelI14__hip_bfloat16hLi256ELi16ELi128ELNS_18Fp8KVCacheDataTypeE1ELb0ELi512EEEvPfS3_PT_PKS4_PKT0_SA_ifPKiSC_iPKfiiiSE_SE_iiiii
	.globl	_ZN4vllm25paged_attention_v2_kernelI14__hip_bfloat16hLi256ELi16ELi128ELNS_18Fp8KVCacheDataTypeE1ELb0ELi512EEEvPfS3_PT_PKS4_PKT0_SA_ifPKiSC_iPKfiiiSE_SE_iiiii
	.p2align	8
	.type	_ZN4vllm25paged_attention_v2_kernelI14__hip_bfloat16hLi256ELi16ELi128ELNS_18Fp8KVCacheDataTypeE1ELb0ELi512EEEvPfS3_PT_PKS4_PKT0_SA_ifPKiSC_iPKfiiiSE_SE_iiiii,@function
_ZN4vllm25paged_attention_v2_kernelI14__hip_bfloat16hLi256ELi16ELi128ELNS_18Fp8KVCacheDataTypeE1ELb0ELi512EEEvPfS3_PT_PKS4_PKT0_SA_ifPKiSC_iPKfiiiSE_SE_iiiii: ; @_ZN4vllm25paged_attention_v2_kernelI14__hip_bfloat16hLi256ELi16ELi128ELNS_18Fp8KVCacheDataTypeE1ELb0ELi512EEEvPfS3_PT_PKS4_PKT0_SA_ifPKiSC_iPKfiiiSE_SE_iiiii
; %bb.0:
	s_add_u32 flat_scratch_lo, s6, s11
	s_addc_u32 flat_scratch_hi, s7, 0
	s_add_u32 s0, s0, s11
	s_load_dwordx8 s[24:31], s[4:5], 0x0
	s_load_dwordx8 s[16:23], s[4:5], 0x20
	s_load_dwordx2 s[6:7], s[4:5], 0x40
	s_load_dwordx2 s[34:35], s[4:5], 0x50
	s_load_dword s11, s[4:5], 0x48
	s_load_dwordx8 s[36:43], s[4:5], 0x58
	s_addc_u32 s1, s1, 0
	s_mov_b32 s12, s8
	s_add_u32 s8, s4, 0x90
	s_mov_b32 s13, s9
	s_addc_u32 s9, s5, 0
	s_mov_b32 s14, s10
	s_mov_b32 s15, 16
	v_mov_b32_e32 v31, v0
	s_waitcnt lgkmcnt(0)
	v_mov_b32_e32 v0, s24
	v_mov_b32_e32 v1, s25
	;; [unrolled: 1-line block ×28, first 2 shown]
	s_mov_b32 s32, 0
	s_getpc_b64 s[4:5]
	s_add_u32 s4, s4, _ZN4vllm22paged_attention_kernelI14__hip_bfloat16hLi256ELi16ELi128ELNS_18Fp8KVCacheDataTypeE1ELb0ELi512EEEvPfS3_PT_PKS4_PKT0_SA_ifPKiSC_iPKfiiiSE_SE_iiiii@rel32@lo+4
	s_addc_u32 s5, s5, _ZN4vllm22paged_attention_kernelI14__hip_bfloat16hLi256ELi16ELi128ELNS_18Fp8KVCacheDataTypeE1ELb0ELi512EEEvPfS3_PT_PKS4_PKT0_SA_ifPKiSC_iPKfiiiSE_SE_iiiii@rel32@hi+12
	s_swappc_b64 s[30:31], s[4:5]
	s_endpgm
	.section	.rodata,"a",@progbits
	.p2align	6, 0x0
	.amdhsa_kernel _ZN4vllm25paged_attention_v2_kernelI14__hip_bfloat16hLi256ELi16ELi128ELNS_18Fp8KVCacheDataTypeE1ELb0ELi512EEEvPfS3_PT_PKS4_PKT0_SA_ifPKiSC_iPKfiiiSE_SE_iiiii
		.amdhsa_group_segment_fixed_size 528
		.amdhsa_private_segment_fixed_size 400
		.amdhsa_kernarg_size 400
		.amdhsa_user_sgpr_count 8
		.amdhsa_user_sgpr_private_segment_buffer 1
		.amdhsa_user_sgpr_dispatch_ptr 0
		.amdhsa_user_sgpr_queue_ptr 0
		.amdhsa_user_sgpr_kernarg_segment_ptr 1
		.amdhsa_user_sgpr_dispatch_id 0
		.amdhsa_user_sgpr_flat_scratch_init 1
		.amdhsa_user_sgpr_kernarg_preload_length 0
		.amdhsa_user_sgpr_kernarg_preload_offset 0
		.amdhsa_user_sgpr_private_segment_size 0
		.amdhsa_uses_dynamic_stack 0
		.amdhsa_system_sgpr_private_segment_wavefront_offset 1
		.amdhsa_system_sgpr_workgroup_id_x 1
		.amdhsa_system_sgpr_workgroup_id_y 1
		.amdhsa_system_sgpr_workgroup_id_z 1
		.amdhsa_system_sgpr_workgroup_info 0
		.amdhsa_system_vgpr_workitem_id 0
		.amdhsa_next_free_vgpr 128
		.amdhsa_next_free_sgpr 44
		.amdhsa_accum_offset 64
		.amdhsa_reserve_vcc 1
		.amdhsa_reserve_flat_scratch 1
		.amdhsa_float_round_mode_32 0
		.amdhsa_float_round_mode_16_64 0
		.amdhsa_float_denorm_mode_32 3
		.amdhsa_float_denorm_mode_16_64 3
		.amdhsa_dx10_clamp 1
		.amdhsa_ieee_mode 1
		.amdhsa_fp16_overflow 0
		.amdhsa_tg_split 0
		.amdhsa_exception_fp_ieee_invalid_op 0
		.amdhsa_exception_fp_denorm_src 0
		.amdhsa_exception_fp_ieee_div_zero 0
		.amdhsa_exception_fp_ieee_overflow 0
		.amdhsa_exception_fp_ieee_underflow 0
		.amdhsa_exception_fp_ieee_inexact 0
		.amdhsa_exception_int_div_zero 0
	.end_amdhsa_kernel
	.section	.text._ZN4vllm25paged_attention_v2_kernelI14__hip_bfloat16hLi256ELi16ELi128ELNS_18Fp8KVCacheDataTypeE1ELb0ELi512EEEvPfS3_PT_PKS4_PKT0_SA_ifPKiSC_iPKfiiiSE_SE_iiiii,"axG",@progbits,_ZN4vllm25paged_attention_v2_kernelI14__hip_bfloat16hLi256ELi16ELi128ELNS_18Fp8KVCacheDataTypeE1ELb0ELi512EEEvPfS3_PT_PKS4_PKT0_SA_ifPKiSC_iPKfiiiSE_SE_iiiii,comdat
.Lfunc_end372:
	.size	_ZN4vllm25paged_attention_v2_kernelI14__hip_bfloat16hLi256ELi16ELi128ELNS_18Fp8KVCacheDataTypeE1ELb0ELi512EEEvPfS3_PT_PKS4_PKT0_SA_ifPKiSC_iPKfiiiSE_SE_iiiii, .Lfunc_end372-_ZN4vllm25paged_attention_v2_kernelI14__hip_bfloat16hLi256ELi16ELi128ELNS_18Fp8KVCacheDataTypeE1ELb0ELi512EEEvPfS3_PT_PKS4_PKT0_SA_ifPKiSC_iPKfiiiSE_SE_iiiii
                                        ; -- End function
	.section	.AMDGPU.csdata,"",@progbits
; Kernel info:
; codeLenInByte = 244
; NumSgprs: 50
; NumVgprs: 64
; NumAgprs: 64
; TotalNumVgprs: 128
; ScratchSize: 400
; MemoryBound: 0
; FloatMode: 240
; IeeeMode: 1
; LDSByteSize: 528 bytes/workgroup (compile time only)
; SGPRBlocks: 6
; VGPRBlocks: 15
; NumSGPRsForWavesPerEU: 50
; NumVGPRsForWavesPerEU: 128
; AccumOffset: 64
; Occupancy: 4
; WaveLimiterHint : 1
; COMPUTE_PGM_RSRC2:SCRATCH_EN: 1
; COMPUTE_PGM_RSRC2:USER_SGPR: 8
; COMPUTE_PGM_RSRC2:TRAP_HANDLER: 0
; COMPUTE_PGM_RSRC2:TGID_X_EN: 1
; COMPUTE_PGM_RSRC2:TGID_Y_EN: 1
; COMPUTE_PGM_RSRC2:TGID_Z_EN: 1
; COMPUTE_PGM_RSRC2:TIDIG_COMP_CNT: 0
; COMPUTE_PGM_RSRC3_GFX90A:ACCUM_OFFSET: 15
; COMPUTE_PGM_RSRC3_GFX90A:TG_SPLIT: 0
	.section	.text._ZN4vllm25paged_attention_v2_kernelI14__hip_bfloat16hLi32ELi32ELi128ELNS_18Fp8KVCacheDataTypeE1ELb1ELi512EEEvPfS3_PT_PKS4_PKT0_SA_ifPKiSC_iPKfiiiSE_SE_iiiii,"axG",@progbits,_ZN4vllm25paged_attention_v2_kernelI14__hip_bfloat16hLi32ELi32ELi128ELNS_18Fp8KVCacheDataTypeE1ELb1ELi512EEEvPfS3_PT_PKS4_PKT0_SA_ifPKiSC_iPKfiiiSE_SE_iiiii,comdat
	.protected	_ZN4vllm25paged_attention_v2_kernelI14__hip_bfloat16hLi32ELi32ELi128ELNS_18Fp8KVCacheDataTypeE1ELb1ELi512EEEvPfS3_PT_PKS4_PKT0_SA_ifPKiSC_iPKfiiiSE_SE_iiiii ; -- Begin function _ZN4vllm25paged_attention_v2_kernelI14__hip_bfloat16hLi32ELi32ELi128ELNS_18Fp8KVCacheDataTypeE1ELb1ELi512EEEvPfS3_PT_PKS4_PKT0_SA_ifPKiSC_iPKfiiiSE_SE_iiiii
	.globl	_ZN4vllm25paged_attention_v2_kernelI14__hip_bfloat16hLi32ELi32ELi128ELNS_18Fp8KVCacheDataTypeE1ELb1ELi512EEEvPfS3_PT_PKS4_PKT0_SA_ifPKiSC_iPKfiiiSE_SE_iiiii
	.p2align	8
	.type	_ZN4vllm25paged_attention_v2_kernelI14__hip_bfloat16hLi32ELi32ELi128ELNS_18Fp8KVCacheDataTypeE1ELb1ELi512EEEvPfS3_PT_PKS4_PKT0_SA_ifPKiSC_iPKfiiiSE_SE_iiiii,@function
_ZN4vllm25paged_attention_v2_kernelI14__hip_bfloat16hLi32ELi32ELi128ELNS_18Fp8KVCacheDataTypeE1ELb1ELi512EEEvPfS3_PT_PKS4_PKT0_SA_ifPKiSC_iPKfiiiSE_SE_iiiii: ; @_ZN4vllm25paged_attention_v2_kernelI14__hip_bfloat16hLi32ELi32ELi128ELNS_18Fp8KVCacheDataTypeE1ELb1ELi512EEEvPfS3_PT_PKS4_PKT0_SA_ifPKiSC_iPKfiiiSE_SE_iiiii
; %bb.0:
	s_load_dwordx2 s[0:1], s[4:5], 0x40
	s_mov_b32 s28, s7
	s_ashr_i32 s29, s7, 31
	s_lshl_b64 s[2:3], s[28:29], 2
	s_waitcnt lgkmcnt(0)
	s_add_u32 s0, s0, s2
	s_addc_u32 s1, s1, s3
	s_load_dword s33, s[0:1], 0x0
	s_lshl_b32 s9, s8, 9
	s_waitcnt lgkmcnt(0)
	s_cmp_ge_i32 s9, s33
	s_cbranch_scc1 .LBB373_492
; %bb.1:
	s_load_dword s29, s[4:5], 0x90
	s_load_dwordx2 s[42:43], s[4:5], 0x30
	s_mov_b32 s55, 0
	s_waitcnt lgkmcnt(0)
	s_abs_i32 s2, s29
	s_abs_i32 s0, s42
	v_cvt_f32_u32_e32 v1, s0
	s_sub_i32 s3, 0, s0
	s_xor_b32 s1, s29, s42
	s_ashr_i32 s1, s1, 31
	v_rcp_iflag_f32_e32 v1, v1
	v_mul_f32_e32 v1, 0x4f7ffffe, v1
	v_cvt_u32_f32_e32 v1, v1
	v_readfirstlane_b32 s7, v1
	s_mul_i32 s3, s3, s7
	s_mul_hi_u32 s3, s7, s3
	s_add_i32 s7, s7, s3
	s_mul_hi_u32 s3, s2, s7
	s_mul_i32 s7, s3, s0
	s_sub_i32 s2, s2, s7
	s_add_i32 s10, s3, 1
	s_sub_i32 s7, s2, s0
	s_cmp_ge_u32 s2, s0
	s_cselect_b32 s3, s10, s3
	s_cselect_b32 s2, s7, s2
	s_add_i32 s7, s3, 1
	s_cmp_ge_u32 s2, s0
	s_cselect_b32 s0, s7, s3
	s_xor_b32 s0, s0, s1
	s_sub_i32 s11, s0, s1
	s_abs_i32 s2, s11
	v_cvt_f32_u32_e32 v1, s2
	s_load_dwordx2 s[0:1], s[4:5], 0x50
	s_sub_i32 s7, 0, s2
	s_abs_i32 s3, s6
	v_rcp_iflag_f32_e32 v1, v1
	v_mul_f32_e32 v1, 0x4f7ffffe, v1
	v_cvt_u32_f32_e32 v1, v1
	v_readfirstlane_b32 s10, v1
	s_mul_i32 s7, s7, s10
	s_mul_hi_u32 s7, s10, s7
	s_add_i32 s10, s10, s7
	s_waitcnt lgkmcnt(0)
	s_cmp_eq_u64 s[0:1], 0
	s_mul_hi_u32 s10, s3, s10
	s_cbranch_scc1 .LBB373_3
; %bb.2:
	s_ashr_i32 s7, s6, 31
	s_lshl_b64 s[12:13], s[6:7], 2
	s_add_u32 s0, s0, s12
	s_addc_u32 s1, s1, s13
	s_load_dword s55, s[0:1], 0x0
.LBB373_3:
	s_load_dwordx4 s[16:19], s[4:5], 0x58
	s_ashr_i32 s7, s6, 31
	s_ashr_i32 s11, s11, 31
	v_and_b32_e32 v2, 1, v0
	s_lshl_b32 s30, s6, 5
	v_cmp_gt_u32_e32 vcc, 8, v0
	v_lshlrev_b32_e32 v25, 3, v0
	s_and_saveexec_b64 s[0:1], vcc
	s_cbranch_execz .LBB373_5
; %bb.4:
	s_load_dwordx2 s[12:13], s[4:5], 0x18
	s_waitcnt lgkmcnt(0)
	s_mul_i32 s14, s28, s16
	s_ashr_i32 s15, s14, 31
	s_lshl_b64 s[14:15], s[14:15], 1
	v_lshlrev_b32_e32 v1, 2, v0
	s_add_u32 s14, s12, s14
	s_addc_u32 s15, s13, s15
	s_ashr_i32 s31, s30, 31
	s_lshl_b64 s[12:13], s[30:31], 1
	s_add_u32 s12, s14, s12
	s_addc_u32 s13, s15, s13
	global_load_dwordx2 v[4:5], v25, s[12:13]
	v_and_b32_e32 v1, 0xff8, v1
	v_lshl_add_u32 v1, v2, 5, v1
	s_waitcnt vmcnt(0)
	ds_write_b64 v1, v[4:5]
.LBB373_5:
	s_or_b64 exec, exec, s[0:1]
	s_mul_i32 s1, s10, s2
	s_sub_i32 s1, s3, s1
	s_xor_b32 s0, s7, s11
	s_add_i32 s3, s10, 1
	s_sub_i32 s7, s1, s2
	s_load_dwordx4 s[20:23], s[4:5], 0x78
	s_cmp_ge_u32 s1, s2
	s_cselect_b32 s3, s3, s10
	s_cselect_b32 s1, s7, s1
	s_add_i32 s7, s3, 1
	s_cmp_ge_u32 s1, s2
	s_cselect_b32 s1, s7, s3
	s_load_dword s7, s[4:5], 0x88
	s_waitcnt lgkmcnt(0)
	s_abs_i32 s31, s23
	v_cvt_f32_u32_e32 v1, s31
	s_xor_b32 s1, s1, s0
	s_sub_i32 s54, s1, s0
	s_sub_i32 s0, 0, s31
	v_rcp_iflag_f32_e32 v1, v1
	s_add_i32 s10, s33, -1
	s_abs_i32 s2, s10
	v_mul_f32_e32 v1, 0x4f7ffffe, v1
	v_cvt_u32_f32_e32 v1, v1
	s_barrier
	v_readfirstlane_b32 s52, v1
	s_mul_i32 s0, s0, s52
	s_mul_hi_u32 s0, s52, s0
	s_add_i32 s52, s52, s0
	s_cmp_lt_i32 s7, 0
	s_mul_hi_u32 s3, s2, s52
	s_cbranch_scc0 .LBB373_7
; %bb.6:
	s_mul_i32 s0, s20, s42
	s_add_i32 s0, s54, s0
	s_mul_i32 s0, s0, s7
	s_sub_i32 s42, 1, s0
	s_mov_b64 s[0:1], 0
	s_branch .LBB373_8
.LBB373_7:
	s_mov_b64 s[0:1], -1
                                        ; implicit-def: $sgpr42
.LBB373_8:
	s_load_dwordx2 s[36:37], s[4:5], 0x38
	s_ashr_i32 s10, s10, 31
	s_andn2_b64 vcc, exec, s[0:1]
	s_ashr_i32 s23, s23, 31
	s_cbranch_vccnz .LBB373_10
; %bb.9:
	s_mul_i32 s0, s29, s20
	s_add_i32 s0, s0, s6
	s_mul_i32 s0, s0, s7
	s_add_i32 s42, s0, 1
.LBB373_10:
	s_load_dwordx2 s[40:41], s[4:5], 0x28
	s_load_dword s0, s[4:5], 0x48
	s_load_dwordx4 s[24:27], s[4:5], 0x0
	s_load_dwordx2 s[34:35], s[4:5], 0x10
	s_load_dword s20, s[4:5], 0x98
	s_load_dwordx4 s[12:15], s[4:5], 0x68
	s_mul_i32 s1, s3, s31
	s_waitcnt lgkmcnt(0)
	s_mul_i32 s38, s28, s0
	s_sub_i32 s1, s2, s1
	s_ashr_i32 s39, s38, 31
	s_xor_b32 s0, s10, s23
	s_add_i32 s2, s3, 1
	s_sub_i32 s7, s1, s31
	s_cmp_ge_u32 s1, s31
	s_cselect_b32 s2, s2, s3
	s_cselect_b32 s1, s7, s1
	s_add_i32 s3, s2, 1
	s_cmp_ge_u32 s1, s31
	s_cselect_b32 s1, s3, s2
	s_xor_b32 s1, s1, s0
	s_sub_i32 s16, s1, s0
	s_add_i32 s0, s33, 31
	s_ashr_i32 s1, s0, 31
	s_lshr_b32 s1, s1, 27
	s_add_i32 s0, s0, s1
	s_lshl_b32 s56, s8, 4
	s_ashr_i32 s7, s0, 5
	s_add_i32 s0, s56, 16
	v_lshrrev_b32_e32 v26, 6, v0
	s_min_i32 s53, s0, s7
	v_or_b32_e32 v10, s56, v26
	v_cmp_gt_i32_e64 s[0:1], s53, v10
	v_mov_b32_e32 v28, 0xff7fffff
	s_mul_i32 s54, s54, s18
	v_ashrrev_i32_e32 v11, 31, v10
	v_lshl_add_u32 v1, v26, 5, s9
	v_mbcnt_lo_u32_b32 v15, -1, 0
	s_and_saveexec_b64 s[18:19], s[0:1]
	s_cbranch_execz .LBB373_180
; %bb.11:
	s_load_dwordx2 s[2:3], s[4:5], 0x20
	s_sub_i32 s57, s16, s21
	s_ashr_i32 s4, s54, 31
	v_cmp_eq_u32_e32 vcc, 0, v2
	v_lshlrev_b32_e32 v14, 2, v2
	s_waitcnt lgkmcnt(0)
	s_add_u32 s2, s2, s54
	s_addc_u32 s3, s3, s4
	s_abs_i32 s59, s22
	v_cvt_f32_u32_e32 v3, s59
	s_sub_i32 s4, 0, s59
	v_lshlrev_b32_e32 v24, 5, v2
	v_bfe_u32 v21, v0, 1, 5
	v_rcp_iflag_f32_e32 v3, v3
	v_lshlrev_b32_e32 v4, 4, v21
	v_mov_b32_e32 v5, s3
	v_add_co_u32_e64 v12, s[2:3], s2, v4
	v_mul_f32_e32 v3, 0x4f7ffffe, v3
	v_cvt_u32_f32_e32 v3, v3
	v_addc_co_u32_e64 v13, s[2:3], 0, v5, s[2:3]
	s_mov_b32 s58, s17
	v_mul_lo_u32 v2, s4, v3
	s_lshl_b64 s[4:5], s[38:39], 2
	v_mul_hi_u32 v2, v3, v2
	s_add_u32 s4, s36, s4
	v_add_u32_e32 v27, v3, v2
	v_lshlrev_b64 v[2:3], 2, v[10:11]
	s_addc_u32 s5, s37, s5
	v_mov_b32_e32 v4, s5
	v_add_co_u32_e64 v16, s[4:5], s4, v2
	v_lshlrev_b32_e32 v2, 2, v21
	v_lshl_or_b32 v2, v26, 7, v2
	v_add_u32_e32 v30, 0x50, v2
	v_subrev_u32_e32 v2, s33, v21
	v_mov_b32_e32 v23, 0
	v_cmp_neq_f32_e64 s[2:3], s55, 0
	v_addc_co_u32_e64 v17, s[4:5], v4, v3, s[4:5]
	v_lshl_add_u32 v29, v26, 5, s9
	v_add_u32_e32 v31, 1, v2
	s_mov_b64 s[44:45], 0
	v_mov_b32_e32 v32, 0xff7fffff
	s_movk_i32 s60, 0x80
	s_movk_i32 s61, 0x7f
	s_mov_b32 s62, 0x7f800000
	s_movk_i32 s63, 0x7fff
	s_mov_b32 s64, 0xffffff
	v_bfrev_b32_e32 v33, 60
	v_mbcnt_hi_u32_b32 v34, -1, v15
	v_mov_b32_e32 v28, 0xff7fffff
	v_mov_b32_e32 v35, v10
	s_branch .LBB373_14
.LBB373_12:                             ;   in Loop: Header=BB373_14 Depth=1
	s_or_b64 exec, exec, s[46:47]
.LBB373_13:                             ;   in Loop: Header=BB373_14 Depth=1
	s_or_b64 exec, exec, s[10:11]
	v_add_co_u32_e64 v16, s[4:5], 8, v16
	v_add_u32_e32 v35, 2, v35
	v_addc_co_u32_e64 v17, s[4:5], 0, v17, s[4:5]
	v_cmp_le_i32_e64 s[4:5], s53, v35
	v_add_u32_e32 v29, 64, v29
	s_or_b64 s[44:45], s[4:5], s[44:45]
	v_add_u32_e32 v30, 0x100, v30
	s_andn2_b64 exec, exec, s[44:45]
	s_cbranch_execz .LBB373_179
.LBB373_14:                             ; =>This Inner Loop Header: Depth=1
	s_waitcnt lgkmcnt(0)
	v_sub_u32_e32 v3, 0, v29
	v_max_i32_e32 v3, v29, v3
	v_mul_hi_u32 v4, v3, s52
	v_mul_lo_u32 v5, v4, s31
	v_sub_u32_e32 v3, v3, v5
	v_add_u32_e32 v5, 1, v4
	v_cmp_le_u32_e64 s[4:5], s31, v3
	v_cndmask_b32_e64 v4, v4, v5, s[4:5]
	v_subrev_u32_e32 v5, s31, v3
	v_cndmask_b32_e64 v3, v3, v5, s[4:5]
	v_ashrrev_i32_e32 v2, 31, v29
	v_add_u32_e32 v5, 1, v4
	v_cmp_le_u32_e64 s[4:5], s31, v3
	v_xor_b32_e32 v2, s23, v2
	v_cndmask_b32_e64 v3, v4, v5, s[4:5]
	v_xor_b32_e32 v3, v3, v2
	v_sub_u32_e32 v2, v3, v2
	v_add_u32_e32 v3, s42, v2
	v_sub_u32_e32 v5, 0, v3
	v_ashrrev_i32_e32 v4, 31, v3
	v_max_i32_e32 v3, v3, v5
	v_mul_hi_u32 v5, v3, v27
	v_mul_lo_u32 v5, v5, s59
	v_sub_u32_e32 v3, v3, v5
	v_subrev_u32_e32 v5, s59, v3
	v_cmp_le_u32_e64 s[4:5], s59, v3
	v_cndmask_b32_e64 v3, v3, v5, s[4:5]
	v_subrev_u32_e32 v5, s59, v3
	v_cmp_le_u32_e64 s[4:5], s59, v3
	v_cndmask_b32_e64 v3, v3, v5, s[4:5]
	v_xor_b32_e32 v3, v3, v4
	v_sub_u32_e32 v3, v3, v4
	v_cmp_ne_u32_e64 s[4:5], 0, v3
	v_cmp_ge_i32_e64 s[10:11], s57, v2
	s_and_b64 s[4:5], s[4:5], s[10:11]
	s_and_b64 s[46:47], vcc, s[4:5]
	s_and_saveexec_b64 s[10:11], s[46:47]
	s_cbranch_execz .LBB373_16
; %bb.15:                               ;   in Loop: Header=BB373_14 Depth=1
	ds_write_b32 v30, v32
.LBB373_16:                             ;   in Loop: Header=BB373_14 Depth=1
	s_or_b64 exec, exec, s[10:11]
	s_xor_b64 s[4:5], s[4:5], -1
	s_and_saveexec_b64 s[10:11], s[4:5]
	s_cbranch_execz .LBB373_13
; %bb.17:                               ;   in Loop: Header=BB373_14 Depth=1
	global_load_dword v2, v[16:17], off
	v_mov_b32_e32 v22, 0
	s_waitcnt vmcnt(0)
	v_mad_i64_i32 v[2:3], s[4:5], v2, s58, v[12:13]
	v_add_co_u32_e64 v18, s[4:5], v2, v14
	v_addc_co_u32_e64 v19, s[4:5], 0, v3, s[4:5]
	global_load_dword v20, v[18:19], off
	ds_read_b128 v[6:9], v24
	ds_read_b128 v[2:5], v24 offset:16
	s_load_dword s65, s[12:13], 0x0
	s_waitcnt vmcnt(0)
	v_cmp_ne_u16_sdwa s[4:5], v20, v23 src0_sel:BYTE_0 src1_sel:DWORD
	s_and_saveexec_b64 s[46:47], s[4:5]
	s_cbranch_execz .LBB373_23
; %bb.18:                               ;   in Loop: Header=BB373_14 Depth=1
	v_cmp_ne_u16_sdwa s[4:5], v20, s60 src0_sel:BYTE_0 src1_sel:DWORD
	v_bfrev_b32_e32 v22, 1
	s_and_saveexec_b64 s[48:49], s[4:5]
	s_cbranch_execz .LBB373_22
; %bb.19:                               ;   in Loop: Header=BB373_14 Depth=1
	v_and_b32_e32 v36, 0x7f, v20
	v_cmp_ne_u32_e64 s[4:5], s61, v36
	v_mov_b32_e32 v22, 0x7f800001
	s_and_saveexec_b64 s[50:51], s[4:5]
	s_cbranch_execz .LBB373_21
; %bb.20:                               ;   in Loop: Header=BB373_14 Depth=1
	v_and_b32_e32 v22, 7, v20
	v_ffbh_u32_e32 v38, v22
	v_min_u32_e32 v40, 32, v38
	v_subrev_u32_e32 v38, 28, v40
	v_lshlrev_b64 v[38:39], v38, v[20:21]
	v_lshrrev_b32_e32 v37, 3, v36
	v_sub_u32_e32 v39, 29, v40
	v_and_b32_e32 v38, 7, v38
	v_cmp_gt_u32_e64 s[4:5], 8, v36
	v_cndmask_b32_e64 v36, v37, v39, s[4:5]
	v_cndmask_b32_e64 v22, v22, v38, s[4:5]
	v_lshlrev_b32_e32 v37, 24, v20
	v_lshlrev_b32_e32 v22, 20, v22
	v_and_b32_e32 v37, 0x80000000, v37
	v_lshl_add_u32 v36, v36, 23, v33
	v_or3_b32 v22, v37, v36, v22
.LBB373_21:                             ;   in Loop: Header=BB373_14 Depth=1
	s_or_b64 exec, exec, s[50:51]
.LBB373_22:                             ;   in Loop: Header=BB373_14 Depth=1
	s_or_b64 exec, exec, s[48:49]
.LBB373_23:                             ;   in Loop: Header=BB373_14 Depth=1
	s_or_b64 exec, exec, s[46:47]
	s_waitcnt lgkmcnt(0)
	v_mul_f32_e32 v22, s65, v22
	v_and_b32_e32 v36, 0x7f800000, v22
	v_cmp_ne_u32_e64 s[4:5], s62, v36
                                        ; implicit-def: $vgpr36
	s_and_saveexec_b64 s[46:47], s[4:5]
	s_xor_b64 s[4:5], exec, s[46:47]
; %bb.24:                               ;   in Loop: Header=BB373_14 Depth=1
	v_bfe_u32 v36, v22, 16, 1
	v_add3_u32 v36, v22, v36, s63
                                        ; implicit-def: $vgpr22
; %bb.25:                               ;   in Loop: Header=BB373_14 Depth=1
	s_andn2_saveexec_b64 s[46:47], s[4:5]
; %bb.26:                               ;   in Loop: Header=BB373_14 Depth=1
	v_or_b32_e32 v36, 0x10000, v22
	v_cmp_eq_u32_sdwa s[4:5], v22, v23 src0_sel:WORD_0 src1_sel:DWORD
	v_cndmask_b32_e64 v36, v36, v22, s[4:5]
; %bb.27:                               ;   in Loop: Header=BB373_14 Depth=1
	s_or_b64 exec, exec, s[46:47]
	v_lshrrev_b16_e32 v22, 8, v20
	v_cmp_ne_u16_e64 s[4:5], 0, v22
	v_mov_b32_e32 v37, 0
	s_and_saveexec_b64 s[46:47], s[4:5]
	s_cbranch_execz .LBB373_33
; %bb.28:                               ;   in Loop: Header=BB373_14 Depth=1
	v_cmp_ne_u16_e64 s[4:5], s60, v22
	v_bfrev_b32_e32 v37, 1
	s_and_saveexec_b64 s[48:49], s[4:5]
	s_cbranch_execz .LBB373_32
; %bb.29:                               ;   in Loop: Header=BB373_14 Depth=1
	v_and_b32_e32 v38, 0x7f, v22
	v_cmp_ne_u32_e64 s[4:5], s61, v38
	v_mov_b32_e32 v37, 0x7f800001
	s_and_saveexec_b64 s[50:51], s[4:5]
	s_cbranch_execz .LBB373_31
; %bb.30:                               ;   in Loop: Header=BB373_14 Depth=1
	v_and_b32_e32 v37, 7, v22
	v_ffbh_u32_e32 v40, v37
	v_min_u32_e32 v42, 32, v40
	v_subrev_u32_e32 v40, 28, v42
	v_lshlrev_b64 v[40:41], v40, v[22:23]
	v_lshrrev_b32_e32 v39, 3, v38
	v_sub_u32_e32 v22, 29, v42
	v_and_b32_e32 v40, 7, v40
	v_cmp_gt_u32_e64 s[4:5], 8, v38
	v_cndmask_b32_e64 v22, v39, v22, s[4:5]
	v_cndmask_b32_e64 v37, v37, v40, s[4:5]
	v_lshlrev_b32_e32 v38, 16, v20
	v_lshlrev_b32_e32 v37, 20, v37
	v_and_b32_e32 v38, 0x80000000, v38
	v_lshl_add_u32 v22, v22, 23, v33
	v_or3_b32 v37, v38, v22, v37
.LBB373_31:                             ;   in Loop: Header=BB373_14 Depth=1
	s_or_b64 exec, exec, s[50:51]
.LBB373_32:                             ;   in Loop: Header=BB373_14 Depth=1
	s_or_b64 exec, exec, s[48:49]
.LBB373_33:                             ;   in Loop: Header=BB373_14 Depth=1
	s_or_b64 exec, exec, s[46:47]
	v_mul_f32_e32 v22, s65, v37
	v_and_b32_e32 v37, 0x7f800000, v22
	v_cmp_ne_u32_e64 s[4:5], s62, v37
                                        ; implicit-def: $vgpr37
	s_and_saveexec_b64 s[46:47], s[4:5]
	s_xor_b64 s[4:5], exec, s[46:47]
; %bb.34:                               ;   in Loop: Header=BB373_14 Depth=1
	v_bfe_u32 v37, v22, 16, 1
	v_add3_u32 v37, v22, v37, s63
                                        ; implicit-def: $vgpr22
; %bb.35:                               ;   in Loop: Header=BB373_14 Depth=1
	s_andn2_saveexec_b64 s[46:47], s[4:5]
; %bb.36:                               ;   in Loop: Header=BB373_14 Depth=1
	v_or_b32_e32 v37, 0x10000, v22
	v_cmp_eq_u32_sdwa s[4:5], v22, v23 src0_sel:WORD_0 src1_sel:DWORD
	v_cndmask_b32_e64 v37, v37, v22, s[4:5]
; %bb.37:                               ;   in Loop: Header=BB373_14 Depth=1
	s_or_b64 exec, exec, s[46:47]
	v_lshrrev_b32_e32 v22, 16, v20
	v_cmp_ne_u16_sdwa s[4:5], v22, v23 src0_sel:BYTE_0 src1_sel:DWORD
	v_mov_b32_e32 v38, 0
	s_and_saveexec_b64 s[46:47], s[4:5]
	s_cbranch_execz .LBB373_43
; %bb.38:                               ;   in Loop: Header=BB373_14 Depth=1
	v_cmp_ne_u16_sdwa s[4:5], v22, s60 src0_sel:BYTE_0 src1_sel:DWORD
	v_bfrev_b32_e32 v38, 1
	s_and_saveexec_b64 s[48:49], s[4:5]
	s_cbranch_execz .LBB373_42
; %bb.39:                               ;   in Loop: Header=BB373_14 Depth=1
	v_bfe_u32 v39, v20, 16, 7
	v_cmp_ne_u32_e64 s[4:5], s61, v39
	v_mov_b32_e32 v38, 0x7f800001
	s_and_saveexec_b64 s[50:51], s[4:5]
	s_cbranch_execz .LBB373_41
; %bb.40:                               ;   in Loop: Header=BB373_14 Depth=1
	v_and_b32_e32 v38, 7, v22
	v_ffbh_u32_e32 v40, v38
	v_min_u32_e32 v43, 32, v40
	v_subrev_u32_e32 v40, 28, v43
	v_lshlrev_b64 v[40:41], v40, v[22:23]
	v_lshrrev_b32_e32 v42, 3, v39
	v_sub_u32_e32 v41, 29, v43
	v_and_b32_e32 v40, 7, v40
	v_cmp_gt_u32_e64 s[4:5], 8, v39
	v_cndmask_b32_e64 v39, v42, v41, s[4:5]
	v_cndmask_b32_e64 v38, v38, v40, s[4:5]
	v_lshlrev_b32_e32 v22, 24, v22
	v_lshlrev_b32_e32 v38, 20, v38
	v_and_b32_e32 v22, 0x80000000, v22
	v_lshl_add_u32 v39, v39, 23, v33
	v_or3_b32 v38, v22, v39, v38
.LBB373_41:                             ;   in Loop: Header=BB373_14 Depth=1
	s_or_b64 exec, exec, s[50:51]
.LBB373_42:                             ;   in Loop: Header=BB373_14 Depth=1
	s_or_b64 exec, exec, s[48:49]
.LBB373_43:                             ;   in Loop: Header=BB373_14 Depth=1
	s_or_b64 exec, exec, s[46:47]
	v_mul_f32_e32 v22, s65, v38
	v_and_b32_e32 v38, 0x7f800000, v22
	v_cmp_ne_u32_e64 s[4:5], s62, v38
                                        ; implicit-def: $vgpr38
	s_and_saveexec_b64 s[46:47], s[4:5]
	s_xor_b64 s[4:5], exec, s[46:47]
; %bb.44:                               ;   in Loop: Header=BB373_14 Depth=1
	v_bfe_u32 v38, v22, 16, 1
	v_add3_u32 v38, v22, v38, s63
                                        ; implicit-def: $vgpr22
; %bb.45:                               ;   in Loop: Header=BB373_14 Depth=1
	s_andn2_saveexec_b64 s[46:47], s[4:5]
; %bb.46:                               ;   in Loop: Header=BB373_14 Depth=1
	v_or_b32_e32 v38, 0x10000, v22
	v_cmp_eq_u32_sdwa s[4:5], v22, v23 src0_sel:WORD_0 src1_sel:DWORD
	v_cndmask_b32_e64 v38, v38, v22, s[4:5]
; %bb.47:                               ;   in Loop: Header=BB373_14 Depth=1
	s_or_b64 exec, exec, s[46:47]
	v_cmp_lt_u32_e64 s[4:5], s64, v20
	v_mov_b32_e32 v39, 0
	s_and_saveexec_b64 s[46:47], s[4:5]
	s_cbranch_execz .LBB373_53
; %bb.48:                               ;   in Loop: Header=BB373_14 Depth=1
	v_lshrrev_b32_e32 v22, 24, v20
	v_cmp_ne_u32_e64 s[4:5], s60, v22
	v_bfrev_b32_e32 v39, 1
	s_and_saveexec_b64 s[48:49], s[4:5]
	s_cbranch_execz .LBB373_52
; %bb.49:                               ;   in Loop: Header=BB373_14 Depth=1
	v_bfe_u32 v20, v20, 24, 7
	v_cmp_ne_u32_e64 s[4:5], s61, v20
	v_mov_b32_e32 v39, 0x7f800001
	s_and_saveexec_b64 s[50:51], s[4:5]
	s_cbranch_execz .LBB373_51
; %bb.50:                               ;   in Loop: Header=BB373_14 Depth=1
	v_and_b32_e32 v39, 7, v22
	v_ffbh_u32_e32 v40, v39
	v_min_u32_e32 v43, 32, v40
	v_subrev_u32_e32 v40, 28, v43
	v_lshlrev_b64 v[40:41], v40, v[22:23]
	v_lshrrev_b32_e32 v42, 3, v20
	v_sub_u32_e32 v41, 29, v43
	v_and_b32_e32 v40, 7, v40
	v_cmp_gt_u32_e64 s[4:5], 8, v20
	v_cndmask_b32_e64 v20, v42, v41, s[4:5]
	v_cndmask_b32_e64 v39, v39, v40, s[4:5]
	v_lshlrev_b32_e32 v22, 24, v22
	v_lshlrev_b32_e32 v39, 20, v39
	v_and_b32_e32 v22, 0x80000000, v22
	v_lshl_add_u32 v20, v20, 23, v33
	v_or3_b32 v39, v22, v20, v39
.LBB373_51:                             ;   in Loop: Header=BB373_14 Depth=1
	s_or_b64 exec, exec, s[50:51]
.LBB373_52:                             ;   in Loop: Header=BB373_14 Depth=1
	s_or_b64 exec, exec, s[48:49]
.LBB373_53:                             ;   in Loop: Header=BB373_14 Depth=1
	s_or_b64 exec, exec, s[46:47]
	v_mul_f32_e32 v20, s65, v39
	v_and_b32_e32 v22, 0x7f800000, v20
	v_cmp_ne_u32_e64 s[4:5], s62, v22
                                        ; implicit-def: $vgpr39
	s_and_saveexec_b64 s[46:47], s[4:5]
	s_xor_b64 s[4:5], exec, s[46:47]
; %bb.54:                               ;   in Loop: Header=BB373_14 Depth=1
	v_bfe_u32 v22, v20, 16, 1
	v_add3_u32 v39, v20, v22, s63
                                        ; implicit-def: $vgpr20
; %bb.55:                               ;   in Loop: Header=BB373_14 Depth=1
	s_andn2_saveexec_b64 s[46:47], s[4:5]
; %bb.56:                               ;   in Loop: Header=BB373_14 Depth=1
	v_or_b32_e32 v22, 0x10000, v20
	v_cmp_eq_u32_sdwa s[4:5], v20, v23 src0_sel:WORD_0 src1_sel:DWORD
	v_cndmask_b32_e64 v39, v22, v20, s[4:5]
; %bb.57:                               ;   in Loop: Header=BB373_14 Depth=1
	s_or_b64 exec, exec, s[46:47]
	global_load_dword v20, v[18:19], off offset:8
	v_mov_b32_e32 v22, 0
	s_waitcnt vmcnt(0)
	v_cmp_ne_u16_sdwa s[4:5], v20, v23 src0_sel:BYTE_0 src1_sel:DWORD
	s_and_saveexec_b64 s[46:47], s[4:5]
	s_cbranch_execz .LBB373_63
; %bb.58:                               ;   in Loop: Header=BB373_14 Depth=1
	v_cmp_ne_u16_sdwa s[4:5], v20, s60 src0_sel:BYTE_0 src1_sel:DWORD
	v_bfrev_b32_e32 v22, 1
	s_and_saveexec_b64 s[48:49], s[4:5]
	s_cbranch_execz .LBB373_62
; %bb.59:                               ;   in Loop: Header=BB373_14 Depth=1
	v_and_b32_e32 v40, 0x7f, v20
	v_cmp_ne_u32_e64 s[4:5], s61, v40
	v_mov_b32_e32 v22, 0x7f800001
	s_and_saveexec_b64 s[50:51], s[4:5]
	s_cbranch_execz .LBB373_61
; %bb.60:                               ;   in Loop: Header=BB373_14 Depth=1
	v_and_b32_e32 v22, 7, v20
	v_ffbh_u32_e32 v42, v22
	v_min_u32_e32 v44, 32, v42
	v_subrev_u32_e32 v42, 28, v44
	v_lshlrev_b64 v[42:43], v42, v[20:21]
	v_lshrrev_b32_e32 v41, 3, v40
	v_sub_u32_e32 v43, 29, v44
	v_and_b32_e32 v42, 7, v42
	v_cmp_gt_u32_e64 s[4:5], 8, v40
	v_cndmask_b32_e64 v40, v41, v43, s[4:5]
	v_cndmask_b32_e64 v22, v22, v42, s[4:5]
	v_lshlrev_b32_e32 v41, 24, v20
	v_lshlrev_b32_e32 v22, 20, v22
	v_and_b32_e32 v41, 0x80000000, v41
	v_lshl_add_u32 v40, v40, 23, v33
	v_or3_b32 v22, v41, v40, v22
.LBB373_61:                             ;   in Loop: Header=BB373_14 Depth=1
	s_or_b64 exec, exec, s[50:51]
.LBB373_62:                             ;   in Loop: Header=BB373_14 Depth=1
	s_or_b64 exec, exec, s[48:49]
.LBB373_63:                             ;   in Loop: Header=BB373_14 Depth=1
	s_or_b64 exec, exec, s[46:47]
	v_mul_f32_e32 v22, s65, v22
	v_and_b32_e32 v40, 0x7f800000, v22
	v_cmp_ne_u32_e64 s[4:5], s62, v40
                                        ; implicit-def: $vgpr40
	s_and_saveexec_b64 s[46:47], s[4:5]
	s_xor_b64 s[4:5], exec, s[46:47]
; %bb.64:                               ;   in Loop: Header=BB373_14 Depth=1
	v_bfe_u32 v40, v22, 16, 1
	v_add3_u32 v40, v22, v40, s63
                                        ; implicit-def: $vgpr22
; %bb.65:                               ;   in Loop: Header=BB373_14 Depth=1
	s_andn2_saveexec_b64 s[46:47], s[4:5]
; %bb.66:                               ;   in Loop: Header=BB373_14 Depth=1
	v_or_b32_e32 v40, 0x10000, v22
	v_cmp_eq_u32_sdwa s[4:5], v22, v23 src0_sel:WORD_0 src1_sel:DWORD
	v_cndmask_b32_e64 v40, v40, v22, s[4:5]
; %bb.67:                               ;   in Loop: Header=BB373_14 Depth=1
	s_or_b64 exec, exec, s[46:47]
	v_lshrrev_b16_e32 v22, 8, v20
	v_cmp_ne_u16_e64 s[4:5], 0, v22
	v_mov_b32_e32 v41, 0
	s_and_saveexec_b64 s[46:47], s[4:5]
	s_cbranch_execz .LBB373_73
; %bb.68:                               ;   in Loop: Header=BB373_14 Depth=1
	v_cmp_ne_u16_e64 s[4:5], s60, v22
	v_bfrev_b32_e32 v41, 1
	s_and_saveexec_b64 s[48:49], s[4:5]
	s_cbranch_execz .LBB373_72
; %bb.69:                               ;   in Loop: Header=BB373_14 Depth=1
	v_and_b32_e32 v42, 0x7f, v22
	v_cmp_ne_u32_e64 s[4:5], s61, v42
	v_mov_b32_e32 v41, 0x7f800001
	s_and_saveexec_b64 s[50:51], s[4:5]
	s_cbranch_execz .LBB373_71
; %bb.70:                               ;   in Loop: Header=BB373_14 Depth=1
	v_and_b32_e32 v41, 7, v22
	v_ffbh_u32_e32 v44, v41
	v_min_u32_e32 v46, 32, v44
	v_subrev_u32_e32 v44, 28, v46
	v_lshlrev_b64 v[44:45], v44, v[22:23]
	v_lshrrev_b32_e32 v43, 3, v42
	v_sub_u32_e32 v22, 29, v46
	v_and_b32_e32 v44, 7, v44
	v_cmp_gt_u32_e64 s[4:5], 8, v42
	v_cndmask_b32_e64 v22, v43, v22, s[4:5]
	v_cndmask_b32_e64 v41, v41, v44, s[4:5]
	v_lshlrev_b32_e32 v42, 16, v20
	v_lshlrev_b32_e32 v41, 20, v41
	v_and_b32_e32 v42, 0x80000000, v42
	v_lshl_add_u32 v22, v22, 23, v33
	v_or3_b32 v41, v42, v22, v41
.LBB373_71:                             ;   in Loop: Header=BB373_14 Depth=1
	s_or_b64 exec, exec, s[50:51]
.LBB373_72:                             ;   in Loop: Header=BB373_14 Depth=1
	s_or_b64 exec, exec, s[48:49]
.LBB373_73:                             ;   in Loop: Header=BB373_14 Depth=1
	s_or_b64 exec, exec, s[46:47]
	v_mul_f32_e32 v22, s65, v41
	v_and_b32_e32 v41, 0x7f800000, v22
	v_cmp_ne_u32_e64 s[4:5], s62, v41
                                        ; implicit-def: $vgpr41
	s_and_saveexec_b64 s[46:47], s[4:5]
	s_xor_b64 s[4:5], exec, s[46:47]
; %bb.74:                               ;   in Loop: Header=BB373_14 Depth=1
	v_bfe_u32 v41, v22, 16, 1
	v_add3_u32 v41, v22, v41, s63
                                        ; implicit-def: $vgpr22
; %bb.75:                               ;   in Loop: Header=BB373_14 Depth=1
	s_andn2_saveexec_b64 s[46:47], s[4:5]
; %bb.76:                               ;   in Loop: Header=BB373_14 Depth=1
	v_or_b32_e32 v41, 0x10000, v22
	v_cmp_eq_u32_sdwa s[4:5], v22, v23 src0_sel:WORD_0 src1_sel:DWORD
	v_cndmask_b32_e64 v41, v41, v22, s[4:5]
; %bb.77:                               ;   in Loop: Header=BB373_14 Depth=1
	s_or_b64 exec, exec, s[46:47]
	v_lshrrev_b32_e32 v22, 16, v20
	v_cmp_ne_u16_sdwa s[4:5], v22, v23 src0_sel:BYTE_0 src1_sel:DWORD
	v_mov_b32_e32 v42, 0
	s_and_saveexec_b64 s[46:47], s[4:5]
	s_cbranch_execz .LBB373_83
; %bb.78:                               ;   in Loop: Header=BB373_14 Depth=1
	v_cmp_ne_u16_sdwa s[4:5], v22, s60 src0_sel:BYTE_0 src1_sel:DWORD
	v_bfrev_b32_e32 v42, 1
	s_and_saveexec_b64 s[48:49], s[4:5]
	s_cbranch_execz .LBB373_82
; %bb.79:                               ;   in Loop: Header=BB373_14 Depth=1
	v_bfe_u32 v43, v20, 16, 7
	v_cmp_ne_u32_e64 s[4:5], s61, v43
	v_mov_b32_e32 v42, 0x7f800001
	s_and_saveexec_b64 s[50:51], s[4:5]
	s_cbranch_execz .LBB373_81
; %bb.80:                               ;   in Loop: Header=BB373_14 Depth=1
	v_and_b32_e32 v42, 7, v22
	v_ffbh_u32_e32 v44, v42
	v_min_u32_e32 v47, 32, v44
	v_subrev_u32_e32 v44, 28, v47
	v_lshlrev_b64 v[44:45], v44, v[22:23]
	v_lshrrev_b32_e32 v46, 3, v43
	v_sub_u32_e32 v45, 29, v47
	v_and_b32_e32 v44, 7, v44
	v_cmp_gt_u32_e64 s[4:5], 8, v43
	v_cndmask_b32_e64 v43, v46, v45, s[4:5]
	v_cndmask_b32_e64 v42, v42, v44, s[4:5]
	v_lshlrev_b32_e32 v22, 24, v22
	v_lshlrev_b32_e32 v42, 20, v42
	v_and_b32_e32 v22, 0x80000000, v22
	v_lshl_add_u32 v43, v43, 23, v33
	v_or3_b32 v42, v22, v43, v42
.LBB373_81:                             ;   in Loop: Header=BB373_14 Depth=1
	s_or_b64 exec, exec, s[50:51]
.LBB373_82:                             ;   in Loop: Header=BB373_14 Depth=1
	s_or_b64 exec, exec, s[48:49]
.LBB373_83:                             ;   in Loop: Header=BB373_14 Depth=1
	s_or_b64 exec, exec, s[46:47]
	v_mul_f32_e32 v22, s65, v42
	v_and_b32_e32 v42, 0x7f800000, v22
	v_cmp_ne_u32_e64 s[4:5], s62, v42
                                        ; implicit-def: $vgpr42
	s_and_saveexec_b64 s[46:47], s[4:5]
	s_xor_b64 s[4:5], exec, s[46:47]
; %bb.84:                               ;   in Loop: Header=BB373_14 Depth=1
	v_bfe_u32 v42, v22, 16, 1
	v_add3_u32 v42, v22, v42, s63
                                        ; implicit-def: $vgpr22
; %bb.85:                               ;   in Loop: Header=BB373_14 Depth=1
	s_andn2_saveexec_b64 s[46:47], s[4:5]
; %bb.86:                               ;   in Loop: Header=BB373_14 Depth=1
	v_or_b32_e32 v42, 0x10000, v22
	v_cmp_eq_u32_sdwa s[4:5], v22, v23 src0_sel:WORD_0 src1_sel:DWORD
	v_cndmask_b32_e64 v42, v42, v22, s[4:5]
; %bb.87:                               ;   in Loop: Header=BB373_14 Depth=1
	s_or_b64 exec, exec, s[46:47]
	v_cmp_lt_u32_e64 s[4:5], s64, v20
	v_mov_b32_e32 v43, 0
	s_and_saveexec_b64 s[46:47], s[4:5]
	s_cbranch_execz .LBB373_93
; %bb.88:                               ;   in Loop: Header=BB373_14 Depth=1
	v_lshrrev_b32_e32 v22, 24, v20
	v_cmp_ne_u32_e64 s[4:5], s60, v22
	v_bfrev_b32_e32 v43, 1
	s_and_saveexec_b64 s[48:49], s[4:5]
	s_cbranch_execz .LBB373_92
; %bb.89:                               ;   in Loop: Header=BB373_14 Depth=1
	v_bfe_u32 v20, v20, 24, 7
	v_cmp_ne_u32_e64 s[4:5], s61, v20
	v_mov_b32_e32 v43, 0x7f800001
	s_and_saveexec_b64 s[50:51], s[4:5]
	s_cbranch_execz .LBB373_91
; %bb.90:                               ;   in Loop: Header=BB373_14 Depth=1
	v_and_b32_e32 v43, 7, v22
	v_ffbh_u32_e32 v44, v43
	v_min_u32_e32 v47, 32, v44
	v_subrev_u32_e32 v44, 28, v47
	v_lshlrev_b64 v[44:45], v44, v[22:23]
	v_lshrrev_b32_e32 v46, 3, v20
	v_sub_u32_e32 v45, 29, v47
	v_and_b32_e32 v44, 7, v44
	v_cmp_gt_u32_e64 s[4:5], 8, v20
	v_cndmask_b32_e64 v20, v46, v45, s[4:5]
	v_cndmask_b32_e64 v43, v43, v44, s[4:5]
	v_lshlrev_b32_e32 v22, 24, v22
	v_lshlrev_b32_e32 v43, 20, v43
	v_and_b32_e32 v22, 0x80000000, v22
	v_lshl_add_u32 v20, v20, 23, v33
	v_or3_b32 v43, v22, v20, v43
.LBB373_91:                             ;   in Loop: Header=BB373_14 Depth=1
	s_or_b64 exec, exec, s[50:51]
.LBB373_92:                             ;   in Loop: Header=BB373_14 Depth=1
	s_or_b64 exec, exec, s[48:49]
.LBB373_93:                             ;   in Loop: Header=BB373_14 Depth=1
	s_or_b64 exec, exec, s[46:47]
	v_mul_f32_e32 v20, s65, v43
	v_and_b32_e32 v22, 0x7f800000, v20
	v_cmp_ne_u32_e64 s[4:5], s62, v22
                                        ; implicit-def: $vgpr43
	s_and_saveexec_b64 s[46:47], s[4:5]
	s_xor_b64 s[4:5], exec, s[46:47]
; %bb.94:                               ;   in Loop: Header=BB373_14 Depth=1
	v_bfe_u32 v22, v20, 16, 1
	v_add3_u32 v43, v20, v22, s63
                                        ; implicit-def: $vgpr20
; %bb.95:                               ;   in Loop: Header=BB373_14 Depth=1
	s_andn2_saveexec_b64 s[46:47], s[4:5]
; %bb.96:                               ;   in Loop: Header=BB373_14 Depth=1
	v_or_b32_e32 v22, 0x10000, v20
	v_cmp_eq_u32_sdwa s[4:5], v20, v23 src0_sel:WORD_0 src1_sel:DWORD
	v_cndmask_b32_e64 v43, v22, v20, s[4:5]
; %bb.97:                               ;   in Loop: Header=BB373_14 Depth=1
	s_or_b64 exec, exec, s[46:47]
	global_load_dword v20, v[18:19], off offset:512
	v_mov_b32_e32 v22, 0
	s_waitcnt vmcnt(0)
	v_cmp_ne_u16_sdwa s[4:5], v20, v23 src0_sel:BYTE_0 src1_sel:DWORD
	s_and_saveexec_b64 s[46:47], s[4:5]
	s_cbranch_execz .LBB373_103
; %bb.98:                               ;   in Loop: Header=BB373_14 Depth=1
	v_cmp_ne_u16_sdwa s[4:5], v20, s60 src0_sel:BYTE_0 src1_sel:DWORD
	v_bfrev_b32_e32 v22, 1
	s_and_saveexec_b64 s[48:49], s[4:5]
	s_cbranch_execz .LBB373_102
; %bb.99:                               ;   in Loop: Header=BB373_14 Depth=1
	v_and_b32_e32 v44, 0x7f, v20
	v_cmp_ne_u32_e64 s[4:5], s61, v44
	v_mov_b32_e32 v22, 0x7f800001
	s_and_saveexec_b64 s[50:51], s[4:5]
	s_cbranch_execz .LBB373_101
; %bb.100:                              ;   in Loop: Header=BB373_14 Depth=1
	v_and_b32_e32 v22, 7, v20
	v_ffbh_u32_e32 v46, v22
	v_min_u32_e32 v48, 32, v46
	v_subrev_u32_e32 v46, 28, v48
	v_lshlrev_b64 v[46:47], v46, v[20:21]
	v_lshrrev_b32_e32 v45, 3, v44
	v_sub_u32_e32 v47, 29, v48
	v_and_b32_e32 v46, 7, v46
	v_cmp_gt_u32_e64 s[4:5], 8, v44
	v_cndmask_b32_e64 v44, v45, v47, s[4:5]
	v_cndmask_b32_e64 v22, v22, v46, s[4:5]
	v_lshlrev_b32_e32 v45, 24, v20
	v_lshlrev_b32_e32 v22, 20, v22
	v_and_b32_e32 v45, 0x80000000, v45
	v_lshl_add_u32 v44, v44, 23, v33
	v_or3_b32 v22, v45, v44, v22
.LBB373_101:                            ;   in Loop: Header=BB373_14 Depth=1
	s_or_b64 exec, exec, s[50:51]
.LBB373_102:                            ;   in Loop: Header=BB373_14 Depth=1
	s_or_b64 exec, exec, s[48:49]
.LBB373_103:                            ;   in Loop: Header=BB373_14 Depth=1
	s_or_b64 exec, exec, s[46:47]
	v_mul_f32_e32 v22, s65, v22
	v_and_b32_e32 v44, 0x7f800000, v22
	v_cmp_ne_u32_e64 s[4:5], s62, v44
                                        ; implicit-def: $vgpr44
	s_and_saveexec_b64 s[46:47], s[4:5]
	s_xor_b64 s[4:5], exec, s[46:47]
; %bb.104:                              ;   in Loop: Header=BB373_14 Depth=1
	v_bfe_u32 v44, v22, 16, 1
	v_add3_u32 v44, v22, v44, s63
                                        ; implicit-def: $vgpr22
; %bb.105:                              ;   in Loop: Header=BB373_14 Depth=1
	s_andn2_saveexec_b64 s[46:47], s[4:5]
; %bb.106:                              ;   in Loop: Header=BB373_14 Depth=1
	v_or_b32_e32 v44, 0x10000, v22
	v_cmp_eq_u32_sdwa s[4:5], v22, v23 src0_sel:WORD_0 src1_sel:DWORD
	v_cndmask_b32_e64 v44, v44, v22, s[4:5]
; %bb.107:                              ;   in Loop: Header=BB373_14 Depth=1
	s_or_b64 exec, exec, s[46:47]
	v_lshrrev_b16_e32 v22, 8, v20
	v_cmp_ne_u16_e64 s[4:5], 0, v22
	v_mov_b32_e32 v45, 0
	s_and_saveexec_b64 s[46:47], s[4:5]
	s_cbranch_execz .LBB373_113
; %bb.108:                              ;   in Loop: Header=BB373_14 Depth=1
	v_cmp_ne_u16_e64 s[4:5], s60, v22
	v_bfrev_b32_e32 v45, 1
	s_and_saveexec_b64 s[48:49], s[4:5]
	s_cbranch_execz .LBB373_112
; %bb.109:                              ;   in Loop: Header=BB373_14 Depth=1
	v_and_b32_e32 v46, 0x7f, v22
	v_cmp_ne_u32_e64 s[4:5], s61, v46
	v_mov_b32_e32 v45, 0x7f800001
	s_and_saveexec_b64 s[50:51], s[4:5]
	s_cbranch_execz .LBB373_111
; %bb.110:                              ;   in Loop: Header=BB373_14 Depth=1
	v_and_b32_e32 v45, 7, v22
	v_ffbh_u32_e32 v48, v45
	v_min_u32_e32 v50, 32, v48
	v_subrev_u32_e32 v48, 28, v50
	v_lshlrev_b64 v[48:49], v48, v[22:23]
	v_lshrrev_b32_e32 v47, 3, v46
	v_sub_u32_e32 v22, 29, v50
	v_and_b32_e32 v48, 7, v48
	v_cmp_gt_u32_e64 s[4:5], 8, v46
	v_cndmask_b32_e64 v22, v47, v22, s[4:5]
	v_cndmask_b32_e64 v45, v45, v48, s[4:5]
	v_lshlrev_b32_e32 v46, 16, v20
	v_lshlrev_b32_e32 v45, 20, v45
	v_and_b32_e32 v46, 0x80000000, v46
	v_lshl_add_u32 v22, v22, 23, v33
	v_or3_b32 v45, v46, v22, v45
.LBB373_111:                            ;   in Loop: Header=BB373_14 Depth=1
	s_or_b64 exec, exec, s[50:51]
.LBB373_112:                            ;   in Loop: Header=BB373_14 Depth=1
	s_or_b64 exec, exec, s[48:49]
.LBB373_113:                            ;   in Loop: Header=BB373_14 Depth=1
	s_or_b64 exec, exec, s[46:47]
	v_mul_f32_e32 v22, s65, v45
	v_and_b32_e32 v45, 0x7f800000, v22
	v_cmp_ne_u32_e64 s[4:5], s62, v45
                                        ; implicit-def: $vgpr45
	s_and_saveexec_b64 s[46:47], s[4:5]
	s_xor_b64 s[4:5], exec, s[46:47]
; %bb.114:                              ;   in Loop: Header=BB373_14 Depth=1
	v_bfe_u32 v45, v22, 16, 1
	v_add3_u32 v45, v22, v45, s63
                                        ; implicit-def: $vgpr22
; %bb.115:                              ;   in Loop: Header=BB373_14 Depth=1
	s_andn2_saveexec_b64 s[46:47], s[4:5]
; %bb.116:                              ;   in Loop: Header=BB373_14 Depth=1
	v_or_b32_e32 v45, 0x10000, v22
	v_cmp_eq_u32_sdwa s[4:5], v22, v23 src0_sel:WORD_0 src1_sel:DWORD
	v_cndmask_b32_e64 v45, v45, v22, s[4:5]
; %bb.117:                              ;   in Loop: Header=BB373_14 Depth=1
	s_or_b64 exec, exec, s[46:47]
	v_lshrrev_b32_e32 v22, 16, v20
	v_cmp_ne_u16_sdwa s[4:5], v22, v23 src0_sel:BYTE_0 src1_sel:DWORD
	v_mov_b32_e32 v46, 0
	s_and_saveexec_b64 s[46:47], s[4:5]
	s_cbranch_execz .LBB373_123
; %bb.118:                              ;   in Loop: Header=BB373_14 Depth=1
	v_cmp_ne_u16_sdwa s[4:5], v22, s60 src0_sel:BYTE_0 src1_sel:DWORD
	v_bfrev_b32_e32 v46, 1
	s_and_saveexec_b64 s[48:49], s[4:5]
	s_cbranch_execz .LBB373_122
; %bb.119:                              ;   in Loop: Header=BB373_14 Depth=1
	v_bfe_u32 v47, v20, 16, 7
	v_cmp_ne_u32_e64 s[4:5], s61, v47
	v_mov_b32_e32 v46, 0x7f800001
	s_and_saveexec_b64 s[50:51], s[4:5]
	s_cbranch_execz .LBB373_121
; %bb.120:                              ;   in Loop: Header=BB373_14 Depth=1
	v_and_b32_e32 v46, 7, v22
	v_ffbh_u32_e32 v48, v46
	v_min_u32_e32 v51, 32, v48
	v_subrev_u32_e32 v48, 28, v51
	v_lshlrev_b64 v[48:49], v48, v[22:23]
	v_lshrrev_b32_e32 v50, 3, v47
	v_sub_u32_e32 v49, 29, v51
	v_and_b32_e32 v48, 7, v48
	v_cmp_gt_u32_e64 s[4:5], 8, v47
	v_cndmask_b32_e64 v47, v50, v49, s[4:5]
	v_cndmask_b32_e64 v46, v46, v48, s[4:5]
	v_lshlrev_b32_e32 v22, 24, v22
	v_lshlrev_b32_e32 v46, 20, v46
	v_and_b32_e32 v22, 0x80000000, v22
	v_lshl_add_u32 v47, v47, 23, v33
	v_or3_b32 v46, v22, v47, v46
.LBB373_121:                            ;   in Loop: Header=BB373_14 Depth=1
	s_or_b64 exec, exec, s[50:51]
.LBB373_122:                            ;   in Loop: Header=BB373_14 Depth=1
	s_or_b64 exec, exec, s[48:49]
.LBB373_123:                            ;   in Loop: Header=BB373_14 Depth=1
	s_or_b64 exec, exec, s[46:47]
	v_mul_f32_e32 v22, s65, v46
	v_and_b32_e32 v46, 0x7f800000, v22
	v_cmp_ne_u32_e64 s[4:5], s62, v46
                                        ; implicit-def: $vgpr46
	s_and_saveexec_b64 s[46:47], s[4:5]
	s_xor_b64 s[4:5], exec, s[46:47]
; %bb.124:                              ;   in Loop: Header=BB373_14 Depth=1
	v_bfe_u32 v46, v22, 16, 1
	v_add3_u32 v46, v22, v46, s63
                                        ; implicit-def: $vgpr22
; %bb.125:                              ;   in Loop: Header=BB373_14 Depth=1
	s_andn2_saveexec_b64 s[46:47], s[4:5]
; %bb.126:                              ;   in Loop: Header=BB373_14 Depth=1
	v_or_b32_e32 v46, 0x10000, v22
	v_cmp_eq_u32_sdwa s[4:5], v22, v23 src0_sel:WORD_0 src1_sel:DWORD
	v_cndmask_b32_e64 v46, v46, v22, s[4:5]
; %bb.127:                              ;   in Loop: Header=BB373_14 Depth=1
	s_or_b64 exec, exec, s[46:47]
	v_cmp_lt_u32_e64 s[4:5], s64, v20
	v_mov_b32_e32 v47, 0
	s_and_saveexec_b64 s[46:47], s[4:5]
	s_cbranch_execz .LBB373_133
; %bb.128:                              ;   in Loop: Header=BB373_14 Depth=1
	v_lshrrev_b32_e32 v22, 24, v20
	v_cmp_ne_u32_e64 s[4:5], s60, v22
	v_bfrev_b32_e32 v47, 1
	s_and_saveexec_b64 s[48:49], s[4:5]
	s_cbranch_execz .LBB373_132
; %bb.129:                              ;   in Loop: Header=BB373_14 Depth=1
	v_bfe_u32 v20, v20, 24, 7
	v_cmp_ne_u32_e64 s[4:5], s61, v20
	v_mov_b32_e32 v47, 0x7f800001
	s_and_saveexec_b64 s[50:51], s[4:5]
	s_cbranch_execz .LBB373_131
; %bb.130:                              ;   in Loop: Header=BB373_14 Depth=1
	v_and_b32_e32 v47, 7, v22
	v_ffbh_u32_e32 v48, v47
	v_min_u32_e32 v51, 32, v48
	v_subrev_u32_e32 v48, 28, v51
	v_lshlrev_b64 v[48:49], v48, v[22:23]
	v_lshrrev_b32_e32 v50, 3, v20
	v_sub_u32_e32 v49, 29, v51
	v_and_b32_e32 v48, 7, v48
	v_cmp_gt_u32_e64 s[4:5], 8, v20
	v_cndmask_b32_e64 v20, v50, v49, s[4:5]
	v_cndmask_b32_e64 v47, v47, v48, s[4:5]
	v_lshlrev_b32_e32 v22, 24, v22
	v_lshlrev_b32_e32 v47, 20, v47
	v_and_b32_e32 v22, 0x80000000, v22
	v_lshl_add_u32 v20, v20, 23, v33
	v_or3_b32 v47, v22, v20, v47
.LBB373_131:                            ;   in Loop: Header=BB373_14 Depth=1
	s_or_b64 exec, exec, s[50:51]
.LBB373_132:                            ;   in Loop: Header=BB373_14 Depth=1
	s_or_b64 exec, exec, s[48:49]
.LBB373_133:                            ;   in Loop: Header=BB373_14 Depth=1
	s_or_b64 exec, exec, s[46:47]
	v_mul_f32_e32 v20, s65, v47
	v_and_b32_e32 v22, 0x7f800000, v20
	v_cmp_ne_u32_e64 s[4:5], s62, v22
                                        ; implicit-def: $vgpr22
	s_and_saveexec_b64 s[46:47], s[4:5]
	s_xor_b64 s[4:5], exec, s[46:47]
; %bb.134:                              ;   in Loop: Header=BB373_14 Depth=1
	v_bfe_u32 v22, v20, 16, 1
	v_add3_u32 v22, v20, v22, s63
                                        ; implicit-def: $vgpr20
; %bb.135:                              ;   in Loop: Header=BB373_14 Depth=1
	s_andn2_saveexec_b64 s[46:47], s[4:5]
; %bb.136:                              ;   in Loop: Header=BB373_14 Depth=1
	v_or_b32_e32 v22, 0x10000, v20
	v_cmp_eq_u32_sdwa s[4:5], v20, v23 src0_sel:WORD_0 src1_sel:DWORD
	v_cndmask_b32_e64 v22, v22, v20, s[4:5]
; %bb.137:                              ;   in Loop: Header=BB373_14 Depth=1
	s_or_b64 exec, exec, s[46:47]
	global_load_dword v18, v[18:19], off offset:520
	v_mov_b32_e32 v19, 0
	s_waitcnt vmcnt(0)
	v_cmp_ne_u16_sdwa s[4:5], v18, v23 src0_sel:BYTE_0 src1_sel:DWORD
	s_and_saveexec_b64 s[46:47], s[4:5]
	s_cbranch_execz .LBB373_143
; %bb.138:                              ;   in Loop: Header=BB373_14 Depth=1
	v_cmp_ne_u16_sdwa s[4:5], v18, s60 src0_sel:BYTE_0 src1_sel:DWORD
	v_bfrev_b32_e32 v19, 1
	s_and_saveexec_b64 s[48:49], s[4:5]
	s_cbranch_execz .LBB373_142
; %bb.139:                              ;   in Loop: Header=BB373_14 Depth=1
	v_and_b32_e32 v20, 0x7f, v18
	v_cmp_ne_u32_e64 s[4:5], s61, v20
	v_mov_b32_e32 v19, 0x7f800001
	s_and_saveexec_b64 s[50:51], s[4:5]
	s_cbranch_execz .LBB373_141
; %bb.140:                              ;   in Loop: Header=BB373_14 Depth=1
	v_and_b32_e32 v19, 7, v18
	v_ffbh_u32_e32 v48, v19
	v_min_u32_e32 v50, 32, v48
	v_subrev_u32_e32 v48, 28, v50
	v_lshlrev_b64 v[48:49], v48, v[18:19]
	v_lshrrev_b32_e32 v47, 3, v20
	v_sub_u32_e32 v49, 29, v50
	v_and_b32_e32 v48, 7, v48
	v_cmp_gt_u32_e64 s[4:5], 8, v20
	v_cndmask_b32_e64 v20, v47, v49, s[4:5]
	v_cndmask_b32_e64 v19, v19, v48, s[4:5]
	v_lshlrev_b32_e32 v47, 24, v18
	v_lshlrev_b32_e32 v19, 20, v19
	v_and_b32_e32 v47, 0x80000000, v47
	v_lshl_add_u32 v20, v20, 23, v33
	v_or3_b32 v19, v47, v20, v19
.LBB373_141:                            ;   in Loop: Header=BB373_14 Depth=1
	s_or_b64 exec, exec, s[50:51]
.LBB373_142:                            ;   in Loop: Header=BB373_14 Depth=1
	s_or_b64 exec, exec, s[48:49]
.LBB373_143:                            ;   in Loop: Header=BB373_14 Depth=1
	s_or_b64 exec, exec, s[46:47]
	v_mul_f32_e32 v20, s65, v19
	v_and_b32_e32 v19, 0x7f800000, v20
	v_cmp_ne_u32_e64 s[4:5], s62, v19
                                        ; implicit-def: $vgpr19
	s_and_saveexec_b64 s[46:47], s[4:5]
	s_xor_b64 s[4:5], exec, s[46:47]
; %bb.144:                              ;   in Loop: Header=BB373_14 Depth=1
	v_bfe_u32 v19, v20, 16, 1
	v_add3_u32 v19, v20, v19, s63
                                        ; implicit-def: $vgpr20
; %bb.145:                              ;   in Loop: Header=BB373_14 Depth=1
	s_andn2_saveexec_b64 s[46:47], s[4:5]
; %bb.146:                              ;   in Loop: Header=BB373_14 Depth=1
	v_or_b32_e32 v19, 0x10000, v20
	v_cmp_eq_u32_sdwa s[4:5], v20, v23 src0_sel:WORD_0 src1_sel:DWORD
	v_cndmask_b32_e64 v19, v19, v20, s[4:5]
; %bb.147:                              ;   in Loop: Header=BB373_14 Depth=1
	s_or_b64 exec, exec, s[46:47]
	v_lshrrev_b16_e32 v20, 8, v18
	v_cmp_ne_u16_e64 s[4:5], 0, v20
	v_mov_b32_e32 v47, 0
	s_and_saveexec_b64 s[46:47], s[4:5]
	s_cbranch_execz .LBB373_153
; %bb.148:                              ;   in Loop: Header=BB373_14 Depth=1
	v_cmp_ne_u16_e64 s[4:5], s60, v20
	v_bfrev_b32_e32 v47, 1
	s_and_saveexec_b64 s[48:49], s[4:5]
	s_cbranch_execz .LBB373_152
; %bb.149:                              ;   in Loop: Header=BB373_14 Depth=1
	v_and_b32_e32 v48, 0x7f, v20
	v_cmp_ne_u32_e64 s[4:5], s61, v48
	v_mov_b32_e32 v47, 0x7f800001
	s_and_saveexec_b64 s[50:51], s[4:5]
	s_cbranch_execz .LBB373_151
; %bb.150:                              ;   in Loop: Header=BB373_14 Depth=1
	v_and_b32_e32 v47, 7, v20
	v_ffbh_u32_e32 v50, v47
	v_min_u32_e32 v52, 32, v50
	v_subrev_u32_e32 v50, 28, v52
	v_lshlrev_b64 v[50:51], v50, v[20:21]
	v_lshrrev_b32_e32 v49, 3, v48
	v_sub_u32_e32 v20, 29, v52
	v_and_b32_e32 v50, 7, v50
	v_cmp_gt_u32_e64 s[4:5], 8, v48
	v_cndmask_b32_e64 v20, v49, v20, s[4:5]
	v_cndmask_b32_e64 v47, v47, v50, s[4:5]
	v_lshlrev_b32_e32 v48, 16, v18
	v_lshlrev_b32_e32 v47, 20, v47
	v_and_b32_e32 v48, 0x80000000, v48
	v_lshl_add_u32 v20, v20, 23, v33
	v_or3_b32 v47, v48, v20, v47
.LBB373_151:                            ;   in Loop: Header=BB373_14 Depth=1
	s_or_b64 exec, exec, s[50:51]
.LBB373_152:                            ;   in Loop: Header=BB373_14 Depth=1
	s_or_b64 exec, exec, s[48:49]
.LBB373_153:                            ;   in Loop: Header=BB373_14 Depth=1
	s_or_b64 exec, exec, s[46:47]
	v_mul_f32_e32 v20, s65, v47
	v_and_b32_e32 v47, 0x7f800000, v20
	v_cmp_ne_u32_e64 s[4:5], s62, v47
                                        ; implicit-def: $vgpr47
	s_and_saveexec_b64 s[46:47], s[4:5]
	s_xor_b64 s[4:5], exec, s[46:47]
; %bb.154:                              ;   in Loop: Header=BB373_14 Depth=1
	v_bfe_u32 v47, v20, 16, 1
	v_add3_u32 v47, v20, v47, s63
                                        ; implicit-def: $vgpr20
; %bb.155:                              ;   in Loop: Header=BB373_14 Depth=1
	s_andn2_saveexec_b64 s[46:47], s[4:5]
; %bb.156:                              ;   in Loop: Header=BB373_14 Depth=1
	v_or_b32_e32 v47, 0x10000, v20
	v_cmp_eq_u32_sdwa s[4:5], v20, v23 src0_sel:WORD_0 src1_sel:DWORD
	v_cndmask_b32_e64 v47, v47, v20, s[4:5]
; %bb.157:                              ;   in Loop: Header=BB373_14 Depth=1
	s_or_b64 exec, exec, s[46:47]
	v_lshrrev_b32_e32 v20, 16, v18
	v_cmp_ne_u16_sdwa s[4:5], v20, v23 src0_sel:BYTE_0 src1_sel:DWORD
	v_mov_b32_e32 v48, 0
	s_and_saveexec_b64 s[46:47], s[4:5]
	s_cbranch_execz .LBB373_163
; %bb.158:                              ;   in Loop: Header=BB373_14 Depth=1
	v_cmp_ne_u16_sdwa s[4:5], v20, s60 src0_sel:BYTE_0 src1_sel:DWORD
	v_bfrev_b32_e32 v48, 1
	s_and_saveexec_b64 s[48:49], s[4:5]
	s_cbranch_execz .LBB373_162
; %bb.159:                              ;   in Loop: Header=BB373_14 Depth=1
	v_bfe_u32 v49, v18, 16, 7
	v_cmp_ne_u32_e64 s[4:5], s61, v49
	v_mov_b32_e32 v48, 0x7f800001
	s_and_saveexec_b64 s[50:51], s[4:5]
	s_cbranch_execz .LBB373_161
; %bb.160:                              ;   in Loop: Header=BB373_14 Depth=1
	v_and_b32_e32 v48, 7, v20
	v_ffbh_u32_e32 v50, v48
	v_min_u32_e32 v53, 32, v50
	v_subrev_u32_e32 v50, 28, v53
	v_lshlrev_b64 v[50:51], v50, v[20:21]
	v_lshrrev_b32_e32 v52, 3, v49
	v_sub_u32_e32 v51, 29, v53
	v_and_b32_e32 v50, 7, v50
	v_cmp_gt_u32_e64 s[4:5], 8, v49
	v_cndmask_b32_e64 v49, v52, v51, s[4:5]
	v_cndmask_b32_e64 v48, v48, v50, s[4:5]
	v_lshlrev_b32_e32 v20, 24, v20
	v_lshlrev_b32_e32 v48, 20, v48
	v_and_b32_e32 v20, 0x80000000, v20
	v_lshl_add_u32 v49, v49, 23, v33
	v_or3_b32 v48, v20, v49, v48
.LBB373_161:                            ;   in Loop: Header=BB373_14 Depth=1
	s_or_b64 exec, exec, s[50:51]
.LBB373_162:                            ;   in Loop: Header=BB373_14 Depth=1
	s_or_b64 exec, exec, s[48:49]
.LBB373_163:                            ;   in Loop: Header=BB373_14 Depth=1
	s_or_b64 exec, exec, s[46:47]
	v_mul_f32_e32 v20, s65, v48
	v_and_b32_e32 v48, 0x7f800000, v20
	v_cmp_ne_u32_e64 s[4:5], s62, v48
                                        ; implicit-def: $vgpr48
	s_and_saveexec_b64 s[46:47], s[4:5]
	s_xor_b64 s[4:5], exec, s[46:47]
; %bb.164:                              ;   in Loop: Header=BB373_14 Depth=1
	v_bfe_u32 v48, v20, 16, 1
	v_add3_u32 v48, v20, v48, s63
                                        ; implicit-def: $vgpr20
; %bb.165:                              ;   in Loop: Header=BB373_14 Depth=1
	s_andn2_saveexec_b64 s[46:47], s[4:5]
; %bb.166:                              ;   in Loop: Header=BB373_14 Depth=1
	v_or_b32_e32 v48, 0x10000, v20
	v_cmp_eq_u32_sdwa s[4:5], v20, v23 src0_sel:WORD_0 src1_sel:DWORD
	v_cndmask_b32_e64 v48, v48, v20, s[4:5]
; %bb.167:                              ;   in Loop: Header=BB373_14 Depth=1
	s_or_b64 exec, exec, s[46:47]
	v_cmp_lt_u32_e64 s[4:5], s64, v18
	v_mov_b32_e32 v49, 0
	s_and_saveexec_b64 s[46:47], s[4:5]
	s_cbranch_execz .LBB373_173
; %bb.168:                              ;   in Loop: Header=BB373_14 Depth=1
	v_lshrrev_b32_e32 v20, 24, v18
	v_cmp_ne_u32_e64 s[4:5], s60, v20
	v_bfrev_b32_e32 v49, 1
	s_and_saveexec_b64 s[48:49], s[4:5]
	s_cbranch_execz .LBB373_172
; %bb.169:                              ;   in Loop: Header=BB373_14 Depth=1
	v_bfe_u32 v18, v18, 24, 7
	v_cmp_ne_u32_e64 s[4:5], s61, v18
	v_mov_b32_e32 v49, 0x7f800001
	s_and_saveexec_b64 s[50:51], s[4:5]
	s_cbranch_execz .LBB373_171
; %bb.170:                              ;   in Loop: Header=BB373_14 Depth=1
	v_and_b32_e32 v49, 7, v20
	v_ffbh_u32_e32 v50, v49
	v_min_u32_e32 v53, 32, v50
	v_subrev_u32_e32 v50, 28, v53
	v_lshlrev_b64 v[50:51], v50, v[20:21]
	v_lshrrev_b32_e32 v52, 3, v18
	v_sub_u32_e32 v51, 29, v53
	v_and_b32_e32 v50, 7, v50
	v_cmp_gt_u32_e64 s[4:5], 8, v18
	v_cndmask_b32_e64 v18, v52, v51, s[4:5]
	v_cndmask_b32_e64 v49, v49, v50, s[4:5]
	v_lshlrev_b32_e32 v20, 24, v20
	v_lshlrev_b32_e32 v49, 20, v49
	v_and_b32_e32 v20, 0x80000000, v20
	v_lshl_add_u32 v18, v18, 23, v33
	v_or3_b32 v49, v20, v18, v49
.LBB373_171:                            ;   in Loop: Header=BB373_14 Depth=1
	s_or_b64 exec, exec, s[50:51]
.LBB373_172:                            ;   in Loop: Header=BB373_14 Depth=1
	s_or_b64 exec, exec, s[48:49]
.LBB373_173:                            ;   in Loop: Header=BB373_14 Depth=1
	s_or_b64 exec, exec, s[46:47]
	v_mul_f32_e32 v20, s65, v49
	v_and_b32_e32 v18, 0x7f800000, v20
	v_cmp_ne_u32_e64 s[4:5], s62, v18
                                        ; implicit-def: $vgpr18
	s_and_saveexec_b64 s[46:47], s[4:5]
	s_xor_b64 s[4:5], exec, s[46:47]
; %bb.174:                              ;   in Loop: Header=BB373_14 Depth=1
	v_bfe_u32 v18, v20, 16, 1
	v_add3_u32 v18, v20, v18, s63
                                        ; implicit-def: $vgpr20
; %bb.175:                              ;   in Loop: Header=BB373_14 Depth=1
	s_andn2_saveexec_b64 s[46:47], s[4:5]
; %bb.176:                              ;   in Loop: Header=BB373_14 Depth=1
	v_or_b32_e32 v18, 0x10000, v20
	v_cmp_eq_u32_sdwa s[4:5], v20, v23 src0_sel:WORD_0 src1_sel:DWORD
	v_cndmask_b32_e64 v18, v18, v20, s[4:5]
; %bb.177:                              ;   in Loop: Header=BB373_14 Depth=1
	s_or_b64 exec, exec, s[46:47]
	v_and_b32_e32 v41, 0xffff0000, v41
	v_and_b32_e32 v40, 0xffff0000, v40
	v_lshlrev_b32_e32 v50, 16, v8
	v_and_b32_e32 v8, 0xffff0000, v8
	v_and_b32_e32 v20, 0xffff0000, v47
	v_and_b32_e32 v42, 0xffff0000, v42
	v_and_b32_e32 v37, 0xffff0000, v37
	v_and_b32_e32 v36, 0xffff0000, v36
	v_lshlrev_b32_e32 v47, 16, v6
	v_lshlrev_b32_e32 v51, 16, v9
	v_and_b32_e32 v6, 0xffff0000, v6
	v_mul_f32_e32 v40, v50, v40
	v_mul_f32_e32 v8, v8, v41
	v_and_b32_e32 v45, 0xffff0000, v45
	v_and_b32_e32 v44, 0xffff0000, v44
	;; [unrolled: 1-line block ×4, first 2 shown]
	v_lshlrev_b32_e32 v49, 16, v7
	v_lshlrev_b32_e32 v52, 16, v2
	v_and_b32_e32 v9, 0xffff0000, v9
	v_and_b32_e32 v2, 0xffff0000, v2
	v_fmac_f32_e32 v40, v47, v36
	v_fmac_f32_e32 v8, v6, v37
	v_mul_f32_e32 v6, v51, v42
	v_and_b32_e32 v19, 0xffff0000, v19
	v_and_b32_e32 v46, 0xffff0000, v46
	;; [unrolled: 1-line block ×3, first 2 shown]
	v_lshlrev_b32_e32 v53, 16, v3
	v_lshlrev_b32_e32 v54, 16, v4
	v_and_b32_e32 v57, 64, v34
	v_and_b32_e32 v7, 0xffff0000, v7
	;; [unrolled: 1-line block ×3, first 2 shown]
	v_fmac_f32_e32 v6, v49, v38
	v_mul_f32_e32 v9, v9, v43
	v_fmac_f32_e32 v40, v52, v44
	v_fmac_f32_e32 v8, v2, v45
	v_and_b32_e32 v22, 0xffff0000, v22
	v_lshlrev_b32_e32 v55, 16, v5
	v_xor_b32_e32 v56, 1, v34
	v_add_u32_e32 v57, 64, v57
	v_and_b32_e32 v48, 0xffff0000, v48
	v_and_b32_e32 v3, 0xffff0000, v3
	v_fmac_f32_e32 v9, v7, v39
	v_fmac_f32_e32 v6, v53, v46
	;; [unrolled: 1-line block ×4, first 2 shown]
	v_cmp_lt_i32_e64 s[4:5], v56, v57
	v_and_b32_e32 v18, 0xffff0000, v18
	v_and_b32_e32 v5, 0xffff0000, v5
	v_fmac_f32_e32 v9, v3, v22
	v_fmac_f32_e32 v6, v55, v48
	v_add_f32_e32 v2, v40, v8
	v_cndmask_b32_e64 v56, v34, v56, s[4:5]
	v_fmac_f32_e32 v9, v5, v18
	v_add_f32_e32 v2, v2, v6
	v_lshlrev_b32_e32 v56, 2, v56
	v_add_f32_e32 v2, v2, v9
	ds_bpermute_b32 v3, v56, v2
	s_and_saveexec_b64 s[46:47], vcc
	s_cbranch_execz .LBB373_12
; %bb.178:                              ;   in Loop: Header=BB373_14 Depth=1
	v_add_u32_e32 v4, v31, v29
	v_cvt_f32_i32_e32 v4, v4
	s_waitcnt lgkmcnt(0)
	v_add_f32_e32 v2, v2, v3
	v_add_u32_e32 v5, v21, v29
	v_cmp_gt_i32_e64 s[4:5], s33, v5
	v_mul_f32_e32 v3, s55, v4
	v_cndmask_b32_e64 v3, 0, v3, s[2:3]
	v_fmac_f32_e32 v3, s43, v2
	v_cndmask_b32_e64 v2, 0, v3, s[4:5]
	ds_write_b32 v30, v2
	v_max_f32_e32 v2, v28, v28
	v_max_f32_e32 v2, v2, v3
	v_cndmask_b32_e64 v28, v28, v2, s[4:5]
	s_branch .LBB373_12
.LBB373_179:
	s_or_b64 exec, exec, s[44:45]
.LBB373_180:
	s_or_b64 exec, exec, s[18:19]
	v_mbcnt_hi_u32_b32 v4, -1, v15
	v_and_b32_e32 v2, 64, v4
	v_add_u32_e32 v9, 64, v2
	v_xor_b32_e32 v2, 32, v4
	v_cmp_lt_i32_e32 vcc, v2, v9
	v_cndmask_b32_e32 v2, v4, v2, vcc
	v_lshlrev_b32_e32 v2, 2, v2
	s_waitcnt lgkmcnt(0)
	ds_bpermute_b32 v3, v2, v28
	v_xor_b32_e32 v6, 16, v4
	v_max_f32_e32 v5, v28, v28
	v_cmp_lt_i32_e32 vcc, v6, v9
	v_xor_b32_e32 v7, 8, v4
	s_waitcnt lgkmcnt(0)
	v_max_f32_e32 v3, v3, v3
	v_max_f32_e32 v5, v5, v3
	v_cndmask_b32_e32 v3, v4, v6, vcc
	v_lshlrev_b32_e32 v3, 2, v3
	ds_bpermute_b32 v6, v3, v5
	v_cmp_lt_i32_e32 vcc, v7, v9
	v_xor_b32_e32 v8, 4, v4
	v_xor_b32_e32 v12, 2, v4
	v_and_b32_e32 v20, 63, v0
	s_waitcnt lgkmcnt(0)
	v_max_f32_e32 v6, v6, v6
	v_max_f32_e32 v6, v5, v6
	v_cndmask_b32_e32 v5, v4, v7, vcc
	v_lshlrev_b32_e32 v5, 2, v5
	ds_bpermute_b32 v7, v5, v6
	v_cmp_lt_i32_e32 vcc, v8, v9
	s_waitcnt lgkmcnt(0)
	v_max_f32_e32 v7, v7, v7
	v_max_f32_e32 v7, v6, v7
	v_cndmask_b32_e32 v6, v4, v8, vcc
	v_lshlrev_b32_e32 v6, 2, v6
	ds_bpermute_b32 v8, v6, v7
	v_cmp_lt_i32_e32 vcc, v12, v9
	s_waitcnt lgkmcnt(0)
	v_max_f32_e32 v8, v8, v8
	v_max_f32_e32 v8, v7, v8
	v_cndmask_b32_e32 v7, v4, v12, vcc
	v_lshlrev_b32_e32 v21, 2, v7
	ds_bpermute_b32 v12, v21, v8
	v_cmp_eq_u32_e32 vcc, 0, v20
	v_lshlrev_b32_e32 v7, 2, v26
	s_and_saveexec_b64 s[2:3], vcc
	s_cbranch_execz .LBB373_182
; %bb.181:
	s_waitcnt lgkmcnt(0)
	v_max_f32_e32 v12, v12, v12
	v_max_f32_e32 v8, v8, v8
	;; [unrolled: 1-line block ×3, first 2 shown]
	ds_write_b32 v7, v8 offset:64
.LBB373_182:
	s_or_b64 exec, exec, s[2:3]
	v_cmp_gt_u32_e64 s[2:3], 2, v20
	s_waitcnt lgkmcnt(0)
	v_mov_b32_e32 v12, 0xff7fffff
	v_lshlrev_b32_e32 v8, 2, v20
	s_barrier
	s_and_saveexec_b64 s[4:5], s[2:3]
	s_cbranch_execz .LBB373_184
; %bb.183:
	ds_read_b32 v12, v8 offset:64
.LBB373_184:
	s_or_b64 exec, exec, s[4:5]
	v_xor_b32_e32 v13, 1, v4
	v_cmp_lt_i32_e64 s[4:5], v13, v9
	v_cndmask_b32_e64 v9, v4, v13, s[4:5]
	v_lshlrev_b32_e32 v22, 2, v9
	s_waitcnt lgkmcnt(0)
	ds_bpermute_b32 v9, v22, v12
	v_max_f32_e32 v12, v12, v12
	v_lshlrev_b32_e32 v4, 2, v4
	s_sub_i32 s4, s53, s56
	s_lshl_b32 s4, s4, 5
	s_waitcnt lgkmcnt(0)
	v_max_f32_e32 v9, v9, v9
	v_max_f32_e32 v12, v12, v9
	v_and_b32_e32 v9, 0x100, v4
	ds_bpermute_b32 v4, v9, v12
	s_add_i32 s4, s4, s9
	s_min_i32 s44, s4, s33
	s_sub_i32 s43, s44, s9
	v_cmp_gt_i32_e64 s[4:5], s43, v0
	v_mov_b32_e32 v12, 0
	s_and_saveexec_b64 s[12:13], s[4:5]
	s_cbranch_execz .LBB373_188
; %bb.185:
	v_mov_b32_e32 v12, 0x50
	v_lshl_add_u32 v13, v0, 2, v12
	s_mov_b64 s[18:19], 0
	v_mov_b32_e32 v12, 0
	v_mov_b32_e32 v14, v0
.LBB373_186:                            ; =>This Inner Loop Header: Depth=1
	ds_read_b32 v15, v13
	v_add_u32_e32 v14, 0x80, v14
	v_cmp_le_i32_e64 s[10:11], s43, v14
	s_or_b64 s[18:19], s[10:11], s[18:19]
	s_waitcnt lgkmcnt(0)
	v_sub_f32_e32 v15, v15, v4
	v_mul_f32_e32 v15, 0x3fb8aa3b, v15
	v_exp_f32_e32 v15, v15
	ds_write_b32 v13, v15
	v_add_f32_e32 v12, v12, v15
	v_add_u32_e32 v13, 0x200, v13
	s_andn2_b64 exec, exec, s[18:19]
	s_cbranch_execnz .LBB373_186
; %bb.187:
	s_or_b64 exec, exec, s[18:19]
.LBB373_188:
	s_or_b64 exec, exec, s[12:13]
	ds_bpermute_b32 v2, v2, v12
	s_waitcnt lgkmcnt(0)
	v_add_f32_e32 v2, v12, v2
	ds_bpermute_b32 v3, v3, v2
	s_waitcnt lgkmcnt(0)
	v_add_f32_e32 v2, v2, v3
	;; [unrolled: 3-line block ×6, first 2 shown]
	s_and_saveexec_b64 s[10:11], vcc
	s_cbranch_execz .LBB373_190
; %bb.189:
	ds_write_b32 v7, v2 offset:72
.LBB373_190:
	s_or_b64 exec, exec, s[10:11]
	s_waitcnt lgkmcnt(0)
	s_barrier
	s_and_saveexec_b64 s[10:11], s[2:3]
	s_cbranch_execz .LBB373_192
; %bb.191:
	ds_read_b32 v2, v8 offset:72
.LBB373_192:
	s_or_b64 exec, exec, s[10:11]
	s_waitcnt lgkmcnt(0)
	ds_bpermute_b32 v3, v22, v2
	s_waitcnt lgkmcnt(0)
	v_add_f32_e32 v2, v2, v3
	ds_bpermute_b32 v5, v9, v2
	s_and_saveexec_b64 s[2:3], s[4:5]
	s_cbranch_execz .LBB373_205
; %bb.193:
	s_waitcnt lgkmcnt(0)
	v_add_f32_e32 v2, 0x358637bd, v5
	v_div_scale_f32 v3, s[4:5], v2, v2, 1.0
	v_rcp_f32_e32 v6, v3
	v_div_scale_f32 v7, vcc, 1.0, v2, 1.0
	s_movk_i32 s4, 0x7f
	v_fma_f32 v8, -v3, v6, 1.0
	v_fmac_f32_e32 v6, v8, v6
	v_mul_f32_e32 v8, v7, v6
	v_fma_f32 v9, -v3, v8, v7
	v_fmac_f32_e32 v8, v9, v6
	v_fma_f32 v3, -v3, v8, v7
	v_div_fmas_f32 v3, v3, v6, v8
	v_div_fixup_f32 v2, v3, v2, 1.0
	v_xad_u32 v3, v0, -1, s44
	v_subrev_u32_e32 v6, s9, v3
	v_cmp_lt_u32_e32 vcc, s4, v6
	s_mov_b64 s[10:11], -1
	v_mov_b32_e32 v3, v0
	s_and_saveexec_b64 s[4:5], vcc
	s_cbranch_execz .LBB373_202
; %bb.194:
	v_lshrrev_b32_e32 v6, 7, v6
	v_add_u32_e32 v8, -1, v6
	v_lshrrev_b32_e32 v7, 1, v8
	v_mov_b32_e32 v3, v2
	v_add_u32_e32 v7, 1, v7
	v_cmp_lt_u32_e32 vcc, 13, v8
	v_mov_b32_e32 v12, 0
	s_and_saveexec_b64 s[10:11], vcc
	s_cbranch_execz .LBB373_198
; %bb.195:
	v_mov_b32_e32 v9, 0x50
	v_and_b32_e32 v8, -8, v7
	v_lshl_add_u32 v9, v0, 2, v9
	s_mov_b32 s9, 0
	s_mov_b64 s[12:13], 0
.LBB373_196:                            ; =>This Inner Loop Header: Depth=1
	ds_read2st64_b32 v[12:13], v9 offset1:2
	ds_read2st64_b32 v[14:15], v9 offset0:4 offset1:6
	ds_read2st64_b32 v[16:17], v9 offset0:8 offset1:10
	;; [unrolled: 1-line block ×3, first 2 shown]
	v_add_u32_e32 v8, -8, v8
	s_waitcnt lgkmcnt(3)
	v_pk_mul_f32 v[12:13], v[2:3], v[12:13]
	s_waitcnt lgkmcnt(2)
	v_pk_mul_f32 v[14:15], v[2:3], v[14:15]
	ds_write2st64_b32 v9, v12, v13 offset1:2
	ds_write2st64_b32 v9, v14, v15 offset0:4 offset1:6
	ds_read2st64_b32 v[14:15], v9 offset0:16 offset1:18
	s_waitcnt lgkmcnt(4)
	v_pk_mul_f32 v[12:13], v[2:3], v[16:17]
	ds_write2st64_b32 v9, v12, v13 offset0:8 offset1:10
	s_waitcnt lgkmcnt(4)
	v_pk_mul_f32 v[12:13], v[2:3], v[18:19]
	ds_write2st64_b32 v9, v12, v13 offset0:12 offset1:14
	ds_read2st64_b32 v[12:13], v9 offset0:20 offset1:22
	s_waitcnt lgkmcnt(3)
	v_pk_mul_f32 v[14:15], v[2:3], v[14:15]
	ds_read2st64_b32 v[16:17], v9 offset0:24 offset1:26
	ds_write2st64_b32 v9, v14, v15 offset0:16 offset1:18
	ds_read2st64_b32 v[14:15], v9 offset0:28 offset1:30
	s_waitcnt lgkmcnt(3)
	v_pk_mul_f32 v[12:13], v[2:3], v[12:13]
	ds_write2st64_b32 v9, v12, v13 offset0:20 offset1:22
	s_waitcnt lgkmcnt(3)
	v_pk_mul_f32 v[12:13], v[2:3], v[16:17]
	ds_write2st64_b32 v9, v12, v13 offset0:24 offset1:26
	s_waitcnt lgkmcnt(2)
	v_pk_mul_f32 v[12:13], v[2:3], v[14:15]
	s_add_i32 s9, s9, 16
	v_cmp_eq_u32_e32 vcc, 0, v8
	ds_write2st64_b32 v9, v12, v13 offset0:28 offset1:30
	v_add_u32_e32 v9, 0x2000, v9
	s_or_b64 s[12:13], vcc, s[12:13]
	v_mov_b32_e32 v12, s9
	s_andn2_b64 exec, exec, s[12:13]
	s_cbranch_execnz .LBB373_196
; %bb.197:
	s_or_b64 exec, exec, s[12:13]
.LBB373_198:
	s_or_b64 exec, exec, s[10:11]
	v_and_b32_e32 v7, 7, v7
	v_cmp_ne_u32_e32 vcc, 0, v7
	s_and_saveexec_b64 s[10:11], vcc
	s_cbranch_execz .LBB373_201
; %bb.199:
	v_lshlrev_b32_e32 v8, 9, v12
	v_lshlrev_b32_e32 v9, 2, v0
	s_movk_i32 s9, 0x50
	v_add3_u32 v8, v8, v9, s9
	s_mov_b64 s[12:13], 0
.LBB373_200:                            ; =>This Inner Loop Header: Depth=1
	ds_read2st64_b32 v[12:13], v8 offset1:2
	v_add_u32_e32 v7, -1, v7
	v_cmp_eq_u32_e32 vcc, 0, v7
	s_or_b64 s[12:13], vcc, s[12:13]
	s_waitcnt lgkmcnt(0)
	v_pk_mul_f32 v[12:13], v[2:3], v[12:13]
	ds_write2st64_b32 v8, v12, v13 offset1:2
	v_add_u32_e32 v8, 0x400, v8
	s_andn2_b64 exec, exec, s[12:13]
	s_cbranch_execnz .LBB373_200
.LBB373_201:
	s_or_b64 exec, exec, s[10:11]
	v_add_u32_e32 v6, 1, v6
	v_and_b32_e32 v7, 0x3fffffe, v6
	v_cmp_ne_u32_e32 vcc, v6, v7
	v_lshl_add_u32 v3, v7, 7, v0
	s_orn2_b64 s[10:11], vcc, exec
.LBB373_202:
	s_or_b64 exec, exec, s[4:5]
	s_and_b64 exec, exec, s[10:11]
	s_cbranch_execz .LBB373_205
; %bb.203:
	v_mov_b32_e32 v6, 0x50
	v_lshl_add_u32 v6, v3, 2, v6
	s_mov_b64 s[4:5], 0
.LBB373_204:                            ; =>This Inner Loop Header: Depth=1
	ds_read_b32 v7, v6
	v_add_u32_e32 v3, 0x80, v3
	v_cmp_le_i32_e32 vcc, s43, v3
	s_or_b64 s[4:5], vcc, s[4:5]
	s_waitcnt lgkmcnt(0)
	v_mul_f32_e32 v7, v2, v7
	ds_write_b32 v6, v7
	v_add_u32_e32 v6, 0x200, v6
	s_andn2_b64 exec, exec, s[4:5]
	s_cbranch_execnz .LBB373_204
.LBB373_205:
	s_or_b64 exec, exec, s[2:3]
	v_cmp_eq_u32_e32 vcc, 0, v0
	s_waitcnt lgkmcnt(0)
	s_barrier
	s_and_saveexec_b64 s[2:3], vcc
	s_cbranch_execz .LBB373_207
; %bb.206:
	s_mul_i32 s4, s20, s28
	s_mul_i32 s4, s4, s29
	s_ashr_i32 s5, s4, 31
	s_lshl_b64 s[4:5], s[4:5], 2
	s_add_u32 s9, s26, s4
	s_mul_i32 s10, s20, s6
	s_addc_u32 s12, s27, s5
	s_ashr_i32 s11, s10, 31
	s_lshl_b64 s[10:11], s[10:11], 2
	s_add_u32 s6, s9, s10
	s_addc_u32 s19, s12, s11
	s_ashr_i32 s9, s8, 31
	s_lshl_b64 s[12:13], s[8:9], 2
	s_add_u32 s18, s6, s12
	s_addc_u32 s19, s19, s13
	s_add_u32 s4, s24, s4
	s_addc_u32 s5, s25, s5
	;; [unrolled: 2-line block ×3, first 2 shown]
	s_add_u32 s4, s4, s12
	v_mov_b32_e32 v2, 0
	s_addc_u32 s5, s5, s13
	global_store_dword v2, v4, s[18:19]
	global_store_dword v2, v5, s[4:5]
.LBB373_207:
	s_or_b64 exec, exec, s[2:3]
	v_mov_b32_e32 v15, 0
	v_and_b32_e32 v23, 3, v0
	v_mov_b32_e32 v14, v15
	s_and_saveexec_b64 s[2:3], s[0:1]
	s_cbranch_execz .LBB373_473
; %bb.208:
	s_sub_i32 s9, s16, s21
	s_ashr_i32 s0, s54, 31
	s_add_u32 s1, s40, s54
	s_addc_u32 s0, s41, s0
	s_abs_i32 s21, s22
	v_cvt_f32_u32_e32 v2, s21
	s_sub_i32 s6, 0, s21
	v_and_b32_e32 v3, 0x1f8, v25
	v_and_b32_e32 v24, 24, v25
	v_rcp_iflag_f32_e32 v2, v2
	s_add_i32 s24, s7, -1
	v_add_co_u32_e32 v12, vcc, s1, v3
	v_mul_f32_e32 v2, 0x4f7ffffe, v2
	v_cvt_u32_f32_e32 v2, v2
	s_mov_b32 s4, -1
	s_mov_b32 s22, s17
	s_mov_b32 s5, 0xffffff
	v_mul_lo_u32 v4, s6, v2
	v_mul_hi_u32 v4, v2, v4
	v_add_u32_e32 v25, v2, v4
	v_mov_b32_e32 v2, s0
	s_lshl_b64 s[0:1], s[38:39], 2
	v_addc_co_u32_e32 v13, vcc, 0, v2, vcc
	v_lshlrev_b64 v[2:3], 2, v[10:11]
	s_add_u32 s0, s36, s0
	s_addc_u32 s1, s37, s1
	v_add_co_u32_e32 v16, vcc, s0, v2
	v_lshlrev_b32_e32 v2, 5, v23
	v_mov_b32_e32 v4, s1
	v_lshl_or_b32 v2, v26, 7, v2
	v_mov_b32_e32 v26, 0
	v_addc_co_u32_e32 v17, vcc, v4, v3, vcc
	v_add_u32_e32 v11, 0x50, v2
	s_mov_b64 s[6:7], 0
	s_mov_b32 s25, 0x7f800000
	s_movk_i32 s26, 0x7fff
	s_movk_i32 s27, 0x80
	;; [unrolled: 1-line block ×3, first 2 shown]
	v_mov_b32_e32 v19, 0
	v_bfrev_b32_e32 v27, 60
	v_mov_b32_e32 v14, 0
	v_mov_b32_e32 v15, v26
	s_branch .LBB373_211
.LBB373_209:                            ;   in Loop: Header=BB373_211 Depth=1
	s_or_b64 exec, exec, s[0:1]
	v_and_b32_e32 v34, 0xffff0000, v28
	v_and_b32_e32 v28, 0xffff0000, v9
	;; [unrolled: 1-line block ×6, first 2 shown]
	v_pk_add_f32 v[6:7], v[6:7], v[8:9]
	v_and_b32_e32 v35, 0xffff0000, v38
	v_and_b32_e32 v29, 0xffff0000, v29
	v_mov_b32_e32 v8, v7
	v_pk_add_f32 v[6:7], v[6:7], v[8:9]
	v_pk_add_f32 v[8:9], v[28:29], v[34:35]
	;; [unrolled: 1-line block ×3, first 2 shown]
	v_mov_b32_e32 v8, v9
	v_pk_add_f32 v[6:7], v[6:7], v[8:9]
	v_and_b32_e32 v9, 0xffff0000, v3
	v_and_b32_e32 v5, 0xffff0000, v31
	;; [unrolled: 1-line block ×5, first 2 shown]
	v_pk_add_f32 v[2:3], v[2:3], v[4:5]
	v_and_b32_e32 v8, 0xffff0000, v33
	v_and_b32_e32 v29, 0xffff0000, v18
	;; [unrolled: 1-line block ×3, first 2 shown]
	v_mov_b32_e32 v4, v3
	v_pk_add_f32 v[2:3], v[2:3], v[4:5]
	v_pk_add_f32 v[4:5], v[28:29], v[8:9]
	;; [unrolled: 1-line block ×3, first 2 shown]
	v_mov_b32_e32 v4, v5
	v_pk_add_f32 v[2:3], v[2:3], v[4:5]
	v_mov_b32_e32 v3, v2
	v_pk_add_f32 v[6:7], v[14:15], v[6:7]
	v_pk_add_f32 v[2:3], v[14:15], v[2:3]
	v_mov_b32_e32 v7, v3
	v_pk_mov_b32 v[14:15], v[6:7], v[6:7] op_sel:[0,1]
.LBB373_210:                            ;   in Loop: Header=BB373_211 Depth=1
	s_or_b64 exec, exec, s[10:11]
	v_add_co_u32_e32 v16, vcc, 8, v16
	v_add_u32_e32 v10, 2, v10
	v_addc_co_u32_e32 v17, vcc, 0, v17, vcc
	v_cmp_le_i32_e32 vcc, s53, v10
	v_add_u32_e32 v1, 64, v1
	s_or_b64 s[6:7], vcc, s[6:7]
	v_add_u32_e32 v11, 0x100, v11
	s_andn2_b64 exec, exec, s[6:7]
	s_cbranch_execz .LBB373_472
.LBB373_211:                            ; =>This Inner Loop Header: Depth=1
	v_sub_u32_e32 v3, 0, v1
	v_max_i32_e32 v3, v1, v3
	v_mul_hi_u32 v4, v3, s52
	v_mul_lo_u32 v5, v4, s31
	v_sub_u32_e32 v3, v3, v5
	v_add_u32_e32 v5, 1, v4
	v_cmp_le_u32_e32 vcc, s31, v3
	v_cndmask_b32_e32 v4, v4, v5, vcc
	v_subrev_u32_e32 v5, s31, v3
	v_cndmask_b32_e32 v3, v3, v5, vcc
	v_ashrrev_i32_e32 v2, 31, v1
	v_add_u32_e32 v5, 1, v4
	v_cmp_le_u32_e32 vcc, s31, v3
	v_xor_b32_e32 v2, s23, v2
	v_cndmask_b32_e32 v3, v4, v5, vcc
	v_xor_b32_e32 v3, v3, v2
	v_sub_u32_e32 v2, v3, v2
	v_add_u32_e32 v3, s42, v2
	v_sub_u32_e32 v5, 0, v3
	v_ashrrev_i32_e32 v4, 31, v3
	v_max_i32_e32 v3, v3, v5
	v_mul_hi_u32 v5, v3, v25
	v_mul_lo_u32 v5, v5, s21
	v_sub_u32_e32 v3, v3, v5
	v_subrev_u32_e32 v5, s21, v3
	v_cmp_le_u32_e32 vcc, s21, v3
	v_cndmask_b32_e32 v3, v3, v5, vcc
	v_subrev_u32_e32 v5, s21, v3
	v_cmp_le_u32_e32 vcc, s21, v3
	v_cndmask_b32_e32 v3, v3, v5, vcc
	v_xor_b32_e32 v3, v3, v4
	v_sub_u32_e32 v3, v3, v4
	v_cmp_eq_u32_e32 vcc, 0, v3
	v_cmp_lt_i32_e64 s[0:1], s9, v2
	s_or_b64 s[0:1], vcc, s[0:1]
	s_and_saveexec_b64 s[10:11], s[0:1]
	s_cbranch_execz .LBB373_210
; %bb.212:                              ;   in Loop: Header=BB373_211 Depth=1
	global_load_dword v18, v[16:17], off
	ds_read2_b64 v[6:9], v11 offset1:1
	ds_read2_b64 v[2:5], v11 offset0:2 offset1:3
                                        ; implicit-def: $vgpr39
	s_waitcnt lgkmcnt(1)
	v_and_b32_e32 v28, 0x7f800000, v6
	v_cmp_ne_u32_e32 vcc, s25, v28
	s_and_saveexec_b64 s[0:1], vcc
	s_xor_b64 s[0:1], exec, s[0:1]
; %bb.213:                              ;   in Loop: Header=BB373_211 Depth=1
	v_bfe_u32 v28, v6, 16, 1
	v_add3_u32 v39, v6, v28, s26
; %bb.214:                              ;   in Loop: Header=BB373_211 Depth=1
	s_andn2_saveexec_b64 s[0:1], s[0:1]
; %bb.215:                              ;   in Loop: Header=BB373_211 Depth=1
	v_or_b32_e32 v28, 0x10000, v6
	v_cmp_eq_u32_sdwa vcc, v6, v26 src0_sel:WORD_0 src1_sel:DWORD
	v_cndmask_b32_e32 v39, v28, v6, vcc
; %bb.216:                              ;   in Loop: Header=BB373_211 Depth=1
	s_or_b64 exec, exec, s[0:1]
	v_and_b32_e32 v6, 0x7f800000, v7
	v_cmp_ne_u32_e32 vcc, s25, v6
                                        ; implicit-def: $vgpr40
	s_and_saveexec_b64 s[0:1], vcc
	s_xor_b64 s[0:1], exec, s[0:1]
; %bb.217:                              ;   in Loop: Header=BB373_211 Depth=1
	v_bfe_u32 v6, v7, 16, 1
	v_add3_u32 v40, v7, v6, s26
; %bb.218:                              ;   in Loop: Header=BB373_211 Depth=1
	s_andn2_saveexec_b64 s[0:1], s[0:1]
; %bb.219:                              ;   in Loop: Header=BB373_211 Depth=1
	v_or_b32_e32 v6, 0x10000, v7
	v_cmp_eq_u32_sdwa vcc, v7, v26 src0_sel:WORD_0 src1_sel:DWORD
	v_cndmask_b32_e32 v40, v6, v7, vcc
; %bb.220:                              ;   in Loop: Header=BB373_211 Depth=1
	s_or_b64 exec, exec, s[0:1]
	v_and_b32_e32 v6, 0x7f800000, v8
	v_cmp_ne_u32_e32 vcc, s25, v6
                                        ; implicit-def: $vgpr41
	s_and_saveexec_b64 s[0:1], vcc
	s_xor_b64 s[0:1], exec, s[0:1]
; %bb.221:                              ;   in Loop: Header=BB373_211 Depth=1
	v_bfe_u32 v6, v8, 16, 1
	v_add3_u32 v41, v8, v6, s26
; %bb.222:                              ;   in Loop: Header=BB373_211 Depth=1
	s_andn2_saveexec_b64 s[0:1], s[0:1]
; %bb.223:                              ;   in Loop: Header=BB373_211 Depth=1
	v_or_b32_e32 v6, 0x10000, v8
	v_cmp_eq_u32_sdwa vcc, v8, v26 src0_sel:WORD_0 src1_sel:DWORD
	v_cndmask_b32_e32 v41, v6, v8, vcc
; %bb.224:                              ;   in Loop: Header=BB373_211 Depth=1
	s_or_b64 exec, exec, s[0:1]
	v_and_b32_e32 v6, 0x7f800000, v9
	v_cmp_ne_u32_e32 vcc, s25, v6
                                        ; implicit-def: $vgpr42
	s_and_saveexec_b64 s[0:1], vcc
	s_xor_b64 s[0:1], exec, s[0:1]
; %bb.225:                              ;   in Loop: Header=BB373_211 Depth=1
	v_bfe_u32 v6, v9, 16, 1
	v_add3_u32 v42, v9, v6, s26
                                        ; implicit-def: $vgpr6_vgpr7_vgpr8_vgpr9
; %bb.226:                              ;   in Loop: Header=BB373_211 Depth=1
	s_andn2_saveexec_b64 s[0:1], s[0:1]
; %bb.227:                              ;   in Loop: Header=BB373_211 Depth=1
	v_or_b32_e32 v6, 0x10000, v9
	v_cmp_eq_u32_sdwa vcc, v9, v26 src0_sel:WORD_0 src1_sel:DWORD
	v_cndmask_b32_e32 v42, v6, v9, vcc
; %bb.228:                              ;   in Loop: Header=BB373_211 Depth=1
	s_or_b64 exec, exec, s[0:1]
	s_waitcnt lgkmcnt(0)
	v_and_b32_e32 v6, 0x7f800000, v2
	v_cmp_ne_u32_e32 vcc, s25, v6
                                        ; implicit-def: $vgpr9
	s_and_saveexec_b64 s[0:1], vcc
	s_xor_b64 s[0:1], exec, s[0:1]
; %bb.229:                              ;   in Loop: Header=BB373_211 Depth=1
	v_bfe_u32 v6, v2, 16, 1
	v_add3_u32 v9, v2, v6, s26
; %bb.230:                              ;   in Loop: Header=BB373_211 Depth=1
	s_andn2_saveexec_b64 s[0:1], s[0:1]
; %bb.231:                              ;   in Loop: Header=BB373_211 Depth=1
	v_or_b32_e32 v6, 0x10000, v2
	v_cmp_eq_u32_sdwa vcc, v2, v26 src0_sel:WORD_0 src1_sel:DWORD
	v_cndmask_b32_e32 v9, v6, v2, vcc
; %bb.232:                              ;   in Loop: Header=BB373_211 Depth=1
	s_or_b64 exec, exec, s[0:1]
	v_and_b32_e32 v2, 0x7f800000, v3
	v_cmp_ne_u32_e32 vcc, s25, v2
                                        ; implicit-def: $vgpr28
	s_and_saveexec_b64 s[0:1], vcc
	s_xor_b64 s[0:1], exec, s[0:1]
; %bb.233:                              ;   in Loop: Header=BB373_211 Depth=1
	v_bfe_u32 v2, v3, 16, 1
	v_add3_u32 v28, v3, v2, s26
; %bb.234:                              ;   in Loop: Header=BB373_211 Depth=1
	s_andn2_saveexec_b64 s[0:1], s[0:1]
; %bb.235:                              ;   in Loop: Header=BB373_211 Depth=1
	v_or_b32_e32 v2, 0x10000, v3
	v_cmp_eq_u32_sdwa vcc, v3, v26 src0_sel:WORD_0 src1_sel:DWORD
	v_cndmask_b32_e32 v28, v2, v3, vcc
; %bb.236:                              ;   in Loop: Header=BB373_211 Depth=1
	s_or_b64 exec, exec, s[0:1]
	v_and_b32_e32 v2, 0x7f800000, v4
	v_cmp_ne_u32_e32 vcc, s25, v2
                                        ; implicit-def: $vgpr29
	s_and_saveexec_b64 s[0:1], vcc
	s_xor_b64 s[0:1], exec, s[0:1]
; %bb.237:                              ;   in Loop: Header=BB373_211 Depth=1
	v_bfe_u32 v2, v4, 16, 1
	v_add3_u32 v29, v4, v2, s26
; %bb.238:                              ;   in Loop: Header=BB373_211 Depth=1
	s_andn2_saveexec_b64 s[0:1], s[0:1]
; %bb.239:                              ;   in Loop: Header=BB373_211 Depth=1
	v_or_b32_e32 v2, 0x10000, v4
	v_cmp_eq_u32_sdwa vcc, v4, v26 src0_sel:WORD_0 src1_sel:DWORD
	v_cndmask_b32_e32 v29, v2, v4, vcc
; %bb.240:                              ;   in Loop: Header=BB373_211 Depth=1
	s_or_b64 exec, exec, s[0:1]
	v_and_b32_e32 v2, 0x7f800000, v5
	v_cmp_ne_u32_e32 vcc, s25, v2
                                        ; implicit-def: $vgpr38
	s_and_saveexec_b64 s[0:1], vcc
	s_xor_b64 s[0:1], exec, s[0:1]
; %bb.241:                              ;   in Loop: Header=BB373_211 Depth=1
	v_bfe_u32 v2, v5, 16, 1
	v_add3_u32 v38, v5, v2, s26
                                        ; implicit-def: $vgpr2_vgpr3_vgpr4_vgpr5
; %bb.242:                              ;   in Loop: Header=BB373_211 Depth=1
	s_andn2_saveexec_b64 s[0:1], s[0:1]
; %bb.243:                              ;   in Loop: Header=BB373_211 Depth=1
	v_or_b32_e32 v2, 0x10000, v5
	v_cmp_eq_u32_sdwa vcc, v5, v26 src0_sel:WORD_0 src1_sel:DWORD
	v_cndmask_b32_e32 v38, v2, v5, vcc
; %bb.244:                              ;   in Loop: Header=BB373_211 Depth=1
	s_or_b64 exec, exec, s[0:1]
	s_waitcnt vmcnt(0)
	v_mad_i64_i32 v[2:3], s[0:1], v18, s22, v[12:13]
	global_load_dwordx2 v[4:5], v[2:3], off
	s_load_dword s37, s[14:15], 0x0
	v_mov_b32_e32 v6, 0
	s_waitcnt vmcnt(0)
	v_cmp_ne_u16_sdwa s[12:13], v4, v26 src0_sel:BYTE_0 src1_sel:DWORD
	s_and_saveexec_b64 s[0:1], s[12:13]
	s_cbranch_execz .LBB373_250
; %bb.245:                              ;   in Loop: Header=BB373_211 Depth=1
	v_cmp_ne_u16_sdwa s[16:17], v4, s27 src0_sel:BYTE_0 src1_sel:DWORD
	v_bfrev_b32_e32 v6, 1
	s_and_saveexec_b64 s[12:13], s[16:17]
	s_cbranch_execz .LBB373_249
; %bb.246:                              ;   in Loop: Header=BB373_211 Depth=1
	v_and_b32_e32 v7, 0x7f, v4
	v_cmp_ne_u32_e32 vcc, s36, v7
	v_mov_b32_e32 v6, 0x7f800001
	s_and_saveexec_b64 s[16:17], vcc
	s_cbranch_execz .LBB373_248
; %bb.247:                              ;   in Loop: Header=BB373_211 Depth=1
	v_and_b32_e32 v6, 7, v4
	v_ffbh_u32_e32 v6, v6
	v_min_u32_e32 v6, 32, v6
	v_lshrrev_b32_e32 v8, 3, v7
	v_subrev_u32_e32 v18, 28, v6
	v_sub_u32_e32 v6, 29, v6
	v_cmp_gt_u32_e32 vcc, 8, v7
	v_cndmask_b32_e32 v8, v8, v6, vcc
	v_cndmask_b32_e32 v6, 0, v18, vcc
	v_lshlrev_b64 v[6:7], v6, v[4:5]
	v_lshlrev_b32_e32 v6, 20, v6
	v_lshlrev_b32_e32 v7, 24, v4
	v_and_b32_e32 v6, 0x700000, v6
	v_and_b32_e32 v7, 0x80000000, v7
	v_lshl_add_u32 v8, v8, 23, v27
	v_or3_b32 v6, v7, v8, v6
.LBB373_248:                            ;   in Loop: Header=BB373_211 Depth=1
	s_or_b64 exec, exec, s[16:17]
.LBB373_249:                            ;   in Loop: Header=BB373_211 Depth=1
	s_or_b64 exec, exec, s[12:13]
.LBB373_250:                            ;   in Loop: Header=BB373_211 Depth=1
	s_or_b64 exec, exec, s[0:1]
	s_waitcnt lgkmcnt(0)
	v_mul_f32_e32 v6, s37, v6
	v_and_b32_e32 v7, 0x7f800000, v6
	v_cmp_ne_u32_e32 vcc, s25, v7
                                        ; implicit-def: $vgpr7
	s_and_saveexec_b64 s[0:1], vcc
	s_xor_b64 s[0:1], exec, s[0:1]
; %bb.251:                              ;   in Loop: Header=BB373_211 Depth=1
	v_bfe_u32 v7, v6, 16, 1
	v_add3_u32 v7, v6, v7, s26
                                        ; implicit-def: $vgpr6
; %bb.252:                              ;   in Loop: Header=BB373_211 Depth=1
	s_andn2_saveexec_b64 s[0:1], s[0:1]
; %bb.253:                              ;   in Loop: Header=BB373_211 Depth=1
	v_or_b32_e32 v7, 0x10000, v6
	v_cmp_eq_u32_sdwa vcc, v6, v26 src0_sel:WORD_0 src1_sel:DWORD
	v_cndmask_b32_e32 v7, v7, v6, vcc
; %bb.254:                              ;   in Loop: Header=BB373_211 Depth=1
	s_or_b64 exec, exec, s[0:1]
	v_lshrrev_b16_e32 v6, 8, v4
	v_cmp_ne_u16_e32 vcc, 0, v6
	v_mov_b32_e32 v8, 0
	s_and_saveexec_b64 s[0:1], vcc
	s_cbranch_execz .LBB373_260
; %bb.255:                              ;   in Loop: Header=BB373_211 Depth=1
	v_cmp_ne_u16_e32 vcc, s27, v6
	v_bfrev_b32_e32 v8, 1
	s_and_saveexec_b64 s[12:13], vcc
	s_cbranch_execz .LBB373_259
; %bb.256:                              ;   in Loop: Header=BB373_211 Depth=1
	v_and_b32_e32 v18, 0x7f, v6
	v_cmp_ne_u32_e32 vcc, s36, v18
	v_mov_b32_e32 v8, 0x7f800001
	s_and_saveexec_b64 s[16:17], vcc
	s_cbranch_execz .LBB373_258
; %bb.257:                              ;   in Loop: Header=BB373_211 Depth=1
	v_and_b32_e32 v8, 7, v6
	v_ffbh_u32_e32 v30, v8
	v_min_u32_e32 v33, 32, v30
	v_subrev_u32_e32 v30, 28, v33
	v_lshlrev_b64 v[30:31], v30, v[6:7]
	v_lshrrev_b32_e32 v32, 3, v18
	v_sub_u32_e32 v6, 29, v33
	v_and_b32_e32 v30, 7, v30
	v_cmp_gt_u32_e32 vcc, 8, v18
	v_cndmask_b32_e32 v6, v32, v6, vcc
	v_cndmask_b32_e32 v8, v8, v30, vcc
	v_lshlrev_b32_e32 v18, 16, v4
	v_lshlrev_b32_e32 v8, 20, v8
	v_and_b32_e32 v18, 0x80000000, v18
	v_lshl_add_u32 v6, v6, 23, v27
	v_or3_b32 v8, v18, v6, v8
.LBB373_258:                            ;   in Loop: Header=BB373_211 Depth=1
	s_or_b64 exec, exec, s[16:17]
.LBB373_259:                            ;   in Loop: Header=BB373_211 Depth=1
	s_or_b64 exec, exec, s[12:13]
.LBB373_260:                            ;   in Loop: Header=BB373_211 Depth=1
	s_or_b64 exec, exec, s[0:1]
	v_mul_f32_e32 v6, s37, v8
	v_and_b32_e32 v8, 0x7f800000, v6
	v_cmp_ne_u32_e32 vcc, s25, v8
                                        ; implicit-def: $vgpr8
	s_and_saveexec_b64 s[0:1], vcc
	s_xor_b64 s[0:1], exec, s[0:1]
; %bb.261:                              ;   in Loop: Header=BB373_211 Depth=1
	v_bfe_u32 v8, v6, 16, 1
	v_add3_u32 v8, v6, v8, s26
                                        ; implicit-def: $vgpr6
; %bb.262:                              ;   in Loop: Header=BB373_211 Depth=1
	s_andn2_saveexec_b64 s[0:1], s[0:1]
; %bb.263:                              ;   in Loop: Header=BB373_211 Depth=1
	v_or_b32_e32 v8, 0x10000, v6
	v_cmp_eq_u32_sdwa vcc, v6, v26 src0_sel:WORD_0 src1_sel:DWORD
	v_cndmask_b32_e32 v8, v8, v6, vcc
; %bb.264:                              ;   in Loop: Header=BB373_211 Depth=1
	s_or_b64 exec, exec, s[0:1]
	v_lshrrev_b32_e32 v6, 16, v4
	v_cmp_ne_u16_sdwa s[12:13], v6, v26 src0_sel:BYTE_0 src1_sel:DWORD
	v_mov_b32_e32 v18, 0
	s_and_saveexec_b64 s[0:1], s[12:13]
	s_cbranch_execz .LBB373_270
; %bb.265:                              ;   in Loop: Header=BB373_211 Depth=1
	v_cmp_ne_u16_sdwa s[16:17], v6, s27 src0_sel:BYTE_0 src1_sel:DWORD
	v_bfrev_b32_e32 v18, 1
	s_and_saveexec_b64 s[12:13], s[16:17]
	s_cbranch_execz .LBB373_269
; %bb.266:                              ;   in Loop: Header=BB373_211 Depth=1
	v_bfe_u32 v30, v4, 16, 7
	v_cmp_ne_u32_e32 vcc, s36, v30
	v_mov_b32_e32 v18, 0x7f800001
	s_and_saveexec_b64 s[16:17], vcc
	s_cbranch_execz .LBB373_268
; %bb.267:                              ;   in Loop: Header=BB373_211 Depth=1
	v_and_b32_e32 v18, 7, v6
	v_ffbh_u32_e32 v32, v18
	v_min_u32_e32 v34, 32, v32
	v_subrev_u32_e32 v32, 28, v34
	v_lshlrev_b64 v[32:33], v32, v[6:7]
	v_lshrrev_b32_e32 v31, 3, v30
	v_sub_u32_e32 v33, 29, v34
	v_and_b32_e32 v32, 7, v32
	v_cmp_gt_u32_e32 vcc, 8, v30
	v_cndmask_b32_e32 v30, v31, v33, vcc
	v_cndmask_b32_e32 v18, v18, v32, vcc
	v_lshlrev_b32_e32 v6, 24, v6
	v_lshlrev_b32_e32 v18, 20, v18
	v_and_b32_e32 v6, 0x80000000, v6
	v_lshl_add_u32 v30, v30, 23, v27
	v_or3_b32 v18, v6, v30, v18
.LBB373_268:                            ;   in Loop: Header=BB373_211 Depth=1
	s_or_b64 exec, exec, s[16:17]
.LBB373_269:                            ;   in Loop: Header=BB373_211 Depth=1
	s_or_b64 exec, exec, s[12:13]
.LBB373_270:                            ;   in Loop: Header=BB373_211 Depth=1
	s_or_b64 exec, exec, s[0:1]
	v_mul_f32_e32 v6, s37, v18
	v_and_b32_e32 v18, 0x7f800000, v6
	v_cmp_ne_u32_e32 vcc, s25, v18
                                        ; implicit-def: $vgpr31
	s_and_saveexec_b64 s[0:1], vcc
	s_xor_b64 s[0:1], exec, s[0:1]
; %bb.271:                              ;   in Loop: Header=BB373_211 Depth=1
	v_bfe_u32 v18, v6, 16, 1
	v_add3_u32 v31, v6, v18, s26
                                        ; implicit-def: $vgpr6
; %bb.272:                              ;   in Loop: Header=BB373_211 Depth=1
	s_andn2_saveexec_b64 s[0:1], s[0:1]
; %bb.273:                              ;   in Loop: Header=BB373_211 Depth=1
	v_or_b32_e32 v18, 0x10000, v6
	v_cmp_eq_u32_sdwa vcc, v6, v26 src0_sel:WORD_0 src1_sel:DWORD
	v_cndmask_b32_e32 v31, v18, v6, vcc
; %bb.274:                              ;   in Loop: Header=BB373_211 Depth=1
	s_or_b64 exec, exec, s[0:1]
	v_cmp_lt_u32_e32 vcc, s5, v4
	v_mov_b32_e32 v18, 0
	s_and_saveexec_b64 s[0:1], vcc
	s_cbranch_execz .LBB373_280
; %bb.275:                              ;   in Loop: Header=BB373_211 Depth=1
	v_lshrrev_b32_e32 v6, 24, v4
	v_cmp_ne_u32_e32 vcc, s27, v6
	v_bfrev_b32_e32 v18, 1
	s_and_saveexec_b64 s[12:13], vcc
	s_cbranch_execz .LBB373_279
; %bb.276:                              ;   in Loop: Header=BB373_211 Depth=1
	v_bfe_u32 v30, v4, 24, 7
	v_cmp_ne_u32_e32 vcc, s36, v30
	v_mov_b32_e32 v18, 0x7f800001
	s_and_saveexec_b64 s[16:17], vcc
	s_cbranch_execz .LBB373_278
; %bb.277:                              ;   in Loop: Header=BB373_211 Depth=1
	v_and_b32_e32 v18, 7, v6
	v_ffbh_u32_e32 v32, v18
	v_min_u32_e32 v35, 32, v32
	v_subrev_u32_e32 v32, 28, v35
	v_lshlrev_b64 v[32:33], v32, v[6:7]
	v_lshrrev_b32_e32 v34, 3, v30
	v_sub_u32_e32 v33, 29, v35
	v_and_b32_e32 v32, 7, v32
	v_cmp_gt_u32_e32 vcc, 8, v30
	v_cndmask_b32_e32 v30, v34, v33, vcc
	v_cndmask_b32_e32 v18, v18, v32, vcc
	v_lshlrev_b32_e32 v6, 24, v6
	v_lshlrev_b32_e32 v18, 20, v18
	v_and_b32_e32 v6, 0x80000000, v6
	v_lshl_add_u32 v30, v30, 23, v27
	v_or3_b32 v18, v6, v30, v18
.LBB373_278:                            ;   in Loop: Header=BB373_211 Depth=1
	s_or_b64 exec, exec, s[16:17]
.LBB373_279:                            ;   in Loop: Header=BB373_211 Depth=1
	s_or_b64 exec, exec, s[12:13]
.LBB373_280:                            ;   in Loop: Header=BB373_211 Depth=1
	s_or_b64 exec, exec, s[0:1]
	v_mul_f32_e32 v6, s37, v18
	v_and_b32_e32 v18, 0x7f800000, v6
	v_cmp_ne_u32_e32 vcc, s25, v18
                                        ; implicit-def: $vgpr32
	s_and_saveexec_b64 s[0:1], vcc
	s_xor_b64 s[0:1], exec, s[0:1]
; %bb.281:                              ;   in Loop: Header=BB373_211 Depth=1
	v_bfe_u32 v18, v6, 16, 1
	v_add3_u32 v32, v6, v18, s26
                                        ; implicit-def: $vgpr6
; %bb.282:                              ;   in Loop: Header=BB373_211 Depth=1
	s_andn2_saveexec_b64 s[0:1], s[0:1]
; %bb.283:                              ;   in Loop: Header=BB373_211 Depth=1
	v_or_b32_e32 v18, 0x10000, v6
	v_cmp_eq_u32_sdwa vcc, v6, v26 src0_sel:WORD_0 src1_sel:DWORD
	v_cndmask_b32_e32 v32, v18, v6, vcc
; %bb.284:                              ;   in Loop: Header=BB373_211 Depth=1
	s_or_b64 exec, exec, s[0:1]
	v_mov_b32_e32 v18, v5
	v_cmp_ne_u16_sdwa s[12:13], v5, v26 src0_sel:BYTE_0 src1_sel:DWORD
	v_mov_b32_e32 v6, 0
	s_and_saveexec_b64 s[0:1], s[12:13]
	s_cbranch_execz .LBB373_290
; %bb.285:                              ;   in Loop: Header=BB373_211 Depth=1
	v_cmp_ne_u16_sdwa s[16:17], v5, s27 src0_sel:BYTE_0 src1_sel:DWORD
	v_bfrev_b32_e32 v6, 1
	s_and_saveexec_b64 s[12:13], s[16:17]
	s_cbranch_execz .LBB373_289
; %bb.286:                              ;   in Loop: Header=BB373_211 Depth=1
	v_and_b32_e32 v30, 0x7f, v5
	v_cmp_ne_u32_e32 vcc, s36, v30
	v_mov_b32_e32 v6, 0x7f800001
	s_and_saveexec_b64 s[16:17], vcc
	s_cbranch_execz .LBB373_288
; %bb.287:                              ;   in Loop: Header=BB373_211 Depth=1
	v_and_b32_e32 v6, 7, v5
	v_ffbh_u32_e32 v6, v6
	v_min_u32_e32 v6, 32, v6
	v_subrev_u32_e32 v34, 28, v6
	v_cmp_gt_u32_e32 vcc, 8, v30
	v_lshrrev_b32_e32 v33, 3, v30
	v_cndmask_b32_e32 v30, 0, v34, vcc
	v_sub_u32_e32 v6, 29, v6
	v_lshlrev_b64 v[34:35], v30, v[18:19]
	v_cndmask_b32_e32 v6, v33, v6, vcc
	v_lshlrev_b32_e32 v30, 20, v34
	v_lshlrev_b32_e32 v33, 24, v18
	v_and_b32_e32 v30, 0x700000, v30
	v_and_b32_e32 v33, 0x80000000, v33
	v_lshl_add_u32 v6, v6, 23, v27
	v_or3_b32 v6, v33, v6, v30
.LBB373_288:                            ;   in Loop: Header=BB373_211 Depth=1
	s_or_b64 exec, exec, s[16:17]
.LBB373_289:                            ;   in Loop: Header=BB373_211 Depth=1
	s_or_b64 exec, exec, s[12:13]
.LBB373_290:                            ;   in Loop: Header=BB373_211 Depth=1
	s_or_b64 exec, exec, s[0:1]
	v_mul_f32_e32 v6, s37, v6
	v_and_b32_e32 v30, 0x7f800000, v6
	v_cmp_ne_u32_e32 vcc, s25, v30
                                        ; implicit-def: $vgpr33
	s_and_saveexec_b64 s[0:1], vcc
	s_xor_b64 s[0:1], exec, s[0:1]
; %bb.291:                              ;   in Loop: Header=BB373_211 Depth=1
	v_bfe_u32 v30, v6, 16, 1
	v_add3_u32 v33, v6, v30, s26
                                        ; implicit-def: $vgpr6
; %bb.292:                              ;   in Loop: Header=BB373_211 Depth=1
	s_andn2_saveexec_b64 s[0:1], s[0:1]
; %bb.293:                              ;   in Loop: Header=BB373_211 Depth=1
	v_or_b32_e32 v30, 0x10000, v6
	v_cmp_eq_u32_sdwa vcc, v6, v26 src0_sel:WORD_0 src1_sel:DWORD
	v_cndmask_b32_e32 v33, v30, v6, vcc
; %bb.294:                              ;   in Loop: Header=BB373_211 Depth=1
	s_or_b64 exec, exec, s[0:1]
	v_lshrrev_b16_e32 v6, 8, v18
	v_cmp_ne_u16_e32 vcc, 0, v6
	v_mov_b32_e32 v30, 0
	s_and_saveexec_b64 s[0:1], vcc
	s_cbranch_execz .LBB373_300
; %bb.295:                              ;   in Loop: Header=BB373_211 Depth=1
	v_cmp_ne_u16_e32 vcc, s27, v6
	v_bfrev_b32_e32 v30, 1
	s_and_saveexec_b64 s[12:13], vcc
	s_cbranch_execz .LBB373_299
; %bb.296:                              ;   in Loop: Header=BB373_211 Depth=1
	v_and_b32_e32 v34, 0x7f, v6
	v_cmp_ne_u32_e32 vcc, s36, v34
	v_mov_b32_e32 v30, 0x7f800001
	s_and_saveexec_b64 s[16:17], vcc
	s_cbranch_execz .LBB373_298
; %bb.297:                              ;   in Loop: Header=BB373_211 Depth=1
	v_and_b32_e32 v30, 7, v6
	v_ffbh_u32_e32 v36, v30
	v_min_u32_e32 v43, 32, v36
	v_subrev_u32_e32 v36, 28, v43
	v_lshlrev_b64 v[36:37], v36, v[6:7]
	v_lshrrev_b32_e32 v35, 3, v34
	v_sub_u32_e32 v6, 29, v43
	v_and_b32_e32 v36, 7, v36
	v_cmp_gt_u32_e32 vcc, 8, v34
	v_cndmask_b32_e32 v6, v35, v6, vcc
	v_cndmask_b32_e32 v30, v30, v36, vcc
	v_lshlrev_b32_e32 v18, 16, v18
	v_lshlrev_b32_e32 v30, 20, v30
	v_and_b32_e32 v18, 0x80000000, v18
	v_lshl_add_u32 v6, v6, 23, v27
	v_or3_b32 v30, v18, v6, v30
.LBB373_298:                            ;   in Loop: Header=BB373_211 Depth=1
	s_or_b64 exec, exec, s[16:17]
.LBB373_299:                            ;   in Loop: Header=BB373_211 Depth=1
	s_or_b64 exec, exec, s[12:13]
.LBB373_300:                            ;   in Loop: Header=BB373_211 Depth=1
	s_or_b64 exec, exec, s[0:1]
	v_mul_f32_e32 v6, s37, v30
	v_and_b32_e32 v18, 0x7f800000, v6
	v_cmp_ne_u32_e32 vcc, s25, v18
                                        ; implicit-def: $vgpr18
	s_and_saveexec_b64 s[0:1], vcc
	s_xor_b64 s[0:1], exec, s[0:1]
; %bb.301:                              ;   in Loop: Header=BB373_211 Depth=1
	v_bfe_u32 v18, v6, 16, 1
	v_add3_u32 v18, v6, v18, s26
                                        ; implicit-def: $vgpr6
; %bb.302:                              ;   in Loop: Header=BB373_211 Depth=1
	s_andn2_saveexec_b64 s[0:1], s[0:1]
; %bb.303:                              ;   in Loop: Header=BB373_211 Depth=1
	v_or_b32_e32 v18, 0x10000, v6
	v_cmp_eq_u32_sdwa vcc, v6, v26 src0_sel:WORD_0 src1_sel:DWORD
	v_cndmask_b32_e32 v18, v18, v6, vcc
; %bb.304:                              ;   in Loop: Header=BB373_211 Depth=1
	s_or_b64 exec, exec, s[0:1]
	v_lshrrev_b32_e32 v6, 16, v5
	v_cmp_ne_u16_sdwa s[12:13], v6, v26 src0_sel:BYTE_0 src1_sel:DWORD
	v_mov_b32_e32 v30, 0
	s_and_saveexec_b64 s[0:1], s[12:13]
	s_cbranch_execz .LBB373_310
; %bb.305:                              ;   in Loop: Header=BB373_211 Depth=1
	v_cmp_ne_u16_sdwa s[16:17], v6, s27 src0_sel:BYTE_0 src1_sel:DWORD
	v_bfrev_b32_e32 v30, 1
	s_and_saveexec_b64 s[12:13], s[16:17]
	s_cbranch_execz .LBB373_309
; %bb.306:                              ;   in Loop: Header=BB373_211 Depth=1
	v_bfe_u32 v34, v5, 16, 7
	v_cmp_ne_u32_e32 vcc, s36, v34
	v_mov_b32_e32 v30, 0x7f800001
	s_and_saveexec_b64 s[16:17], vcc
	s_cbranch_execz .LBB373_308
; %bb.307:                              ;   in Loop: Header=BB373_211 Depth=1
	v_and_b32_e32 v30, 7, v6
	v_ffbh_u32_e32 v36, v30
	v_min_u32_e32 v43, 32, v36
	v_subrev_u32_e32 v36, 28, v43
	v_lshlrev_b64 v[36:37], v36, v[6:7]
	v_lshrrev_b32_e32 v35, 3, v34
	v_sub_u32_e32 v37, 29, v43
	v_and_b32_e32 v36, 7, v36
	v_cmp_gt_u32_e32 vcc, 8, v34
	v_cndmask_b32_e32 v34, v35, v37, vcc
	v_cndmask_b32_e32 v30, v30, v36, vcc
	v_lshlrev_b32_e32 v6, 24, v6
	v_lshlrev_b32_e32 v30, 20, v30
	v_and_b32_e32 v6, 0x80000000, v6
	v_lshl_add_u32 v34, v34, 23, v27
	v_or3_b32 v30, v6, v34, v30
.LBB373_308:                            ;   in Loop: Header=BB373_211 Depth=1
	s_or_b64 exec, exec, s[16:17]
.LBB373_309:                            ;   in Loop: Header=BB373_211 Depth=1
	s_or_b64 exec, exec, s[12:13]
.LBB373_310:                            ;   in Loop: Header=BB373_211 Depth=1
	s_or_b64 exec, exec, s[0:1]
	v_mul_f32_e32 v30, s37, v30
	v_and_b32_e32 v6, 0x7f800000, v30
	v_cmp_ne_u32_e32 vcc, s25, v6
                                        ; implicit-def: $vgpr6
	s_and_saveexec_b64 s[0:1], vcc
	s_xor_b64 s[0:1], exec, s[0:1]
; %bb.311:                              ;   in Loop: Header=BB373_211 Depth=1
	v_bfe_u32 v6, v30, 16, 1
	v_add3_u32 v6, v30, v6, s26
                                        ; implicit-def: $vgpr30
; %bb.312:                              ;   in Loop: Header=BB373_211 Depth=1
	s_andn2_saveexec_b64 s[0:1], s[0:1]
; %bb.313:                              ;   in Loop: Header=BB373_211 Depth=1
	v_or_b32_e32 v6, 0x10000, v30
	v_cmp_eq_u32_sdwa vcc, v30, v26 src0_sel:WORD_0 src1_sel:DWORD
	v_cndmask_b32_e32 v6, v6, v30, vcc
; %bb.314:                              ;   in Loop: Header=BB373_211 Depth=1
	s_or_b64 exec, exec, s[0:1]
	v_cmp_lt_u64_e32 vcc, s[4:5], v[4:5]
	v_mov_b32_e32 v30, 0
	s_and_saveexec_b64 s[0:1], vcc
	s_cbranch_execz .LBB373_320
; %bb.315:                              ;   in Loop: Header=BB373_211 Depth=1
	v_lshrrev_b32_e32 v4, 24, v5
	v_cmp_ne_u32_e32 vcc, s27, v4
	v_bfrev_b32_e32 v30, 1
	s_and_saveexec_b64 s[12:13], vcc
	s_cbranch_execz .LBB373_319
; %bb.316:                              ;   in Loop: Header=BB373_211 Depth=1
	v_bfe_u32 v5, v5, 24, 7
	v_cmp_ne_u32_e32 vcc, s36, v5
	v_mov_b32_e32 v30, 0x7f800001
	s_and_saveexec_b64 s[16:17], vcc
	s_cbranch_execz .LBB373_318
; %bb.317:                              ;   in Loop: Header=BB373_211 Depth=1
	v_and_b32_e32 v30, 7, v4
	v_ffbh_u32_e32 v34, v30
	v_min_u32_e32 v37, 32, v34
	v_subrev_u32_e32 v34, 28, v37
	v_lshlrev_b64 v[34:35], v34, v[4:5]
	v_lshrrev_b32_e32 v36, 3, v5
	v_sub_u32_e32 v35, 29, v37
	v_and_b32_e32 v34, 7, v34
	v_cmp_gt_u32_e32 vcc, 8, v5
	v_cndmask_b32_e32 v5, v36, v35, vcc
	v_cndmask_b32_e32 v30, v30, v34, vcc
	v_lshlrev_b32_e32 v4, 24, v4
	v_lshlrev_b32_e32 v30, 20, v30
	v_and_b32_e32 v4, 0x80000000, v4
	v_lshl_add_u32 v5, v5, 23, v27
	v_or3_b32 v30, v4, v5, v30
.LBB373_318:                            ;   in Loop: Header=BB373_211 Depth=1
	s_or_b64 exec, exec, s[16:17]
.LBB373_319:                            ;   in Loop: Header=BB373_211 Depth=1
	s_or_b64 exec, exec, s[12:13]
.LBB373_320:                            ;   in Loop: Header=BB373_211 Depth=1
	s_or_b64 exec, exec, s[0:1]
	v_mul_f32_e32 v5, s37, v30
	v_and_b32_e32 v4, 0x7f800000, v5
	v_cmp_ne_u32_e32 vcc, s25, v4
                                        ; implicit-def: $vgpr4
	s_and_saveexec_b64 s[0:1], vcc
	s_xor_b64 s[0:1], exec, s[0:1]
; %bb.321:                              ;   in Loop: Header=BB373_211 Depth=1
	v_bfe_u32 v4, v5, 16, 1
	v_add3_u32 v4, v5, v4, s26
                                        ; implicit-def: $vgpr5
; %bb.322:                              ;   in Loop: Header=BB373_211 Depth=1
	s_andn2_saveexec_b64 s[0:1], s[0:1]
; %bb.323:                              ;   in Loop: Header=BB373_211 Depth=1
	v_or_b32_e32 v4, 0x10000, v5
	v_cmp_eq_u32_sdwa vcc, v5, v26 src0_sel:WORD_0 src1_sel:DWORD
	v_cndmask_b32_e32 v4, v4, v5, vcc
; %bb.324:                              ;   in Loop: Header=BB373_211 Depth=1
	s_or_b64 exec, exec, s[0:1]
	v_add_u32_e32 v30, v24, v1
	v_cmp_eq_u32_e32 vcc, s24, v10
	v_lshrrev_b32_e32 v45, 16, v18
	v_lshrrev_b32_e32 v44, 16, v33
	;; [unrolled: 1-line block ×8, first 2 shown]
	v_add_u32_e32 v37, 1, v30
	v_add_u32_e32 v36, 2, v30
	;; [unrolled: 1-line block ×7, first 2 shown]
	s_and_saveexec_b64 s[12:13], vcc
	s_cbranch_execz .LBB373_326
; %bb.325:                              ;   in Loop: Header=BB373_211 Depth=1
	v_cmp_gt_i32_e64 s[0:1], s33, v30
	v_cndmask_b32_e64 v5, 0, v5, s[0:1]
	v_cmp_gt_i32_e64 s[0:1], s33, v37
	v_cndmask_b32_e64 v8, 0, v8, s[0:1]
	;; [unrolled: 2-line block ×8, first 2 shown]
.LBB373_326:                            ;   in Loop: Header=BB373_211 Depth=1
	s_or_b64 exec, exec, s[12:13]
	v_and_b32_e32 v39, 0xffff0000, v39
	v_lshlrev_b32_e32 v5, 16, v5
	v_mul_f32_e32 v6, v39, v5
	v_and_b32_e32 v5, 0x7f800000, v6
	v_cmp_ne_u32_e64 s[0:1], s25, v5
                                        ; implicit-def: $vgpr5
	s_and_saveexec_b64 s[12:13], s[0:1]
	s_xor_b64 s[0:1], exec, s[12:13]
; %bb.327:                              ;   in Loop: Header=BB373_211 Depth=1
	v_bfe_u32 v5, v6, 16, 1
	v_add3_u32 v5, v6, v5, s26
                                        ; implicit-def: $vgpr6
; %bb.328:                              ;   in Loop: Header=BB373_211 Depth=1
	s_andn2_saveexec_b64 s[12:13], s[0:1]
; %bb.329:                              ;   in Loop: Header=BB373_211 Depth=1
	v_or_b32_e32 v5, 0x10000, v6
	v_cmp_eq_u32_sdwa s[0:1], v6, v26 src0_sel:WORD_0 src1_sel:DWORD
	v_cndmask_b32_e64 v5, v5, v6, s[0:1]
; %bb.330:                              ;   in Loop: Header=BB373_211 Depth=1
	s_or_b64 exec, exec, s[12:13]
	v_and_b32_e32 v40, 0xffff0000, v40
	v_lshlrev_b32_e32 v6, 16, v8
	v_mul_f32_e32 v7, v40, v6
	v_and_b32_e32 v6, 0x7f800000, v7
	v_cmp_ne_u32_e64 s[0:1], s25, v6
                                        ; implicit-def: $vgpr6
	s_and_saveexec_b64 s[12:13], s[0:1]
	s_xor_b64 s[0:1], exec, s[12:13]
; %bb.331:                              ;   in Loop: Header=BB373_211 Depth=1
	v_bfe_u32 v6, v7, 16, 1
	v_add3_u32 v6, v7, v6, s26
                                        ; implicit-def: $vgpr7
; %bb.332:                              ;   in Loop: Header=BB373_211 Depth=1
	s_andn2_saveexec_b64 s[12:13], s[0:1]
; %bb.333:                              ;   in Loop: Header=BB373_211 Depth=1
	v_or_b32_e32 v6, 0x10000, v7
	v_cmp_eq_u32_sdwa s[0:1], v7, v26 src0_sel:WORD_0 src1_sel:DWORD
	v_cndmask_b32_e64 v6, v6, v7, s[0:1]
; %bb.334:                              ;   in Loop: Header=BB373_211 Depth=1
	s_or_b64 exec, exec, s[12:13]
	v_and_b32_e32 v41, 0xffff0000, v41
	v_lshlrev_b32_e32 v7, 16, v46
	v_mul_f32_e32 v8, v41, v7
	v_and_b32_e32 v7, 0x7f800000, v8
	v_cmp_ne_u32_e64 s[0:1], s25, v7
                                        ; implicit-def: $vgpr7
	s_and_saveexec_b64 s[12:13], s[0:1]
	s_xor_b64 s[0:1], exec, s[12:13]
; %bb.335:                              ;   in Loop: Header=BB373_211 Depth=1
	v_bfe_u32 v7, v8, 16, 1
	v_add3_u32 v7, v8, v7, s26
                                        ; implicit-def: $vgpr8
; %bb.336:                              ;   in Loop: Header=BB373_211 Depth=1
	s_andn2_saveexec_b64 s[12:13], s[0:1]
; %bb.337:                              ;   in Loop: Header=BB373_211 Depth=1
	v_or_b32_e32 v7, 0x10000, v8
	v_cmp_eq_u32_sdwa s[0:1], v8, v26 src0_sel:WORD_0 src1_sel:DWORD
	v_cndmask_b32_e64 v7, v7, v8, s[0:1]
; %bb.338:                              ;   in Loop: Header=BB373_211 Depth=1
	s_or_b64 exec, exec, s[12:13]
	v_and_b32_e32 v42, 0xffff0000, v42
	v_lshlrev_b32_e32 v8, 16, v43
	v_mul_f32_e32 v43, v42, v8
	v_and_b32_e32 v8, 0x7f800000, v43
	v_cmp_ne_u32_e64 s[0:1], s25, v8
                                        ; implicit-def: $vgpr8
	s_and_saveexec_b64 s[12:13], s[0:1]
	s_xor_b64 s[0:1], exec, s[12:13]
; %bb.339:                              ;   in Loop: Header=BB373_211 Depth=1
	v_bfe_u32 v8, v43, 16, 1
	v_add3_u32 v8, v43, v8, s26
                                        ; implicit-def: $vgpr43
; %bb.340:                              ;   in Loop: Header=BB373_211 Depth=1
	s_andn2_saveexec_b64 s[12:13], s[0:1]
; %bb.341:                              ;   in Loop: Header=BB373_211 Depth=1
	v_or_b32_e32 v8, 0x10000, v43
	v_cmp_eq_u32_sdwa s[0:1], v43, v26 src0_sel:WORD_0 src1_sel:DWORD
	v_cndmask_b32_e64 v8, v8, v43, s[0:1]
; %bb.342:                              ;   in Loop: Header=BB373_211 Depth=1
	s_or_b64 exec, exec, s[12:13]
	v_and_b32_e32 v43, 0xffff0000, v9
	v_lshlrev_b32_e32 v9, 16, v44
	v_mul_f32_e32 v44, v43, v9
	v_and_b32_e32 v9, 0x7f800000, v44
	v_cmp_ne_u32_e64 s[0:1], s25, v9
                                        ; implicit-def: $vgpr9
	s_and_saveexec_b64 s[12:13], s[0:1]
	s_xor_b64 s[0:1], exec, s[12:13]
; %bb.343:                              ;   in Loop: Header=BB373_211 Depth=1
	v_bfe_u32 v9, v44, 16, 1
	v_add3_u32 v9, v44, v9, s26
                                        ; implicit-def: $vgpr44
; %bb.344:                              ;   in Loop: Header=BB373_211 Depth=1
	s_andn2_saveexec_b64 s[12:13], s[0:1]
; %bb.345:                              ;   in Loop: Header=BB373_211 Depth=1
	v_or_b32_e32 v9, 0x10000, v44
	v_cmp_eq_u32_sdwa s[0:1], v44, v26 src0_sel:WORD_0 src1_sel:DWORD
	v_cndmask_b32_e64 v9, v9, v44, s[0:1]
; %bb.346:                              ;   in Loop: Header=BB373_211 Depth=1
	s_or_b64 exec, exec, s[12:13]
	v_and_b32_e32 v44, 0xffff0000, v28
	v_lshlrev_b32_e32 v28, 16, v45
	v_mul_f32_e32 v45, v44, v28
	v_and_b32_e32 v28, 0x7f800000, v45
	v_cmp_ne_u32_e64 s[0:1], s25, v28
                                        ; implicit-def: $vgpr28
	s_and_saveexec_b64 s[12:13], s[0:1]
	s_xor_b64 s[0:1], exec, s[12:13]
; %bb.347:                              ;   in Loop: Header=BB373_211 Depth=1
	v_bfe_u32 v28, v45, 16, 1
	v_add3_u32 v28, v45, v28, s26
                                        ; implicit-def: $vgpr45
; %bb.348:                              ;   in Loop: Header=BB373_211 Depth=1
	s_andn2_saveexec_b64 s[12:13], s[0:1]
; %bb.349:                              ;   in Loop: Header=BB373_211 Depth=1
	v_or_b32_e32 v28, 0x10000, v45
	v_cmp_eq_u32_sdwa s[0:1], v45, v26 src0_sel:WORD_0 src1_sel:DWORD
	v_cndmask_b32_e64 v28, v28, v45, s[0:1]
; %bb.350:                              ;   in Loop: Header=BB373_211 Depth=1
	s_or_b64 exec, exec, s[12:13]
	v_and_b32_e32 v45, 0xffff0000, v29
	v_lshlrev_b32_e32 v18, 16, v18
	v_mul_f32_e32 v18, v45, v18
	v_and_b32_e32 v29, 0x7f800000, v18
	v_cmp_ne_u32_e64 s[0:1], s25, v29
                                        ; implicit-def: $vgpr29
	s_and_saveexec_b64 s[12:13], s[0:1]
	s_xor_b64 s[0:1], exec, s[12:13]
; %bb.351:                              ;   in Loop: Header=BB373_211 Depth=1
	v_bfe_u32 v29, v18, 16, 1
	v_add3_u32 v29, v18, v29, s26
                                        ; implicit-def: $vgpr18
; %bb.352:                              ;   in Loop: Header=BB373_211 Depth=1
	s_andn2_saveexec_b64 s[12:13], s[0:1]
; %bb.353:                              ;   in Loop: Header=BB373_211 Depth=1
	v_or_b32_e32 v29, 0x10000, v18
	v_cmp_eq_u32_sdwa s[0:1], v18, v26 src0_sel:WORD_0 src1_sel:DWORD
	v_cndmask_b32_e64 v29, v29, v18, s[0:1]
; %bb.354:                              ;   in Loop: Header=BB373_211 Depth=1
	s_or_b64 exec, exec, s[12:13]
	v_and_b32_e32 v46, 0xffff0000, v38
	v_lshlrev_b32_e32 v4, 16, v4
	v_mul_f32_e32 v4, v46, v4
	v_and_b32_e32 v18, 0x7f800000, v4
	v_cmp_ne_u32_e64 s[0:1], s25, v18
                                        ; implicit-def: $vgpr38
	s_and_saveexec_b64 s[12:13], s[0:1]
	s_xor_b64 s[0:1], exec, s[12:13]
; %bb.355:                              ;   in Loop: Header=BB373_211 Depth=1
	v_bfe_u32 v18, v4, 16, 1
	v_add3_u32 v38, v4, v18, s26
                                        ; implicit-def: $vgpr4
; %bb.356:                              ;   in Loop: Header=BB373_211 Depth=1
	s_andn2_saveexec_b64 s[12:13], s[0:1]
; %bb.357:                              ;   in Loop: Header=BB373_211 Depth=1
	v_or_b32_e32 v18, 0x10000, v4
	v_cmp_eq_u32_sdwa s[0:1], v4, v26 src0_sel:WORD_0 src1_sel:DWORD
	v_cndmask_b32_e64 v38, v18, v4, s[0:1]
; %bb.358:                              ;   in Loop: Header=BB373_211 Depth=1
	s_or_b64 exec, exec, s[12:13]
	global_load_dwordx2 v[2:3], v[2:3], off offset:512
	v_mov_b32_e32 v4, 0
	s_waitcnt vmcnt(0)
	v_cmp_ne_u16_sdwa s[0:1], v2, v26 src0_sel:BYTE_0 src1_sel:DWORD
	s_and_saveexec_b64 s[12:13], s[0:1]
	s_cbranch_execz .LBB373_364
; %bb.359:                              ;   in Loop: Header=BB373_211 Depth=1
	v_cmp_ne_u16_sdwa s[0:1], v2, s27 src0_sel:BYTE_0 src1_sel:DWORD
	v_bfrev_b32_e32 v4, 1
	s_and_saveexec_b64 s[16:17], s[0:1]
	s_cbranch_execz .LBB373_363
; %bb.360:                              ;   in Loop: Header=BB373_211 Depth=1
	v_and_b32_e32 v18, 0x7f, v2
	v_cmp_ne_u32_e64 s[0:1], s36, v18
	v_mov_b32_e32 v4, 0x7f800001
	s_and_saveexec_b64 s[18:19], s[0:1]
	s_cbranch_execz .LBB373_362
; %bb.361:                              ;   in Loop: Header=BB373_211 Depth=1
	v_and_b32_e32 v4, 7, v2
	v_ffbh_u32_e32 v4, v4
	v_min_u32_e32 v4, 32, v4
	v_subrev_u32_e32 v48, 28, v4
	v_cmp_gt_u32_e64 s[0:1], 8, v18
	v_lshrrev_b32_e32 v47, 3, v18
	v_cndmask_b32_e64 v18, 0, v48, s[0:1]
	v_sub_u32_e32 v4, 29, v4
	v_lshlrev_b64 v[48:49], v18, v[2:3]
	v_cndmask_b32_e64 v4, v47, v4, s[0:1]
	v_lshlrev_b32_e32 v18, 20, v48
	v_lshlrev_b32_e32 v47, 24, v2
	v_and_b32_e32 v18, 0x700000, v18
	v_and_b32_e32 v47, 0x80000000, v47
	v_lshl_add_u32 v4, v4, 23, v27
	v_or3_b32 v4, v47, v4, v18
.LBB373_362:                            ;   in Loop: Header=BB373_211 Depth=1
	s_or_b64 exec, exec, s[18:19]
.LBB373_363:                            ;   in Loop: Header=BB373_211 Depth=1
	s_or_b64 exec, exec, s[16:17]
.LBB373_364:                            ;   in Loop: Header=BB373_211 Depth=1
	s_or_b64 exec, exec, s[12:13]
	v_mul_f32_e32 v4, s37, v4
	v_and_b32_e32 v18, 0x7f800000, v4
	v_cmp_ne_u32_e64 s[0:1], s25, v18
                                        ; implicit-def: $vgpr47
	s_and_saveexec_b64 s[12:13], s[0:1]
	s_xor_b64 s[0:1], exec, s[12:13]
; %bb.365:                              ;   in Loop: Header=BB373_211 Depth=1
	v_bfe_u32 v18, v4, 16, 1
	v_add3_u32 v47, v4, v18, s26
                                        ; implicit-def: $vgpr4
; %bb.366:                              ;   in Loop: Header=BB373_211 Depth=1
	s_andn2_saveexec_b64 s[12:13], s[0:1]
; %bb.367:                              ;   in Loop: Header=BB373_211 Depth=1
	v_or_b32_e32 v18, 0x10000, v4
	v_cmp_eq_u32_sdwa s[0:1], v4, v26 src0_sel:WORD_0 src1_sel:DWORD
	v_cndmask_b32_e64 v47, v18, v4, s[0:1]
; %bb.368:                              ;   in Loop: Header=BB373_211 Depth=1
	s_or_b64 exec, exec, s[12:13]
	v_lshrrev_b16_e32 v4, 8, v2
	v_cmp_ne_u16_e64 s[0:1], 0, v4
	v_mov_b32_e32 v18, 0
	s_and_saveexec_b64 s[12:13], s[0:1]
	s_cbranch_execz .LBB373_374
; %bb.369:                              ;   in Loop: Header=BB373_211 Depth=1
	v_cmp_ne_u16_e64 s[0:1], s27, v4
	v_bfrev_b32_e32 v18, 1
	s_and_saveexec_b64 s[16:17], s[0:1]
	s_cbranch_execz .LBB373_373
; %bb.370:                              ;   in Loop: Header=BB373_211 Depth=1
	v_and_b32_e32 v48, 0x7f, v4
	v_cmp_ne_u32_e64 s[0:1], s36, v48
	v_mov_b32_e32 v18, 0x7f800001
	s_and_saveexec_b64 s[18:19], s[0:1]
	s_cbranch_execz .LBB373_372
; %bb.371:                              ;   in Loop: Header=BB373_211 Depth=1
	v_and_b32_e32 v18, 7, v4
	v_ffbh_u32_e32 v50, v18
	v_min_u32_e32 v52, 32, v50
	v_subrev_u32_e32 v50, 28, v52
	v_lshlrev_b64 v[50:51], v50, v[4:5]
	v_lshrrev_b32_e32 v49, 3, v48
	v_sub_u32_e32 v4, 29, v52
	v_and_b32_e32 v50, 7, v50
	v_cmp_gt_u32_e64 s[0:1], 8, v48
	v_cndmask_b32_e64 v4, v49, v4, s[0:1]
	v_cndmask_b32_e64 v18, v18, v50, s[0:1]
	v_lshlrev_b32_e32 v48, 16, v2
	v_lshlrev_b32_e32 v18, 20, v18
	v_and_b32_e32 v48, 0x80000000, v48
	v_lshl_add_u32 v4, v4, 23, v27
	v_or3_b32 v18, v48, v4, v18
.LBB373_372:                            ;   in Loop: Header=BB373_211 Depth=1
	s_or_b64 exec, exec, s[18:19]
.LBB373_373:                            ;   in Loop: Header=BB373_211 Depth=1
	s_or_b64 exec, exec, s[16:17]
.LBB373_374:                            ;   in Loop: Header=BB373_211 Depth=1
	s_or_b64 exec, exec, s[12:13]
	v_mul_f32_e32 v4, s37, v18
	v_and_b32_e32 v18, 0x7f800000, v4
	v_cmp_ne_u32_e64 s[0:1], s25, v18
                                        ; implicit-def: $vgpr48
	s_and_saveexec_b64 s[12:13], s[0:1]
	s_xor_b64 s[0:1], exec, s[12:13]
; %bb.375:                              ;   in Loop: Header=BB373_211 Depth=1
	v_bfe_u32 v18, v4, 16, 1
	v_add3_u32 v48, v4, v18, s26
                                        ; implicit-def: $vgpr4
; %bb.376:                              ;   in Loop: Header=BB373_211 Depth=1
	s_andn2_saveexec_b64 s[12:13], s[0:1]
; %bb.377:                              ;   in Loop: Header=BB373_211 Depth=1
	v_or_b32_e32 v18, 0x10000, v4
	v_cmp_eq_u32_sdwa s[0:1], v4, v26 src0_sel:WORD_0 src1_sel:DWORD
	v_cndmask_b32_e64 v48, v18, v4, s[0:1]
; %bb.378:                              ;   in Loop: Header=BB373_211 Depth=1
	s_or_b64 exec, exec, s[12:13]
	v_lshrrev_b32_e32 v4, 16, v2
	v_cmp_ne_u16_sdwa s[0:1], v4, v26 src0_sel:BYTE_0 src1_sel:DWORD
	v_mov_b32_e32 v18, 0
	s_and_saveexec_b64 s[12:13], s[0:1]
	s_cbranch_execz .LBB373_384
; %bb.379:                              ;   in Loop: Header=BB373_211 Depth=1
	v_cmp_ne_u16_sdwa s[0:1], v4, s27 src0_sel:BYTE_0 src1_sel:DWORD
	v_bfrev_b32_e32 v18, 1
	s_and_saveexec_b64 s[16:17], s[0:1]
	s_cbranch_execz .LBB373_383
; %bb.380:                              ;   in Loop: Header=BB373_211 Depth=1
	v_bfe_u32 v49, v2, 16, 7
	v_cmp_ne_u32_e64 s[0:1], s36, v49
	v_mov_b32_e32 v18, 0x7f800001
	s_and_saveexec_b64 s[18:19], s[0:1]
	s_cbranch_execz .LBB373_382
; %bb.381:                              ;   in Loop: Header=BB373_211 Depth=1
	v_and_b32_e32 v18, 7, v4
	v_ffbh_u32_e32 v50, v18
	v_min_u32_e32 v53, 32, v50
	v_subrev_u32_e32 v50, 28, v53
	v_lshlrev_b64 v[50:51], v50, v[4:5]
	v_lshrrev_b32_e32 v52, 3, v49
	v_sub_u32_e32 v51, 29, v53
	v_and_b32_e32 v50, 7, v50
	v_cmp_gt_u32_e64 s[0:1], 8, v49
	v_cndmask_b32_e64 v49, v52, v51, s[0:1]
	v_cndmask_b32_e64 v18, v18, v50, s[0:1]
	v_lshlrev_b32_e32 v4, 24, v4
	v_lshlrev_b32_e32 v18, 20, v18
	v_and_b32_e32 v4, 0x80000000, v4
	v_lshl_add_u32 v49, v49, 23, v27
	v_or3_b32 v18, v4, v49, v18
.LBB373_382:                            ;   in Loop: Header=BB373_211 Depth=1
	s_or_b64 exec, exec, s[18:19]
.LBB373_383:                            ;   in Loop: Header=BB373_211 Depth=1
	s_or_b64 exec, exec, s[16:17]
.LBB373_384:                            ;   in Loop: Header=BB373_211 Depth=1
	s_or_b64 exec, exec, s[12:13]
	v_mul_f32_e32 v4, s37, v18
	v_and_b32_e32 v18, 0x7f800000, v4
	v_cmp_ne_u32_e64 s[0:1], s25, v18
                                        ; implicit-def: $vgpr49
	s_and_saveexec_b64 s[12:13], s[0:1]
	s_xor_b64 s[0:1], exec, s[12:13]
; %bb.385:                              ;   in Loop: Header=BB373_211 Depth=1
	v_bfe_u32 v18, v4, 16, 1
	v_add3_u32 v49, v4, v18, s26
                                        ; implicit-def: $vgpr4
; %bb.386:                              ;   in Loop: Header=BB373_211 Depth=1
	s_andn2_saveexec_b64 s[12:13], s[0:1]
; %bb.387:                              ;   in Loop: Header=BB373_211 Depth=1
	v_or_b32_e32 v18, 0x10000, v4
	v_cmp_eq_u32_sdwa s[0:1], v4, v26 src0_sel:WORD_0 src1_sel:DWORD
	v_cndmask_b32_e64 v49, v18, v4, s[0:1]
; %bb.388:                              ;   in Loop: Header=BB373_211 Depth=1
	s_or_b64 exec, exec, s[12:13]
	v_cmp_lt_u32_e64 s[0:1], s5, v2
	v_mov_b32_e32 v18, 0
	s_and_saveexec_b64 s[12:13], s[0:1]
	s_cbranch_execz .LBB373_394
; %bb.389:                              ;   in Loop: Header=BB373_211 Depth=1
	v_lshrrev_b32_e32 v4, 24, v2
	v_cmp_ne_u32_e64 s[0:1], s27, v4
	v_bfrev_b32_e32 v18, 1
	s_and_saveexec_b64 s[16:17], s[0:1]
	s_cbranch_execz .LBB373_393
; %bb.390:                              ;   in Loop: Header=BB373_211 Depth=1
	v_bfe_u32 v50, v2, 24, 7
	v_cmp_ne_u32_e64 s[0:1], s36, v50
	v_mov_b32_e32 v18, 0x7f800001
	s_and_saveexec_b64 s[18:19], s[0:1]
	s_cbranch_execz .LBB373_392
; %bb.391:                              ;   in Loop: Header=BB373_211 Depth=1
	v_and_b32_e32 v18, 7, v4
	v_ffbh_u32_e32 v52, v18
	v_min_u32_e32 v54, 32, v52
	v_subrev_u32_e32 v52, 28, v54
	v_lshlrev_b64 v[52:53], v52, v[4:5]
	v_lshrrev_b32_e32 v51, 3, v50
	v_sub_u32_e32 v53, 29, v54
	v_and_b32_e32 v52, 7, v52
	v_cmp_gt_u32_e64 s[0:1], 8, v50
	v_cndmask_b32_e64 v50, v51, v53, s[0:1]
	v_cndmask_b32_e64 v18, v18, v52, s[0:1]
	v_lshlrev_b32_e32 v4, 24, v4
	v_lshlrev_b32_e32 v18, 20, v18
	v_and_b32_e32 v4, 0x80000000, v4
	v_lshl_add_u32 v50, v50, 23, v27
	v_or3_b32 v18, v4, v50, v18
.LBB373_392:                            ;   in Loop: Header=BB373_211 Depth=1
	s_or_b64 exec, exec, s[18:19]
.LBB373_393:                            ;   in Loop: Header=BB373_211 Depth=1
	s_or_b64 exec, exec, s[16:17]
.LBB373_394:                            ;   in Loop: Header=BB373_211 Depth=1
	s_or_b64 exec, exec, s[12:13]
	v_mul_f32_e32 v4, s37, v18
	v_and_b32_e32 v18, 0x7f800000, v4
	v_cmp_ne_u32_e64 s[0:1], s25, v18
                                        ; implicit-def: $vgpr50
	s_and_saveexec_b64 s[12:13], s[0:1]
	s_xor_b64 s[0:1], exec, s[12:13]
; %bb.395:                              ;   in Loop: Header=BB373_211 Depth=1
	v_bfe_u32 v18, v4, 16, 1
	v_add3_u32 v50, v4, v18, s26
                                        ; implicit-def: $vgpr4
; %bb.396:                              ;   in Loop: Header=BB373_211 Depth=1
	s_andn2_saveexec_b64 s[12:13], s[0:1]
; %bb.397:                              ;   in Loop: Header=BB373_211 Depth=1
	v_or_b32_e32 v18, 0x10000, v4
	v_cmp_eq_u32_sdwa s[0:1], v4, v26 src0_sel:WORD_0 src1_sel:DWORD
	v_cndmask_b32_e64 v50, v18, v4, s[0:1]
; %bb.398:                              ;   in Loop: Header=BB373_211 Depth=1
	s_or_b64 exec, exec, s[12:13]
	v_mov_b32_e32 v18, v3
	v_cmp_ne_u16_sdwa s[0:1], v3, v26 src0_sel:BYTE_0 src1_sel:DWORD
	v_mov_b32_e32 v4, 0
	s_and_saveexec_b64 s[12:13], s[0:1]
	s_cbranch_execz .LBB373_404
; %bb.399:                              ;   in Loop: Header=BB373_211 Depth=1
	v_cmp_ne_u16_sdwa s[0:1], v3, s27 src0_sel:BYTE_0 src1_sel:DWORD
	v_bfrev_b32_e32 v4, 1
	s_and_saveexec_b64 s[16:17], s[0:1]
	s_cbranch_execz .LBB373_403
; %bb.400:                              ;   in Loop: Header=BB373_211 Depth=1
	v_and_b32_e32 v51, 0x7f, v3
	v_cmp_ne_u32_e64 s[0:1], s36, v51
	v_mov_b32_e32 v4, 0x7f800001
	s_and_saveexec_b64 s[18:19], s[0:1]
	s_cbranch_execz .LBB373_402
; %bb.401:                              ;   in Loop: Header=BB373_211 Depth=1
	v_and_b32_e32 v4, 7, v3
	v_ffbh_u32_e32 v4, v4
	v_min_u32_e32 v4, 32, v4
	v_subrev_u32_e32 v53, 28, v4
	v_cmp_gt_u32_e64 s[0:1], 8, v51
	v_lshrrev_b32_e32 v52, 3, v51
	v_sub_u32_e32 v4, 29, v4
	v_cndmask_b32_e64 v51, 0, v53, s[0:1]
	v_cndmask_b32_e64 v4, v52, v4, s[0:1]
	v_lshlrev_b64 v[52:53], v51, v[18:19]
	v_lshlrev_b32_e32 v51, 20, v52
	v_lshlrev_b32_e32 v52, 24, v18
	v_and_b32_e32 v51, 0x700000, v51
	v_and_b32_e32 v52, 0x80000000, v52
	v_lshl_add_u32 v4, v4, 23, v27
	v_or3_b32 v4, v52, v4, v51
.LBB373_402:                            ;   in Loop: Header=BB373_211 Depth=1
	s_or_b64 exec, exec, s[18:19]
.LBB373_403:                            ;   in Loop: Header=BB373_211 Depth=1
	s_or_b64 exec, exec, s[16:17]
.LBB373_404:                            ;   in Loop: Header=BB373_211 Depth=1
	s_or_b64 exec, exec, s[12:13]
	v_mul_f32_e32 v4, s37, v4
	v_and_b32_e32 v51, 0x7f800000, v4
	v_cmp_ne_u32_e64 s[0:1], s25, v51
                                        ; implicit-def: $vgpr51
	s_and_saveexec_b64 s[12:13], s[0:1]
	s_xor_b64 s[0:1], exec, s[12:13]
; %bb.405:                              ;   in Loop: Header=BB373_211 Depth=1
	v_bfe_u32 v51, v4, 16, 1
	v_add3_u32 v51, v4, v51, s26
                                        ; implicit-def: $vgpr4
; %bb.406:                              ;   in Loop: Header=BB373_211 Depth=1
	s_andn2_saveexec_b64 s[12:13], s[0:1]
; %bb.407:                              ;   in Loop: Header=BB373_211 Depth=1
	v_or_b32_e32 v51, 0x10000, v4
	v_cmp_eq_u32_sdwa s[0:1], v4, v26 src0_sel:WORD_0 src1_sel:DWORD
	v_cndmask_b32_e64 v51, v51, v4, s[0:1]
; %bb.408:                              ;   in Loop: Header=BB373_211 Depth=1
	s_or_b64 exec, exec, s[12:13]
	v_lshrrev_b16_e32 v4, 8, v18
	v_cmp_ne_u16_e64 s[0:1], 0, v4
	v_mov_b32_e32 v52, 0
	s_and_saveexec_b64 s[12:13], s[0:1]
	s_cbranch_execz .LBB373_414
; %bb.409:                              ;   in Loop: Header=BB373_211 Depth=1
	v_cmp_ne_u16_e64 s[0:1], s27, v4
	v_bfrev_b32_e32 v52, 1
	s_and_saveexec_b64 s[16:17], s[0:1]
	s_cbranch_execz .LBB373_413
; %bb.410:                              ;   in Loop: Header=BB373_211 Depth=1
	v_and_b32_e32 v53, 0x7f, v4
	v_cmp_ne_u32_e64 s[0:1], s36, v53
	v_mov_b32_e32 v52, 0x7f800001
	s_and_saveexec_b64 s[18:19], s[0:1]
	s_cbranch_execz .LBB373_412
; %bb.411:                              ;   in Loop: Header=BB373_211 Depth=1
	v_and_b32_e32 v52, 7, v4
	v_ffbh_u32_e32 v54, v52
	v_min_u32_e32 v57, 32, v54
	v_subrev_u32_e32 v54, 28, v57
	v_lshlrev_b64 v[54:55], v54, v[4:5]
	v_lshrrev_b32_e32 v56, 3, v53
	v_sub_u32_e32 v4, 29, v57
	v_and_b32_e32 v54, 7, v54
	v_cmp_gt_u32_e64 s[0:1], 8, v53
	v_cndmask_b32_e64 v4, v56, v4, s[0:1]
	v_cndmask_b32_e64 v52, v52, v54, s[0:1]
	v_lshlrev_b32_e32 v18, 16, v18
	v_lshlrev_b32_e32 v52, 20, v52
	v_and_b32_e32 v18, 0x80000000, v18
	v_lshl_add_u32 v4, v4, 23, v27
	v_or3_b32 v52, v18, v4, v52
.LBB373_412:                            ;   in Loop: Header=BB373_211 Depth=1
	s_or_b64 exec, exec, s[18:19]
.LBB373_413:                            ;   in Loop: Header=BB373_211 Depth=1
	s_or_b64 exec, exec, s[16:17]
.LBB373_414:                            ;   in Loop: Header=BB373_211 Depth=1
	s_or_b64 exec, exec, s[12:13]
	v_mul_f32_e32 v4, s37, v52
	v_and_b32_e32 v18, 0x7f800000, v4
	v_cmp_ne_u32_e64 s[0:1], s25, v18
                                        ; implicit-def: $vgpr18
	s_and_saveexec_b64 s[12:13], s[0:1]
	s_xor_b64 s[0:1], exec, s[12:13]
; %bb.415:                              ;   in Loop: Header=BB373_211 Depth=1
	v_bfe_u32 v18, v4, 16, 1
	v_add3_u32 v18, v4, v18, s26
                                        ; implicit-def: $vgpr4
; %bb.416:                              ;   in Loop: Header=BB373_211 Depth=1
	s_andn2_saveexec_b64 s[12:13], s[0:1]
; %bb.417:                              ;   in Loop: Header=BB373_211 Depth=1
	v_or_b32_e32 v18, 0x10000, v4
	v_cmp_eq_u32_sdwa s[0:1], v4, v26 src0_sel:WORD_0 src1_sel:DWORD
	v_cndmask_b32_e64 v18, v18, v4, s[0:1]
; %bb.418:                              ;   in Loop: Header=BB373_211 Depth=1
	s_or_b64 exec, exec, s[12:13]
	v_lshrrev_b32_e32 v4, 16, v3
	v_cmp_ne_u16_sdwa s[0:1], v4, v26 src0_sel:BYTE_0 src1_sel:DWORD
	v_mov_b32_e32 v52, 0
	s_and_saveexec_b64 s[12:13], s[0:1]
	s_cbranch_execz .LBB373_424
; %bb.419:                              ;   in Loop: Header=BB373_211 Depth=1
	v_cmp_ne_u16_sdwa s[0:1], v4, s27 src0_sel:BYTE_0 src1_sel:DWORD
	v_bfrev_b32_e32 v52, 1
	s_and_saveexec_b64 s[16:17], s[0:1]
	s_cbranch_execz .LBB373_423
; %bb.420:                              ;   in Loop: Header=BB373_211 Depth=1
	v_bfe_u32 v53, v3, 16, 7
	v_cmp_ne_u32_e64 s[0:1], s36, v53
	v_mov_b32_e32 v52, 0x7f800001
	s_and_saveexec_b64 s[18:19], s[0:1]
	s_cbranch_execz .LBB373_422
; %bb.421:                              ;   in Loop: Header=BB373_211 Depth=1
	v_and_b32_e32 v52, 7, v4
	v_ffbh_u32_e32 v54, v52
	v_min_u32_e32 v57, 32, v54
	v_subrev_u32_e32 v54, 28, v57
	v_lshlrev_b64 v[54:55], v54, v[4:5]
	v_lshrrev_b32_e32 v56, 3, v53
	v_sub_u32_e32 v55, 29, v57
	v_and_b32_e32 v54, 7, v54
	v_cmp_gt_u32_e64 s[0:1], 8, v53
	v_cndmask_b32_e64 v53, v56, v55, s[0:1]
	v_cndmask_b32_e64 v52, v52, v54, s[0:1]
	v_lshlrev_b32_e32 v4, 24, v4
	v_lshlrev_b32_e32 v52, 20, v52
	v_and_b32_e32 v4, 0x80000000, v4
	v_lshl_add_u32 v53, v53, 23, v27
	v_or3_b32 v52, v4, v53, v52
.LBB373_422:                            ;   in Loop: Header=BB373_211 Depth=1
	s_or_b64 exec, exec, s[18:19]
.LBB373_423:                            ;   in Loop: Header=BB373_211 Depth=1
	s_or_b64 exec, exec, s[16:17]
.LBB373_424:                            ;   in Loop: Header=BB373_211 Depth=1
	s_or_b64 exec, exec, s[12:13]
	v_mul_f32_e32 v52, s37, v52
	v_and_b32_e32 v4, 0x7f800000, v52
	v_cmp_ne_u32_e64 s[0:1], s25, v4
                                        ; implicit-def: $vgpr4
	s_and_saveexec_b64 s[12:13], s[0:1]
	s_xor_b64 s[0:1], exec, s[12:13]
; %bb.425:                              ;   in Loop: Header=BB373_211 Depth=1
	v_bfe_u32 v4, v52, 16, 1
	v_add3_u32 v4, v52, v4, s26
                                        ; implicit-def: $vgpr52
; %bb.426:                              ;   in Loop: Header=BB373_211 Depth=1
	s_andn2_saveexec_b64 s[12:13], s[0:1]
; %bb.427:                              ;   in Loop: Header=BB373_211 Depth=1
	v_or_b32_e32 v4, 0x10000, v52
	v_cmp_eq_u32_sdwa s[0:1], v52, v26 src0_sel:WORD_0 src1_sel:DWORD
	v_cndmask_b32_e64 v4, v4, v52, s[0:1]
; %bb.428:                              ;   in Loop: Header=BB373_211 Depth=1
	s_or_b64 exec, exec, s[12:13]
	v_cmp_lt_u64_e64 s[0:1], s[4:5], v[2:3]
	v_mov_b32_e32 v52, 0
	s_and_saveexec_b64 s[12:13], s[0:1]
	s_cbranch_execz .LBB373_434
; %bb.429:                              ;   in Loop: Header=BB373_211 Depth=1
	v_lshrrev_b32_e32 v2, 24, v3
	v_cmp_ne_u32_e64 s[0:1], s27, v2
	v_bfrev_b32_e32 v52, 1
	s_and_saveexec_b64 s[16:17], s[0:1]
	s_cbranch_execz .LBB373_433
; %bb.430:                              ;   in Loop: Header=BB373_211 Depth=1
	v_bfe_u32 v3, v3, 24, 7
	v_cmp_ne_u32_e64 s[0:1], s36, v3
	v_mov_b32_e32 v52, 0x7f800001
	s_and_saveexec_b64 s[18:19], s[0:1]
	s_cbranch_execz .LBB373_432
; %bb.431:                              ;   in Loop: Header=BB373_211 Depth=1
	v_and_b32_e32 v54, 7, v2
	v_ffbh_u32_e32 v52, v54
	v_min_u32_e32 v56, 32, v52
	v_subrev_u32_e32 v52, 28, v56
	v_lshlrev_b64 v[52:53], v52, v[2:3]
	v_lshrrev_b32_e32 v55, 3, v3
	v_sub_u32_e32 v53, 29, v56
	v_and_b32_e32 v52, 7, v52
	v_cmp_gt_u32_e64 s[0:1], 8, v3
	v_cndmask_b32_e64 v3, v55, v53, s[0:1]
	v_cndmask_b32_e64 v52, v54, v52, s[0:1]
	v_lshlrev_b32_e32 v2, 24, v2
	v_lshlrev_b32_e32 v52, 20, v52
	v_and_b32_e32 v2, 0x80000000, v2
	v_lshl_add_u32 v3, v3, 23, v27
	v_or3_b32 v52, v2, v3, v52
.LBB373_432:                            ;   in Loop: Header=BB373_211 Depth=1
	s_or_b64 exec, exec, s[18:19]
.LBB373_433:                            ;   in Loop: Header=BB373_211 Depth=1
	s_or_b64 exec, exec, s[16:17]
.LBB373_434:                            ;   in Loop: Header=BB373_211 Depth=1
	s_or_b64 exec, exec, s[12:13]
	v_mul_f32_e32 v2, s37, v52
	v_and_b32_e32 v3, 0x7f800000, v2
	v_cmp_ne_u32_e64 s[0:1], s25, v3
                                        ; implicit-def: $vgpr3
	s_and_saveexec_b64 s[12:13], s[0:1]
	s_xor_b64 s[0:1], exec, s[12:13]
; %bb.435:                              ;   in Loop: Header=BB373_211 Depth=1
	v_bfe_u32 v3, v2, 16, 1
	v_add3_u32 v3, v2, v3, s26
                                        ; implicit-def: $vgpr2
; %bb.436:                              ;   in Loop: Header=BB373_211 Depth=1
	s_andn2_saveexec_b64 s[12:13], s[0:1]
; %bb.437:                              ;   in Loop: Header=BB373_211 Depth=1
	v_or_b32_e32 v3, 0x10000, v2
	v_cmp_eq_u32_sdwa s[0:1], v2, v26 src0_sel:WORD_0 src1_sel:DWORD
	v_cndmask_b32_e64 v3, v3, v2, s[0:1]
; %bb.438:                              ;   in Loop: Header=BB373_211 Depth=1
	s_or_b64 exec, exec, s[12:13]
	v_lshrrev_b32_e32 v52, 16, v18
	v_lshrrev_b32_e32 v51, 16, v51
	;; [unrolled: 1-line block ×8, first 2 shown]
	s_and_saveexec_b64 s[0:1], vcc
	s_cbranch_execz .LBB373_440
; %bb.439:                              ;   in Loop: Header=BB373_211 Depth=1
	v_cmp_gt_i32_e32 vcc, s33, v30
	v_cndmask_b32_e32 v2, 0, v2, vcc
	v_cmp_gt_i32_e32 vcc, s33, v37
	v_cndmask_b32_e32 v48, 0, v48, vcc
	;; [unrolled: 2-line block ×8, first 2 shown]
.LBB373_440:                            ;   in Loop: Header=BB373_211 Depth=1
	s_or_b64 exec, exec, s[0:1]
	v_lshlrev_b32_e32 v2, 16, v2
	v_mul_f32_e32 v4, v39, v2
	v_and_b32_e32 v2, 0x7f800000, v4
	v_cmp_ne_u32_e32 vcc, s25, v2
                                        ; implicit-def: $vgpr2
	s_and_saveexec_b64 s[0:1], vcc
	s_xor_b64 s[0:1], exec, s[0:1]
; %bb.441:                              ;   in Loop: Header=BB373_211 Depth=1
	v_bfe_u32 v2, v4, 16, 1
	v_add3_u32 v2, v4, v2, s26
                                        ; implicit-def: $vgpr4
; %bb.442:                              ;   in Loop: Header=BB373_211 Depth=1
	s_andn2_saveexec_b64 s[0:1], s[0:1]
; %bb.443:                              ;   in Loop: Header=BB373_211 Depth=1
	v_or_b32_e32 v2, 0x10000, v4
	v_cmp_eq_u32_sdwa vcc, v4, v26 src0_sel:WORD_0 src1_sel:DWORD
	v_cndmask_b32_e32 v2, v2, v4, vcc
; %bb.444:                              ;   in Loop: Header=BB373_211 Depth=1
	s_or_b64 exec, exec, s[0:1]
	v_lshlrev_b32_e32 v4, 16, v48
	v_mul_f32_e32 v30, v40, v4
	v_and_b32_e32 v4, 0x7f800000, v30
	v_cmp_ne_u32_e32 vcc, s25, v4
                                        ; implicit-def: $vgpr4
	s_and_saveexec_b64 s[0:1], vcc
	s_xor_b64 s[0:1], exec, s[0:1]
; %bb.445:                              ;   in Loop: Header=BB373_211 Depth=1
	v_bfe_u32 v4, v30, 16, 1
	v_add3_u32 v4, v30, v4, s26
                                        ; implicit-def: $vgpr30
; %bb.446:                              ;   in Loop: Header=BB373_211 Depth=1
	s_andn2_saveexec_b64 s[0:1], s[0:1]
; %bb.447:                              ;   in Loop: Header=BB373_211 Depth=1
	v_or_b32_e32 v4, 0x10000, v30
	v_cmp_eq_u32_sdwa vcc, v30, v26 src0_sel:WORD_0 src1_sel:DWORD
	v_cndmask_b32_e32 v4, v4, v30, vcc
; %bb.448:                              ;   in Loop: Header=BB373_211 Depth=1
	s_or_b64 exec, exec, s[0:1]
	v_lshlrev_b32_e32 v30, 16, v49
	v_mul_f32_e32 v31, v41, v30
	v_and_b32_e32 v30, 0x7f800000, v31
	v_cmp_ne_u32_e32 vcc, s25, v30
                                        ; implicit-def: $vgpr30
	s_and_saveexec_b64 s[0:1], vcc
	s_xor_b64 s[0:1], exec, s[0:1]
; %bb.449:                              ;   in Loop: Header=BB373_211 Depth=1
	v_bfe_u32 v30, v31, 16, 1
	v_add3_u32 v30, v31, v30, s26
                                        ; implicit-def: $vgpr31
; %bb.450:                              ;   in Loop: Header=BB373_211 Depth=1
	s_andn2_saveexec_b64 s[0:1], s[0:1]
; %bb.451:                              ;   in Loop: Header=BB373_211 Depth=1
	v_or_b32_e32 v30, 0x10000, v31
	v_cmp_eq_u32_sdwa vcc, v31, v26 src0_sel:WORD_0 src1_sel:DWORD
	v_cndmask_b32_e32 v30, v30, v31, vcc
; %bb.452:                              ;   in Loop: Header=BB373_211 Depth=1
	s_or_b64 exec, exec, s[0:1]
	v_lshlrev_b32_e32 v31, 16, v50
	v_mul_f32_e32 v32, v42, v31
	v_and_b32_e32 v31, 0x7f800000, v32
	v_cmp_ne_u32_e32 vcc, s25, v31
                                        ; implicit-def: $vgpr31
	s_and_saveexec_b64 s[0:1], vcc
	s_xor_b64 s[0:1], exec, s[0:1]
; %bb.453:                              ;   in Loop: Header=BB373_211 Depth=1
	v_bfe_u32 v31, v32, 16, 1
	v_add3_u32 v31, v32, v31, s26
                                        ; implicit-def: $vgpr32
; %bb.454:                              ;   in Loop: Header=BB373_211 Depth=1
	s_andn2_saveexec_b64 s[0:1], s[0:1]
; %bb.455:                              ;   in Loop: Header=BB373_211 Depth=1
	v_or_b32_e32 v31, 0x10000, v32
	v_cmp_eq_u32_sdwa vcc, v32, v26 src0_sel:WORD_0 src1_sel:DWORD
	v_cndmask_b32_e32 v31, v31, v32, vcc
; %bb.456:                              ;   in Loop: Header=BB373_211 Depth=1
	s_or_b64 exec, exec, s[0:1]
	v_lshlrev_b32_e32 v32, 16, v51
	v_mul_f32_e32 v33, v43, v32
	v_and_b32_e32 v32, 0x7f800000, v33
	v_cmp_ne_u32_e32 vcc, s25, v32
                                        ; implicit-def: $vgpr32
	s_and_saveexec_b64 s[0:1], vcc
	s_xor_b64 s[0:1], exec, s[0:1]
; %bb.457:                              ;   in Loop: Header=BB373_211 Depth=1
	v_bfe_u32 v32, v33, 16, 1
	v_add3_u32 v32, v33, v32, s26
                                        ; implicit-def: $vgpr33
; %bb.458:                              ;   in Loop: Header=BB373_211 Depth=1
	s_andn2_saveexec_b64 s[0:1], s[0:1]
; %bb.459:                              ;   in Loop: Header=BB373_211 Depth=1
	v_or_b32_e32 v32, 0x10000, v33
	v_cmp_eq_u32_sdwa vcc, v33, v26 src0_sel:WORD_0 src1_sel:DWORD
	v_cndmask_b32_e32 v32, v32, v33, vcc
; %bb.460:                              ;   in Loop: Header=BB373_211 Depth=1
	s_or_b64 exec, exec, s[0:1]
	v_lshlrev_b32_e32 v33, 16, v52
	v_mul_f32_e32 v34, v44, v33
	v_and_b32_e32 v33, 0x7f800000, v34
	v_cmp_ne_u32_e32 vcc, s25, v33
                                        ; implicit-def: $vgpr33
	s_and_saveexec_b64 s[0:1], vcc
	s_xor_b64 s[0:1], exec, s[0:1]
; %bb.461:                              ;   in Loop: Header=BB373_211 Depth=1
	v_bfe_u32 v33, v34, 16, 1
	v_add3_u32 v33, v34, v33, s26
                                        ; implicit-def: $vgpr34
; %bb.462:                              ;   in Loop: Header=BB373_211 Depth=1
	s_andn2_saveexec_b64 s[0:1], s[0:1]
; %bb.463:                              ;   in Loop: Header=BB373_211 Depth=1
	v_or_b32_e32 v33, 0x10000, v34
	v_cmp_eq_u32_sdwa vcc, v34, v26 src0_sel:WORD_0 src1_sel:DWORD
	v_cndmask_b32_e32 v33, v33, v34, vcc
; %bb.464:                              ;   in Loop: Header=BB373_211 Depth=1
	s_or_b64 exec, exec, s[0:1]
	v_lshlrev_b32_e32 v18, 16, v18
	v_mul_f32_e32 v34, v45, v18
	v_and_b32_e32 v18, 0x7f800000, v34
	v_cmp_ne_u32_e32 vcc, s25, v18
                                        ; implicit-def: $vgpr18
	s_and_saveexec_b64 s[0:1], vcc
	s_xor_b64 s[0:1], exec, s[0:1]
; %bb.465:                              ;   in Loop: Header=BB373_211 Depth=1
	v_bfe_u32 v18, v34, 16, 1
	v_add3_u32 v18, v34, v18, s26
                                        ; implicit-def: $vgpr34
; %bb.466:                              ;   in Loop: Header=BB373_211 Depth=1
	s_andn2_saveexec_b64 s[0:1], s[0:1]
; %bb.467:                              ;   in Loop: Header=BB373_211 Depth=1
	v_or_b32_e32 v18, 0x10000, v34
	v_cmp_eq_u32_sdwa vcc, v34, v26 src0_sel:WORD_0 src1_sel:DWORD
	v_cndmask_b32_e32 v18, v18, v34, vcc
; %bb.468:                              ;   in Loop: Header=BB373_211 Depth=1
	s_or_b64 exec, exec, s[0:1]
	v_lshlrev_b32_e32 v3, 16, v3
	v_mul_f32_e32 v34, v46, v3
	v_and_b32_e32 v3, 0x7f800000, v34
	v_cmp_ne_u32_e32 vcc, s25, v3
                                        ; implicit-def: $vgpr3
	s_and_saveexec_b64 s[0:1], vcc
	s_xor_b64 s[0:1], exec, s[0:1]
; %bb.469:                              ;   in Loop: Header=BB373_211 Depth=1
	v_bfe_u32 v3, v34, 16, 1
	v_add3_u32 v3, v34, v3, s26
                                        ; implicit-def: $vgpr34
; %bb.470:                              ;   in Loop: Header=BB373_211 Depth=1
	s_andn2_saveexec_b64 s[0:1], s[0:1]
	s_cbranch_execz .LBB373_209
; %bb.471:                              ;   in Loop: Header=BB373_211 Depth=1
	v_or_b32_e32 v3, 0x10000, v34
	v_cmp_eq_u32_sdwa vcc, v34, v26 src0_sel:WORD_0 src1_sel:DWORD
	v_cndmask_b32_e32 v3, v3, v34, vcc
	s_branch .LBB373_209
.LBB373_472:
	s_or_b64 exec, exec, s[6:7]
.LBB373_473:
	s_or_b64 exec, exec, s[2:3]
	ds_bpermute_b32 v2, v21, v14
	ds_bpermute_b32 v3, v21, v15
	v_and_b32_e32 v1, 0x3c3, v0
	v_cmp_eq_u32_e32 vcc, 64, v1
	s_waitcnt lgkmcnt(0)
	s_barrier
	v_pk_add_f32 v[2:3], v[14:15], v[2:3]
	ds_bpermute_b32 v4, v22, v2
	ds_bpermute_b32 v5, v22, v3
	s_waitcnt lgkmcnt(0)
	v_pk_add_f32 v[2:3], v[2:3], v[4:5]
	s_and_saveexec_b64 s[0:1], vcc
	s_cbranch_execz .LBB373_475
; %bb.474:
	v_add_u32_e32 v4, 0x50, v20
	v_add_u32_e32 v1, 0x50, v0
	ds_write_b32 v4, v2
	ds_write_b32 v1, v3
.LBB373_475:
	s_or_b64 exec, exec, s[0:1]
	v_cmp_gt_u32_e32 vcc, 64, v0
	s_waitcnt lgkmcnt(0)
	s_barrier
	s_and_saveexec_b64 s[2:3], vcc
	s_cbranch_execz .LBB373_481
; %bb.476:
	v_cmp_eq_u32_e64 s[0:1], 0, v23
	v_lshrrev_b32_e32 v1, 2, v0
	s_and_saveexec_b64 s[4:5], s[0:1]
	s_cbranch_execz .LBB373_478
; %bb.477:
	v_mov_b32_e32 v4, 0x50
	v_lshl_add_u32 v4, v1, 2, v4
	ds_read_b32 v4, v4
	s_waitcnt lgkmcnt(0)
	v_add_f32_e32 v2, v2, v4
.LBB373_478:
	s_or_b64 exec, exec, s[4:5]
	s_and_saveexec_b64 s[4:5], s[0:1]
	s_cbranch_execz .LBB373_480
; %bb.479:
	v_mov_b32_e32 v4, 0x50
	v_lshl_add_u32 v1, v1, 2, v4
	ds_read_b32 v1, v1 offset:64
	s_waitcnt lgkmcnt(0)
	v_add_f32_e32 v3, v3, v1
.LBB373_480:
	s_or_b64 exec, exec, s[4:5]
.LBB373_481:
	s_or_b64 exec, exec, s[2:3]
	s_barrier
	s_and_saveexec_b64 s[0:1], vcc
	s_cbranch_execz .LBB373_492
; %bb.482:
	v_cmp_eq_u32_e32 vcc, 0, v23
	s_and_b64 exec, exec, vcc
	s_cbranch_execz .LBB373_492
; %bb.483:
	s_mov_b32 s0, 0x7f800000
	v_and_b32_e32 v1, 0x7f800000, v2
	v_cmp_ne_u32_e32 vcc, s0, v1
                                        ; implicit-def: $vgpr4
	s_and_saveexec_b64 s[0:1], vcc
	s_xor_b64 s[0:1], exec, s[0:1]
; %bb.484:
	v_bfe_u32 v1, v2, 16, 1
	s_movk_i32 s2, 0x7fff
	v_add3_u32 v4, v2, v1, s2
; %bb.485:
	s_andn2_saveexec_b64 s[0:1], s[0:1]
; %bb.486:
	v_mov_b32_e32 v1, 0
	v_or_b32_e32 v4, 0x10000, v2
	v_cmp_eq_u32_sdwa vcc, v2, v1 src0_sel:WORD_0 src1_sel:DWORD
	v_cndmask_b32_e32 v4, v4, v2, vcc
; %bb.487:
	s_or_b64 exec, exec, s[0:1]
	s_mul_i32 s0, s20, s28
	s_mul_i32 s0, s0, s29
	s_lshl_b32 s0, s0, 5
	s_ashr_i32 s1, s0, 31
	s_lshl_b64 s[0:1], s[0:1], 1
	s_add_u32 s2, s34, s0
	s_mul_i32 s0, s20, s30
	s_addc_u32 s3, s35, s1
	s_ashr_i32 s1, s0, 31
	s_lshl_b64 s[0:1], s[0:1], 1
	s_add_u32 s2, s2, s0
	s_addc_u32 s3, s3, s1
	s_lshl_b32 s0, s8, 5
	s_ashr_i32 s1, s0, 31
	s_lshl_b64 s[0:1], s[0:1], 1
	s_add_u32 s0, s2, s0
	v_lshrrev_b32_e32 v0, 1, v0
	s_addc_u32 s1, s3, s1
	v_and_b32_e32 v2, 0x1fe, v0
	v_mov_b32_e32 v1, s1
	v_add_co_u32_e32 v0, vcc, s0, v2
	v_addc_co_u32_e32 v1, vcc, 0, v1, vcc
	global_store_short_d16_hi v2, v4, s[0:1]
	s_mov_b32 s0, 0x7f800000
	v_and_b32_e32 v2, 0x7f800000, v3
	v_cmp_ne_u32_e32 vcc, s0, v2
                                        ; implicit-def: $vgpr4
	s_and_saveexec_b64 s[0:1], vcc
	s_xor_b64 s[0:1], exec, s[0:1]
; %bb.488:
	v_bfe_u32 v2, v3, 16, 1
	s_movk_i32 s2, 0x7fff
	v_add3_u32 v4, v3, v2, s2
                                        ; implicit-def: $vgpr2_vgpr3
; %bb.489:
	s_andn2_saveexec_b64 s[0:1], s[0:1]
; %bb.490:
	v_mov_b32_e32 v2, 0
	v_or_b32_e32 v4, 0x10000, v3
	v_cmp_eq_u32_sdwa vcc, v3, v2 src0_sel:WORD_0 src1_sel:DWORD
	v_cndmask_b32_e32 v4, v4, v3, vcc
; %bb.491:
	s_or_b64 exec, exec, s[0:1]
	global_store_short_d16_hi v[0:1], v4, off offset:32
.LBB373_492:
	s_endpgm
	.section	.rodata,"a",@progbits
	.p2align	6, 0x0
	.amdhsa_kernel _ZN4vllm25paged_attention_v2_kernelI14__hip_bfloat16hLi32ELi32ELi128ELNS_18Fp8KVCacheDataTypeE1ELb1ELi512EEEvPfS3_PT_PKS4_PKT0_SA_ifPKiSC_iPKfiiiSE_SE_iiiii
		.amdhsa_group_segment_fixed_size 80
		.amdhsa_private_segment_fixed_size 0
		.amdhsa_kernarg_size 400
		.amdhsa_user_sgpr_count 6
		.amdhsa_user_sgpr_private_segment_buffer 1
		.amdhsa_user_sgpr_dispatch_ptr 0
		.amdhsa_user_sgpr_queue_ptr 0
		.amdhsa_user_sgpr_kernarg_segment_ptr 1
		.amdhsa_user_sgpr_dispatch_id 0
		.amdhsa_user_sgpr_flat_scratch_init 0
		.amdhsa_user_sgpr_kernarg_preload_length 0
		.amdhsa_user_sgpr_kernarg_preload_offset 0
		.amdhsa_user_sgpr_private_segment_size 0
		.amdhsa_uses_dynamic_stack 0
		.amdhsa_system_sgpr_private_segment_wavefront_offset 0
		.amdhsa_system_sgpr_workgroup_id_x 1
		.amdhsa_system_sgpr_workgroup_id_y 1
		.amdhsa_system_sgpr_workgroup_id_z 1
		.amdhsa_system_sgpr_workgroup_info 0
		.amdhsa_system_vgpr_workitem_id 0
		.amdhsa_next_free_vgpr 58
		.amdhsa_next_free_sgpr 66
		.amdhsa_accum_offset 60
		.amdhsa_reserve_vcc 1
		.amdhsa_reserve_flat_scratch 0
		.amdhsa_float_round_mode_32 0
		.amdhsa_float_round_mode_16_64 0
		.amdhsa_float_denorm_mode_32 3
		.amdhsa_float_denorm_mode_16_64 3
		.amdhsa_dx10_clamp 1
		.amdhsa_ieee_mode 1
		.amdhsa_fp16_overflow 0
		.amdhsa_tg_split 0
		.amdhsa_exception_fp_ieee_invalid_op 0
		.amdhsa_exception_fp_denorm_src 0
		.amdhsa_exception_fp_ieee_div_zero 0
		.amdhsa_exception_fp_ieee_overflow 0
		.amdhsa_exception_fp_ieee_underflow 0
		.amdhsa_exception_fp_ieee_inexact 0
		.amdhsa_exception_int_div_zero 0
	.end_amdhsa_kernel
	.section	.text._ZN4vllm25paged_attention_v2_kernelI14__hip_bfloat16hLi32ELi32ELi128ELNS_18Fp8KVCacheDataTypeE1ELb1ELi512EEEvPfS3_PT_PKS4_PKT0_SA_ifPKiSC_iPKfiiiSE_SE_iiiii,"axG",@progbits,_ZN4vllm25paged_attention_v2_kernelI14__hip_bfloat16hLi32ELi32ELi128ELNS_18Fp8KVCacheDataTypeE1ELb1ELi512EEEvPfS3_PT_PKS4_PKT0_SA_ifPKiSC_iPKfiiiSE_SE_iiiii,comdat
.Lfunc_end373:
	.size	_ZN4vllm25paged_attention_v2_kernelI14__hip_bfloat16hLi32ELi32ELi128ELNS_18Fp8KVCacheDataTypeE1ELb1ELi512EEEvPfS3_PT_PKS4_PKT0_SA_ifPKiSC_iPKfiiiSE_SE_iiiii, .Lfunc_end373-_ZN4vllm25paged_attention_v2_kernelI14__hip_bfloat16hLi32ELi32ELi128ELNS_18Fp8KVCacheDataTypeE1ELb1ELi512EEEvPfS3_PT_PKS4_PKT0_SA_ifPKiSC_iPKfiiiSE_SE_iiiii
                                        ; -- End function
	.section	.AMDGPU.csdata,"",@progbits
; Kernel info:
; codeLenInByte = 14840
; NumSgprs: 70
; NumVgprs: 58
; NumAgprs: 0
; TotalNumVgprs: 58
; ScratchSize: 0
; MemoryBound: 0
; FloatMode: 240
; IeeeMode: 1
; LDSByteSize: 80 bytes/workgroup (compile time only)
; SGPRBlocks: 8
; VGPRBlocks: 7
; NumSGPRsForWavesPerEU: 70
; NumVGPRsForWavesPerEU: 58
; AccumOffset: 60
; Occupancy: 8
; WaveLimiterHint : 1
; COMPUTE_PGM_RSRC2:SCRATCH_EN: 0
; COMPUTE_PGM_RSRC2:USER_SGPR: 6
; COMPUTE_PGM_RSRC2:TRAP_HANDLER: 0
; COMPUTE_PGM_RSRC2:TGID_X_EN: 1
; COMPUTE_PGM_RSRC2:TGID_Y_EN: 1
; COMPUTE_PGM_RSRC2:TGID_Z_EN: 1
; COMPUTE_PGM_RSRC2:TIDIG_COMP_CNT: 0
; COMPUTE_PGM_RSRC3_GFX90A:ACCUM_OFFSET: 14
; COMPUTE_PGM_RSRC3_GFX90A:TG_SPLIT: 0
	.text
	.p2align	2                               ; -- Begin function _ZN4vllm22paged_attention_kernelI14__hip_bfloat16hLi64ELi32ELi128ELNS_18Fp8KVCacheDataTypeE1ELb1ELi512EEEvPfS3_PT_PKS4_PKT0_SA_ifPKiSC_iPKfiiiSE_SE_iiiii
	.type	_ZN4vllm22paged_attention_kernelI14__hip_bfloat16hLi64ELi32ELi128ELNS_18Fp8KVCacheDataTypeE1ELb1ELi512EEEvPfS3_PT_PKS4_PKT0_SA_ifPKiSC_iPKfiiiSE_SE_iiiii,@function
_ZN4vllm22paged_attention_kernelI14__hip_bfloat16hLi64ELi32ELi128ELNS_18Fp8KVCacheDataTypeE1ELb1ELi512EEEvPfS3_PT_PKS4_PKT0_SA_ifPKiSC_iPKfiiiSE_SE_iiiii: ; @_ZN4vllm22paged_attention_kernelI14__hip_bfloat16hLi64ELi32ELi128ELNS_18Fp8KVCacheDataTypeE1ELb1ELi512EEEvPfS3_PT_PKS4_PKT0_SA_ifPKiSC_iPKfiiiSE_SE_iiiii
; %bb.0:
	s_waitcnt vmcnt(0) expcnt(0) lgkmcnt(0)
	s_or_saveexec_b64 s[4:5], -1
	buffer_store_dword v63, off, s[0:3], s32 offset:160 ; 4-byte Folded Spill
	s_mov_b64 exec, s[4:5]
	buffer_store_dword v40, off, s[0:3], s32 offset:148 ; 4-byte Folded Spill
	buffer_store_dword v41, off, s[0:3], s32 offset:144 ; 4-byte Folded Spill
	;; [unrolled: 1-line block ×36, first 2 shown]
	v_writelane_b32 v63, s34, 0
	v_writelane_b32 v63, s35, 1
	;; [unrolled: 1-line block ×12, first 2 shown]
	s_mov_b32 s18, s13
	s_ashr_i32 s19, s13, 31
	v_accvgpr_write_b32 a4, v26
	v_accvgpr_write_b32 a35, v25
	s_lshl_b64 s[4:5], s[18:19], 2
	v_accvgpr_write_b32 a5, v27
	v_accvgpr_write_b32 a34, v24
	v_mov_b32_e32 v25, v1
	v_mov_b32_e32 v26, v0
	;; [unrolled: 1-line block ×3, first 2 shown]
	v_add_co_u32_e32 v0, vcc, s4, v16
	v_addc_co_u32_e32 v1, vcc, v17, v1, vcc
	flat_load_dword v55, v[0:1]
	s_nop 0
	buffer_load_dword v0, off, s[0:3], s32 offset:4
	buffer_load_dword v1, off, s[0:3], s32
	s_mov_b32 s22, s15
	s_lshl_b32 s15, s14, 9
	v_accvgpr_write_b32 a6, v22
	v_mov_b32_e32 v33, v20
	v_mov_b32_e32 v32, v19
	v_accvgpr_write_b32 a33, v13
	v_mov_b32_e32 v22, v11
	v_mov_b32_e32 v24, v10
	v_accvgpr_write_b32 a0, v5
	v_accvgpr_write_b32 a1, v4
	v_mov_b32_e32 v27, v3
	v_mov_b32_e32 v34, v2
	s_waitcnt vmcnt(0) lgkmcnt(0)
	v_cmp_lt_i32_e32 vcc, s15, v55
	s_and_saveexec_b64 s[16:17], vcc
	s_cbranch_execz .LBB374_888
; %bb.1:
	v_sub_u32_e32 v2, 0, v12
	v_max_i32_e32 v2, v12, v2
	v_cvt_f32_u32_e32 v3, v2
	s_load_dword s4, s[8:9], 0x10
	s_load_dword s6, s[8:9], 0x0
	v_sub_u32_e32 v5, 0, v2
	v_rcp_iflag_f32_e32 v3, v3
	s_waitcnt lgkmcnt(0)
	s_lshr_b32 s4, s4, 16
	s_cmp_lg_u32 s4, 0
	s_cselect_b64 s[4:5], -1, 0
	v_mul_f32_e32 v3, 0x4f7ffffe, v3
	v_cvt_u32_f32_e32 v3, v3
	s_cmp_lg_u64 s[4:5], 0
	s_addc_u32 s19, s6, 0
	s_abs_i32 s4, s19
	v_mul_lo_u32 v5, v5, v3
	v_mul_hi_u32 v5, v3, v5
	v_add_u32_e32 v3, v3, v5
	v_mul_hi_u32 v3, s4, v3
	v_mul_lo_u32 v5, v3, v2
	v_sub_u32_e32 v5, s4, v5
	v_add_u32_e32 v10, 1, v3
	v_cmp_ge_u32_e32 vcc, v5, v2
	v_cndmask_b32_e32 v3, v3, v10, vcc
	v_sub_u32_e32 v10, v5, v2
	v_cndmask_b32_e32 v5, v5, v10, vcc
	v_xor_b32_e32 v4, s19, v12
	v_add_u32_e32 v10, 1, v3
	v_cmp_ge_u32_e32 vcc, v5, v2
	v_ashrrev_i32_e32 v4, 31, v4
	v_cndmask_b32_e32 v2, v3, v10, vcc
	v_xor_b32_e32 v2, v2, v4
	v_sub_u32_e32 v2, v2, v4
	v_sub_u32_e32 v3, 0, v2
	v_max_i32_e32 v3, v2, v3
	v_cvt_f32_u32_e32 v4, v3
	v_sub_u32_e32 v5, 0, v3
	s_abs_i32 s6, s12
	v_cmp_ne_u64_e32 vcc, 0, v[32:33]
	v_rcp_iflag_f32_e32 v4, v4
	v_mul_f32_e32 v4, 0x4f7ffffe, v4
	v_cvt_u32_f32_e32 v4, v4
	v_mul_lo_u32 v5, v5, v4
	v_mul_hi_u32 v5, v4, v5
	v_add_u32_e32 v4, v4, v5
	v_mad_u64_u32 v[16:17], s[4:5], s6, v4, 0
	v_mov_b32_e32 v4, 0
	buffer_store_dword v4, off, s[0:3], s32 offset:156 ; 4-byte Folded Spill
	s_and_saveexec_b64 s[4:5], vcc
	s_cbranch_execz .LBB374_3
; %bb.2:
	s_ashr_i32 s13, s12, 31
	s_lshl_b64 s[10:11], s[12:13], 2
	v_mov_b32_e32 v5, s11
	v_add_co_u32_e32 v4, vcc, s10, v32
	v_addc_co_u32_e32 v5, vcc, v33, v5, vcc
	flat_load_dword v4, v[4:5]
	s_waitcnt vmcnt(0) lgkmcnt(0)
	buffer_store_dword v4, off, s[0:3], s32 offset:156 ; 4-byte Folded Spill
.LBB374_3:
	s_or_b64 exec, exec, s[4:5]
	v_and_b32_e32 v54, 0x3ff, v31
	s_ashr_i32 s7, s12, 31
	v_ashrrev_i32_e32 v4, 31, v2
	v_and_b32_e32 v2, 1, v54
	s_lshl_b32 s20, s12, 6
	v_cmp_gt_u32_e32 vcc, 16, v54
	v_lshlrev_b32_e32 v31, 3, v54
	s_and_saveexec_b64 s[4:5], vcc
	s_cbranch_execz .LBB374_5
; %bb.4:
	v_mul_lo_u32 v10, s18, v21
	v_ashrrev_i32_e32 v11, 31, v10
	v_lshlrev_b64 v[10:11], 1, v[10:11]
	v_add_co_u32_e32 v5, vcc, v6, v10
	s_ashr_i32 s21, s20, 31
	v_addc_co_u32_e32 v6, vcc, v7, v11, vcc
	s_lshl_b64 s[10:11], s[20:21], 1
	v_mov_b32_e32 v7, s11
	v_add_co_u32_e32 v5, vcc, s10, v5
	v_addc_co_u32_e32 v7, vcc, v6, v7, vcc
	v_add_co_u32_e32 v6, vcc, v5, v31
	v_addc_co_u32_e32 v7, vcc, 0, v7, vcc
	flat_load_dwordx2 v[6:7], v[6:7]
	v_lshlrev_b32_e32 v5, 2, v54
	v_and_b32_e32 v5, 0xff8, v5
	v_lshl_add_u32 v5, v2, 6, v5
	s_waitcnt vmcnt(0) lgkmcnt(0)
	ds_write_b64 v5, v[6:7]
.LBB374_5:
	s_or_b64 exec, exec, s[4:5]
	v_mul_lo_u32 v5, v17, v3
	v_sub_u32_e32 v5, s6, v5
	v_add_u32_e32 v6, 1, v17
	v_cmp_ge_u32_e32 vcc, v5, v3
	v_sub_u32_e32 v7, v5, v3
	v_cndmask_b32_e32 v6, v17, v6, vcc
	v_cndmask_b32_e32 v5, v5, v7, vcc
	v_add_u32_e32 v7, 1, v6
	v_cmp_ge_u32_e32 vcc, v5, v3
	v_sub_u32_e32 v5, 0, v1
	v_cndmask_b32_e32 v3, v6, v7, vcc
	v_max_i32_e32 v7, v1, v5
	v_cvt_f32_u32_e32 v5, v7
	v_xor_b32_e32 v4, s7, v4
	v_xor_b32_e32 v3, v3, v4
	v_sub_u32_e32 v6, v3, v4
	v_rcp_iflag_f32_e32 v3, v5
	v_accvgpr_write_b32 a7, v7
	v_sub_u32_e32 v7, 0, v7
	v_add_u32_e32 v4, -1, v55
	v_mul_f32_e32 v3, 0x4f7ffffe, v3
	v_cvt_u32_f32_e32 v5, v3
	v_sub_u32_e32 v3, 0, v4
	v_max_i32_e32 v3, v4, v3
	v_cmp_gt_i32_e32 vcc, 0, v0
	v_mul_lo_u32 v7, v7, v5
	v_mul_hi_u32 v7, v5, v7
	v_add_u32_e32 v5, v5, v7
	v_accvgpr_write_b32 a8, v5
	v_mad_u64_u32 v[16:17], s[4:5], v3, v5, 0
	s_waitcnt lgkmcnt(0)
	s_barrier
	s_waitcnt lgkmcnt(0)
                                        ; implicit-def: $agpr10
	s_and_saveexec_b64 s[4:5], vcc
	s_xor_b64 s[4:5], exec, s[4:5]
; %bb.6:
	v_mad_u64_u32 v[10:11], s[6:7], v28, v12, v[6:7]
	v_mul_lo_u32 v0, v10, v0
	v_sub_u32_e32 v0, 1, v0
	v_accvgpr_write_b32 a10, v0
                                        ; implicit-def: $vgpr28
                                        ; implicit-def: $vgpr0
; %bb.7:
	s_or_saveexec_b64 s[4:5], s[4:5]
	v_ashrrev_i32_e32 v1, 31, v1
	v_ashrrev_i32_e32 v4, 31, v4
	v_accvgpr_write_b32 a9, v1
	s_xor_b64 exec, exec, s[4:5]
; %bb.8:
	v_mul_lo_u32 v1, s19, v28
	v_add_u32_e32 v1, s12, v1
	v_mad_u64_u32 v[0:1], s[6:7], v1, v0, 1
	v_accvgpr_write_b32 a10, v0
; %bb.9:
	s_or_b64 exec, exec, s[4:5]
	v_accvgpr_read_b32 v5, a9
	v_accvgpr_read_b32 v10, a7
	v_xor_b32_e32 v4, v4, v5
	v_mul_lo_u32 v5, v17, v10
	v_sub_u32_e32 v3, v3, v5
	v_add_u32_e32 v5, 1, v17
	v_cmp_ge_u32_e32 vcc, v3, v10
	v_sub_u32_e32 v7, v3, v10
	v_cndmask_b32_e32 v5, v17, v5, vcc
	v_cndmask_b32_e32 v3, v3, v7, vcc
	v_add_u32_e32 v7, 1, v5
	v_cmp_ge_u32_e32 vcc, v3, v10
	v_cndmask_b32_e32 v3, v5, v7, vcc
	v_xor_b32_e32 v3, v3, v4
	v_sub_u32_e32 v3, v3, v4
	v_add_u32_e32 v4, 31, v55
	v_ashrrev_i32_e32 v5, 31, v4
	s_load_dword s38, s[8:9], 0x14
	s_load_dword s13, s[8:9], 0x8
	v_lshrrev_b32_e32 v5, 27, v5
	s_lshl_b32 s21, s14, 4
	v_lshrrev_b32_e32 v28, 6, v54
	v_add_u32_e32 v4, v4, v5
	v_or_b32_e32 v10, s21, v28
	v_mul_lo_u32 v0, s18, v18
	v_ashrrev_i32_e32 v35, 5, v4
	s_add_i32 s4, s21, 16
	v_ashrrev_i32_e32 v11, 31, v10
	v_ashrrev_i32_e32 v1, 31, v0
	v_min_i32_e32 v4, s4, v35
	v_sub_u32_e32 v3, v3, v29
	v_mul_lo_u32 v23, v6, v23
	v_accvgpr_write_b32 a13, v11
	v_accvgpr_write_b32 a11, v4
	v_cmp_lt_i32_e64 s[4:5], v10, v4
	v_mov_b32_e32 v5, 0xff7fffff
	v_accvgpr_write_b32 a14, v3
	v_accvgpr_write_b32 a12, v10
	v_ashrrev_i32_e32 v29, 31, v23
	v_sub_u32_e32 v36, 0, v30
	v_lshlrev_b64 v[32:33], 2, v[0:1]
	v_mbcnt_lo_u32_b32 v4, -1, 0
	v_lshl_add_u32 v0, v28, 5, s15
	s_mov_b64 s[24:25], exec
	s_and_b64 s[6:7], s[24:25], s[4:5]
	v_accvgpr_write_b32 a2, v54
	v_accvgpr_write_b32 a3, v55
	;; [unrolled: 1-line block ×3, first 2 shown]
	s_mov_b64 exec, s[6:7]
	s_cbranch_execz .LBB374_339
; %bb.10:
	v_bfe_u32 v10, v54, 1, 5
	v_add_co_u32_e64 v0, s[6:7], v8, v23
	v_addc_co_u32_e64 v1, s[6:7], v9, v29, s[6:7]
	v_lshlrev_b32_e32 v3, 4, v10
	v_add_co_u32_e64 v0, s[6:7], v0, v3
	v_addc_co_u32_e64 v1, s[6:7], 0, v1, s[6:7]
	v_accvgpr_write_b32 a39, v1
	v_accvgpr_write_b32 a38, v0
	v_lshlrev_b32_e32 v1, 6, v2
	v_accvgpr_write_b32 a42, v1
	buffer_load_dword v1, off, s[0:3], s32 offset:156 ; 4-byte Folded Reload
	v_lshlrev_b32_e32 v0, 2, v2
	v_max_i32_e32 v3, v30, v36
	v_accvgpr_write_b32 a40, v0
	v_cvt_f32_u32_e32 v0, v3
	s_ashr_i32 s23, s22, 31
	s_lshl_b64 s[8:9], s[22:23], 2
	v_accvgpr_read_b32 v6, a12
	v_rcp_iflag_f32_e32 v0, v0
	s_getpc_b64 s[10:11]
	s_add_u32 s10, s10, llvm.amdgcn.dynlds.offset.table@rel32@lo+4
	s_addc_u32 s11, s11, llvm.amdgcn.dynlds.offset.table@rel32@hi+12
	v_accvgpr_read_b32 v7, a13
	s_add_u32 s26, s8, s10
	v_mul_f32_e32 v0, 0x4f7ffffe, v0
	v_cvt_u32_f32_e32 v0, v0
	s_addc_u32 s27, s9, s11
	v_cmp_eq_u32_e32 vcc, 0, v2
	s_load_dword s23, s[26:27], 0x0
	v_mov_b32_e32 v2, v55
	v_mov_b32_e32 v5, v4
	v_accvgpr_write_b32 a28, v32
	v_accvgpr_write_b32 a27, v35
	;; [unrolled: 1-line block ×17, first 2 shown]
	v_lshl_add_u32 v60, v28, 5, s15
	v_accvgpr_write_b32 a26, v28
	v_accvgpr_write_b32 a37, v10
	s_mov_b64 s[28:29], 0
	s_movk_i32 s39, 0x80
	s_movk_i32 s40, 0x7f
	s_mov_b32 s41, 0x7f800000
	s_movk_i32 s42, 0x7fff
	s_mov_b32 s43, 0xffffff
	v_accvgpr_write_b32 a36, v4
	s_waitcnt vmcnt(0)
	v_cmp_neq_f32_e64 s[6:7], 0, v1
	v_sub_u32_e32 v1, 0, v3
	v_mul_lo_u32 v1, v1, v0
	v_mul_hi_u32 v1, v0, v1
	v_add_u32_e32 v0, v0, v1
	v_accvgpr_write_b32 a44, v0
	v_lshlrev_b64 v[0:1], 2, v[6:7]
	v_add_co_u32_e64 v0, s[8:9], v32, v0
	v_addc_co_u32_e64 v1, s[8:9], v33, v1, s[8:9]
	v_add_co_u32_e64 v54, s[8:9], v14, v0
	v_lshlrev_b32_e32 v0, 2, v10
	v_lshl_or_b32 v0, v28, 7, v0
	v_accvgpr_write_b32 a43, v0
	v_sub_u32_e32 v0, v10, v2
	v_add_u32_e32 v0, 1, v0
	v_accvgpr_write_b32 a45, v0
	v_mbcnt_hi_u32_b32 v0, -1, v5
	v_addc_co_u32_e64 v55, s[8:9], v15, v1, s[8:9]
	v_accvgpr_write_b32 a46, v0
	v_mov_b32_e32 v0, 0xff7fffff
	v_mov_b32_e32 v1, v6
	buffer_store_dword v0, off, s[0:3], s32 offset:152 ; 4-byte Folded Spill
	s_branch .LBB374_13
.LBB374_11:                             ;   in Loop: Header=BB374_13 Depth=1
	s_or_b64 exec, exec, s[30:31]
.LBB374_12:                             ;   in Loop: Header=BB374_13 Depth=1
	s_or_b64 exec, exec, s[10:11]
	s_waitcnt lgkmcnt(0)
	v_accvgpr_read_b32 v1, a47
	v_add_co_u32_e64 v54, s[8:9], 8, v54
	v_add_u32_e32 v1, 2, v1
	v_addc_co_u32_e64 v55, s[8:9], 0, v55, s[8:9]
	v_accvgpr_read_b32 v0, a11
	v_cmp_ge_i32_e64 s[8:9], v1, v0
	v_accvgpr_read_b32 v0, a43
	v_add_u32_e32 v0, 0x100, v0
	v_add_u32_e32 v60, 64, v60
	s_or_b64 s[28:29], s[8:9], s[28:29]
	v_accvgpr_write_b32 a43, v0
	s_andn2_b64 exec, exec, s[28:29]
	s_cbranch_execz .LBB374_338
.LBB374_13:                             ; =>This Inner Loop Header: Depth=1
	v_accvgpr_write_b32 a47, v1
	v_ashrrev_i32_e32 v0, 31, v60
	v_accvgpr_read_b32 v1, a9
	v_xor_b32_e32 v0, v0, v1
	v_sub_u32_e32 v1, 0, v60
	v_max_i32_e32 v1, v60, v1
	v_accvgpr_read_b32 v2, a8
	v_mul_hi_u32 v2, v1, v2
	v_accvgpr_read_b32 v5, a7
	v_mul_lo_u32 v3, v2, v5
	v_sub_u32_e32 v1, v1, v3
	v_add_u32_e32 v3, 1, v2
	v_cmp_ge_u32_e64 s[8:9], v1, v5
	v_cndmask_b32_e64 v2, v2, v3, s[8:9]
	v_sub_u32_e32 v3, v1, v5
	v_cndmask_b32_e64 v1, v1, v3, s[8:9]
	v_add_u32_e32 v3, 1, v2
	v_cmp_ge_u32_e64 s[8:9], v1, v5
	v_cndmask_b32_e64 v1, v2, v3, s[8:9]
	v_xor_b32_e32 v1, v1, v0
	v_sub_u32_e32 v0, v1, v0
	v_accvgpr_read_b32 v2, a10
	v_add_u32_e32 v1, v0, v2
	v_sub_u32_e32 v3, 0, v1
	v_ashrrev_i32_e32 v2, 31, v1
	v_max_i32_e32 v1, v1, v3
	v_accvgpr_read_b32 v6, a44
	v_mul_hi_u32 v3, v1, v6
	v_accvgpr_read_b32 v5, a41
	v_mul_lo_u32 v3, v3, v5
	v_sub_u32_e32 v1, v1, v3
	v_sub_u32_e32 v3, v1, v5
	v_cmp_ge_u32_e64 s[8:9], v1, v5
	v_cndmask_b32_e64 v1, v1, v3, s[8:9]
	v_sub_u32_e32 v3, v1, v5
	v_cmp_ge_u32_e64 s[8:9], v1, v5
	v_cndmask_b32_e64 v1, v1, v3, s[8:9]
	v_xor_b32_e32 v1, v1, v2
	v_sub_u32_e32 v1, v1, v2
	v_cmp_ne_u32_e64 s[8:9], 0, v1
	v_accvgpr_read_b32 v1, a14
	v_cmp_le_i32_e64 s[10:11], v0, v1
	s_and_b64 s[8:9], s[8:9], s[10:11]
	s_and_b64 s[30:31], vcc, s[8:9]
	s_and_saveexec_b64 s[10:11], s[30:31]
	s_cbranch_execz .LBB374_15
; %bb.14:                               ;   in Loop: Header=BB374_13 Depth=1
	v_accvgpr_read_b32 v0, a43
	s_waitcnt lgkmcnt(0)
	v_add_u32_e32 v0, s23, v0
	v_mov_b32_e32 v1, 0xff7fffff
	ds_write_b32 v0, v1
.LBB374_15:                             ;   in Loop: Header=BB374_13 Depth=1
	s_or_b64 exec, exec, s[10:11]
	s_xor_b64 s[8:9], s[8:9], -1
	s_and_saveexec_b64 s[10:11], s[8:9]
	s_cbranch_execz .LBB374_12
; %bb.16:                               ;   in Loop: Header=BB374_13 Depth=1
	flat_load_dword v0, v[54:55]
	v_accvgpr_read_b32 v6, a38
	v_accvgpr_read_b32 v2, a6
	;; [unrolled: 1-line block ×3, first 2 shown]
	s_waitcnt vmcnt(0) lgkmcnt(0)
	v_mad_i64_i32 v[0:1], s[8:9], v0, v2, v[6:7]
	v_accvgpr_read_b32 v2, a40
	v_add_co_u32_e64 v40, s[8:9], v0, v2
	v_addc_co_u32_e64 v41, s[8:9], 0, v1, s[8:9]
	v_accvgpr_read_b32 v0, a34
	flat_load_dword v42, v[40:41]
	v_accvgpr_read_b32 v1, a35
	flat_load_dword v0, v[0:1]
	v_accvgpr_read_b32 v1, a42
	ds_read_b128 v[36:39], v1
	ds_read_b128 v[32:35], v1 offset:16
	ds_read_b128 v[16:19], v1 offset:32
	;; [unrolled: 1-line block ×3, first 2 shown]
	v_mov_b32_e32 v1, 0
	s_waitcnt vmcnt(0) lgkmcnt(0)
	v_cmp_ne_u16_sdwa s[8:9], v42, v1 src0_sel:BYTE_0 src1_sel:DWORD
	v_mov_b32_e32 v1, 0
	s_and_saveexec_b64 s[30:31], s[8:9]
	s_cbranch_execz .LBB374_22
; %bb.17:                               ;   in Loop: Header=BB374_13 Depth=1
	v_cmp_ne_u16_sdwa s[8:9], v42, s39 src0_sel:BYTE_0 src1_sel:DWORD
	v_bfrev_b32_e32 v1, 1
	s_and_saveexec_b64 s[34:35], s[8:9]
	s_cbranch_execz .LBB374_21
; %bb.18:                               ;   in Loop: Header=BB374_13 Depth=1
	v_and_b32_e32 v2, 0x7f, v42
	v_cmp_ne_u32_e64 s[8:9], s40, v2
	v_mov_b32_e32 v1, 0x7f800001
	s_and_saveexec_b64 s[36:37], s[8:9]
	s_cbranch_execz .LBB374_20
; %bb.19:                               ;   in Loop: Header=BB374_13 Depth=1
	v_and_b32_e32 v1, 7, v42
	v_ffbh_u32_e32 v5, v1
	v_min_u32_e32 v5, 32, v5
	v_subrev_u32_e32 v11, 28, v5
	v_lshlrev_b64 v[12:13], v11, v[42:43]
	v_lshrrev_b32_e32 v3, 3, v2
	v_sub_u32_e32 v5, 29, v5
	v_and_b32_e32 v11, 7, v12
	v_cmp_gt_u32_e64 s[8:9], 8, v2
	v_cndmask_b32_e64 v2, v3, v5, s[8:9]
	v_cndmask_b32_e64 v1, v1, v11, s[8:9]
	v_lshlrev_b32_e32 v3, 24, v42
	v_bfrev_b32_e32 v5, 60
	v_lshlrev_b32_e32 v1, 20, v1
	v_and_b32_e32 v3, 0x80000000, v3
	v_lshl_add_u32 v2, v2, 23, v5
	v_or3_b32 v1, v3, v2, v1
.LBB374_20:                             ;   in Loop: Header=BB374_13 Depth=1
	s_or_b64 exec, exec, s[36:37]
.LBB374_21:                             ;   in Loop: Header=BB374_13 Depth=1
	s_or_b64 exec, exec, s[34:35]
.LBB374_22:                             ;   in Loop: Header=BB374_13 Depth=1
	s_or_b64 exec, exec, s[30:31]
	v_mul_f32_e32 v2, v0, v1
	v_and_b32_e32 v1, 0x7f800000, v2
	v_cmp_ne_u32_e64 s[8:9], s41, v1
                                        ; implicit-def: $vgpr4
	s_and_saveexec_b64 s[30:31], s[8:9]
	s_xor_b64 s[8:9], exec, s[30:31]
; %bb.23:                               ;   in Loop: Header=BB374_13 Depth=1
	v_bfe_u32 v1, v2, 16, 1
	v_add3_u32 v4, v2, v1, s42
                                        ; implicit-def: $vgpr2
; %bb.24:                               ;   in Loop: Header=BB374_13 Depth=1
	s_andn2_saveexec_b64 s[30:31], s[8:9]
; %bb.25:                               ;   in Loop: Header=BB374_13 Depth=1
	v_mov_b32_e32 v3, 0
	v_or_b32_e32 v1, 0x10000, v2
	v_cmp_eq_u32_sdwa s[8:9], v2, v3 src0_sel:WORD_0 src1_sel:DWORD
	v_cndmask_b32_e64 v4, v1, v2, s[8:9]
; %bb.26:                               ;   in Loop: Header=BB374_13 Depth=1
	s_or_b64 exec, exec, s[30:31]
	v_lshrrev_b16_e32 v44, 8, v42
	v_cmp_ne_u16_e64 s[8:9], 0, v44
	v_mov_b32_e32 v2, 0
	s_and_saveexec_b64 s[30:31], s[8:9]
	s_cbranch_execz .LBB374_32
; %bb.27:                               ;   in Loop: Header=BB374_13 Depth=1
	v_cmp_ne_u16_e64 s[8:9], s39, v44
	v_bfrev_b32_e32 v2, 1
	s_and_saveexec_b64 s[34:35], s[8:9]
	s_cbranch_execz .LBB374_31
; %bb.28:                               ;   in Loop: Header=BB374_13 Depth=1
	v_and_b32_e32 v3, 0x7f, v44
	v_cmp_ne_u32_e64 s[8:9], s40, v3
	v_mov_b32_e32 v2, 0x7f800001
	s_and_saveexec_b64 s[36:37], s[8:9]
	s_cbranch_execz .LBB374_30
; %bb.29:                               ;   in Loop: Header=BB374_13 Depth=1
	v_and_b32_e32 v1, 7, v44
	v_ffbh_u32_e32 v5, v1
	v_min_u32_e32 v5, 32, v5
	v_subrev_u32_e32 v11, 28, v5
	v_lshlrev_b64 v[12:13], v11, v[44:45]
	v_lshrrev_b32_e32 v2, 3, v3
	v_sub_u32_e32 v5, 29, v5
	v_and_b32_e32 v11, 7, v12
	v_cmp_gt_u32_e64 s[8:9], 8, v3
	v_cndmask_b32_e64 v2, v2, v5, s[8:9]
	v_cndmask_b32_e64 v1, v1, v11, s[8:9]
	v_lshlrev_b32_e32 v3, 16, v42
	v_bfrev_b32_e32 v5, 60
	v_lshlrev_b32_e32 v1, 20, v1
	v_and_b32_e32 v3, 0x80000000, v3
	v_lshl_add_u32 v2, v2, 23, v5
	v_or3_b32 v2, v3, v2, v1
.LBB374_30:                             ;   in Loop: Header=BB374_13 Depth=1
	s_or_b64 exec, exec, s[36:37]
.LBB374_31:                             ;   in Loop: Header=BB374_13 Depth=1
	s_or_b64 exec, exec, s[34:35]
.LBB374_32:                             ;   in Loop: Header=BB374_13 Depth=1
	s_or_b64 exec, exec, s[30:31]
	v_mul_f32_e32 v2, v0, v2
	v_and_b32_e32 v1, 0x7f800000, v2
	v_cmp_ne_u32_e64 s[8:9], s41, v1
                                        ; implicit-def: $vgpr10
	s_and_saveexec_b64 s[30:31], s[8:9]
	s_xor_b64 s[8:9], exec, s[30:31]
; %bb.33:                               ;   in Loop: Header=BB374_13 Depth=1
	v_bfe_u32 v1, v2, 16, 1
	v_add3_u32 v10, v2, v1, s42
                                        ; implicit-def: $vgpr2
; %bb.34:                               ;   in Loop: Header=BB374_13 Depth=1
	s_andn2_saveexec_b64 s[30:31], s[8:9]
; %bb.35:                               ;   in Loop: Header=BB374_13 Depth=1
	v_mov_b32_e32 v3, 0
	v_or_b32_e32 v1, 0x10000, v2
	v_cmp_eq_u32_sdwa s[8:9], v2, v3 src0_sel:WORD_0 src1_sel:DWORD
	v_cndmask_b32_e64 v10, v1, v2, s[8:9]
; %bb.36:                               ;   in Loop: Header=BB374_13 Depth=1
	s_or_b64 exec, exec, s[30:31]
	v_lshrrev_b32_e32 v44, 16, v42
	v_mov_b32_e32 v1, 0
	v_cmp_ne_u16_sdwa s[8:9], v44, v1 src0_sel:BYTE_0 src1_sel:DWORD
	v_mov_b32_e32 v2, 0
	s_and_saveexec_b64 s[30:31], s[8:9]
	s_cbranch_execz .LBB374_42
; %bb.37:                               ;   in Loop: Header=BB374_13 Depth=1
	v_cmp_ne_u16_sdwa s[8:9], v44, s39 src0_sel:BYTE_0 src1_sel:DWORD
	v_bfrev_b32_e32 v2, 1
	s_and_saveexec_b64 s[34:35], s[8:9]
	s_cbranch_execz .LBB374_41
; %bb.38:                               ;   in Loop: Header=BB374_13 Depth=1
	v_bfe_u32 v5, v42, 16, 7
	v_cmp_ne_u32_e64 s[8:9], s40, v5
	v_mov_b32_e32 v2, 0x7f800001
	s_and_saveexec_b64 s[36:37], s[8:9]
	s_cbranch_execz .LBB374_40
; %bb.39:                               ;   in Loop: Header=BB374_13 Depth=1
	v_and_b32_e32 v2, 7, v44
	v_ffbh_u32_e32 v11, v2
	v_min_u32_e32 v11, 32, v11
	v_subrev_u32_e32 v12, 28, v11
	v_lshlrev_b64 v[12:13], v12, v[44:45]
	v_lshrrev_b32_e32 v3, 3, v5
	v_sub_u32_e32 v11, 29, v11
	v_and_b32_e32 v12, 7, v12
	v_cmp_gt_u32_e64 s[8:9], 8, v5
	v_cndmask_b32_e64 v3, v3, v11, s[8:9]
	v_cndmask_b32_e64 v2, v2, v12, s[8:9]
	v_lshlrev_b32_e32 v5, 24, v44
	v_bfrev_b32_e32 v1, 60
	v_lshlrev_b32_e32 v2, 20, v2
	v_and_b32_e32 v5, 0x80000000, v5
	v_lshl_add_u32 v3, v3, 23, v1
	v_or3_b32 v2, v5, v3, v2
.LBB374_40:                             ;   in Loop: Header=BB374_13 Depth=1
	s_or_b64 exec, exec, s[36:37]
.LBB374_41:                             ;   in Loop: Header=BB374_13 Depth=1
	s_or_b64 exec, exec, s[34:35]
.LBB374_42:                             ;   in Loop: Header=BB374_13 Depth=1
	s_or_b64 exec, exec, s[30:31]
	v_mul_f32_e32 v5, v0, v2
	v_and_b32_e32 v2, 0x7f800000, v5
	v_cmp_ne_u32_e64 s[8:9], s41, v2
                                        ; implicit-def: $vgpr48
	s_and_saveexec_b64 s[30:31], s[8:9]
	s_xor_b64 s[8:9], exec, s[30:31]
; %bb.43:                               ;   in Loop: Header=BB374_13 Depth=1
	v_bfe_u32 v2, v5, 16, 1
	v_add3_u32 v48, v5, v2, s42
                                        ; implicit-def: $vgpr5
; %bb.44:                               ;   in Loop: Header=BB374_13 Depth=1
	s_andn2_saveexec_b64 s[30:31], s[8:9]
; %bb.45:                               ;   in Loop: Header=BB374_13 Depth=1
	v_mov_b32_e32 v1, 0
	v_or_b32_e32 v2, 0x10000, v5
	v_cmp_eq_u32_sdwa s[8:9], v5, v1 src0_sel:WORD_0 src1_sel:DWORD
	v_cndmask_b32_e64 v48, v2, v5, s[8:9]
; %bb.46:                               ;   in Loop: Header=BB374_13 Depth=1
	s_or_b64 exec, exec, s[30:31]
	v_cmp_lt_u32_e64 s[8:9], s43, v42
	v_mov_b32_e32 v5, 0
	s_and_saveexec_b64 s[30:31], s[8:9]
	s_cbranch_execz .LBB374_52
; %bb.47:                               ;   in Loop: Header=BB374_13 Depth=1
	v_lshrrev_b32_e32 v44, 24, v42
	v_cmp_ne_u32_e64 s[8:9], s39, v44
	v_bfrev_b32_e32 v5, 1
	s_and_saveexec_b64 s[34:35], s[8:9]
	s_cbranch_execz .LBB374_51
; %bb.48:                               ;   in Loop: Header=BB374_13 Depth=1
	v_bfe_u32 v11, v42, 24, 7
	v_cmp_ne_u32_e64 s[8:9], s40, v11
	v_mov_b32_e32 v5, 0x7f800001
	s_and_saveexec_b64 s[36:37], s[8:9]
	s_cbranch_execz .LBB374_50
; %bb.49:                               ;   in Loop: Header=BB374_13 Depth=1
	v_and_b32_e32 v2, 7, v44
	v_ffbh_u32_e32 v5, v2
	v_min_u32_e32 v5, 32, v5
	v_subrev_u32_e32 v12, 28, v5
	v_lshlrev_b64 v[12:13], v12, v[44:45]
	v_lshrrev_b32_e32 v3, 3, v11
	v_sub_u32_e32 v5, 29, v5
	v_and_b32_e32 v12, 7, v12
	v_cmp_gt_u32_e64 s[8:9], 8, v11
	v_cndmask_b32_e64 v3, v3, v5, s[8:9]
	v_cndmask_b32_e64 v2, v2, v12, s[8:9]
	v_lshlrev_b32_e32 v5, 24, v44
	v_bfrev_b32_e32 v1, 60
	v_lshlrev_b32_e32 v2, 20, v2
	v_and_b32_e32 v5, 0x80000000, v5
	v_lshl_add_u32 v3, v3, 23, v1
	v_or3_b32 v5, v5, v3, v2
.LBB374_50:                             ;   in Loop: Header=BB374_13 Depth=1
	s_or_b64 exec, exec, s[36:37]
.LBB374_51:                             ;   in Loop: Header=BB374_13 Depth=1
	s_or_b64 exec, exec, s[34:35]
.LBB374_52:                             ;   in Loop: Header=BB374_13 Depth=1
	s_or_b64 exec, exec, s[30:31]
	v_mul_f32_e32 v5, v0, v5
	v_and_b32_e32 v2, 0x7f800000, v5
	v_cmp_ne_u32_e64 s[8:9], s41, v2
                                        ; implicit-def: $agpr48
	s_and_saveexec_b64 s[30:31], s[8:9]
	s_xor_b64 s[8:9], exec, s[30:31]
; %bb.53:                               ;   in Loop: Header=BB374_13 Depth=1
	v_bfe_u32 v2, v5, 16, 1
	v_add3_u32 v1, v5, v2, s42
	v_accvgpr_write_b32 a48, v1
                                        ; implicit-def: $vgpr5
; %bb.54:                               ;   in Loop: Header=BB374_13 Depth=1
	s_andn2_saveexec_b64 s[30:31], s[8:9]
; %bb.55:                               ;   in Loop: Header=BB374_13 Depth=1
	v_mov_b32_e32 v1, 0
	v_or_b32_e32 v2, 0x10000, v5
	v_cmp_eq_u32_sdwa s[8:9], v5, v1 src0_sel:WORD_0 src1_sel:DWORD
	v_cndmask_b32_e64 v1, v2, v5, s[8:9]
	v_accvgpr_write_b32 a48, v1
; %bb.56:                               ;   in Loop: Header=BB374_13 Depth=1
	s_or_b64 exec, exec, s[30:31]
	flat_load_dword v42, v[40:41] offset:8
	v_mov_b32_e32 v1, 0
	v_mov_b32_e32 v5, 0
	s_waitcnt vmcnt(0) lgkmcnt(0)
	v_cmp_ne_u16_sdwa s[8:9], v42, v1 src0_sel:BYTE_0 src1_sel:DWORD
	s_and_saveexec_b64 s[30:31], s[8:9]
	s_cbranch_execz .LBB374_62
; %bb.57:                               ;   in Loop: Header=BB374_13 Depth=1
	v_cmp_ne_u16_sdwa s[8:9], v42, s39 src0_sel:BYTE_0 src1_sel:DWORD
	v_bfrev_b32_e32 v5, 1
	s_and_saveexec_b64 s[34:35], s[8:9]
	s_cbranch_execz .LBB374_61
; %bb.58:                               ;   in Loop: Header=BB374_13 Depth=1
	v_and_b32_e32 v11, 0x7f, v42
	v_cmp_ne_u32_e64 s[8:9], s40, v11
	v_mov_b32_e32 v5, 0x7f800001
	s_and_saveexec_b64 s[36:37], s[8:9]
	s_cbranch_execz .LBB374_60
; %bb.59:                               ;   in Loop: Header=BB374_13 Depth=1
	v_and_b32_e32 v2, 7, v42
	v_ffbh_u32_e32 v5, v2
	v_min_u32_e32 v5, 32, v5
	v_subrev_u32_e32 v12, 28, v5
	v_lshlrev_b64 v[12:13], v12, v[42:43]
	v_lshrrev_b32_e32 v3, 3, v11
	v_sub_u32_e32 v5, 29, v5
	v_and_b32_e32 v12, 7, v12
	v_cmp_gt_u32_e64 s[8:9], 8, v11
	v_cndmask_b32_e64 v3, v3, v5, s[8:9]
	v_cndmask_b32_e64 v2, v2, v12, s[8:9]
	v_lshlrev_b32_e32 v5, 24, v42
	v_bfrev_b32_e32 v1, 60
	v_lshlrev_b32_e32 v2, 20, v2
	v_and_b32_e32 v5, 0x80000000, v5
	v_lshl_add_u32 v3, v3, 23, v1
	v_or3_b32 v5, v5, v3, v2
.LBB374_60:                             ;   in Loop: Header=BB374_13 Depth=1
	s_or_b64 exec, exec, s[36:37]
.LBB374_61:                             ;   in Loop: Header=BB374_13 Depth=1
	s_or_b64 exec, exec, s[34:35]
.LBB374_62:                             ;   in Loop: Header=BB374_13 Depth=1
	s_or_b64 exec, exec, s[30:31]
	v_mul_f32_e32 v5, v0, v5
	v_and_b32_e32 v2, 0x7f800000, v5
	v_cmp_ne_u32_e64 s[8:9], s41, v2
                                        ; implicit-def: $vgpr23
	s_and_saveexec_b64 s[30:31], s[8:9]
	s_xor_b64 s[8:9], exec, s[30:31]
; %bb.63:                               ;   in Loop: Header=BB374_13 Depth=1
	v_bfe_u32 v2, v5, 16, 1
	v_add3_u32 v23, v5, v2, s42
                                        ; implicit-def: $vgpr5
; %bb.64:                               ;   in Loop: Header=BB374_13 Depth=1
	s_andn2_saveexec_b64 s[30:31], s[8:9]
; %bb.65:                               ;   in Loop: Header=BB374_13 Depth=1
	v_mov_b32_e32 v1, 0
	v_or_b32_e32 v2, 0x10000, v5
	v_cmp_eq_u32_sdwa s[8:9], v5, v1 src0_sel:WORD_0 src1_sel:DWORD
	v_cndmask_b32_e64 v23, v2, v5, s[8:9]
; %bb.66:                               ;   in Loop: Header=BB374_13 Depth=1
	s_or_b64 exec, exec, s[30:31]
	v_lshrrev_b16_e32 v44, 8, v42
	v_cmp_ne_u16_e64 s[8:9], 0, v44
	v_mov_b32_e32 v5, 0
	s_and_saveexec_b64 s[30:31], s[8:9]
	s_cbranch_execz .LBB374_72
; %bb.67:                               ;   in Loop: Header=BB374_13 Depth=1
	v_cmp_ne_u16_e64 s[8:9], s39, v44
	v_bfrev_b32_e32 v5, 1
	s_and_saveexec_b64 s[34:35], s[8:9]
	s_cbranch_execz .LBB374_71
; %bb.68:                               ;   in Loop: Header=BB374_13 Depth=1
	v_and_b32_e32 v11, 0x7f, v44
	v_cmp_ne_u32_e64 s[8:9], s40, v11
	v_mov_b32_e32 v5, 0x7f800001
	s_and_saveexec_b64 s[36:37], s[8:9]
	s_cbranch_execz .LBB374_70
; %bb.69:                               ;   in Loop: Header=BB374_13 Depth=1
	v_and_b32_e32 v2, 7, v44
	v_ffbh_u32_e32 v5, v2
	v_min_u32_e32 v5, 32, v5
	v_subrev_u32_e32 v12, 28, v5
	v_lshlrev_b64 v[12:13], v12, v[44:45]
	v_lshrrev_b32_e32 v3, 3, v11
	v_sub_u32_e32 v5, 29, v5
	v_and_b32_e32 v12, 7, v12
	v_cmp_gt_u32_e64 s[8:9], 8, v11
	v_cndmask_b32_e64 v3, v3, v5, s[8:9]
	v_cndmask_b32_e64 v2, v2, v12, s[8:9]
	v_lshlrev_b32_e32 v5, 16, v42
	v_bfrev_b32_e32 v1, 60
	v_lshlrev_b32_e32 v2, 20, v2
	v_and_b32_e32 v5, 0x80000000, v5
	v_lshl_add_u32 v3, v3, 23, v1
	v_or3_b32 v5, v5, v3, v2
.LBB374_70:                             ;   in Loop: Header=BB374_13 Depth=1
	s_or_b64 exec, exec, s[36:37]
.LBB374_71:                             ;   in Loop: Header=BB374_13 Depth=1
	s_or_b64 exec, exec, s[34:35]
.LBB374_72:                             ;   in Loop: Header=BB374_13 Depth=1
	s_or_b64 exec, exec, s[30:31]
	v_mul_f32_e32 v11, v0, v5
	v_and_b32_e32 v2, 0x7f800000, v11
	v_cmp_ne_u32_e64 s[8:9], s41, v2
                                        ; implicit-def: $vgpr28
	s_and_saveexec_b64 s[30:31], s[8:9]
	s_xor_b64 s[8:9], exec, s[30:31]
; %bb.73:                               ;   in Loop: Header=BB374_13 Depth=1
	v_bfe_u32 v2, v11, 16, 1
	v_add3_u32 v28, v11, v2, s42
                                        ; implicit-def: $vgpr11
; %bb.74:                               ;   in Loop: Header=BB374_13 Depth=1
	s_andn2_saveexec_b64 s[30:31], s[8:9]
; %bb.75:                               ;   in Loop: Header=BB374_13 Depth=1
	v_mov_b32_e32 v1, 0
	v_or_b32_e32 v2, 0x10000, v11
	v_cmp_eq_u32_sdwa s[8:9], v11, v1 src0_sel:WORD_0 src1_sel:DWORD
	v_cndmask_b32_e64 v28, v2, v11, s[8:9]
; %bb.76:                               ;   in Loop: Header=BB374_13 Depth=1
	s_or_b64 exec, exec, s[30:31]
	v_lshrrev_b32_e32 v44, 16, v42
	v_mov_b32_e32 v1, 0
	v_cmp_ne_u16_sdwa s[8:9], v44, v1 src0_sel:BYTE_0 src1_sel:DWORD
	v_mov_b32_e32 v11, 0
	s_and_saveexec_b64 s[30:31], s[8:9]
	s_cbranch_execz .LBB374_82
; %bb.77:                               ;   in Loop: Header=BB374_13 Depth=1
	v_cmp_ne_u16_sdwa s[8:9], v44, s39 src0_sel:BYTE_0 src1_sel:DWORD
	v_bfrev_b32_e32 v11, 1
	s_and_saveexec_b64 s[34:35], s[8:9]
	s_cbranch_execz .LBB374_81
; %bb.78:                               ;   in Loop: Header=BB374_13 Depth=1
	v_bfe_u32 v12, v42, 16, 7
	v_cmp_ne_u32_e64 s[8:9], s40, v12
	v_mov_b32_e32 v11, 0x7f800001
	s_and_saveexec_b64 s[36:37], s[8:9]
	s_cbranch_execz .LBB374_80
; %bb.79:                               ;   in Loop: Header=BB374_13 Depth=1
	v_and_b32_e32 v2, 7, v44
	v_ffbh_u32_e32 v11, v2
	v_min_u32_e32 v11, 32, v11
	v_subrev_u32_e32 v13, 28, v11
	v_lshlrev_b64 v[14:15], v13, v[44:45]
	v_lshrrev_b32_e32 v3, 3, v12
	v_sub_u32_e32 v11, 29, v11
	v_and_b32_e32 v13, 7, v14
	v_cmp_gt_u32_e64 s[8:9], 8, v12
	v_cndmask_b32_e64 v3, v3, v11, s[8:9]
	v_cndmask_b32_e64 v2, v2, v13, s[8:9]
	v_lshlrev_b32_e32 v11, 24, v44
	v_bfrev_b32_e32 v1, 60
	v_lshlrev_b32_e32 v2, 20, v2
	v_and_b32_e32 v11, 0x80000000, v11
	v_lshl_add_u32 v3, v3, 23, v1
	v_or3_b32 v11, v11, v3, v2
.LBB374_80:                             ;   in Loop: Header=BB374_13 Depth=1
	s_or_b64 exec, exec, s[36:37]
.LBB374_81:                             ;   in Loop: Header=BB374_13 Depth=1
	s_or_b64 exec, exec, s[34:35]
.LBB374_82:                             ;   in Loop: Header=BB374_13 Depth=1
	s_or_b64 exec, exec, s[30:31]
	v_mul_f32_e32 v11, v0, v11
	v_and_b32_e32 v2, 0x7f800000, v11
	v_cmp_ne_u32_e64 s[8:9], s41, v2
                                        ; implicit-def: $vgpr53
	s_and_saveexec_b64 s[30:31], s[8:9]
	s_xor_b64 s[8:9], exec, s[30:31]
; %bb.83:                               ;   in Loop: Header=BB374_13 Depth=1
	v_bfe_u32 v2, v11, 16, 1
	v_add3_u32 v53, v11, v2, s42
                                        ; implicit-def: $vgpr11
; %bb.84:                               ;   in Loop: Header=BB374_13 Depth=1
	s_andn2_saveexec_b64 s[30:31], s[8:9]
; %bb.85:                               ;   in Loop: Header=BB374_13 Depth=1
	v_mov_b32_e32 v1, 0
	v_or_b32_e32 v2, 0x10000, v11
	v_cmp_eq_u32_sdwa s[8:9], v11, v1 src0_sel:WORD_0 src1_sel:DWORD
	v_cndmask_b32_e64 v53, v2, v11, s[8:9]
; %bb.86:                               ;   in Loop: Header=BB374_13 Depth=1
	s_or_b64 exec, exec, s[30:31]
	v_cmp_lt_u32_e64 s[8:9], s43, v42
	v_mov_b32_e32 v11, 0
	s_and_saveexec_b64 s[30:31], s[8:9]
	s_cbranch_execz .LBB374_92
; %bb.87:                               ;   in Loop: Header=BB374_13 Depth=1
	v_lshrrev_b32_e32 v44, 24, v42
	v_cmp_ne_u32_e64 s[8:9], s39, v44
	v_bfrev_b32_e32 v11, 1
	s_and_saveexec_b64 s[34:35], s[8:9]
	s_cbranch_execz .LBB374_91
; %bb.88:                               ;   in Loop: Header=BB374_13 Depth=1
	v_bfe_u32 v12, v42, 24, 7
	v_cmp_ne_u32_e64 s[8:9], s40, v12
	v_mov_b32_e32 v11, 0x7f800001
	s_and_saveexec_b64 s[36:37], s[8:9]
	s_cbranch_execz .LBB374_90
; %bb.89:                               ;   in Loop: Header=BB374_13 Depth=1
	v_and_b32_e32 v2, 7, v44
	v_ffbh_u32_e32 v11, v2
	v_min_u32_e32 v11, 32, v11
	v_subrev_u32_e32 v13, 28, v11
	v_lshlrev_b64 v[20:21], v13, v[44:45]
	v_lshrrev_b32_e32 v3, 3, v12
	v_sub_u32_e32 v11, 29, v11
	v_and_b32_e32 v13, 7, v20
	v_cmp_gt_u32_e64 s[8:9], 8, v12
	v_cndmask_b32_e64 v3, v3, v11, s[8:9]
	v_cndmask_b32_e64 v2, v2, v13, s[8:9]
	v_lshlrev_b32_e32 v11, 24, v44
	v_bfrev_b32_e32 v1, 60
	v_lshlrev_b32_e32 v2, 20, v2
	v_and_b32_e32 v11, 0x80000000, v11
	v_lshl_add_u32 v3, v3, 23, v1
	v_or3_b32 v11, v11, v3, v2
.LBB374_90:                             ;   in Loop: Header=BB374_13 Depth=1
	s_or_b64 exec, exec, s[36:37]
.LBB374_91:                             ;   in Loop: Header=BB374_13 Depth=1
	s_or_b64 exec, exec, s[34:35]
.LBB374_92:                             ;   in Loop: Header=BB374_13 Depth=1
	s_or_b64 exec, exec, s[30:31]
	v_mul_f32_e32 v11, v0, v11
	v_and_b32_e32 v2, 0x7f800000, v11
	v_cmp_ne_u32_e64 s[8:9], s41, v2
                                        ; implicit-def: $agpr49
	s_and_saveexec_b64 s[30:31], s[8:9]
	s_xor_b64 s[8:9], exec, s[30:31]
; %bb.93:                               ;   in Loop: Header=BB374_13 Depth=1
	v_bfe_u32 v2, v11, 16, 1
	v_add3_u32 v1, v11, v2, s42
	v_accvgpr_write_b32 a49, v1
                                        ; implicit-def: $vgpr11
; %bb.94:                               ;   in Loop: Header=BB374_13 Depth=1
	s_andn2_saveexec_b64 s[30:31], s[8:9]
; %bb.95:                               ;   in Loop: Header=BB374_13 Depth=1
	v_mov_b32_e32 v1, 0
	v_or_b32_e32 v2, 0x10000, v11
	v_cmp_eq_u32_sdwa s[8:9], v11, v1 src0_sel:WORD_0 src1_sel:DWORD
	v_cndmask_b32_e64 v1, v2, v11, s[8:9]
	v_accvgpr_write_b32 a49, v1
; %bb.96:                               ;   in Loop: Header=BB374_13 Depth=1
	s_or_b64 exec, exec, s[30:31]
	flat_load_dword v42, v[40:41] offset:512
	v_mov_b32_e32 v1, 0
	v_mov_b32_e32 v11, 0
	s_waitcnt vmcnt(0) lgkmcnt(0)
	v_cmp_ne_u16_sdwa s[8:9], v42, v1 src0_sel:BYTE_0 src1_sel:DWORD
	s_and_saveexec_b64 s[30:31], s[8:9]
	s_cbranch_execz .LBB374_102
; %bb.97:                               ;   in Loop: Header=BB374_13 Depth=1
	v_cmp_ne_u16_sdwa s[8:9], v42, s39 src0_sel:BYTE_0 src1_sel:DWORD
	v_bfrev_b32_e32 v11, 1
	s_and_saveexec_b64 s[34:35], s[8:9]
	s_cbranch_execz .LBB374_101
; %bb.98:                               ;   in Loop: Header=BB374_13 Depth=1
	v_and_b32_e32 v12, 0x7f, v42
	v_cmp_ne_u32_e64 s[8:9], s40, v12
	v_mov_b32_e32 v11, 0x7f800001
	s_and_saveexec_b64 s[36:37], s[8:9]
	s_cbranch_execz .LBB374_100
; %bb.99:                               ;   in Loop: Header=BB374_13 Depth=1
	v_and_b32_e32 v2, 7, v42
	v_ffbh_u32_e32 v11, v2
	v_min_u32_e32 v11, 32, v11
	v_subrev_u32_e32 v13, 28, v11
	v_lshlrev_b64 v[20:21], v13, v[42:43]
	v_lshrrev_b32_e32 v3, 3, v12
	v_sub_u32_e32 v11, 29, v11
	v_and_b32_e32 v13, 7, v20
	v_cmp_gt_u32_e64 s[8:9], 8, v12
	v_cndmask_b32_e64 v3, v3, v11, s[8:9]
	v_cndmask_b32_e64 v2, v2, v13, s[8:9]
	v_lshlrev_b32_e32 v11, 24, v42
	v_bfrev_b32_e32 v1, 60
	v_lshlrev_b32_e32 v2, 20, v2
	v_and_b32_e32 v11, 0x80000000, v11
	v_lshl_add_u32 v3, v3, 23, v1
	v_or3_b32 v11, v11, v3, v2
.LBB374_100:                            ;   in Loop: Header=BB374_13 Depth=1
	s_or_b64 exec, exec, s[36:37]
.LBB374_101:                            ;   in Loop: Header=BB374_13 Depth=1
	s_or_b64 exec, exec, s[34:35]
.LBB374_102:                            ;   in Loop: Header=BB374_13 Depth=1
	s_or_b64 exec, exec, s[30:31]
	v_mul_f32_e32 v11, v0, v11
	v_and_b32_e32 v2, 0x7f800000, v11
	v_cmp_ne_u32_e64 s[8:9], s41, v2
                                        ; implicit-def: $vgpr29
	s_and_saveexec_b64 s[30:31], s[8:9]
	s_xor_b64 s[8:9], exec, s[30:31]
; %bb.103:                              ;   in Loop: Header=BB374_13 Depth=1
	v_bfe_u32 v2, v11, 16, 1
	v_add3_u32 v29, v11, v2, s42
                                        ; implicit-def: $vgpr11
; %bb.104:                              ;   in Loop: Header=BB374_13 Depth=1
	s_andn2_saveexec_b64 s[30:31], s[8:9]
; %bb.105:                              ;   in Loop: Header=BB374_13 Depth=1
	v_mov_b32_e32 v1, 0
	v_or_b32_e32 v2, 0x10000, v11
	v_cmp_eq_u32_sdwa s[8:9], v11, v1 src0_sel:WORD_0 src1_sel:DWORD
	v_cndmask_b32_e64 v29, v2, v11, s[8:9]
; %bb.106:                              ;   in Loop: Header=BB374_13 Depth=1
	s_or_b64 exec, exec, s[30:31]
	v_lshrrev_b16_e32 v44, 8, v42
	v_cmp_ne_u16_e64 s[8:9], 0, v44
	v_mov_b32_e32 v11, 0
	s_and_saveexec_b64 s[30:31], s[8:9]
	s_cbranch_execz .LBB374_112
; %bb.107:                              ;   in Loop: Header=BB374_13 Depth=1
	v_cmp_ne_u16_e64 s[8:9], s39, v44
	v_bfrev_b32_e32 v11, 1
	s_and_saveexec_b64 s[34:35], s[8:9]
	s_cbranch_execz .LBB374_111
; %bb.108:                              ;   in Loop: Header=BB374_13 Depth=1
	v_and_b32_e32 v13, 0x7f, v44
	v_cmp_ne_u32_e64 s[8:9], s40, v13
	v_mov_b32_e32 v11, 0x7f800001
	s_and_saveexec_b64 s[36:37], s[8:9]
	s_cbranch_execz .LBB374_110
; %bb.109:                              ;   in Loop: Header=BB374_13 Depth=1
	v_and_b32_e32 v2, 7, v44
	v_ffbh_u32_e32 v11, v2
	v_min_u32_e32 v11, 32, v11
	v_subrev_u32_e32 v20, 28, v11
	v_lshlrev_b64 v[20:21], v20, v[44:45]
	v_lshrrev_b32_e32 v3, 3, v13
	v_sub_u32_e32 v11, 29, v11
	v_and_b32_e32 v20, 7, v20
	v_cmp_gt_u32_e64 s[8:9], 8, v13
	v_cndmask_b32_e64 v3, v3, v11, s[8:9]
	v_cndmask_b32_e64 v2, v2, v20, s[8:9]
	v_lshlrev_b32_e32 v11, 16, v42
	v_bfrev_b32_e32 v1, 60
	v_lshlrev_b32_e32 v2, 20, v2
	v_and_b32_e32 v11, 0x80000000, v11
	v_lshl_add_u32 v3, v3, 23, v1
	v_or3_b32 v11, v11, v3, v2
.LBB374_110:                            ;   in Loop: Header=BB374_13 Depth=1
	s_or_b64 exec, exec, s[36:37]
.LBB374_111:                            ;   in Loop: Header=BB374_13 Depth=1
	s_or_b64 exec, exec, s[34:35]
.LBB374_112:                            ;   in Loop: Header=BB374_13 Depth=1
	s_or_b64 exec, exec, s[30:31]
	v_mul_f32_e32 v11, v0, v11
	v_and_b32_e32 v2, 0x7f800000, v11
	v_cmp_ne_u32_e64 s[8:9], s41, v2
                                        ; implicit-def: $agpr50
	s_and_saveexec_b64 s[30:31], s[8:9]
	s_xor_b64 s[8:9], exec, s[30:31]
; %bb.113:                              ;   in Loop: Header=BB374_13 Depth=1
	v_bfe_u32 v2, v11, 16, 1
	v_add3_u32 v1, v11, v2, s42
	v_accvgpr_write_b32 a50, v1
                                        ; implicit-def: $vgpr11
; %bb.114:                              ;   in Loop: Header=BB374_13 Depth=1
	s_andn2_saveexec_b64 s[30:31], s[8:9]
; %bb.115:                              ;   in Loop: Header=BB374_13 Depth=1
	v_mov_b32_e32 v1, 0
	v_or_b32_e32 v2, 0x10000, v11
	v_cmp_eq_u32_sdwa s[8:9], v11, v1 src0_sel:WORD_0 src1_sel:DWORD
	v_cndmask_b32_e64 v1, v2, v11, s[8:9]
	v_accvgpr_write_b32 a50, v1
; %bb.116:                              ;   in Loop: Header=BB374_13 Depth=1
	s_or_b64 exec, exec, s[30:31]
	v_lshrrev_b32_e32 v44, 16, v42
	v_mov_b32_e32 v1, 0
	v_cmp_ne_u16_sdwa s[8:9], v44, v1 src0_sel:BYTE_0 src1_sel:DWORD
	v_mov_b32_e32 v11, 0
	s_and_saveexec_b64 s[30:31], s[8:9]
	s_cbranch_execz .LBB374_122
; %bb.117:                              ;   in Loop: Header=BB374_13 Depth=1
	v_cmp_ne_u16_sdwa s[8:9], v44, s39 src0_sel:BYTE_0 src1_sel:DWORD
	v_bfrev_b32_e32 v11, 1
	s_and_saveexec_b64 s[34:35], s[8:9]
	s_cbranch_execz .LBB374_121
; %bb.118:                              ;   in Loop: Header=BB374_13 Depth=1
	v_bfe_u32 v13, v42, 16, 7
	v_cmp_ne_u32_e64 s[8:9], s40, v13
	v_mov_b32_e32 v11, 0x7f800001
	s_and_saveexec_b64 s[36:37], s[8:9]
	s_cbranch_execz .LBB374_120
; %bb.119:                              ;   in Loop: Header=BB374_13 Depth=1
	v_and_b32_e32 v2, 7, v44
	v_ffbh_u32_e32 v11, v2
	v_min_u32_e32 v11, 32, v11
	v_subrev_u32_e32 v20, 28, v11
	v_lshlrev_b64 v[20:21], v20, v[44:45]
	v_lshrrev_b32_e32 v3, 3, v13
	v_sub_u32_e32 v11, 29, v11
	v_and_b32_e32 v20, 7, v20
	v_cmp_gt_u32_e64 s[8:9], 8, v13
	v_cndmask_b32_e64 v3, v3, v11, s[8:9]
	v_cndmask_b32_e64 v2, v2, v20, s[8:9]
	v_lshlrev_b32_e32 v11, 24, v44
	v_bfrev_b32_e32 v1, 60
	v_lshlrev_b32_e32 v2, 20, v2
	v_and_b32_e32 v11, 0x80000000, v11
	v_lshl_add_u32 v3, v3, 23, v1
	v_or3_b32 v11, v11, v3, v2
.LBB374_120:                            ;   in Loop: Header=BB374_13 Depth=1
	s_or_b64 exec, exec, s[36:37]
.LBB374_121:                            ;   in Loop: Header=BB374_13 Depth=1
	s_or_b64 exec, exec, s[34:35]
.LBB374_122:                            ;   in Loop: Header=BB374_13 Depth=1
	s_or_b64 exec, exec, s[30:31]
	v_mul_f32_e32 v11, v0, v11
	v_and_b32_e32 v2, 0x7f800000, v11
	v_cmp_ne_u32_e64 s[8:9], s41, v2
                                        ; implicit-def: $vgpr61
	s_and_saveexec_b64 s[30:31], s[8:9]
	s_xor_b64 s[8:9], exec, s[30:31]
; %bb.123:                              ;   in Loop: Header=BB374_13 Depth=1
	v_bfe_u32 v2, v11, 16, 1
	v_add3_u32 v61, v11, v2, s42
                                        ; implicit-def: $vgpr11
; %bb.124:                              ;   in Loop: Header=BB374_13 Depth=1
	s_andn2_saveexec_b64 s[30:31], s[8:9]
; %bb.125:                              ;   in Loop: Header=BB374_13 Depth=1
	v_mov_b32_e32 v1, 0
	v_or_b32_e32 v2, 0x10000, v11
	v_cmp_eq_u32_sdwa s[8:9], v11, v1 src0_sel:WORD_0 src1_sel:DWORD
	v_cndmask_b32_e64 v61, v2, v11, s[8:9]
; %bb.126:                              ;   in Loop: Header=BB374_13 Depth=1
	s_or_b64 exec, exec, s[30:31]
	v_cmp_lt_u32_e64 s[8:9], s43, v42
	v_mov_b32_e32 v11, 0
	s_and_saveexec_b64 s[30:31], s[8:9]
	s_cbranch_execz .LBB374_132
; %bb.127:                              ;   in Loop: Header=BB374_13 Depth=1
	v_lshrrev_b32_e32 v44, 24, v42
	v_cmp_ne_u32_e64 s[8:9], s39, v44
	v_bfrev_b32_e32 v11, 1
	s_and_saveexec_b64 s[34:35], s[8:9]
	s_cbranch_execz .LBB374_131
; %bb.128:                              ;   in Loop: Header=BB374_13 Depth=1
	v_bfe_u32 v13, v42, 24, 7
	v_cmp_ne_u32_e64 s[8:9], s40, v13
	v_mov_b32_e32 v11, 0x7f800001
	s_and_saveexec_b64 s[36:37], s[8:9]
	s_cbranch_execz .LBB374_130
; %bb.129:                              ;   in Loop: Header=BB374_13 Depth=1
	v_and_b32_e32 v2, 7, v44
	v_ffbh_u32_e32 v11, v2
	v_min_u32_e32 v11, 32, v11
	v_subrev_u32_e32 v20, 28, v11
	v_lshlrev_b64 v[20:21], v20, v[44:45]
	v_lshrrev_b32_e32 v3, 3, v13
	v_sub_u32_e32 v11, 29, v11
	v_and_b32_e32 v20, 7, v20
	v_cmp_gt_u32_e64 s[8:9], 8, v13
	v_cndmask_b32_e64 v3, v3, v11, s[8:9]
	v_cndmask_b32_e64 v2, v2, v20, s[8:9]
	v_lshlrev_b32_e32 v11, 24, v44
	v_bfrev_b32_e32 v1, 60
	v_lshlrev_b32_e32 v2, 20, v2
	v_and_b32_e32 v11, 0x80000000, v11
	v_lshl_add_u32 v3, v3, 23, v1
	v_or3_b32 v11, v11, v3, v2
.LBB374_130:                            ;   in Loop: Header=BB374_13 Depth=1
	s_or_b64 exec, exec, s[36:37]
.LBB374_131:                            ;   in Loop: Header=BB374_13 Depth=1
	s_or_b64 exec, exec, s[34:35]
.LBB374_132:                            ;   in Loop: Header=BB374_13 Depth=1
	s_or_b64 exec, exec, s[30:31]
	v_mul_f32_e32 v11, v0, v11
	v_and_b32_e32 v2, 0x7f800000, v11
	v_cmp_ne_u32_e64 s[8:9], s41, v2
                                        ; implicit-def: $agpr51
	s_and_saveexec_b64 s[30:31], s[8:9]
	s_xor_b64 s[8:9], exec, s[30:31]
; %bb.133:                              ;   in Loop: Header=BB374_13 Depth=1
	v_bfe_u32 v2, v11, 16, 1
	v_add3_u32 v1, v11, v2, s42
	v_accvgpr_write_b32 a51, v1
                                        ; implicit-def: $vgpr11
; %bb.134:                              ;   in Loop: Header=BB374_13 Depth=1
	s_andn2_saveexec_b64 s[30:31], s[8:9]
; %bb.135:                              ;   in Loop: Header=BB374_13 Depth=1
	v_mov_b32_e32 v1, 0
	v_or_b32_e32 v2, 0x10000, v11
	v_cmp_eq_u32_sdwa s[8:9], v11, v1 src0_sel:WORD_0 src1_sel:DWORD
	v_cndmask_b32_e64 v1, v2, v11, s[8:9]
	v_accvgpr_write_b32 a51, v1
; %bb.136:                              ;   in Loop: Header=BB374_13 Depth=1
	s_or_b64 exec, exec, s[30:31]
	flat_load_dword v42, v[40:41] offset:520
	v_mov_b32_e32 v1, 0
	v_mov_b32_e32 v11, 0
	s_waitcnt vmcnt(0) lgkmcnt(0)
	v_cmp_ne_u16_sdwa s[8:9], v42, v1 src0_sel:BYTE_0 src1_sel:DWORD
	s_and_saveexec_b64 s[30:31], s[8:9]
	s_cbranch_execz .LBB374_142
; %bb.137:                              ;   in Loop: Header=BB374_13 Depth=1
	v_cmp_ne_u16_sdwa s[8:9], v42, s39 src0_sel:BYTE_0 src1_sel:DWORD
	v_bfrev_b32_e32 v11, 1
	s_and_saveexec_b64 s[34:35], s[8:9]
	s_cbranch_execz .LBB374_141
; %bb.138:                              ;   in Loop: Header=BB374_13 Depth=1
	v_and_b32_e32 v13, 0x7f, v42
	v_cmp_ne_u32_e64 s[8:9], s40, v13
	v_mov_b32_e32 v11, 0x7f800001
	s_and_saveexec_b64 s[36:37], s[8:9]
	s_cbranch_execz .LBB374_140
; %bb.139:                              ;   in Loop: Header=BB374_13 Depth=1
	v_and_b32_e32 v2, 7, v42
	v_ffbh_u32_e32 v11, v2
	v_min_u32_e32 v11, 32, v11
	v_subrev_u32_e32 v20, 28, v11
	v_lshlrev_b64 v[20:21], v20, v[42:43]
	v_lshrrev_b32_e32 v3, 3, v13
	v_sub_u32_e32 v11, 29, v11
	v_and_b32_e32 v20, 7, v20
	v_cmp_gt_u32_e64 s[8:9], 8, v13
	v_cndmask_b32_e64 v3, v3, v11, s[8:9]
	v_cndmask_b32_e64 v2, v2, v20, s[8:9]
	v_lshlrev_b32_e32 v11, 24, v42
	v_bfrev_b32_e32 v1, 60
	v_lshlrev_b32_e32 v2, 20, v2
	v_and_b32_e32 v11, 0x80000000, v11
	v_lshl_add_u32 v3, v3, 23, v1
	v_or3_b32 v11, v11, v3, v2
.LBB374_140:                            ;   in Loop: Header=BB374_13 Depth=1
	s_or_b64 exec, exec, s[36:37]
.LBB374_141:                            ;   in Loop: Header=BB374_13 Depth=1
	s_or_b64 exec, exec, s[34:35]
.LBB374_142:                            ;   in Loop: Header=BB374_13 Depth=1
	s_or_b64 exec, exec, s[30:31]
	v_mul_f32_e32 v11, v0, v11
	v_and_b32_e32 v2, 0x7f800000, v11
	v_cmp_ne_u32_e64 s[8:9], s41, v2
                                        ; implicit-def: $agpr52
	s_and_saveexec_b64 s[30:31], s[8:9]
	s_xor_b64 s[8:9], exec, s[30:31]
; %bb.143:                              ;   in Loop: Header=BB374_13 Depth=1
	v_bfe_u32 v2, v11, 16, 1
	v_add3_u32 v1, v11, v2, s42
	v_accvgpr_write_b32 a52, v1
                                        ; implicit-def: $vgpr11
; %bb.144:                              ;   in Loop: Header=BB374_13 Depth=1
	s_andn2_saveexec_b64 s[30:31], s[8:9]
; %bb.145:                              ;   in Loop: Header=BB374_13 Depth=1
	v_mov_b32_e32 v1, 0
	v_or_b32_e32 v2, 0x10000, v11
	v_cmp_eq_u32_sdwa s[8:9], v11, v1 src0_sel:WORD_0 src1_sel:DWORD
	v_cndmask_b32_e64 v1, v2, v11, s[8:9]
	v_accvgpr_write_b32 a52, v1
; %bb.146:                              ;   in Loop: Header=BB374_13 Depth=1
	s_or_b64 exec, exec, s[30:31]
	v_lshrrev_b16_e32 v44, 8, v42
	v_cmp_ne_u16_e64 s[8:9], 0, v44
	v_mov_b32_e32 v11, 0
	s_and_saveexec_b64 s[30:31], s[8:9]
	s_cbranch_execz .LBB374_152
; %bb.147:                              ;   in Loop: Header=BB374_13 Depth=1
	v_cmp_ne_u16_e64 s[8:9], s39, v44
	v_bfrev_b32_e32 v11, 1
	s_and_saveexec_b64 s[34:35], s[8:9]
	s_cbranch_execz .LBB374_151
; %bb.148:                              ;   in Loop: Header=BB374_13 Depth=1
	v_and_b32_e32 v13, 0x7f, v44
	v_cmp_ne_u32_e64 s[8:9], s40, v13
	v_mov_b32_e32 v11, 0x7f800001
	s_and_saveexec_b64 s[36:37], s[8:9]
	s_cbranch_execz .LBB374_150
; %bb.149:                              ;   in Loop: Header=BB374_13 Depth=1
	v_and_b32_e32 v2, 7, v44
	v_ffbh_u32_e32 v11, v2
	v_min_u32_e32 v11, 32, v11
	v_lshrrev_b32_e32 v3, 3, v13
	v_cmp_gt_u32_e64 s[8:9], 8, v13
	v_subrev_u32_e32 v13, 28, v11
	v_lshlrev_b64 v[20:21], v13, v[44:45]
	v_sub_u32_e32 v11, 29, v11
	v_and_b32_e32 v13, 7, v20
	v_cndmask_b32_e64 v3, v3, v11, s[8:9]
	v_cndmask_b32_e64 v2, v2, v13, s[8:9]
	v_lshlrev_b32_e32 v11, 16, v42
	v_bfrev_b32_e32 v1, 60
	v_lshlrev_b32_e32 v2, 20, v2
	v_and_b32_e32 v11, 0x80000000, v11
	v_lshl_add_u32 v3, v3, 23, v1
	v_or3_b32 v11, v11, v3, v2
.LBB374_150:                            ;   in Loop: Header=BB374_13 Depth=1
	s_or_b64 exec, exec, s[36:37]
.LBB374_151:                            ;   in Loop: Header=BB374_13 Depth=1
	s_or_b64 exec, exec, s[34:35]
.LBB374_152:                            ;   in Loop: Header=BB374_13 Depth=1
	s_or_b64 exec, exec, s[30:31]
	v_mul_f32_e32 v11, v0, v11
	v_and_b32_e32 v2, 0x7f800000, v11
	v_cmp_ne_u32_e64 s[8:9], s41, v2
                                        ; implicit-def: $vgpr62
	s_and_saveexec_b64 s[30:31], s[8:9]
	s_xor_b64 s[8:9], exec, s[30:31]
; %bb.153:                              ;   in Loop: Header=BB374_13 Depth=1
	v_bfe_u32 v2, v11, 16, 1
	v_add3_u32 v62, v11, v2, s42
                                        ; implicit-def: $vgpr11
; %bb.154:                              ;   in Loop: Header=BB374_13 Depth=1
	s_andn2_saveexec_b64 s[30:31], s[8:9]
; %bb.155:                              ;   in Loop: Header=BB374_13 Depth=1
	v_mov_b32_e32 v1, 0
	v_or_b32_e32 v2, 0x10000, v11
	v_cmp_eq_u32_sdwa s[8:9], v11, v1 src0_sel:WORD_0 src1_sel:DWORD
	v_cndmask_b32_e64 v62, v2, v11, s[8:9]
; %bb.156:                              ;   in Loop: Header=BB374_13 Depth=1
	s_or_b64 exec, exec, s[30:31]
	v_lshrrev_b32_e32 v44, 16, v42
	v_mov_b32_e32 v1, 0
	v_cmp_ne_u16_sdwa s[8:9], v44, v1 src0_sel:BYTE_0 src1_sel:DWORD
	v_mov_b32_e32 v11, 0
	s_and_saveexec_b64 s[30:31], s[8:9]
	s_cbranch_execz .LBB374_162
; %bb.157:                              ;   in Loop: Header=BB374_13 Depth=1
	v_cmp_ne_u16_sdwa s[8:9], v44, s39 src0_sel:BYTE_0 src1_sel:DWORD
	v_bfrev_b32_e32 v11, 1
	s_and_saveexec_b64 s[34:35], s[8:9]
	s_cbranch_execz .LBB374_161
; %bb.158:                              ;   in Loop: Header=BB374_13 Depth=1
	v_bfe_u32 v13, v42, 16, 7
	v_cmp_ne_u32_e64 s[8:9], s40, v13
	v_mov_b32_e32 v11, 0x7f800001
	s_and_saveexec_b64 s[36:37], s[8:9]
	s_cbranch_execz .LBB374_160
; %bb.159:                              ;   in Loop: Header=BB374_13 Depth=1
	v_and_b32_e32 v2, 7, v44
	v_ffbh_u32_e32 v11, v2
	v_min_u32_e32 v11, 32, v11
	v_subrev_u32_e32 v20, 28, v11
	v_lshlrev_b64 v[20:21], v20, v[44:45]
	v_lshrrev_b32_e32 v3, 3, v13
	v_sub_u32_e32 v11, 29, v11
	v_and_b32_e32 v20, 7, v20
	v_cmp_gt_u32_e64 s[8:9], 8, v13
	v_cndmask_b32_e64 v3, v3, v11, s[8:9]
	v_cndmask_b32_e64 v2, v2, v20, s[8:9]
	v_lshlrev_b32_e32 v11, 24, v44
	v_bfrev_b32_e32 v1, 60
	v_lshlrev_b32_e32 v2, 20, v2
	v_and_b32_e32 v11, 0x80000000, v11
	v_lshl_add_u32 v3, v3, 23, v1
	v_or3_b32 v11, v11, v3, v2
.LBB374_160:                            ;   in Loop: Header=BB374_13 Depth=1
	s_or_b64 exec, exec, s[36:37]
.LBB374_161:                            ;   in Loop: Header=BB374_13 Depth=1
	s_or_b64 exec, exec, s[34:35]
.LBB374_162:                            ;   in Loop: Header=BB374_13 Depth=1
	s_or_b64 exec, exec, s[30:31]
	v_mul_f32_e32 v11, v0, v11
	v_and_b32_e32 v2, 0x7f800000, v11
	v_cmp_ne_u32_e64 s[8:9], s41, v2
                                        ; implicit-def: $vgpr13
	s_and_saveexec_b64 s[30:31], s[8:9]
	s_xor_b64 s[8:9], exec, s[30:31]
; %bb.163:                              ;   in Loop: Header=BB374_13 Depth=1
	v_bfe_u32 v2, v11, 16, 1
	v_add3_u32 v13, v11, v2, s42
                                        ; implicit-def: $vgpr11
; %bb.164:                              ;   in Loop: Header=BB374_13 Depth=1
	s_andn2_saveexec_b64 s[30:31], s[8:9]
; %bb.165:                              ;   in Loop: Header=BB374_13 Depth=1
	v_mov_b32_e32 v1, 0
	v_or_b32_e32 v2, 0x10000, v11
	v_cmp_eq_u32_sdwa s[8:9], v11, v1 src0_sel:WORD_0 src1_sel:DWORD
	v_cndmask_b32_e64 v13, v2, v11, s[8:9]
; %bb.166:                              ;   in Loop: Header=BB374_13 Depth=1
	s_or_b64 exec, exec, s[30:31]
	v_cmp_lt_u32_e64 s[8:9], s43, v42
	v_mov_b32_e32 v11, 0
	s_and_saveexec_b64 s[30:31], s[8:9]
	s_cbranch_execz .LBB374_172
; %bb.167:                              ;   in Loop: Header=BB374_13 Depth=1
	v_lshrrev_b32_e32 v44, 24, v42
	v_cmp_ne_u32_e64 s[8:9], s39, v44
	v_bfrev_b32_e32 v11, 1
	s_and_saveexec_b64 s[34:35], s[8:9]
	s_cbranch_execz .LBB374_171
; %bb.168:                              ;   in Loop: Header=BB374_13 Depth=1
	v_bfe_u32 v20, v42, 24, 7
	v_cmp_ne_u32_e64 s[8:9], s40, v20
	v_mov_b32_e32 v11, 0x7f800001
	s_and_saveexec_b64 s[36:37], s[8:9]
	s_cbranch_execz .LBB374_170
; %bb.169:                              ;   in Loop: Header=BB374_13 Depth=1
	v_and_b32_e32 v2, 7, v44
	v_ffbh_u32_e32 v11, v2
	v_min_u32_e32 v11, 32, v11
	v_subrev_u32_e32 v21, 28, v11
	v_lshlrev_b64 v[24:25], v21, v[44:45]
	v_lshrrev_b32_e32 v3, 3, v20
	v_sub_u32_e32 v11, 29, v11
	v_and_b32_e32 v21, 7, v24
	v_cmp_gt_u32_e64 s[8:9], 8, v20
	v_cndmask_b32_e64 v3, v3, v11, s[8:9]
	v_cndmask_b32_e64 v2, v2, v21, s[8:9]
	v_lshlrev_b32_e32 v11, 24, v44
	v_bfrev_b32_e32 v1, 60
	v_lshlrev_b32_e32 v2, 20, v2
	v_and_b32_e32 v11, 0x80000000, v11
	v_lshl_add_u32 v3, v3, 23, v1
	v_or3_b32 v11, v11, v3, v2
.LBB374_170:                            ;   in Loop: Header=BB374_13 Depth=1
	s_or_b64 exec, exec, s[36:37]
.LBB374_171:                            ;   in Loop: Header=BB374_13 Depth=1
	s_or_b64 exec, exec, s[34:35]
.LBB374_172:                            ;   in Loop: Header=BB374_13 Depth=1
	s_or_b64 exec, exec, s[30:31]
	v_mul_f32_e32 v11, v0, v11
	v_and_b32_e32 v2, 0x7f800000, v11
	v_cmp_ne_u32_e64 s[8:9], s41, v2
                                        ; implicit-def: $vgpr47
	s_and_saveexec_b64 s[30:31], s[8:9]
	s_xor_b64 s[8:9], exec, s[30:31]
; %bb.173:                              ;   in Loop: Header=BB374_13 Depth=1
	v_bfe_u32 v2, v11, 16, 1
	v_add3_u32 v47, v11, v2, s42
                                        ; implicit-def: $vgpr11
; %bb.174:                              ;   in Loop: Header=BB374_13 Depth=1
	s_andn2_saveexec_b64 s[30:31], s[8:9]
; %bb.175:                              ;   in Loop: Header=BB374_13 Depth=1
	v_mov_b32_e32 v1, 0
	v_or_b32_e32 v2, 0x10000, v11
	v_cmp_eq_u32_sdwa s[8:9], v11, v1 src0_sel:WORD_0 src1_sel:DWORD
	v_cndmask_b32_e64 v47, v2, v11, s[8:9]
; %bb.176:                              ;   in Loop: Header=BB374_13 Depth=1
	s_or_b64 exec, exec, s[30:31]
	flat_load_dword v42, v[40:41] offset:1024
	v_mov_b32_e32 v1, 0
	v_mov_b32_e32 v11, 0
	s_waitcnt vmcnt(0) lgkmcnt(0)
	v_cmp_ne_u16_sdwa s[8:9], v42, v1 src0_sel:BYTE_0 src1_sel:DWORD
	s_and_saveexec_b64 s[30:31], s[8:9]
	s_cbranch_execz .LBB374_182
; %bb.177:                              ;   in Loop: Header=BB374_13 Depth=1
	v_cmp_ne_u16_sdwa s[8:9], v42, s39 src0_sel:BYTE_0 src1_sel:DWORD
	v_bfrev_b32_e32 v11, 1
	s_and_saveexec_b64 s[34:35], s[8:9]
	s_cbranch_execz .LBB374_181
; %bb.178:                              ;   in Loop: Header=BB374_13 Depth=1
	v_and_b32_e32 v20, 0x7f, v42
	v_cmp_ne_u32_e64 s[8:9], s40, v20
	v_mov_b32_e32 v11, 0x7f800001
	s_and_saveexec_b64 s[36:37], s[8:9]
	s_cbranch_execz .LBB374_180
; %bb.179:                              ;   in Loop: Header=BB374_13 Depth=1
	v_and_b32_e32 v2, 7, v42
	v_ffbh_u32_e32 v11, v2
	v_min_u32_e32 v11, 32, v11
	v_subrev_u32_e32 v21, 28, v11
	v_lshlrev_b64 v[24:25], v21, v[42:43]
	v_lshrrev_b32_e32 v3, 3, v20
	v_sub_u32_e32 v11, 29, v11
	v_and_b32_e32 v21, 7, v24
	v_cmp_gt_u32_e64 s[8:9], 8, v20
	v_cndmask_b32_e64 v3, v3, v11, s[8:9]
	v_cndmask_b32_e64 v2, v2, v21, s[8:9]
	v_lshlrev_b32_e32 v11, 24, v42
	v_bfrev_b32_e32 v1, 60
	v_lshlrev_b32_e32 v2, 20, v2
	v_and_b32_e32 v11, 0x80000000, v11
	v_lshl_add_u32 v3, v3, 23, v1
	v_or3_b32 v11, v11, v3, v2
.LBB374_180:                            ;   in Loop: Header=BB374_13 Depth=1
	s_or_b64 exec, exec, s[36:37]
.LBB374_181:                            ;   in Loop: Header=BB374_13 Depth=1
	s_or_b64 exec, exec, s[34:35]
.LBB374_182:                            ;   in Loop: Header=BB374_13 Depth=1
	s_or_b64 exec, exec, s[30:31]
	v_mul_f32_e32 v11, v0, v11
	v_and_b32_e32 v2, 0x7f800000, v11
	v_cmp_ne_u32_e64 s[8:9], s41, v2
                                        ; implicit-def: $vgpr45
	s_and_saveexec_b64 s[30:31], s[8:9]
	s_xor_b64 s[8:9], exec, s[30:31]
; %bb.183:                              ;   in Loop: Header=BB374_13 Depth=1
	v_bfe_u32 v2, v11, 16, 1
	v_add3_u32 v45, v11, v2, s42
                                        ; implicit-def: $vgpr11
; %bb.184:                              ;   in Loop: Header=BB374_13 Depth=1
	s_andn2_saveexec_b64 s[30:31], s[8:9]
; %bb.185:                              ;   in Loop: Header=BB374_13 Depth=1
	v_mov_b32_e32 v1, 0
	v_or_b32_e32 v2, 0x10000, v11
	v_cmp_eq_u32_sdwa s[8:9], v11, v1 src0_sel:WORD_0 src1_sel:DWORD
	v_cndmask_b32_e64 v45, v2, v11, s[8:9]
; %bb.186:                              ;   in Loop: Header=BB374_13 Depth=1
	s_or_b64 exec, exec, s[30:31]
	v_lshrrev_b16_e32 v44, 8, v42
	v_cmp_ne_u16_e64 s[8:9], 0, v44
	v_mov_b32_e32 v11, 0
	s_and_saveexec_b64 s[30:31], s[8:9]
	s_cbranch_execz .LBB374_192
; %bb.187:                              ;   in Loop: Header=BB374_13 Depth=1
	v_cmp_ne_u16_e64 s[8:9], s39, v44
	v_bfrev_b32_e32 v11, 1
	s_and_saveexec_b64 s[34:35], s[8:9]
	s_cbranch_execz .LBB374_191
; %bb.188:                              ;   in Loop: Header=BB374_13 Depth=1
	v_and_b32_e32 v20, 0x7f, v44
	v_cmp_ne_u32_e64 s[8:9], s40, v20
	v_mov_b32_e32 v11, 0x7f800001
	s_and_saveexec_b64 s[36:37], s[8:9]
	s_cbranch_execz .LBB374_190
; %bb.189:                              ;   in Loop: Header=BB374_13 Depth=1
	v_and_b32_e32 v2, 7, v44
	v_ffbh_u32_e32 v11, v2
	v_min_u32_e32 v11, 32, v11
	v_subrev_u32_e32 v21, 28, v11
	v_lshlrev_b64 v[24:25], v21, v[44:45]
	v_lshrrev_b32_e32 v3, 3, v20
	v_sub_u32_e32 v11, 29, v11
	v_and_b32_e32 v21, 7, v24
	v_cmp_gt_u32_e64 s[8:9], 8, v20
	v_cndmask_b32_e64 v3, v3, v11, s[8:9]
	v_cndmask_b32_e64 v2, v2, v21, s[8:9]
	v_lshlrev_b32_e32 v11, 16, v42
	v_bfrev_b32_e32 v1, 60
	v_lshlrev_b32_e32 v2, 20, v2
	v_and_b32_e32 v11, 0x80000000, v11
	v_lshl_add_u32 v3, v3, 23, v1
	v_or3_b32 v11, v11, v3, v2
.LBB374_190:                            ;   in Loop: Header=BB374_13 Depth=1
	s_or_b64 exec, exec, s[36:37]
.LBB374_191:                            ;   in Loop: Header=BB374_13 Depth=1
	s_or_b64 exec, exec, s[34:35]
.LBB374_192:                            ;   in Loop: Header=BB374_13 Depth=1
	s_or_b64 exec, exec, s[30:31]
	v_mul_f32_e32 v11, v0, v11
	v_and_b32_e32 v2, 0x7f800000, v11
	v_cmp_ne_u32_e64 s[8:9], s41, v2
                                        ; implicit-def: $vgpr46
	s_and_saveexec_b64 s[30:31], s[8:9]
	s_xor_b64 s[8:9], exec, s[30:31]
; %bb.193:                              ;   in Loop: Header=BB374_13 Depth=1
	v_bfe_u32 v2, v11, 16, 1
	v_add3_u32 v46, v11, v2, s42
                                        ; implicit-def: $vgpr11
; %bb.194:                              ;   in Loop: Header=BB374_13 Depth=1
	s_andn2_saveexec_b64 s[30:31], s[8:9]
; %bb.195:                              ;   in Loop: Header=BB374_13 Depth=1
	v_mov_b32_e32 v1, 0
	v_or_b32_e32 v2, 0x10000, v11
	v_cmp_eq_u32_sdwa s[8:9], v11, v1 src0_sel:WORD_0 src1_sel:DWORD
	v_cndmask_b32_e64 v46, v2, v11, s[8:9]
; %bb.196:                              ;   in Loop: Header=BB374_13 Depth=1
	s_or_b64 exec, exec, s[30:31]
	v_lshrrev_b32_e32 v44, 16, v42
	v_mov_b32_e32 v1, 0
	v_cmp_ne_u16_sdwa s[8:9], v44, v1 src0_sel:BYTE_0 src1_sel:DWORD
	v_mov_b32_e32 v11, 0
	s_and_saveexec_b64 s[30:31], s[8:9]
	s_cbranch_execz .LBB374_202
; %bb.197:                              ;   in Loop: Header=BB374_13 Depth=1
	v_cmp_ne_u16_sdwa s[8:9], v44, s39 src0_sel:BYTE_0 src1_sel:DWORD
	v_bfrev_b32_e32 v11, 1
	s_and_saveexec_b64 s[34:35], s[8:9]
	s_cbranch_execz .LBB374_201
; %bb.198:                              ;   in Loop: Header=BB374_13 Depth=1
	v_bfe_u32 v20, v42, 16, 7
	v_cmp_ne_u32_e64 s[8:9], s40, v20
	v_mov_b32_e32 v11, 0x7f800001
	s_and_saveexec_b64 s[36:37], s[8:9]
	s_cbranch_execz .LBB374_200
; %bb.199:                              ;   in Loop: Header=BB374_13 Depth=1
	v_and_b32_e32 v2, 7, v44
	v_ffbh_u32_e32 v11, v2
	v_min_u32_e32 v11, 32, v11
	v_subrev_u32_e32 v21, 28, v11
	v_lshlrev_b64 v[24:25], v21, v[44:45]
	v_lshrrev_b32_e32 v3, 3, v20
	v_sub_u32_e32 v11, 29, v11
	v_and_b32_e32 v21, 7, v24
	v_cmp_gt_u32_e64 s[8:9], 8, v20
	v_cndmask_b32_e64 v3, v3, v11, s[8:9]
	v_cndmask_b32_e64 v2, v2, v21, s[8:9]
	v_lshlrev_b32_e32 v11, 24, v44
	v_bfrev_b32_e32 v1, 60
	v_lshlrev_b32_e32 v2, 20, v2
	v_and_b32_e32 v11, 0x80000000, v11
	v_lshl_add_u32 v3, v3, 23, v1
	v_or3_b32 v11, v11, v3, v2
.LBB374_200:                            ;   in Loop: Header=BB374_13 Depth=1
	s_or_b64 exec, exec, s[36:37]
.LBB374_201:                            ;   in Loop: Header=BB374_13 Depth=1
	s_or_b64 exec, exec, s[34:35]
.LBB374_202:                            ;   in Loop: Header=BB374_13 Depth=1
	s_or_b64 exec, exec, s[30:31]
	v_mul_f32_e32 v11, v0, v11
	v_and_b32_e32 v2, 0x7f800000, v11
	v_cmp_ne_u32_e64 s[8:9], s41, v2
                                        ; implicit-def: $vgpr21
	s_and_saveexec_b64 s[30:31], s[8:9]
	s_xor_b64 s[8:9], exec, s[30:31]
; %bb.203:                              ;   in Loop: Header=BB374_13 Depth=1
	v_bfe_u32 v2, v11, 16, 1
	v_add3_u32 v21, v11, v2, s42
                                        ; implicit-def: $vgpr11
; %bb.204:                              ;   in Loop: Header=BB374_13 Depth=1
	s_andn2_saveexec_b64 s[30:31], s[8:9]
; %bb.205:                              ;   in Loop: Header=BB374_13 Depth=1
	v_mov_b32_e32 v1, 0
	v_or_b32_e32 v2, 0x10000, v11
	v_cmp_eq_u32_sdwa s[8:9], v11, v1 src0_sel:WORD_0 src1_sel:DWORD
	v_cndmask_b32_e64 v21, v2, v11, s[8:9]
; %bb.206:                              ;   in Loop: Header=BB374_13 Depth=1
	s_or_b64 exec, exec, s[30:31]
	v_cmp_lt_u32_e64 s[8:9], s43, v42
	v_mov_b32_e32 v11, 0
	s_and_saveexec_b64 s[30:31], s[8:9]
	s_cbranch_execz .LBB374_212
; %bb.207:                              ;   in Loop: Header=BB374_13 Depth=1
	v_lshrrev_b32_e32 v44, 24, v42
	v_cmp_ne_u32_e64 s[8:9], s39, v44
	v_bfrev_b32_e32 v11, 1
	s_and_saveexec_b64 s[34:35], s[8:9]
	s_cbranch_execz .LBB374_211
; %bb.208:                              ;   in Loop: Header=BB374_13 Depth=1
	v_bfe_u32 v20, v42, 24, 7
	v_cmp_ne_u32_e64 s[8:9], s40, v20
	v_mov_b32_e32 v11, 0x7f800001
	s_and_saveexec_b64 s[36:37], s[8:9]
	s_cbranch_execz .LBB374_210
; %bb.209:                              ;   in Loop: Header=BB374_13 Depth=1
	v_and_b32_e32 v2, 7, v44
	v_ffbh_u32_e32 v11, v2
	v_min_u32_e32 v11, 32, v11
	v_subrev_u32_e32 v22, 28, v11
	v_lshlrev_b64 v[24:25], v22, v[44:45]
	v_lshrrev_b32_e32 v3, 3, v20
	v_sub_u32_e32 v11, 29, v11
	v_and_b32_e32 v22, 7, v24
	v_cmp_gt_u32_e64 s[8:9], 8, v20
	v_cndmask_b32_e64 v3, v3, v11, s[8:9]
	v_cndmask_b32_e64 v2, v2, v22, s[8:9]
	v_lshlrev_b32_e32 v11, 24, v44
	v_bfrev_b32_e32 v1, 60
	v_lshlrev_b32_e32 v2, 20, v2
	v_and_b32_e32 v11, 0x80000000, v11
	v_lshl_add_u32 v3, v3, 23, v1
	v_or3_b32 v11, v11, v3, v2
.LBB374_210:                            ;   in Loop: Header=BB374_13 Depth=1
	s_or_b64 exec, exec, s[36:37]
.LBB374_211:                            ;   in Loop: Header=BB374_13 Depth=1
	s_or_b64 exec, exec, s[34:35]
.LBB374_212:                            ;   in Loop: Header=BB374_13 Depth=1
	s_or_b64 exec, exec, s[30:31]
	v_mul_f32_e32 v11, v0, v11
	v_and_b32_e32 v2, 0x7f800000, v11
	v_cmp_ne_u32_e64 s[8:9], s41, v2
                                        ; implicit-def: $vgpr52
	s_and_saveexec_b64 s[30:31], s[8:9]
	s_xor_b64 s[8:9], exec, s[30:31]
; %bb.213:                              ;   in Loop: Header=BB374_13 Depth=1
	v_bfe_u32 v2, v11, 16, 1
	v_add3_u32 v52, v11, v2, s42
                                        ; implicit-def: $vgpr11
; %bb.214:                              ;   in Loop: Header=BB374_13 Depth=1
	s_andn2_saveexec_b64 s[30:31], s[8:9]
; %bb.215:                              ;   in Loop: Header=BB374_13 Depth=1
	v_mov_b32_e32 v1, 0
	v_or_b32_e32 v2, 0x10000, v11
	v_cmp_eq_u32_sdwa s[8:9], v11, v1 src0_sel:WORD_0 src1_sel:DWORD
	v_cndmask_b32_e64 v52, v2, v11, s[8:9]
; %bb.216:                              ;   in Loop: Header=BB374_13 Depth=1
	s_or_b64 exec, exec, s[30:31]
	flat_load_dword v42, v[40:41] offset:1032
	v_mov_b32_e32 v1, 0
	v_mov_b32_e32 v11, 0
	s_waitcnt vmcnt(0) lgkmcnt(0)
	v_cmp_ne_u16_sdwa s[8:9], v42, v1 src0_sel:BYTE_0 src1_sel:DWORD
	s_and_saveexec_b64 s[30:31], s[8:9]
	s_cbranch_execz .LBB374_222
; %bb.217:                              ;   in Loop: Header=BB374_13 Depth=1
	v_cmp_ne_u16_sdwa s[8:9], v42, s39 src0_sel:BYTE_0 src1_sel:DWORD
	v_bfrev_b32_e32 v11, 1
	s_and_saveexec_b64 s[34:35], s[8:9]
	s_cbranch_execz .LBB374_221
; %bb.218:                              ;   in Loop: Header=BB374_13 Depth=1
	v_and_b32_e32 v20, 0x7f, v42
	v_cmp_ne_u32_e64 s[8:9], s40, v20
	v_mov_b32_e32 v11, 0x7f800001
	s_and_saveexec_b64 s[36:37], s[8:9]
	s_cbranch_execz .LBB374_220
; %bb.219:                              ;   in Loop: Header=BB374_13 Depth=1
	v_and_b32_e32 v2, 7, v42
	v_ffbh_u32_e32 v11, v2
	v_min_u32_e32 v11, 32, v11
	v_subrev_u32_e32 v22, 28, v11
	v_lshlrev_b64 v[24:25], v22, v[42:43]
	v_lshrrev_b32_e32 v3, 3, v20
	v_sub_u32_e32 v11, 29, v11
	v_and_b32_e32 v22, 7, v24
	v_cmp_gt_u32_e64 s[8:9], 8, v20
	v_cndmask_b32_e64 v3, v3, v11, s[8:9]
	v_cndmask_b32_e64 v2, v2, v22, s[8:9]
	v_lshlrev_b32_e32 v11, 24, v42
	v_bfrev_b32_e32 v1, 60
	v_lshlrev_b32_e32 v2, 20, v2
	v_and_b32_e32 v11, 0x80000000, v11
	v_lshl_add_u32 v3, v3, 23, v1
	v_or3_b32 v11, v11, v3, v2
.LBB374_220:                            ;   in Loop: Header=BB374_13 Depth=1
	s_or_b64 exec, exec, s[36:37]
.LBB374_221:                            ;   in Loop: Header=BB374_13 Depth=1
	s_or_b64 exec, exec, s[34:35]
.LBB374_222:                            ;   in Loop: Header=BB374_13 Depth=1
	s_or_b64 exec, exec, s[30:31]
	v_mul_f32_e32 v11, v0, v11
	v_and_b32_e32 v2, 0x7f800000, v11
	v_cmp_ne_u32_e64 s[8:9], s41, v2
                                        ; implicit-def: $vgpr50
	s_and_saveexec_b64 s[30:31], s[8:9]
	s_xor_b64 s[8:9], exec, s[30:31]
; %bb.223:                              ;   in Loop: Header=BB374_13 Depth=1
	v_bfe_u32 v2, v11, 16, 1
	v_add3_u32 v50, v11, v2, s42
                                        ; implicit-def: $vgpr11
; %bb.224:                              ;   in Loop: Header=BB374_13 Depth=1
	s_andn2_saveexec_b64 s[30:31], s[8:9]
; %bb.225:                              ;   in Loop: Header=BB374_13 Depth=1
	v_mov_b32_e32 v1, 0
	v_or_b32_e32 v2, 0x10000, v11
	v_cmp_eq_u32_sdwa s[8:9], v11, v1 src0_sel:WORD_0 src1_sel:DWORD
	v_cndmask_b32_e64 v50, v2, v11, s[8:9]
; %bb.226:                              ;   in Loop: Header=BB374_13 Depth=1
	s_or_b64 exec, exec, s[30:31]
	v_lshrrev_b16_e32 v44, 8, v42
	v_cmp_ne_u16_e64 s[8:9], 0, v44
	v_mov_b32_e32 v11, 0
	s_and_saveexec_b64 s[30:31], s[8:9]
	s_cbranch_execz .LBB374_232
; %bb.227:                              ;   in Loop: Header=BB374_13 Depth=1
	v_cmp_ne_u16_e64 s[8:9], s39, v44
	v_bfrev_b32_e32 v11, 1
	s_and_saveexec_b64 s[34:35], s[8:9]
	s_cbranch_execz .LBB374_231
; %bb.228:                              ;   in Loop: Header=BB374_13 Depth=1
	v_and_b32_e32 v20, 0x7f, v44
	v_cmp_ne_u32_e64 s[8:9], s40, v20
	v_mov_b32_e32 v11, 0x7f800001
	s_and_saveexec_b64 s[36:37], s[8:9]
	s_cbranch_execz .LBB374_230
; %bb.229:                              ;   in Loop: Header=BB374_13 Depth=1
	v_and_b32_e32 v2, 7, v44
	v_ffbh_u32_e32 v11, v2
	v_min_u32_e32 v11, 32, v11
	v_subrev_u32_e32 v22, 28, v11
	v_lshlrev_b64 v[24:25], v22, v[44:45]
	v_lshrrev_b32_e32 v3, 3, v20
	v_sub_u32_e32 v11, 29, v11
	v_and_b32_e32 v22, 7, v24
	v_cmp_gt_u32_e64 s[8:9], 8, v20
	v_cndmask_b32_e64 v3, v3, v11, s[8:9]
	v_cndmask_b32_e64 v2, v2, v22, s[8:9]
	v_lshlrev_b32_e32 v11, 16, v42
	v_bfrev_b32_e32 v1, 60
	v_lshlrev_b32_e32 v2, 20, v2
	v_and_b32_e32 v11, 0x80000000, v11
	v_lshl_add_u32 v3, v3, 23, v1
	v_or3_b32 v11, v11, v3, v2
.LBB374_230:                            ;   in Loop: Header=BB374_13 Depth=1
	s_or_b64 exec, exec, s[36:37]
.LBB374_231:                            ;   in Loop: Header=BB374_13 Depth=1
	s_or_b64 exec, exec, s[34:35]
.LBB374_232:                            ;   in Loop: Header=BB374_13 Depth=1
	s_or_b64 exec, exec, s[30:31]
	v_mul_f32_e32 v11, v0, v11
	v_and_b32_e32 v2, 0x7f800000, v11
	v_cmp_ne_u32_e64 s[8:9], s41, v2
                                        ; implicit-def: $vgpr51
	s_and_saveexec_b64 s[30:31], s[8:9]
	s_xor_b64 s[8:9], exec, s[30:31]
; %bb.233:                              ;   in Loop: Header=BB374_13 Depth=1
	v_bfe_u32 v2, v11, 16, 1
	v_add3_u32 v51, v11, v2, s42
                                        ; implicit-def: $vgpr11
; %bb.234:                              ;   in Loop: Header=BB374_13 Depth=1
	s_andn2_saveexec_b64 s[30:31], s[8:9]
; %bb.235:                              ;   in Loop: Header=BB374_13 Depth=1
	v_mov_b32_e32 v1, 0
	v_or_b32_e32 v2, 0x10000, v11
	v_cmp_eq_u32_sdwa s[8:9], v11, v1 src0_sel:WORD_0 src1_sel:DWORD
	v_cndmask_b32_e64 v51, v2, v11, s[8:9]
; %bb.236:                              ;   in Loop: Header=BB374_13 Depth=1
	s_or_b64 exec, exec, s[30:31]
	v_lshrrev_b32_e32 v44, 16, v42
	v_mov_b32_e32 v1, 0
	v_cmp_ne_u16_sdwa s[8:9], v44, v1 src0_sel:BYTE_0 src1_sel:DWORD
	v_mov_b32_e32 v11, 0
	s_and_saveexec_b64 s[30:31], s[8:9]
	s_cbranch_execz .LBB374_242
; %bb.237:                              ;   in Loop: Header=BB374_13 Depth=1
	v_cmp_ne_u16_sdwa s[8:9], v44, s39 src0_sel:BYTE_0 src1_sel:DWORD
	v_bfrev_b32_e32 v11, 1
	s_and_saveexec_b64 s[34:35], s[8:9]
	s_cbranch_execz .LBB374_241
; %bb.238:                              ;   in Loop: Header=BB374_13 Depth=1
	v_bfe_u32 v20, v42, 16, 7
	v_cmp_ne_u32_e64 s[8:9], s40, v20
	v_mov_b32_e32 v11, 0x7f800001
	s_and_saveexec_b64 s[36:37], s[8:9]
	s_cbranch_execz .LBB374_240
; %bb.239:                              ;   in Loop: Header=BB374_13 Depth=1
	v_and_b32_e32 v2, 7, v44
	v_ffbh_u32_e32 v11, v2
	v_min_u32_e32 v11, 32, v11
	v_subrev_u32_e32 v22, 28, v11
	v_lshlrev_b64 v[24:25], v22, v[44:45]
	v_lshrrev_b32_e32 v3, 3, v20
	v_sub_u32_e32 v11, 29, v11
	v_and_b32_e32 v22, 7, v24
	v_cmp_gt_u32_e64 s[8:9], 8, v20
	v_cndmask_b32_e64 v3, v3, v11, s[8:9]
	v_cndmask_b32_e64 v2, v2, v22, s[8:9]
	v_lshlrev_b32_e32 v11, 24, v44
	v_bfrev_b32_e32 v1, 60
	v_lshlrev_b32_e32 v2, 20, v2
	v_and_b32_e32 v11, 0x80000000, v11
	v_lshl_add_u32 v3, v3, 23, v1
	v_or3_b32 v11, v11, v3, v2
.LBB374_240:                            ;   in Loop: Header=BB374_13 Depth=1
	s_or_b64 exec, exec, s[36:37]
.LBB374_241:                            ;   in Loop: Header=BB374_13 Depth=1
	s_or_b64 exec, exec, s[34:35]
.LBB374_242:                            ;   in Loop: Header=BB374_13 Depth=1
	s_or_b64 exec, exec, s[30:31]
	v_mul_f32_e32 v20, v0, v11
	v_and_b32_e32 v2, 0x7f800000, v20
	v_cmp_ne_u32_e64 s[8:9], s41, v2
                                        ; implicit-def: $vgpr11
	s_and_saveexec_b64 s[30:31], s[8:9]
	s_xor_b64 s[8:9], exec, s[30:31]
; %bb.243:                              ;   in Loop: Header=BB374_13 Depth=1
	v_bfe_u32 v2, v20, 16, 1
	v_add3_u32 v11, v20, v2, s42
                                        ; implicit-def: $vgpr20
; %bb.244:                              ;   in Loop: Header=BB374_13 Depth=1
	s_andn2_saveexec_b64 s[30:31], s[8:9]
; %bb.245:                              ;   in Loop: Header=BB374_13 Depth=1
	v_mov_b32_e32 v1, 0
	v_or_b32_e32 v2, 0x10000, v20
	v_cmp_eq_u32_sdwa s[8:9], v20, v1 src0_sel:WORD_0 src1_sel:DWORD
	v_cndmask_b32_e64 v11, v2, v20, s[8:9]
; %bb.246:                              ;   in Loop: Header=BB374_13 Depth=1
	s_or_b64 exec, exec, s[30:31]
	v_cmp_lt_u32_e64 s[8:9], s43, v42
	v_mov_b32_e32 v20, 0
	s_and_saveexec_b64 s[30:31], s[8:9]
	s_cbranch_execz .LBB374_252
; %bb.247:                              ;   in Loop: Header=BB374_13 Depth=1
	v_lshrrev_b32_e32 v44, 24, v42
	v_cmp_ne_u32_e64 s[8:9], s39, v44
	v_bfrev_b32_e32 v20, 1
	s_and_saveexec_b64 s[34:35], s[8:9]
	s_cbranch_execz .LBB374_251
; %bb.248:                              ;   in Loop: Header=BB374_13 Depth=1
	v_bfe_u32 v22, v42, 24, 7
	v_cmp_ne_u32_e64 s[8:9], s40, v22
	v_mov_b32_e32 v20, 0x7f800001
	s_and_saveexec_b64 s[36:37], s[8:9]
	s_cbranch_execz .LBB374_250
; %bb.249:                              ;   in Loop: Header=BB374_13 Depth=1
	v_and_b32_e32 v2, 7, v44
	v_ffbh_u32_e32 v20, v2
	v_min_u32_e32 v20, 32, v20
	v_subrev_u32_e32 v24, 28, v20
	v_lshlrev_b64 v[24:25], v24, v[44:45]
	v_lshrrev_b32_e32 v3, 3, v22
	v_sub_u32_e32 v20, 29, v20
	v_and_b32_e32 v24, 7, v24
	v_cmp_gt_u32_e64 s[8:9], 8, v22
	v_cndmask_b32_e64 v3, v3, v20, s[8:9]
	v_cndmask_b32_e64 v2, v2, v24, s[8:9]
	v_lshlrev_b32_e32 v20, 24, v44
	v_bfrev_b32_e32 v1, 60
	v_lshlrev_b32_e32 v2, 20, v2
	v_and_b32_e32 v20, 0x80000000, v20
	v_lshl_add_u32 v3, v3, 23, v1
	v_or3_b32 v20, v20, v3, v2
.LBB374_250:                            ;   in Loop: Header=BB374_13 Depth=1
	s_or_b64 exec, exec, s[36:37]
.LBB374_251:                            ;   in Loop: Header=BB374_13 Depth=1
	s_or_b64 exec, exec, s[34:35]
.LBB374_252:                            ;   in Loop: Header=BB374_13 Depth=1
	s_or_b64 exec, exec, s[30:31]
	v_mul_f32_e32 v20, v0, v20
	v_and_b32_e32 v2, 0x7f800000, v20
	v_cmp_ne_u32_e64 s[8:9], s41, v2
                                        ; implicit-def: $vgpr22
	s_and_saveexec_b64 s[30:31], s[8:9]
	s_xor_b64 s[8:9], exec, s[30:31]
; %bb.253:                              ;   in Loop: Header=BB374_13 Depth=1
	v_bfe_u32 v2, v20, 16, 1
	v_add3_u32 v22, v20, v2, s42
                                        ; implicit-def: $vgpr20
; %bb.254:                              ;   in Loop: Header=BB374_13 Depth=1
	s_andn2_saveexec_b64 s[30:31], s[8:9]
; %bb.255:                              ;   in Loop: Header=BB374_13 Depth=1
	v_mov_b32_e32 v1, 0
	v_or_b32_e32 v2, 0x10000, v20
	v_cmp_eq_u32_sdwa s[8:9], v20, v1 src0_sel:WORD_0 src1_sel:DWORD
	v_cndmask_b32_e64 v22, v2, v20, s[8:9]
; %bb.256:                              ;   in Loop: Header=BB374_13 Depth=1
	s_or_b64 exec, exec, s[30:31]
	flat_load_dword v42, v[40:41] offset:1536
	v_mov_b32_e32 v1, 0
	v_mov_b32_e32 v20, 0
	s_waitcnt vmcnt(0) lgkmcnt(0)
	v_cmp_ne_u16_sdwa s[8:9], v42, v1 src0_sel:BYTE_0 src1_sel:DWORD
	s_and_saveexec_b64 s[30:31], s[8:9]
	s_cbranch_execz .LBB374_262
; %bb.257:                              ;   in Loop: Header=BB374_13 Depth=1
	v_cmp_ne_u16_sdwa s[8:9], v42, s39 src0_sel:BYTE_0 src1_sel:DWORD
	v_bfrev_b32_e32 v20, 1
	s_and_saveexec_b64 s[34:35], s[8:9]
	s_cbranch_execz .LBB374_261
; %bb.258:                              ;   in Loop: Header=BB374_13 Depth=1
	v_and_b32_e32 v24, 0x7f, v42
	v_cmp_ne_u32_e64 s[8:9], s40, v24
	v_mov_b32_e32 v20, 0x7f800001
	s_and_saveexec_b64 s[36:37], s[8:9]
	s_cbranch_execz .LBB374_260
; %bb.259:                              ;   in Loop: Header=BB374_13 Depth=1
	v_and_b32_e32 v20, 7, v42
	v_ffbh_u32_e32 v2, v20
	v_min_u32_e32 v49, 32, v2
	v_subrev_u32_e32 v2, 28, v49
	v_lshlrev_b64 v[2:3], v2, v[42:43]
	v_lshrrev_b32_e32 v25, 3, v24
	v_sub_u32_e32 v3, 29, v49
	v_and_b32_e32 v2, 7, v2
	v_cmp_gt_u32_e64 s[8:9], 8, v24
	v_cndmask_b32_e64 v3, v25, v3, s[8:9]
	v_cndmask_b32_e64 v2, v20, v2, s[8:9]
	v_lshlrev_b32_e32 v20, 24, v42
	v_bfrev_b32_e32 v1, 60
	v_lshlrev_b32_e32 v2, 20, v2
	v_and_b32_e32 v20, 0x80000000, v20
	v_lshl_add_u32 v3, v3, 23, v1
	v_or3_b32 v20, v20, v3, v2
.LBB374_260:                            ;   in Loop: Header=BB374_13 Depth=1
	s_or_b64 exec, exec, s[36:37]
.LBB374_261:                            ;   in Loop: Header=BB374_13 Depth=1
	s_or_b64 exec, exec, s[34:35]
.LBB374_262:                            ;   in Loop: Header=BB374_13 Depth=1
	s_or_b64 exec, exec, s[30:31]
	v_mul_f32_e32 v24, v0, v20
	v_and_b32_e32 v2, 0x7f800000, v24
	v_cmp_ne_u32_e64 s[8:9], s41, v2
                                        ; implicit-def: $vgpr20
	s_and_saveexec_b64 s[30:31], s[8:9]
	s_xor_b64 s[8:9], exec, s[30:31]
; %bb.263:                              ;   in Loop: Header=BB374_13 Depth=1
	v_bfe_u32 v2, v24, 16, 1
	v_add3_u32 v20, v24, v2, s42
                                        ; implicit-def: $vgpr24
; %bb.264:                              ;   in Loop: Header=BB374_13 Depth=1
	s_andn2_saveexec_b64 s[30:31], s[8:9]
; %bb.265:                              ;   in Loop: Header=BB374_13 Depth=1
	v_mov_b32_e32 v1, 0
	v_or_b32_e32 v2, 0x10000, v24
	v_cmp_eq_u32_sdwa s[8:9], v24, v1 src0_sel:WORD_0 src1_sel:DWORD
	v_cndmask_b32_e64 v20, v2, v24, s[8:9]
; %bb.266:                              ;   in Loop: Header=BB374_13 Depth=1
	s_or_b64 exec, exec, s[30:31]
	v_lshrrev_b16_e32 v44, 8, v42
	v_cmp_ne_u16_e64 s[8:9], 0, v44
	v_mov_b32_e32 v24, 0
	s_and_saveexec_b64 s[30:31], s[8:9]
	s_cbranch_execz .LBB374_272
; %bb.267:                              ;   in Loop: Header=BB374_13 Depth=1
	v_cmp_ne_u16_e64 s[8:9], s39, v44
	v_bfrev_b32_e32 v24, 1
	s_and_saveexec_b64 s[34:35], s[8:9]
	s_cbranch_execz .LBB374_271
; %bb.268:                              ;   in Loop: Header=BB374_13 Depth=1
	v_and_b32_e32 v25, 0x7f, v44
	v_cmp_ne_u32_e64 s[8:9], s40, v25
	v_mov_b32_e32 v24, 0x7f800001
	s_and_saveexec_b64 s[36:37], s[8:9]
	s_cbranch_execz .LBB374_270
; %bb.269:                              ;   in Loop: Header=BB374_13 Depth=1
	v_and_b32_e32 v24, 7, v44
	v_ffbh_u32_e32 v2, v24
	v_min_u32_e32 v56, 32, v2
	v_subrev_u32_e32 v2, 28, v56
	v_lshlrev_b64 v[2:3], v2, v[44:45]
	v_lshrrev_b32_e32 v49, 3, v25
	v_sub_u32_e32 v3, 29, v56
	v_and_b32_e32 v2, 7, v2
	v_cmp_gt_u32_e64 s[8:9], 8, v25
	v_cndmask_b32_e64 v3, v49, v3, s[8:9]
	v_cndmask_b32_e64 v2, v24, v2, s[8:9]
	v_lshlrev_b32_e32 v24, 16, v42
	v_bfrev_b32_e32 v1, 60
	v_lshlrev_b32_e32 v2, 20, v2
	v_and_b32_e32 v24, 0x80000000, v24
	v_lshl_add_u32 v3, v3, 23, v1
	v_or3_b32 v24, v24, v3, v2
.LBB374_270:                            ;   in Loop: Header=BB374_13 Depth=1
	s_or_b64 exec, exec, s[36:37]
.LBB374_271:                            ;   in Loop: Header=BB374_13 Depth=1
	s_or_b64 exec, exec, s[34:35]
.LBB374_272:                            ;   in Loop: Header=BB374_13 Depth=1
	s_or_b64 exec, exec, s[30:31]
	v_mul_f32_e32 v24, v0, v24
	v_and_b32_e32 v2, 0x7f800000, v24
	v_cmp_ne_u32_e64 s[8:9], s41, v2
                                        ; implicit-def: $vgpr58
	s_and_saveexec_b64 s[30:31], s[8:9]
	s_xor_b64 s[8:9], exec, s[30:31]
; %bb.273:                              ;   in Loop: Header=BB374_13 Depth=1
	v_bfe_u32 v2, v24, 16, 1
	v_add3_u32 v58, v24, v2, s42
                                        ; implicit-def: $vgpr24
; %bb.274:                              ;   in Loop: Header=BB374_13 Depth=1
	s_andn2_saveexec_b64 s[30:31], s[8:9]
; %bb.275:                              ;   in Loop: Header=BB374_13 Depth=1
	v_mov_b32_e32 v1, 0
	v_or_b32_e32 v2, 0x10000, v24
	v_cmp_eq_u32_sdwa s[8:9], v24, v1 src0_sel:WORD_0 src1_sel:DWORD
	v_cndmask_b32_e64 v58, v2, v24, s[8:9]
; %bb.276:                              ;   in Loop: Header=BB374_13 Depth=1
	s_or_b64 exec, exec, s[30:31]
	v_lshrrev_b32_e32 v44, 16, v42
	v_mov_b32_e32 v1, 0
	v_cmp_ne_u16_sdwa s[8:9], v44, v1 src0_sel:BYTE_0 src1_sel:DWORD
	v_mov_b32_e32 v24, 0
	s_and_saveexec_b64 s[30:31], s[8:9]
	s_cbranch_execz .LBB374_282
; %bb.277:                              ;   in Loop: Header=BB374_13 Depth=1
	v_cmp_ne_u16_sdwa s[8:9], v44, s39 src0_sel:BYTE_0 src1_sel:DWORD
	v_bfrev_b32_e32 v24, 1
	s_and_saveexec_b64 s[34:35], s[8:9]
	s_cbranch_execz .LBB374_281
; %bb.278:                              ;   in Loop: Header=BB374_13 Depth=1
	v_bfe_u32 v25, v42, 16, 7
	v_cmp_ne_u32_e64 s[8:9], s40, v25
	v_mov_b32_e32 v24, 0x7f800001
	s_and_saveexec_b64 s[36:37], s[8:9]
	s_cbranch_execz .LBB374_280
; %bb.279:                              ;   in Loop: Header=BB374_13 Depth=1
	v_and_b32_e32 v24, 7, v44
	v_ffbh_u32_e32 v2, v24
	v_min_u32_e32 v56, 32, v2
	v_subrev_u32_e32 v2, 28, v56
	v_lshlrev_b64 v[2:3], v2, v[44:45]
	v_lshrrev_b32_e32 v49, 3, v25
	v_sub_u32_e32 v3, 29, v56
	v_and_b32_e32 v2, 7, v2
	v_cmp_gt_u32_e64 s[8:9], 8, v25
	v_cndmask_b32_e64 v3, v49, v3, s[8:9]
	v_cndmask_b32_e64 v2, v24, v2, s[8:9]
	v_lshlrev_b32_e32 v24, 24, v44
	v_bfrev_b32_e32 v1, 60
	v_lshlrev_b32_e32 v2, 20, v2
	v_and_b32_e32 v24, 0x80000000, v24
	v_lshl_add_u32 v3, v3, 23, v1
	v_or3_b32 v24, v24, v3, v2
.LBB374_280:                            ;   in Loop: Header=BB374_13 Depth=1
	s_or_b64 exec, exec, s[36:37]
.LBB374_281:                            ;   in Loop: Header=BB374_13 Depth=1
	s_or_b64 exec, exec, s[34:35]
.LBB374_282:                            ;   in Loop: Header=BB374_13 Depth=1
	s_or_b64 exec, exec, s[30:31]
	v_mul_f32_e32 v24, v0, v24
	v_and_b32_e32 v2, 0x7f800000, v24
	v_cmp_ne_u32_e64 s[8:9], s41, v2
                                        ; implicit-def: $vgpr25
	s_and_saveexec_b64 s[30:31], s[8:9]
	s_xor_b64 s[8:9], exec, s[30:31]
; %bb.283:                              ;   in Loop: Header=BB374_13 Depth=1
	v_bfe_u32 v2, v24, 16, 1
	v_add3_u32 v25, v24, v2, s42
                                        ; implicit-def: $vgpr24
; %bb.284:                              ;   in Loop: Header=BB374_13 Depth=1
	s_andn2_saveexec_b64 s[30:31], s[8:9]
; %bb.285:                              ;   in Loop: Header=BB374_13 Depth=1
	v_mov_b32_e32 v1, 0
	v_or_b32_e32 v2, 0x10000, v24
	v_cmp_eq_u32_sdwa s[8:9], v24, v1 src0_sel:WORD_0 src1_sel:DWORD
	v_cndmask_b32_e64 v25, v2, v24, s[8:9]
; %bb.286:                              ;   in Loop: Header=BB374_13 Depth=1
	s_or_b64 exec, exec, s[30:31]
	v_cmp_lt_u32_e64 s[8:9], s43, v42
	v_mov_b32_e32 v24, 0
	s_and_saveexec_b64 s[30:31], s[8:9]
	s_cbranch_execz .LBB374_292
; %bb.287:                              ;   in Loop: Header=BB374_13 Depth=1
	v_lshrrev_b32_e32 v44, 24, v42
	v_cmp_ne_u32_e64 s[8:9], s39, v44
	v_bfrev_b32_e32 v24, 1
	s_and_saveexec_b64 s[34:35], s[8:9]
	s_cbranch_execz .LBB374_291
; %bb.288:                              ;   in Loop: Header=BB374_13 Depth=1
	v_bfe_u32 v49, v42, 24, 7
	v_cmp_ne_u32_e64 s[8:9], s40, v49
	v_mov_b32_e32 v24, 0x7f800001
	s_and_saveexec_b64 s[36:37], s[8:9]
	s_cbranch_execz .LBB374_290
; %bb.289:                              ;   in Loop: Header=BB374_13 Depth=1
	v_and_b32_e32 v24, 7, v44
	v_ffbh_u32_e32 v2, v24
	v_min_u32_e32 v56, 32, v2
	v_subrev_u32_e32 v2, 28, v56
	v_lshlrev_b64 v[2:3], v2, v[44:45]
	v_lshrrev_b32_e32 v42, 3, v49
	v_sub_u32_e32 v3, 29, v56
	v_and_b32_e32 v2, 7, v2
	v_cmp_gt_u32_e64 s[8:9], 8, v49
	v_cndmask_b32_e64 v3, v42, v3, s[8:9]
	v_cndmask_b32_e64 v2, v24, v2, s[8:9]
	v_lshlrev_b32_e32 v24, 24, v44
	v_bfrev_b32_e32 v1, 60
	v_lshlrev_b32_e32 v2, 20, v2
	v_and_b32_e32 v24, 0x80000000, v24
	v_lshl_add_u32 v3, v3, 23, v1
	v_or3_b32 v24, v24, v3, v2
.LBB374_290:                            ;   in Loop: Header=BB374_13 Depth=1
	s_or_b64 exec, exec, s[36:37]
.LBB374_291:                            ;   in Loop: Header=BB374_13 Depth=1
	s_or_b64 exec, exec, s[34:35]
.LBB374_292:                            ;   in Loop: Header=BB374_13 Depth=1
	s_or_b64 exec, exec, s[30:31]
	v_mul_f32_e32 v24, v0, v24
	v_and_b32_e32 v2, 0x7f800000, v24
	v_cmp_ne_u32_e64 s[8:9], s41, v2
                                        ; implicit-def: $vgpr44
	s_and_saveexec_b64 s[30:31], s[8:9]
	s_xor_b64 s[8:9], exec, s[30:31]
; %bb.293:                              ;   in Loop: Header=BB374_13 Depth=1
	v_bfe_u32 v2, v24, 16, 1
	v_add3_u32 v44, v24, v2, s42
                                        ; implicit-def: $vgpr24
; %bb.294:                              ;   in Loop: Header=BB374_13 Depth=1
	s_andn2_saveexec_b64 s[30:31], s[8:9]
; %bb.295:                              ;   in Loop: Header=BB374_13 Depth=1
	v_mov_b32_e32 v1, 0
	v_or_b32_e32 v2, 0x10000, v24
	v_cmp_eq_u32_sdwa s[8:9], v24, v1 src0_sel:WORD_0 src1_sel:DWORD
	v_cndmask_b32_e64 v44, v2, v24, s[8:9]
; %bb.296:                              ;   in Loop: Header=BB374_13 Depth=1
	s_or_b64 exec, exec, s[30:31]
	flat_load_dword v40, v[40:41] offset:1544
	v_mov_b32_e32 v1, 0
	v_mov_b32_e32 v24, 0
	s_waitcnt vmcnt(0) lgkmcnt(0)
	v_cmp_ne_u16_sdwa s[8:9], v40, v1 src0_sel:BYTE_0 src1_sel:DWORD
	s_and_saveexec_b64 s[30:31], s[8:9]
	s_cbranch_execz .LBB374_302
; %bb.297:                              ;   in Loop: Header=BB374_13 Depth=1
	v_cmp_ne_u16_sdwa s[8:9], v40, s39 src0_sel:BYTE_0 src1_sel:DWORD
	v_bfrev_b32_e32 v24, 1
	s_and_saveexec_b64 s[34:35], s[8:9]
	s_cbranch_execz .LBB374_301
; %bb.298:                              ;   in Loop: Header=BB374_13 Depth=1
	v_and_b32_e32 v49, 0x7f, v40
	v_cmp_ne_u32_e64 s[8:9], s40, v49
	v_mov_b32_e32 v24, 0x7f800001
	s_and_saveexec_b64 s[36:37], s[8:9]
	s_cbranch_execz .LBB374_300
; %bb.299:                              ;   in Loop: Header=BB374_13 Depth=1
	v_and_b32_e32 v24, 7, v40
	v_ffbh_u32_e32 v2, v24
	v_min_u32_e32 v42, 32, v2
	v_lshrrev_b32_e32 v41, 3, v49
	v_subrev_u32_e32 v2, 28, v42
	v_lshlrev_b64 v[2:3], v2, v[40:41]
	v_sub_u32_e32 v3, 29, v42
	v_and_b32_e32 v2, 7, v2
	v_cmp_gt_u32_e64 s[8:9], 8, v49
	v_cndmask_b32_e64 v3, v41, v3, s[8:9]
	v_cndmask_b32_e64 v2, v24, v2, s[8:9]
	v_lshlrev_b32_e32 v24, 24, v40
	v_bfrev_b32_e32 v1, 60
	v_lshlrev_b32_e32 v2, 20, v2
	v_and_b32_e32 v24, 0x80000000, v24
	v_lshl_add_u32 v3, v3, 23, v1
	v_or3_b32 v24, v24, v3, v2
.LBB374_300:                            ;   in Loop: Header=BB374_13 Depth=1
	s_or_b64 exec, exec, s[36:37]
.LBB374_301:                            ;   in Loop: Header=BB374_13 Depth=1
	s_or_b64 exec, exec, s[34:35]
.LBB374_302:                            ;   in Loop: Header=BB374_13 Depth=1
	s_or_b64 exec, exec, s[30:31]
	v_mul_f32_e32 v24, v0, v24
	v_and_b32_e32 v2, 0x7f800000, v24
	v_cmp_ne_u32_e64 s[8:9], s41, v2
                                        ; implicit-def: $vgpr41
	s_and_saveexec_b64 s[30:31], s[8:9]
	s_xor_b64 s[8:9], exec, s[30:31]
; %bb.303:                              ;   in Loop: Header=BB374_13 Depth=1
	v_bfe_u32 v2, v24, 16, 1
	v_add3_u32 v41, v24, v2, s42
                                        ; implicit-def: $vgpr24
; %bb.304:                              ;   in Loop: Header=BB374_13 Depth=1
	s_andn2_saveexec_b64 s[30:31], s[8:9]
; %bb.305:                              ;   in Loop: Header=BB374_13 Depth=1
	v_mov_b32_e32 v1, 0
	v_or_b32_e32 v2, 0x10000, v24
	v_cmp_eq_u32_sdwa s[8:9], v24, v1 src0_sel:WORD_0 src1_sel:DWORD
	v_cndmask_b32_e64 v41, v2, v24, s[8:9]
; %bb.306:                              ;   in Loop: Header=BB374_13 Depth=1
	s_or_b64 exec, exec, s[30:31]
	v_lshrrev_b16_e32 v42, 8, v40
	v_cmp_ne_u16_e64 s[8:9], 0, v42
	v_mov_b32_e32 v24, 0
	s_and_saveexec_b64 s[30:31], s[8:9]
	s_cbranch_execz .LBB374_312
; %bb.307:                              ;   in Loop: Header=BB374_13 Depth=1
	v_cmp_ne_u16_e64 s[8:9], s39, v42
	v_bfrev_b32_e32 v24, 1
	s_and_saveexec_b64 s[34:35], s[8:9]
	s_cbranch_execz .LBB374_311
; %bb.308:                              ;   in Loop: Header=BB374_13 Depth=1
	v_and_b32_e32 v49, 0x7f, v42
	v_cmp_ne_u32_e64 s[8:9], s40, v49
	v_mov_b32_e32 v24, 0x7f800001
	s_and_saveexec_b64 s[36:37], s[8:9]
	s_cbranch_execz .LBB374_310
; %bb.309:                              ;   in Loop: Header=BB374_13 Depth=1
	v_and_b32_e32 v24, 7, v42
	v_ffbh_u32_e32 v2, v24
	v_min_u32_e32 v1, 32, v2
	v_subrev_u32_e32 v2, 28, v1
	v_lshlrev_b64 v[2:3], v2, v[42:43]
	v_lshrrev_b32_e32 v56, 3, v49
	v_sub_u32_e32 v1, 29, v1
	v_and_b32_e32 v2, 7, v2
	v_cmp_gt_u32_e64 s[8:9], 8, v49
	v_cndmask_b32_e64 v1, v56, v1, s[8:9]
	v_cndmask_b32_e64 v2, v24, v2, s[8:9]
	v_lshlrev_b32_e32 v3, 16, v40
	v_bfrev_b32_e32 v5, 60
	v_lshlrev_b32_e32 v2, 20, v2
	v_and_b32_e32 v3, 0x80000000, v3
	v_lshl_add_u32 v1, v1, 23, v5
	v_or3_b32 v24, v3, v1, v2
.LBB374_310:                            ;   in Loop: Header=BB374_13 Depth=1
	s_or_b64 exec, exec, s[36:37]
.LBB374_311:                            ;   in Loop: Header=BB374_13 Depth=1
	s_or_b64 exec, exec, s[34:35]
.LBB374_312:                            ;   in Loop: Header=BB374_13 Depth=1
	s_or_b64 exec, exec, s[30:31]
	v_mul_f32_e32 v49, v0, v24
	v_and_b32_e32 v1, 0x7f800000, v49
	v_cmp_ne_u32_e64 s[8:9], s41, v1
                                        ; implicit-def: $vgpr24
	s_and_saveexec_b64 s[30:31], s[8:9]
	s_xor_b64 s[8:9], exec, s[30:31]
; %bb.313:                              ;   in Loop: Header=BB374_13 Depth=1
	v_bfe_u32 v1, v49, 16, 1
	v_add3_u32 v24, v49, v1, s42
                                        ; implicit-def: $vgpr49
; %bb.314:                              ;   in Loop: Header=BB374_13 Depth=1
	s_andn2_saveexec_b64 s[30:31], s[8:9]
; %bb.315:                              ;   in Loop: Header=BB374_13 Depth=1
	v_mov_b32_e32 v2, 0
	v_or_b32_e32 v1, 0x10000, v49
	v_cmp_eq_u32_sdwa s[8:9], v49, v2 src0_sel:WORD_0 src1_sel:DWORD
	v_cndmask_b32_e64 v24, v1, v49, s[8:9]
; %bb.316:                              ;   in Loop: Header=BB374_13 Depth=1
	s_or_b64 exec, exec, s[30:31]
	v_lshrrev_b32_e32 v42, 16, v40
	v_mov_b32_e32 v1, 0
	v_cmp_ne_u16_sdwa s[8:9], v42, v1 src0_sel:BYTE_0 src1_sel:DWORD
	v_mov_b32_e32 v56, 0
	s_and_saveexec_b64 s[30:31], s[8:9]
	s_cbranch_execz .LBB374_322
; %bb.317:                              ;   in Loop: Header=BB374_13 Depth=1
	v_cmp_ne_u16_sdwa s[8:9], v42, s39 src0_sel:BYTE_0 src1_sel:DWORD
	v_bfrev_b32_e32 v56, 1
	s_and_saveexec_b64 s[34:35], s[8:9]
	s_cbranch_execz .LBB374_321
; %bb.318:                              ;   in Loop: Header=BB374_13 Depth=1
	v_bfe_u32 v49, v40, 16, 7
	v_cmp_ne_u32_e64 s[8:9], s40, v49
	v_mov_b32_e32 v56, 0x7f800001
	s_and_saveexec_b64 s[36:37], s[8:9]
	s_cbranch_execz .LBB374_320
; %bb.319:                              ;   in Loop: Header=BB374_13 Depth=1
	v_and_b32_e32 v1, 7, v42
	v_ffbh_u32_e32 v2, v1
	v_min_u32_e32 v57, 32, v2
	v_subrev_u32_e32 v2, 28, v57
	v_lshlrev_b64 v[2:3], v2, v[42:43]
	v_lshrrev_b32_e32 v56, 3, v49
	v_sub_u32_e32 v3, 29, v57
	v_and_b32_e32 v2, 7, v2
	v_cmp_gt_u32_e64 s[8:9], 8, v49
	v_cndmask_b32_e64 v3, v56, v3, s[8:9]
	v_cndmask_b32_e64 v1, v1, v2, s[8:9]
	v_lshlrev_b32_e32 v2, 24, v42
	v_bfrev_b32_e32 v5, 60
	v_lshlrev_b32_e32 v1, 20, v1
	v_and_b32_e32 v2, 0x80000000, v2
	v_lshl_add_u32 v3, v3, 23, v5
	v_or3_b32 v56, v2, v3, v1
.LBB374_320:                            ;   in Loop: Header=BB374_13 Depth=1
	s_or_b64 exec, exec, s[36:37]
.LBB374_321:                            ;   in Loop: Header=BB374_13 Depth=1
	s_or_b64 exec, exec, s[34:35]
.LBB374_322:                            ;   in Loop: Header=BB374_13 Depth=1
	s_or_b64 exec, exec, s[30:31]
	v_mul_f32_e32 v49, v0, v56
	v_and_b32_e32 v1, 0x7f800000, v49
	v_cmp_ne_u32_e64 s[8:9], s41, v1
                                        ; implicit-def: $vgpr56
	s_and_saveexec_b64 s[30:31], s[8:9]
	s_xor_b64 s[8:9], exec, s[30:31]
; %bb.323:                              ;   in Loop: Header=BB374_13 Depth=1
	v_bfe_u32 v1, v49, 16, 1
	v_add3_u32 v56, v49, v1, s42
                                        ; implicit-def: $vgpr49
; %bb.324:                              ;   in Loop: Header=BB374_13 Depth=1
	s_andn2_saveexec_b64 s[30:31], s[8:9]
; %bb.325:                              ;   in Loop: Header=BB374_13 Depth=1
	v_mov_b32_e32 v2, 0
	v_or_b32_e32 v1, 0x10000, v49
	v_cmp_eq_u32_sdwa s[8:9], v49, v2 src0_sel:WORD_0 src1_sel:DWORD
	v_cndmask_b32_e64 v56, v1, v49, s[8:9]
; %bb.326:                              ;   in Loop: Header=BB374_13 Depth=1
	s_or_b64 exec, exec, s[30:31]
	v_cmp_lt_u32_e64 s[8:9], s43, v40
	v_mov_b32_e32 v49, 0
	s_and_saveexec_b64 s[30:31], s[8:9]
	s_cbranch_execz .LBB374_332
; %bb.327:                              ;   in Loop: Header=BB374_13 Depth=1
	v_lshrrev_b32_e32 v42, 24, v40
	v_cmp_ne_u32_e64 s[8:9], s39, v42
	v_bfrev_b32_e32 v49, 1
	s_and_saveexec_b64 s[34:35], s[8:9]
	s_cbranch_execz .LBB374_331
; %bb.328:                              ;   in Loop: Header=BB374_13 Depth=1
	v_bfe_u32 v40, v40, 24, 7
	v_cmp_ne_u32_e64 s[8:9], s40, v40
	v_mov_b32_e32 v49, 0x7f800001
	s_and_saveexec_b64 s[36:37], s[8:9]
	s_cbranch_execz .LBB374_330
; %bb.329:                              ;   in Loop: Header=BB374_13 Depth=1
	v_and_b32_e32 v1, 7, v42
	v_ffbh_u32_e32 v2, v1
	v_min_u32_e32 v57, 32, v2
	v_subrev_u32_e32 v2, 28, v57
	v_lshlrev_b64 v[2:3], v2, v[42:43]
	v_lshrrev_b32_e32 v49, 3, v40
	v_sub_u32_e32 v3, 29, v57
	v_and_b32_e32 v2, 7, v2
	v_cmp_gt_u32_e64 s[8:9], 8, v40
	v_cndmask_b32_e64 v3, v49, v3, s[8:9]
	v_cndmask_b32_e64 v1, v1, v2, s[8:9]
	v_lshlrev_b32_e32 v2, 24, v42
	v_bfrev_b32_e32 v5, 60
	v_lshlrev_b32_e32 v1, 20, v1
	v_and_b32_e32 v2, 0x80000000, v2
	v_lshl_add_u32 v3, v3, 23, v5
	v_or3_b32 v49, v2, v3, v1
.LBB374_330:                            ;   in Loop: Header=BB374_13 Depth=1
	s_or_b64 exec, exec, s[36:37]
.LBB374_331:                            ;   in Loop: Header=BB374_13 Depth=1
	s_or_b64 exec, exec, s[34:35]
.LBB374_332:                            ;   in Loop: Header=BB374_13 Depth=1
	s_or_b64 exec, exec, s[30:31]
	v_mul_f32_e32 v49, v0, v49
	v_and_b32_e32 v0, 0x7f800000, v49
	v_cmp_ne_u32_e64 s[8:9], s41, v0
                                        ; implicit-def: $vgpr0
	s_and_saveexec_b64 s[30:31], s[8:9]
	s_xor_b64 s[8:9], exec, s[30:31]
; %bb.333:                              ;   in Loop: Header=BB374_13 Depth=1
	v_bfe_u32 v0, v49, 16, 1
	v_add3_u32 v0, v49, v0, s42
                                        ; implicit-def: $vgpr49
; %bb.334:                              ;   in Loop: Header=BB374_13 Depth=1
	s_andn2_saveexec_b64 s[30:31], s[8:9]
; %bb.335:                              ;   in Loop: Header=BB374_13 Depth=1
	v_mov_b32_e32 v1, 0
	v_or_b32_e32 v0, 0x10000, v49
	v_cmp_eq_u32_sdwa s[8:9], v49, v1 src0_sel:WORD_0 src1_sel:DWORD
	v_cndmask_b32_e64 v0, v0, v49, s[8:9]
; %bb.336:                              ;   in Loop: Header=BB374_13 Depth=1
	s_or_b64 exec, exec, s[30:31]
	v_lshlrev_b32_e32 v3, 16, v38
	v_and_b32_e32 v30, 0xffff0000, v23
	v_lshlrev_b32_e32 v1, 16, v36
	v_mul_f32_e32 v3, v3, v30
	v_and_b32_e32 v30, 0xffff0000, v4
	v_and_b32_e32 v38, 0xffff0000, v38
	v_fmac_f32_e32 v3, v1, v30
	v_and_b32_e32 v1, 0xffff0000, v28
	v_and_b32_e32 v36, 0xffff0000, v36
	v_mul_f32_e32 v1, v38, v1
	v_and_b32_e32 v30, 0xffff0000, v10
	v_accvgpr_read_b32 v4, a46
	v_fmac_f32_e32 v1, v36, v30
	v_and_b32_e32 v30, 64, v4
	v_add_u32_e32 v30, 64, v30
	v_xor_b32_e32 v36, 1, v4
	v_accvgpr_read_b32 v10, a52
	v_cmp_lt_i32_e64 s[8:9], v36, v30
	v_and_b32_e32 v30, 0xffff0000, v41
	v_and_b32_e32 v41, 0xffff0000, v58
	;; [unrolled: 1-line block ×3, first 2 shown]
	v_accvgpr_read_b32 v10, a51
	v_and_b32_e32 v38, 0xffff0000, v44
	v_and_b32_e32 v44, 0xffff0000, v46
	;; [unrolled: 1-line block ×6, first 2 shown]
	v_accvgpr_read_b32 v10, a50
	v_lshlrev_b32_e32 v49, 16, v39
	v_and_b32_e32 v28, 0xffff0000, v10
	v_and_b32_e32 v53, 0xffff0000, v53
	v_accvgpr_read_b32 v10, a49
	v_lshlrev_b32_e32 v2, 16, v37
	v_and_b32_e32 v39, 0xffff0000, v39
	v_and_b32_e32 v23, 0xffff0000, v10
	;; [unrolled: 1-line block ×3, first 2 shown]
	v_accvgpr_read_b32 v10, a48
	v_mul_f32_e32 v49, v49, v53
	v_lshlrev_b32_e32 v40, 16, v32
	v_and_b32_e32 v37, 0xffff0000, v37
	v_and_b32_e32 v32, 0xffff0000, v32
	;; [unrolled: 1-line block ×4, first 2 shown]
	v_fmac_f32_e32 v49, v2, v48
	v_mul_f32_e32 v2, v39, v23
	v_lshlrev_b32_e32 v42, 16, v33
	v_lshlrev_b32_e32 v57, 16, v34
	v_and_b32_e32 v33, 0xffff0000, v33
	v_and_b32_e32 v34, 0xffff0000, v34
	v_fmac_f32_e32 v2, v37, v10
	v_fmac_f32_e32 v3, v40, v29
	;; [unrolled: 1-line block ×3, first 2 shown]
	v_lshlrev_b32_e32 v31, 16, v35
	v_and_b32_e32 v35, 0xffff0000, v35
	v_lshlrev_b32_e32 v5, 16, v16
	v_and_b32_e32 v16, 0xffff0000, v16
	v_and_b32_e32 v45, 0xffff0000, v45
	;; [unrolled: 1-line block ×3, first 2 shown]
	v_fmac_f32_e32 v49, v42, v62
	v_fmac_f32_e32 v2, v33, v61
	;; [unrolled: 1-line block ×4, first 2 shown]
	v_lshlrev_b32_e32 v15, 16, v17
	v_lshlrev_b32_e32 v14, 16, v18
	v_and_b32_e32 v17, 0xffff0000, v17
	v_and_b32_e32 v18, 0xffff0000, v18
	;; [unrolled: 1-line block ×6, first 2 shown]
	v_fmac_f32_e32 v49, v31, v13
	v_fmac_f32_e32 v2, v35, v46
	;; [unrolled: 1-line block ×4, first 2 shown]
	v_lshlrev_b32_e32 v12, 16, v19
	v_and_b32_e32 v19, 0xffff0000, v19
	v_lshlrev_b32_e32 v26, 16, v6
	v_and_b32_e32 v6, 0xffff0000, v6
	v_and_b32_e32 v20, 0xffff0000, v20
	;; [unrolled: 1-line block ×4, first 2 shown]
	v_fmac_f32_e32 v49, v15, v21
	v_fmac_f32_e32 v2, v17, v52
	;; [unrolled: 1-line block ×4, first 2 shown]
	v_lshlrev_b32_e32 v27, 16, v7
	v_lshlrev_b32_e32 v43, 16, v8
	v_and_b32_e32 v7, 0xffff0000, v7
	v_and_b32_e32 v8, 0xffff0000, v8
	;; [unrolled: 1-line block ×4, first 2 shown]
	v_fmac_f32_e32 v49, v12, v11
	v_fmac_f32_e32 v2, v19, v22
	v_fmac_f32_e32 v3, v26, v20
	v_fmac_f32_e32 v1, v6, v41
	v_lshlrev_b32_e32 v59, 16, v9
	v_and_b32_e32 v9, 0xffff0000, v9
	v_and_b32_e32 v56, 0xffff0000, v56
	;; [unrolled: 1-line block ×3, first 2 shown]
	v_fmac_f32_e32 v49, v27, v25
	v_fmac_f32_e32 v2, v7, v38
	;; [unrolled: 1-line block ×6, first 2 shown]
	v_add_f32_e32 v0, v3, v1
	v_cndmask_b32_e64 v36, v4, v36, s[8:9]
	v_add_f32_e32 v0, v0, v49
	v_lshlrev_b32_e32 v36, 2, v36
	v_add_f32_e32 v0, v2, v0
	ds_bpermute_b32 v1, v36, v0
	s_and_saveexec_b64 s[30:31], vcc
	s_cbranch_execz .LBB374_11
; %bb.337:                              ;   in Loop: Header=BB374_13 Depth=1
	buffer_load_dword v5, off, s[0:3], s32 offset:156 ; 4-byte Folded Reload
	v_accvgpr_read_b32 v2, a45
	v_add_u32_e32 v2, v2, v60
	v_cvt_f32_i32_e32 v2, v2
	s_waitcnt lgkmcnt(0)
	v_add_f32_e32 v0, v0, v1
	v_accvgpr_read_b32 v1, a33
	s_load_dword s8, s[26:27], 0x0
	v_accvgpr_read_b32 v3, a37
	v_add_u32_e32 v3, v3, v60
	s_waitcnt vmcnt(0)
	v_mul_f32_e32 v2, v5, v2
	v_cndmask_b32_e64 v2, 0, v2, s[6:7]
	v_fmac_f32_e32 v2, v0, v1
	buffer_load_dword v1, off, s[0:3], s32 offset:152 ; 4-byte Folded Reload
	v_accvgpr_read_b32 v5, a43
	v_accvgpr_read_b32 v0, a3
	s_waitcnt lgkmcnt(0)
	v_add_u32_e32 v5, s8, v5
	v_cmp_lt_i32_e64 s[8:9], v3, v0
	v_cndmask_b32_e64 v0, 0, v2, s[8:9]
	ds_write_b32 v5, v0
	s_waitcnt vmcnt(0)
	v_max_f32_e32 v0, v1, v1
	v_max_f32_e32 v0, v0, v2
	v_cndmask_b32_e64 v1, v1, v0, s[8:9]
	buffer_store_dword v1, off, s[0:3], s32 offset:152 ; 4-byte Folded Spill
	s_branch .LBB374_11
.LBB374_338:
	s_or_b64 exec, exec, s[28:29]
	buffer_load_dword v5, off, s[0:3], s32 offset:152 ; 4-byte Folded Reload
	v_accvgpr_read_b32 v33, a29
	v_accvgpr_read_b32 v54, a2
	;; [unrolled: 1-line block ×20, first 2 shown]
.LBB374_339:
	s_or_b64 exec, exec, s[24:25]
	v_mbcnt_hi_u32_b32 v0, -1, v4
	v_and_b32_e32 v1, 64, v0
	v_add_u32_e32 v1, 64, v1
	v_xor_b32_e32 v2, 32, v0
	v_cmp_lt_i32_e32 vcc, v2, v1
	v_cndmask_b32_e32 v2, v0, v2, vcc
	v_lshlrev_b32_e32 v2, 2, v2
	s_waitcnt vmcnt(0)
	ds_bpermute_b32 v3, v2, v5
	v_max_f32_e32 v4, v5, v5
	v_xor_b32_e32 v5, 16, v0
	v_cmp_lt_i32_e32 vcc, v5, v1
	v_xor_b32_e32 v6, 8, v0
	s_waitcnt lgkmcnt(0)
	v_max_f32_e32 v3, v3, v3
	v_max_f32_e32 v4, v4, v3
	v_cndmask_b32_e32 v3, v0, v5, vcc
	v_lshlrev_b32_e32 v3, 2, v3
	ds_bpermute_b32 v5, v3, v4
	v_cmp_lt_i32_e32 vcc, v6, v1
	v_xor_b32_e32 v7, 4, v0
	v_xor_b32_e32 v8, 2, v0
	v_and_b32_e32 v43, 63, v54
	s_waitcnt lgkmcnt(0)
	v_max_f32_e32 v5, v5, v5
	v_max_f32_e32 v5, v4, v5
	v_cndmask_b32_e32 v4, v0, v6, vcc
	v_lshlrev_b32_e32 v4, 2, v4
	ds_bpermute_b32 v6, v4, v5
	v_cmp_lt_i32_e32 vcc, v7, v1
	s_lshr_b32 s28, s38, 16
	s_waitcnt lgkmcnt(0)
	v_max_f32_e32 v6, v6, v6
	v_max_f32_e32 v6, v5, v6
	v_cndmask_b32_e32 v5, v0, v7, vcc
	v_lshlrev_b32_e32 v5, 2, v5
	ds_bpermute_b32 v7, v5, v6
	v_cmp_lt_i32_e32 vcc, v8, v1
	s_waitcnt lgkmcnt(0)
	v_max_f32_e32 v7, v7, v7
	v_max_f32_e32 v7, v6, v7
	v_cndmask_b32_e32 v6, v0, v8, vcc
	v_lshlrev_b32_e32 v18, 2, v6
	ds_bpermute_b32 v8, v18, v7
	v_cmp_eq_u32_e32 vcc, 0, v43
	v_lshlrev_b32_e32 v6, 2, v28
	s_and_saveexec_b64 s[6:7], vcc
	s_cbranch_execz .LBB374_341
; %bb.340:
	s_waitcnt lgkmcnt(0)
	v_max_f32_e32 v8, v8, v8
	v_max_f32_e32 v7, v7, v7
	v_max_f32_e32 v7, v7, v8
	ds_write_b32 v6, v7 offset:128
.LBB374_341:
	s_or_b64 exec, exec, s[6:7]
	v_cmp_gt_u32_e64 s[6:7], 2, v43
	s_waitcnt lgkmcnt(0)
	v_mov_b32_e32 v8, 0xff7fffff
	v_lshlrev_b32_e32 v7, 2, v43
	s_barrier
	s_and_saveexec_b64 s[8:9], s[6:7]
	s_cbranch_execz .LBB374_343
; %bb.342:
	ds_read_b32 v8, v7 offset:128
.LBB374_343:
	s_or_b64 exec, exec, s[8:9]
	v_xor_b32_e32 v9, 1, v0
	v_cmp_lt_i32_e64 s[8:9], v9, v1
	v_cndmask_b32_e64 v1, v0, v9, s[8:9]
	v_lshlrev_b32_e32 v19, 2, v1
	s_waitcnt lgkmcnt(0)
	ds_bpermute_b32 v1, v19, v8
	v_accvgpr_read_b32 v9, a11
	v_subrev_u32_e32 v9, s21, v9
	v_max_f32_e32 v8, v8, v8
	v_lshlrev_b32_e32 v0, 2, v0
	s_waitcnt lgkmcnt(0)
	v_max_f32_e32 v1, v1, v1
	v_lshl_add_u32 v10, v9, 5, s15
	v_max_f32_e32 v1, v8, v1
	v_and_b32_e32 v9, 0x100, v0
	ds_bpermute_b32 v0, v9, v1
	v_min_i32_e32 v8, v10, v55
	v_subrev_u32_e32 v1, s15, v8
	v_cmp_lt_i32_e64 s[8:9], v54, v1
	v_mov_b32_e32 v10, 0
	s_and_saveexec_b64 s[24:25], s[8:9]
	s_cbranch_execz .LBB374_347
; %bb.344:
	s_ashr_i32 s23, s22, 31
	s_lshl_b64 s[10:11], s[22:23], 2
	s_getpc_b64 s[26:27]
	s_add_u32 s26, s26, llvm.amdgcn.dynlds.offset.table@rel32@lo+4
	s_addc_u32 s27, s27, llvm.amdgcn.dynlds.offset.table@rel32@hi+12
	s_add_u32 s10, s10, s26
	s_addc_u32 s11, s11, s27
	s_load_dword s10, s[10:11], 0x0
	s_mov_b64 s[26:27], 0
	v_mov_b32_e32 v10, 0
	v_mov_b32_e32 v12, v54
	s_waitcnt lgkmcnt(0)
	v_lshl_add_u32 v11, v54, 2, s10
.LBB374_345:                            ; =>This Inner Loop Header: Depth=1
	ds_read_b32 v13, v11
	v_add_u32_e32 v12, 0x80, v12
	v_cmp_ge_i32_e64 s[10:11], v12, v1
	s_or_b64 s[26:27], s[10:11], s[26:27]
	s_waitcnt lgkmcnt(0)
	v_sub_f32_e32 v13, v13, v0
	v_mul_f32_e32 v13, 0x3fb8aa3b, v13
	v_exp_f32_e32 v13, v13
	ds_write_b32 v11, v13
	v_add_f32_e32 v10, v10, v13
	v_add_u32_e32 v11, 0x200, v11
	s_andn2_b64 exec, exec, s[26:27]
	s_cbranch_execnz .LBB374_345
; %bb.346:
	s_or_b64 exec, exec, s[26:27]
.LBB374_347:
	s_or_b64 exec, exec, s[24:25]
	ds_bpermute_b32 v2, v2, v10
	s_waitcnt lgkmcnt(0)
	v_add_f32_e32 v2, v10, v2
	ds_bpermute_b32 v3, v3, v2
	s_waitcnt lgkmcnt(0)
	v_add_f32_e32 v2, v2, v3
	;; [unrolled: 3-line block ×6, first 2 shown]
	s_and_saveexec_b64 s[10:11], vcc
	s_cbranch_execz .LBB374_349
; %bb.348:
	ds_write_b32 v6, v2 offset:136
.LBB374_349:
	s_or_b64 exec, exec, s[10:11]
	s_waitcnt lgkmcnt(0)
	s_barrier
	s_and_saveexec_b64 s[10:11], s[6:7]
	s_cbranch_execz .LBB374_351
; %bb.350:
	ds_read_b32 v2, v7 offset:136
.LBB374_351:
	s_or_b64 exec, exec, s[10:11]
	s_waitcnt lgkmcnt(0)
	ds_bpermute_b32 v3, v19, v2
	s_waitcnt lgkmcnt(0)
	v_add_f32_e32 v2, v2, v3
	ds_bpermute_b32 v2, v9, v2
	s_and_saveexec_b64 s[6:7], s[8:9]
	s_cbranch_execz .LBB374_364
; %bb.352:
	s_waitcnt lgkmcnt(0)
	v_add_f32_e32 v3, 0x358637bd, v2
	v_div_scale_f32 v4, s[8:9], v3, v3, 1.0
	v_rcp_f32_e32 v5, v4
	v_div_scale_f32 v6, vcc, 1.0, v3, 1.0
	s_movk_i32 s8, 0x7f
	v_fma_f32 v7, -v4, v5, 1.0
	v_fmac_f32_e32 v5, v7, v5
	v_mul_f32_e32 v7, v6, v5
	v_fma_f32 v9, -v4, v7, v6
	v_fmac_f32_e32 v7, v9, v5
	v_fma_f32 v4, -v4, v7, v6
	v_div_fmas_f32 v4, v4, v5, v7
	v_div_fixup_f32 v6, v4, v3, 1.0
	v_xad_u32 v3, v54, -1, v8
	v_subrev_u32_e32 v4, s15, v3
	v_cmp_lt_u32_e32 vcc, s8, v4
	s_mov_b64 s[10:11], -1
	v_mov_b32_e32 v3, v54
	s_and_saveexec_b64 s[8:9], vcc
	s_cbranch_execz .LBB374_361
; %bb.353:
	v_lshrrev_b32_e32 v3, 7, v4
	v_add_u32_e32 v5, -1, v3
	v_lshrrev_b32_e32 v4, 1, v5
	v_mov_b32_e32 v7, v6
	v_add_u32_e32 v4, 1, v4
	v_cmp_lt_u32_e32 vcc, 13, v5
	v_mov_b32_e32 v9, 0
	s_and_saveexec_b64 s[10:11], vcc
	s_cbranch_execz .LBB374_357
; %bb.354:
	s_ashr_i32 s23, s22, 31
	s_lshl_b64 s[24:25], s[22:23], 2
	s_getpc_b64 s[26:27]
	s_add_u32 s26, s26, llvm.amdgcn.dynlds.offset.table@rel32@lo+4
	s_addc_u32 s27, s27, llvm.amdgcn.dynlds.offset.table@rel32@hi+12
	s_add_u32 s24, s24, s26
	s_addc_u32 s25, s25, s27
	s_load_dword s21, s[24:25], 0x0
	v_and_b32_e32 v5, -8, v4
	s_mov_b32 s15, 0
	s_mov_b64 s[24:25], 0
	s_waitcnt lgkmcnt(0)
	v_lshl_add_u32 v8, v54, 2, s21
.LBB374_355:                            ; =>This Inner Loop Header: Depth=1
	ds_read2st64_b32 v[10:11], v8 offset1:2
	ds_read2st64_b32 v[12:13], v8 offset0:4 offset1:6
	ds_read2st64_b32 v[20:21], v8 offset0:8 offset1:10
	;; [unrolled: 1-line block ×3, first 2 shown]
	v_add_u32_e32 v5, -8, v5
	s_waitcnt lgkmcnt(3)
	v_pk_mul_f32 v[10:11], v[6:7], v[10:11]
	s_waitcnt lgkmcnt(2)
	v_pk_mul_f32 v[12:13], v[6:7], v[12:13]
	ds_write2st64_b32 v8, v10, v11 offset1:2
	ds_write2st64_b32 v8, v12, v13 offset0:4 offset1:6
	ds_read2st64_b32 v[12:13], v8 offset0:16 offset1:18
	s_waitcnt lgkmcnt(4)
	v_pk_mul_f32 v[10:11], v[6:7], v[20:21]
	ds_write2st64_b32 v8, v10, v11 offset0:8 offset1:10
	s_waitcnt lgkmcnt(4)
	v_pk_mul_f32 v[10:11], v[6:7], v[16:17]
	ds_write2st64_b32 v8, v10, v11 offset0:12 offset1:14
	ds_read2st64_b32 v[10:11], v8 offset0:20 offset1:22
	s_waitcnt lgkmcnt(3)
	v_pk_mul_f32 v[12:13], v[6:7], v[12:13]
	ds_read2st64_b32 v[16:17], v8 offset0:24 offset1:26
	ds_write2st64_b32 v8, v12, v13 offset0:16 offset1:18
	ds_read2st64_b32 v[12:13], v8 offset0:28 offset1:30
	s_waitcnt lgkmcnt(3)
	v_pk_mul_f32 v[10:11], v[6:7], v[10:11]
	ds_write2st64_b32 v8, v10, v11 offset0:20 offset1:22
	s_waitcnt lgkmcnt(3)
	v_pk_mul_f32 v[10:11], v[6:7], v[16:17]
	ds_write2st64_b32 v8, v10, v11 offset0:24 offset1:26
	s_waitcnt lgkmcnt(2)
	v_pk_mul_f32 v[10:11], v[6:7], v[12:13]
	s_add_i32 s15, s15, 16
	v_cmp_eq_u32_e32 vcc, 0, v5
	ds_write2st64_b32 v8, v10, v11 offset0:28 offset1:30
	v_add_u32_e32 v8, 0x2000, v8
	s_or_b64 s[24:25], vcc, s[24:25]
	v_mov_b32_e32 v9, s15
	s_andn2_b64 exec, exec, s[24:25]
	s_cbranch_execnz .LBB374_355
; %bb.356:
	s_or_b64 exec, exec, s[24:25]
.LBB374_357:
	s_or_b64 exec, exec, s[10:11]
	v_and_b32_e32 v4, 7, v4
	v_cmp_ne_u32_e32 vcc, 0, v4
	s_and_saveexec_b64 s[10:11], vcc
	s_cbranch_execz .LBB374_360
; %bb.358:
	s_ashr_i32 s23, s22, 31
	s_lshl_b64 s[24:25], s[22:23], 2
	s_getpc_b64 s[26:27]
	s_add_u32 s26, s26, llvm.amdgcn.dynlds.offset.table@rel32@lo+4
	s_addc_u32 s27, s27, llvm.amdgcn.dynlds.offset.table@rel32@hi+12
	s_add_u32 s24, s24, s26
	s_addc_u32 s25, s25, s27
	s_load_dword s15, s[24:25], 0x0
	v_lshlrev_b32_e32 v5, 9, v9
	v_lshlrev_b32_e32 v8, 2, v54
	s_mov_b64 s[24:25], 0
	s_waitcnt lgkmcnt(0)
	v_add3_u32 v5, v5, v8, s15
.LBB374_359:                            ; =>This Inner Loop Header: Depth=1
	ds_read2st64_b32 v[8:9], v5 offset1:2
	v_add_u32_e32 v4, -1, v4
	v_cmp_eq_u32_e32 vcc, 0, v4
	s_or_b64 s[24:25], vcc, s[24:25]
	s_waitcnt lgkmcnt(0)
	v_pk_mul_f32 v[8:9], v[6:7], v[8:9]
	ds_write2st64_b32 v5, v8, v9 offset1:2
	v_add_u32_e32 v5, 0x400, v5
	s_andn2_b64 exec, exec, s[24:25]
	s_cbranch_execnz .LBB374_359
.LBB374_360:
	s_or_b64 exec, exec, s[10:11]
	v_add_u32_e32 v4, 1, v3
	v_and_b32_e32 v5, 0x3fffffe, v4
	v_cmp_ne_u32_e32 vcc, v4, v5
	v_lshl_add_u32 v3, v5, 7, v54
	s_orn2_b64 s[10:11], vcc, exec
.LBB374_361:
	s_or_b64 exec, exec, s[8:9]
	s_and_b64 exec, exec, s[10:11]
	s_cbranch_execz .LBB374_364
; %bb.362:
	s_ashr_i32 s23, s22, 31
	s_lshl_b64 s[8:9], s[22:23], 2
	s_getpc_b64 s[10:11]
	s_add_u32 s10, s10, llvm.amdgcn.dynlds.offset.table@rel32@lo+4
	s_addc_u32 s11, s11, llvm.amdgcn.dynlds.offset.table@rel32@hi+12
	s_add_u32 s8, s8, s10
	s_addc_u32 s9, s9, s11
	s_load_dword s8, s[8:9], 0x0
	s_waitcnt lgkmcnt(0)
	v_lshl_add_u32 v4, v3, 2, s8
	s_mov_b64 s[8:9], 0
.LBB374_363:                            ; =>This Inner Loop Header: Depth=1
	ds_read_b32 v5, v4
	v_add_u32_e32 v3, 0x80, v3
	v_cmp_ge_i32_e32 vcc, v3, v1
	s_or_b64 s[8:9], vcc, s[8:9]
	s_waitcnt lgkmcnt(0)
	v_mul_f32_e32 v5, v6, v5
	ds_write_b32 v4, v5
	v_add_u32_e32 v4, 0x200, v4
	s_andn2_b64 exec, exec, s[8:9]
	s_cbranch_execnz .LBB374_363
.LBB374_364:
	s_or_b64 exec, exec, s[6:7]
	v_cmp_ne_u16_e64 s[6:7], s28, 0
	s_cmp_lg_u64 s[6:7], 0
	s_addc_u32 s21, s13, 0
	v_cmp_eq_u32_e32 vcc, 0, v54
	s_waitcnt lgkmcnt(0)
	s_barrier
	s_and_saveexec_b64 s[6:7], vcc
	s_cbranch_execz .LBB374_366
; %bb.365:
	s_mul_i32 s8, s21, s18
	s_mul_i32 s8, s8, s19
	;; [unrolled: 1-line block ×3, first 2 shown]
	s_ashr_i32 s9, s8, 31
	s_ashr_i32 s11, s10, 31
	;; [unrolled: 1-line block ×3, first 2 shown]
	s_lshl_b64 s[8:9], s[8:9], 2
	s_lshl_b64 s[10:11], s[10:11], 2
	;; [unrolled: 1-line block ×3, first 2 shown]
	s_add_u32 s10, s12, s10
	s_addc_u32 s11, s13, s11
	s_add_u32 s8, s10, s8
	s_addc_u32 s9, s11, s9
	v_mov_b32_e32 v1, s9
	v_add_co_u32_e32 v4, vcc, s8, v34
	v_addc_co_u32_e32 v5, vcc, v1, v27, vcc
	flat_store_dword v[4:5], v0
	v_add_co_u32_e32 v0, vcc, s8, v26
	v_addc_co_u32_e32 v1, vcc, v1, v25, vcc
	flat_store_dword v[0:1], v2
.LBB374_366:
	s_or_b64 exec, exec, s[6:7]
	s_ashr_i32 s23, s22, 31
	s_lshl_b64 s[6:7], s[22:23], 2
	s_getpc_b64 s[8:9]
	s_add_u32 s8, s8, llvm.amdgcn.dynlds.offset.table@rel32@lo+4
	s_addc_u32 s9, s9, llvm.amdgcn.dynlds.offset.table@rel32@hi+12
	s_add_u32 s6, s6, s8
	s_addc_u32 s7, s7, s9
	s_mov_b32 s8, 0
	v_mov_b32_e32 v3, 0
	v_and_b32_e32 v8, 3, v54
	v_mov_b32_e32 v2, 0
	v_mov_b32_e32 v1, 0
	;; [unrolled: 1-line block ×3, first 2 shown]
	s_and_saveexec_b64 s[12:13], s[4:5]
	s_cbranch_execz .LBB374_860
; %bb.367:
	v_max_i32_e32 v30, v30, v36
	v_cvt_f32_u32_e32 v0, v30
	v_sub_u32_e32 v4, 0, v30
	v_add_co_u32_e32 v1, vcc, v24, v23
	v_rcp_iflag_f32_e32 v0, v0
	v_add_u32_e32 v3, -1, v35
	v_addc_co_u32_e32 v2, vcc, v22, v29, vcc
	v_mul_f32_e32 v0, 0x4f7ffffe, v0
	v_cvt_u32_f32_e32 v0, v0
	v_accvgpr_write_b32 a19, v3
	v_and_b32_e32 v3, 0x1f8, v31
	s_load_dword s4, s[6:7], 0x0
	v_mul_lo_u32 v4, v4, v0
	v_mul_hi_u32 v4, v0, v4
	v_add_u32_e32 v0, v0, v4
	v_accvgpr_write_b32 a20, v0
	v_add_co_u32_e32 v0, vcc, v1, v3
	v_addc_co_u32_e32 v1, vcc, 0, v2, vcc
	v_accvgpr_write_b32 a23, v1
	v_accvgpr_write_b32 a22, v0
	v_accvgpr_read_b32 v0, a12
	v_accvgpr_read_b32 v1, a13
	v_lshlrev_b64 v[0:1], 2, v[0:1]
	v_add_co_u32_e32 v0, vcc, v32, v0
	v_addc_co_u32_e32 v1, vcc, v33, v1, vcc
	v_add_co_u32_e32 v14, vcc, v14, v0
	v_lshlrev_b32_e32 v0, 5, v8
	v_lshl_or_b32 v0, v28, 7, v0
	s_mov_b32 s9, s8
	v_and_b32_e32 v53, 24, v31
	s_mov_b32 s22, -1
	v_addc_co_u32_e32 v15, vcc, v15, v1, vcc
	s_waitcnt lgkmcnt(0)
	v_add_u32_e32 v29, s4, v0
	s_mov_b32 s10, s8
	s_mov_b32 s11, s8
	v_pk_mov_b32 v[0:1], s[8:9], s[8:9] op_sel:[0,1]
	v_accvgpr_write_b32 a17, v19
	v_accvgpr_write_b32 a16, v18
	s_mov_b32 s23, 0xffffff
	v_mov_b32_e32 v17, 0
	v_accvgpr_write_b32 a18, v8
	s_mov_b64 s[24:25], 0
	v_pk_mov_b32 v[2:3], s[10:11], s[10:11] op_sel:[0,1]
	s_mov_b32 s15, 0x7f800000
	s_movk_i32 s30, 0x7fff
	s_movk_i32 s31, 0x80
	;; [unrolled: 1-line block ×3, first 2 shown]
	v_accvgpr_read_b32 v7, a15
	v_accvgpr_write_b32 a15, v53
	s_branch .LBB374_370
.LBB374_368:                            ;   in Loop: Header=BB374_370 Depth=1
	s_or_b64 exec, exec, s[4:5]
	v_and_b32_e32 v50, 0xffff0000, v4
	v_and_b32_e32 v49, 0xffff0000, v48
	v_and_b32_e32 v48, 0xffff0000, v5
	v_and_b32_e32 v5, 0xffff0000, v39
	v_and_b32_e32 v4, 0xffff0000, v13
	v_and_b32_e32 v13, 0xffff0000, v38
	v_and_b32_e32 v12, 0xffff0000, v12
	v_and_b32_e32 v51, 0xffff0000, v42
	v_pk_add_f32 v[4:5], v[12:13], v[4:5]
	v_pk_add_f32 v[12:13], v[48:49], v[50:51]
	v_add_f32_e32 v4, v4, v5
	v_add_f32_e32 v4, v4, v12
	;; [unrolled: 1-line block ×3, first 2 shown]
	v_and_b32_e32 v5, 0xffff0000, v18
	v_and_b32_e32 v12, 0xffff0000, v33
	;; [unrolled: 1-line block ×6, first 2 shown]
	v_add_f32_e32 v0, v0, v4
	v_and_b32_e32 v4, 0xffff0000, v35
	v_and_b32_e32 v13, 0xffff0000, v36
	v_pk_add_f32 v[18:19], v[18:19], v[32:33]
	v_pk_add_f32 v[4:5], v[12:13], v[4:5]
	v_add_f32_e32 v12, v18, v19
	v_add_f32_e32 v4, v12, v4
	;; [unrolled: 1-line block ×3, first 2 shown]
	v_and_b32_e32 v5, 0xffff0000, v26
	v_and_b32_e32 v19, 0xffff0000, v27
	;; [unrolled: 1-line block ×5, first 2 shown]
	v_add_f32_e32 v1, v1, v4
	v_and_b32_e32 v4, 0xffff0000, v46
	v_and_b32_e32 v13, 0xffff0000, v47
	;; [unrolled: 1-line block ×3, first 2 shown]
	v_pk_add_f32 v[18:19], v[26:27], v[18:19]
	v_pk_add_f32 v[4:5], v[12:13], v[4:5]
	v_add_f32_e32 v9, v18, v19
	v_add_f32_e32 v4, v9, v4
	;; [unrolled: 1-line block ×3, first 2 shown]
	v_and_b32_e32 v13, 0xffff0000, v20
	v_and_b32_e32 v12, 0xffff0000, v7
	;; [unrolled: 1-line block ×4, first 2 shown]
	v_add_f32_e32 v2, v2, v4
	v_and_b32_e32 v5, 0xffff0000, v8
	v_and_b32_e32 v4, 0xffff0000, v24
	;; [unrolled: 1-line block ×4, first 2 shown]
	v_pk_add_f32 v[6:7], v[6:7], v[12:13]
	v_pk_add_f32 v[4:5], v[8:9], v[4:5]
	v_add_f32_e32 v6, v6, v7
	v_add_f32_e32 v4, v6, v4
	;; [unrolled: 1-line block ×4, first 2 shown]
.LBB374_369:                            ;   in Loop: Header=BB374_370 Depth=1
	s_or_b64 exec, exec, s[8:9]
	v_accvgpr_read_b32 v6, a12
	v_add_co_u32_e32 v14, vcc, 8, v14
	v_add_u32_e32 v6, 2, v6
	v_addc_co_u32_e32 v15, vcc, 0, v15, vcc
	v_accvgpr_read_b32 v4, a11
	v_accvgpr_read_b32 v7, a13
	v_cmp_ge_i32_e32 vcc, v6, v4
	v_add_u32_e32 v7, 64, v7
	v_accvgpr_write_b32 a12, v6
	s_or_b64 s[24:25], vcc, s[24:25]
	v_add_u32_e32 v29, 0x100, v29
	s_andn2_b64 exec, exec, s[24:25]
	s_cbranch_execz .LBB374_859
.LBB374_370:                            ; =>This Inner Loop Header: Depth=1
	v_ashrrev_i32_e32 v4, 31, v7
	v_accvgpr_read_b32 v5, a9
	v_xor_b32_e32 v4, v4, v5
	v_sub_u32_e32 v5, 0, v7
	v_max_i32_e32 v5, v7, v5
	v_accvgpr_read_b32 v6, a8
	v_mul_hi_u32 v6, v5, v6
	v_accvgpr_read_b32 v8, a7
	v_accvgpr_write_b32 a13, v7
	v_mul_lo_u32 v7, v6, v8
	v_sub_u32_e32 v5, v5, v7
	v_add_u32_e32 v7, 1, v6
	v_cmp_ge_u32_e32 vcc, v5, v8
	v_cndmask_b32_e32 v6, v6, v7, vcc
	v_sub_u32_e32 v7, v5, v8
	v_cndmask_b32_e32 v5, v5, v7, vcc
	v_add_u32_e32 v7, 1, v6
	v_cmp_ge_u32_e32 vcc, v5, v8
	v_cndmask_b32_e32 v5, v6, v7, vcc
	v_xor_b32_e32 v5, v5, v4
	v_sub_u32_e32 v4, v5, v4
	v_accvgpr_read_b32 v6, a10
	v_add_u32_e32 v5, v4, v6
	v_sub_u32_e32 v7, 0, v5
	v_ashrrev_i32_e32 v6, 31, v5
	v_max_i32_e32 v5, v5, v7
	v_accvgpr_read_b32 v8, a20
	v_mul_hi_u32 v7, v5, v8
	v_mul_lo_u32 v7, v7, v30
	v_sub_u32_e32 v5, v5, v7
	v_sub_u32_e32 v7, v5, v30
	v_cmp_ge_u32_e32 vcc, v5, v30
	v_cndmask_b32_e32 v5, v5, v7, vcc
	v_sub_u32_e32 v7, v5, v30
	v_cmp_ge_u32_e32 vcc, v5, v30
	v_cndmask_b32_e32 v5, v5, v7, vcc
	v_xor_b32_e32 v5, v5, v6
	v_sub_u32_e32 v5, v5, v6
	v_cmp_eq_u32_e32 vcc, 0, v5
	v_accvgpr_read_b32 v5, a14
	v_cmp_gt_i32_e64 s[4:5], v4, v5
	s_or_b64 s[4:5], vcc, s[4:5]
	s_and_saveexec_b64 s[8:9], s[4:5]
	s_cbranch_execz .LBB374_369
; %bb.371:                              ;   in Loop: Header=BB374_370 Depth=1
	flat_load_dword v16, v[14:15]
	ds_read2_b64 v[10:13], v29 offset1:1
	ds_read2_b64 v[6:9], v29 offset0:2 offset1:3
                                        ; implicit-def: $vgpr31
	s_waitcnt lgkmcnt(0)
	v_and_b32_e32 v4, 0x7f800000, v10
	v_cmp_ne_u32_e32 vcc, s15, v4
	s_and_saveexec_b64 s[4:5], vcc
	s_xor_b64 s[4:5], exec, s[4:5]
; %bb.372:                              ;   in Loop: Header=BB374_370 Depth=1
	v_bfe_u32 v4, v10, 16, 1
	v_add3_u32 v31, v10, v4, s30
; %bb.373:                              ;   in Loop: Header=BB374_370 Depth=1
	s_andn2_saveexec_b64 s[4:5], s[4:5]
; %bb.374:                              ;   in Loop: Header=BB374_370 Depth=1
	v_or_b32_e32 v4, 0x10000, v10
	v_cmp_eq_u32_sdwa vcc, v10, v17 src0_sel:WORD_0 src1_sel:DWORD
	v_cndmask_b32_e32 v31, v4, v10, vcc
; %bb.375:                              ;   in Loop: Header=BB374_370 Depth=1
	s_or_b64 exec, exec, s[4:5]
	v_and_b32_e32 v4, 0x7f800000, v11
	v_cmp_ne_u32_e32 vcc, s15, v4
                                        ; implicit-def: $vgpr27
	s_and_saveexec_b64 s[4:5], vcc
	s_xor_b64 s[4:5], exec, s[4:5]
; %bb.376:                              ;   in Loop: Header=BB374_370 Depth=1
	v_bfe_u32 v4, v11, 16, 1
	v_add3_u32 v27, v11, v4, s30
; %bb.377:                              ;   in Loop: Header=BB374_370 Depth=1
	s_andn2_saveexec_b64 s[4:5], s[4:5]
; %bb.378:                              ;   in Loop: Header=BB374_370 Depth=1
	v_or_b32_e32 v4, 0x10000, v11
	v_cmp_eq_u32_sdwa vcc, v11, v17 src0_sel:WORD_0 src1_sel:DWORD
	v_cndmask_b32_e32 v27, v4, v11, vcc
; %bb.379:                              ;   in Loop: Header=BB374_370 Depth=1
	s_or_b64 exec, exec, s[4:5]
	v_and_b32_e32 v4, 0x7f800000, v12
	v_cmp_ne_u32_e32 vcc, s15, v4
                                        ; implicit-def: $vgpr26
	s_and_saveexec_b64 s[4:5], vcc
	s_xor_b64 s[4:5], exec, s[4:5]
; %bb.380:                              ;   in Loop: Header=BB374_370 Depth=1
	v_bfe_u32 v4, v12, 16, 1
	v_add3_u32 v26, v12, v4, s30
; %bb.381:                              ;   in Loop: Header=BB374_370 Depth=1
	s_andn2_saveexec_b64 s[4:5], s[4:5]
; %bb.382:                              ;   in Loop: Header=BB374_370 Depth=1
	v_or_b32_e32 v4, 0x10000, v12
	v_cmp_eq_u32_sdwa vcc, v12, v17 src0_sel:WORD_0 src1_sel:DWORD
	v_cndmask_b32_e32 v26, v4, v12, vcc
; %bb.383:                              ;   in Loop: Header=BB374_370 Depth=1
	s_or_b64 exec, exec, s[4:5]
	v_and_b32_e32 v4, 0x7f800000, v13
	v_cmp_ne_u32_e32 vcc, s15, v4
                                        ; implicit-def: $vgpr21
	s_and_saveexec_b64 s[4:5], vcc
	s_xor_b64 s[4:5], exec, s[4:5]
; %bb.384:                              ;   in Loop: Header=BB374_370 Depth=1
	v_bfe_u32 v4, v13, 16, 1
	v_add3_u32 v21, v13, v4, s30
                                        ; implicit-def: $vgpr10_vgpr11_vgpr12_vgpr13
; %bb.385:                              ;   in Loop: Header=BB374_370 Depth=1
	s_andn2_saveexec_b64 s[4:5], s[4:5]
; %bb.386:                              ;   in Loop: Header=BB374_370 Depth=1
	v_or_b32_e32 v4, 0x10000, v13
	v_cmp_eq_u32_sdwa vcc, v13, v17 src0_sel:WORD_0 src1_sel:DWORD
	v_cndmask_b32_e32 v21, v4, v13, vcc
; %bb.387:                              ;   in Loop: Header=BB374_370 Depth=1
	s_or_b64 exec, exec, s[4:5]
	v_and_b32_e32 v4, 0x7f800000, v6
	v_cmp_ne_u32_e32 vcc, s15, v4
                                        ; implicit-def: $vgpr5
	s_and_saveexec_b64 s[4:5], vcc
	s_xor_b64 s[4:5], exec, s[4:5]
; %bb.388:                              ;   in Loop: Header=BB374_370 Depth=1
	v_bfe_u32 v4, v6, 16, 1
	v_add3_u32 v5, v6, v4, s30
; %bb.389:                              ;   in Loop: Header=BB374_370 Depth=1
	s_andn2_saveexec_b64 s[4:5], s[4:5]
; %bb.390:                              ;   in Loop: Header=BB374_370 Depth=1
	v_or_b32_e32 v4, 0x10000, v6
	v_cmp_eq_u32_sdwa vcc, v6, v17 src0_sel:WORD_0 src1_sel:DWORD
	v_cndmask_b32_e32 v5, v4, v6, vcc
; %bb.391:                              ;   in Loop: Header=BB374_370 Depth=1
	s_or_b64 exec, exec, s[4:5]
	v_and_b32_e32 v4, 0x7f800000, v7
	v_cmp_ne_u32_e32 vcc, s15, v4
                                        ; implicit-def: $vgpr4
	s_and_saveexec_b64 s[4:5], vcc
	s_xor_b64 s[4:5], exec, s[4:5]
; %bb.392:                              ;   in Loop: Header=BB374_370 Depth=1
	v_bfe_u32 v4, v7, 16, 1
	v_add3_u32 v4, v7, v4, s30
; %bb.393:                              ;   in Loop: Header=BB374_370 Depth=1
	s_andn2_saveexec_b64 s[4:5], s[4:5]
; %bb.394:                              ;   in Loop: Header=BB374_370 Depth=1
	v_or_b32_e32 v4, 0x10000, v7
	v_cmp_eq_u32_sdwa vcc, v7, v17 src0_sel:WORD_0 src1_sel:DWORD
	v_cndmask_b32_e32 v4, v4, v7, vcc
; %bb.395:                              ;   in Loop: Header=BB374_370 Depth=1
	s_or_b64 exec, exec, s[4:5]
	v_and_b32_e32 v6, 0x7f800000, v8
	v_cmp_ne_u32_e32 vcc, s15, v6
                                        ; implicit-def: $vgpr19
	s_and_saveexec_b64 s[4:5], vcc
	s_xor_b64 s[4:5], exec, s[4:5]
; %bb.396:                              ;   in Loop: Header=BB374_370 Depth=1
	v_bfe_u32 v6, v8, 16, 1
	v_add3_u32 v19, v8, v6, s30
; %bb.397:                              ;   in Loop: Header=BB374_370 Depth=1
	s_andn2_saveexec_b64 s[4:5], s[4:5]
; %bb.398:                              ;   in Loop: Header=BB374_370 Depth=1
	v_or_b32_e32 v6, 0x10000, v8
	v_cmp_eq_u32_sdwa vcc, v8, v17 src0_sel:WORD_0 src1_sel:DWORD
	v_cndmask_b32_e32 v19, v6, v8, vcc
; %bb.399:                              ;   in Loop: Header=BB374_370 Depth=1
	s_or_b64 exec, exec, s[4:5]
	v_and_b32_e32 v6, 0x7f800000, v9
	v_cmp_ne_u32_e32 vcc, s15, v6
                                        ; implicit-def: $vgpr18
	s_and_saveexec_b64 s[4:5], vcc
	s_xor_b64 s[4:5], exec, s[4:5]
; %bb.400:                              ;   in Loop: Header=BB374_370 Depth=1
	v_bfe_u32 v6, v9, 16, 1
	v_add3_u32 v18, v9, v6, s30
                                        ; implicit-def: $vgpr6_vgpr7_vgpr8_vgpr9
; %bb.401:                              ;   in Loop: Header=BB374_370 Depth=1
	s_andn2_saveexec_b64 s[4:5], s[4:5]
; %bb.402:                              ;   in Loop: Header=BB374_370 Depth=1
	v_or_b32_e32 v6, 0x10000, v9
	v_cmp_eq_u32_sdwa vcc, v9, v17 src0_sel:WORD_0 src1_sel:DWORD
	v_cndmask_b32_e32 v18, v6, v9, vcc
; %bb.403:                              ;   in Loop: Header=BB374_370 Depth=1
	s_or_b64 exec, exec, s[4:5]
	v_accvgpr_read_b32 v8, a22
	v_accvgpr_read_b32 v6, a6
	;; [unrolled: 1-line block ×3, first 2 shown]
	s_waitcnt vmcnt(0)
	v_mad_i64_i32 v[6:7], s[4:5], v16, v6, v[8:9]
	v_accvgpr_read_b32 v11, a5
	flat_load_dwordx2 v[8:9], v[6:7]
	v_accvgpr_read_b32 v10, a4
	flat_load_dword v11, v[10:11]
	v_mov_b32_e32 v10, 0
	s_waitcnt vmcnt(0) lgkmcnt(0)
	v_cmp_ne_u16_sdwa s[10:11], v8, v17 src0_sel:BYTE_0 src1_sel:DWORD
	s_and_saveexec_b64 s[4:5], s[10:11]
	s_cbranch_execz .LBB374_409
; %bb.404:                              ;   in Loop: Header=BB374_370 Depth=1
	v_cmp_ne_u16_sdwa s[26:27], v8, s31 src0_sel:BYTE_0 src1_sel:DWORD
	v_bfrev_b32_e32 v10, 1
	s_and_saveexec_b64 s[10:11], s[26:27]
	s_cbranch_execz .LBB374_408
; %bb.405:                              ;   in Loop: Header=BB374_370 Depth=1
	v_and_b32_e32 v12, 0x7f, v8
	v_cmp_ne_u32_e32 vcc, s34, v12
	v_mov_b32_e32 v10, 0x7f800001
	s_and_saveexec_b64 s[26:27], vcc
	s_cbranch_execz .LBB374_407
; %bb.406:                              ;   in Loop: Header=BB374_370 Depth=1
	v_and_b32_e32 v10, 7, v8
	v_ffbh_u32_e32 v10, v10
	v_min_u32_e32 v10, 32, v10
	v_subrev_u32_e32 v16, 28, v10
	v_cmp_gt_u32_e32 vcc, 8, v12
	v_lshrrev_b32_e32 v13, 3, v12
	v_sub_u32_e32 v10, 29, v10
	v_cndmask_b32_e32 v12, 0, v16, vcc
	v_cndmask_b32_e32 v10, v13, v10, vcc
	v_lshlrev_b64 v[12:13], v12, v[8:9]
	v_lshlrev_b32_e32 v12, 20, v12
	v_lshlrev_b32_e32 v13, 24, v8
	v_bfrev_b32_e32 v16, 60
	v_and_b32_e32 v12, 0x700000, v12
	v_and_b32_e32 v13, 0x80000000, v13
	v_lshl_add_u32 v10, v10, 23, v16
	v_or3_b32 v10, v13, v10, v12
.LBB374_407:                            ;   in Loop: Header=BB374_370 Depth=1
	s_or_b64 exec, exec, s[26:27]
.LBB374_408:                            ;   in Loop: Header=BB374_370 Depth=1
	s_or_b64 exec, exec, s[10:11]
.LBB374_409:                            ;   in Loop: Header=BB374_370 Depth=1
	s_or_b64 exec, exec, s[4:5]
	v_mul_f32_e32 v10, v11, v10
	v_and_b32_e32 v12, 0x7f800000, v10
	v_cmp_ne_u32_e32 vcc, s15, v12
                                        ; implicit-def: $vgpr12
	s_and_saveexec_b64 s[4:5], vcc
	s_xor_b64 s[4:5], exec, s[4:5]
; %bb.410:                              ;   in Loop: Header=BB374_370 Depth=1
	v_bfe_u32 v12, v10, 16, 1
	v_add3_u32 v12, v10, v12, s30
                                        ; implicit-def: $vgpr10
; %bb.411:                              ;   in Loop: Header=BB374_370 Depth=1
	s_andn2_saveexec_b64 s[4:5], s[4:5]
; %bb.412:                              ;   in Loop: Header=BB374_370 Depth=1
	v_or_b32_e32 v12, 0x10000, v10
	v_cmp_eq_u32_sdwa vcc, v10, v17 src0_sel:WORD_0 src1_sel:DWORD
	v_cndmask_b32_e32 v12, v12, v10, vcc
; %bb.413:                              ;   in Loop: Header=BB374_370 Depth=1
	s_or_b64 exec, exec, s[4:5]
	v_lshrrev_b16_e32 v10, 8, v8
	v_cmp_ne_u16_e32 vcc, 0, v10
	v_mov_b32_e32 v13, 0
	s_and_saveexec_b64 s[4:5], vcc
	s_cbranch_execz .LBB374_419
; %bb.414:                              ;   in Loop: Header=BB374_370 Depth=1
	v_cmp_ne_u16_e32 vcc, s31, v10
	v_bfrev_b32_e32 v13, 1
	s_and_saveexec_b64 s[10:11], vcc
	s_cbranch_execz .LBB374_418
; %bb.415:                              ;   in Loop: Header=BB374_370 Depth=1
	v_and_b32_e32 v16, 0x7f, v10
	v_cmp_ne_u32_e32 vcc, s34, v16
	v_mov_b32_e32 v13, 0x7f800001
	s_and_saveexec_b64 s[26:27], vcc
	s_cbranch_execz .LBB374_417
; %bb.416:                              ;   in Loop: Header=BB374_370 Depth=1
	v_and_b32_e32 v13, 7, v10
	v_ffbh_u32_e32 v22, v13
	v_min_u32_e32 v22, 32, v22
	v_subrev_u32_e32 v23, 28, v22
	v_lshlrev_b64 v[24:25], v23, v[10:11]
	v_lshrrev_b32_e32 v20, 3, v16
	v_sub_u32_e32 v10, 29, v22
	v_and_b32_e32 v22, 7, v24
	v_cmp_gt_u32_e32 vcc, 8, v16
	v_cndmask_b32_e32 v10, v20, v10, vcc
	v_cndmask_b32_e32 v13, v13, v22, vcc
	v_lshlrev_b32_e32 v16, 16, v8
	v_bfrev_b32_e32 v20, 60
	v_lshlrev_b32_e32 v13, 20, v13
	v_and_b32_e32 v16, 0x80000000, v16
	v_lshl_add_u32 v10, v10, 23, v20
	v_or3_b32 v13, v16, v10, v13
.LBB374_417:                            ;   in Loop: Header=BB374_370 Depth=1
	s_or_b64 exec, exec, s[26:27]
.LBB374_418:                            ;   in Loop: Header=BB374_370 Depth=1
	s_or_b64 exec, exec, s[10:11]
.LBB374_419:                            ;   in Loop: Header=BB374_370 Depth=1
	s_or_b64 exec, exec, s[4:5]
	v_mul_f32_e32 v10, v11, v13
	v_and_b32_e32 v13, 0x7f800000, v10
	v_cmp_ne_u32_e32 vcc, s15, v13
                                        ; implicit-def: $vgpr13
	s_and_saveexec_b64 s[4:5], vcc
	s_xor_b64 s[4:5], exec, s[4:5]
; %bb.420:                              ;   in Loop: Header=BB374_370 Depth=1
	v_bfe_u32 v13, v10, 16, 1
	v_add3_u32 v13, v10, v13, s30
                                        ; implicit-def: $vgpr10
; %bb.421:                              ;   in Loop: Header=BB374_370 Depth=1
	s_andn2_saveexec_b64 s[4:5], s[4:5]
; %bb.422:                              ;   in Loop: Header=BB374_370 Depth=1
	v_or_b32_e32 v13, 0x10000, v10
	v_cmp_eq_u32_sdwa vcc, v10, v17 src0_sel:WORD_0 src1_sel:DWORD
	v_cndmask_b32_e32 v13, v13, v10, vcc
; %bb.423:                              ;   in Loop: Header=BB374_370 Depth=1
	s_or_b64 exec, exec, s[4:5]
	v_lshrrev_b32_e32 v10, 16, v8
	v_cmp_ne_u16_sdwa s[10:11], v10, v17 src0_sel:BYTE_0 src1_sel:DWORD
	v_mov_b32_e32 v16, 0
	s_and_saveexec_b64 s[4:5], s[10:11]
	s_cbranch_execz .LBB374_429
; %bb.424:                              ;   in Loop: Header=BB374_370 Depth=1
	v_cmp_ne_u16_sdwa s[26:27], v10, s31 src0_sel:BYTE_0 src1_sel:DWORD
	v_bfrev_b32_e32 v16, 1
	s_and_saveexec_b64 s[10:11], s[26:27]
	s_cbranch_execz .LBB374_428
; %bb.425:                              ;   in Loop: Header=BB374_370 Depth=1
	v_bfe_u32 v20, v8, 16, 7
	v_cmp_ne_u32_e32 vcc, s34, v20
	v_mov_b32_e32 v16, 0x7f800001
	s_and_saveexec_b64 s[26:27], vcc
	s_cbranch_execz .LBB374_427
; %bb.426:                              ;   in Loop: Header=BB374_370 Depth=1
	v_and_b32_e32 v16, 7, v10
	v_ffbh_u32_e32 v23, v16
	v_min_u32_e32 v23, 32, v23
	v_subrev_u32_e32 v24, 28, v23
	v_lshlrev_b64 v[24:25], v24, v[10:11]
	v_lshrrev_b32_e32 v22, 3, v20
	v_sub_u32_e32 v23, 29, v23
	v_and_b32_e32 v24, 7, v24
	v_cmp_gt_u32_e32 vcc, 8, v20
	v_cndmask_b32_e32 v20, v22, v23, vcc
	v_cndmask_b32_e32 v16, v16, v24, vcc
	v_lshlrev_b32_e32 v10, 24, v10
	v_bfrev_b32_e32 v22, 60
	v_lshlrev_b32_e32 v16, 20, v16
	v_and_b32_e32 v10, 0x80000000, v10
	v_lshl_add_u32 v20, v20, 23, v22
	v_or3_b32 v16, v10, v20, v16
.LBB374_427:                            ;   in Loop: Header=BB374_370 Depth=1
	s_or_b64 exec, exec, s[26:27]
.LBB374_428:                            ;   in Loop: Header=BB374_370 Depth=1
	s_or_b64 exec, exec, s[10:11]
.LBB374_429:                            ;   in Loop: Header=BB374_370 Depth=1
	s_or_b64 exec, exec, s[4:5]
	v_mul_f32_e32 v10, v11, v16
	v_and_b32_e32 v16, 0x7f800000, v10
	v_cmp_ne_u32_e32 vcc, s15, v16
                                        ; implicit-def: $vgpr20
	s_and_saveexec_b64 s[4:5], vcc
	s_xor_b64 s[4:5], exec, s[4:5]
; %bb.430:                              ;   in Loop: Header=BB374_370 Depth=1
	v_bfe_u32 v16, v10, 16, 1
	v_add3_u32 v20, v10, v16, s30
                                        ; implicit-def: $vgpr10
; %bb.431:                              ;   in Loop: Header=BB374_370 Depth=1
	s_andn2_saveexec_b64 s[4:5], s[4:5]
; %bb.432:                              ;   in Loop: Header=BB374_370 Depth=1
	v_or_b32_e32 v16, 0x10000, v10
	v_cmp_eq_u32_sdwa vcc, v10, v17 src0_sel:WORD_0 src1_sel:DWORD
	v_cndmask_b32_e32 v20, v16, v10, vcc
; %bb.433:                              ;   in Loop: Header=BB374_370 Depth=1
	s_or_b64 exec, exec, s[4:5]
	v_cmp_lt_u32_e32 vcc, s23, v8
	v_mov_b32_e32 v16, 0
	s_and_saveexec_b64 s[4:5], vcc
	s_cbranch_execz .LBB374_439
; %bb.434:                              ;   in Loop: Header=BB374_370 Depth=1
	v_lshrrev_b32_e32 v10, 24, v8
	v_cmp_ne_u32_e32 vcc, s31, v10
	v_bfrev_b32_e32 v16, 1
	s_and_saveexec_b64 s[10:11], vcc
	s_cbranch_execz .LBB374_438
; %bb.435:                              ;   in Loop: Header=BB374_370 Depth=1
	v_bfe_u32 v22, v8, 24, 7
	v_cmp_ne_u32_e32 vcc, s34, v22
	v_mov_b32_e32 v16, 0x7f800001
	s_and_saveexec_b64 s[26:27], vcc
	s_cbranch_execz .LBB374_437
; %bb.436:                              ;   in Loop: Header=BB374_370 Depth=1
	v_and_b32_e32 v16, 7, v10
	v_ffbh_u32_e32 v24, v16
	v_min_u32_e32 v28, 32, v24
	v_subrev_u32_e32 v24, 28, v28
	v_lshlrev_b64 v[24:25], v24, v[10:11]
	v_lshrrev_b32_e32 v23, 3, v22
	v_sub_u32_e32 v25, 29, v28
	v_and_b32_e32 v24, 7, v24
	v_cmp_gt_u32_e32 vcc, 8, v22
	v_cndmask_b32_e32 v22, v23, v25, vcc
	v_cndmask_b32_e32 v16, v16, v24, vcc
	v_lshlrev_b32_e32 v10, 24, v10
	v_bfrev_b32_e32 v23, 60
	v_lshlrev_b32_e32 v16, 20, v16
	v_and_b32_e32 v10, 0x80000000, v10
	v_lshl_add_u32 v22, v22, 23, v23
	v_or3_b32 v16, v10, v22, v16
.LBB374_437:                            ;   in Loop: Header=BB374_370 Depth=1
	s_or_b64 exec, exec, s[26:27]
.LBB374_438:                            ;   in Loop: Header=BB374_370 Depth=1
	s_or_b64 exec, exec, s[10:11]
.LBB374_439:                            ;   in Loop: Header=BB374_370 Depth=1
	s_or_b64 exec, exec, s[4:5]
	v_mul_f32_e32 v10, v11, v16
	v_and_b32_e32 v16, 0x7f800000, v10
	v_cmp_ne_u32_e32 vcc, s15, v16
                                        ; implicit-def: $vgpr22
	s_and_saveexec_b64 s[4:5], vcc
	s_xor_b64 s[4:5], exec, s[4:5]
; %bb.440:                              ;   in Loop: Header=BB374_370 Depth=1
	v_bfe_u32 v16, v10, 16, 1
	v_add3_u32 v22, v10, v16, s30
                                        ; implicit-def: $vgpr10
; %bb.441:                              ;   in Loop: Header=BB374_370 Depth=1
	s_andn2_saveexec_b64 s[4:5], s[4:5]
; %bb.442:                              ;   in Loop: Header=BB374_370 Depth=1
	v_or_b32_e32 v16, 0x10000, v10
	v_cmp_eq_u32_sdwa vcc, v10, v17 src0_sel:WORD_0 src1_sel:DWORD
	v_cndmask_b32_e32 v22, v16, v10, vcc
; %bb.443:                              ;   in Loop: Header=BB374_370 Depth=1
	s_or_b64 exec, exec, s[4:5]
	v_mov_b32_e32 v16, v9
	v_cmp_ne_u16_sdwa s[10:11], v9, v17 src0_sel:BYTE_0 src1_sel:DWORD
	v_mov_b32_e32 v10, 0
	s_and_saveexec_b64 s[4:5], s[10:11]
	s_cbranch_execz .LBB374_449
; %bb.444:                              ;   in Loop: Header=BB374_370 Depth=1
	v_cmp_ne_u16_sdwa s[26:27], v9, s31 src0_sel:BYTE_0 src1_sel:DWORD
	v_bfrev_b32_e32 v10, 1
	s_and_saveexec_b64 s[10:11], s[26:27]
	s_cbranch_execz .LBB374_448
; %bb.445:                              ;   in Loop: Header=BB374_370 Depth=1
	v_and_b32_e32 v24, 0x7f, v9
	v_cmp_ne_u32_e32 vcc, s34, v24
	v_mov_b32_e32 v10, 0x7f800001
	s_and_saveexec_b64 s[26:27], vcc
	s_cbranch_execz .LBB374_447
; %bb.446:                              ;   in Loop: Header=BB374_370 Depth=1
	v_and_b32_e32 v10, 7, v9
	v_ffbh_u32_e32 v10, v10
	v_min_u32_e32 v10, 32, v10
	v_lshrrev_b32_e32 v23, 3, v24
	v_subrev_u32_e32 v25, 28, v10
	v_sub_u32_e32 v10, 29, v10
	v_cmp_gt_u32_e32 vcc, 8, v24
	v_cndmask_b32_e32 v10, v23, v10, vcc
	v_cndmask_b32_e32 v23, 0, v25, vcc
	v_lshlrev_b64 v[24:25], v23, v[16:17]
	v_lshlrev_b32_e32 v23, 20, v24
	v_lshlrev_b32_e32 v24, 24, v16
	v_bfrev_b32_e32 v25, 60
	v_and_b32_e32 v23, 0x700000, v23
	v_and_b32_e32 v24, 0x80000000, v24
	v_lshl_add_u32 v10, v10, 23, v25
	v_or3_b32 v10, v24, v10, v23
.LBB374_447:                            ;   in Loop: Header=BB374_370 Depth=1
	s_or_b64 exec, exec, s[26:27]
.LBB374_448:                            ;   in Loop: Header=BB374_370 Depth=1
	s_or_b64 exec, exec, s[10:11]
.LBB374_449:                            ;   in Loop: Header=BB374_370 Depth=1
	s_or_b64 exec, exec, s[4:5]
	v_mul_f32_e32 v10, v11, v10
	v_and_b32_e32 v23, 0x7f800000, v10
	v_cmp_ne_u32_e32 vcc, s15, v23
                                        ; implicit-def: $vgpr24
	s_and_saveexec_b64 s[4:5], vcc
	s_xor_b64 s[4:5], exec, s[4:5]
; %bb.450:                              ;   in Loop: Header=BB374_370 Depth=1
	v_bfe_u32 v23, v10, 16, 1
	v_add3_u32 v24, v10, v23, s30
                                        ; implicit-def: $vgpr10
; %bb.451:                              ;   in Loop: Header=BB374_370 Depth=1
	s_andn2_saveexec_b64 s[4:5], s[4:5]
; %bb.452:                              ;   in Loop: Header=BB374_370 Depth=1
	v_or_b32_e32 v23, 0x10000, v10
	v_cmp_eq_u32_sdwa vcc, v10, v17 src0_sel:WORD_0 src1_sel:DWORD
	v_cndmask_b32_e32 v24, v23, v10, vcc
; %bb.453:                              ;   in Loop: Header=BB374_370 Depth=1
	s_or_b64 exec, exec, s[4:5]
	v_lshrrev_b16_e32 v10, 8, v16
	v_cmp_ne_u16_e32 vcc, 0, v10
	v_mov_b32_e32 v25, 0
	s_and_saveexec_b64 s[4:5], vcc
	s_cbranch_execz .LBB374_459
; %bb.454:                              ;   in Loop: Header=BB374_370 Depth=1
	v_cmp_ne_u16_e32 vcc, s31, v10
	v_bfrev_b32_e32 v25, 1
	s_and_saveexec_b64 s[10:11], vcc
	s_cbranch_execz .LBB374_458
; %bb.455:                              ;   in Loop: Header=BB374_370 Depth=1
	v_and_b32_e32 v32, 0x7f, v10
	v_cmp_ne_u32_e32 vcc, s34, v32
	v_mov_b32_e32 v25, 0x7f800001
	s_and_saveexec_b64 s[26:27], vcc
	s_cbranch_execz .LBB374_457
; %bb.456:                              ;   in Loop: Header=BB374_370 Depth=1
	v_and_b32_e32 v23, 7, v10
	v_ffbh_u32_e32 v28, v23
	v_min_u32_e32 v28, 32, v28
	v_subrev_u32_e32 v33, 28, v28
	v_lshlrev_b64 v[34:35], v33, v[10:11]
	v_lshrrev_b32_e32 v25, 3, v32
	v_sub_u32_e32 v10, 29, v28
	v_and_b32_e32 v28, 7, v34
	v_cmp_gt_u32_e32 vcc, 8, v32
	v_cndmask_b32_e32 v10, v25, v10, vcc
	v_cndmask_b32_e32 v23, v23, v28, vcc
	v_lshlrev_b32_e32 v16, 16, v16
	v_bfrev_b32_e32 v25, 60
	v_lshlrev_b32_e32 v23, 20, v23
	v_and_b32_e32 v16, 0x80000000, v16
	v_lshl_add_u32 v10, v10, 23, v25
	v_or3_b32 v25, v16, v10, v23
.LBB374_457:                            ;   in Loop: Header=BB374_370 Depth=1
	s_or_b64 exec, exec, s[26:27]
.LBB374_458:                            ;   in Loop: Header=BB374_370 Depth=1
	s_or_b64 exec, exec, s[10:11]
.LBB374_459:                            ;   in Loop: Header=BB374_370 Depth=1
	s_or_b64 exec, exec, s[4:5]
	v_mul_f32_e32 v10, v11, v25
	v_and_b32_e32 v16, 0x7f800000, v10
	v_cmp_ne_u32_e32 vcc, s15, v16
                                        ; implicit-def: $vgpr16
	s_and_saveexec_b64 s[4:5], vcc
	s_xor_b64 s[4:5], exec, s[4:5]
; %bb.460:                              ;   in Loop: Header=BB374_370 Depth=1
	v_bfe_u32 v16, v10, 16, 1
	v_add3_u32 v16, v10, v16, s30
                                        ; implicit-def: $vgpr10
; %bb.461:                              ;   in Loop: Header=BB374_370 Depth=1
	s_andn2_saveexec_b64 s[4:5], s[4:5]
; %bb.462:                              ;   in Loop: Header=BB374_370 Depth=1
	v_or_b32_e32 v16, 0x10000, v10
	v_cmp_eq_u32_sdwa vcc, v10, v17 src0_sel:WORD_0 src1_sel:DWORD
	v_cndmask_b32_e32 v16, v16, v10, vcc
; %bb.463:                              ;   in Loop: Header=BB374_370 Depth=1
	s_or_b64 exec, exec, s[4:5]
	v_lshrrev_b32_e32 v10, 16, v9
	v_cmp_ne_u16_sdwa s[10:11], v10, v17 src0_sel:BYTE_0 src1_sel:DWORD
	v_mov_b32_e32 v25, 0
	s_and_saveexec_b64 s[4:5], s[10:11]
	s_cbranch_execz .LBB374_469
; %bb.464:                              ;   in Loop: Header=BB374_370 Depth=1
	v_cmp_ne_u16_sdwa s[26:27], v10, s31 src0_sel:BYTE_0 src1_sel:DWORD
	v_bfrev_b32_e32 v25, 1
	s_and_saveexec_b64 s[10:11], s[26:27]
	s_cbranch_execz .LBB374_468
; %bb.465:                              ;   in Loop: Header=BB374_370 Depth=1
	v_bfe_u32 v32, v9, 16, 7
	v_cmp_ne_u32_e32 vcc, s34, v32
	v_mov_b32_e32 v25, 0x7f800001
	s_and_saveexec_b64 s[26:27], vcc
	s_cbranch_execz .LBB374_467
; %bb.466:                              ;   in Loop: Header=BB374_370 Depth=1
	v_and_b32_e32 v23, 7, v10
	v_ffbh_u32_e32 v28, v23
	v_min_u32_e32 v28, 32, v28
	v_subrev_u32_e32 v33, 28, v28
	v_lshlrev_b64 v[34:35], v33, v[10:11]
	v_lshrrev_b32_e32 v25, 3, v32
	v_sub_u32_e32 v28, 29, v28
	v_and_b32_e32 v33, 7, v34
	v_cmp_gt_u32_e32 vcc, 8, v32
	v_cndmask_b32_e32 v25, v25, v28, vcc
	v_cndmask_b32_e32 v23, v23, v33, vcc
	v_lshlrev_b32_e32 v10, 24, v10
	v_bfrev_b32_e32 v28, 60
	v_lshlrev_b32_e32 v23, 20, v23
	v_and_b32_e32 v10, 0x80000000, v10
	v_lshl_add_u32 v25, v25, 23, v28
	v_or3_b32 v25, v10, v25, v23
.LBB374_467:                            ;   in Loop: Header=BB374_370 Depth=1
	s_or_b64 exec, exec, s[26:27]
.LBB374_468:                            ;   in Loop: Header=BB374_370 Depth=1
	s_or_b64 exec, exec, s[10:11]
.LBB374_469:                            ;   in Loop: Header=BB374_370 Depth=1
	s_or_b64 exec, exec, s[4:5]
	v_mul_f32_e32 v10, v11, v25
	v_and_b32_e32 v23, 0x7f800000, v10
	v_cmp_ne_u32_e32 vcc, s15, v23
                                        ; implicit-def: $vgpr25
	s_and_saveexec_b64 s[4:5], vcc
	s_xor_b64 s[4:5], exec, s[4:5]
; %bb.470:                              ;   in Loop: Header=BB374_370 Depth=1
	v_bfe_u32 v23, v10, 16, 1
	v_add3_u32 v25, v10, v23, s30
                                        ; implicit-def: $vgpr10
; %bb.471:                              ;   in Loop: Header=BB374_370 Depth=1
	s_andn2_saveexec_b64 s[4:5], s[4:5]
; %bb.472:                              ;   in Loop: Header=BB374_370 Depth=1
	v_or_b32_e32 v23, 0x10000, v10
	v_cmp_eq_u32_sdwa vcc, v10, v17 src0_sel:WORD_0 src1_sel:DWORD
	v_cndmask_b32_e32 v25, v23, v10, vcc
; %bb.473:                              ;   in Loop: Header=BB374_370 Depth=1
	s_or_b64 exec, exec, s[4:5]
	v_cmp_lt_u64_e32 vcc, s[22:23], v[8:9]
	v_mov_b32_e32 v10, 0
	s_and_saveexec_b64 s[4:5], vcc
	s_cbranch_execz .LBB374_479
; %bb.474:                              ;   in Loop: Header=BB374_370 Depth=1
	v_lshrrev_b32_e32 v8, 24, v9
	v_cmp_ne_u32_e32 vcc, s31, v8
	v_bfrev_b32_e32 v10, 1
	s_and_saveexec_b64 s[10:11], vcc
	s_cbranch_execz .LBB374_478
; %bb.475:                              ;   in Loop: Header=BB374_370 Depth=1
	v_bfe_u32 v9, v9, 24, 7
	v_cmp_ne_u32_e32 vcc, s34, v9
	v_mov_b32_e32 v10, 0x7f800001
	s_and_saveexec_b64 s[26:27], vcc
	s_cbranch_execz .LBB374_477
; %bb.476:                              ;   in Loop: Header=BB374_370 Depth=1
	v_and_b32_e32 v10, 7, v8
	v_ffbh_u32_e32 v28, v10
	v_min_u32_e32 v28, 32, v28
	v_subrev_u32_e32 v32, 28, v28
	v_lshlrev_b64 v[32:33], v32, v[8:9]
	v_lshrrev_b32_e32 v23, 3, v9
	v_sub_u32_e32 v28, 29, v28
	v_and_b32_e32 v32, 7, v32
	v_cmp_gt_u32_e32 vcc, 8, v9
	v_cndmask_b32_e32 v9, v23, v28, vcc
	v_cndmask_b32_e32 v10, v10, v32, vcc
	v_lshlrev_b32_e32 v8, 24, v8
	v_bfrev_b32_e32 v23, 60
	v_lshlrev_b32_e32 v10, 20, v10
	v_and_b32_e32 v8, 0x80000000, v8
	v_lshl_add_u32 v9, v9, 23, v23
	v_or3_b32 v10, v8, v9, v10
.LBB374_477:                            ;   in Loop: Header=BB374_370 Depth=1
	s_or_b64 exec, exec, s[26:27]
.LBB374_478:                            ;   in Loop: Header=BB374_370 Depth=1
	s_or_b64 exec, exec, s[10:11]
.LBB374_479:                            ;   in Loop: Header=BB374_370 Depth=1
	s_or_b64 exec, exec, s[4:5]
	v_mul_f32_e32 v9, v11, v10
	v_and_b32_e32 v8, 0x7f800000, v9
	v_cmp_ne_u32_e32 vcc, s15, v8
                                        ; implicit-def: $vgpr8
	s_and_saveexec_b64 s[4:5], vcc
	s_xor_b64 s[4:5], exec, s[4:5]
; %bb.480:                              ;   in Loop: Header=BB374_370 Depth=1
	v_bfe_u32 v8, v9, 16, 1
	v_add3_u32 v8, v9, v8, s30
                                        ; implicit-def: $vgpr9
; %bb.481:                              ;   in Loop: Header=BB374_370 Depth=1
	s_andn2_saveexec_b64 s[4:5], s[4:5]
; %bb.482:                              ;   in Loop: Header=BB374_370 Depth=1
	v_or_b32_e32 v8, 0x10000, v9
	v_cmp_eq_u32_sdwa vcc, v9, v17 src0_sel:WORD_0 src1_sel:DWORD
	v_cndmask_b32_e32 v8, v8, v9, vcc
; %bb.483:                              ;   in Loop: Header=BB374_370 Depth=1
	s_or_b64 exec, exec, s[4:5]
	v_accvgpr_read_b32 v10, a12
	v_accvgpr_read_b32 v9, a19
	v_cmp_eq_u32_e32 vcc, v9, v10
	v_accvgpr_read_b32 v9, a13
	v_add_u32_e32 v49, v53, v9
	v_add_u32_e32 v23, 3, v49
	v_accvgpr_write_b32 a26, v23
	v_add_u32_e32 v23, 5, v49
	v_accvgpr_write_b32 a25, v23
	;; [unrolled: 2-line block ×3, first 2 shown]
	v_add_u32_e32 v23, 7, v49
	v_lshrrev_b32_e32 v10, 16, v16
	v_lshrrev_b32_e32 v16, 16, v24
	;; [unrolled: 1-line block ×8, first 2 shown]
	v_add_u32_e32 v41, 1, v49
	v_add_u32_e32 v40, 2, v49
	;; [unrolled: 1-line block ×3, first 2 shown]
	v_accvgpr_write_b32 a21, v23
	s_and_saveexec_b64 s[10:11], vcc
	s_cbranch_execz .LBB374_485
; %bb.484:                              ;   in Loop: Header=BB374_370 Depth=1
	v_cmp_lt_i32_e64 s[4:5], v49, v55
	v_cndmask_b32_e64 v12, 0, v12, s[4:5]
	v_cmp_lt_i32_e64 s[4:5], v41, v55
	v_cndmask_b32_e64 v13, 0, v13, s[4:5]
	v_cmp_lt_i32_e64 s[4:5], v40, v55
	v_accvgpr_read_b32 v23, a26
	v_cndmask_b32_e64 v20, 0, v20, s[4:5]
	v_cmp_lt_i32_e64 s[4:5], v23, v55
	v_cndmask_b32_e64 v22, 0, v22, s[4:5]
	v_cmp_lt_i32_e64 s[4:5], v52, v55
	v_accvgpr_read_b32 v23, a25
	v_cndmask_b32_e64 v16, 0, v16, s[4:5]
	v_cmp_lt_i32_e64 s[4:5], v23, v55
	v_accvgpr_read_b32 v23, a24
	;; [unrolled: 3-line block ×3, first 2 shown]
	v_cndmask_b32_e64 v9, 0, v9, s[4:5]
	v_cmp_lt_i32_e64 s[4:5], v23, v55
	v_cndmask_b32_e64 v8, 0, v8, s[4:5]
.LBB374_485:                            ;   in Loop: Header=BB374_370 Depth=1
	s_or_b64 exec, exec, s[10:11]
	v_and_b32_e32 v44, 0xffff0000, v31
	v_lshlrev_b32_e32 v12, 16, v12
	v_mul_f32_e32 v24, v44, v12
	v_and_b32_e32 v12, 0x7f800000, v24
	v_cmp_ne_u32_e64 s[4:5], s15, v12
                                        ; implicit-def: $vgpr12
	s_and_saveexec_b64 s[10:11], s[4:5]
	s_xor_b64 s[4:5], exec, s[10:11]
; %bb.486:                              ;   in Loop: Header=BB374_370 Depth=1
	v_bfe_u32 v12, v24, 16, 1
	v_add3_u32 v12, v24, v12, s30
                                        ; implicit-def: $vgpr24
; %bb.487:                              ;   in Loop: Header=BB374_370 Depth=1
	s_andn2_saveexec_b64 s[10:11], s[4:5]
; %bb.488:                              ;   in Loop: Header=BB374_370 Depth=1
	v_or_b32_e32 v12, 0x10000, v24
	v_cmp_eq_u32_sdwa s[4:5], v24, v17 src0_sel:WORD_0 src1_sel:DWORD
	v_cndmask_b32_e64 v12, v12, v24, s[4:5]
; %bb.489:                              ;   in Loop: Header=BB374_370 Depth=1
	s_or_b64 exec, exec, s[10:11]
	v_and_b32_e32 v56, 0xffff0000, v27
	v_lshlrev_b32_e32 v13, 16, v13
	v_mul_f32_e32 v24, v56, v13
	v_and_b32_e32 v13, 0x7f800000, v24
	v_cmp_ne_u32_e64 s[4:5], s15, v13
                                        ; implicit-def: $vgpr13
	s_and_saveexec_b64 s[10:11], s[4:5]
	s_xor_b64 s[4:5], exec, s[10:11]
; %bb.490:                              ;   in Loop: Header=BB374_370 Depth=1
	v_bfe_u32 v13, v24, 16, 1
	v_add3_u32 v13, v24, v13, s30
                                        ; implicit-def: $vgpr24
; %bb.491:                              ;   in Loop: Header=BB374_370 Depth=1
	s_andn2_saveexec_b64 s[10:11], s[4:5]
; %bb.492:                              ;   in Loop: Header=BB374_370 Depth=1
	v_or_b32_e32 v13, 0x10000, v24
	v_cmp_eq_u32_sdwa s[4:5], v24, v17 src0_sel:WORD_0 src1_sel:DWORD
	v_cndmask_b32_e64 v13, v13, v24, s[4:5]
; %bb.493:                              ;   in Loop: Header=BB374_370 Depth=1
	s_or_b64 exec, exec, s[10:11]
	v_and_b32_e32 v57, 0xffff0000, v26
	v_lshlrev_b32_e32 v20, 16, v20
	v_mul_f32_e32 v20, v57, v20
	v_and_b32_e32 v23, 0x7f800000, v20
	v_cmp_ne_u32_e64 s[4:5], s15, v23
                                        ; implicit-def: $vgpr38
	s_and_saveexec_b64 s[10:11], s[4:5]
	s_xor_b64 s[4:5], exec, s[10:11]
; %bb.494:                              ;   in Loop: Header=BB374_370 Depth=1
	v_bfe_u32 v23, v20, 16, 1
	v_add3_u32 v38, v20, v23, s30
                                        ; implicit-def: $vgpr20
; %bb.495:                              ;   in Loop: Header=BB374_370 Depth=1
	s_andn2_saveexec_b64 s[10:11], s[4:5]
; %bb.496:                              ;   in Loop: Header=BB374_370 Depth=1
	v_or_b32_e32 v23, 0x10000, v20
	v_cmp_eq_u32_sdwa s[4:5], v20, v17 src0_sel:WORD_0 src1_sel:DWORD
	v_cndmask_b32_e64 v38, v23, v20, s[4:5]
; %bb.497:                              ;   in Loop: Header=BB374_370 Depth=1
	s_or_b64 exec, exec, s[10:11]
	v_and_b32_e32 v58, 0xffff0000, v21
	v_lshlrev_b32_e32 v20, 16, v22
	v_mul_f32_e32 v20, v58, v20
	v_and_b32_e32 v21, 0x7f800000, v20
	v_cmp_ne_u32_e64 s[4:5], s15, v21
                                        ; implicit-def: $vgpr39
	s_and_saveexec_b64 s[10:11], s[4:5]
	s_xor_b64 s[4:5], exec, s[10:11]
; %bb.498:                              ;   in Loop: Header=BB374_370 Depth=1
	v_bfe_u32 v21, v20, 16, 1
	v_add3_u32 v39, v20, v21, s30
                                        ; implicit-def: $vgpr20
; %bb.499:                              ;   in Loop: Header=BB374_370 Depth=1
	s_andn2_saveexec_b64 s[10:11], s[4:5]
; %bb.500:                              ;   in Loop: Header=BB374_370 Depth=1
	v_or_b32_e32 v21, 0x10000, v20
	v_cmp_eq_u32_sdwa s[4:5], v20, v17 src0_sel:WORD_0 src1_sel:DWORD
	v_cndmask_b32_e64 v39, v21, v20, s[4:5]
; %bb.501:                              ;   in Loop: Header=BB374_370 Depth=1
	s_or_b64 exec, exec, s[10:11]
	v_and_b32_e32 v59, 0xffff0000, v5
	v_lshlrev_b32_e32 v5, 16, v16
	v_mul_f32_e32 v16, v59, v5
	v_and_b32_e32 v5, 0x7f800000, v16
	v_cmp_ne_u32_e64 s[4:5], s15, v5
                                        ; implicit-def: $vgpr5
	s_and_saveexec_b64 s[10:11], s[4:5]
	s_xor_b64 s[4:5], exec, s[10:11]
; %bb.502:                              ;   in Loop: Header=BB374_370 Depth=1
	v_bfe_u32 v5, v16, 16, 1
	v_add3_u32 v5, v16, v5, s30
                                        ; implicit-def: $vgpr16
; %bb.503:                              ;   in Loop: Header=BB374_370 Depth=1
	s_andn2_saveexec_b64 s[10:11], s[4:5]
; %bb.504:                              ;   in Loop: Header=BB374_370 Depth=1
	v_or_b32_e32 v5, 0x10000, v16
	v_cmp_eq_u32_sdwa s[4:5], v16, v17 src0_sel:WORD_0 src1_sel:DWORD
	v_cndmask_b32_e64 v5, v5, v16, s[4:5]
; %bb.505:                              ;   in Loop: Header=BB374_370 Depth=1
	s_or_b64 exec, exec, s[10:11]
	v_and_b32_e32 v60, 0xffff0000, v4
	v_lshlrev_b32_e32 v4, 16, v10
	v_mul_f32_e32 v10, v60, v4
	v_and_b32_e32 v4, 0x7f800000, v10
	v_cmp_ne_u32_e64 s[4:5], s15, v4
                                        ; implicit-def: $vgpr4
	s_and_saveexec_b64 s[10:11], s[4:5]
	s_xor_b64 s[4:5], exec, s[10:11]
; %bb.506:                              ;   in Loop: Header=BB374_370 Depth=1
	v_bfe_u32 v4, v10, 16, 1
	v_add3_u32 v4, v10, v4, s30
                                        ; implicit-def: $vgpr10
; %bb.507:                              ;   in Loop: Header=BB374_370 Depth=1
	s_andn2_saveexec_b64 s[10:11], s[4:5]
; %bb.508:                              ;   in Loop: Header=BB374_370 Depth=1
	v_or_b32_e32 v4, 0x10000, v10
	v_cmp_eq_u32_sdwa s[4:5], v10, v17 src0_sel:WORD_0 src1_sel:DWORD
	v_cndmask_b32_e64 v4, v4, v10, s[4:5]
; %bb.509:                              ;   in Loop: Header=BB374_370 Depth=1
	s_or_b64 exec, exec, s[10:11]
	v_and_b32_e32 v61, 0xffff0000, v19
	v_lshlrev_b32_e32 v9, 16, v9
	v_mul_f32_e32 v9, v61, v9
	v_and_b32_e32 v10, 0x7f800000, v9
	v_cmp_ne_u32_e64 s[4:5], s15, v10
                                        ; implicit-def: $vgpr48
	s_and_saveexec_b64 s[10:11], s[4:5]
	s_xor_b64 s[4:5], exec, s[10:11]
; %bb.510:                              ;   in Loop: Header=BB374_370 Depth=1
	v_bfe_u32 v10, v9, 16, 1
	v_add3_u32 v48, v9, v10, s30
                                        ; implicit-def: $vgpr9
; %bb.511:                              ;   in Loop: Header=BB374_370 Depth=1
	s_andn2_saveexec_b64 s[10:11], s[4:5]
; %bb.512:                              ;   in Loop: Header=BB374_370 Depth=1
	v_or_b32_e32 v10, 0x10000, v9
	v_cmp_eq_u32_sdwa s[4:5], v9, v17 src0_sel:WORD_0 src1_sel:DWORD
	v_cndmask_b32_e64 v48, v10, v9, s[4:5]
; %bb.513:                              ;   in Loop: Header=BB374_370 Depth=1
	s_or_b64 exec, exec, s[10:11]
	v_and_b32_e32 v62, 0xffff0000, v18
	v_lshlrev_b32_e32 v8, 16, v8
	v_mul_f32_e32 v8, v62, v8
	v_and_b32_e32 v9, 0x7f800000, v8
	v_cmp_ne_u32_e64 s[4:5], s15, v9
                                        ; implicit-def: $vgpr42
	s_and_saveexec_b64 s[10:11], s[4:5]
	s_xor_b64 s[4:5], exec, s[10:11]
; %bb.514:                              ;   in Loop: Header=BB374_370 Depth=1
	v_bfe_u32 v9, v8, 16, 1
	v_add3_u32 v42, v8, v9, s30
                                        ; implicit-def: $vgpr8
; %bb.515:                              ;   in Loop: Header=BB374_370 Depth=1
	s_andn2_saveexec_b64 s[10:11], s[4:5]
; %bb.516:                              ;   in Loop: Header=BB374_370 Depth=1
	v_or_b32_e32 v9, 0x10000, v8
	v_cmp_eq_u32_sdwa s[4:5], v8, v17 src0_sel:WORD_0 src1_sel:DWORD
	v_cndmask_b32_e64 v42, v9, v8, s[4:5]
; %bb.517:                              ;   in Loop: Header=BB374_370 Depth=1
	s_or_b64 exec, exec, s[10:11]
	flat_load_dwordx2 v[8:9], v[6:7] offset:512
	v_mov_b32_e32 v10, 0
	s_waitcnt vmcnt(0) lgkmcnt(0)
	v_cmp_ne_u16_sdwa s[4:5], v8, v17 src0_sel:BYTE_0 src1_sel:DWORD
	s_and_saveexec_b64 s[10:11], s[4:5]
	s_cbranch_execz .LBB374_523
; %bb.518:                              ;   in Loop: Header=BB374_370 Depth=1
	v_cmp_ne_u16_sdwa s[4:5], v8, s31 src0_sel:BYTE_0 src1_sel:DWORD
	v_bfrev_b32_e32 v10, 1
	s_and_saveexec_b64 s[26:27], s[4:5]
	s_cbranch_execz .LBB374_522
; %bb.519:                              ;   in Loop: Header=BB374_370 Depth=1
	v_and_b32_e32 v16, 0x7f, v8
	v_cmp_ne_u32_e64 s[4:5], s34, v16
	v_mov_b32_e32 v10, 0x7f800001
	s_and_saveexec_b64 s[28:29], s[4:5]
	s_cbranch_execz .LBB374_521
; %bb.520:                              ;   in Loop: Header=BB374_370 Depth=1
	v_and_b32_e32 v10, 7, v8
	v_ffbh_u32_e32 v10, v10
	v_min_u32_e32 v10, 32, v10
	v_subrev_u32_e32 v19, 28, v10
	v_cmp_gt_u32_e64 s[4:5], 8, v16
	v_lshrrev_b32_e32 v18, 3, v16
	v_sub_u32_e32 v10, 29, v10
	v_cndmask_b32_e64 v16, 0, v19, s[4:5]
	v_cndmask_b32_e64 v10, v18, v10, s[4:5]
	v_lshlrev_b64 v[18:19], v16, v[8:9]
	v_lshlrev_b32_e32 v16, 20, v18
	v_lshlrev_b32_e32 v18, 24, v8
	v_bfrev_b32_e32 v19, 60
	v_and_b32_e32 v16, 0x700000, v16
	v_and_b32_e32 v18, 0x80000000, v18
	v_lshl_add_u32 v10, v10, 23, v19
	v_or3_b32 v10, v18, v10, v16
.LBB374_521:                            ;   in Loop: Header=BB374_370 Depth=1
	s_or_b64 exec, exec, s[28:29]
.LBB374_522:                            ;   in Loop: Header=BB374_370 Depth=1
	s_or_b64 exec, exec, s[26:27]
.LBB374_523:                            ;   in Loop: Header=BB374_370 Depth=1
	s_or_b64 exec, exec, s[10:11]
	v_mul_f32_e32 v10, v11, v10
	v_and_b32_e32 v16, 0x7f800000, v10
	v_cmp_ne_u32_e64 s[4:5], s15, v16
                                        ; implicit-def: $vgpr18
	s_and_saveexec_b64 s[10:11], s[4:5]
	s_xor_b64 s[4:5], exec, s[10:11]
; %bb.524:                              ;   in Loop: Header=BB374_370 Depth=1
	v_bfe_u32 v16, v10, 16, 1
	v_add3_u32 v18, v10, v16, s30
                                        ; implicit-def: $vgpr10
; %bb.525:                              ;   in Loop: Header=BB374_370 Depth=1
	s_andn2_saveexec_b64 s[10:11], s[4:5]
; %bb.526:                              ;   in Loop: Header=BB374_370 Depth=1
	v_or_b32_e32 v16, 0x10000, v10
	v_cmp_eq_u32_sdwa s[4:5], v10, v17 src0_sel:WORD_0 src1_sel:DWORD
	v_cndmask_b32_e64 v18, v16, v10, s[4:5]
; %bb.527:                              ;   in Loop: Header=BB374_370 Depth=1
	s_or_b64 exec, exec, s[10:11]
	v_lshrrev_b16_e32 v10, 8, v8
	v_cmp_ne_u16_e64 s[4:5], 0, v10
	v_mov_b32_e32 v16, 0
	s_and_saveexec_b64 s[10:11], s[4:5]
	s_cbranch_execz .LBB374_533
; %bb.528:                              ;   in Loop: Header=BB374_370 Depth=1
	v_cmp_ne_u16_e64 s[4:5], s31, v10
	v_bfrev_b32_e32 v16, 1
	s_and_saveexec_b64 s[26:27], s[4:5]
	s_cbranch_execz .LBB374_532
; %bb.529:                              ;   in Loop: Header=BB374_370 Depth=1
	v_and_b32_e32 v19, 0x7f, v10
	v_cmp_ne_u32_e64 s[4:5], s34, v19
	v_mov_b32_e32 v16, 0x7f800001
	s_and_saveexec_b64 s[28:29], s[4:5]
	s_cbranch_execz .LBB374_531
; %bb.530:                              ;   in Loop: Header=BB374_370 Depth=1
	v_and_b32_e32 v16, 7, v10
	v_ffbh_u32_e32 v20, v16
	v_min_u32_e32 v23, 32, v20
	v_subrev_u32_e32 v20, 28, v23
	v_lshlrev_b64 v[20:21], v20, v[10:11]
	v_lshrrev_b32_e32 v22, 3, v19
	v_sub_u32_e32 v10, 29, v23
	v_and_b32_e32 v20, 7, v20
	v_cmp_gt_u32_e64 s[4:5], 8, v19
	v_cndmask_b32_e64 v10, v22, v10, s[4:5]
	v_cndmask_b32_e64 v16, v16, v20, s[4:5]
	v_lshlrev_b32_e32 v19, 16, v8
	v_bfrev_b32_e32 v20, 60
	v_lshlrev_b32_e32 v16, 20, v16
	v_and_b32_e32 v19, 0x80000000, v19
	v_lshl_add_u32 v10, v10, 23, v20
	v_or3_b32 v16, v19, v10, v16
.LBB374_531:                            ;   in Loop: Header=BB374_370 Depth=1
	s_or_b64 exec, exec, s[28:29]
.LBB374_532:                            ;   in Loop: Header=BB374_370 Depth=1
	s_or_b64 exec, exec, s[26:27]
.LBB374_533:                            ;   in Loop: Header=BB374_370 Depth=1
	s_or_b64 exec, exec, s[10:11]
	v_mul_f32_e32 v10, v11, v16
	v_and_b32_e32 v16, 0x7f800000, v10
	v_cmp_ne_u32_e64 s[4:5], s15, v16
                                        ; implicit-def: $vgpr19
	s_and_saveexec_b64 s[10:11], s[4:5]
	s_xor_b64 s[4:5], exec, s[10:11]
; %bb.534:                              ;   in Loop: Header=BB374_370 Depth=1
	v_bfe_u32 v16, v10, 16, 1
	v_add3_u32 v19, v10, v16, s30
                                        ; implicit-def: $vgpr10
; %bb.535:                              ;   in Loop: Header=BB374_370 Depth=1
	s_andn2_saveexec_b64 s[10:11], s[4:5]
; %bb.536:                              ;   in Loop: Header=BB374_370 Depth=1
	v_or_b32_e32 v16, 0x10000, v10
	v_cmp_eq_u32_sdwa s[4:5], v10, v17 src0_sel:WORD_0 src1_sel:DWORD
	v_cndmask_b32_e64 v19, v16, v10, s[4:5]
; %bb.537:                              ;   in Loop: Header=BB374_370 Depth=1
	s_or_b64 exec, exec, s[10:11]
	v_lshrrev_b32_e32 v10, 16, v8
	v_cmp_ne_u16_sdwa s[4:5], v10, v17 src0_sel:BYTE_0 src1_sel:DWORD
	v_mov_b32_e32 v16, 0
	s_and_saveexec_b64 s[10:11], s[4:5]
	s_cbranch_execz .LBB374_543
; %bb.538:                              ;   in Loop: Header=BB374_370 Depth=1
	v_cmp_ne_u16_sdwa s[4:5], v10, s31 src0_sel:BYTE_0 src1_sel:DWORD
	v_bfrev_b32_e32 v16, 1
	s_and_saveexec_b64 s[26:27], s[4:5]
	s_cbranch_execz .LBB374_542
; %bb.539:                              ;   in Loop: Header=BB374_370 Depth=1
	v_bfe_u32 v20, v8, 16, 7
	v_cmp_ne_u32_e64 s[4:5], s34, v20
	v_mov_b32_e32 v16, 0x7f800001
	s_and_saveexec_b64 s[28:29], s[4:5]
	s_cbranch_execz .LBB374_541
; %bb.540:                              ;   in Loop: Header=BB374_370 Depth=1
	v_and_b32_e32 v16, 7, v10
	v_ffbh_u32_e32 v22, v16
	v_min_u32_e32 v22, 32, v22
	v_subrev_u32_e32 v23, 28, v22
	v_lshlrev_b64 v[24:25], v23, v[10:11]
	v_lshrrev_b32_e32 v21, 3, v20
	v_sub_u32_e32 v22, 29, v22
	v_and_b32_e32 v23, 7, v24
	v_cmp_gt_u32_e64 s[4:5], 8, v20
	v_cndmask_b32_e64 v20, v21, v22, s[4:5]
	v_cndmask_b32_e64 v16, v16, v23, s[4:5]
	v_lshlrev_b32_e32 v10, 24, v10
	v_bfrev_b32_e32 v21, 60
	v_lshlrev_b32_e32 v16, 20, v16
	v_and_b32_e32 v10, 0x80000000, v10
	v_lshl_add_u32 v20, v20, 23, v21
	v_or3_b32 v16, v10, v20, v16
.LBB374_541:                            ;   in Loop: Header=BB374_370 Depth=1
	s_or_b64 exec, exec, s[28:29]
.LBB374_542:                            ;   in Loop: Header=BB374_370 Depth=1
	s_or_b64 exec, exec, s[26:27]
.LBB374_543:                            ;   in Loop: Header=BB374_370 Depth=1
	s_or_b64 exec, exec, s[10:11]
	v_mul_f32_e32 v10, v11, v16
	v_and_b32_e32 v16, 0x7f800000, v10
	v_cmp_ne_u32_e64 s[4:5], s15, v16
                                        ; implicit-def: $vgpr20
	s_and_saveexec_b64 s[10:11], s[4:5]
	s_xor_b64 s[4:5], exec, s[10:11]
; %bb.544:                              ;   in Loop: Header=BB374_370 Depth=1
	v_bfe_u32 v16, v10, 16, 1
	v_add3_u32 v20, v10, v16, s30
                                        ; implicit-def: $vgpr10
; %bb.545:                              ;   in Loop: Header=BB374_370 Depth=1
	s_andn2_saveexec_b64 s[10:11], s[4:5]
; %bb.546:                              ;   in Loop: Header=BB374_370 Depth=1
	v_or_b32_e32 v16, 0x10000, v10
	v_cmp_eq_u32_sdwa s[4:5], v10, v17 src0_sel:WORD_0 src1_sel:DWORD
	v_cndmask_b32_e64 v20, v16, v10, s[4:5]
; %bb.547:                              ;   in Loop: Header=BB374_370 Depth=1
	s_or_b64 exec, exec, s[10:11]
	v_cmp_lt_u32_e64 s[4:5], s23, v8
	v_mov_b32_e32 v16, 0
	s_and_saveexec_b64 s[10:11], s[4:5]
	s_cbranch_execz .LBB374_553
; %bb.548:                              ;   in Loop: Header=BB374_370 Depth=1
	v_lshrrev_b32_e32 v10, 24, v8
	v_cmp_ne_u32_e64 s[4:5], s31, v10
	v_bfrev_b32_e32 v16, 1
	s_and_saveexec_b64 s[26:27], s[4:5]
	s_cbranch_execz .LBB374_552
; %bb.549:                              ;   in Loop: Header=BB374_370 Depth=1
	v_bfe_u32 v21, v8, 24, 7
	v_cmp_ne_u32_e64 s[4:5], s34, v21
	v_mov_b32_e32 v16, 0x7f800001
	s_and_saveexec_b64 s[28:29], s[4:5]
	s_cbranch_execz .LBB374_551
; %bb.550:                              ;   in Loop: Header=BB374_370 Depth=1
	v_and_b32_e32 v16, 7, v10
	v_ffbh_u32_e32 v23, v16
	v_min_u32_e32 v23, 32, v23
	v_subrev_u32_e32 v24, 28, v23
	v_lshlrev_b64 v[24:25], v24, v[10:11]
	v_lshrrev_b32_e32 v22, 3, v21
	v_sub_u32_e32 v23, 29, v23
	v_and_b32_e32 v24, 7, v24
	v_cmp_gt_u32_e64 s[4:5], 8, v21
	v_cndmask_b32_e64 v21, v22, v23, s[4:5]
	v_cndmask_b32_e64 v16, v16, v24, s[4:5]
	v_lshlrev_b32_e32 v10, 24, v10
	v_bfrev_b32_e32 v22, 60
	v_lshlrev_b32_e32 v16, 20, v16
	v_and_b32_e32 v10, 0x80000000, v10
	v_lshl_add_u32 v21, v21, 23, v22
	v_or3_b32 v16, v10, v21, v16
.LBB374_551:                            ;   in Loop: Header=BB374_370 Depth=1
	s_or_b64 exec, exec, s[28:29]
.LBB374_552:                            ;   in Loop: Header=BB374_370 Depth=1
	s_or_b64 exec, exec, s[26:27]
.LBB374_553:                            ;   in Loop: Header=BB374_370 Depth=1
	s_or_b64 exec, exec, s[10:11]
	v_mul_f32_e32 v10, v11, v16
	v_and_b32_e32 v16, 0x7f800000, v10
	v_cmp_ne_u32_e64 s[4:5], s15, v16
                                        ; implicit-def: $vgpr21
	s_and_saveexec_b64 s[10:11], s[4:5]
	s_xor_b64 s[4:5], exec, s[10:11]
; %bb.554:                              ;   in Loop: Header=BB374_370 Depth=1
	v_bfe_u32 v16, v10, 16, 1
	v_add3_u32 v21, v10, v16, s30
                                        ; implicit-def: $vgpr10
; %bb.555:                              ;   in Loop: Header=BB374_370 Depth=1
	s_andn2_saveexec_b64 s[10:11], s[4:5]
; %bb.556:                              ;   in Loop: Header=BB374_370 Depth=1
	v_or_b32_e32 v16, 0x10000, v10
	v_cmp_eq_u32_sdwa s[4:5], v10, v17 src0_sel:WORD_0 src1_sel:DWORD
	v_cndmask_b32_e64 v21, v16, v10, s[4:5]
; %bb.557:                              ;   in Loop: Header=BB374_370 Depth=1
	s_or_b64 exec, exec, s[10:11]
	v_mov_b32_e32 v16, v9
	v_cmp_ne_u16_sdwa s[4:5], v9, v17 src0_sel:BYTE_0 src1_sel:DWORD
	v_mov_b32_e32 v10, 0
	s_and_saveexec_b64 s[10:11], s[4:5]
	s_cbranch_execz .LBB374_563
; %bb.558:                              ;   in Loop: Header=BB374_370 Depth=1
	v_cmp_ne_u16_sdwa s[4:5], v9, s31 src0_sel:BYTE_0 src1_sel:DWORD
	v_bfrev_b32_e32 v10, 1
	s_and_saveexec_b64 s[26:27], s[4:5]
	s_cbranch_execz .LBB374_562
; %bb.559:                              ;   in Loop: Header=BB374_370 Depth=1
	v_and_b32_e32 v22, 0x7f, v9
	v_cmp_ne_u32_e64 s[4:5], s34, v22
	v_mov_b32_e32 v10, 0x7f800001
	s_and_saveexec_b64 s[28:29], s[4:5]
	s_cbranch_execz .LBB374_561
; %bb.560:                              ;   in Loop: Header=BB374_370 Depth=1
	v_and_b32_e32 v10, 7, v9
	v_ffbh_u32_e32 v10, v10
	v_min_u32_e32 v10, 32, v10
	v_subrev_u32_e32 v24, 28, v10
	v_cmp_gt_u32_e64 s[4:5], 8, v22
	v_lshrrev_b32_e32 v23, 3, v22
	v_cndmask_b32_e64 v22, 0, v24, s[4:5]
	v_sub_u32_e32 v10, 29, v10
	v_lshlrev_b64 v[24:25], v22, v[16:17]
	v_cndmask_b32_e64 v10, v23, v10, s[4:5]
	v_lshlrev_b32_e32 v22, 20, v24
	v_lshlrev_b32_e32 v23, 24, v16
	v_bfrev_b32_e32 v24, 60
	v_and_b32_e32 v22, 0x700000, v22
	v_and_b32_e32 v23, 0x80000000, v23
	v_lshl_add_u32 v10, v10, 23, v24
	v_or3_b32 v10, v23, v10, v22
.LBB374_561:                            ;   in Loop: Header=BB374_370 Depth=1
	s_or_b64 exec, exec, s[28:29]
.LBB374_562:                            ;   in Loop: Header=BB374_370 Depth=1
	s_or_b64 exec, exec, s[26:27]
.LBB374_563:                            ;   in Loop: Header=BB374_370 Depth=1
	s_or_b64 exec, exec, s[10:11]
	v_mul_f32_e32 v10, v11, v10
	v_and_b32_e32 v22, 0x7f800000, v10
	v_cmp_ne_u32_e64 s[4:5], s15, v22
                                        ; implicit-def: $vgpr22
	s_and_saveexec_b64 s[10:11], s[4:5]
	s_xor_b64 s[4:5], exec, s[10:11]
; %bb.564:                              ;   in Loop: Header=BB374_370 Depth=1
	v_bfe_u32 v22, v10, 16, 1
	v_add3_u32 v22, v10, v22, s30
                                        ; implicit-def: $vgpr10
; %bb.565:                              ;   in Loop: Header=BB374_370 Depth=1
	s_andn2_saveexec_b64 s[10:11], s[4:5]
; %bb.566:                              ;   in Loop: Header=BB374_370 Depth=1
	v_or_b32_e32 v22, 0x10000, v10
	v_cmp_eq_u32_sdwa s[4:5], v10, v17 src0_sel:WORD_0 src1_sel:DWORD
	v_cndmask_b32_e64 v22, v22, v10, s[4:5]
; %bb.567:                              ;   in Loop: Header=BB374_370 Depth=1
	s_or_b64 exec, exec, s[10:11]
	v_lshrrev_b16_e32 v10, 8, v16
	v_cmp_ne_u16_e64 s[4:5], 0, v10
	v_mov_b32_e32 v24, 0
	s_and_saveexec_b64 s[10:11], s[4:5]
	s_cbranch_execz .LBB374_573
; %bb.568:                              ;   in Loop: Header=BB374_370 Depth=1
	v_cmp_ne_u16_e64 s[4:5], s31, v10
	v_bfrev_b32_e32 v24, 1
	s_and_saveexec_b64 s[26:27], s[4:5]
	s_cbranch_execz .LBB374_572
; %bb.569:                              ;   in Loop: Header=BB374_370 Depth=1
	v_and_b32_e32 v25, 0x7f, v10
	v_cmp_ne_u32_e64 s[4:5], s34, v25
	v_mov_b32_e32 v24, 0x7f800001
	s_and_saveexec_b64 s[28:29], s[4:5]
	s_cbranch_execz .LBB374_571
; %bb.570:                              ;   in Loop: Header=BB374_370 Depth=1
	v_and_b32_e32 v23, 7, v10
	v_ffbh_u32_e32 v26, v23
	v_min_u32_e32 v28, 32, v26
	v_subrev_u32_e32 v26, 28, v28
	v_lshlrev_b64 v[26:27], v26, v[10:11]
	v_lshrrev_b32_e32 v24, 3, v25
	v_sub_u32_e32 v10, 29, v28
	v_and_b32_e32 v26, 7, v26
	v_cmp_gt_u32_e64 s[4:5], 8, v25
	v_cndmask_b32_e64 v10, v24, v10, s[4:5]
	v_cndmask_b32_e64 v23, v23, v26, s[4:5]
	v_lshlrev_b32_e32 v16, 16, v16
	v_bfrev_b32_e32 v24, 60
	v_lshlrev_b32_e32 v23, 20, v23
	v_and_b32_e32 v16, 0x80000000, v16
	v_lshl_add_u32 v10, v10, 23, v24
	v_or3_b32 v24, v16, v10, v23
.LBB374_571:                            ;   in Loop: Header=BB374_370 Depth=1
	s_or_b64 exec, exec, s[28:29]
.LBB374_572:                            ;   in Loop: Header=BB374_370 Depth=1
	s_or_b64 exec, exec, s[26:27]
.LBB374_573:                            ;   in Loop: Header=BB374_370 Depth=1
	s_or_b64 exec, exec, s[10:11]
	v_mul_f32_e32 v10, v11, v24
	v_and_b32_e32 v16, 0x7f800000, v10
	v_cmp_ne_u32_e64 s[4:5], s15, v16
                                        ; implicit-def: $vgpr16
	s_and_saveexec_b64 s[10:11], s[4:5]
	s_xor_b64 s[4:5], exec, s[10:11]
; %bb.574:                              ;   in Loop: Header=BB374_370 Depth=1
	v_bfe_u32 v16, v10, 16, 1
	v_add3_u32 v16, v10, v16, s30
                                        ; implicit-def: $vgpr10
; %bb.575:                              ;   in Loop: Header=BB374_370 Depth=1
	s_andn2_saveexec_b64 s[10:11], s[4:5]
; %bb.576:                              ;   in Loop: Header=BB374_370 Depth=1
	v_or_b32_e32 v16, 0x10000, v10
	v_cmp_eq_u32_sdwa s[4:5], v10, v17 src0_sel:WORD_0 src1_sel:DWORD
	v_cndmask_b32_e64 v16, v16, v10, s[4:5]
; %bb.577:                              ;   in Loop: Header=BB374_370 Depth=1
	s_or_b64 exec, exec, s[10:11]
	v_lshrrev_b32_e32 v10, 16, v9
	v_cmp_ne_u16_sdwa s[4:5], v10, v17 src0_sel:BYTE_0 src1_sel:DWORD
	v_mov_b32_e32 v24, 0
	s_and_saveexec_b64 s[10:11], s[4:5]
	s_cbranch_execz .LBB374_583
; %bb.578:                              ;   in Loop: Header=BB374_370 Depth=1
	v_cmp_ne_u16_sdwa s[4:5], v10, s31 src0_sel:BYTE_0 src1_sel:DWORD
	v_bfrev_b32_e32 v24, 1
	s_and_saveexec_b64 s[26:27], s[4:5]
	s_cbranch_execz .LBB374_582
; %bb.579:                              ;   in Loop: Header=BB374_370 Depth=1
	v_bfe_u32 v25, v9, 16, 7
	v_cmp_ne_u32_e64 s[4:5], s34, v25
	v_mov_b32_e32 v24, 0x7f800001
	s_and_saveexec_b64 s[28:29], s[4:5]
	s_cbranch_execz .LBB374_581
; %bb.580:                              ;   in Loop: Header=BB374_370 Depth=1
	v_and_b32_e32 v23, 7, v10
	v_ffbh_u32_e32 v26, v23
	v_min_u32_e32 v28, 32, v26
	v_subrev_u32_e32 v26, 28, v28
	v_lshlrev_b64 v[26:27], v26, v[10:11]
	v_lshrrev_b32_e32 v24, 3, v25
	v_sub_u32_e32 v27, 29, v28
	v_and_b32_e32 v26, 7, v26
	v_cmp_gt_u32_e64 s[4:5], 8, v25
	v_cndmask_b32_e64 v24, v24, v27, s[4:5]
	v_cndmask_b32_e64 v23, v23, v26, s[4:5]
	v_lshlrev_b32_e32 v10, 24, v10
	v_bfrev_b32_e32 v25, 60
	v_lshlrev_b32_e32 v23, 20, v23
	v_and_b32_e32 v10, 0x80000000, v10
	v_lshl_add_u32 v24, v24, 23, v25
	v_or3_b32 v24, v10, v24, v23
.LBB374_581:                            ;   in Loop: Header=BB374_370 Depth=1
	s_or_b64 exec, exec, s[28:29]
.LBB374_582:                            ;   in Loop: Header=BB374_370 Depth=1
	s_or_b64 exec, exec, s[26:27]
.LBB374_583:                            ;   in Loop: Header=BB374_370 Depth=1
	s_or_b64 exec, exec, s[10:11]
	v_mul_f32_e32 v10, v11, v24
	v_and_b32_e32 v23, 0x7f800000, v10
	v_cmp_ne_u32_e64 s[4:5], s15, v23
                                        ; implicit-def: $vgpr24
	s_and_saveexec_b64 s[10:11], s[4:5]
	s_xor_b64 s[4:5], exec, s[10:11]
; %bb.584:                              ;   in Loop: Header=BB374_370 Depth=1
	v_bfe_u32 v23, v10, 16, 1
	v_add3_u32 v24, v10, v23, s30
                                        ; implicit-def: $vgpr10
; %bb.585:                              ;   in Loop: Header=BB374_370 Depth=1
	s_andn2_saveexec_b64 s[10:11], s[4:5]
; %bb.586:                              ;   in Loop: Header=BB374_370 Depth=1
	v_or_b32_e32 v23, 0x10000, v10
	v_cmp_eq_u32_sdwa s[4:5], v10, v17 src0_sel:WORD_0 src1_sel:DWORD
	v_cndmask_b32_e64 v24, v23, v10, s[4:5]
; %bb.587:                              ;   in Loop: Header=BB374_370 Depth=1
	s_or_b64 exec, exec, s[10:11]
	v_cmp_lt_u64_e64 s[4:5], s[22:23], v[8:9]
	v_mov_b32_e32 v10, 0
	s_and_saveexec_b64 s[10:11], s[4:5]
	s_cbranch_execz .LBB374_593
; %bb.588:                              ;   in Loop: Header=BB374_370 Depth=1
	v_lshrrev_b32_e32 v8, 24, v9
	v_cmp_ne_u32_e64 s[4:5], s31, v8
	v_bfrev_b32_e32 v10, 1
	s_and_saveexec_b64 s[26:27], s[4:5]
	s_cbranch_execz .LBB374_592
; %bb.589:                              ;   in Loop: Header=BB374_370 Depth=1
	v_bfe_u32 v9, v9, 24, 7
	v_cmp_ne_u32_e64 s[4:5], s34, v9
	v_mov_b32_e32 v10, 0x7f800001
	s_and_saveexec_b64 s[28:29], s[4:5]
	s_cbranch_execz .LBB374_591
; %bb.590:                              ;   in Loop: Header=BB374_370 Depth=1
	v_and_b32_e32 v10, 7, v8
	v_ffbh_u32_e32 v25, v10
	v_min_u32_e32 v25, 32, v25
	v_subrev_u32_e32 v26, 28, v25
	v_lshlrev_b64 v[26:27], v26, v[8:9]
	v_lshrrev_b32_e32 v23, 3, v9
	v_sub_u32_e32 v25, 29, v25
	v_and_b32_e32 v26, 7, v26
	v_cmp_gt_u32_e64 s[4:5], 8, v9
	v_cndmask_b32_e64 v9, v23, v25, s[4:5]
	v_cndmask_b32_e64 v10, v10, v26, s[4:5]
	v_lshlrev_b32_e32 v8, 24, v8
	v_bfrev_b32_e32 v23, 60
	v_lshlrev_b32_e32 v10, 20, v10
	v_and_b32_e32 v8, 0x80000000, v8
	v_lshl_add_u32 v9, v9, 23, v23
	v_or3_b32 v10, v8, v9, v10
.LBB374_591:                            ;   in Loop: Header=BB374_370 Depth=1
	s_or_b64 exec, exec, s[28:29]
.LBB374_592:                            ;   in Loop: Header=BB374_370 Depth=1
	s_or_b64 exec, exec, s[26:27]
.LBB374_593:                            ;   in Loop: Header=BB374_370 Depth=1
	s_or_b64 exec, exec, s[10:11]
	v_mul_f32_e32 v9, v11, v10
	v_and_b32_e32 v8, 0x7f800000, v9
	v_cmp_ne_u32_e64 s[4:5], s15, v8
                                        ; implicit-def: $vgpr8
	s_and_saveexec_b64 s[10:11], s[4:5]
	s_xor_b64 s[4:5], exec, s[10:11]
; %bb.594:                              ;   in Loop: Header=BB374_370 Depth=1
	v_bfe_u32 v8, v9, 16, 1
	v_add3_u32 v8, v9, v8, s30
                                        ; implicit-def: $vgpr9
; %bb.595:                              ;   in Loop: Header=BB374_370 Depth=1
	s_andn2_saveexec_b64 s[10:11], s[4:5]
; %bb.596:                              ;   in Loop: Header=BB374_370 Depth=1
	v_or_b32_e32 v8, 0x10000, v9
	v_cmp_eq_u32_sdwa s[4:5], v9, v17 src0_sel:WORD_0 src1_sel:DWORD
	v_cndmask_b32_e64 v8, v8, v9, s[4:5]
; %bb.597:                              ;   in Loop: Header=BB374_370 Depth=1
	s_or_b64 exec, exec, s[10:11]
	v_lshrrev_b32_e32 v10, 16, v16
	v_lshrrev_b32_e32 v16, 16, v22
	;; [unrolled: 1-line block ×8, first 2 shown]
	s_and_saveexec_b64 s[10:11], vcc
	s_cbranch_execz .LBB374_599
; %bb.598:                              ;   in Loop: Header=BB374_370 Depth=1
	v_cmp_lt_i32_e64 s[4:5], v49, v55
	v_cndmask_b32_e64 v18, 0, v18, s[4:5]
	v_cmp_lt_i32_e64 s[4:5], v41, v55
	v_cndmask_b32_e64 v19, 0, v19, s[4:5]
	v_cmp_lt_i32_e64 s[4:5], v40, v55
	v_accvgpr_read_b32 v22, a26
	v_cndmask_b32_e64 v20, 0, v20, s[4:5]
	v_cmp_lt_i32_e64 s[4:5], v22, v55
	v_cndmask_b32_e64 v21, 0, v21, s[4:5]
	v_cmp_lt_i32_e64 s[4:5], v52, v55
	v_accvgpr_read_b32 v22, a25
	v_cndmask_b32_e64 v16, 0, v16, s[4:5]
	v_cmp_lt_i32_e64 s[4:5], v22, v55
	v_accvgpr_read_b32 v22, a24
	;; [unrolled: 3-line block ×3, first 2 shown]
	v_cndmask_b32_e64 v9, 0, v9, s[4:5]
	v_cmp_lt_i32_e64 s[4:5], v22, v55
	v_cndmask_b32_e64 v8, 0, v8, s[4:5]
.LBB374_599:                            ;   in Loop: Header=BB374_370 Depth=1
	s_or_b64 exec, exec, s[10:11]
	v_lshlrev_b32_e32 v18, 16, v18
	v_mul_f32_e32 v18, v44, v18
	v_and_b32_e32 v22, 0x7f800000, v18
	v_cmp_ne_u32_e64 s[4:5], s15, v22
                                        ; implicit-def: $vgpr31
	s_and_saveexec_b64 s[10:11], s[4:5]
	s_xor_b64 s[4:5], exec, s[10:11]
; %bb.600:                              ;   in Loop: Header=BB374_370 Depth=1
	v_bfe_u32 v22, v18, 16, 1
	v_add3_u32 v31, v18, v22, s30
                                        ; implicit-def: $vgpr18
; %bb.601:                              ;   in Loop: Header=BB374_370 Depth=1
	s_andn2_saveexec_b64 s[10:11], s[4:5]
; %bb.602:                              ;   in Loop: Header=BB374_370 Depth=1
	v_or_b32_e32 v22, 0x10000, v18
	v_cmp_eq_u32_sdwa s[4:5], v18, v17 src0_sel:WORD_0 src1_sel:DWORD
	v_cndmask_b32_e64 v31, v22, v18, s[4:5]
; %bb.603:                              ;   in Loop: Header=BB374_370 Depth=1
	s_or_b64 exec, exec, s[10:11]
	v_lshlrev_b32_e32 v18, 16, v19
	v_mul_f32_e32 v18, v56, v18
	v_and_b32_e32 v19, 0x7f800000, v18
	v_cmp_ne_u32_e64 s[4:5], s15, v19
                                        ; implicit-def: $vgpr34
	s_and_saveexec_b64 s[10:11], s[4:5]
	s_xor_b64 s[4:5], exec, s[10:11]
; %bb.604:                              ;   in Loop: Header=BB374_370 Depth=1
	v_bfe_u32 v19, v18, 16, 1
	v_add3_u32 v34, v18, v19, s30
                                        ; implicit-def: $vgpr18
; %bb.605:                              ;   in Loop: Header=BB374_370 Depth=1
	s_andn2_saveexec_b64 s[10:11], s[4:5]
; %bb.606:                              ;   in Loop: Header=BB374_370 Depth=1
	v_or_b32_e32 v19, 0x10000, v18
	v_cmp_eq_u32_sdwa s[4:5], v18, v17 src0_sel:WORD_0 src1_sel:DWORD
	v_cndmask_b32_e64 v34, v19, v18, s[4:5]
; %bb.607:                              ;   in Loop: Header=BB374_370 Depth=1
	s_or_b64 exec, exec, s[10:11]
	v_lshlrev_b32_e32 v18, 16, v20
	v_mul_f32_e32 v18, v57, v18
	v_and_b32_e32 v19, 0x7f800000, v18
	v_cmp_ne_u32_e64 s[4:5], s15, v19
                                        ; implicit-def: $vgpr19
	s_and_saveexec_b64 s[10:11], s[4:5]
	s_xor_b64 s[4:5], exec, s[10:11]
; %bb.608:                              ;   in Loop: Header=BB374_370 Depth=1
	v_bfe_u32 v19, v18, 16, 1
	v_add3_u32 v19, v18, v19, s30
                                        ; implicit-def: $vgpr18
; %bb.609:                              ;   in Loop: Header=BB374_370 Depth=1
	s_andn2_saveexec_b64 s[10:11], s[4:5]
; %bb.610:                              ;   in Loop: Header=BB374_370 Depth=1
	v_or_b32_e32 v19, 0x10000, v18
	v_cmp_eq_u32_sdwa s[4:5], v18, v17 src0_sel:WORD_0 src1_sel:DWORD
	v_cndmask_b32_e64 v19, v19, v18, s[4:5]
; %bb.611:                              ;   in Loop: Header=BB374_370 Depth=1
	s_or_b64 exec, exec, s[10:11]
	v_lshlrev_b32_e32 v18, 16, v21
	v_mul_f32_e32 v18, v58, v18
	v_and_b32_e32 v20, 0x7f800000, v18
	v_cmp_ne_u32_e64 s[4:5], s15, v20
                                        ; implicit-def: $vgpr32
	s_and_saveexec_b64 s[10:11], s[4:5]
	s_xor_b64 s[4:5], exec, s[10:11]
; %bb.612:                              ;   in Loop: Header=BB374_370 Depth=1
	v_bfe_u32 v20, v18, 16, 1
	v_add3_u32 v32, v18, v20, s30
                                        ; implicit-def: $vgpr18
; %bb.613:                              ;   in Loop: Header=BB374_370 Depth=1
	s_andn2_saveexec_b64 s[10:11], s[4:5]
; %bb.614:                              ;   in Loop: Header=BB374_370 Depth=1
	v_or_b32_e32 v20, 0x10000, v18
	v_cmp_eq_u32_sdwa s[4:5], v18, v17 src0_sel:WORD_0 src1_sel:DWORD
	v_cndmask_b32_e64 v32, v20, v18, s[4:5]
; %bb.615:                              ;   in Loop: Header=BB374_370 Depth=1
	s_or_b64 exec, exec, s[10:11]
	v_lshlrev_b32_e32 v16, 16, v16
	v_mul_f32_e32 v16, v59, v16
	v_and_b32_e32 v18, 0x7f800000, v16
	v_cmp_ne_u32_e64 s[4:5], s15, v18
                                        ; implicit-def: $vgpr33
	s_and_saveexec_b64 s[10:11], s[4:5]
	s_xor_b64 s[4:5], exec, s[10:11]
; %bb.616:                              ;   in Loop: Header=BB374_370 Depth=1
	v_bfe_u32 v18, v16, 16, 1
	v_add3_u32 v33, v16, v18, s30
                                        ; implicit-def: $vgpr16
; %bb.617:                              ;   in Loop: Header=BB374_370 Depth=1
	s_andn2_saveexec_b64 s[10:11], s[4:5]
; %bb.618:                              ;   in Loop: Header=BB374_370 Depth=1
	v_or_b32_e32 v18, 0x10000, v16
	v_cmp_eq_u32_sdwa s[4:5], v16, v17 src0_sel:WORD_0 src1_sel:DWORD
	v_cndmask_b32_e64 v33, v18, v16, s[4:5]
; %bb.619:                              ;   in Loop: Header=BB374_370 Depth=1
	s_or_b64 exec, exec, s[10:11]
	v_lshlrev_b32_e32 v10, 16, v10
	v_mul_f32_e32 v10, v60, v10
	v_and_b32_e32 v16, 0x7f800000, v10
	v_cmp_ne_u32_e64 s[4:5], s15, v16
                                        ; implicit-def: $vgpr35
	s_and_saveexec_b64 s[10:11], s[4:5]
	s_xor_b64 s[4:5], exec, s[10:11]
; %bb.620:                              ;   in Loop: Header=BB374_370 Depth=1
	v_bfe_u32 v16, v10, 16, 1
	v_add3_u32 v35, v10, v16, s30
                                        ; implicit-def: $vgpr10
; %bb.621:                              ;   in Loop: Header=BB374_370 Depth=1
	s_andn2_saveexec_b64 s[10:11], s[4:5]
; %bb.622:                              ;   in Loop: Header=BB374_370 Depth=1
	v_or_b32_e32 v16, 0x10000, v10
	v_cmp_eq_u32_sdwa s[4:5], v10, v17 src0_sel:WORD_0 src1_sel:DWORD
	v_cndmask_b32_e64 v35, v16, v10, s[4:5]
; %bb.623:                              ;   in Loop: Header=BB374_370 Depth=1
	s_or_b64 exec, exec, s[10:11]
	v_lshlrev_b32_e32 v9, 16, v9
	v_mul_f32_e32 v9, v61, v9
	v_and_b32_e32 v10, 0x7f800000, v9
	v_cmp_ne_u32_e64 s[4:5], s15, v10
                                        ; implicit-def: $vgpr36
	s_and_saveexec_b64 s[10:11], s[4:5]
	s_xor_b64 s[4:5], exec, s[10:11]
; %bb.624:                              ;   in Loop: Header=BB374_370 Depth=1
	v_bfe_u32 v10, v9, 16, 1
	v_add3_u32 v36, v9, v10, s30
                                        ; implicit-def: $vgpr9
; %bb.625:                              ;   in Loop: Header=BB374_370 Depth=1
	s_andn2_saveexec_b64 s[10:11], s[4:5]
; %bb.626:                              ;   in Loop: Header=BB374_370 Depth=1
	v_or_b32_e32 v10, 0x10000, v9
	v_cmp_eq_u32_sdwa s[4:5], v9, v17 src0_sel:WORD_0 src1_sel:DWORD
	v_cndmask_b32_e64 v36, v10, v9, s[4:5]
; %bb.627:                              ;   in Loop: Header=BB374_370 Depth=1
	s_or_b64 exec, exec, s[10:11]
	v_lshlrev_b32_e32 v8, 16, v8
	v_mul_f32_e32 v8, v62, v8
	v_and_b32_e32 v9, 0x7f800000, v8
	v_cmp_ne_u32_e64 s[4:5], s15, v9
                                        ; implicit-def: $vgpr18
	s_and_saveexec_b64 s[10:11], s[4:5]
	s_xor_b64 s[4:5], exec, s[10:11]
; %bb.628:                              ;   in Loop: Header=BB374_370 Depth=1
	v_bfe_u32 v9, v8, 16, 1
	v_add3_u32 v18, v8, v9, s30
                                        ; implicit-def: $vgpr8
; %bb.629:                              ;   in Loop: Header=BB374_370 Depth=1
	s_andn2_saveexec_b64 s[10:11], s[4:5]
; %bb.630:                              ;   in Loop: Header=BB374_370 Depth=1
	v_or_b32_e32 v9, 0x10000, v8
	v_cmp_eq_u32_sdwa s[4:5], v8, v17 src0_sel:WORD_0 src1_sel:DWORD
	v_cndmask_b32_e64 v18, v9, v8, s[4:5]
; %bb.631:                              ;   in Loop: Header=BB374_370 Depth=1
	s_or_b64 exec, exec, s[10:11]
	flat_load_dwordx2 v[8:9], v[6:7] offset:1024
	v_mov_b32_e32 v10, 0
	s_waitcnt vmcnt(0) lgkmcnt(0)
	v_cmp_ne_u16_sdwa s[4:5], v8, v17 src0_sel:BYTE_0 src1_sel:DWORD
	s_and_saveexec_b64 s[10:11], s[4:5]
	s_cbranch_execz .LBB374_637
; %bb.632:                              ;   in Loop: Header=BB374_370 Depth=1
	v_cmp_ne_u16_sdwa s[4:5], v8, s31 src0_sel:BYTE_0 src1_sel:DWORD
	v_bfrev_b32_e32 v10, 1
	s_and_saveexec_b64 s[26:27], s[4:5]
	s_cbranch_execz .LBB374_636
; %bb.633:                              ;   in Loop: Header=BB374_370 Depth=1
	v_and_b32_e32 v16, 0x7f, v8
	v_cmp_ne_u32_e64 s[4:5], s34, v16
	v_mov_b32_e32 v10, 0x7f800001
	s_and_saveexec_b64 s[28:29], s[4:5]
	s_cbranch_execz .LBB374_635
; %bb.634:                              ;   in Loop: Header=BB374_370 Depth=1
	v_and_b32_e32 v10, 7, v8
	v_ffbh_u32_e32 v10, v10
	v_min_u32_e32 v10, 32, v10
	v_subrev_u32_e32 v21, 28, v10
	v_cmp_gt_u32_e64 s[4:5], 8, v16
	v_lshrrev_b32_e32 v20, 3, v16
	v_sub_u32_e32 v10, 29, v10
	v_cndmask_b32_e64 v16, 0, v21, s[4:5]
	v_cndmask_b32_e64 v10, v20, v10, s[4:5]
	v_lshlrev_b64 v[20:21], v16, v[8:9]
	v_lshlrev_b32_e32 v16, 20, v20
	v_lshlrev_b32_e32 v20, 24, v8
	v_bfrev_b32_e32 v21, 60
	v_and_b32_e32 v16, 0x700000, v16
	v_and_b32_e32 v20, 0x80000000, v20
	v_lshl_add_u32 v10, v10, 23, v21
	v_or3_b32 v10, v20, v10, v16
.LBB374_635:                            ;   in Loop: Header=BB374_370 Depth=1
	s_or_b64 exec, exec, s[28:29]
.LBB374_636:                            ;   in Loop: Header=BB374_370 Depth=1
	s_or_b64 exec, exec, s[26:27]
.LBB374_637:                            ;   in Loop: Header=BB374_370 Depth=1
	s_or_b64 exec, exec, s[10:11]
	v_mul_f32_e32 v10, v11, v10
	v_and_b32_e32 v16, 0x7f800000, v10
	v_cmp_ne_u32_e64 s[4:5], s15, v16
                                        ; implicit-def: $vgpr20
	s_and_saveexec_b64 s[10:11], s[4:5]
	s_xor_b64 s[4:5], exec, s[10:11]
; %bb.638:                              ;   in Loop: Header=BB374_370 Depth=1
	v_bfe_u32 v16, v10, 16, 1
	v_add3_u32 v20, v10, v16, s30
                                        ; implicit-def: $vgpr10
; %bb.639:                              ;   in Loop: Header=BB374_370 Depth=1
	s_andn2_saveexec_b64 s[10:11], s[4:5]
; %bb.640:                              ;   in Loop: Header=BB374_370 Depth=1
	v_or_b32_e32 v16, 0x10000, v10
	v_cmp_eq_u32_sdwa s[4:5], v10, v17 src0_sel:WORD_0 src1_sel:DWORD
	v_cndmask_b32_e64 v20, v16, v10, s[4:5]
; %bb.641:                              ;   in Loop: Header=BB374_370 Depth=1
	s_or_b64 exec, exec, s[10:11]
	v_lshrrev_b16_e32 v10, 8, v8
	v_cmp_ne_u16_e64 s[4:5], 0, v10
	v_mov_b32_e32 v16, 0
	s_and_saveexec_b64 s[10:11], s[4:5]
	s_cbranch_execz .LBB374_647
; %bb.642:                              ;   in Loop: Header=BB374_370 Depth=1
	v_cmp_ne_u16_e64 s[4:5], s31, v10
	v_bfrev_b32_e32 v16, 1
	s_and_saveexec_b64 s[26:27], s[4:5]
	s_cbranch_execz .LBB374_646
; %bb.643:                              ;   in Loop: Header=BB374_370 Depth=1
	v_and_b32_e32 v21, 0x7f, v10
	v_cmp_ne_u32_e64 s[4:5], s34, v21
	v_mov_b32_e32 v16, 0x7f800001
	s_and_saveexec_b64 s[28:29], s[4:5]
	s_cbranch_execz .LBB374_645
; %bb.644:                              ;   in Loop: Header=BB374_370 Depth=1
	v_and_b32_e32 v16, 7, v10
	v_ffbh_u32_e32 v23, v16
	v_min_u32_e32 v23, 32, v23
	v_subrev_u32_e32 v24, 28, v23
	v_lshlrev_b64 v[24:25], v24, v[10:11]
	v_lshrrev_b32_e32 v22, 3, v21
	v_sub_u32_e32 v10, 29, v23
	v_and_b32_e32 v23, 7, v24
	v_cmp_gt_u32_e64 s[4:5], 8, v21
	v_cndmask_b32_e64 v10, v22, v10, s[4:5]
	v_cndmask_b32_e64 v16, v16, v23, s[4:5]
	v_lshlrev_b32_e32 v21, 16, v8
	v_bfrev_b32_e32 v22, 60
	v_lshlrev_b32_e32 v16, 20, v16
	v_and_b32_e32 v21, 0x80000000, v21
	v_lshl_add_u32 v10, v10, 23, v22
	v_or3_b32 v16, v21, v10, v16
.LBB374_645:                            ;   in Loop: Header=BB374_370 Depth=1
	s_or_b64 exec, exec, s[28:29]
.LBB374_646:                            ;   in Loop: Header=BB374_370 Depth=1
	s_or_b64 exec, exec, s[26:27]
.LBB374_647:                            ;   in Loop: Header=BB374_370 Depth=1
	s_or_b64 exec, exec, s[10:11]
	v_mul_f32_e32 v10, v11, v16
	v_and_b32_e32 v16, 0x7f800000, v10
	v_cmp_ne_u32_e64 s[4:5], s15, v16
                                        ; implicit-def: $vgpr21
	s_and_saveexec_b64 s[10:11], s[4:5]
	s_xor_b64 s[4:5], exec, s[10:11]
; %bb.648:                              ;   in Loop: Header=BB374_370 Depth=1
	v_bfe_u32 v16, v10, 16, 1
	v_add3_u32 v21, v10, v16, s30
                                        ; implicit-def: $vgpr10
; %bb.649:                              ;   in Loop: Header=BB374_370 Depth=1
	s_andn2_saveexec_b64 s[10:11], s[4:5]
; %bb.650:                              ;   in Loop: Header=BB374_370 Depth=1
	v_or_b32_e32 v16, 0x10000, v10
	v_cmp_eq_u32_sdwa s[4:5], v10, v17 src0_sel:WORD_0 src1_sel:DWORD
	v_cndmask_b32_e64 v21, v16, v10, s[4:5]
; %bb.651:                              ;   in Loop: Header=BB374_370 Depth=1
	s_or_b64 exec, exec, s[10:11]
	v_lshrrev_b32_e32 v10, 16, v8
	v_cmp_ne_u16_sdwa s[4:5], v10, v17 src0_sel:BYTE_0 src1_sel:DWORD
	v_mov_b32_e32 v16, 0
	s_and_saveexec_b64 s[10:11], s[4:5]
	s_cbranch_execz .LBB374_657
; %bb.652:                              ;   in Loop: Header=BB374_370 Depth=1
	v_cmp_ne_u16_sdwa s[4:5], v10, s31 src0_sel:BYTE_0 src1_sel:DWORD
	v_bfrev_b32_e32 v16, 1
	s_and_saveexec_b64 s[26:27], s[4:5]
	s_cbranch_execz .LBB374_656
; %bb.653:                              ;   in Loop: Header=BB374_370 Depth=1
	v_bfe_u32 v22, v8, 16, 7
	v_cmp_ne_u32_e64 s[4:5], s34, v22
	v_mov_b32_e32 v16, 0x7f800001
	s_and_saveexec_b64 s[28:29], s[4:5]
	s_cbranch_execz .LBB374_655
; %bb.654:                              ;   in Loop: Header=BB374_370 Depth=1
	v_and_b32_e32 v16, 7, v10
	v_ffbh_u32_e32 v24, v16
	v_min_u32_e32 v26, 32, v24
	v_subrev_u32_e32 v24, 28, v26
	v_lshlrev_b64 v[24:25], v24, v[10:11]
	v_lshrrev_b32_e32 v23, 3, v22
	v_sub_u32_e32 v25, 29, v26
	v_and_b32_e32 v24, 7, v24
	v_cmp_gt_u32_e64 s[4:5], 8, v22
	v_cndmask_b32_e64 v22, v23, v25, s[4:5]
	v_cndmask_b32_e64 v16, v16, v24, s[4:5]
	v_lshlrev_b32_e32 v10, 24, v10
	v_bfrev_b32_e32 v23, 60
	v_lshlrev_b32_e32 v16, 20, v16
	v_and_b32_e32 v10, 0x80000000, v10
	v_lshl_add_u32 v22, v22, 23, v23
	v_or3_b32 v16, v10, v22, v16
.LBB374_655:                            ;   in Loop: Header=BB374_370 Depth=1
	s_or_b64 exec, exec, s[28:29]
.LBB374_656:                            ;   in Loop: Header=BB374_370 Depth=1
	s_or_b64 exec, exec, s[26:27]
.LBB374_657:                            ;   in Loop: Header=BB374_370 Depth=1
	s_or_b64 exec, exec, s[10:11]
	v_mul_f32_e32 v10, v11, v16
	v_and_b32_e32 v16, 0x7f800000, v10
	v_cmp_ne_u32_e64 s[4:5], s15, v16
                                        ; implicit-def: $vgpr22
	s_and_saveexec_b64 s[10:11], s[4:5]
	s_xor_b64 s[4:5], exec, s[10:11]
; %bb.658:                              ;   in Loop: Header=BB374_370 Depth=1
	v_bfe_u32 v16, v10, 16, 1
	v_add3_u32 v22, v10, v16, s30
                                        ; implicit-def: $vgpr10
; %bb.659:                              ;   in Loop: Header=BB374_370 Depth=1
	s_andn2_saveexec_b64 s[10:11], s[4:5]
; %bb.660:                              ;   in Loop: Header=BB374_370 Depth=1
	v_or_b32_e32 v16, 0x10000, v10
	v_cmp_eq_u32_sdwa s[4:5], v10, v17 src0_sel:WORD_0 src1_sel:DWORD
	v_cndmask_b32_e64 v22, v16, v10, s[4:5]
; %bb.661:                              ;   in Loop: Header=BB374_370 Depth=1
	s_or_b64 exec, exec, s[10:11]
	v_cmp_lt_u32_e64 s[4:5], s23, v8
	v_mov_b32_e32 v16, 0
	s_and_saveexec_b64 s[10:11], s[4:5]
	s_cbranch_execz .LBB374_667
; %bb.662:                              ;   in Loop: Header=BB374_370 Depth=1
	v_lshrrev_b32_e32 v10, 24, v8
	v_cmp_ne_u32_e64 s[4:5], s31, v10
	v_bfrev_b32_e32 v16, 1
	s_and_saveexec_b64 s[26:27], s[4:5]
	s_cbranch_execz .LBB374_666
; %bb.663:                              ;   in Loop: Header=BB374_370 Depth=1
	v_bfe_u32 v24, v8, 24, 7
	v_cmp_ne_u32_e64 s[4:5], s34, v24
	v_mov_b32_e32 v16, 0x7f800001
	s_and_saveexec_b64 s[28:29], s[4:5]
	s_cbranch_execz .LBB374_665
; %bb.664:                              ;   in Loop: Header=BB374_370 Depth=1
	v_and_b32_e32 v16, 7, v10
	v_ffbh_u32_e32 v25, v16
	v_min_u32_e32 v25, 32, v25
	v_subrev_u32_e32 v26, 28, v25
	v_lshlrev_b64 v[26:27], v26, v[10:11]
	v_lshrrev_b32_e32 v23, 3, v24
	v_sub_u32_e32 v25, 29, v25
	v_and_b32_e32 v26, 7, v26
	v_cmp_gt_u32_e64 s[4:5], 8, v24
	v_cndmask_b32_e64 v23, v23, v25, s[4:5]
	v_cndmask_b32_e64 v16, v16, v26, s[4:5]
	v_lshlrev_b32_e32 v10, 24, v10
	v_bfrev_b32_e32 v24, 60
	v_lshlrev_b32_e32 v16, 20, v16
	v_and_b32_e32 v10, 0x80000000, v10
	v_lshl_add_u32 v23, v23, 23, v24
	v_or3_b32 v16, v10, v23, v16
.LBB374_665:                            ;   in Loop: Header=BB374_370 Depth=1
	s_or_b64 exec, exec, s[28:29]
.LBB374_666:                            ;   in Loop: Header=BB374_370 Depth=1
	s_or_b64 exec, exec, s[26:27]
.LBB374_667:                            ;   in Loop: Header=BB374_370 Depth=1
	s_or_b64 exec, exec, s[10:11]
	v_mul_f32_e32 v10, v11, v16
	v_and_b32_e32 v16, 0x7f800000, v10
	v_cmp_ne_u32_e64 s[4:5], s15, v16
                                        ; implicit-def: $vgpr24
	s_and_saveexec_b64 s[10:11], s[4:5]
	s_xor_b64 s[4:5], exec, s[10:11]
; %bb.668:                              ;   in Loop: Header=BB374_370 Depth=1
	v_bfe_u32 v16, v10, 16, 1
	v_add3_u32 v24, v10, v16, s30
                                        ; implicit-def: $vgpr10
; %bb.669:                              ;   in Loop: Header=BB374_370 Depth=1
	s_andn2_saveexec_b64 s[10:11], s[4:5]
; %bb.670:                              ;   in Loop: Header=BB374_370 Depth=1
	v_or_b32_e32 v16, 0x10000, v10
	v_cmp_eq_u32_sdwa s[4:5], v10, v17 src0_sel:WORD_0 src1_sel:DWORD
	v_cndmask_b32_e64 v24, v16, v10, s[4:5]
; %bb.671:                              ;   in Loop: Header=BB374_370 Depth=1
	s_or_b64 exec, exec, s[10:11]
	v_mov_b32_e32 v16, v9
	v_cmp_ne_u16_sdwa s[4:5], v9, v17 src0_sel:BYTE_0 src1_sel:DWORD
	v_mov_b32_e32 v10, 0
	s_and_saveexec_b64 s[10:11], s[4:5]
	s_cbranch_execz .LBB374_677
; %bb.672:                              ;   in Loop: Header=BB374_370 Depth=1
	v_cmp_ne_u16_sdwa s[4:5], v9, s31 src0_sel:BYTE_0 src1_sel:DWORD
	v_bfrev_b32_e32 v10, 1
	s_and_saveexec_b64 s[26:27], s[4:5]
	s_cbranch_execz .LBB374_676
; %bb.673:                              ;   in Loop: Header=BB374_370 Depth=1
	v_and_b32_e32 v25, 0x7f, v9
	v_cmp_ne_u32_e64 s[4:5], s34, v25
	v_mov_b32_e32 v10, 0x7f800001
	s_and_saveexec_b64 s[28:29], s[4:5]
	s_cbranch_execz .LBB374_675
; %bb.674:                              ;   in Loop: Header=BB374_370 Depth=1
	v_and_b32_e32 v10, 7, v9
	v_ffbh_u32_e32 v10, v10
	v_min_u32_e32 v10, 32, v10
	v_lshrrev_b32_e32 v23, 3, v25
	v_subrev_u32_e32 v26, 28, v10
	v_sub_u32_e32 v10, 29, v10
	v_cmp_gt_u32_e64 s[4:5], 8, v25
	v_cndmask_b32_e64 v10, v23, v10, s[4:5]
	v_cndmask_b32_e64 v23, 0, v26, s[4:5]
	v_lshlrev_b64 v[26:27], v23, v[16:17]
	v_lshlrev_b32_e32 v23, 20, v26
	v_lshlrev_b32_e32 v25, 24, v16
	v_bfrev_b32_e32 v26, 60
	v_and_b32_e32 v23, 0x700000, v23
	v_and_b32_e32 v25, 0x80000000, v25
	v_lshl_add_u32 v10, v10, 23, v26
	v_or3_b32 v10, v25, v10, v23
.LBB374_675:                            ;   in Loop: Header=BB374_370 Depth=1
	s_or_b64 exec, exec, s[28:29]
.LBB374_676:                            ;   in Loop: Header=BB374_370 Depth=1
	s_or_b64 exec, exec, s[26:27]
.LBB374_677:                            ;   in Loop: Header=BB374_370 Depth=1
	s_or_b64 exec, exec, s[10:11]
	v_mul_f32_e32 v10, v11, v10
	v_and_b32_e32 v23, 0x7f800000, v10
	v_cmp_ne_u32_e64 s[4:5], s15, v23
                                        ; implicit-def: $vgpr25
	s_and_saveexec_b64 s[10:11], s[4:5]
	s_xor_b64 s[4:5], exec, s[10:11]
; %bb.678:                              ;   in Loop: Header=BB374_370 Depth=1
	v_bfe_u32 v23, v10, 16, 1
	v_add3_u32 v25, v10, v23, s30
                                        ; implicit-def: $vgpr10
; %bb.679:                              ;   in Loop: Header=BB374_370 Depth=1
	s_andn2_saveexec_b64 s[10:11], s[4:5]
; %bb.680:                              ;   in Loop: Header=BB374_370 Depth=1
	v_or_b32_e32 v23, 0x10000, v10
	v_cmp_eq_u32_sdwa s[4:5], v10, v17 src0_sel:WORD_0 src1_sel:DWORD
	v_cndmask_b32_e64 v25, v23, v10, s[4:5]
; %bb.681:                              ;   in Loop: Header=BB374_370 Depth=1
	s_or_b64 exec, exec, s[10:11]
	v_lshrrev_b16_e32 v10, 8, v16
	v_cmp_ne_u16_e64 s[4:5], 0, v10
	v_mov_b32_e32 v26, 0
	s_and_saveexec_b64 s[10:11], s[4:5]
	s_cbranch_execz .LBB374_687
; %bb.682:                              ;   in Loop: Header=BB374_370 Depth=1
	v_cmp_ne_u16_e64 s[4:5], s31, v10
	v_bfrev_b32_e32 v26, 1
	s_and_saveexec_b64 s[26:27], s[4:5]
	s_cbranch_execz .LBB374_686
; %bb.683:                              ;   in Loop: Header=BB374_370 Depth=1
	v_and_b32_e32 v27, 0x7f, v10
	v_cmp_ne_u32_e64 s[4:5], s34, v27
	v_mov_b32_e32 v26, 0x7f800001
	s_and_saveexec_b64 s[28:29], s[4:5]
	s_cbranch_execz .LBB374_685
; %bb.684:                              ;   in Loop: Header=BB374_370 Depth=1
	v_and_b32_e32 v23, 7, v10
	v_ffbh_u32_e32 v28, v23
	v_min_u32_e32 v28, 32, v28
	v_subrev_u32_e32 v37, 28, v28
	v_lshlrev_b64 v[50:51], v37, v[10:11]
	v_lshrrev_b32_e32 v26, 3, v27
	v_sub_u32_e32 v10, 29, v28
	v_and_b32_e32 v28, 7, v50
	v_cmp_gt_u32_e64 s[4:5], 8, v27
	v_cndmask_b32_e64 v10, v26, v10, s[4:5]
	v_cndmask_b32_e64 v23, v23, v28, s[4:5]
	v_lshlrev_b32_e32 v16, 16, v16
	v_bfrev_b32_e32 v26, 60
	v_lshlrev_b32_e32 v23, 20, v23
	v_and_b32_e32 v16, 0x80000000, v16
	v_lshl_add_u32 v10, v10, 23, v26
	v_or3_b32 v26, v16, v10, v23
.LBB374_685:                            ;   in Loop: Header=BB374_370 Depth=1
	s_or_b64 exec, exec, s[28:29]
.LBB374_686:                            ;   in Loop: Header=BB374_370 Depth=1
	s_or_b64 exec, exec, s[26:27]
.LBB374_687:                            ;   in Loop: Header=BB374_370 Depth=1
	s_or_b64 exec, exec, s[10:11]
	v_mul_f32_e32 v10, v11, v26
	v_and_b32_e32 v16, 0x7f800000, v10
	v_cmp_ne_u32_e64 s[4:5], s15, v16
                                        ; implicit-def: $vgpr16
	s_and_saveexec_b64 s[10:11], s[4:5]
	s_xor_b64 s[4:5], exec, s[10:11]
; %bb.688:                              ;   in Loop: Header=BB374_370 Depth=1
	v_bfe_u32 v16, v10, 16, 1
	v_add3_u32 v16, v10, v16, s30
                                        ; implicit-def: $vgpr10
; %bb.689:                              ;   in Loop: Header=BB374_370 Depth=1
	s_andn2_saveexec_b64 s[10:11], s[4:5]
; %bb.690:                              ;   in Loop: Header=BB374_370 Depth=1
	v_or_b32_e32 v16, 0x10000, v10
	v_cmp_eq_u32_sdwa s[4:5], v10, v17 src0_sel:WORD_0 src1_sel:DWORD
	v_cndmask_b32_e64 v16, v16, v10, s[4:5]
; %bb.691:                              ;   in Loop: Header=BB374_370 Depth=1
	s_or_b64 exec, exec, s[10:11]
	v_lshrrev_b32_e32 v10, 16, v9
	v_cmp_ne_u16_sdwa s[4:5], v10, v17 src0_sel:BYTE_0 src1_sel:DWORD
	v_mov_b32_e32 v26, 0
	s_and_saveexec_b64 s[10:11], s[4:5]
	s_cbranch_execz .LBB374_697
; %bb.692:                              ;   in Loop: Header=BB374_370 Depth=1
	v_cmp_ne_u16_sdwa s[4:5], v10, s31 src0_sel:BYTE_0 src1_sel:DWORD
	v_bfrev_b32_e32 v26, 1
	s_and_saveexec_b64 s[26:27], s[4:5]
	s_cbranch_execz .LBB374_696
; %bb.693:                              ;   in Loop: Header=BB374_370 Depth=1
	v_bfe_u32 v27, v9, 16, 7
	v_cmp_ne_u32_e64 s[4:5], s34, v27
	v_mov_b32_e32 v26, 0x7f800001
	s_and_saveexec_b64 s[28:29], s[4:5]
	s_cbranch_execz .LBB374_695
; %bb.694:                              ;   in Loop: Header=BB374_370 Depth=1
	v_and_b32_e32 v23, 7, v10
	v_ffbh_u32_e32 v28, v23
	v_min_u32_e32 v28, 32, v28
	v_subrev_u32_e32 v37, 28, v28
	v_lshlrev_b64 v[50:51], v37, v[10:11]
	v_lshrrev_b32_e32 v26, 3, v27
	v_sub_u32_e32 v28, 29, v28
	v_and_b32_e32 v37, 7, v50
	v_cmp_gt_u32_e64 s[4:5], 8, v27
	v_cndmask_b32_e64 v26, v26, v28, s[4:5]
	v_cndmask_b32_e64 v23, v23, v37, s[4:5]
	v_lshlrev_b32_e32 v10, 24, v10
	v_bfrev_b32_e32 v27, 60
	v_lshlrev_b32_e32 v23, 20, v23
	v_and_b32_e32 v10, 0x80000000, v10
	v_lshl_add_u32 v26, v26, 23, v27
	v_or3_b32 v26, v10, v26, v23
.LBB374_695:                            ;   in Loop: Header=BB374_370 Depth=1
	s_or_b64 exec, exec, s[28:29]
.LBB374_696:                            ;   in Loop: Header=BB374_370 Depth=1
	s_or_b64 exec, exec, s[26:27]
.LBB374_697:                            ;   in Loop: Header=BB374_370 Depth=1
	s_or_b64 exec, exec, s[10:11]
	v_mul_f32_e32 v26, v11, v26
	v_and_b32_e32 v10, 0x7f800000, v26
	v_cmp_ne_u32_e64 s[4:5], s15, v10
                                        ; implicit-def: $vgpr10
	s_and_saveexec_b64 s[10:11], s[4:5]
	s_xor_b64 s[4:5], exec, s[10:11]
; %bb.698:                              ;   in Loop: Header=BB374_370 Depth=1
	v_bfe_u32 v10, v26, 16, 1
	v_add3_u32 v10, v26, v10, s30
                                        ; implicit-def: $vgpr26
; %bb.699:                              ;   in Loop: Header=BB374_370 Depth=1
	s_andn2_saveexec_b64 s[10:11], s[4:5]
; %bb.700:                              ;   in Loop: Header=BB374_370 Depth=1
	v_or_b32_e32 v10, 0x10000, v26
	v_cmp_eq_u32_sdwa s[4:5], v26, v17 src0_sel:WORD_0 src1_sel:DWORD
	v_cndmask_b32_e64 v10, v10, v26, s[4:5]
; %bb.701:                              ;   in Loop: Header=BB374_370 Depth=1
	s_or_b64 exec, exec, s[10:11]
	v_cmp_lt_u64_e64 s[4:5], s[22:23], v[8:9]
	v_mov_b32_e32 v26, 0
	s_and_saveexec_b64 s[10:11], s[4:5]
	s_cbranch_execz .LBB374_707
; %bb.702:                              ;   in Loop: Header=BB374_370 Depth=1
	v_lshrrev_b32_e32 v8, 24, v9
	v_cmp_ne_u32_e64 s[4:5], s31, v8
	v_bfrev_b32_e32 v26, 1
	s_and_saveexec_b64 s[26:27], s[4:5]
	s_cbranch_execz .LBB374_706
; %bb.703:                              ;   in Loop: Header=BB374_370 Depth=1
	v_bfe_u32 v9, v9, 24, 7
	v_cmp_ne_u32_e64 s[4:5], s34, v9
	v_mov_b32_e32 v26, 0x7f800001
	s_and_saveexec_b64 s[28:29], s[4:5]
	s_cbranch_execz .LBB374_705
; %bb.704:                              ;   in Loop: Header=BB374_370 Depth=1
	v_and_b32_e32 v23, 7, v8
	v_ffbh_u32_e32 v26, v23
	v_min_u32_e32 v37, 32, v26
	v_subrev_u32_e32 v26, 28, v37
	v_lshlrev_b64 v[26:27], v26, v[8:9]
	v_lshrrev_b32_e32 v28, 3, v9
	v_sub_u32_e32 v27, 29, v37
	v_and_b32_e32 v26, 7, v26
	v_cmp_gt_u32_e64 s[4:5], 8, v9
	v_cndmask_b32_e64 v9, v28, v27, s[4:5]
	v_cndmask_b32_e64 v23, v23, v26, s[4:5]
	v_lshlrev_b32_e32 v8, 24, v8
	v_bfrev_b32_e32 v26, 60
	v_lshlrev_b32_e32 v23, 20, v23
	v_and_b32_e32 v8, 0x80000000, v8
	v_lshl_add_u32 v9, v9, 23, v26
	v_or3_b32 v26, v8, v9, v23
.LBB374_705:                            ;   in Loop: Header=BB374_370 Depth=1
	s_or_b64 exec, exec, s[28:29]
.LBB374_706:                            ;   in Loop: Header=BB374_370 Depth=1
	s_or_b64 exec, exec, s[26:27]
.LBB374_707:                            ;   in Loop: Header=BB374_370 Depth=1
	s_or_b64 exec, exec, s[10:11]
	v_mul_f32_e32 v9, v11, v26
	v_and_b32_e32 v8, 0x7f800000, v9
	v_cmp_ne_u32_e64 s[4:5], s15, v8
                                        ; implicit-def: $vgpr8
	s_and_saveexec_b64 s[10:11], s[4:5]
	s_xor_b64 s[4:5], exec, s[10:11]
; %bb.708:                              ;   in Loop: Header=BB374_370 Depth=1
	v_bfe_u32 v8, v9, 16, 1
	v_add3_u32 v8, v9, v8, s30
                                        ; implicit-def: $vgpr9
; %bb.709:                              ;   in Loop: Header=BB374_370 Depth=1
	s_andn2_saveexec_b64 s[10:11], s[4:5]
; %bb.710:                              ;   in Loop: Header=BB374_370 Depth=1
	v_or_b32_e32 v8, 0x10000, v9
	v_cmp_eq_u32_sdwa s[4:5], v9, v17 src0_sel:WORD_0 src1_sel:DWORD
	v_cndmask_b32_e64 v8, v8, v9, s[4:5]
; %bb.711:                              ;   in Loop: Header=BB374_370 Depth=1
	s_or_b64 exec, exec, s[10:11]
	v_lshrrev_b32_e32 v26, 16, v16
	v_lshrrev_b32_e32 v25, 16, v25
	;; [unrolled: 1-line block ×8, first 2 shown]
	s_and_saveexec_b64 s[10:11], vcc
	s_cbranch_execz .LBB374_713
; %bb.712:                              ;   in Loop: Header=BB374_370 Depth=1
	v_cmp_lt_i32_e64 s[4:5], v49, v55
	v_cndmask_b32_e64 v9, 0, v9, s[4:5]
	v_cmp_lt_i32_e64 s[4:5], v41, v55
	v_cndmask_b32_e64 v21, 0, v21, s[4:5]
	v_cmp_lt_i32_e64 s[4:5], v40, v55
	v_accvgpr_read_b32 v10, a26
	v_cndmask_b32_e64 v22, 0, v22, s[4:5]
	v_cmp_lt_i32_e64 s[4:5], v10, v55
	v_cndmask_b32_e64 v24, 0, v24, s[4:5]
	v_cmp_lt_i32_e64 s[4:5], v52, v55
	v_accvgpr_read_b32 v10, a25
	v_cndmask_b32_e64 v25, 0, v25, s[4:5]
	v_cmp_lt_i32_e64 s[4:5], v10, v55
	v_accvgpr_read_b32 v10, a24
	;; [unrolled: 3-line block ×3, first 2 shown]
	v_cndmask_b32_e64 v16, 0, v16, s[4:5]
	v_cmp_lt_i32_e64 s[4:5], v10, v55
	v_cndmask_b32_e64 v8, 0, v8, s[4:5]
.LBB374_713:                            ;   in Loop: Header=BB374_370 Depth=1
	s_or_b64 exec, exec, s[10:11]
	v_lshlrev_b32_e32 v9, 16, v9
	v_mul_f32_e32 v10, v44, v9
	v_and_b32_e32 v9, 0x7f800000, v10
	v_cmp_ne_u32_e64 s[4:5], s15, v9
                                        ; implicit-def: $vgpr9
	s_and_saveexec_b64 s[10:11], s[4:5]
	s_xor_b64 s[4:5], exec, s[10:11]
; %bb.714:                              ;   in Loop: Header=BB374_370 Depth=1
	v_bfe_u32 v9, v10, 16, 1
	v_add3_u32 v9, v10, v9, s30
                                        ; implicit-def: $vgpr10
; %bb.715:                              ;   in Loop: Header=BB374_370 Depth=1
	s_andn2_saveexec_b64 s[10:11], s[4:5]
; %bb.716:                              ;   in Loop: Header=BB374_370 Depth=1
	v_or_b32_e32 v9, 0x10000, v10
	v_cmp_eq_u32_sdwa s[4:5], v10, v17 src0_sel:WORD_0 src1_sel:DWORD
	v_cndmask_b32_e64 v9, v9, v10, s[4:5]
; %bb.717:                              ;   in Loop: Header=BB374_370 Depth=1
	s_or_b64 exec, exec, s[10:11]
	v_lshlrev_b32_e32 v10, 16, v21
	v_mul_f32_e32 v20, v56, v10
	v_and_b32_e32 v10, 0x7f800000, v20
	v_cmp_ne_u32_e64 s[4:5], s15, v10
                                        ; implicit-def: $vgpr10
	s_and_saveexec_b64 s[10:11], s[4:5]
	s_xor_b64 s[4:5], exec, s[10:11]
; %bb.718:                              ;   in Loop: Header=BB374_370 Depth=1
	v_bfe_u32 v10, v20, 16, 1
	v_add3_u32 v10, v20, v10, s30
                                        ; implicit-def: $vgpr20
; %bb.719:                              ;   in Loop: Header=BB374_370 Depth=1
	s_andn2_saveexec_b64 s[10:11], s[4:5]
; %bb.720:                              ;   in Loop: Header=BB374_370 Depth=1
	v_or_b32_e32 v10, 0x10000, v20
	v_cmp_eq_u32_sdwa s[4:5], v20, v17 src0_sel:WORD_0 src1_sel:DWORD
	v_cndmask_b32_e64 v10, v10, v20, s[4:5]
; %bb.721:                              ;   in Loop: Header=BB374_370 Depth=1
	s_or_b64 exec, exec, s[10:11]
	v_lshlrev_b32_e32 v20, 16, v22
	v_mul_f32_e32 v20, v57, v20
	v_and_b32_e32 v21, 0x7f800000, v20
	v_cmp_ne_u32_e64 s[4:5], s15, v21
                                        ; implicit-def: $vgpr21
	s_and_saveexec_b64 s[10:11], s[4:5]
	s_xor_b64 s[4:5], exec, s[10:11]
; %bb.722:                              ;   in Loop: Header=BB374_370 Depth=1
	v_bfe_u32 v21, v20, 16, 1
	v_add3_u32 v21, v20, v21, s30
                                        ; implicit-def: $vgpr20
; %bb.723:                              ;   in Loop: Header=BB374_370 Depth=1
	s_andn2_saveexec_b64 s[10:11], s[4:5]
; %bb.724:                              ;   in Loop: Header=BB374_370 Depth=1
	v_or_b32_e32 v21, 0x10000, v20
	v_cmp_eq_u32_sdwa s[4:5], v20, v17 src0_sel:WORD_0 src1_sel:DWORD
	v_cndmask_b32_e64 v21, v21, v20, s[4:5]
; %bb.725:                              ;   in Loop: Header=BB374_370 Depth=1
	s_or_b64 exec, exec, s[10:11]
	v_lshlrev_b32_e32 v20, 16, v24
	v_mul_f32_e32 v20, v58, v20
	v_and_b32_e32 v22, 0x7f800000, v20
	v_cmp_ne_u32_e64 s[4:5], s15, v22
                                        ; implicit-def: $vgpr27
	s_and_saveexec_b64 s[10:11], s[4:5]
	s_xor_b64 s[4:5], exec, s[10:11]
; %bb.726:                              ;   in Loop: Header=BB374_370 Depth=1
	v_bfe_u32 v22, v20, 16, 1
	v_add3_u32 v27, v20, v22, s30
                                        ; implicit-def: $vgpr20
; %bb.727:                              ;   in Loop: Header=BB374_370 Depth=1
	s_andn2_saveexec_b64 s[10:11], s[4:5]
; %bb.728:                              ;   in Loop: Header=BB374_370 Depth=1
	v_or_b32_e32 v22, 0x10000, v20
	v_cmp_eq_u32_sdwa s[4:5], v20, v17 src0_sel:WORD_0 src1_sel:DWORD
	v_cndmask_b32_e64 v27, v22, v20, s[4:5]
; %bb.729:                              ;   in Loop: Header=BB374_370 Depth=1
	s_or_b64 exec, exec, s[10:11]
	v_lshlrev_b32_e32 v20, 16, v25
	v_mul_f32_e32 v20, v59, v20
	v_and_b32_e32 v22, 0x7f800000, v20
	v_cmp_ne_u32_e64 s[4:5], s15, v22
                                        ; implicit-def: $vgpr45
	s_and_saveexec_b64 s[10:11], s[4:5]
	s_xor_b64 s[4:5], exec, s[10:11]
; %bb.730:                              ;   in Loop: Header=BB374_370 Depth=1
	v_bfe_u32 v22, v20, 16, 1
	v_add3_u32 v45, v20, v22, s30
                                        ; implicit-def: $vgpr20
; %bb.731:                              ;   in Loop: Header=BB374_370 Depth=1
	s_andn2_saveexec_b64 s[10:11], s[4:5]
; %bb.732:                              ;   in Loop: Header=BB374_370 Depth=1
	v_or_b32_e32 v22, 0x10000, v20
	v_cmp_eq_u32_sdwa s[4:5], v20, v17 src0_sel:WORD_0 src1_sel:DWORD
	v_cndmask_b32_e64 v45, v22, v20, s[4:5]
; %bb.733:                              ;   in Loop: Header=BB374_370 Depth=1
	s_or_b64 exec, exec, s[10:11]
	v_lshlrev_b32_e32 v20, 16, v26
	v_mul_f32_e32 v20, v60, v20
	v_and_b32_e32 v22, 0x7f800000, v20
	v_cmp_ne_u32_e64 s[4:5], s15, v22
                                        ; implicit-def: $vgpr46
	s_and_saveexec_b64 s[10:11], s[4:5]
	s_xor_b64 s[4:5], exec, s[10:11]
; %bb.734:                              ;   in Loop: Header=BB374_370 Depth=1
	v_bfe_u32 v22, v20, 16, 1
	v_add3_u32 v46, v20, v22, s30
                                        ; implicit-def: $vgpr20
; %bb.735:                              ;   in Loop: Header=BB374_370 Depth=1
	s_andn2_saveexec_b64 s[10:11], s[4:5]
; %bb.736:                              ;   in Loop: Header=BB374_370 Depth=1
	v_or_b32_e32 v22, 0x10000, v20
	v_cmp_eq_u32_sdwa s[4:5], v20, v17 src0_sel:WORD_0 src1_sel:DWORD
	v_cndmask_b32_e64 v46, v22, v20, s[4:5]
; %bb.737:                              ;   in Loop: Header=BB374_370 Depth=1
	s_or_b64 exec, exec, s[10:11]
	v_lshlrev_b32_e32 v16, 16, v16
	v_mul_f32_e32 v16, v61, v16
	v_and_b32_e32 v20, 0x7f800000, v16
	v_cmp_ne_u32_e64 s[4:5], s15, v20
                                        ; implicit-def: $vgpr47
	s_and_saveexec_b64 s[10:11], s[4:5]
	s_xor_b64 s[4:5], exec, s[10:11]
; %bb.738:                              ;   in Loop: Header=BB374_370 Depth=1
	v_bfe_u32 v20, v16, 16, 1
	v_add3_u32 v47, v16, v20, s30
                                        ; implicit-def: $vgpr16
; %bb.739:                              ;   in Loop: Header=BB374_370 Depth=1
	s_andn2_saveexec_b64 s[10:11], s[4:5]
; %bb.740:                              ;   in Loop: Header=BB374_370 Depth=1
	v_or_b32_e32 v20, 0x10000, v16
	v_cmp_eq_u32_sdwa s[4:5], v16, v17 src0_sel:WORD_0 src1_sel:DWORD
	v_cndmask_b32_e64 v47, v20, v16, s[4:5]
; %bb.741:                              ;   in Loop: Header=BB374_370 Depth=1
	s_or_b64 exec, exec, s[10:11]
	v_lshlrev_b32_e32 v8, 16, v8
	v_mul_f32_e32 v8, v62, v8
	v_and_b32_e32 v16, 0x7f800000, v8
	v_cmp_ne_u32_e64 s[4:5], s15, v16
                                        ; implicit-def: $vgpr26
	s_and_saveexec_b64 s[10:11], s[4:5]
	s_xor_b64 s[4:5], exec, s[10:11]
; %bb.742:                              ;   in Loop: Header=BB374_370 Depth=1
	v_bfe_u32 v16, v8, 16, 1
	v_add3_u32 v26, v8, v16, s30
                                        ; implicit-def: $vgpr8
; %bb.743:                              ;   in Loop: Header=BB374_370 Depth=1
	s_andn2_saveexec_b64 s[10:11], s[4:5]
; %bb.744:                              ;   in Loop: Header=BB374_370 Depth=1
	v_or_b32_e32 v16, 0x10000, v8
	v_cmp_eq_u32_sdwa s[4:5], v8, v17 src0_sel:WORD_0 src1_sel:DWORD
	v_cndmask_b32_e64 v26, v16, v8, s[4:5]
; %bb.745:                              ;   in Loop: Header=BB374_370 Depth=1
	s_or_b64 exec, exec, s[10:11]
	flat_load_dwordx2 v[6:7], v[6:7] offset:1536
	v_mov_b32_e32 v8, 0
	s_waitcnt vmcnt(0) lgkmcnt(0)
	v_cmp_ne_u16_sdwa s[4:5], v6, v17 src0_sel:BYTE_0 src1_sel:DWORD
	s_and_saveexec_b64 s[10:11], s[4:5]
	s_cbranch_execz .LBB374_751
; %bb.746:                              ;   in Loop: Header=BB374_370 Depth=1
	v_cmp_ne_u16_sdwa s[4:5], v6, s31 src0_sel:BYTE_0 src1_sel:DWORD
	v_bfrev_b32_e32 v8, 1
	s_and_saveexec_b64 s[26:27], s[4:5]
	s_cbranch_execz .LBB374_750
; %bb.747:                              ;   in Loop: Header=BB374_370 Depth=1
	v_and_b32_e32 v16, 0x7f, v6
	v_cmp_ne_u32_e64 s[4:5], s34, v16
	v_mov_b32_e32 v8, 0x7f800001
	s_and_saveexec_b64 s[28:29], s[4:5]
	s_cbranch_execz .LBB374_749
; %bb.748:                              ;   in Loop: Header=BB374_370 Depth=1
	v_and_b32_e32 v8, 7, v6
	v_ffbh_u32_e32 v8, v8
	v_min_u32_e32 v8, 32, v8
	v_subrev_u32_e32 v22, 28, v8
	v_cmp_gt_u32_e64 s[4:5], 8, v16
	v_lshrrev_b32_e32 v20, 3, v16
	v_cndmask_b32_e64 v16, 0, v22, s[4:5]
	v_sub_u32_e32 v8, 29, v8
	v_lshlrev_b64 v[24:25], v16, v[6:7]
	v_cndmask_b32_e64 v8, v20, v8, s[4:5]
	v_lshlrev_b32_e32 v16, 20, v24
	v_lshlrev_b32_e32 v20, 24, v6
	v_bfrev_b32_e32 v22, 60
	v_and_b32_e32 v16, 0x700000, v16
	v_and_b32_e32 v20, 0x80000000, v20
	v_lshl_add_u32 v8, v8, 23, v22
	v_or3_b32 v8, v20, v8, v16
.LBB374_749:                            ;   in Loop: Header=BB374_370 Depth=1
	s_or_b64 exec, exec, s[28:29]
.LBB374_750:                            ;   in Loop: Header=BB374_370 Depth=1
	s_or_b64 exec, exec, s[26:27]
.LBB374_751:                            ;   in Loop: Header=BB374_370 Depth=1
	s_or_b64 exec, exec, s[10:11]
	v_mul_f32_e32 v8, v11, v8
	v_and_b32_e32 v16, 0x7f800000, v8
	v_cmp_ne_u32_e64 s[4:5], s15, v16
                                        ; implicit-def: $vgpr20
	s_and_saveexec_b64 s[10:11], s[4:5]
	s_xor_b64 s[4:5], exec, s[10:11]
; %bb.752:                              ;   in Loop: Header=BB374_370 Depth=1
	v_bfe_u32 v16, v8, 16, 1
	v_add3_u32 v20, v8, v16, s30
                                        ; implicit-def: $vgpr8
; %bb.753:                              ;   in Loop: Header=BB374_370 Depth=1
	s_andn2_saveexec_b64 s[10:11], s[4:5]
; %bb.754:                              ;   in Loop: Header=BB374_370 Depth=1
	v_or_b32_e32 v16, 0x10000, v8
	v_cmp_eq_u32_sdwa s[4:5], v8, v17 src0_sel:WORD_0 src1_sel:DWORD
	v_cndmask_b32_e64 v20, v16, v8, s[4:5]
; %bb.755:                              ;   in Loop: Header=BB374_370 Depth=1
	s_or_b64 exec, exec, s[10:11]
	v_lshrrev_b16_e32 v8, 8, v6
	v_cmp_ne_u16_e64 s[4:5], 0, v8
	v_mov_b32_e32 v16, 0
	s_and_saveexec_b64 s[10:11], s[4:5]
	s_cbranch_execz .LBB374_761
; %bb.756:                              ;   in Loop: Header=BB374_370 Depth=1
	v_cmp_ne_u16_e64 s[4:5], s31, v8
	v_bfrev_b32_e32 v16, 1
	s_and_saveexec_b64 s[26:27], s[4:5]
	s_cbranch_execz .LBB374_760
; %bb.757:                              ;   in Loop: Header=BB374_370 Depth=1
	v_and_b32_e32 v22, 0x7f, v8
	v_cmp_ne_u32_e64 s[4:5], s34, v22
	v_mov_b32_e32 v16, 0x7f800001
	s_and_saveexec_b64 s[28:29], s[4:5]
	s_cbranch_execz .LBB374_759
; %bb.758:                              ;   in Loop: Header=BB374_370 Depth=1
	v_and_b32_e32 v16, 7, v8
	v_ffbh_u32_e32 v24, v16
	v_min_u32_e32 v28, 32, v24
	v_subrev_u32_e32 v24, 28, v28
	v_lshlrev_b64 v[24:25], v24, v[8:9]
	v_lshrrev_b32_e32 v23, 3, v22
	v_sub_u32_e32 v8, 29, v28
	v_and_b32_e32 v24, 7, v24
	v_cmp_gt_u32_e64 s[4:5], 8, v22
	v_cndmask_b32_e64 v8, v23, v8, s[4:5]
	v_cndmask_b32_e64 v16, v16, v24, s[4:5]
	v_lshlrev_b32_e32 v22, 16, v6
	v_bfrev_b32_e32 v23, 60
	v_lshlrev_b32_e32 v16, 20, v16
	v_and_b32_e32 v22, 0x80000000, v22
	v_lshl_add_u32 v8, v8, 23, v23
	v_or3_b32 v16, v22, v8, v16
.LBB374_759:                            ;   in Loop: Header=BB374_370 Depth=1
	s_or_b64 exec, exec, s[28:29]
.LBB374_760:                            ;   in Loop: Header=BB374_370 Depth=1
	s_or_b64 exec, exec, s[26:27]
.LBB374_761:                            ;   in Loop: Header=BB374_370 Depth=1
	s_or_b64 exec, exec, s[10:11]
	v_mul_f32_e32 v8, v11, v16
	v_and_b32_e32 v16, 0x7f800000, v8
	v_cmp_ne_u32_e64 s[4:5], s15, v16
                                        ; implicit-def: $vgpr22
	s_and_saveexec_b64 s[10:11], s[4:5]
	s_xor_b64 s[4:5], exec, s[10:11]
; %bb.762:                              ;   in Loop: Header=BB374_370 Depth=1
	v_bfe_u32 v16, v8, 16, 1
	v_add3_u32 v22, v8, v16, s30
                                        ; implicit-def: $vgpr8
; %bb.763:                              ;   in Loop: Header=BB374_370 Depth=1
	s_andn2_saveexec_b64 s[10:11], s[4:5]
; %bb.764:                              ;   in Loop: Header=BB374_370 Depth=1
	v_or_b32_e32 v16, 0x10000, v8
	v_cmp_eq_u32_sdwa s[4:5], v8, v17 src0_sel:WORD_0 src1_sel:DWORD
	v_cndmask_b32_e64 v22, v16, v8, s[4:5]
; %bb.765:                              ;   in Loop: Header=BB374_370 Depth=1
	s_or_b64 exec, exec, s[10:11]
	v_lshrrev_b32_e32 v8, 16, v6
	v_cmp_ne_u16_sdwa s[4:5], v8, v17 src0_sel:BYTE_0 src1_sel:DWORD
	v_mov_b32_e32 v16, 0
	s_and_saveexec_b64 s[10:11], s[4:5]
	s_cbranch_execz .LBB374_771
; %bb.766:                              ;   in Loop: Header=BB374_370 Depth=1
	v_cmp_ne_u16_sdwa s[4:5], v8, s31 src0_sel:BYTE_0 src1_sel:DWORD
	v_bfrev_b32_e32 v16, 1
	s_and_saveexec_b64 s[26:27], s[4:5]
	s_cbranch_execz .LBB374_770
; %bb.767:                              ;   in Loop: Header=BB374_370 Depth=1
	v_bfe_u32 v24, v6, 16, 7
	v_cmp_ne_u32_e64 s[4:5], s34, v24
	v_mov_b32_e32 v16, 0x7f800001
	s_and_saveexec_b64 s[28:29], s[4:5]
	s_cbranch_execz .LBB374_769
; %bb.768:                              ;   in Loop: Header=BB374_370 Depth=1
	v_and_b32_e32 v16, 7, v8
	v_ffbh_u32_e32 v25, v16
	v_min_u32_e32 v25, 32, v25
	v_subrev_u32_e32 v28, 28, v25
	v_lshlrev_b64 v[50:51], v28, v[8:9]
	v_lshrrev_b32_e32 v23, 3, v24
	v_sub_u32_e32 v25, 29, v25
	v_and_b32_e32 v28, 7, v50
	v_cmp_gt_u32_e64 s[4:5], 8, v24
	v_cndmask_b32_e64 v23, v23, v25, s[4:5]
	v_cndmask_b32_e64 v16, v16, v28, s[4:5]
	v_lshlrev_b32_e32 v8, 24, v8
	v_bfrev_b32_e32 v24, 60
	v_lshlrev_b32_e32 v16, 20, v16
	v_and_b32_e32 v8, 0x80000000, v8
	v_lshl_add_u32 v23, v23, 23, v24
	v_or3_b32 v16, v8, v23, v16
.LBB374_769:                            ;   in Loop: Header=BB374_370 Depth=1
	s_or_b64 exec, exec, s[28:29]
.LBB374_770:                            ;   in Loop: Header=BB374_370 Depth=1
	s_or_b64 exec, exec, s[26:27]
.LBB374_771:                            ;   in Loop: Header=BB374_370 Depth=1
	s_or_b64 exec, exec, s[10:11]
	v_mul_f32_e32 v8, v11, v16
	v_and_b32_e32 v16, 0x7f800000, v8
	v_cmp_ne_u32_e64 s[4:5], s15, v16
                                        ; implicit-def: $vgpr24
	s_and_saveexec_b64 s[10:11], s[4:5]
	s_xor_b64 s[4:5], exec, s[10:11]
; %bb.772:                              ;   in Loop: Header=BB374_370 Depth=1
	v_bfe_u32 v16, v8, 16, 1
	v_add3_u32 v24, v8, v16, s30
                                        ; implicit-def: $vgpr8
; %bb.773:                              ;   in Loop: Header=BB374_370 Depth=1
	s_andn2_saveexec_b64 s[10:11], s[4:5]
; %bb.774:                              ;   in Loop: Header=BB374_370 Depth=1
	v_or_b32_e32 v16, 0x10000, v8
	v_cmp_eq_u32_sdwa s[4:5], v8, v17 src0_sel:WORD_0 src1_sel:DWORD
	v_cndmask_b32_e64 v24, v16, v8, s[4:5]
; %bb.775:                              ;   in Loop: Header=BB374_370 Depth=1
	s_or_b64 exec, exec, s[10:11]
	v_cmp_lt_u32_e64 s[4:5], s23, v6
	v_mov_b32_e32 v16, 0
	s_and_saveexec_b64 s[10:11], s[4:5]
	s_cbranch_execz .LBB374_781
; %bb.776:                              ;   in Loop: Header=BB374_370 Depth=1
	v_lshrrev_b32_e32 v8, 24, v6
	v_cmp_ne_u32_e64 s[4:5], s31, v8
	v_bfrev_b32_e32 v16, 1
	s_and_saveexec_b64 s[26:27], s[4:5]
	s_cbranch_execz .LBB374_780
; %bb.777:                              ;   in Loop: Header=BB374_370 Depth=1
	v_bfe_u32 v25, v6, 24, 7
	v_cmp_ne_u32_e64 s[4:5], s34, v25
	v_mov_b32_e32 v16, 0x7f800001
	s_and_saveexec_b64 s[28:29], s[4:5]
	s_cbranch_execz .LBB374_779
; %bb.778:                              ;   in Loop: Header=BB374_370 Depth=1
	v_and_b32_e32 v16, 7, v8
	v_ffbh_u32_e32 v28, v16
	v_min_u32_e32 v28, 32, v28
	v_subrev_u32_e32 v37, 28, v28
	v_lshlrev_b64 v[50:51], v37, v[8:9]
	v_lshrrev_b32_e32 v23, 3, v25
	v_sub_u32_e32 v28, 29, v28
	v_and_b32_e32 v37, 7, v50
	v_cmp_gt_u32_e64 s[4:5], 8, v25
	v_cndmask_b32_e64 v23, v23, v28, s[4:5]
	v_cndmask_b32_e64 v16, v16, v37, s[4:5]
	v_lshlrev_b32_e32 v8, 24, v8
	v_bfrev_b32_e32 v25, 60
	v_lshlrev_b32_e32 v16, 20, v16
	v_and_b32_e32 v8, 0x80000000, v8
	v_lshl_add_u32 v23, v23, 23, v25
	v_or3_b32 v16, v8, v23, v16
.LBB374_779:                            ;   in Loop: Header=BB374_370 Depth=1
	s_or_b64 exec, exec, s[28:29]
.LBB374_780:                            ;   in Loop: Header=BB374_370 Depth=1
	s_or_b64 exec, exec, s[26:27]
.LBB374_781:                            ;   in Loop: Header=BB374_370 Depth=1
	s_or_b64 exec, exec, s[10:11]
	v_mul_f32_e32 v8, v11, v16
	v_and_b32_e32 v16, 0x7f800000, v8
	v_cmp_ne_u32_e64 s[4:5], s15, v16
                                        ; implicit-def: $vgpr25
	s_and_saveexec_b64 s[10:11], s[4:5]
	s_xor_b64 s[4:5], exec, s[10:11]
; %bb.782:                              ;   in Loop: Header=BB374_370 Depth=1
	v_bfe_u32 v16, v8, 16, 1
	v_add3_u32 v25, v8, v16, s30
                                        ; implicit-def: $vgpr8
; %bb.783:                              ;   in Loop: Header=BB374_370 Depth=1
	s_andn2_saveexec_b64 s[10:11], s[4:5]
; %bb.784:                              ;   in Loop: Header=BB374_370 Depth=1
	v_or_b32_e32 v16, 0x10000, v8
	v_cmp_eq_u32_sdwa s[4:5], v8, v17 src0_sel:WORD_0 src1_sel:DWORD
	v_cndmask_b32_e64 v25, v16, v8, s[4:5]
; %bb.785:                              ;   in Loop: Header=BB374_370 Depth=1
	s_or_b64 exec, exec, s[10:11]
	v_mov_b32_e32 v16, v7
	v_cmp_ne_u16_sdwa s[4:5], v7, v17 src0_sel:BYTE_0 src1_sel:DWORD
	v_mov_b32_e32 v8, 0
	s_and_saveexec_b64 s[10:11], s[4:5]
	s_cbranch_execz .LBB374_791
; %bb.786:                              ;   in Loop: Header=BB374_370 Depth=1
	v_cmp_ne_u16_sdwa s[4:5], v7, s31 src0_sel:BYTE_0 src1_sel:DWORD
	v_bfrev_b32_e32 v8, 1
	s_and_saveexec_b64 s[26:27], s[4:5]
	s_cbranch_execz .LBB374_790
; %bb.787:                              ;   in Loop: Header=BB374_370 Depth=1
	v_and_b32_e32 v37, 0x7f, v7
	v_cmp_ne_u32_e64 s[4:5], s34, v37
	v_mov_b32_e32 v8, 0x7f800001
	s_and_saveexec_b64 s[28:29], s[4:5]
	s_cbranch_execz .LBB374_789
; %bb.788:                              ;   in Loop: Header=BB374_370 Depth=1
	v_and_b32_e32 v8, 7, v7
	v_ffbh_u32_e32 v8, v8
	v_min_u32_e32 v8, 32, v8
	v_lshrrev_b32_e32 v23, 3, v37
	v_subrev_u32_e32 v28, 28, v8
	v_sub_u32_e32 v8, 29, v8
	v_cmp_gt_u32_e64 s[4:5], 8, v37
	v_cndmask_b32_e64 v8, v23, v8, s[4:5]
	v_cndmask_b32_e64 v23, 0, v28, s[4:5]
	v_lshlrev_b64 v[50:51], v23, v[16:17]
	v_lshlrev_b32_e32 v23, 20, v50
	v_lshlrev_b32_e32 v28, 24, v16
	v_bfrev_b32_e32 v37, 60
	v_and_b32_e32 v23, 0x700000, v23
	v_and_b32_e32 v28, 0x80000000, v28
	v_lshl_add_u32 v8, v8, 23, v37
	v_or3_b32 v8, v28, v8, v23
.LBB374_789:                            ;   in Loop: Header=BB374_370 Depth=1
	s_or_b64 exec, exec, s[28:29]
.LBB374_790:                            ;   in Loop: Header=BB374_370 Depth=1
	s_or_b64 exec, exec, s[26:27]
.LBB374_791:                            ;   in Loop: Header=BB374_370 Depth=1
	s_or_b64 exec, exec, s[10:11]
	v_mul_f32_e32 v8, v11, v8
	v_and_b32_e32 v23, 0x7f800000, v8
	v_cmp_ne_u32_e64 s[4:5], s15, v23
                                        ; implicit-def: $vgpr37
	s_and_saveexec_b64 s[10:11], s[4:5]
	s_xor_b64 s[4:5], exec, s[10:11]
; %bb.792:                              ;   in Loop: Header=BB374_370 Depth=1
	v_bfe_u32 v23, v8, 16, 1
	v_add3_u32 v37, v8, v23, s30
                                        ; implicit-def: $vgpr8
; %bb.793:                              ;   in Loop: Header=BB374_370 Depth=1
	s_andn2_saveexec_b64 s[10:11], s[4:5]
; %bb.794:                              ;   in Loop: Header=BB374_370 Depth=1
	v_or_b32_e32 v23, 0x10000, v8
	v_cmp_eq_u32_sdwa s[4:5], v8, v17 src0_sel:WORD_0 src1_sel:DWORD
	v_cndmask_b32_e64 v37, v23, v8, s[4:5]
; %bb.795:                              ;   in Loop: Header=BB374_370 Depth=1
	s_or_b64 exec, exec, s[10:11]
	v_lshrrev_b16_e32 v8, 8, v16
	v_cmp_ne_u16_e64 s[4:5], 0, v8
	v_mov_b32_e32 v50, 0
	s_and_saveexec_b64 s[10:11], s[4:5]
	s_cbranch_execz .LBB374_801
; %bb.796:                              ;   in Loop: Header=BB374_370 Depth=1
	v_cmp_ne_u16_e64 s[4:5], s31, v8
	v_bfrev_b32_e32 v50, 1
	s_and_saveexec_b64 s[26:27], s[4:5]
	s_cbranch_execz .LBB374_800
; %bb.797:                              ;   in Loop: Header=BB374_370 Depth=1
	v_and_b32_e32 v51, 0x7f, v8
	v_cmp_ne_u32_e64 s[4:5], s34, v51
	v_mov_b32_e32 v50, 0x7f800001
	s_and_saveexec_b64 s[28:29], s[4:5]
	s_cbranch_execz .LBB374_799
; %bb.798:                              ;   in Loop: Header=BB374_370 Depth=1
	v_and_b32_e32 v23, 7, v8
	v_ffbh_u32_e32 v50, v23
	v_min_u32_e32 v50, 32, v50
	v_subrev_u32_e32 v53, 28, v50
	v_lshlrev_b64 v[54:55], v53, v[8:9]
	v_lshrrev_b32_e32 v28, 3, v51
	v_sub_u32_e32 v8, 29, v50
	v_and_b32_e32 v50, 7, v54
	v_cmp_gt_u32_e64 s[4:5], 8, v51
	v_cndmask_b32_e64 v8, v28, v8, s[4:5]
	v_cndmask_b32_e64 v23, v23, v50, s[4:5]
	v_lshlrev_b32_e32 v16, 16, v16
	v_bfrev_b32_e32 v28, 60
	v_lshlrev_b32_e32 v23, 20, v23
	v_and_b32_e32 v16, 0x80000000, v16
	v_lshl_add_u32 v8, v8, 23, v28
	v_accvgpr_read_b32 v53, a15
	v_accvgpr_read_b32 v55, a3
	;; [unrolled: 1-line block ×3, first 2 shown]
	v_or3_b32 v50, v16, v8, v23
.LBB374_799:                            ;   in Loop: Header=BB374_370 Depth=1
	s_or_b64 exec, exec, s[28:29]
.LBB374_800:                            ;   in Loop: Header=BB374_370 Depth=1
	s_or_b64 exec, exec, s[26:27]
.LBB374_801:                            ;   in Loop: Header=BB374_370 Depth=1
	s_or_b64 exec, exec, s[10:11]
	v_mul_f32_e32 v8, v11, v50
	v_and_b32_e32 v16, 0x7f800000, v8
	v_cmp_ne_u32_e64 s[4:5], s15, v16
                                        ; implicit-def: $vgpr16
	s_and_saveexec_b64 s[10:11], s[4:5]
	s_xor_b64 s[4:5], exec, s[10:11]
; %bb.802:                              ;   in Loop: Header=BB374_370 Depth=1
	v_bfe_u32 v16, v8, 16, 1
	v_add3_u32 v16, v8, v16, s30
                                        ; implicit-def: $vgpr8
; %bb.803:                              ;   in Loop: Header=BB374_370 Depth=1
	s_andn2_saveexec_b64 s[10:11], s[4:5]
; %bb.804:                              ;   in Loop: Header=BB374_370 Depth=1
	v_or_b32_e32 v16, 0x10000, v8
	v_cmp_eq_u32_sdwa s[4:5], v8, v17 src0_sel:WORD_0 src1_sel:DWORD
	v_cndmask_b32_e64 v16, v16, v8, s[4:5]
; %bb.805:                              ;   in Loop: Header=BB374_370 Depth=1
	s_or_b64 exec, exec, s[10:11]
	v_lshrrev_b32_e32 v8, 16, v7
	v_cmp_ne_u16_sdwa s[4:5], v8, v17 src0_sel:BYTE_0 src1_sel:DWORD
	v_mov_b32_e32 v50, 0
	s_and_saveexec_b64 s[10:11], s[4:5]
	s_cbranch_execz .LBB374_811
; %bb.806:                              ;   in Loop: Header=BB374_370 Depth=1
	v_cmp_ne_u16_sdwa s[4:5], v8, s31 src0_sel:BYTE_0 src1_sel:DWORD
	v_bfrev_b32_e32 v50, 1
	s_and_saveexec_b64 s[26:27], s[4:5]
	s_cbranch_execz .LBB374_810
; %bb.807:                              ;   in Loop: Header=BB374_370 Depth=1
	v_bfe_u32 v51, v7, 16, 7
	v_cmp_ne_u32_e64 s[4:5], s34, v51
	v_mov_b32_e32 v50, 0x7f800001
	s_and_saveexec_b64 s[28:29], s[4:5]
	s_cbranch_execz .LBB374_809
; %bb.808:                              ;   in Loop: Header=BB374_370 Depth=1
	v_and_b32_e32 v23, 7, v8
	v_ffbh_u32_e32 v50, v23
	v_min_u32_e32 v50, 32, v50
	v_subrev_u32_e32 v53, 28, v50
	v_lshlrev_b64 v[54:55], v53, v[8:9]
	v_lshrrev_b32_e32 v28, 3, v51
	v_sub_u32_e32 v50, 29, v50
	v_and_b32_e32 v53, 7, v54
	v_cmp_gt_u32_e64 s[4:5], 8, v51
	v_cndmask_b32_e64 v28, v28, v50, s[4:5]
	v_cndmask_b32_e64 v23, v23, v53, s[4:5]
	v_lshlrev_b32_e32 v8, 24, v8
	v_bfrev_b32_e32 v50, 60
	v_lshlrev_b32_e32 v23, 20, v23
	v_and_b32_e32 v8, 0x80000000, v8
	v_lshl_add_u32 v28, v28, 23, v50
	v_accvgpr_read_b32 v55, a3
	v_accvgpr_read_b32 v54, a2
	;; [unrolled: 1-line block ×3, first 2 shown]
	v_or3_b32 v50, v8, v28, v23
.LBB374_809:                            ;   in Loop: Header=BB374_370 Depth=1
	s_or_b64 exec, exec, s[28:29]
.LBB374_810:                            ;   in Loop: Header=BB374_370 Depth=1
	s_or_b64 exec, exec, s[26:27]
.LBB374_811:                            ;   in Loop: Header=BB374_370 Depth=1
	s_or_b64 exec, exec, s[10:11]
	v_mul_f32_e32 v50, v11, v50
	v_and_b32_e32 v8, 0x7f800000, v50
	v_cmp_ne_u32_e64 s[4:5], s15, v8
                                        ; implicit-def: $vgpr8
	s_and_saveexec_b64 s[10:11], s[4:5]
	s_xor_b64 s[4:5], exec, s[10:11]
; %bb.812:                              ;   in Loop: Header=BB374_370 Depth=1
	v_bfe_u32 v8, v50, 16, 1
	v_add3_u32 v8, v50, v8, s30
                                        ; implicit-def: $vgpr50
; %bb.813:                              ;   in Loop: Header=BB374_370 Depth=1
	s_andn2_saveexec_b64 s[10:11], s[4:5]
; %bb.814:                              ;   in Loop: Header=BB374_370 Depth=1
	v_or_b32_e32 v8, 0x10000, v50
	v_cmp_eq_u32_sdwa s[4:5], v50, v17 src0_sel:WORD_0 src1_sel:DWORD
	v_cndmask_b32_e64 v8, v8, v50, s[4:5]
; %bb.815:                              ;   in Loop: Header=BB374_370 Depth=1
	s_or_b64 exec, exec, s[10:11]
	v_cmp_lt_u64_e64 s[4:5], s[22:23], v[6:7]
	v_mov_b32_e32 v50, 0
	s_and_saveexec_b64 s[10:11], s[4:5]
	s_cbranch_execz .LBB374_821
; %bb.816:                              ;   in Loop: Header=BB374_370 Depth=1
	v_lshrrev_b32_e32 v6, 24, v7
	v_cmp_ne_u32_e64 s[4:5], s31, v6
	v_bfrev_b32_e32 v50, 1
	s_and_saveexec_b64 s[26:27], s[4:5]
	s_cbranch_execz .LBB374_820
; %bb.817:                              ;   in Loop: Header=BB374_370 Depth=1
	v_bfe_u32 v7, v7, 24, 7
	v_cmp_ne_u32_e64 s[4:5], s34, v7
	v_mov_b32_e32 v50, 0x7f800001
	s_and_saveexec_b64 s[28:29], s[4:5]
	s_cbranch_execz .LBB374_819
; %bb.818:                              ;   in Loop: Header=BB374_370 Depth=1
	v_and_b32_e32 v23, 7, v6
	v_ffbh_u32_e32 v50, v23
	v_min_u32_e32 v53, 32, v50
	v_subrev_u32_e32 v50, 28, v53
	v_lshlrev_b64 v[50:51], v50, v[6:7]
	v_lshrrev_b32_e32 v28, 3, v7
	v_sub_u32_e32 v51, 29, v53
	v_and_b32_e32 v50, 7, v50
	v_cmp_gt_u32_e64 s[4:5], 8, v7
	v_cndmask_b32_e64 v7, v28, v51, s[4:5]
	v_cndmask_b32_e64 v23, v23, v50, s[4:5]
	v_lshlrev_b32_e32 v6, 24, v6
	v_bfrev_b32_e32 v28, 60
	v_lshlrev_b32_e32 v23, 20, v23
	v_and_b32_e32 v6, 0x80000000, v6
	v_lshl_add_u32 v7, v7, 23, v28
	v_accvgpr_read_b32 v53, a15
	v_or3_b32 v50, v6, v7, v23
.LBB374_819:                            ;   in Loop: Header=BB374_370 Depth=1
	s_or_b64 exec, exec, s[28:29]
.LBB374_820:                            ;   in Loop: Header=BB374_370 Depth=1
	s_or_b64 exec, exec, s[26:27]
.LBB374_821:                            ;   in Loop: Header=BB374_370 Depth=1
	s_or_b64 exec, exec, s[10:11]
	v_mul_f32_e32 v6, v11, v50
	v_and_b32_e32 v7, 0x7f800000, v6
	v_cmp_ne_u32_e64 s[4:5], s15, v7
                                        ; implicit-def: $vgpr51
	s_and_saveexec_b64 s[10:11], s[4:5]
	s_xor_b64 s[4:5], exec, s[10:11]
; %bb.822:                              ;   in Loop: Header=BB374_370 Depth=1
	v_bfe_u32 v7, v6, 16, 1
	v_add3_u32 v51, v6, v7, s30
                                        ; implicit-def: $vgpr6
; %bb.823:                              ;   in Loop: Header=BB374_370 Depth=1
	s_andn2_saveexec_b64 s[10:11], s[4:5]
; %bb.824:                              ;   in Loop: Header=BB374_370 Depth=1
	v_or_b32_e32 v7, 0x10000, v6
	v_cmp_eq_u32_sdwa s[4:5], v6, v17 src0_sel:WORD_0 src1_sel:DWORD
	v_cndmask_b32_e64 v51, v7, v6, s[4:5]
; %bb.825:                              ;   in Loop: Header=BB374_370 Depth=1
	s_or_b64 exec, exec, s[10:11]
	v_lshrrev_b32_e32 v50, 16, v16
	v_lshrrev_b32_e32 v37, 16, v37
	;; [unrolled: 1-line block ×8, first 2 shown]
	s_and_saveexec_b64 s[4:5], vcc
	s_cbranch_execz .LBB374_827
; %bb.826:                              ;   in Loop: Header=BB374_370 Depth=1
	v_cmp_lt_i32_e32 vcc, v49, v55
	v_cndmask_b32_e32 v6, 0, v6, vcc
	v_cmp_lt_i32_e32 vcc, v41, v55
	v_cndmask_b32_e32 v7, 0, v7, vcc
	v_cmp_lt_i32_e32 vcc, v40, v55
	v_accvgpr_read_b32 v20, a26
	v_cndmask_b32_e32 v11, 0, v11, vcc
	v_cmp_lt_i32_e32 vcc, v20, v55
	v_cndmask_b32_e32 v25, 0, v25, vcc
	v_cmp_lt_i32_e32 vcc, v52, v55
	v_accvgpr_read_b32 v20, a25
	v_cndmask_b32_e32 v37, 0, v37, vcc
	v_cmp_lt_i32_e32 vcc, v20, v55
	v_accvgpr_read_b32 v20, a24
	;; [unrolled: 3-line block ×3, first 2 shown]
	v_cndmask_b32_e32 v16, 0, v16, vcc
	v_cmp_lt_i32_e32 vcc, v20, v55
	v_cndmask_b32_e32 v8, 0, v8, vcc
.LBB374_827:                            ;   in Loop: Header=BB374_370 Depth=1
	s_or_b64 exec, exec, s[4:5]
	v_lshlrev_b32_e32 v6, 16, v6
	v_mul_f32_e32 v20, v44, v6
	v_and_b32_e32 v6, 0x7f800000, v20
	v_cmp_ne_u32_e32 vcc, s15, v6
                                        ; implicit-def: $vgpr6
	s_and_saveexec_b64 s[4:5], vcc
	s_xor_b64 s[4:5], exec, s[4:5]
; %bb.828:                              ;   in Loop: Header=BB374_370 Depth=1
	v_bfe_u32 v6, v20, 16, 1
	v_add3_u32 v6, v20, v6, s30
                                        ; implicit-def: $vgpr20
; %bb.829:                              ;   in Loop: Header=BB374_370 Depth=1
	s_andn2_saveexec_b64 s[4:5], s[4:5]
; %bb.830:                              ;   in Loop: Header=BB374_370 Depth=1
	v_or_b32_e32 v6, 0x10000, v20
	v_cmp_eq_u32_sdwa vcc, v20, v17 src0_sel:WORD_0 src1_sel:DWORD
	v_cndmask_b32_e32 v6, v6, v20, vcc
; %bb.831:                              ;   in Loop: Header=BB374_370 Depth=1
	s_or_b64 exec, exec, s[4:5]
	v_lshlrev_b32_e32 v7, 16, v7
	v_mul_f32_e32 v20, v56, v7
	v_and_b32_e32 v7, 0x7f800000, v20
	v_cmp_ne_u32_e32 vcc, s15, v7
                                        ; implicit-def: $vgpr7
	s_and_saveexec_b64 s[4:5], vcc
	s_xor_b64 s[4:5], exec, s[4:5]
; %bb.832:                              ;   in Loop: Header=BB374_370 Depth=1
	v_bfe_u32 v7, v20, 16, 1
	v_add3_u32 v7, v20, v7, s30
                                        ; implicit-def: $vgpr20
; %bb.833:                              ;   in Loop: Header=BB374_370 Depth=1
	s_andn2_saveexec_b64 s[4:5], s[4:5]
; %bb.834:                              ;   in Loop: Header=BB374_370 Depth=1
	v_or_b32_e32 v7, 0x10000, v20
	v_cmp_eq_u32_sdwa vcc, v20, v17 src0_sel:WORD_0 src1_sel:DWORD
	v_cndmask_b32_e32 v7, v7, v20, vcc
; %bb.835:                              ;   in Loop: Header=BB374_370 Depth=1
	s_or_b64 exec, exec, s[4:5]
	v_lshlrev_b32_e32 v11, 16, v11
	v_mul_f32_e32 v20, v57, v11
	v_and_b32_e32 v11, 0x7f800000, v20
	v_cmp_ne_u32_e32 vcc, s15, v11
                                        ; implicit-def: $vgpr11
	s_and_saveexec_b64 s[4:5], vcc
	s_xor_b64 s[4:5], exec, s[4:5]
; %bb.836:                              ;   in Loop: Header=BB374_370 Depth=1
	v_bfe_u32 v11, v20, 16, 1
	v_add3_u32 v11, v20, v11, s30
                                        ; implicit-def: $vgpr20
; %bb.837:                              ;   in Loop: Header=BB374_370 Depth=1
	s_andn2_saveexec_b64 s[4:5], s[4:5]
; %bb.838:                              ;   in Loop: Header=BB374_370 Depth=1
	v_or_b32_e32 v11, 0x10000, v20
	v_cmp_eq_u32_sdwa vcc, v20, v17 src0_sel:WORD_0 src1_sel:DWORD
	v_cndmask_b32_e32 v11, v11, v20, vcc
; %bb.839:                              ;   in Loop: Header=BB374_370 Depth=1
	s_or_b64 exec, exec, s[4:5]
	v_lshlrev_b32_e32 v20, 16, v25
	v_mul_f32_e32 v22, v58, v20
	v_and_b32_e32 v20, 0x7f800000, v22
	v_cmp_ne_u32_e32 vcc, s15, v20
                                        ; implicit-def: $vgpr20
	s_and_saveexec_b64 s[4:5], vcc
	s_xor_b64 s[4:5], exec, s[4:5]
; %bb.840:                              ;   in Loop: Header=BB374_370 Depth=1
	v_bfe_u32 v20, v22, 16, 1
	v_add3_u32 v20, v22, v20, s30
                                        ; implicit-def: $vgpr22
; %bb.841:                              ;   in Loop: Header=BB374_370 Depth=1
	s_andn2_saveexec_b64 s[4:5], s[4:5]
; %bb.842:                              ;   in Loop: Header=BB374_370 Depth=1
	v_or_b32_e32 v20, 0x10000, v22
	v_cmp_eq_u32_sdwa vcc, v22, v17 src0_sel:WORD_0 src1_sel:DWORD
	v_cndmask_b32_e32 v20, v20, v22, vcc
; %bb.843:                              ;   in Loop: Header=BB374_370 Depth=1
	s_or_b64 exec, exec, s[4:5]
	v_lshlrev_b32_e32 v22, 16, v37
	v_mul_f32_e32 v24, v59, v22
	v_and_b32_e32 v22, 0x7f800000, v24
	v_cmp_ne_u32_e32 vcc, s15, v22
                                        ; implicit-def: $vgpr22
	s_and_saveexec_b64 s[4:5], vcc
	s_xor_b64 s[4:5], exec, s[4:5]
; %bb.844:                              ;   in Loop: Header=BB374_370 Depth=1
	v_bfe_u32 v22, v24, 16, 1
	v_add3_u32 v22, v24, v22, s30
                                        ; implicit-def: $vgpr24
; %bb.845:                              ;   in Loop: Header=BB374_370 Depth=1
	s_andn2_saveexec_b64 s[4:5], s[4:5]
; %bb.846:                              ;   in Loop: Header=BB374_370 Depth=1
	v_or_b32_e32 v22, 0x10000, v24
	v_cmp_eq_u32_sdwa vcc, v24, v17 src0_sel:WORD_0 src1_sel:DWORD
	v_cndmask_b32_e32 v22, v22, v24, vcc
; %bb.847:                              ;   in Loop: Header=BB374_370 Depth=1
	s_or_b64 exec, exec, s[4:5]
	v_lshlrev_b32_e32 v23, 16, v50
	v_mul_f32_e32 v25, v60, v23
	v_and_b32_e32 v23, 0x7f800000, v25
	v_cmp_ne_u32_e32 vcc, s15, v23
                                        ; implicit-def: $vgpr24
	s_and_saveexec_b64 s[4:5], vcc
	s_xor_b64 s[4:5], exec, s[4:5]
; %bb.848:                              ;   in Loop: Header=BB374_370 Depth=1
	v_bfe_u32 v23, v25, 16, 1
	v_add3_u32 v24, v25, v23, s30
                                        ; implicit-def: $vgpr25
; %bb.849:                              ;   in Loop: Header=BB374_370 Depth=1
	s_andn2_saveexec_b64 s[4:5], s[4:5]
; %bb.850:                              ;   in Loop: Header=BB374_370 Depth=1
	v_or_b32_e32 v23, 0x10000, v25
	v_cmp_eq_u32_sdwa vcc, v25, v17 src0_sel:WORD_0 src1_sel:DWORD
	v_cndmask_b32_e32 v24, v23, v25, vcc
; %bb.851:                              ;   in Loop: Header=BB374_370 Depth=1
	s_or_b64 exec, exec, s[4:5]
	v_lshlrev_b32_e32 v16, 16, v16
	v_mul_f32_e32 v25, v61, v16
	v_and_b32_e32 v16, 0x7f800000, v25
	v_cmp_ne_u32_e32 vcc, s15, v16
                                        ; implicit-def: $vgpr16
	s_and_saveexec_b64 s[4:5], vcc
	s_xor_b64 s[4:5], exec, s[4:5]
; %bb.852:                              ;   in Loop: Header=BB374_370 Depth=1
	v_bfe_u32 v16, v25, 16, 1
	v_add3_u32 v16, v25, v16, s30
                                        ; implicit-def: $vgpr25
; %bb.853:                              ;   in Loop: Header=BB374_370 Depth=1
	s_andn2_saveexec_b64 s[4:5], s[4:5]
; %bb.854:                              ;   in Loop: Header=BB374_370 Depth=1
	v_or_b32_e32 v16, 0x10000, v25
	v_cmp_eq_u32_sdwa vcc, v25, v17 src0_sel:WORD_0 src1_sel:DWORD
	v_cndmask_b32_e32 v16, v16, v25, vcc
; %bb.855:                              ;   in Loop: Header=BB374_370 Depth=1
	s_or_b64 exec, exec, s[4:5]
	v_lshlrev_b32_e32 v8, 16, v8
	v_mul_f32_e32 v25, v62, v8
	v_and_b32_e32 v8, 0x7f800000, v25
	v_cmp_ne_u32_e32 vcc, s15, v8
                                        ; implicit-def: $vgpr8
	s_and_saveexec_b64 s[4:5], vcc
	s_xor_b64 s[4:5], exec, s[4:5]
; %bb.856:                              ;   in Loop: Header=BB374_370 Depth=1
	v_bfe_u32 v8, v25, 16, 1
	v_add3_u32 v8, v25, v8, s30
                                        ; implicit-def: $vgpr25
; %bb.857:                              ;   in Loop: Header=BB374_370 Depth=1
	s_andn2_saveexec_b64 s[4:5], s[4:5]
	s_cbranch_execz .LBB374_368
; %bb.858:                              ;   in Loop: Header=BB374_370 Depth=1
	v_or_b32_e32 v8, 0x10000, v25
	v_cmp_eq_u32_sdwa vcc, v25, v17 src0_sel:WORD_0 src1_sel:DWORD
	v_cndmask_b32_e32 v8, v8, v25, vcc
	s_branch .LBB374_368
.LBB374_859:
	s_or_b64 exec, exec, s[24:25]
	v_accvgpr_read_b32 v18, a16
	v_accvgpr_read_b32 v19, a17
	;; [unrolled: 1-line block ×3, first 2 shown]
.LBB374_860:
	s_or_b64 exec, exec, s[12:13]
	ds_bpermute_b32 v4, v18, v0
	ds_bpermute_b32 v5, v18, v1
	;; [unrolled: 1-line block ×4, first 2 shown]
	s_waitcnt lgkmcnt(0)
	s_barrier
	v_pk_add_f32 v[0:1], v[0:1], v[4:5]
	ds_bpermute_b32 v4, v19, v0
	ds_bpermute_b32 v5, v19, v1
	v_pk_add_f32 v[2:3], v[2:3], v[6:7]
	ds_bpermute_b32 v6, v19, v2
	ds_bpermute_b32 v7, v19, v3
	s_waitcnt lgkmcnt(0)
	v_pk_add_f32 v[0:1], v[0:1], v[4:5]
	v_and_b32_e32 v4, 0x3c3, v54
	v_cmp_eq_u32_e32 vcc, 64, v4
	v_pk_add_f32 v[2:3], v[2:3], v[6:7]
	s_and_saveexec_b64 s[4:5], vcc
	s_cbranch_execz .LBB374_862
; %bb.861:
	s_load_dword s8, s[6:7], 0x0
	s_waitcnt lgkmcnt(0)
	v_add_u32_e32 v4, s8, v43
	ds_write2_b32 v4, v0, v1 offset1:16
	ds_write2_b32 v4, v2, v3 offset0:32 offset1:48
.LBB374_862:
	s_or_b64 exec, exec, s[4:5]
	v_cmp_gt_u32_e32 vcc, 64, v54
	s_waitcnt lgkmcnt(0)
	s_barrier
	s_and_saveexec_b64 s[8:9], vcc
	s_cbranch_execz .LBB374_869
; %bb.863:
	v_cmp_eq_u32_e64 s[4:5], 0, v8
	v_lshrrev_b32_e32 v4, 2, v54
	s_and_saveexec_b64 s[10:11], s[4:5]
	s_cbranch_execnz .LBB374_889
; %bb.864:
	s_or_b64 exec, exec, s[10:11]
	s_and_saveexec_b64 s[10:11], s[4:5]
	s_cbranch_execnz .LBB374_890
.LBB374_865:
	s_or_b64 exec, exec, s[10:11]
	s_and_saveexec_b64 s[10:11], s[4:5]
	s_cbranch_execnz .LBB374_891
.LBB374_866:
	s_or_b64 exec, exec, s[10:11]
	s_and_saveexec_b64 s[10:11], s[4:5]
	s_cbranch_execz .LBB374_868
.LBB374_867:
	s_load_dword s4, s[6:7], 0x0
	s_waitcnt lgkmcnt(0)
	v_lshl_add_u32 v4, v4, 2, s4
	ds_read_b32 v4, v4 offset:192
	s_waitcnt lgkmcnt(0)
	v_add_f32_e32 v3, v3, v4
.LBB374_868:
	s_or_b64 exec, exec, s[10:11]
.LBB374_869:
	s_or_b64 exec, exec, s[8:9]
	s_barrier
	s_and_b64 exec, exec, vcc
	s_cbranch_execz .LBB374_888
; %bb.870:
	v_cmp_eq_u32_e32 vcc, 0, v8
	s_and_b64 exec, exec, vcc
	s_cbranch_execz .LBB374_888
; %bb.871:
	s_mov_b32 s4, 0x7f800000
	v_and_b32_e32 v4, 0x7f800000, v0
	v_cmp_ne_u32_e32 vcc, s4, v4
                                        ; implicit-def: $vgpr6
	s_and_saveexec_b64 s[4:5], vcc
	s_xor_b64 s[4:5], exec, s[4:5]
; %bb.872:
	v_bfe_u32 v4, v0, 16, 1
	s_movk_i32 s6, 0x7fff
	v_add3_u32 v6, v0, v4, s6
; %bb.873:
	s_andn2_saveexec_b64 s[4:5], s[4:5]
; %bb.874:
	v_mov_b32_e32 v4, 0
	v_or_b32_e32 v5, 0x10000, v0
	v_cmp_eq_u32_sdwa vcc, v0, v4 src0_sel:WORD_0 src1_sel:DWORD
	v_cndmask_b32_e32 v6, v5, v0, vcc
; %bb.875:
	s_or_b64 exec, exec, s[4:5]
	s_mul_i32 s4, s21, s18
	s_mul_i32 s4, s4, s19
	s_lshl_b32 s4, s4, 6
	s_mul_i32 s6, s20, s21
	s_lshl_b32 s8, s14, 6
	s_ashr_i32 s5, s4, 31
	s_ashr_i32 s7, s6, 31
	;; [unrolled: 1-line block ×3, first 2 shown]
	s_lshl_b64 s[4:5], s[4:5], 1
	s_lshl_b64 s[6:7], s[6:7], 1
	;; [unrolled: 1-line block ×3, first 2 shown]
	s_add_u32 s6, s8, s6
	s_addc_u32 s7, s9, s7
	s_add_u32 s4, s6, s4
	s_addc_u32 s5, s7, s5
	v_accvgpr_read_b32 v4, a1
	v_mov_b32_e32 v0, s5
	v_add_co_u32_e32 v4, vcc, s4, v4
	v_accvgpr_read_b32 v5, a0
	v_addc_co_u32_e32 v0, vcc, v0, v5, vcc
	v_lshrrev_b32_e32 v5, 1, v54
	v_and_b32_e32 v5, 0x1fe, v5
	v_add_co_u32_e32 v4, vcc, v4, v5
	v_addc_co_u32_e32 v5, vcc, 0, v0, vcc
	s_mov_b32 s4, 0x7f800000
	v_and_b32_e32 v0, 0x7f800000, v1
	v_cmp_ne_u32_e32 vcc, s4, v0
	flat_store_short_d16_hi v[4:5], v6
                                        ; implicit-def: $vgpr0
	s_and_saveexec_b64 s[4:5], vcc
	s_xor_b64 s[4:5], exec, s[4:5]
; %bb.876:
	v_bfe_u32 v0, v1, 16, 1
	s_movk_i32 s6, 0x7fff
	v_add3_u32 v0, v1, v0, s6
; %bb.877:
	s_andn2_saveexec_b64 s[4:5], s[4:5]
; %bb.878:
	v_mov_b32_e32 v0, 0
	v_or_b32_e32 v6, 0x10000, v1
	v_cmp_eq_u32_sdwa vcc, v1, v0 src0_sel:WORD_0 src1_sel:DWORD
	v_cndmask_b32_e32 v0, v6, v1, vcc
; %bb.879:
	s_or_b64 exec, exec, s[4:5]
	flat_store_short_d16_hi v[4:5], v0 offset:32
	s_mov_b32 s4, 0x7f800000
	v_and_b32_e32 v0, 0x7f800000, v2
	v_cmp_ne_u32_e32 vcc, s4, v0
                                        ; implicit-def: $vgpr0
	s_and_saveexec_b64 s[4:5], vcc
	s_xor_b64 s[4:5], exec, s[4:5]
; %bb.880:
	v_bfe_u32 v0, v2, 16, 1
	s_movk_i32 s6, 0x7fff
	v_add3_u32 v0, v2, v0, s6
; %bb.881:
	s_andn2_saveexec_b64 s[4:5], s[4:5]
; %bb.882:
	v_mov_b32_e32 v0, 0
	v_or_b32_e32 v1, 0x10000, v2
	v_cmp_eq_u32_sdwa vcc, v2, v0 src0_sel:WORD_0 src1_sel:DWORD
	v_cndmask_b32_e32 v0, v1, v2, vcc
; %bb.883:
	s_or_b64 exec, exec, s[4:5]
	flat_store_short_d16_hi v[4:5], v0 offset:64
	s_mov_b32 s4, 0x7f800000
	v_and_b32_e32 v0, 0x7f800000, v3
	v_cmp_ne_u32_e32 vcc, s4, v0
                                        ; implicit-def: $vgpr6
	s_and_saveexec_b64 s[4:5], vcc
	s_xor_b64 s[4:5], exec, s[4:5]
; %bb.884:
	v_bfe_u32 v0, v3, 16, 1
	s_movk_i32 s6, 0x7fff
	v_add3_u32 v6, v3, v0, s6
                                        ; implicit-def: $vgpr0_vgpr1_vgpr2_vgpr3
; %bb.885:
	s_andn2_saveexec_b64 s[4:5], s[4:5]
; %bb.886:
	v_mov_b32_e32 v0, 0
	v_or_b32_e32 v1, 0x10000, v3
	v_cmp_eq_u32_sdwa vcc, v3, v0 src0_sel:WORD_0 src1_sel:DWORD
	v_cndmask_b32_e32 v6, v1, v3, vcc
; %bb.887:
	s_or_b64 exec, exec, s[4:5]
	flat_store_short_d16_hi v[4:5], v6 offset:96
.LBB374_888:
	s_or_b64 exec, exec, s[16:17]
	buffer_load_dword a52, off, s[0:3], s32 offset:8 ; 4-byte Folded Reload
	buffer_load_dword a51, off, s[0:3], s32 offset:12 ; 4-byte Folded Reload
	;; [unrolled: 1-line block ×36, first 2 shown]
	v_readlane_b32 s30, v63, 10
	v_readlane_b32 s31, v63, 11
	;; [unrolled: 1-line block ×12, first 2 shown]
	s_or_saveexec_b64 s[4:5], -1
	buffer_load_dword v63, off, s[0:3], s32 offset:160 ; 4-byte Folded Reload
	s_mov_b64 exec, s[4:5]
	s_waitcnt vmcnt(0) lgkmcnt(0)
	s_setpc_b64 s[30:31]
.LBB374_889:
	s_load_dword s12, s[6:7], 0x0
	s_waitcnt lgkmcnt(0)
	v_lshl_add_u32 v5, v4, 2, s12
	ds_read_b32 v5, v5
	s_waitcnt lgkmcnt(0)
	v_add_f32_e32 v0, v0, v5
	s_or_b64 exec, exec, s[10:11]
	s_and_saveexec_b64 s[10:11], s[4:5]
	s_cbranch_execz .LBB374_865
.LBB374_890:
	s_load_dword s12, s[6:7], 0x0
	s_waitcnt lgkmcnt(0)
	v_lshl_add_u32 v5, v4, 2, s12
	ds_read_b32 v5, v5 offset:64
	s_waitcnt lgkmcnt(0)
	v_add_f32_e32 v1, v1, v5
	s_or_b64 exec, exec, s[10:11]
	s_and_saveexec_b64 s[10:11], s[4:5]
	s_cbranch_execz .LBB374_866
.LBB374_891:
	s_load_dword s12, s[6:7], 0x0
	s_waitcnt lgkmcnt(0)
	v_lshl_add_u32 v5, v4, 2, s12
	ds_read_b32 v5, v5 offset:128
	s_waitcnt lgkmcnt(0)
	v_add_f32_e32 v2, v2, v5
	s_or_b64 exec, exec, s[10:11]
	s_and_saveexec_b64 s[10:11], s[4:5]
	s_cbranch_execnz .LBB374_867
	s_branch .LBB374_868
.Lfunc_end374:
	.size	_ZN4vllm22paged_attention_kernelI14__hip_bfloat16hLi64ELi32ELi128ELNS_18Fp8KVCacheDataTypeE1ELb1ELi512EEEvPfS3_PT_PKS4_PKT0_SA_ifPKiSC_iPKfiiiSE_SE_iiiii, .Lfunc_end374-_ZN4vllm22paged_attention_kernelI14__hip_bfloat16hLi64ELi32ELi128ELNS_18Fp8KVCacheDataTypeE1ELb1ELi512EEEvPfS3_PT_PKS4_PKT0_SA_ifPKiSC_iPKfiiiSE_SE_iiiii
                                        ; -- End function
	.section	.AMDGPU.csdata,"",@progbits
; Function info:
; codeLenInByte = 28624
; NumSgprs: 48
; NumVgprs: 64
; NumAgprs: 53
; TotalNumVgprs: 117
; ScratchSize: 168
; MemoryBound: 0
	.section	.text._ZN4vllm25paged_attention_v2_kernelI14__hip_bfloat16hLi64ELi32ELi128ELNS_18Fp8KVCacheDataTypeE1ELb1ELi512EEEvPfS3_PT_PKS4_PKT0_SA_ifPKiSC_iPKfiiiSE_SE_iiiii,"axG",@progbits,_ZN4vllm25paged_attention_v2_kernelI14__hip_bfloat16hLi64ELi32ELi128ELNS_18Fp8KVCacheDataTypeE1ELb1ELi512EEEvPfS3_PT_PKS4_PKT0_SA_ifPKiSC_iPKfiiiSE_SE_iiiii,comdat
	.protected	_ZN4vllm25paged_attention_v2_kernelI14__hip_bfloat16hLi64ELi32ELi128ELNS_18Fp8KVCacheDataTypeE1ELb1ELi512EEEvPfS3_PT_PKS4_PKT0_SA_ifPKiSC_iPKfiiiSE_SE_iiiii ; -- Begin function _ZN4vllm25paged_attention_v2_kernelI14__hip_bfloat16hLi64ELi32ELi128ELNS_18Fp8KVCacheDataTypeE1ELb1ELi512EEEvPfS3_PT_PKS4_PKT0_SA_ifPKiSC_iPKfiiiSE_SE_iiiii
	.globl	_ZN4vllm25paged_attention_v2_kernelI14__hip_bfloat16hLi64ELi32ELi128ELNS_18Fp8KVCacheDataTypeE1ELb1ELi512EEEvPfS3_PT_PKS4_PKT0_SA_ifPKiSC_iPKfiiiSE_SE_iiiii
	.p2align	8
	.type	_ZN4vllm25paged_attention_v2_kernelI14__hip_bfloat16hLi64ELi32ELi128ELNS_18Fp8KVCacheDataTypeE1ELb1ELi512EEEvPfS3_PT_PKS4_PKT0_SA_ifPKiSC_iPKfiiiSE_SE_iiiii,@function
_ZN4vllm25paged_attention_v2_kernelI14__hip_bfloat16hLi64ELi32ELi128ELNS_18Fp8KVCacheDataTypeE1ELb1ELi512EEEvPfS3_PT_PKS4_PKT0_SA_ifPKiSC_iPKfiiiSE_SE_iiiii: ; @_ZN4vllm25paged_attention_v2_kernelI14__hip_bfloat16hLi64ELi32ELi128ELNS_18Fp8KVCacheDataTypeE1ELb1ELi512EEEvPfS3_PT_PKS4_PKT0_SA_ifPKiSC_iPKfiiiSE_SE_iiiii
; %bb.0:
	s_add_u32 flat_scratch_lo, s6, s11
	s_addc_u32 flat_scratch_hi, s7, 0
	s_add_u32 s0, s0, s11
	s_mov_b32 s12, s8
	s_load_dwordx8 s[24:31], s[4:5], 0x0
	s_load_dwordx8 s[16:23], s[4:5], 0x20
	s_load_dwordx2 s[6:7], s[4:5], 0x40
	s_load_dwordx4 s[44:47], s[4:5], 0x78
	s_load_dwordx2 s[34:35], s[4:5], 0x50
	s_load_dword s11, s[4:5], 0x48
	s_load_dword s8, s[4:5], 0x88
	s_load_dwordx8 s[36:43], s[4:5], 0x58
	s_mov_b32 s32, 0
	s_addc_u32 s1, s1, 0
	s_waitcnt lgkmcnt(0)
	v_mov_b32_e32 v1, s47
	buffer_store_dword v1, off, s[0:3], s32
	v_mov_b32_e32 v1, s8
	s_add_u32 s8, s4, 0x90
	s_mov_b32 s13, s9
	buffer_store_dword v1, off, s[0:3], s32 offset:4
	s_addc_u32 s9, s5, 0
	s_mov_b32 s14, s10
	s_mov_b32 s15, 23
	v_mov_b32_e32 v31, v0
	v_mov_b32_e32 v0, s24
	;; [unrolled: 1-line block ×32, first 2 shown]
	s_getpc_b64 s[4:5]
	s_add_u32 s4, s4, _ZN4vllm22paged_attention_kernelI14__hip_bfloat16hLi64ELi32ELi128ELNS_18Fp8KVCacheDataTypeE1ELb1ELi512EEEvPfS3_PT_PKS4_PKT0_SA_ifPKiSC_iPKfiiiSE_SE_iiiii@rel32@lo+4
	s_addc_u32 s5, s5, _ZN4vllm22paged_attention_kernelI14__hip_bfloat16hLi64ELi32ELi128ELNS_18Fp8KVCacheDataTypeE1ELb1ELi512EEEvPfS3_PT_PKS4_PKT0_SA_ifPKiSC_iPKfiiiSE_SE_iiiii@rel32@hi+12
	s_swappc_b64 s[30:31], s[4:5]
	s_endpgm
	.section	.rodata,"a",@progbits
	.p2align	6, 0x0
	.amdhsa_kernel _ZN4vllm25paged_attention_v2_kernelI14__hip_bfloat16hLi64ELi32ELi128ELNS_18Fp8KVCacheDataTypeE1ELb1ELi512EEEvPfS3_PT_PKS4_PKT0_SA_ifPKiSC_iPKfiiiSE_SE_iiiii
		.amdhsa_group_segment_fixed_size 144
		.amdhsa_private_segment_fixed_size 168
		.amdhsa_kernarg_size 400
		.amdhsa_user_sgpr_count 8
		.amdhsa_user_sgpr_private_segment_buffer 1
		.amdhsa_user_sgpr_dispatch_ptr 0
		.amdhsa_user_sgpr_queue_ptr 0
		.amdhsa_user_sgpr_kernarg_segment_ptr 1
		.amdhsa_user_sgpr_dispatch_id 0
		.amdhsa_user_sgpr_flat_scratch_init 1
		.amdhsa_user_sgpr_kernarg_preload_length 0
		.amdhsa_user_sgpr_kernarg_preload_offset 0
		.amdhsa_user_sgpr_private_segment_size 0
		.amdhsa_uses_dynamic_stack 0
		.amdhsa_system_sgpr_private_segment_wavefront_offset 1
		.amdhsa_system_sgpr_workgroup_id_x 1
		.amdhsa_system_sgpr_workgroup_id_y 1
		.amdhsa_system_sgpr_workgroup_id_z 1
		.amdhsa_system_sgpr_workgroup_info 0
		.amdhsa_system_vgpr_workitem_id 0
		.amdhsa_next_free_vgpr 117
		.amdhsa_next_free_sgpr 48
		.amdhsa_accum_offset 64
		.amdhsa_reserve_vcc 1
		.amdhsa_reserve_flat_scratch 1
		.amdhsa_float_round_mode_32 0
		.amdhsa_float_round_mode_16_64 0
		.amdhsa_float_denorm_mode_32 3
		.amdhsa_float_denorm_mode_16_64 3
		.amdhsa_dx10_clamp 1
		.amdhsa_ieee_mode 1
		.amdhsa_fp16_overflow 0
		.amdhsa_tg_split 0
		.amdhsa_exception_fp_ieee_invalid_op 0
		.amdhsa_exception_fp_denorm_src 0
		.amdhsa_exception_fp_ieee_div_zero 0
		.amdhsa_exception_fp_ieee_overflow 0
		.amdhsa_exception_fp_ieee_underflow 0
		.amdhsa_exception_fp_ieee_inexact 0
		.amdhsa_exception_int_div_zero 0
	.end_amdhsa_kernel
	.section	.text._ZN4vllm25paged_attention_v2_kernelI14__hip_bfloat16hLi64ELi32ELi128ELNS_18Fp8KVCacheDataTypeE1ELb1ELi512EEEvPfS3_PT_PKS4_PKT0_SA_ifPKiSC_iPKfiiiSE_SE_iiiii,"axG",@progbits,_ZN4vllm25paged_attention_v2_kernelI14__hip_bfloat16hLi64ELi32ELi128ELNS_18Fp8KVCacheDataTypeE1ELb1ELi512EEEvPfS3_PT_PKS4_PKT0_SA_ifPKiSC_iPKfiiiSE_SE_iiiii,comdat
.Lfunc_end375:
	.size	_ZN4vllm25paged_attention_v2_kernelI14__hip_bfloat16hLi64ELi32ELi128ELNS_18Fp8KVCacheDataTypeE1ELb1ELi512EEEvPfS3_PT_PKS4_PKT0_SA_ifPKiSC_iPKfiiiSE_SE_iiiii, .Lfunc_end375-_ZN4vllm25paged_attention_v2_kernelI14__hip_bfloat16hLi64ELi32ELi128ELNS_18Fp8KVCacheDataTypeE1ELb1ELi512EEEvPfS3_PT_PKS4_PKT0_SA_ifPKiSC_iPKfiiiSE_SE_iiiii
                                        ; -- End function
	.section	.AMDGPU.csdata,"",@progbits
; Kernel info:
; codeLenInByte = 296
; NumSgprs: 54
; NumVgprs: 64
; NumAgprs: 53
; TotalNumVgprs: 117
; ScratchSize: 168
; MemoryBound: 0
; FloatMode: 240
; IeeeMode: 1
; LDSByteSize: 144 bytes/workgroup (compile time only)
; SGPRBlocks: 6
; VGPRBlocks: 14
; NumSGPRsForWavesPerEU: 54
; NumVGPRsForWavesPerEU: 117
; AccumOffset: 64
; Occupancy: 4
; WaveLimiterHint : 1
; COMPUTE_PGM_RSRC2:SCRATCH_EN: 1
; COMPUTE_PGM_RSRC2:USER_SGPR: 8
; COMPUTE_PGM_RSRC2:TRAP_HANDLER: 0
; COMPUTE_PGM_RSRC2:TGID_X_EN: 1
; COMPUTE_PGM_RSRC2:TGID_Y_EN: 1
; COMPUTE_PGM_RSRC2:TGID_Z_EN: 1
; COMPUTE_PGM_RSRC2:TIDIG_COMP_CNT: 0
; COMPUTE_PGM_RSRC3_GFX90A:ACCUM_OFFSET: 15
; COMPUTE_PGM_RSRC3_GFX90A:TG_SPLIT: 0
	.text
	.p2align	2                               ; -- Begin function _ZN4vllm22paged_attention_kernelI14__hip_bfloat16hLi80ELi32ELi128ELNS_18Fp8KVCacheDataTypeE1ELb1ELi512EEEvPfS3_PT_PKS4_PKT0_SA_ifPKiSC_iPKfiiiSE_SE_iiiii
	.type	_ZN4vllm22paged_attention_kernelI14__hip_bfloat16hLi80ELi32ELi128ELNS_18Fp8KVCacheDataTypeE1ELb1ELi512EEEvPfS3_PT_PKS4_PKT0_SA_ifPKiSC_iPKfiiiSE_SE_iiiii,@function
_ZN4vllm22paged_attention_kernelI14__hip_bfloat16hLi80ELi32ELi128ELNS_18Fp8KVCacheDataTypeE1ELb1ELi512EEEvPfS3_PT_PKS4_PKT0_SA_ifPKiSC_iPKfiiiSE_SE_iiiii: ; @_ZN4vllm22paged_attention_kernelI14__hip_bfloat16hLi80ELi32ELi128ELNS_18Fp8KVCacheDataTypeE1ELb1ELi512EEEvPfS3_PT_PKS4_PKT0_SA_ifPKiSC_iPKfiiiSE_SE_iiiii
; %bb.0:
	s_waitcnt vmcnt(0) expcnt(0) lgkmcnt(0)
	s_or_saveexec_b64 s[4:5], -1
	buffer_store_dword v63, off, s[0:3], s32 offset:236 ; 4-byte Folded Spill
	s_mov_b64 exec, s[4:5]
	buffer_store_dword v40, off, s[0:3], s32 offset:192 ; 4-byte Folded Spill
	buffer_store_dword v41, off, s[0:3], s32 offset:188 ; 4-byte Folded Spill
	;; [unrolled: 1-line block ×47, first 2 shown]
	v_writelane_b32 v63, s34, 0
	v_writelane_b32 v63, s35, 1
	;; [unrolled: 1-line block ×12, first 2 shown]
	s_mov_b32 s18, s13
	s_ashr_i32 s19, s13, 31
	v_accvgpr_write_b32 a4, v26
	v_accvgpr_write_b32 a35, v25
	s_lshl_b64 s[4:5], s[18:19], 2
	v_accvgpr_write_b32 a5, v27
	v_accvgpr_write_b32 a34, v24
	v_mov_b32_e32 v25, v1
	v_mov_b32_e32 v26, v0
	;; [unrolled: 1-line block ×3, first 2 shown]
	v_add_co_u32_e32 v0, vcc, s4, v16
	v_addc_co_u32_e32 v1, vcc, v17, v1, vcc
	v_mov_b32_e32 v34, v2
	flat_load_dword v2, v[0:1]
	s_nop 0
	buffer_load_dword v0, off, s[0:3], s32 offset:4
	buffer_load_dword v1, off, s[0:3], s32
	s_mov_b32 s22, s15
	s_lshl_b32 s15, s14, 9
	v_accvgpr_write_b32 a6, v22
	v_mov_b32_e32 v33, v20
	v_mov_b32_e32 v32, v19
	v_accvgpr_write_b32 a33, v13
	v_mov_b32_e32 v22, v11
	v_mov_b32_e32 v24, v10
	;; [unrolled: 1-line block ×3, first 2 shown]
	s_waitcnt vmcnt(0) lgkmcnt(0)
	v_accvgpr_write_b32 a3, v2
	v_cmp_lt_i32_e32 vcc, s15, v2
	s_and_saveexec_b64 s[16:17], vcc
	s_cbranch_execz .LBB376_1087
; %bb.1:
	v_sub_u32_e32 v2, 0, v12
	v_max_i32_e32 v2, v12, v2
	v_cvt_f32_u32_e32 v3, v2
	s_load_dword s4, s[8:9], 0x10
	s_load_dword s6, s[8:9], 0x0
	v_accvgpr_write_b32 a0, v5
	v_sub_u32_e32 v5, 0, v2
	v_rcp_iflag_f32_e32 v3, v3
	s_waitcnt lgkmcnt(0)
	s_lshr_b32 s4, s4, 16
	s_cmp_lg_u32 s4, 0
	s_cselect_b64 s[4:5], -1, 0
	v_mul_f32_e32 v3, 0x4f7ffffe, v3
	v_cvt_u32_f32_e32 v3, v3
	s_cmp_lg_u64 s[4:5], 0
	s_addc_u32 s19, s6, 0
	s_abs_i32 s4, s19
	v_mul_lo_u32 v5, v5, v3
	v_mul_hi_u32 v5, v3, v5
	v_add_u32_e32 v3, v3, v5
	v_mul_hi_u32 v3, s4, v3
	v_mul_lo_u32 v5, v3, v2
	v_sub_u32_e32 v5, s4, v5
	v_add_u32_e32 v10, 1, v3
	v_cmp_ge_u32_e32 vcc, v5, v2
	v_cndmask_b32_e32 v3, v3, v10, vcc
	v_sub_u32_e32 v10, v5, v2
	v_cndmask_b32_e32 v5, v5, v10, vcc
	v_accvgpr_write_b32 a1, v4
	v_xor_b32_e32 v4, s19, v12
	v_add_u32_e32 v10, 1, v3
	v_cmp_ge_u32_e32 vcc, v5, v2
	v_ashrrev_i32_e32 v4, 31, v4
	v_cndmask_b32_e32 v2, v3, v10, vcc
	v_xor_b32_e32 v2, v2, v4
	v_sub_u32_e32 v2, v2, v4
	v_sub_u32_e32 v3, 0, v2
	v_max_i32_e32 v3, v2, v3
	v_cvt_f32_u32_e32 v4, v3
	v_sub_u32_e32 v5, 0, v3
	s_abs_i32 s6, s12
	v_cmp_ne_u64_e32 vcc, 0, v[32:33]
	v_rcp_iflag_f32_e32 v4, v4
	v_mul_f32_e32 v4, 0x4f7ffffe, v4
	v_cvt_u32_f32_e32 v4, v4
	v_mul_lo_u32 v5, v5, v4
	v_mul_hi_u32 v5, v4, v5
	v_add_u32_e32 v4, v4, v5
	v_mad_u64_u32 v[16:17], s[4:5], s6, v4, 0
	v_mov_b32_e32 v4, 0
	buffer_store_dword v4, off, s[0:3], s32 offset:200 ; 4-byte Folded Spill
	s_and_saveexec_b64 s[4:5], vcc
	s_cbranch_execz .LBB376_3
; %bb.2:
	s_ashr_i32 s13, s12, 31
	s_lshl_b64 s[10:11], s[12:13], 2
	v_mov_b32_e32 v5, s11
	v_add_co_u32_e32 v4, vcc, s10, v32
	v_addc_co_u32_e32 v5, vcc, v33, v5, vcc
	flat_load_dword v4, v[4:5]
	s_waitcnt vmcnt(0) lgkmcnt(0)
	buffer_store_dword v4, off, s[0:3], s32 offset:200 ; 4-byte Folded Spill
.LBB376_3:
	s_or_b64 exec, exec, s[4:5]
	v_and_b32_e32 v5, 0x3ff, v31
	s_ashr_i32 s7, s12, 31
	v_ashrrev_i32_e32 v4, 31, v2
	v_and_b32_e32 v2, 1, v5
	s_movk_i32 s10, 0x50
	s_mul_i32 s20, s12, 0x50
	v_cmp_gt_u32_e32 vcc, 20, v5
	v_accvgpr_write_b32 a2, v5
	v_lshlrev_b32_e32 v31, 3, v5
	s_and_saveexec_b64 s[4:5], vcc
	s_cbranch_execz .LBB376_5
; %bb.4:
	v_mul_lo_u32 v10, s18, v21
	v_ashrrev_i32_e32 v11, 31, v10
	v_lshlrev_b64 v[10:11], 1, v[10:11]
	v_add_co_u32_e32 v5, vcc, v6, v10
	s_ashr_i32 s21, s20, 31
	v_addc_co_u32_e32 v6, vcc, v7, v11, vcc
	s_lshl_b64 s[24:25], s[20:21], 1
	v_mov_b32_e32 v7, s25
	v_add_co_u32_e32 v5, vcc, s24, v5
	v_addc_co_u32_e32 v7, vcc, v6, v7, vcc
	v_add_co_u32_e32 v6, vcc, v5, v31
	v_addc_co_u32_e32 v7, vcc, 0, v7, vcc
	flat_load_dwordx2 v[6:7], v[6:7]
	v_accvgpr_read_b32 v5, a2
	v_lshlrev_b32_e32 v5, 2, v5
	v_and_b32_e32 v5, 0xff8, v5
	v_mad_u32_u24 v5, v2, s10, v5
	s_waitcnt vmcnt(0) lgkmcnt(0)
	ds_write_b64 v5, v[6:7]
.LBB376_5:
	s_or_b64 exec, exec, s[4:5]
	v_mul_lo_u32 v5, v17, v3
	v_sub_u32_e32 v5, s6, v5
	v_add_u32_e32 v6, 1, v17
	v_cmp_ge_u32_e32 vcc, v5, v3
	v_sub_u32_e32 v7, v5, v3
	v_cndmask_b32_e32 v6, v17, v6, vcc
	v_cndmask_b32_e32 v5, v5, v7, vcc
	v_add_u32_e32 v7, 1, v6
	v_cmp_ge_u32_e32 vcc, v5, v3
	v_sub_u32_e32 v5, 0, v1
	v_cndmask_b32_e32 v3, v6, v7, vcc
	v_max_i32_e32 v7, v1, v5
	v_cvt_f32_u32_e32 v5, v7
	v_xor_b32_e32 v4, s7, v4
	v_xor_b32_e32 v3, v3, v4
	v_sub_u32_e32 v6, v3, v4
	v_rcp_iflag_f32_e32 v3, v5
	v_accvgpr_read_b32 v4, a3
	v_accvgpr_write_b32 a7, v7
	v_sub_u32_e32 v7, 0, v7
	v_mul_f32_e32 v3, 0x4f7ffffe, v3
	v_cvt_u32_f32_e32 v5, v3
	v_add_u32_e32 v4, -1, v4
	v_sub_u32_e32 v3, 0, v4
	v_max_i32_e32 v3, v4, v3
	v_mul_lo_u32 v7, v7, v5
	v_mul_hi_u32 v7, v5, v7
	v_add_u32_e32 v5, v5, v7
	v_accvgpr_write_b32 a8, v5
	v_mad_u64_u32 v[16:17], s[4:5], v3, v5, 0
	v_cmp_gt_i32_e32 vcc, 0, v0
	s_waitcnt lgkmcnt(0)
	s_barrier
	s_waitcnt lgkmcnt(0)
                                        ; implicit-def: $agpr10
	s_and_saveexec_b64 s[4:5], vcc
	s_xor_b64 s[4:5], exec, s[4:5]
; %bb.6:
	v_mad_u64_u32 v[10:11], s[6:7], v28, v12, v[6:7]
	v_mul_lo_u32 v0, v10, v0
	v_sub_u32_e32 v0, 1, v0
	v_accvgpr_write_b32 a10, v0
                                        ; implicit-def: $vgpr28
                                        ; implicit-def: $vgpr0
; %bb.7:
	s_or_saveexec_b64 s[4:5], s[4:5]
	v_ashrrev_i32_e32 v1, 31, v1
	v_ashrrev_i32_e32 v4, 31, v4
	v_accvgpr_write_b32 a9, v1
	s_xor_b64 exec, exec, s[4:5]
; %bb.8:
	v_mul_lo_u32 v1, s19, v28
	v_add_u32_e32 v1, s12, v1
	v_mad_u64_u32 v[0:1], s[6:7], v1, v0, 1
	v_accvgpr_write_b32 a10, v0
; %bb.9:
	s_or_b64 exec, exec, s[4:5]
	v_accvgpr_read_b32 v5, a9
	v_accvgpr_read_b32 v10, a7
	v_xor_b32_e32 v4, v4, v5
	v_mul_lo_u32 v5, v17, v10
	v_sub_u32_e32 v3, v3, v5
	v_add_u32_e32 v5, 1, v17
	v_cmp_ge_u32_e32 vcc, v3, v10
	v_sub_u32_e32 v7, v3, v10
	v_cndmask_b32_e32 v5, v17, v5, vcc
	v_cndmask_b32_e32 v3, v3, v7, vcc
	v_add_u32_e32 v7, 1, v5
	v_cmp_ge_u32_e32 vcc, v3, v10
	v_cndmask_b32_e32 v3, v5, v7, vcc
	v_xor_b32_e32 v3, v3, v4
	v_sub_u32_e32 v3, v3, v4
	v_accvgpr_read_b32 v4, a3
	v_add_u32_e32 v4, 31, v4
	v_ashrrev_i32_e32 v5, 31, v4
	v_lshrrev_b32_e32 v5, 27, v5
	v_add_u32_e32 v4, v4, v5
	v_ashrrev_i32_e32 v35, 5, v4
	s_lshl_b32 s21, s14, 4
	v_accvgpr_read_b32 v4, a2
	s_load_dword s38, s[8:9], 0x14
	s_load_dword s13, s[8:9], 0x8
	s_add_i32 s4, s21, 16
	v_lshrrev_b32_e32 v28, 6, v4
	v_min_i32_e32 v5, s4, v35
	v_or_b32_e32 v4, s21, v28
	v_mul_lo_u32 v0, s18, v18
	v_accvgpr_write_b32 a11, v5
	v_cmp_lt_i32_e64 s[4:5], v4, v5
	v_ashrrev_i32_e32 v5, 31, v4
	v_ashrrev_i32_e32 v1, 31, v0
	v_sub_u32_e32 v3, v3, v29
	v_mul_lo_u32 v23, v6, v23
	v_accvgpr_write_b32 a13, v5
	v_mov_b32_e32 v7, 0xff7fffff
	v_accvgpr_write_b32 a14, v3
	v_accvgpr_write_b32 a12, v4
	v_ashrrev_i32_e32 v29, 31, v23
	v_sub_u32_e32 v36, 0, v30
	v_lshlrev_b64 v[32:33], 2, v[0:1]
	v_mbcnt_lo_u32_b32 v4, -1, 0
	v_lshl_add_u32 v0, v28, 5, s15
	s_mov_b64 s[24:25], exec
	s_and_b64 s[6:7], s[24:25], s[4:5]
	v_accvgpr_write_b32 a15, v0
	s_mov_b64 exec, s[6:7]
	s_cbranch_execz .LBB376_419
; %bb.10:
	v_accvgpr_read_b32 v0, a2
	v_bfe_u32 v6, v0, 1, 5
	v_add_co_u32_e64 v0, s[6:7], v8, v23
	v_addc_co_u32_e64 v1, s[6:7], v9, v29, s[6:7]
	v_lshlrev_b32_e32 v3, 4, v6
	v_add_co_u32_e64 v0, s[6:7], v0, v3
	v_addc_co_u32_e64 v1, s[6:7], 0, v1, s[6:7]
	v_accvgpr_write_b32 a39, v1
	buffer_store_dword v35, off, s[0:3], s32 offset:204 ; 4-byte Folded Spill
	buffer_store_dword v31, off, s[0:3], s32 offset:208 ; 4-byte Folded Spill
	v_accvgpr_write_b32 a38, v0
	v_mul_u32_u24_e32 v1, 0x50, v2
	v_accvgpr_write_b32 a42, v1
	buffer_load_dword v1, off, s[0:3], s32 offset:200 ; 4-byte Folded Reload
	v_lshlrev_b32_e32 v0, 2, v2
	v_max_i32_e32 v3, v30, v36
	v_accvgpr_write_b32 a40, v0
	v_cvt_f32_u32_e32 v0, v3
	s_ashr_i32 s23, s22, 31
	s_lshl_b64 s[8:9], s[22:23], 2
	v_cmp_eq_u32_e32 vcc, 0, v2
	v_rcp_iflag_f32_e32 v0, v0
	s_getpc_b64 s[10:11]
	s_add_u32 s10, s10, llvm.amdgcn.dynlds.offset.table@rel32@lo+4
	s_addc_u32 s11, s11, llvm.amdgcn.dynlds.offset.table@rel32@hi+12
	v_accvgpr_write_b32 a41, v3
	s_add_u32 s26, s8, s10
	v_mul_f32_e32 v0, 0x4f7ffffe, v0
	v_cvt_u32_f32_e32 v0, v0
	s_addc_u32 s27, s9, s11
	buffer_store_dword v23, off, s[0:3], s32 offset:212 ; 4-byte Folded Spill
	buffer_store_dword v29, off, s[0:3], s32 offset:216 ; 4-byte Folded Spill
	;; [unrolled: 1-line block ×3, first 2 shown]
	s_load_dword s23, s[26:27], 0x0
	v_accvgpr_write_b32 a24, v34
	v_accvgpr_write_b32 a23, v27
	;; [unrolled: 1-line block ×6, first 2 shown]
	v_mov_b32_e32 v5, 0
	v_accvgpr_write_b32 a18, v30
	v_accvgpr_write_b32 a17, v14
	;; [unrolled: 1-line block ×4, first 2 shown]
	s_mov_b64 s[28:29], 0
	s_movk_i32 s39, 0x80
	s_movk_i32 s40, 0x7f
	s_mov_b32 s41, 0x7f800000
	s_movk_i32 s42, 0x7fff
	s_mov_b32 s43, 0xffffff
	s_waitcnt vmcnt(3)
	v_cmp_neq_f32_e64 s[6:7], 0, v1
	v_sub_u32_e32 v1, 0, v3
	v_mul_lo_u32 v1, v1, v0
	v_mul_hi_u32 v1, v0, v1
	v_accvgpr_read_b32 v2, a12
	v_add_u32_e32 v0, v0, v1
	v_accvgpr_read_b32 v3, a13
	v_accvgpr_write_b32 a44, v0
	v_lshlrev_b64 v[0:1], 2, v[2:3]
	v_add_co_u32_e64 v0, s[8:9], v32, v0
	buffer_store_dword v32, off, s[0:3], s32 offset:224 ; 4-byte Folded Spill
	s_nop 0
	buffer_store_dword v33, off, s[0:3], s32 offset:228 ; 4-byte Folded Spill
	buffer_store_dword v28, off, s[0:3], s32 offset:232 ; 4-byte Folded Spill
	v_addc_co_u32_e64 v1, s[8:9], v33, v1, s[8:9]
	v_add_co_u32_e64 v42, s[8:9], v14, v0
	v_lshlrev_b32_e32 v0, 2, v6
	v_lshl_or_b32 v0, v28, 7, v0
	v_accvgpr_write_b32 a43, v0
	v_accvgpr_read_b32 v0, a3
	v_sub_u32_e32 v0, v6, v0
	v_add_u32_e32 v0, 1, v0
	v_accvgpr_write_b32 a45, v0
	v_mbcnt_hi_u32_b32 v0, -1, v4
	v_addc_co_u32_e64 v43, s[8:9], v15, v1, s[8:9]
	v_lshl_add_u32 v1, v28, 5, s15
	v_accvgpr_write_b32 a46, v0
	v_mov_b32_e32 v0, 0xff7fffff
	buffer_store_dword v0, off, s[0:3], s32 offset:196 ; 4-byte Folded Spill
	s_branch .LBB376_13
.LBB376_11:                             ;   in Loop: Header=BB376_13 Depth=1
	s_or_b64 exec, exec, s[30:31]
.LBB376_12:                             ;   in Loop: Header=BB376_13 Depth=1
	s_or_b64 exec, exec, s[10:11]
	v_accvgpr_read_b32 v2, a48
	v_add_co_u32_e64 v42, s[8:9], 8, v42
	v_add_u32_e32 v2, 2, v2
	v_addc_co_u32_e64 v43, s[8:9], 0, v43, s[8:9]
	v_accvgpr_read_b32 v0, a11
	v_cmp_ge_i32_e64 s[8:9], v2, v0
	v_accvgpr_read_b32 v0, a43
	s_waitcnt lgkmcnt(0)
	v_accvgpr_read_b32 v1, a47
	v_add_u32_e32 v0, 0x100, v0
	v_add_u32_e32 v1, 64, v1
	s_or_b64 s[28:29], s[8:9], s[28:29]
	v_accvgpr_write_b32 a43, v0
	s_andn2_b64 exec, exec, s[28:29]
	s_cbranch_execz .LBB376_418
.LBB376_13:                             ; =>This Inner Loop Header: Depth=1
	v_accvgpr_write_b32 a48, v2
	v_ashrrev_i32_e32 v0, 31, v1
	v_mov_b32_e32 v2, v1
	v_accvgpr_read_b32 v1, a9
	v_xor_b32_e32 v0, v0, v1
	v_sub_u32_e32 v1, 0, v2
	v_accvgpr_write_b32 a47, v2
	v_max_i32_e32 v1, v2, v1
	v_accvgpr_read_b32 v2, a8
	v_mul_hi_u32 v3, v1, v2
	v_accvgpr_read_b32 v2, a7
	v_mul_lo_u32 v4, v3, v2
	v_sub_u32_e32 v1, v1, v4
	v_add_u32_e32 v4, 1, v3
	v_cmp_ge_u32_e64 s[8:9], v1, v2
	v_cndmask_b32_e64 v3, v3, v4, s[8:9]
	v_sub_u32_e32 v4, v1, v2
	v_cndmask_b32_e64 v1, v1, v4, s[8:9]
	v_add_u32_e32 v4, 1, v3
	v_cmp_ge_u32_e64 s[8:9], v1, v2
	v_cndmask_b32_e64 v1, v3, v4, s[8:9]
	v_xor_b32_e32 v1, v1, v0
	v_sub_u32_e32 v0, v1, v0
	v_accvgpr_read_b32 v2, a10
	v_add_u32_e32 v1, v0, v2
	v_sub_u32_e32 v4, 0, v1
	v_ashrrev_i32_e32 v3, 31, v1
	v_max_i32_e32 v1, v1, v4
	v_accvgpr_read_b32 v2, a44
	v_mul_hi_u32 v4, v1, v2
	v_accvgpr_read_b32 v2, a41
	v_mul_lo_u32 v4, v4, v2
	v_sub_u32_e32 v1, v1, v4
	v_sub_u32_e32 v4, v1, v2
	v_cmp_ge_u32_e64 s[8:9], v1, v2
	v_cndmask_b32_e64 v1, v1, v4, s[8:9]
	v_sub_u32_e32 v4, v1, v2
	v_cmp_ge_u32_e64 s[8:9], v1, v2
	v_cndmask_b32_e64 v1, v1, v4, s[8:9]
	v_xor_b32_e32 v1, v1, v3
	v_sub_u32_e32 v1, v1, v3
	v_cmp_ne_u32_e64 s[8:9], 0, v1
	v_accvgpr_read_b32 v1, a14
	v_cmp_le_i32_e64 s[10:11], v0, v1
	s_and_b64 s[8:9], s[8:9], s[10:11]
	s_and_b64 s[30:31], vcc, s[8:9]
	s_and_saveexec_b64 s[10:11], s[30:31]
	s_cbranch_execz .LBB376_15
; %bb.14:                               ;   in Loop: Header=BB376_13 Depth=1
	v_accvgpr_read_b32 v0, a43
	s_waitcnt lgkmcnt(0)
	v_add_u32_e32 v0, s23, v0
	v_mov_b32_e32 v1, 0xff7fffff
	ds_write_b32 v0, v1
.LBB376_15:                             ;   in Loop: Header=BB376_13 Depth=1
	s_or_b64 exec, exec, s[10:11]
	s_xor_b64 s[8:9], s[8:9], -1
	s_and_saveexec_b64 s[10:11], s[8:9]
	s_cbranch_execz .LBB376_12
; %bb.16:                               ;   in Loop: Header=BB376_13 Depth=1
	flat_load_dword v0, v[42:43]
	v_accvgpr_read_b32 v6, a38
	v_accvgpr_read_b32 v2, a6
	v_accvgpr_read_b32 v7, a39
	s_waitcnt vmcnt(0) lgkmcnt(0)
	v_mad_i64_i32 v[0:1], s[8:9], v0, v2, v[6:7]
	v_accvgpr_read_b32 v2, a40
	v_add_co_u32_e64 v44, s[8:9], v0, v2
	v_addc_co_u32_e64 v45, s[8:9], 0, v1, s[8:9]
	v_accvgpr_read_b32 v0, a34
	flat_load_dword v46, v[44:45]
	v_accvgpr_read_b32 v1, a35
	flat_load_dword v31, v[0:1]
	v_accvgpr_read_b32 v0, a42
	ds_read_b128 v[48:51], v0
	ds_read_b128 v[36:39], v0 offset:16
	ds_read_b128 v[32:35], v0 offset:32
	;; [unrolled: 1-line block ×4, first 2 shown]
	v_mov_b32_e32 v0, 0
	s_waitcnt vmcnt(0) lgkmcnt(0)
	v_cmp_ne_u16_sdwa s[8:9], v46, v5 src0_sel:BYTE_0 src1_sel:DWORD
	s_and_saveexec_b64 s[30:31], s[8:9]
	s_cbranch_execz .LBB376_22
; %bb.17:                               ;   in Loop: Header=BB376_13 Depth=1
	v_cmp_ne_u16_sdwa s[8:9], v46, s39 src0_sel:BYTE_0 src1_sel:DWORD
	v_bfrev_b32_e32 v0, 1
	s_and_saveexec_b64 s[34:35], s[8:9]
	s_cbranch_execz .LBB376_21
; %bb.18:                               ;   in Loop: Header=BB376_13 Depth=1
	v_and_b32_e32 v1, 0x7f, v46
	v_cmp_ne_u32_e64 s[8:9], s40, v1
	v_mov_b32_e32 v0, 0x7f800001
	s_and_saveexec_b64 s[36:37], s[8:9]
	s_cbranch_execz .LBB376_20
; %bb.19:                               ;   in Loop: Header=BB376_13 Depth=1
	v_and_b32_e32 v0, 7, v46
	v_ffbh_u32_e32 v4, v0
	v_min_u32_e32 v4, 32, v4
	v_subrev_u32_e32 v10, 28, v4
	v_lshlrev_b64 v[12:13], v10, v[46:47]
	v_lshrrev_b32_e32 v3, 3, v1
	v_sub_u32_e32 v4, 29, v4
	v_and_b32_e32 v10, 7, v12
	v_cmp_gt_u32_e64 s[8:9], 8, v1
	v_cndmask_b32_e64 v1, v3, v4, s[8:9]
	v_cndmask_b32_e64 v0, v0, v10, s[8:9]
	v_lshlrev_b32_e32 v3, 24, v46
	v_bfrev_b32_e32 v2, 60
	v_lshlrev_b32_e32 v0, 20, v0
	v_and_b32_e32 v3, 0x80000000, v3
	v_lshl_add_u32 v1, v1, 23, v2
	v_or3_b32 v0, v3, v1, v0
.LBB376_20:                             ;   in Loop: Header=BB376_13 Depth=1
	s_or_b64 exec, exec, s[36:37]
.LBB376_21:                             ;   in Loop: Header=BB376_13 Depth=1
	s_or_b64 exec, exec, s[34:35]
.LBB376_22:                             ;   in Loop: Header=BB376_13 Depth=1
	s_or_b64 exec, exec, s[30:31]
	v_mul_f32_e32 v0, v31, v0
	v_and_b32_e32 v1, 0x7f800000, v0
	v_cmp_ne_u32_e64 s[8:9], s41, v1
                                        ; implicit-def: $vgpr11
	s_and_saveexec_b64 s[30:31], s[8:9]
	s_xor_b64 s[8:9], exec, s[30:31]
; %bb.23:                               ;   in Loop: Header=BB376_13 Depth=1
	v_bfe_u32 v1, v0, 16, 1
	v_add3_u32 v11, v0, v1, s42
                                        ; implicit-def: $vgpr0
; %bb.24:                               ;   in Loop: Header=BB376_13 Depth=1
	s_andn2_saveexec_b64 s[30:31], s[8:9]
; %bb.25:                               ;   in Loop: Header=BB376_13 Depth=1
	v_or_b32_e32 v1, 0x10000, v0
	v_cmp_eq_u32_sdwa s[8:9], v0, v5 src0_sel:WORD_0 src1_sel:DWORD
	v_cndmask_b32_e64 v11, v1, v0, s[8:9]
; %bb.26:                               ;   in Loop: Header=BB376_13 Depth=1
	s_or_b64 exec, exec, s[30:31]
	v_lshrrev_b16_e32 v56, 8, v46
	v_cmp_ne_u16_e64 s[8:9], 0, v56
	v_mov_b32_e32 v0, 0
	s_and_saveexec_b64 s[30:31], s[8:9]
	s_cbranch_execz .LBB376_32
; %bb.27:                               ;   in Loop: Header=BB376_13 Depth=1
	v_cmp_ne_u16_e64 s[8:9], s39, v56
	v_bfrev_b32_e32 v0, 1
	s_and_saveexec_b64 s[34:35], s[8:9]
	s_cbranch_execz .LBB376_31
; %bb.28:                               ;   in Loop: Header=BB376_13 Depth=1
	v_and_b32_e32 v1, 0x7f, v56
	v_cmp_ne_u32_e64 s[8:9], s40, v1
	v_mov_b32_e32 v0, 0x7f800001
	s_and_saveexec_b64 s[36:37], s[8:9]
	s_cbranch_execz .LBB376_30
; %bb.29:                               ;   in Loop: Header=BB376_13 Depth=1
	v_and_b32_e32 v0, 7, v56
	v_ffbh_u32_e32 v4, v0
	v_min_u32_e32 v4, 32, v4
	v_subrev_u32_e32 v10, 28, v4
	v_lshlrev_b64 v[12:13], v10, v[56:57]
	v_lshrrev_b32_e32 v3, 3, v1
	v_sub_u32_e32 v4, 29, v4
	v_and_b32_e32 v10, 7, v12
	v_cmp_gt_u32_e64 s[8:9], 8, v1
	v_cndmask_b32_e64 v1, v3, v4, s[8:9]
	v_cndmask_b32_e64 v0, v0, v10, s[8:9]
	v_lshlrev_b32_e32 v3, 16, v46
	v_bfrev_b32_e32 v2, 60
	v_lshlrev_b32_e32 v0, 20, v0
	v_and_b32_e32 v3, 0x80000000, v3
	v_lshl_add_u32 v1, v1, 23, v2
	v_or3_b32 v0, v3, v1, v0
.LBB376_30:                             ;   in Loop: Header=BB376_13 Depth=1
	s_or_b64 exec, exec, s[36:37]
.LBB376_31:                             ;   in Loop: Header=BB376_13 Depth=1
	s_or_b64 exec, exec, s[34:35]
.LBB376_32:                             ;   in Loop: Header=BB376_13 Depth=1
	s_or_b64 exec, exec, s[30:31]
	v_mul_f32_e32 v0, v31, v0
	v_and_b32_e32 v1, 0x7f800000, v0
	v_cmp_ne_u32_e64 s[8:9], s41, v1
                                        ; implicit-def: $vgpr23
	s_and_saveexec_b64 s[30:31], s[8:9]
	s_xor_b64 s[8:9], exec, s[30:31]
; %bb.33:                               ;   in Loop: Header=BB376_13 Depth=1
	v_bfe_u32 v1, v0, 16, 1
	v_add3_u32 v23, v0, v1, s42
                                        ; implicit-def: $vgpr0
; %bb.34:                               ;   in Loop: Header=BB376_13 Depth=1
	s_andn2_saveexec_b64 s[30:31], s[8:9]
; %bb.35:                               ;   in Loop: Header=BB376_13 Depth=1
	v_or_b32_e32 v1, 0x10000, v0
	v_cmp_eq_u32_sdwa s[8:9], v0, v5 src0_sel:WORD_0 src1_sel:DWORD
	v_cndmask_b32_e64 v23, v1, v0, s[8:9]
; %bb.36:                               ;   in Loop: Header=BB376_13 Depth=1
	s_or_b64 exec, exec, s[30:31]
	v_lshrrev_b32_e32 v56, 16, v46
	v_cmp_ne_u16_sdwa s[8:9], v56, v5 src0_sel:BYTE_0 src1_sel:DWORD
	v_mov_b32_e32 v0, 0
	s_and_saveexec_b64 s[30:31], s[8:9]
	s_cbranch_execz .LBB376_42
; %bb.37:                               ;   in Loop: Header=BB376_13 Depth=1
	v_cmp_ne_u16_sdwa s[8:9], v56, s39 src0_sel:BYTE_0 src1_sel:DWORD
	v_bfrev_b32_e32 v0, 1
	s_and_saveexec_b64 s[34:35], s[8:9]
	s_cbranch_execz .LBB376_41
; %bb.38:                               ;   in Loop: Header=BB376_13 Depth=1
	v_bfe_u32 v1, v46, 16, 7
	v_cmp_ne_u32_e64 s[8:9], s40, v1
	v_mov_b32_e32 v0, 0x7f800001
	s_and_saveexec_b64 s[36:37], s[8:9]
	s_cbranch_execz .LBB376_40
; %bb.39:                               ;   in Loop: Header=BB376_13 Depth=1
	v_and_b32_e32 v0, 7, v56
	v_ffbh_u32_e32 v4, v0
	v_min_u32_e32 v4, 32, v4
	v_subrev_u32_e32 v10, 28, v4
	v_lshlrev_b64 v[12:13], v10, v[56:57]
	v_lshrrev_b32_e32 v3, 3, v1
	v_sub_u32_e32 v4, 29, v4
	v_and_b32_e32 v10, 7, v12
	v_cmp_gt_u32_e64 s[8:9], 8, v1
	v_cndmask_b32_e64 v1, v3, v4, s[8:9]
	v_cndmask_b32_e64 v0, v0, v10, s[8:9]
	v_lshlrev_b32_e32 v3, 24, v56
	v_bfrev_b32_e32 v2, 60
	v_lshlrev_b32_e32 v0, 20, v0
	v_and_b32_e32 v3, 0x80000000, v3
	v_lshl_add_u32 v1, v1, 23, v2
	v_or3_b32 v0, v3, v1, v0
.LBB376_40:                             ;   in Loop: Header=BB376_13 Depth=1
	s_or_b64 exec, exec, s[36:37]
.LBB376_41:                             ;   in Loop: Header=BB376_13 Depth=1
	s_or_b64 exec, exec, s[34:35]
.LBB376_42:                             ;   in Loop: Header=BB376_13 Depth=1
	s_or_b64 exec, exec, s[30:31]
	v_mul_f32_e32 v0, v31, v0
	v_and_b32_e32 v1, 0x7f800000, v0
	v_cmp_ne_u32_e64 s[8:9], s41, v1
                                        ; implicit-def: $vgpr41
	s_and_saveexec_b64 s[30:31], s[8:9]
	s_xor_b64 s[8:9], exec, s[30:31]
; %bb.43:                               ;   in Loop: Header=BB376_13 Depth=1
	v_bfe_u32 v1, v0, 16, 1
	v_add3_u32 v41, v0, v1, s42
                                        ; implicit-def: $vgpr0
; %bb.44:                               ;   in Loop: Header=BB376_13 Depth=1
	s_andn2_saveexec_b64 s[30:31], s[8:9]
; %bb.45:                               ;   in Loop: Header=BB376_13 Depth=1
	v_or_b32_e32 v1, 0x10000, v0
	v_cmp_eq_u32_sdwa s[8:9], v0, v5 src0_sel:WORD_0 src1_sel:DWORD
	v_cndmask_b32_e64 v41, v1, v0, s[8:9]
; %bb.46:                               ;   in Loop: Header=BB376_13 Depth=1
	s_or_b64 exec, exec, s[30:31]
	v_cmp_lt_u32_e64 s[8:9], s43, v46
	v_mov_b32_e32 v0, 0
	s_and_saveexec_b64 s[30:31], s[8:9]
	s_cbranch_execz .LBB376_52
; %bb.47:                               ;   in Loop: Header=BB376_13 Depth=1
	v_lshrrev_b32_e32 v56, 24, v46
	v_cmp_ne_u32_e64 s[8:9], s39, v56
	v_bfrev_b32_e32 v0, 1
	s_and_saveexec_b64 s[34:35], s[8:9]
	s_cbranch_execz .LBB376_51
; %bb.48:                               ;   in Loop: Header=BB376_13 Depth=1
	v_bfe_u32 v1, v46, 24, 7
	v_cmp_ne_u32_e64 s[8:9], s40, v1
	v_mov_b32_e32 v0, 0x7f800001
	s_and_saveexec_b64 s[36:37], s[8:9]
	s_cbranch_execz .LBB376_50
; %bb.49:                               ;   in Loop: Header=BB376_13 Depth=1
	v_and_b32_e32 v0, 7, v56
	v_ffbh_u32_e32 v4, v0
	v_min_u32_e32 v4, 32, v4
	v_subrev_u32_e32 v10, 28, v4
	v_lshlrev_b64 v[12:13], v10, v[56:57]
	v_lshrrev_b32_e32 v3, 3, v1
	v_sub_u32_e32 v4, 29, v4
	v_and_b32_e32 v10, 7, v12
	v_cmp_gt_u32_e64 s[8:9], 8, v1
	v_cndmask_b32_e64 v1, v3, v4, s[8:9]
	v_cndmask_b32_e64 v0, v0, v10, s[8:9]
	v_lshlrev_b32_e32 v3, 24, v56
	v_bfrev_b32_e32 v2, 60
	v_lshlrev_b32_e32 v0, 20, v0
	v_and_b32_e32 v3, 0x80000000, v3
	v_lshl_add_u32 v1, v1, 23, v2
	v_or3_b32 v0, v3, v1, v0
.LBB376_50:                             ;   in Loop: Header=BB376_13 Depth=1
	s_or_b64 exec, exec, s[36:37]
.LBB376_51:                             ;   in Loop: Header=BB376_13 Depth=1
	s_or_b64 exec, exec, s[34:35]
.LBB376_52:                             ;   in Loop: Header=BB376_13 Depth=1
	s_or_b64 exec, exec, s[30:31]
	v_mul_f32_e32 v0, v31, v0
	v_and_b32_e32 v1, 0x7f800000, v0
	v_cmp_ne_u32_e64 s[8:9], s41, v1
                                        ; implicit-def: $vgpr61
	s_and_saveexec_b64 s[30:31], s[8:9]
	s_xor_b64 s[8:9], exec, s[30:31]
; %bb.53:                               ;   in Loop: Header=BB376_13 Depth=1
	v_bfe_u32 v1, v0, 16, 1
	v_add3_u32 v61, v0, v1, s42
                                        ; implicit-def: $vgpr0
; %bb.54:                               ;   in Loop: Header=BB376_13 Depth=1
	s_andn2_saveexec_b64 s[30:31], s[8:9]
; %bb.55:                               ;   in Loop: Header=BB376_13 Depth=1
	v_or_b32_e32 v1, 0x10000, v0
	v_cmp_eq_u32_sdwa s[8:9], v0, v5 src0_sel:WORD_0 src1_sel:DWORD
	v_cndmask_b32_e64 v61, v1, v0, s[8:9]
; %bb.56:                               ;   in Loop: Header=BB376_13 Depth=1
	s_or_b64 exec, exec, s[30:31]
	flat_load_dword v46, v[44:45] offset:8
	v_mov_b32_e32 v0, 0
	s_waitcnt vmcnt(0) lgkmcnt(0)
	v_cmp_ne_u16_sdwa s[8:9], v46, v5 src0_sel:BYTE_0 src1_sel:DWORD
	s_and_saveexec_b64 s[30:31], s[8:9]
	s_cbranch_execz .LBB376_62
; %bb.57:                               ;   in Loop: Header=BB376_13 Depth=1
	v_cmp_ne_u16_sdwa s[8:9], v46, s39 src0_sel:BYTE_0 src1_sel:DWORD
	v_bfrev_b32_e32 v0, 1
	s_and_saveexec_b64 s[34:35], s[8:9]
	s_cbranch_execz .LBB376_61
; %bb.58:                               ;   in Loop: Header=BB376_13 Depth=1
	v_and_b32_e32 v1, 0x7f, v46
	v_cmp_ne_u32_e64 s[8:9], s40, v1
	v_mov_b32_e32 v0, 0x7f800001
	s_and_saveexec_b64 s[36:37], s[8:9]
	s_cbranch_execz .LBB376_60
; %bb.59:                               ;   in Loop: Header=BB376_13 Depth=1
	v_and_b32_e32 v0, 7, v46
	v_ffbh_u32_e32 v4, v0
	v_min_u32_e32 v4, 32, v4
	v_subrev_u32_e32 v10, 28, v4
	v_lshlrev_b64 v[12:13], v10, v[46:47]
	v_lshrrev_b32_e32 v3, 3, v1
	v_sub_u32_e32 v4, 29, v4
	v_and_b32_e32 v10, 7, v12
	v_cmp_gt_u32_e64 s[8:9], 8, v1
	v_cndmask_b32_e64 v1, v3, v4, s[8:9]
	v_cndmask_b32_e64 v0, v0, v10, s[8:9]
	v_lshlrev_b32_e32 v3, 24, v46
	v_bfrev_b32_e32 v2, 60
	v_lshlrev_b32_e32 v0, 20, v0
	v_and_b32_e32 v3, 0x80000000, v3
	v_lshl_add_u32 v1, v1, 23, v2
	v_or3_b32 v0, v3, v1, v0
.LBB376_60:                             ;   in Loop: Header=BB376_13 Depth=1
	s_or_b64 exec, exec, s[36:37]
.LBB376_61:                             ;   in Loop: Header=BB376_13 Depth=1
	s_or_b64 exec, exec, s[34:35]
.LBB376_62:                             ;   in Loop: Header=BB376_13 Depth=1
	s_or_b64 exec, exec, s[30:31]
	v_mul_f32_e32 v0, v31, v0
	v_and_b32_e32 v1, 0x7f800000, v0
	v_cmp_ne_u32_e64 s[8:9], s41, v1
                                        ; implicit-def: $agpr49
	s_and_saveexec_b64 s[30:31], s[8:9]
	s_xor_b64 s[8:9], exec, s[30:31]
; %bb.63:                               ;   in Loop: Header=BB376_13 Depth=1
	v_bfe_u32 v1, v0, 16, 1
	v_add3_u32 v0, v0, v1, s42
	v_accvgpr_write_b32 a49, v0
                                        ; implicit-def: $vgpr0
; %bb.64:                               ;   in Loop: Header=BB376_13 Depth=1
	s_andn2_saveexec_b64 s[30:31], s[8:9]
; %bb.65:                               ;   in Loop: Header=BB376_13 Depth=1
	v_or_b32_e32 v1, 0x10000, v0
	v_cmp_eq_u32_sdwa s[8:9], v0, v5 src0_sel:WORD_0 src1_sel:DWORD
	v_cndmask_b32_e64 v0, v1, v0, s[8:9]
	v_accvgpr_write_b32 a49, v0
; %bb.66:                               ;   in Loop: Header=BB376_13 Depth=1
	s_or_b64 exec, exec, s[30:31]
	v_lshrrev_b16_e32 v56, 8, v46
	v_cmp_ne_u16_e64 s[8:9], 0, v56
	v_mov_b32_e32 v0, 0
	s_and_saveexec_b64 s[30:31], s[8:9]
	s_cbranch_execz .LBB376_72
; %bb.67:                               ;   in Loop: Header=BB376_13 Depth=1
	v_cmp_ne_u16_e64 s[8:9], s39, v56
	v_bfrev_b32_e32 v0, 1
	s_and_saveexec_b64 s[34:35], s[8:9]
	s_cbranch_execz .LBB376_71
; %bb.68:                               ;   in Loop: Header=BB376_13 Depth=1
	v_and_b32_e32 v1, 0x7f, v56
	v_cmp_ne_u32_e64 s[8:9], s40, v1
	v_mov_b32_e32 v0, 0x7f800001
	s_and_saveexec_b64 s[36:37], s[8:9]
	s_cbranch_execz .LBB376_70
; %bb.69:                               ;   in Loop: Header=BB376_13 Depth=1
	v_and_b32_e32 v0, 7, v56
	v_ffbh_u32_e32 v4, v0
	v_min_u32_e32 v4, 32, v4
	v_subrev_u32_e32 v10, 28, v4
	v_lshlrev_b64 v[12:13], v10, v[56:57]
	v_lshrrev_b32_e32 v3, 3, v1
	v_sub_u32_e32 v4, 29, v4
	v_and_b32_e32 v10, 7, v12
	v_cmp_gt_u32_e64 s[8:9], 8, v1
	v_cndmask_b32_e64 v1, v3, v4, s[8:9]
	v_cndmask_b32_e64 v0, v0, v10, s[8:9]
	v_lshlrev_b32_e32 v3, 16, v46
	v_bfrev_b32_e32 v2, 60
	v_lshlrev_b32_e32 v0, 20, v0
	v_and_b32_e32 v3, 0x80000000, v3
	v_lshl_add_u32 v1, v1, 23, v2
	v_or3_b32 v0, v3, v1, v0
.LBB376_70:                             ;   in Loop: Header=BB376_13 Depth=1
	s_or_b64 exec, exec, s[36:37]
.LBB376_71:                             ;   in Loop: Header=BB376_13 Depth=1
	s_or_b64 exec, exec, s[34:35]
.LBB376_72:                             ;   in Loop: Header=BB376_13 Depth=1
	s_or_b64 exec, exec, s[30:31]
	v_mul_f32_e32 v0, v31, v0
	v_and_b32_e32 v1, 0x7f800000, v0
	v_cmp_ne_u32_e64 s[8:9], s41, v1
                                        ; implicit-def: $agpr50
	s_and_saveexec_b64 s[30:31], s[8:9]
	s_xor_b64 s[8:9], exec, s[30:31]
; %bb.73:                               ;   in Loop: Header=BB376_13 Depth=1
	v_bfe_u32 v1, v0, 16, 1
	v_add3_u32 v0, v0, v1, s42
	v_accvgpr_write_b32 a50, v0
                                        ; implicit-def: $vgpr0
; %bb.74:                               ;   in Loop: Header=BB376_13 Depth=1
	s_andn2_saveexec_b64 s[30:31], s[8:9]
; %bb.75:                               ;   in Loop: Header=BB376_13 Depth=1
	v_or_b32_e32 v1, 0x10000, v0
	v_cmp_eq_u32_sdwa s[8:9], v0, v5 src0_sel:WORD_0 src1_sel:DWORD
	v_cndmask_b32_e64 v0, v1, v0, s[8:9]
	v_accvgpr_write_b32 a50, v0
; %bb.76:                               ;   in Loop: Header=BB376_13 Depth=1
	s_or_b64 exec, exec, s[30:31]
	v_lshrrev_b32_e32 v56, 16, v46
	v_cmp_ne_u16_sdwa s[8:9], v56, v5 src0_sel:BYTE_0 src1_sel:DWORD
	v_mov_b32_e32 v0, 0
	s_and_saveexec_b64 s[30:31], s[8:9]
	s_cbranch_execz .LBB376_82
; %bb.77:                               ;   in Loop: Header=BB376_13 Depth=1
	v_cmp_ne_u16_sdwa s[8:9], v56, s39 src0_sel:BYTE_0 src1_sel:DWORD
	v_bfrev_b32_e32 v0, 1
	s_and_saveexec_b64 s[34:35], s[8:9]
	s_cbranch_execz .LBB376_81
; %bb.78:                               ;   in Loop: Header=BB376_13 Depth=1
	v_bfe_u32 v1, v46, 16, 7
	v_cmp_ne_u32_e64 s[8:9], s40, v1
	v_mov_b32_e32 v0, 0x7f800001
	s_and_saveexec_b64 s[36:37], s[8:9]
	s_cbranch_execz .LBB376_80
; %bb.79:                               ;   in Loop: Header=BB376_13 Depth=1
	v_and_b32_e32 v0, 7, v56
	v_ffbh_u32_e32 v4, v0
	v_min_u32_e32 v4, 32, v4
	v_subrev_u32_e32 v10, 28, v4
	v_lshlrev_b64 v[12:13], v10, v[56:57]
	v_lshrrev_b32_e32 v3, 3, v1
	v_sub_u32_e32 v4, 29, v4
	v_and_b32_e32 v10, 7, v12
	v_cmp_gt_u32_e64 s[8:9], 8, v1
	v_cndmask_b32_e64 v1, v3, v4, s[8:9]
	v_cndmask_b32_e64 v0, v0, v10, s[8:9]
	v_lshlrev_b32_e32 v3, 24, v56
	v_bfrev_b32_e32 v2, 60
	v_lshlrev_b32_e32 v0, 20, v0
	v_and_b32_e32 v3, 0x80000000, v3
	v_lshl_add_u32 v1, v1, 23, v2
	v_or3_b32 v0, v3, v1, v0
.LBB376_80:                             ;   in Loop: Header=BB376_13 Depth=1
	s_or_b64 exec, exec, s[36:37]
.LBB376_81:                             ;   in Loop: Header=BB376_13 Depth=1
	s_or_b64 exec, exec, s[34:35]
.LBB376_82:                             ;   in Loop: Header=BB376_13 Depth=1
	s_or_b64 exec, exec, s[30:31]
	v_mul_f32_e32 v0, v31, v0
	v_and_b32_e32 v1, 0x7f800000, v0
	v_cmp_ne_u32_e64 s[8:9], s41, v1
                                        ; implicit-def: $agpr51
	s_and_saveexec_b64 s[30:31], s[8:9]
	s_xor_b64 s[8:9], exec, s[30:31]
; %bb.83:                               ;   in Loop: Header=BB376_13 Depth=1
	v_bfe_u32 v1, v0, 16, 1
	v_add3_u32 v0, v0, v1, s42
	v_accvgpr_write_b32 a51, v0
                                        ; implicit-def: $vgpr0
; %bb.84:                               ;   in Loop: Header=BB376_13 Depth=1
	s_andn2_saveexec_b64 s[30:31], s[8:9]
; %bb.85:                               ;   in Loop: Header=BB376_13 Depth=1
	v_or_b32_e32 v1, 0x10000, v0
	v_cmp_eq_u32_sdwa s[8:9], v0, v5 src0_sel:WORD_0 src1_sel:DWORD
	v_cndmask_b32_e64 v0, v1, v0, s[8:9]
	v_accvgpr_write_b32 a51, v0
; %bb.86:                               ;   in Loop: Header=BB376_13 Depth=1
	s_or_b64 exec, exec, s[30:31]
	v_cmp_lt_u32_e64 s[8:9], s43, v46
	v_mov_b32_e32 v0, 0
	s_and_saveexec_b64 s[30:31], s[8:9]
	s_cbranch_execz .LBB376_92
; %bb.87:                               ;   in Loop: Header=BB376_13 Depth=1
	v_lshrrev_b32_e32 v56, 24, v46
	v_cmp_ne_u32_e64 s[8:9], s39, v56
	v_bfrev_b32_e32 v0, 1
	s_and_saveexec_b64 s[34:35], s[8:9]
	s_cbranch_execz .LBB376_91
; %bb.88:                               ;   in Loop: Header=BB376_13 Depth=1
	v_bfe_u32 v1, v46, 24, 7
	v_cmp_ne_u32_e64 s[8:9], s40, v1
	v_mov_b32_e32 v0, 0x7f800001
	s_and_saveexec_b64 s[36:37], s[8:9]
	s_cbranch_execz .LBB376_90
; %bb.89:                               ;   in Loop: Header=BB376_13 Depth=1
	v_and_b32_e32 v0, 7, v56
	v_ffbh_u32_e32 v4, v0
	v_min_u32_e32 v4, 32, v4
	v_subrev_u32_e32 v10, 28, v4
	v_lshlrev_b64 v[12:13], v10, v[56:57]
	v_lshrrev_b32_e32 v3, 3, v1
	v_sub_u32_e32 v4, 29, v4
	v_and_b32_e32 v10, 7, v12
	v_cmp_gt_u32_e64 s[8:9], 8, v1
	v_cndmask_b32_e64 v1, v3, v4, s[8:9]
	v_cndmask_b32_e64 v0, v0, v10, s[8:9]
	v_lshlrev_b32_e32 v3, 24, v56
	v_bfrev_b32_e32 v2, 60
	v_lshlrev_b32_e32 v0, 20, v0
	v_and_b32_e32 v3, 0x80000000, v3
	v_lshl_add_u32 v1, v1, 23, v2
	v_or3_b32 v0, v3, v1, v0
.LBB376_90:                             ;   in Loop: Header=BB376_13 Depth=1
	s_or_b64 exec, exec, s[36:37]
.LBB376_91:                             ;   in Loop: Header=BB376_13 Depth=1
	s_or_b64 exec, exec, s[34:35]
.LBB376_92:                             ;   in Loop: Header=BB376_13 Depth=1
	s_or_b64 exec, exec, s[30:31]
	v_mul_f32_e32 v0, v31, v0
	v_and_b32_e32 v1, 0x7f800000, v0
	v_cmp_ne_u32_e64 s[8:9], s41, v1
                                        ; implicit-def: $agpr52
	s_and_saveexec_b64 s[30:31], s[8:9]
	s_xor_b64 s[8:9], exec, s[30:31]
; %bb.93:                               ;   in Loop: Header=BB376_13 Depth=1
	v_bfe_u32 v1, v0, 16, 1
	v_add3_u32 v0, v0, v1, s42
	v_accvgpr_write_b32 a52, v0
                                        ; implicit-def: $vgpr0
; %bb.94:                               ;   in Loop: Header=BB376_13 Depth=1
	s_andn2_saveexec_b64 s[30:31], s[8:9]
; %bb.95:                               ;   in Loop: Header=BB376_13 Depth=1
	v_or_b32_e32 v1, 0x10000, v0
	v_cmp_eq_u32_sdwa s[8:9], v0, v5 src0_sel:WORD_0 src1_sel:DWORD
	v_cndmask_b32_e64 v0, v1, v0, s[8:9]
	v_accvgpr_write_b32 a52, v0
; %bb.96:                               ;   in Loop: Header=BB376_13 Depth=1
	s_or_b64 exec, exec, s[30:31]
	flat_load_dword v46, v[44:45] offset:512
	v_mov_b32_e32 v0, 0
	s_waitcnt vmcnt(0) lgkmcnt(0)
	v_cmp_ne_u16_sdwa s[8:9], v46, v5 src0_sel:BYTE_0 src1_sel:DWORD
	s_and_saveexec_b64 s[30:31], s[8:9]
	s_cbranch_execz .LBB376_102
; %bb.97:                               ;   in Loop: Header=BB376_13 Depth=1
	v_cmp_ne_u16_sdwa s[8:9], v46, s39 src0_sel:BYTE_0 src1_sel:DWORD
	v_bfrev_b32_e32 v0, 1
	s_and_saveexec_b64 s[34:35], s[8:9]
	s_cbranch_execz .LBB376_101
; %bb.98:                               ;   in Loop: Header=BB376_13 Depth=1
	v_and_b32_e32 v1, 0x7f, v46
	v_cmp_ne_u32_e64 s[8:9], s40, v1
	v_mov_b32_e32 v0, 0x7f800001
	s_and_saveexec_b64 s[36:37], s[8:9]
	s_cbranch_execz .LBB376_100
; %bb.99:                               ;   in Loop: Header=BB376_13 Depth=1
	v_and_b32_e32 v0, 7, v46
	v_ffbh_u32_e32 v4, v0
	v_min_u32_e32 v4, 32, v4
	v_subrev_u32_e32 v10, 28, v4
	v_lshlrev_b64 v[12:13], v10, v[46:47]
	v_lshrrev_b32_e32 v3, 3, v1
	v_sub_u32_e32 v4, 29, v4
	v_and_b32_e32 v10, 7, v12
	v_cmp_gt_u32_e64 s[8:9], 8, v1
	v_cndmask_b32_e64 v1, v3, v4, s[8:9]
	v_cndmask_b32_e64 v0, v0, v10, s[8:9]
	v_lshlrev_b32_e32 v3, 24, v46
	v_bfrev_b32_e32 v2, 60
	v_lshlrev_b32_e32 v0, 20, v0
	v_and_b32_e32 v3, 0x80000000, v3
	v_lshl_add_u32 v1, v1, 23, v2
	v_or3_b32 v0, v3, v1, v0
.LBB376_100:                            ;   in Loop: Header=BB376_13 Depth=1
	s_or_b64 exec, exec, s[36:37]
.LBB376_101:                            ;   in Loop: Header=BB376_13 Depth=1
	s_or_b64 exec, exec, s[34:35]
.LBB376_102:                            ;   in Loop: Header=BB376_13 Depth=1
	s_or_b64 exec, exec, s[30:31]
	v_mul_f32_e32 v0, v31, v0
	v_and_b32_e32 v1, 0x7f800000, v0
	v_cmp_ne_u32_e64 s[8:9], s41, v1
                                        ; implicit-def: $agpr53
	s_and_saveexec_b64 s[30:31], s[8:9]
	s_xor_b64 s[8:9], exec, s[30:31]
; %bb.103:                              ;   in Loop: Header=BB376_13 Depth=1
	v_bfe_u32 v1, v0, 16, 1
	v_add3_u32 v0, v0, v1, s42
	v_accvgpr_write_b32 a53, v0
                                        ; implicit-def: $vgpr0
; %bb.104:                              ;   in Loop: Header=BB376_13 Depth=1
	s_andn2_saveexec_b64 s[30:31], s[8:9]
; %bb.105:                              ;   in Loop: Header=BB376_13 Depth=1
	v_or_b32_e32 v1, 0x10000, v0
	v_cmp_eq_u32_sdwa s[8:9], v0, v5 src0_sel:WORD_0 src1_sel:DWORD
	v_cndmask_b32_e64 v0, v1, v0, s[8:9]
	v_accvgpr_write_b32 a53, v0
; %bb.106:                              ;   in Loop: Header=BB376_13 Depth=1
	s_or_b64 exec, exec, s[30:31]
	v_lshrrev_b16_e32 v56, 8, v46
	v_cmp_ne_u16_e64 s[8:9], 0, v56
	v_mov_b32_e32 v0, 0
	s_and_saveexec_b64 s[30:31], s[8:9]
	s_cbranch_execz .LBB376_112
; %bb.107:                              ;   in Loop: Header=BB376_13 Depth=1
	v_cmp_ne_u16_e64 s[8:9], s39, v56
	v_bfrev_b32_e32 v0, 1
	s_and_saveexec_b64 s[34:35], s[8:9]
	s_cbranch_execz .LBB376_111
; %bb.108:                              ;   in Loop: Header=BB376_13 Depth=1
	v_and_b32_e32 v1, 0x7f, v56
	v_cmp_ne_u32_e64 s[8:9], s40, v1
	v_mov_b32_e32 v0, 0x7f800001
	s_and_saveexec_b64 s[36:37], s[8:9]
	s_cbranch_execz .LBB376_110
; %bb.109:                              ;   in Loop: Header=BB376_13 Depth=1
	v_and_b32_e32 v3, 7, v56
	v_ffbh_u32_e32 v0, v3
	v_min_u32_e32 v10, 32, v0
	v_subrev_u32_e32 v0, 28, v10
	v_lshrrev_b32_e32 v4, 3, v1
	v_cmp_gt_u32_e64 s[8:9], 8, v1
	v_lshlrev_b64 v[0:1], v0, v[56:57]
	v_sub_u32_e32 v1, 29, v10
	v_and_b32_e32 v0, 7, v0
	v_cndmask_b32_e64 v1, v4, v1, s[8:9]
	v_cndmask_b32_e64 v0, v3, v0, s[8:9]
	v_lshlrev_b32_e32 v3, 16, v46
	v_bfrev_b32_e32 v2, 60
	v_lshlrev_b32_e32 v0, 20, v0
	v_and_b32_e32 v3, 0x80000000, v3
	v_lshl_add_u32 v1, v1, 23, v2
	v_or3_b32 v0, v3, v1, v0
.LBB376_110:                            ;   in Loop: Header=BB376_13 Depth=1
	s_or_b64 exec, exec, s[36:37]
.LBB376_111:                            ;   in Loop: Header=BB376_13 Depth=1
	s_or_b64 exec, exec, s[34:35]
.LBB376_112:                            ;   in Loop: Header=BB376_13 Depth=1
	s_or_b64 exec, exec, s[30:31]
	v_mul_f32_e32 v0, v31, v0
	v_and_b32_e32 v1, 0x7f800000, v0
	v_cmp_ne_u32_e64 s[8:9], s41, v1
                                        ; implicit-def: $agpr54
	s_and_saveexec_b64 s[30:31], s[8:9]
	s_xor_b64 s[8:9], exec, s[30:31]
; %bb.113:                              ;   in Loop: Header=BB376_13 Depth=1
	v_bfe_u32 v1, v0, 16, 1
	v_add3_u32 v0, v0, v1, s42
	v_accvgpr_write_b32 a54, v0
                                        ; implicit-def: $vgpr0
; %bb.114:                              ;   in Loop: Header=BB376_13 Depth=1
	s_andn2_saveexec_b64 s[30:31], s[8:9]
; %bb.115:                              ;   in Loop: Header=BB376_13 Depth=1
	v_or_b32_e32 v1, 0x10000, v0
	v_cmp_eq_u32_sdwa s[8:9], v0, v5 src0_sel:WORD_0 src1_sel:DWORD
	v_cndmask_b32_e64 v0, v1, v0, s[8:9]
	v_accvgpr_write_b32 a54, v0
; %bb.116:                              ;   in Loop: Header=BB376_13 Depth=1
	s_or_b64 exec, exec, s[30:31]
	v_lshrrev_b32_e32 v56, 16, v46
	v_cmp_ne_u16_sdwa s[8:9], v56, v5 src0_sel:BYTE_0 src1_sel:DWORD
	v_mov_b32_e32 v0, 0
	s_and_saveexec_b64 s[30:31], s[8:9]
	s_cbranch_execz .LBB376_122
; %bb.117:                              ;   in Loop: Header=BB376_13 Depth=1
	v_cmp_ne_u16_sdwa s[8:9], v56, s39 src0_sel:BYTE_0 src1_sel:DWORD
	v_bfrev_b32_e32 v0, 1
	s_and_saveexec_b64 s[34:35], s[8:9]
	s_cbranch_execz .LBB376_121
; %bb.118:                              ;   in Loop: Header=BB376_13 Depth=1
	v_bfe_u32 v1, v46, 16, 7
	v_cmp_ne_u32_e64 s[8:9], s40, v1
	v_mov_b32_e32 v0, 0x7f800001
	s_and_saveexec_b64 s[36:37], s[8:9]
	s_cbranch_execz .LBB376_120
; %bb.119:                              ;   in Loop: Header=BB376_13 Depth=1
	v_and_b32_e32 v0, 7, v56
	v_ffbh_u32_e32 v4, v0
	v_min_u32_e32 v4, 32, v4
	v_subrev_u32_e32 v10, 28, v4
	v_lshlrev_b64 v[12:13], v10, v[56:57]
	v_lshrrev_b32_e32 v3, 3, v1
	v_sub_u32_e32 v4, 29, v4
	v_and_b32_e32 v10, 7, v12
	v_cmp_gt_u32_e64 s[8:9], 8, v1
	v_cndmask_b32_e64 v1, v3, v4, s[8:9]
	v_cndmask_b32_e64 v0, v0, v10, s[8:9]
	v_lshlrev_b32_e32 v3, 24, v56
	v_bfrev_b32_e32 v2, 60
	v_lshlrev_b32_e32 v0, 20, v0
	v_and_b32_e32 v3, 0x80000000, v3
	v_lshl_add_u32 v1, v1, 23, v2
	v_or3_b32 v0, v3, v1, v0
.LBB376_120:                            ;   in Loop: Header=BB376_13 Depth=1
	s_or_b64 exec, exec, s[36:37]
.LBB376_121:                            ;   in Loop: Header=BB376_13 Depth=1
	s_or_b64 exec, exec, s[34:35]
.LBB376_122:                            ;   in Loop: Header=BB376_13 Depth=1
	s_or_b64 exec, exec, s[30:31]
	v_mul_f32_e32 v0, v31, v0
	v_and_b32_e32 v1, 0x7f800000, v0
	v_cmp_ne_u32_e64 s[8:9], s41, v1
                                        ; implicit-def: $agpr55
	s_and_saveexec_b64 s[30:31], s[8:9]
	s_xor_b64 s[8:9], exec, s[30:31]
; %bb.123:                              ;   in Loop: Header=BB376_13 Depth=1
	v_bfe_u32 v1, v0, 16, 1
	v_add3_u32 v0, v0, v1, s42
	v_accvgpr_write_b32 a55, v0
                                        ; implicit-def: $vgpr0
; %bb.124:                              ;   in Loop: Header=BB376_13 Depth=1
	s_andn2_saveexec_b64 s[30:31], s[8:9]
; %bb.125:                              ;   in Loop: Header=BB376_13 Depth=1
	v_or_b32_e32 v1, 0x10000, v0
	v_cmp_eq_u32_sdwa s[8:9], v0, v5 src0_sel:WORD_0 src1_sel:DWORD
	v_cndmask_b32_e64 v0, v1, v0, s[8:9]
	v_accvgpr_write_b32 a55, v0
; %bb.126:                              ;   in Loop: Header=BB376_13 Depth=1
	s_or_b64 exec, exec, s[30:31]
	v_cmp_lt_u32_e64 s[8:9], s43, v46
	v_mov_b32_e32 v0, 0
	s_and_saveexec_b64 s[30:31], s[8:9]
	s_cbranch_execz .LBB376_132
; %bb.127:                              ;   in Loop: Header=BB376_13 Depth=1
	v_lshrrev_b32_e32 v56, 24, v46
	v_cmp_ne_u32_e64 s[8:9], s39, v56
	v_bfrev_b32_e32 v0, 1
	s_and_saveexec_b64 s[34:35], s[8:9]
	s_cbranch_execz .LBB376_131
; %bb.128:                              ;   in Loop: Header=BB376_13 Depth=1
	v_bfe_u32 v1, v46, 24, 7
	v_cmp_ne_u32_e64 s[8:9], s40, v1
	v_mov_b32_e32 v0, 0x7f800001
	s_and_saveexec_b64 s[36:37], s[8:9]
	s_cbranch_execz .LBB376_130
; %bb.129:                              ;   in Loop: Header=BB376_13 Depth=1
	v_and_b32_e32 v0, 7, v56
	v_ffbh_u32_e32 v4, v0
	v_min_u32_e32 v4, 32, v4
	v_subrev_u32_e32 v10, 28, v4
	v_lshlrev_b64 v[12:13], v10, v[56:57]
	v_lshrrev_b32_e32 v3, 3, v1
	v_sub_u32_e32 v4, 29, v4
	v_and_b32_e32 v10, 7, v12
	v_cmp_gt_u32_e64 s[8:9], 8, v1
	v_cndmask_b32_e64 v1, v3, v4, s[8:9]
	v_cndmask_b32_e64 v0, v0, v10, s[8:9]
	v_lshlrev_b32_e32 v3, 24, v56
	v_bfrev_b32_e32 v2, 60
	v_lshlrev_b32_e32 v0, 20, v0
	v_and_b32_e32 v3, 0x80000000, v3
	v_lshl_add_u32 v1, v1, 23, v2
	v_or3_b32 v0, v3, v1, v0
.LBB376_130:                            ;   in Loop: Header=BB376_13 Depth=1
	s_or_b64 exec, exec, s[36:37]
.LBB376_131:                            ;   in Loop: Header=BB376_13 Depth=1
	s_or_b64 exec, exec, s[34:35]
.LBB376_132:                            ;   in Loop: Header=BB376_13 Depth=1
	s_or_b64 exec, exec, s[30:31]
	v_mul_f32_e32 v0, v31, v0
	v_and_b32_e32 v1, 0x7f800000, v0
	v_cmp_ne_u32_e64 s[8:9], s41, v1
                                        ; implicit-def: $agpr56
	s_and_saveexec_b64 s[30:31], s[8:9]
	s_xor_b64 s[8:9], exec, s[30:31]
; %bb.133:                              ;   in Loop: Header=BB376_13 Depth=1
	v_bfe_u32 v1, v0, 16, 1
	v_add3_u32 v0, v0, v1, s42
	v_accvgpr_write_b32 a56, v0
                                        ; implicit-def: $vgpr0
; %bb.134:                              ;   in Loop: Header=BB376_13 Depth=1
	s_andn2_saveexec_b64 s[30:31], s[8:9]
; %bb.135:                              ;   in Loop: Header=BB376_13 Depth=1
	v_or_b32_e32 v1, 0x10000, v0
	v_cmp_eq_u32_sdwa s[8:9], v0, v5 src0_sel:WORD_0 src1_sel:DWORD
	v_cndmask_b32_e64 v0, v1, v0, s[8:9]
	v_accvgpr_write_b32 a56, v0
; %bb.136:                              ;   in Loop: Header=BB376_13 Depth=1
	s_or_b64 exec, exec, s[30:31]
	flat_load_dword v46, v[44:45] offset:520
	v_mov_b32_e32 v0, 0
	s_waitcnt vmcnt(0) lgkmcnt(0)
	v_cmp_ne_u16_sdwa s[8:9], v46, v5 src0_sel:BYTE_0 src1_sel:DWORD
	s_and_saveexec_b64 s[30:31], s[8:9]
	s_cbranch_execz .LBB376_142
; %bb.137:                              ;   in Loop: Header=BB376_13 Depth=1
	v_cmp_ne_u16_sdwa s[8:9], v46, s39 src0_sel:BYTE_0 src1_sel:DWORD
	v_bfrev_b32_e32 v0, 1
	s_and_saveexec_b64 s[34:35], s[8:9]
	s_cbranch_execz .LBB376_141
; %bb.138:                              ;   in Loop: Header=BB376_13 Depth=1
	v_and_b32_e32 v1, 0x7f, v46
	v_cmp_ne_u32_e64 s[8:9], s40, v1
	v_mov_b32_e32 v0, 0x7f800001
	s_and_saveexec_b64 s[36:37], s[8:9]
	s_cbranch_execz .LBB376_140
; %bb.139:                              ;   in Loop: Header=BB376_13 Depth=1
	v_and_b32_e32 v0, 7, v46
	v_ffbh_u32_e32 v4, v0
	v_min_u32_e32 v4, 32, v4
	v_subrev_u32_e32 v10, 28, v4
	v_lshlrev_b64 v[12:13], v10, v[46:47]
	v_lshrrev_b32_e32 v3, 3, v1
	v_sub_u32_e32 v4, 29, v4
	v_and_b32_e32 v10, 7, v12
	v_cmp_gt_u32_e64 s[8:9], 8, v1
	v_cndmask_b32_e64 v1, v3, v4, s[8:9]
	v_cndmask_b32_e64 v0, v0, v10, s[8:9]
	v_lshlrev_b32_e32 v3, 24, v46
	v_bfrev_b32_e32 v2, 60
	v_lshlrev_b32_e32 v0, 20, v0
	v_and_b32_e32 v3, 0x80000000, v3
	v_lshl_add_u32 v1, v1, 23, v2
	v_or3_b32 v0, v3, v1, v0
.LBB376_140:                            ;   in Loop: Header=BB376_13 Depth=1
	s_or_b64 exec, exec, s[36:37]
.LBB376_141:                            ;   in Loop: Header=BB376_13 Depth=1
	s_or_b64 exec, exec, s[34:35]
.LBB376_142:                            ;   in Loop: Header=BB376_13 Depth=1
	s_or_b64 exec, exec, s[30:31]
	v_mul_f32_e32 v0, v31, v0
	v_and_b32_e32 v1, 0x7f800000, v0
	v_cmp_ne_u32_e64 s[8:9], s41, v1
                                        ; implicit-def: $agpr57
	s_and_saveexec_b64 s[30:31], s[8:9]
	s_xor_b64 s[8:9], exec, s[30:31]
; %bb.143:                              ;   in Loop: Header=BB376_13 Depth=1
	v_bfe_u32 v1, v0, 16, 1
	v_add3_u32 v0, v0, v1, s42
	v_accvgpr_write_b32 a57, v0
                                        ; implicit-def: $vgpr0
; %bb.144:                              ;   in Loop: Header=BB376_13 Depth=1
	s_andn2_saveexec_b64 s[30:31], s[8:9]
; %bb.145:                              ;   in Loop: Header=BB376_13 Depth=1
	v_or_b32_e32 v1, 0x10000, v0
	v_cmp_eq_u32_sdwa s[8:9], v0, v5 src0_sel:WORD_0 src1_sel:DWORD
	v_cndmask_b32_e64 v0, v1, v0, s[8:9]
	v_accvgpr_write_b32 a57, v0
; %bb.146:                              ;   in Loop: Header=BB376_13 Depth=1
	s_or_b64 exec, exec, s[30:31]
	v_lshrrev_b16_e32 v56, 8, v46
	v_cmp_ne_u16_e64 s[8:9], 0, v56
	v_mov_b32_e32 v0, 0
	s_and_saveexec_b64 s[30:31], s[8:9]
	s_cbranch_execz .LBB376_152
; %bb.147:                              ;   in Loop: Header=BB376_13 Depth=1
	v_cmp_ne_u16_e64 s[8:9], s39, v56
	v_bfrev_b32_e32 v0, 1
	s_and_saveexec_b64 s[34:35], s[8:9]
	s_cbranch_execz .LBB376_151
; %bb.148:                              ;   in Loop: Header=BB376_13 Depth=1
	v_and_b32_e32 v1, 0x7f, v56
	v_cmp_ne_u32_e64 s[8:9], s40, v1
	v_mov_b32_e32 v0, 0x7f800001
	s_and_saveexec_b64 s[36:37], s[8:9]
	s_cbranch_execz .LBB376_150
; %bb.149:                              ;   in Loop: Header=BB376_13 Depth=1
	v_and_b32_e32 v0, 7, v56
	v_ffbh_u32_e32 v4, v0
	v_min_u32_e32 v4, 32, v4
	v_subrev_u32_e32 v10, 28, v4
	v_lshlrev_b64 v[12:13], v10, v[56:57]
	v_lshrrev_b32_e32 v3, 3, v1
	v_sub_u32_e32 v4, 29, v4
	v_and_b32_e32 v10, 7, v12
	v_cmp_gt_u32_e64 s[8:9], 8, v1
	v_cndmask_b32_e64 v1, v3, v4, s[8:9]
	v_cndmask_b32_e64 v0, v0, v10, s[8:9]
	v_lshlrev_b32_e32 v3, 16, v46
	v_bfrev_b32_e32 v2, 60
	v_lshlrev_b32_e32 v0, 20, v0
	v_and_b32_e32 v3, 0x80000000, v3
	v_lshl_add_u32 v1, v1, 23, v2
	v_or3_b32 v0, v3, v1, v0
.LBB376_150:                            ;   in Loop: Header=BB376_13 Depth=1
	s_or_b64 exec, exec, s[36:37]
.LBB376_151:                            ;   in Loop: Header=BB376_13 Depth=1
	s_or_b64 exec, exec, s[34:35]
.LBB376_152:                            ;   in Loop: Header=BB376_13 Depth=1
	s_or_b64 exec, exec, s[30:31]
	v_mul_f32_e32 v0, v31, v0
	v_and_b32_e32 v1, 0x7f800000, v0
	v_cmp_ne_u32_e64 s[8:9], s41, v1
                                        ; implicit-def: $agpr58
	s_and_saveexec_b64 s[30:31], s[8:9]
	s_xor_b64 s[8:9], exec, s[30:31]
; %bb.153:                              ;   in Loop: Header=BB376_13 Depth=1
	v_bfe_u32 v1, v0, 16, 1
	v_add3_u32 v0, v0, v1, s42
	v_accvgpr_write_b32 a58, v0
                                        ; implicit-def: $vgpr0
; %bb.154:                              ;   in Loop: Header=BB376_13 Depth=1
	s_andn2_saveexec_b64 s[30:31], s[8:9]
; %bb.155:                              ;   in Loop: Header=BB376_13 Depth=1
	v_or_b32_e32 v1, 0x10000, v0
	v_cmp_eq_u32_sdwa s[8:9], v0, v5 src0_sel:WORD_0 src1_sel:DWORD
	v_cndmask_b32_e64 v0, v1, v0, s[8:9]
	v_accvgpr_write_b32 a58, v0
; %bb.156:                              ;   in Loop: Header=BB376_13 Depth=1
	s_or_b64 exec, exec, s[30:31]
	v_lshrrev_b32_e32 v56, 16, v46
	v_cmp_ne_u16_sdwa s[8:9], v56, v5 src0_sel:BYTE_0 src1_sel:DWORD
	v_mov_b32_e32 v0, 0
	s_and_saveexec_b64 s[30:31], s[8:9]
	s_cbranch_execz .LBB376_162
; %bb.157:                              ;   in Loop: Header=BB376_13 Depth=1
	v_cmp_ne_u16_sdwa s[8:9], v56, s39 src0_sel:BYTE_0 src1_sel:DWORD
	v_bfrev_b32_e32 v0, 1
	s_and_saveexec_b64 s[34:35], s[8:9]
	s_cbranch_execz .LBB376_161
; %bb.158:                              ;   in Loop: Header=BB376_13 Depth=1
	v_bfe_u32 v1, v46, 16, 7
	v_cmp_ne_u32_e64 s[8:9], s40, v1
	v_mov_b32_e32 v0, 0x7f800001
	s_and_saveexec_b64 s[36:37], s[8:9]
	s_cbranch_execz .LBB376_160
; %bb.159:                              ;   in Loop: Header=BB376_13 Depth=1
	v_and_b32_e32 v0, 7, v56
	v_ffbh_u32_e32 v4, v0
	v_min_u32_e32 v4, 32, v4
	v_subrev_u32_e32 v10, 28, v4
	v_lshlrev_b64 v[12:13], v10, v[56:57]
	v_lshrrev_b32_e32 v3, 3, v1
	v_sub_u32_e32 v4, 29, v4
	v_and_b32_e32 v10, 7, v12
	v_cmp_gt_u32_e64 s[8:9], 8, v1
	v_cndmask_b32_e64 v1, v3, v4, s[8:9]
	v_cndmask_b32_e64 v0, v0, v10, s[8:9]
	v_lshlrev_b32_e32 v3, 24, v56
	v_bfrev_b32_e32 v2, 60
	v_lshlrev_b32_e32 v0, 20, v0
	v_and_b32_e32 v3, 0x80000000, v3
	v_lshl_add_u32 v1, v1, 23, v2
	v_or3_b32 v0, v3, v1, v0
.LBB376_160:                            ;   in Loop: Header=BB376_13 Depth=1
	s_or_b64 exec, exec, s[36:37]
.LBB376_161:                            ;   in Loop: Header=BB376_13 Depth=1
	s_or_b64 exec, exec, s[34:35]
.LBB376_162:                            ;   in Loop: Header=BB376_13 Depth=1
	s_or_b64 exec, exec, s[30:31]
	v_mul_f32_e32 v0, v31, v0
	v_and_b32_e32 v1, 0x7f800000, v0
	v_cmp_ne_u32_e64 s[8:9], s41, v1
                                        ; implicit-def: $agpr59
	s_and_saveexec_b64 s[30:31], s[8:9]
	s_xor_b64 s[8:9], exec, s[30:31]
; %bb.163:                              ;   in Loop: Header=BB376_13 Depth=1
	v_bfe_u32 v1, v0, 16, 1
	v_add3_u32 v0, v0, v1, s42
	v_accvgpr_write_b32 a59, v0
                                        ; implicit-def: $vgpr0
; %bb.164:                              ;   in Loop: Header=BB376_13 Depth=1
	s_andn2_saveexec_b64 s[30:31], s[8:9]
; %bb.165:                              ;   in Loop: Header=BB376_13 Depth=1
	v_or_b32_e32 v1, 0x10000, v0
	v_cmp_eq_u32_sdwa s[8:9], v0, v5 src0_sel:WORD_0 src1_sel:DWORD
	v_cndmask_b32_e64 v0, v1, v0, s[8:9]
	v_accvgpr_write_b32 a59, v0
; %bb.166:                              ;   in Loop: Header=BB376_13 Depth=1
	s_or_b64 exec, exec, s[30:31]
	v_cmp_lt_u32_e64 s[8:9], s43, v46
	v_mov_b32_e32 v0, 0
	s_and_saveexec_b64 s[30:31], s[8:9]
	s_cbranch_execz .LBB376_172
; %bb.167:                              ;   in Loop: Header=BB376_13 Depth=1
	v_lshrrev_b32_e32 v56, 24, v46
	v_cmp_ne_u32_e64 s[8:9], s39, v56
	v_bfrev_b32_e32 v0, 1
	s_and_saveexec_b64 s[34:35], s[8:9]
	s_cbranch_execz .LBB376_171
; %bb.168:                              ;   in Loop: Header=BB376_13 Depth=1
	v_bfe_u32 v1, v46, 24, 7
	v_cmp_ne_u32_e64 s[8:9], s40, v1
	v_mov_b32_e32 v0, 0x7f800001
	s_and_saveexec_b64 s[36:37], s[8:9]
	s_cbranch_execz .LBB376_170
; %bb.169:                              ;   in Loop: Header=BB376_13 Depth=1
	v_and_b32_e32 v0, 7, v56
	v_ffbh_u32_e32 v4, v0
	v_min_u32_e32 v4, 32, v4
	v_subrev_u32_e32 v10, 28, v4
	v_lshlrev_b64 v[12:13], v10, v[56:57]
	v_lshrrev_b32_e32 v3, 3, v1
	v_sub_u32_e32 v4, 29, v4
	v_and_b32_e32 v10, 7, v12
	v_cmp_gt_u32_e64 s[8:9], 8, v1
	v_cndmask_b32_e64 v1, v3, v4, s[8:9]
	v_cndmask_b32_e64 v0, v0, v10, s[8:9]
	v_lshlrev_b32_e32 v3, 24, v56
	v_bfrev_b32_e32 v2, 60
	v_lshlrev_b32_e32 v0, 20, v0
	v_and_b32_e32 v3, 0x80000000, v3
	v_lshl_add_u32 v1, v1, 23, v2
	v_or3_b32 v0, v3, v1, v0
.LBB376_170:                            ;   in Loop: Header=BB376_13 Depth=1
	s_or_b64 exec, exec, s[36:37]
.LBB376_171:                            ;   in Loop: Header=BB376_13 Depth=1
	s_or_b64 exec, exec, s[34:35]
.LBB376_172:                            ;   in Loop: Header=BB376_13 Depth=1
	s_or_b64 exec, exec, s[30:31]
	v_mul_f32_e32 v0, v31, v0
	v_and_b32_e32 v1, 0x7f800000, v0
	v_cmp_ne_u32_e64 s[8:9], s41, v1
                                        ; implicit-def: $agpr60
	s_and_saveexec_b64 s[30:31], s[8:9]
	s_xor_b64 s[8:9], exec, s[30:31]
; %bb.173:                              ;   in Loop: Header=BB376_13 Depth=1
	v_bfe_u32 v1, v0, 16, 1
	v_add3_u32 v0, v0, v1, s42
	v_accvgpr_write_b32 a60, v0
                                        ; implicit-def: $vgpr0
; %bb.174:                              ;   in Loop: Header=BB376_13 Depth=1
	s_andn2_saveexec_b64 s[30:31], s[8:9]
; %bb.175:                              ;   in Loop: Header=BB376_13 Depth=1
	v_or_b32_e32 v1, 0x10000, v0
	v_cmp_eq_u32_sdwa s[8:9], v0, v5 src0_sel:WORD_0 src1_sel:DWORD
	v_cndmask_b32_e64 v0, v1, v0, s[8:9]
	v_accvgpr_write_b32 a60, v0
; %bb.176:                              ;   in Loop: Header=BB376_13 Depth=1
	s_or_b64 exec, exec, s[30:31]
	flat_load_dword v46, v[44:45] offset:1024
	v_mov_b32_e32 v0, 0
	s_waitcnt vmcnt(0) lgkmcnt(0)
	v_cmp_ne_u16_sdwa s[8:9], v46, v5 src0_sel:BYTE_0 src1_sel:DWORD
	s_and_saveexec_b64 s[30:31], s[8:9]
	s_cbranch_execz .LBB376_182
; %bb.177:                              ;   in Loop: Header=BB376_13 Depth=1
	v_cmp_ne_u16_sdwa s[8:9], v46, s39 src0_sel:BYTE_0 src1_sel:DWORD
	v_bfrev_b32_e32 v0, 1
	s_and_saveexec_b64 s[34:35], s[8:9]
	s_cbranch_execz .LBB376_181
; %bb.178:                              ;   in Loop: Header=BB376_13 Depth=1
	v_and_b32_e32 v1, 0x7f, v46
	v_cmp_ne_u32_e64 s[8:9], s40, v1
	v_mov_b32_e32 v0, 0x7f800001
	s_and_saveexec_b64 s[36:37], s[8:9]
	s_cbranch_execz .LBB376_180
; %bb.179:                              ;   in Loop: Header=BB376_13 Depth=1
	v_and_b32_e32 v0, 7, v46
	v_ffbh_u32_e32 v4, v0
	v_min_u32_e32 v4, 32, v4
	v_subrev_u32_e32 v10, 28, v4
	v_lshlrev_b64 v[12:13], v10, v[46:47]
	v_lshrrev_b32_e32 v3, 3, v1
	v_sub_u32_e32 v4, 29, v4
	v_and_b32_e32 v10, 7, v12
	v_cmp_gt_u32_e64 s[8:9], 8, v1
	v_cndmask_b32_e64 v1, v3, v4, s[8:9]
	v_cndmask_b32_e64 v0, v0, v10, s[8:9]
	v_lshlrev_b32_e32 v3, 24, v46
	v_bfrev_b32_e32 v2, 60
	v_lshlrev_b32_e32 v0, 20, v0
	v_and_b32_e32 v3, 0x80000000, v3
	v_lshl_add_u32 v1, v1, 23, v2
	v_or3_b32 v0, v3, v1, v0
.LBB376_180:                            ;   in Loop: Header=BB376_13 Depth=1
	s_or_b64 exec, exec, s[36:37]
.LBB376_181:                            ;   in Loop: Header=BB376_13 Depth=1
	s_or_b64 exec, exec, s[34:35]
.LBB376_182:                            ;   in Loop: Header=BB376_13 Depth=1
	s_or_b64 exec, exec, s[30:31]
	v_mul_f32_e32 v0, v31, v0
	v_and_b32_e32 v1, 0x7f800000, v0
	v_cmp_ne_u32_e64 s[8:9], s41, v1
                                        ; implicit-def: $agpr61
	s_and_saveexec_b64 s[30:31], s[8:9]
	s_xor_b64 s[8:9], exec, s[30:31]
; %bb.183:                              ;   in Loop: Header=BB376_13 Depth=1
	v_bfe_u32 v1, v0, 16, 1
	v_add3_u32 v0, v0, v1, s42
	v_accvgpr_write_b32 a61, v0
                                        ; implicit-def: $vgpr0
; %bb.184:                              ;   in Loop: Header=BB376_13 Depth=1
	s_andn2_saveexec_b64 s[30:31], s[8:9]
; %bb.185:                              ;   in Loop: Header=BB376_13 Depth=1
	v_or_b32_e32 v1, 0x10000, v0
	v_cmp_eq_u32_sdwa s[8:9], v0, v5 src0_sel:WORD_0 src1_sel:DWORD
	v_cndmask_b32_e64 v0, v1, v0, s[8:9]
	v_accvgpr_write_b32 a61, v0
; %bb.186:                              ;   in Loop: Header=BB376_13 Depth=1
	s_or_b64 exec, exec, s[30:31]
	v_lshrrev_b16_e32 v56, 8, v46
	v_cmp_ne_u16_e64 s[8:9], 0, v56
	v_mov_b32_e32 v0, 0
	s_and_saveexec_b64 s[30:31], s[8:9]
	s_cbranch_execz .LBB376_192
; %bb.187:                              ;   in Loop: Header=BB376_13 Depth=1
	v_cmp_ne_u16_e64 s[8:9], s39, v56
	v_bfrev_b32_e32 v0, 1
	s_and_saveexec_b64 s[34:35], s[8:9]
	s_cbranch_execz .LBB376_191
; %bb.188:                              ;   in Loop: Header=BB376_13 Depth=1
	v_and_b32_e32 v1, 0x7f, v56
	v_cmp_ne_u32_e64 s[8:9], s40, v1
	v_mov_b32_e32 v0, 0x7f800001
	s_and_saveexec_b64 s[36:37], s[8:9]
	s_cbranch_execz .LBB376_190
; %bb.189:                              ;   in Loop: Header=BB376_13 Depth=1
	v_and_b32_e32 v0, 7, v56
	v_ffbh_u32_e32 v4, v0
	v_min_u32_e32 v4, 32, v4
	v_subrev_u32_e32 v10, 28, v4
	v_lshlrev_b64 v[12:13], v10, v[56:57]
	v_lshrrev_b32_e32 v3, 3, v1
	v_sub_u32_e32 v4, 29, v4
	v_and_b32_e32 v10, 7, v12
	v_cmp_gt_u32_e64 s[8:9], 8, v1
	v_cndmask_b32_e64 v1, v3, v4, s[8:9]
	v_cndmask_b32_e64 v0, v0, v10, s[8:9]
	v_lshlrev_b32_e32 v3, 16, v46
	v_bfrev_b32_e32 v2, 60
	v_lshlrev_b32_e32 v0, 20, v0
	v_and_b32_e32 v3, 0x80000000, v3
	v_lshl_add_u32 v1, v1, 23, v2
	v_or3_b32 v0, v3, v1, v0
.LBB376_190:                            ;   in Loop: Header=BB376_13 Depth=1
	s_or_b64 exec, exec, s[36:37]
.LBB376_191:                            ;   in Loop: Header=BB376_13 Depth=1
	s_or_b64 exec, exec, s[34:35]
.LBB376_192:                            ;   in Loop: Header=BB376_13 Depth=1
	s_or_b64 exec, exec, s[30:31]
	v_mul_f32_e32 v0, v31, v0
	v_and_b32_e32 v1, 0x7f800000, v0
	v_cmp_ne_u32_e64 s[8:9], s41, v1
                                        ; implicit-def: $agpr62
	s_and_saveexec_b64 s[30:31], s[8:9]
	s_xor_b64 s[8:9], exec, s[30:31]
; %bb.193:                              ;   in Loop: Header=BB376_13 Depth=1
	v_bfe_u32 v1, v0, 16, 1
	v_add3_u32 v0, v0, v1, s42
	v_accvgpr_write_b32 a62, v0
                                        ; implicit-def: $vgpr0
; %bb.194:                              ;   in Loop: Header=BB376_13 Depth=1
	s_andn2_saveexec_b64 s[30:31], s[8:9]
; %bb.195:                              ;   in Loop: Header=BB376_13 Depth=1
	v_or_b32_e32 v1, 0x10000, v0
	v_cmp_eq_u32_sdwa s[8:9], v0, v5 src0_sel:WORD_0 src1_sel:DWORD
	v_cndmask_b32_e64 v0, v1, v0, s[8:9]
	v_accvgpr_write_b32 a62, v0
; %bb.196:                              ;   in Loop: Header=BB376_13 Depth=1
	s_or_b64 exec, exec, s[30:31]
	v_lshrrev_b32_e32 v56, 16, v46
	v_cmp_ne_u16_sdwa s[8:9], v56, v5 src0_sel:BYTE_0 src1_sel:DWORD
	v_mov_b32_e32 v0, 0
	s_and_saveexec_b64 s[30:31], s[8:9]
	s_cbranch_execz .LBB376_202
; %bb.197:                              ;   in Loop: Header=BB376_13 Depth=1
	v_cmp_ne_u16_sdwa s[8:9], v56, s39 src0_sel:BYTE_0 src1_sel:DWORD
	v_bfrev_b32_e32 v0, 1
	s_and_saveexec_b64 s[34:35], s[8:9]
	s_cbranch_execz .LBB376_201
; %bb.198:                              ;   in Loop: Header=BB376_13 Depth=1
	v_bfe_u32 v1, v46, 16, 7
	v_cmp_ne_u32_e64 s[8:9], s40, v1
	v_mov_b32_e32 v0, 0x7f800001
	s_and_saveexec_b64 s[36:37], s[8:9]
	s_cbranch_execz .LBB376_200
; %bb.199:                              ;   in Loop: Header=BB376_13 Depth=1
	v_and_b32_e32 v0, 7, v56
	v_ffbh_u32_e32 v4, v0
	v_min_u32_e32 v4, 32, v4
	v_subrev_u32_e32 v10, 28, v4
	v_lshlrev_b64 v[12:13], v10, v[56:57]
	v_lshrrev_b32_e32 v3, 3, v1
	v_sub_u32_e32 v4, 29, v4
	v_and_b32_e32 v10, 7, v12
	v_cmp_gt_u32_e64 s[8:9], 8, v1
	v_cndmask_b32_e64 v1, v3, v4, s[8:9]
	v_cndmask_b32_e64 v0, v0, v10, s[8:9]
	v_lshlrev_b32_e32 v3, 24, v56
	v_bfrev_b32_e32 v2, 60
	v_lshlrev_b32_e32 v0, 20, v0
	v_and_b32_e32 v3, 0x80000000, v3
	v_lshl_add_u32 v1, v1, 23, v2
	v_or3_b32 v0, v3, v1, v0
.LBB376_200:                            ;   in Loop: Header=BB376_13 Depth=1
	s_or_b64 exec, exec, s[36:37]
.LBB376_201:                            ;   in Loop: Header=BB376_13 Depth=1
	s_or_b64 exec, exec, s[34:35]
.LBB376_202:                            ;   in Loop: Header=BB376_13 Depth=1
	s_or_b64 exec, exec, s[30:31]
	v_mul_f32_e32 v0, v31, v0
	v_and_b32_e32 v1, 0x7f800000, v0
	v_cmp_ne_u32_e64 s[8:9], s41, v1
                                        ; implicit-def: $agpr63
	s_and_saveexec_b64 s[30:31], s[8:9]
	s_xor_b64 s[8:9], exec, s[30:31]
; %bb.203:                              ;   in Loop: Header=BB376_13 Depth=1
	v_bfe_u32 v1, v0, 16, 1
	v_add3_u32 v0, v0, v1, s42
	v_accvgpr_write_b32 a63, v0
                                        ; implicit-def: $vgpr0
; %bb.204:                              ;   in Loop: Header=BB376_13 Depth=1
	s_andn2_saveexec_b64 s[30:31], s[8:9]
; %bb.205:                              ;   in Loop: Header=BB376_13 Depth=1
	v_or_b32_e32 v1, 0x10000, v0
	v_cmp_eq_u32_sdwa s[8:9], v0, v5 src0_sel:WORD_0 src1_sel:DWORD
	v_cndmask_b32_e64 v0, v1, v0, s[8:9]
	v_accvgpr_write_b32 a63, v0
; %bb.206:                              ;   in Loop: Header=BB376_13 Depth=1
	s_or_b64 exec, exec, s[30:31]
	v_cmp_lt_u32_e64 s[8:9], s43, v46
	v_mov_b32_e32 v0, 0
	s_and_saveexec_b64 s[30:31], s[8:9]
	s_cbranch_execz .LBB376_212
; %bb.207:                              ;   in Loop: Header=BB376_13 Depth=1
	v_lshrrev_b32_e32 v56, 24, v46
	v_cmp_ne_u32_e64 s[8:9], s39, v56
	v_bfrev_b32_e32 v0, 1
	s_and_saveexec_b64 s[34:35], s[8:9]
	s_cbranch_execz .LBB376_211
; %bb.208:                              ;   in Loop: Header=BB376_13 Depth=1
	v_bfe_u32 v1, v46, 24, 7
	v_cmp_ne_u32_e64 s[8:9], s40, v1
	v_mov_b32_e32 v0, 0x7f800001
	s_and_saveexec_b64 s[36:37], s[8:9]
	s_cbranch_execz .LBB376_210
; %bb.209:                              ;   in Loop: Header=BB376_13 Depth=1
	v_and_b32_e32 v0, 7, v56
	v_ffbh_u32_e32 v4, v0
	v_min_u32_e32 v4, 32, v4
	v_subrev_u32_e32 v10, 28, v4
	v_lshlrev_b64 v[12:13], v10, v[56:57]
	v_lshrrev_b32_e32 v3, 3, v1
	v_sub_u32_e32 v4, 29, v4
	v_and_b32_e32 v10, 7, v12
	v_cmp_gt_u32_e64 s[8:9], 8, v1
	v_cndmask_b32_e64 v1, v3, v4, s[8:9]
	v_cndmask_b32_e64 v0, v0, v10, s[8:9]
	v_lshlrev_b32_e32 v3, 24, v56
	v_bfrev_b32_e32 v2, 60
	v_lshlrev_b32_e32 v0, 20, v0
	v_and_b32_e32 v3, 0x80000000, v3
	v_lshl_add_u32 v1, v1, 23, v2
	v_or3_b32 v0, v3, v1, v0
.LBB376_210:                            ;   in Loop: Header=BB376_13 Depth=1
	s_or_b64 exec, exec, s[36:37]
.LBB376_211:                            ;   in Loop: Header=BB376_13 Depth=1
	s_or_b64 exec, exec, s[34:35]
.LBB376_212:                            ;   in Loop: Header=BB376_13 Depth=1
	s_or_b64 exec, exec, s[30:31]
	v_mul_f32_e32 v0, v31, v0
	v_and_b32_e32 v1, 0x7f800000, v0
	v_cmp_ne_u32_e64 s[8:9], s41, v1
                                        ; implicit-def: $agpr27
	s_and_saveexec_b64 s[30:31], s[8:9]
	s_xor_b64 s[8:9], exec, s[30:31]
; %bb.213:                              ;   in Loop: Header=BB376_13 Depth=1
	v_bfe_u32 v1, v0, 16, 1
	v_add3_u32 v0, v0, v1, s42
	v_accvgpr_write_b32 a27, v0
                                        ; implicit-def: $vgpr0
; %bb.214:                              ;   in Loop: Header=BB376_13 Depth=1
	s_andn2_saveexec_b64 s[30:31], s[8:9]
; %bb.215:                              ;   in Loop: Header=BB376_13 Depth=1
	v_or_b32_e32 v1, 0x10000, v0
	v_cmp_eq_u32_sdwa s[8:9], v0, v5 src0_sel:WORD_0 src1_sel:DWORD
	v_cndmask_b32_e64 v0, v1, v0, s[8:9]
	v_accvgpr_write_b32 a27, v0
; %bb.216:                              ;   in Loop: Header=BB376_13 Depth=1
	s_or_b64 exec, exec, s[30:31]
	flat_load_dword v46, v[44:45] offset:1032
	v_mov_b32_e32 v0, 0
	s_waitcnt vmcnt(0) lgkmcnt(0)
	v_cmp_ne_u16_sdwa s[8:9], v46, v5 src0_sel:BYTE_0 src1_sel:DWORD
	s_and_saveexec_b64 s[30:31], s[8:9]
	s_cbranch_execz .LBB376_222
; %bb.217:                              ;   in Loop: Header=BB376_13 Depth=1
	v_cmp_ne_u16_sdwa s[8:9], v46, s39 src0_sel:BYTE_0 src1_sel:DWORD
	v_bfrev_b32_e32 v0, 1
	s_and_saveexec_b64 s[34:35], s[8:9]
	s_cbranch_execz .LBB376_221
; %bb.218:                              ;   in Loop: Header=BB376_13 Depth=1
	v_and_b32_e32 v1, 0x7f, v46
	v_cmp_ne_u32_e64 s[8:9], s40, v1
	v_mov_b32_e32 v0, 0x7f800001
	s_and_saveexec_b64 s[36:37], s[8:9]
	s_cbranch_execz .LBB376_220
; %bb.219:                              ;   in Loop: Header=BB376_13 Depth=1
	v_and_b32_e32 v0, 7, v46
	v_ffbh_u32_e32 v4, v0
	v_min_u32_e32 v4, 32, v4
	v_subrev_u32_e32 v10, 28, v4
	v_lshlrev_b64 v[12:13], v10, v[46:47]
	v_lshrrev_b32_e32 v3, 3, v1
	v_sub_u32_e32 v4, 29, v4
	v_and_b32_e32 v10, 7, v12
	v_cmp_gt_u32_e64 s[8:9], 8, v1
	v_cndmask_b32_e64 v1, v3, v4, s[8:9]
	v_cndmask_b32_e64 v0, v0, v10, s[8:9]
	v_lshlrev_b32_e32 v3, 24, v46
	v_bfrev_b32_e32 v2, 60
	v_lshlrev_b32_e32 v0, 20, v0
	v_and_b32_e32 v3, 0x80000000, v3
	v_lshl_add_u32 v1, v1, 23, v2
	v_or3_b32 v0, v3, v1, v0
.LBB376_220:                            ;   in Loop: Header=BB376_13 Depth=1
	s_or_b64 exec, exec, s[36:37]
.LBB376_221:                            ;   in Loop: Header=BB376_13 Depth=1
	s_or_b64 exec, exec, s[34:35]
.LBB376_222:                            ;   in Loop: Header=BB376_13 Depth=1
	s_or_b64 exec, exec, s[30:31]
	v_mul_f32_e32 v0, v31, v0
	v_and_b32_e32 v1, 0x7f800000, v0
	v_cmp_ne_u32_e64 s[8:9], s41, v1
                                        ; implicit-def: $agpr25
	s_and_saveexec_b64 s[30:31], s[8:9]
	s_xor_b64 s[8:9], exec, s[30:31]
; %bb.223:                              ;   in Loop: Header=BB376_13 Depth=1
	v_bfe_u32 v1, v0, 16, 1
	v_add3_u32 v0, v0, v1, s42
	v_accvgpr_write_b32 a25, v0
                                        ; implicit-def: $vgpr0
; %bb.224:                              ;   in Loop: Header=BB376_13 Depth=1
	s_andn2_saveexec_b64 s[30:31], s[8:9]
; %bb.225:                              ;   in Loop: Header=BB376_13 Depth=1
	v_or_b32_e32 v1, 0x10000, v0
	v_cmp_eq_u32_sdwa s[8:9], v0, v5 src0_sel:WORD_0 src1_sel:DWORD
	v_cndmask_b32_e64 v0, v1, v0, s[8:9]
	v_accvgpr_write_b32 a25, v0
; %bb.226:                              ;   in Loop: Header=BB376_13 Depth=1
	s_or_b64 exec, exec, s[30:31]
	v_lshrrev_b16_e32 v56, 8, v46
	v_cmp_ne_u16_e64 s[8:9], 0, v56
	v_mov_b32_e32 v0, 0
	s_and_saveexec_b64 s[30:31], s[8:9]
	s_cbranch_execz .LBB376_232
; %bb.227:                              ;   in Loop: Header=BB376_13 Depth=1
	v_cmp_ne_u16_e64 s[8:9], s39, v56
	v_bfrev_b32_e32 v0, 1
	s_and_saveexec_b64 s[34:35], s[8:9]
	s_cbranch_execz .LBB376_231
; %bb.228:                              ;   in Loop: Header=BB376_13 Depth=1
	v_and_b32_e32 v1, 0x7f, v56
	v_cmp_ne_u32_e64 s[8:9], s40, v1
	v_mov_b32_e32 v0, 0x7f800001
	s_and_saveexec_b64 s[36:37], s[8:9]
	s_cbranch_execz .LBB376_230
; %bb.229:                              ;   in Loop: Header=BB376_13 Depth=1
	v_and_b32_e32 v0, 7, v56
	v_ffbh_u32_e32 v4, v0
	v_min_u32_e32 v4, 32, v4
	v_subrev_u32_e32 v10, 28, v4
	v_lshlrev_b64 v[12:13], v10, v[56:57]
	v_lshrrev_b32_e32 v3, 3, v1
	v_sub_u32_e32 v4, 29, v4
	v_and_b32_e32 v10, 7, v12
	v_cmp_gt_u32_e64 s[8:9], 8, v1
	v_cndmask_b32_e64 v1, v3, v4, s[8:9]
	v_cndmask_b32_e64 v0, v0, v10, s[8:9]
	v_lshlrev_b32_e32 v3, 16, v46
	v_bfrev_b32_e32 v2, 60
	v_lshlrev_b32_e32 v0, 20, v0
	v_and_b32_e32 v3, 0x80000000, v3
	v_lshl_add_u32 v1, v1, 23, v2
	v_or3_b32 v0, v3, v1, v0
.LBB376_230:                            ;   in Loop: Header=BB376_13 Depth=1
	s_or_b64 exec, exec, s[36:37]
.LBB376_231:                            ;   in Loop: Header=BB376_13 Depth=1
	s_or_b64 exec, exec, s[34:35]
.LBB376_232:                            ;   in Loop: Header=BB376_13 Depth=1
	s_or_b64 exec, exec, s[30:31]
	v_mul_f32_e32 v0, v31, v0
	v_and_b32_e32 v1, 0x7f800000, v0
	v_cmp_ne_u32_e64 s[8:9], s41, v1
                                        ; implicit-def: $agpr30
	s_and_saveexec_b64 s[30:31], s[8:9]
	s_xor_b64 s[8:9], exec, s[30:31]
; %bb.233:                              ;   in Loop: Header=BB376_13 Depth=1
	v_bfe_u32 v1, v0, 16, 1
	v_add3_u32 v0, v0, v1, s42
	v_accvgpr_write_b32 a30, v0
                                        ; implicit-def: $vgpr0
; %bb.234:                              ;   in Loop: Header=BB376_13 Depth=1
	s_andn2_saveexec_b64 s[30:31], s[8:9]
; %bb.235:                              ;   in Loop: Header=BB376_13 Depth=1
	v_or_b32_e32 v1, 0x10000, v0
	v_cmp_eq_u32_sdwa s[8:9], v0, v5 src0_sel:WORD_0 src1_sel:DWORD
	v_cndmask_b32_e64 v0, v1, v0, s[8:9]
	v_accvgpr_write_b32 a30, v0
; %bb.236:                              ;   in Loop: Header=BB376_13 Depth=1
	s_or_b64 exec, exec, s[30:31]
	v_lshrrev_b32_e32 v56, 16, v46
	v_cmp_ne_u16_sdwa s[8:9], v56, v5 src0_sel:BYTE_0 src1_sel:DWORD
	v_mov_b32_e32 v0, 0
	s_and_saveexec_b64 s[30:31], s[8:9]
	s_cbranch_execz .LBB376_242
; %bb.237:                              ;   in Loop: Header=BB376_13 Depth=1
	v_cmp_ne_u16_sdwa s[8:9], v56, s39 src0_sel:BYTE_0 src1_sel:DWORD
	v_bfrev_b32_e32 v0, 1
	s_and_saveexec_b64 s[34:35], s[8:9]
	s_cbranch_execz .LBB376_241
; %bb.238:                              ;   in Loop: Header=BB376_13 Depth=1
	v_bfe_u32 v1, v46, 16, 7
	v_cmp_ne_u32_e64 s[8:9], s40, v1
	v_mov_b32_e32 v0, 0x7f800001
	s_and_saveexec_b64 s[36:37], s[8:9]
	s_cbranch_execz .LBB376_240
; %bb.239:                              ;   in Loop: Header=BB376_13 Depth=1
	v_and_b32_e32 v0, 7, v56
	v_ffbh_u32_e32 v4, v0
	v_min_u32_e32 v4, 32, v4
	v_subrev_u32_e32 v10, 28, v4
	v_lshlrev_b64 v[12:13], v10, v[56:57]
	v_lshrrev_b32_e32 v3, 3, v1
	v_sub_u32_e32 v4, 29, v4
	v_and_b32_e32 v10, 7, v12
	v_cmp_gt_u32_e64 s[8:9], 8, v1
	v_cndmask_b32_e64 v1, v3, v4, s[8:9]
	v_cndmask_b32_e64 v0, v0, v10, s[8:9]
	v_lshlrev_b32_e32 v3, 24, v56
	v_bfrev_b32_e32 v2, 60
	v_lshlrev_b32_e32 v0, 20, v0
	v_and_b32_e32 v3, 0x80000000, v3
	v_lshl_add_u32 v1, v1, 23, v2
	v_or3_b32 v0, v3, v1, v0
.LBB376_240:                            ;   in Loop: Header=BB376_13 Depth=1
	s_or_b64 exec, exec, s[36:37]
.LBB376_241:                            ;   in Loop: Header=BB376_13 Depth=1
	s_or_b64 exec, exec, s[34:35]
.LBB376_242:                            ;   in Loop: Header=BB376_13 Depth=1
	s_or_b64 exec, exec, s[30:31]
	v_mul_f32_e32 v0, v31, v0
	v_and_b32_e32 v1, 0x7f800000, v0
	v_cmp_ne_u32_e64 s[8:9], s41, v1
                                        ; implicit-def: $agpr31
	s_and_saveexec_b64 s[30:31], s[8:9]
	s_xor_b64 s[8:9], exec, s[30:31]
; %bb.243:                              ;   in Loop: Header=BB376_13 Depth=1
	v_bfe_u32 v1, v0, 16, 1
	v_add3_u32 v0, v0, v1, s42
	v_accvgpr_write_b32 a31, v0
                                        ; implicit-def: $vgpr0
; %bb.244:                              ;   in Loop: Header=BB376_13 Depth=1
	s_andn2_saveexec_b64 s[30:31], s[8:9]
; %bb.245:                              ;   in Loop: Header=BB376_13 Depth=1
	v_or_b32_e32 v1, 0x10000, v0
	v_cmp_eq_u32_sdwa s[8:9], v0, v5 src0_sel:WORD_0 src1_sel:DWORD
	v_cndmask_b32_e64 v0, v1, v0, s[8:9]
	v_accvgpr_write_b32 a31, v0
; %bb.246:                              ;   in Loop: Header=BB376_13 Depth=1
	s_or_b64 exec, exec, s[30:31]
	v_cmp_lt_u32_e64 s[8:9], s43, v46
	v_mov_b32_e32 v0, 0
	s_and_saveexec_b64 s[30:31], s[8:9]
	s_cbranch_execz .LBB376_252
; %bb.247:                              ;   in Loop: Header=BB376_13 Depth=1
	v_lshrrev_b32_e32 v56, 24, v46
	v_cmp_ne_u32_e64 s[8:9], s39, v56
	v_bfrev_b32_e32 v0, 1
	s_and_saveexec_b64 s[34:35], s[8:9]
	s_cbranch_execz .LBB376_251
; %bb.248:                              ;   in Loop: Header=BB376_13 Depth=1
	v_bfe_u32 v1, v46, 24, 7
	v_cmp_ne_u32_e64 s[8:9], s40, v1
	v_mov_b32_e32 v0, 0x7f800001
	s_and_saveexec_b64 s[36:37], s[8:9]
	s_cbranch_execz .LBB376_250
; %bb.249:                              ;   in Loop: Header=BB376_13 Depth=1
	v_and_b32_e32 v0, 7, v56
	v_ffbh_u32_e32 v4, v0
	v_min_u32_e32 v4, 32, v4
	v_subrev_u32_e32 v10, 28, v4
	v_lshlrev_b64 v[12:13], v10, v[56:57]
	v_lshrrev_b32_e32 v3, 3, v1
	v_sub_u32_e32 v4, 29, v4
	v_and_b32_e32 v10, 7, v12
	v_cmp_gt_u32_e64 s[8:9], 8, v1
	v_cndmask_b32_e64 v1, v3, v4, s[8:9]
	v_cndmask_b32_e64 v0, v0, v10, s[8:9]
	v_lshlrev_b32_e32 v3, 24, v56
	v_bfrev_b32_e32 v2, 60
	v_lshlrev_b32_e32 v0, 20, v0
	v_and_b32_e32 v3, 0x80000000, v3
	v_lshl_add_u32 v1, v1, 23, v2
	v_or3_b32 v0, v3, v1, v0
.LBB376_250:                            ;   in Loop: Header=BB376_13 Depth=1
	s_or_b64 exec, exec, s[36:37]
.LBB376_251:                            ;   in Loop: Header=BB376_13 Depth=1
	s_or_b64 exec, exec, s[34:35]
.LBB376_252:                            ;   in Loop: Header=BB376_13 Depth=1
	s_or_b64 exec, exec, s[30:31]
	v_mul_f32_e32 v0, v31, v0
	v_and_b32_e32 v1, 0x7f800000, v0
	v_cmp_ne_u32_e64 s[8:9], s41, v1
                                        ; implicit-def: $agpr32
	s_and_saveexec_b64 s[30:31], s[8:9]
	s_xor_b64 s[8:9], exec, s[30:31]
; %bb.253:                              ;   in Loop: Header=BB376_13 Depth=1
	v_bfe_u32 v1, v0, 16, 1
	v_add3_u32 v0, v0, v1, s42
	v_accvgpr_write_b32 a32, v0
                                        ; implicit-def: $vgpr0
; %bb.254:                              ;   in Loop: Header=BB376_13 Depth=1
	s_andn2_saveexec_b64 s[30:31], s[8:9]
; %bb.255:                              ;   in Loop: Header=BB376_13 Depth=1
	v_or_b32_e32 v1, 0x10000, v0
	v_cmp_eq_u32_sdwa s[8:9], v0, v5 src0_sel:WORD_0 src1_sel:DWORD
	v_cndmask_b32_e64 v0, v1, v0, s[8:9]
	v_accvgpr_write_b32 a32, v0
; %bb.256:                              ;   in Loop: Header=BB376_13 Depth=1
	s_or_b64 exec, exec, s[30:31]
	flat_load_dword v46, v[44:45] offset:1536
	v_mov_b32_e32 v0, 0
	s_waitcnt vmcnt(0) lgkmcnt(0)
	v_cmp_ne_u16_sdwa s[8:9], v46, v5 src0_sel:BYTE_0 src1_sel:DWORD
	s_and_saveexec_b64 s[30:31], s[8:9]
	s_cbranch_execz .LBB376_262
; %bb.257:                              ;   in Loop: Header=BB376_13 Depth=1
	v_cmp_ne_u16_sdwa s[8:9], v46, s39 src0_sel:BYTE_0 src1_sel:DWORD
	v_bfrev_b32_e32 v0, 1
	s_and_saveexec_b64 s[34:35], s[8:9]
	s_cbranch_execz .LBB376_261
; %bb.258:                              ;   in Loop: Header=BB376_13 Depth=1
	v_and_b32_e32 v1, 0x7f, v46
	v_cmp_ne_u32_e64 s[8:9], s40, v1
	v_mov_b32_e32 v0, 0x7f800001
	s_and_saveexec_b64 s[36:37], s[8:9]
	s_cbranch_execz .LBB376_260
; %bb.259:                              ;   in Loop: Header=BB376_13 Depth=1
	v_and_b32_e32 v0, 7, v46
	v_ffbh_u32_e32 v4, v0
	v_min_u32_e32 v4, 32, v4
	v_subrev_u32_e32 v10, 28, v4
	v_lshlrev_b64 v[12:13], v10, v[46:47]
	v_lshrrev_b32_e32 v3, 3, v1
	v_sub_u32_e32 v4, 29, v4
	v_and_b32_e32 v10, 7, v12
	v_cmp_gt_u32_e64 s[8:9], 8, v1
	v_cndmask_b32_e64 v1, v3, v4, s[8:9]
	v_cndmask_b32_e64 v0, v0, v10, s[8:9]
	v_lshlrev_b32_e32 v3, 24, v46
	v_bfrev_b32_e32 v2, 60
	v_lshlrev_b32_e32 v0, 20, v0
	v_and_b32_e32 v3, 0x80000000, v3
	v_lshl_add_u32 v1, v1, 23, v2
	v_or3_b32 v0, v3, v1, v0
.LBB376_260:                            ;   in Loop: Header=BB376_13 Depth=1
	s_or_b64 exec, exec, s[36:37]
.LBB376_261:                            ;   in Loop: Header=BB376_13 Depth=1
	s_or_b64 exec, exec, s[34:35]
.LBB376_262:                            ;   in Loop: Header=BB376_13 Depth=1
	s_or_b64 exec, exec, s[30:31]
	v_mul_f32_e32 v0, v31, v0
	v_and_b32_e32 v1, 0x7f800000, v0
	v_cmp_ne_u32_e64 s[8:9], s41, v1
                                        ; implicit-def: $agpr28
	s_and_saveexec_b64 s[30:31], s[8:9]
	s_xor_b64 s[8:9], exec, s[30:31]
; %bb.263:                              ;   in Loop: Header=BB376_13 Depth=1
	v_bfe_u32 v1, v0, 16, 1
	v_add3_u32 v0, v0, v1, s42
	v_accvgpr_write_b32 a28, v0
                                        ; implicit-def: $vgpr0
; %bb.264:                              ;   in Loop: Header=BB376_13 Depth=1
	s_andn2_saveexec_b64 s[30:31], s[8:9]
; %bb.265:                              ;   in Loop: Header=BB376_13 Depth=1
	v_or_b32_e32 v1, 0x10000, v0
	v_cmp_eq_u32_sdwa s[8:9], v0, v5 src0_sel:WORD_0 src1_sel:DWORD
	v_cndmask_b32_e64 v0, v1, v0, s[8:9]
	v_accvgpr_write_b32 a28, v0
; %bb.266:                              ;   in Loop: Header=BB376_13 Depth=1
	s_or_b64 exec, exec, s[30:31]
	v_lshrrev_b16_e32 v56, 8, v46
	v_cmp_ne_u16_e64 s[8:9], 0, v56
	v_mov_b32_e32 v0, 0
	s_and_saveexec_b64 s[30:31], s[8:9]
	s_cbranch_execz .LBB376_272
; %bb.267:                              ;   in Loop: Header=BB376_13 Depth=1
	v_cmp_ne_u16_e64 s[8:9], s39, v56
	v_bfrev_b32_e32 v0, 1
	s_and_saveexec_b64 s[34:35], s[8:9]
	s_cbranch_execz .LBB376_271
; %bb.268:                              ;   in Loop: Header=BB376_13 Depth=1
	v_and_b32_e32 v1, 0x7f, v56
	v_cmp_ne_u32_e64 s[8:9], s40, v1
	v_mov_b32_e32 v0, 0x7f800001
	s_and_saveexec_b64 s[36:37], s[8:9]
	s_cbranch_execz .LBB376_270
; %bb.269:                              ;   in Loop: Header=BB376_13 Depth=1
	v_and_b32_e32 v0, 7, v56
	v_ffbh_u32_e32 v4, v0
	v_min_u32_e32 v4, 32, v4
	v_subrev_u32_e32 v12, 28, v4
	v_lshlrev_b64 v[12:13], v12, v[56:57]
	v_lshrrev_b32_e32 v3, 3, v1
	v_sub_u32_e32 v4, 29, v4
	v_and_b32_e32 v12, 7, v12
	v_cmp_gt_u32_e64 s[8:9], 8, v1
	v_cndmask_b32_e64 v1, v3, v4, s[8:9]
	v_cndmask_b32_e64 v0, v0, v12, s[8:9]
	v_lshlrev_b32_e32 v3, 16, v46
	v_bfrev_b32_e32 v2, 60
	v_lshlrev_b32_e32 v0, 20, v0
	v_and_b32_e32 v3, 0x80000000, v3
	v_lshl_add_u32 v1, v1, 23, v2
	v_or3_b32 v0, v3, v1, v0
.LBB376_270:                            ;   in Loop: Header=BB376_13 Depth=1
	s_or_b64 exec, exec, s[36:37]
.LBB376_271:                            ;   in Loop: Header=BB376_13 Depth=1
	s_or_b64 exec, exec, s[34:35]
.LBB376_272:                            ;   in Loop: Header=BB376_13 Depth=1
	s_or_b64 exec, exec, s[30:31]
	v_mul_f32_e32 v0, v31, v0
	v_and_b32_e32 v1, 0x7f800000, v0
	v_cmp_ne_u32_e64 s[8:9], s41, v1
                                        ; implicit-def: $agpr29
	s_and_saveexec_b64 s[30:31], s[8:9]
	s_xor_b64 s[8:9], exec, s[30:31]
; %bb.273:                              ;   in Loop: Header=BB376_13 Depth=1
	v_bfe_u32 v1, v0, 16, 1
	v_add3_u32 v0, v0, v1, s42
	v_accvgpr_write_b32 a29, v0
                                        ; implicit-def: $vgpr0
; %bb.274:                              ;   in Loop: Header=BB376_13 Depth=1
	s_andn2_saveexec_b64 s[30:31], s[8:9]
; %bb.275:                              ;   in Loop: Header=BB376_13 Depth=1
	v_or_b32_e32 v1, 0x10000, v0
	v_cmp_eq_u32_sdwa s[8:9], v0, v5 src0_sel:WORD_0 src1_sel:DWORD
	v_cndmask_b32_e64 v0, v1, v0, s[8:9]
	v_accvgpr_write_b32 a29, v0
; %bb.276:                              ;   in Loop: Header=BB376_13 Depth=1
	s_or_b64 exec, exec, s[30:31]
	v_lshrrev_b32_e32 v56, 16, v46
	v_cmp_ne_u16_sdwa s[8:9], v56, v5 src0_sel:BYTE_0 src1_sel:DWORD
	v_mov_b32_e32 v0, 0
	s_and_saveexec_b64 s[30:31], s[8:9]
	s_cbranch_execz .LBB376_282
; %bb.277:                              ;   in Loop: Header=BB376_13 Depth=1
	v_cmp_ne_u16_sdwa s[8:9], v56, s39 src0_sel:BYTE_0 src1_sel:DWORD
	v_bfrev_b32_e32 v0, 1
	s_and_saveexec_b64 s[34:35], s[8:9]
	s_cbranch_execz .LBB376_281
; %bb.278:                              ;   in Loop: Header=BB376_13 Depth=1
	v_bfe_u32 v1, v46, 16, 7
	v_cmp_ne_u32_e64 s[8:9], s40, v1
	v_mov_b32_e32 v0, 0x7f800001
	s_and_saveexec_b64 s[36:37], s[8:9]
	s_cbranch_execz .LBB376_280
; %bb.279:                              ;   in Loop: Header=BB376_13 Depth=1
	v_and_b32_e32 v0, 7, v56
	v_ffbh_u32_e32 v4, v0
	v_min_u32_e32 v4, 32, v4
	v_subrev_u32_e32 v12, 28, v4
	v_lshlrev_b64 v[12:13], v12, v[56:57]
	v_lshrrev_b32_e32 v3, 3, v1
	v_sub_u32_e32 v4, 29, v4
	v_and_b32_e32 v12, 7, v12
	v_cmp_gt_u32_e64 s[8:9], 8, v1
	v_cndmask_b32_e64 v1, v3, v4, s[8:9]
	v_cndmask_b32_e64 v0, v0, v12, s[8:9]
	v_lshlrev_b32_e32 v3, 24, v56
	v_bfrev_b32_e32 v2, 60
	v_lshlrev_b32_e32 v0, 20, v0
	v_and_b32_e32 v3, 0x80000000, v3
	v_lshl_add_u32 v1, v1, 23, v2
	v_or3_b32 v0, v3, v1, v0
.LBB376_280:                            ;   in Loop: Header=BB376_13 Depth=1
	s_or_b64 exec, exec, s[36:37]
.LBB376_281:                            ;   in Loop: Header=BB376_13 Depth=1
	s_or_b64 exec, exec, s[34:35]
.LBB376_282:                            ;   in Loop: Header=BB376_13 Depth=1
	s_or_b64 exec, exec, s[30:31]
	v_mul_f32_e32 v0, v31, v0
	v_and_b32_e32 v1, 0x7f800000, v0
	v_cmp_ne_u32_e64 s[8:9], s41, v1
                                        ; implicit-def: $agpr26
	s_and_saveexec_b64 s[30:31], s[8:9]
	s_xor_b64 s[8:9], exec, s[30:31]
; %bb.283:                              ;   in Loop: Header=BB376_13 Depth=1
	v_bfe_u32 v1, v0, 16, 1
	v_add3_u32 v0, v0, v1, s42
	v_accvgpr_write_b32 a26, v0
                                        ; implicit-def: $vgpr0
; %bb.284:                              ;   in Loop: Header=BB376_13 Depth=1
	s_andn2_saveexec_b64 s[30:31], s[8:9]
; %bb.285:                              ;   in Loop: Header=BB376_13 Depth=1
	v_or_b32_e32 v1, 0x10000, v0
	v_cmp_eq_u32_sdwa s[8:9], v0, v5 src0_sel:WORD_0 src1_sel:DWORD
	v_cndmask_b32_e64 v0, v1, v0, s[8:9]
	v_accvgpr_write_b32 a26, v0
; %bb.286:                              ;   in Loop: Header=BB376_13 Depth=1
	s_or_b64 exec, exec, s[30:31]
	v_cmp_lt_u32_e64 s[8:9], s43, v46
	v_mov_b32_e32 v0, 0
	s_and_saveexec_b64 s[30:31], s[8:9]
	s_cbranch_execz .LBB376_292
; %bb.287:                              ;   in Loop: Header=BB376_13 Depth=1
	v_lshrrev_b32_e32 v56, 24, v46
	v_cmp_ne_u32_e64 s[8:9], s39, v56
	v_bfrev_b32_e32 v0, 1
	s_and_saveexec_b64 s[34:35], s[8:9]
	s_cbranch_execz .LBB376_291
; %bb.288:                              ;   in Loop: Header=BB376_13 Depth=1
	v_bfe_u32 v1, v46, 24, 7
	v_cmp_ne_u32_e64 s[8:9], s40, v1
	v_mov_b32_e32 v0, 0x7f800001
	s_and_saveexec_b64 s[36:37], s[8:9]
	s_cbranch_execz .LBB376_290
; %bb.289:                              ;   in Loop: Header=BB376_13 Depth=1
	v_and_b32_e32 v0, 7, v56
	v_ffbh_u32_e32 v4, v0
	v_min_u32_e32 v4, 32, v4
	v_subrev_u32_e32 v12, 28, v4
	v_lshlrev_b64 v[12:13], v12, v[56:57]
	v_lshrrev_b32_e32 v3, 3, v1
	v_sub_u32_e32 v4, 29, v4
	v_and_b32_e32 v12, 7, v12
	v_cmp_gt_u32_e64 s[8:9], 8, v1
	v_cndmask_b32_e64 v1, v3, v4, s[8:9]
	v_cndmask_b32_e64 v0, v0, v12, s[8:9]
	v_lshlrev_b32_e32 v3, 24, v56
	v_bfrev_b32_e32 v2, 60
	v_lshlrev_b32_e32 v0, 20, v0
	v_and_b32_e32 v3, 0x80000000, v3
	v_lshl_add_u32 v1, v1, 23, v2
	v_or3_b32 v0, v3, v1, v0
.LBB376_290:                            ;   in Loop: Header=BB376_13 Depth=1
	s_or_b64 exec, exec, s[36:37]
.LBB376_291:                            ;   in Loop: Header=BB376_13 Depth=1
	s_or_b64 exec, exec, s[34:35]
.LBB376_292:                            ;   in Loop: Header=BB376_13 Depth=1
	s_or_b64 exec, exec, s[30:31]
	v_mul_f32_e32 v0, v31, v0
	v_and_b32_e32 v1, 0x7f800000, v0
	v_cmp_ne_u32_e64 s[8:9], s41, v1
                                        ; implicit-def: $agpr36
	s_and_saveexec_b64 s[30:31], s[8:9]
	s_xor_b64 s[8:9], exec, s[30:31]
; %bb.293:                              ;   in Loop: Header=BB376_13 Depth=1
	v_bfe_u32 v1, v0, 16, 1
	v_add3_u32 v0, v0, v1, s42
	v_accvgpr_write_b32 a36, v0
                                        ; implicit-def: $vgpr0
; %bb.294:                              ;   in Loop: Header=BB376_13 Depth=1
	s_andn2_saveexec_b64 s[30:31], s[8:9]
; %bb.295:                              ;   in Loop: Header=BB376_13 Depth=1
	v_or_b32_e32 v1, 0x10000, v0
	v_cmp_eq_u32_sdwa s[8:9], v0, v5 src0_sel:WORD_0 src1_sel:DWORD
	v_cndmask_b32_e64 v0, v1, v0, s[8:9]
	v_accvgpr_write_b32 a36, v0
; %bb.296:                              ;   in Loop: Header=BB376_13 Depth=1
	s_or_b64 exec, exec, s[30:31]
	flat_load_dword v46, v[44:45] offset:1544
	v_mov_b32_e32 v0, 0
	s_waitcnt vmcnt(0) lgkmcnt(0)
	v_cmp_ne_u16_sdwa s[8:9], v46, v5 src0_sel:BYTE_0 src1_sel:DWORD
	s_and_saveexec_b64 s[30:31], s[8:9]
	s_cbranch_execz .LBB376_302
; %bb.297:                              ;   in Loop: Header=BB376_13 Depth=1
	v_cmp_ne_u16_sdwa s[8:9], v46, s39 src0_sel:BYTE_0 src1_sel:DWORD
	v_bfrev_b32_e32 v0, 1
	s_and_saveexec_b64 s[34:35], s[8:9]
	s_cbranch_execz .LBB376_301
; %bb.298:                              ;   in Loop: Header=BB376_13 Depth=1
	v_and_b32_e32 v1, 0x7f, v46
	v_cmp_ne_u32_e64 s[8:9], s40, v1
	v_mov_b32_e32 v0, 0x7f800001
	s_and_saveexec_b64 s[36:37], s[8:9]
	s_cbranch_execz .LBB376_300
; %bb.299:                              ;   in Loop: Header=BB376_13 Depth=1
	v_and_b32_e32 v0, 7, v46
	v_ffbh_u32_e32 v4, v0
	v_min_u32_e32 v4, 32, v4
	v_subrev_u32_e32 v12, 28, v4
	v_lshlrev_b64 v[12:13], v12, v[46:47]
	v_lshrrev_b32_e32 v3, 3, v1
	v_sub_u32_e32 v4, 29, v4
	v_and_b32_e32 v12, 7, v12
	v_cmp_gt_u32_e64 s[8:9], 8, v1
	v_cndmask_b32_e64 v1, v3, v4, s[8:9]
	v_cndmask_b32_e64 v0, v0, v12, s[8:9]
	v_lshlrev_b32_e32 v3, 24, v46
	v_bfrev_b32_e32 v2, 60
	v_lshlrev_b32_e32 v0, 20, v0
	v_and_b32_e32 v3, 0x80000000, v3
	v_lshl_add_u32 v1, v1, 23, v2
	v_or3_b32 v0, v3, v1, v0
.LBB376_300:                            ;   in Loop: Header=BB376_13 Depth=1
	s_or_b64 exec, exec, s[36:37]
.LBB376_301:                            ;   in Loop: Header=BB376_13 Depth=1
	s_or_b64 exec, exec, s[34:35]
.LBB376_302:                            ;   in Loop: Header=BB376_13 Depth=1
	s_or_b64 exec, exec, s[30:31]
	v_mul_f32_e32 v0, v31, v0
	v_and_b32_e32 v1, 0x7f800000, v0
	v_cmp_ne_u32_e64 s[8:9], s41, v1
                                        ; implicit-def: $vgpr12
	s_and_saveexec_b64 s[30:31], s[8:9]
	s_xor_b64 s[8:9], exec, s[30:31]
; %bb.303:                              ;   in Loop: Header=BB376_13 Depth=1
	v_bfe_u32 v1, v0, 16, 1
	v_add3_u32 v12, v0, v1, s42
                                        ; implicit-def: $vgpr0
; %bb.304:                              ;   in Loop: Header=BB376_13 Depth=1
	s_andn2_saveexec_b64 s[30:31], s[8:9]
; %bb.305:                              ;   in Loop: Header=BB376_13 Depth=1
	v_or_b32_e32 v1, 0x10000, v0
	v_cmp_eq_u32_sdwa s[8:9], v0, v5 src0_sel:WORD_0 src1_sel:DWORD
	v_cndmask_b32_e64 v12, v1, v0, s[8:9]
; %bb.306:                              ;   in Loop: Header=BB376_13 Depth=1
	s_or_b64 exec, exec, s[30:31]
	v_lshrrev_b16_e32 v56, 8, v46
	v_cmp_ne_u16_e64 s[8:9], 0, v56
	v_mov_b32_e32 v0, 0
	s_and_saveexec_b64 s[30:31], s[8:9]
	s_cbranch_execz .LBB376_312
; %bb.307:                              ;   in Loop: Header=BB376_13 Depth=1
	v_cmp_ne_u16_e64 s[8:9], s39, v56
	v_bfrev_b32_e32 v0, 1
	s_and_saveexec_b64 s[34:35], s[8:9]
	s_cbranch_execz .LBB376_311
; %bb.308:                              ;   in Loop: Header=BB376_13 Depth=1
	v_and_b32_e32 v1, 0x7f, v56
	v_cmp_ne_u32_e64 s[8:9], s40, v1
	v_mov_b32_e32 v0, 0x7f800001
	s_and_saveexec_b64 s[36:37], s[8:9]
	s_cbranch_execz .LBB376_310
; %bb.309:                              ;   in Loop: Header=BB376_13 Depth=1
	v_and_b32_e32 v0, 7, v56
	v_ffbh_u32_e32 v4, v0
	v_min_u32_e32 v4, 32, v4
	v_subrev_u32_e32 v13, 28, v4
	v_lshlrev_b64 v[20:21], v13, v[56:57]
	v_lshrrev_b32_e32 v3, 3, v1
	v_sub_u32_e32 v4, 29, v4
	v_and_b32_e32 v13, 7, v20
	v_cmp_gt_u32_e64 s[8:9], 8, v1
	v_cndmask_b32_e64 v1, v3, v4, s[8:9]
	v_cndmask_b32_e64 v0, v0, v13, s[8:9]
	v_lshlrev_b32_e32 v3, 16, v46
	v_bfrev_b32_e32 v2, 60
	v_lshlrev_b32_e32 v0, 20, v0
	v_and_b32_e32 v3, 0x80000000, v3
	v_lshl_add_u32 v1, v1, 23, v2
	v_or3_b32 v0, v3, v1, v0
.LBB376_310:                            ;   in Loop: Header=BB376_13 Depth=1
	s_or_b64 exec, exec, s[36:37]
.LBB376_311:                            ;   in Loop: Header=BB376_13 Depth=1
	s_or_b64 exec, exec, s[34:35]
.LBB376_312:                            ;   in Loop: Header=BB376_13 Depth=1
	s_or_b64 exec, exec, s[30:31]
	v_mul_f32_e32 v0, v31, v0
	v_and_b32_e32 v1, 0x7f800000, v0
	v_cmp_ne_u32_e64 s[8:9], s41, v1
                                        ; implicit-def: $vgpr53
	s_and_saveexec_b64 s[30:31], s[8:9]
	s_xor_b64 s[8:9], exec, s[30:31]
; %bb.313:                              ;   in Loop: Header=BB376_13 Depth=1
	v_bfe_u32 v1, v0, 16, 1
	v_add3_u32 v53, v0, v1, s42
                                        ; implicit-def: $vgpr0
; %bb.314:                              ;   in Loop: Header=BB376_13 Depth=1
	s_andn2_saveexec_b64 s[30:31], s[8:9]
; %bb.315:                              ;   in Loop: Header=BB376_13 Depth=1
	v_or_b32_e32 v1, 0x10000, v0
	v_cmp_eq_u32_sdwa s[8:9], v0, v5 src0_sel:WORD_0 src1_sel:DWORD
	v_cndmask_b32_e64 v53, v1, v0, s[8:9]
; %bb.316:                              ;   in Loop: Header=BB376_13 Depth=1
	s_or_b64 exec, exec, s[30:31]
	v_lshrrev_b32_e32 v56, 16, v46
	v_cmp_ne_u16_sdwa s[8:9], v56, v5 src0_sel:BYTE_0 src1_sel:DWORD
	v_mov_b32_e32 v0, 0
	s_and_saveexec_b64 s[30:31], s[8:9]
	s_cbranch_execz .LBB376_322
; %bb.317:                              ;   in Loop: Header=BB376_13 Depth=1
	v_cmp_ne_u16_sdwa s[8:9], v56, s39 src0_sel:BYTE_0 src1_sel:DWORD
	v_bfrev_b32_e32 v0, 1
	s_and_saveexec_b64 s[34:35], s[8:9]
	s_cbranch_execz .LBB376_321
; %bb.318:                              ;   in Loop: Header=BB376_13 Depth=1
	v_bfe_u32 v1, v46, 16, 7
	v_cmp_ne_u32_e64 s[8:9], s40, v1
	v_mov_b32_e32 v0, 0x7f800001
	s_and_saveexec_b64 s[36:37], s[8:9]
	s_cbranch_execz .LBB376_320
; %bb.319:                              ;   in Loop: Header=BB376_13 Depth=1
	v_and_b32_e32 v0, 7, v56
	v_ffbh_u32_e32 v4, v0
	v_min_u32_e32 v4, 32, v4
	v_subrev_u32_e32 v13, 28, v4
	v_lshlrev_b64 v[20:21], v13, v[56:57]
	v_lshrrev_b32_e32 v3, 3, v1
	v_sub_u32_e32 v4, 29, v4
	v_and_b32_e32 v13, 7, v20
	v_cmp_gt_u32_e64 s[8:9], 8, v1
	v_cndmask_b32_e64 v1, v3, v4, s[8:9]
	v_cndmask_b32_e64 v0, v0, v13, s[8:9]
	v_lshlrev_b32_e32 v3, 24, v56
	v_bfrev_b32_e32 v2, 60
	v_lshlrev_b32_e32 v0, 20, v0
	v_and_b32_e32 v3, 0x80000000, v3
	v_lshl_add_u32 v1, v1, 23, v2
	v_or3_b32 v0, v3, v1, v0
.LBB376_320:                            ;   in Loop: Header=BB376_13 Depth=1
	s_or_b64 exec, exec, s[36:37]
.LBB376_321:                            ;   in Loop: Header=BB376_13 Depth=1
	s_or_b64 exec, exec, s[34:35]
.LBB376_322:                            ;   in Loop: Header=BB376_13 Depth=1
	s_or_b64 exec, exec, s[30:31]
	v_mul_f32_e32 v0, v31, v0
	v_and_b32_e32 v1, 0x7f800000, v0
	v_cmp_ne_u32_e64 s[8:9], s41, v1
                                        ; implicit-def: $vgpr26
	s_and_saveexec_b64 s[30:31], s[8:9]
	s_xor_b64 s[8:9], exec, s[30:31]
; %bb.323:                              ;   in Loop: Header=BB376_13 Depth=1
	v_bfe_u32 v1, v0, 16, 1
	v_add3_u32 v26, v0, v1, s42
                                        ; implicit-def: $vgpr0
; %bb.324:                              ;   in Loop: Header=BB376_13 Depth=1
	s_andn2_saveexec_b64 s[30:31], s[8:9]
; %bb.325:                              ;   in Loop: Header=BB376_13 Depth=1
	v_or_b32_e32 v1, 0x10000, v0
	v_cmp_eq_u32_sdwa s[8:9], v0, v5 src0_sel:WORD_0 src1_sel:DWORD
	v_cndmask_b32_e64 v26, v1, v0, s[8:9]
; %bb.326:                              ;   in Loop: Header=BB376_13 Depth=1
	s_or_b64 exec, exec, s[30:31]
	v_cmp_lt_u32_e64 s[8:9], s43, v46
	v_mov_b32_e32 v0, 0
	s_and_saveexec_b64 s[30:31], s[8:9]
	s_cbranch_execz .LBB376_332
; %bb.327:                              ;   in Loop: Header=BB376_13 Depth=1
	v_lshrrev_b32_e32 v56, 24, v46
	v_cmp_ne_u32_e64 s[8:9], s39, v56
	v_bfrev_b32_e32 v0, 1
	s_and_saveexec_b64 s[34:35], s[8:9]
	s_cbranch_execz .LBB376_331
; %bb.328:                              ;   in Loop: Header=BB376_13 Depth=1
	v_bfe_u32 v1, v46, 24, 7
	v_cmp_ne_u32_e64 s[8:9], s40, v1
	v_mov_b32_e32 v0, 0x7f800001
	s_and_saveexec_b64 s[36:37], s[8:9]
	s_cbranch_execz .LBB376_330
; %bb.329:                              ;   in Loop: Header=BB376_13 Depth=1
	v_and_b32_e32 v0, 7, v56
	v_ffbh_u32_e32 v4, v0
	v_min_u32_e32 v4, 32, v4
	v_subrev_u32_e32 v13, 28, v4
	v_lshlrev_b64 v[20:21], v13, v[56:57]
	v_lshrrev_b32_e32 v3, 3, v1
	v_sub_u32_e32 v4, 29, v4
	v_and_b32_e32 v13, 7, v20
	v_cmp_gt_u32_e64 s[8:9], 8, v1
	v_cndmask_b32_e64 v1, v3, v4, s[8:9]
	v_cndmask_b32_e64 v0, v0, v13, s[8:9]
	v_lshlrev_b32_e32 v3, 24, v56
	v_bfrev_b32_e32 v2, 60
	v_lshlrev_b32_e32 v0, 20, v0
	v_and_b32_e32 v3, 0x80000000, v3
	v_lshl_add_u32 v1, v1, 23, v2
	v_or3_b32 v0, v3, v1, v0
.LBB376_330:                            ;   in Loop: Header=BB376_13 Depth=1
	s_or_b64 exec, exec, s[36:37]
.LBB376_331:                            ;   in Loop: Header=BB376_13 Depth=1
	s_or_b64 exec, exec, s[34:35]
.LBB376_332:                            ;   in Loop: Header=BB376_13 Depth=1
	s_or_b64 exec, exec, s[30:31]
	v_mul_f32_e32 v1, v31, v0
	v_and_b32_e32 v0, 0x7f800000, v1
	v_cmp_ne_u32_e64 s[8:9], s41, v0
                                        ; implicit-def: $vgpr0
	s_and_saveexec_b64 s[30:31], s[8:9]
	s_xor_b64 s[8:9], exec, s[30:31]
; %bb.333:                              ;   in Loop: Header=BB376_13 Depth=1
	v_bfe_u32 v0, v1, 16, 1
	v_add3_u32 v0, v1, v0, s42
                                        ; implicit-def: $vgpr1
; %bb.334:                              ;   in Loop: Header=BB376_13 Depth=1
	s_andn2_saveexec_b64 s[30:31], s[8:9]
; %bb.335:                              ;   in Loop: Header=BB376_13 Depth=1
	v_or_b32_e32 v0, 0x10000, v1
	v_cmp_eq_u32_sdwa s[8:9], v1, v5 src0_sel:WORD_0 src1_sel:DWORD
	v_cndmask_b32_e64 v0, v0, v1, s[8:9]
; %bb.336:                              ;   in Loop: Header=BB376_13 Depth=1
	s_or_b64 exec, exec, s[30:31]
	flat_load_dword v46, v[44:45] offset:2048
	v_mov_b32_e32 v1, 0
	s_waitcnt vmcnt(0) lgkmcnt(0)
	v_cmp_ne_u16_sdwa s[8:9], v46, v5 src0_sel:BYTE_0 src1_sel:DWORD
	s_and_saveexec_b64 s[30:31], s[8:9]
	s_cbranch_execz .LBB376_342
; %bb.337:                              ;   in Loop: Header=BB376_13 Depth=1
	v_cmp_ne_u16_sdwa s[8:9], v46, s39 src0_sel:BYTE_0 src1_sel:DWORD
	v_bfrev_b32_e32 v1, 1
	s_and_saveexec_b64 s[34:35], s[8:9]
	s_cbranch_execz .LBB376_341
; %bb.338:                              ;   in Loop: Header=BB376_13 Depth=1
	v_and_b32_e32 v3, 0x7f, v46
	v_cmp_ne_u32_e64 s[8:9], s40, v3
	v_mov_b32_e32 v1, 0x7f800001
	s_and_saveexec_b64 s[36:37], s[8:9]
	s_cbranch_execz .LBB376_340
; %bb.339:                              ;   in Loop: Header=BB376_13 Depth=1
	v_and_b32_e32 v1, 7, v46
	v_ffbh_u32_e32 v13, v1
	v_min_u32_e32 v13, 32, v13
	v_subrev_u32_e32 v20, 28, v13
	v_lshlrev_b64 v[20:21], v20, v[46:47]
	v_lshrrev_b32_e32 v4, 3, v3
	v_sub_u32_e32 v13, 29, v13
	v_and_b32_e32 v20, 7, v20
	v_cmp_gt_u32_e64 s[8:9], 8, v3
	v_cndmask_b32_e64 v3, v4, v13, s[8:9]
	v_cndmask_b32_e64 v1, v1, v20, s[8:9]
	v_lshlrev_b32_e32 v4, 24, v46
	v_bfrev_b32_e32 v2, 60
	v_lshlrev_b32_e32 v1, 20, v1
	v_and_b32_e32 v4, 0x80000000, v4
	v_lshl_add_u32 v3, v3, 23, v2
	v_or3_b32 v1, v4, v3, v1
.LBB376_340:                            ;   in Loop: Header=BB376_13 Depth=1
	s_or_b64 exec, exec, s[36:37]
.LBB376_341:                            ;   in Loop: Header=BB376_13 Depth=1
	s_or_b64 exec, exec, s[34:35]
.LBB376_342:                            ;   in Loop: Header=BB376_13 Depth=1
	s_or_b64 exec, exec, s[30:31]
	v_mul_f32_e32 v1, v31, v1
	v_and_b32_e32 v3, 0x7f800000, v1
	v_cmp_ne_u32_e64 s[8:9], s41, v3
                                        ; implicit-def: $vgpr27
	s_and_saveexec_b64 s[30:31], s[8:9]
	s_xor_b64 s[8:9], exec, s[30:31]
; %bb.343:                              ;   in Loop: Header=BB376_13 Depth=1
	v_bfe_u32 v3, v1, 16, 1
	v_add3_u32 v27, v1, v3, s42
                                        ; implicit-def: $vgpr1
; %bb.344:                              ;   in Loop: Header=BB376_13 Depth=1
	s_andn2_saveexec_b64 s[30:31], s[8:9]
; %bb.345:                              ;   in Loop: Header=BB376_13 Depth=1
	v_or_b32_e32 v3, 0x10000, v1
	v_cmp_eq_u32_sdwa s[8:9], v1, v5 src0_sel:WORD_0 src1_sel:DWORD
	v_cndmask_b32_e64 v27, v3, v1, s[8:9]
; %bb.346:                              ;   in Loop: Header=BB376_13 Depth=1
	s_or_b64 exec, exec, s[30:31]
	v_lshrrev_b16_e32 v56, 8, v46
	v_cmp_ne_u16_e64 s[8:9], 0, v56
	v_mov_b32_e32 v1, 0
	s_and_saveexec_b64 s[30:31], s[8:9]
	s_cbranch_execz .LBB376_352
; %bb.347:                              ;   in Loop: Header=BB376_13 Depth=1
	v_cmp_ne_u16_e64 s[8:9], s39, v56
	v_bfrev_b32_e32 v1, 1
	s_and_saveexec_b64 s[34:35], s[8:9]
	s_cbranch_execz .LBB376_351
; %bb.348:                              ;   in Loop: Header=BB376_13 Depth=1
	v_and_b32_e32 v3, 0x7f, v56
	v_cmp_ne_u32_e64 s[8:9], s40, v3
	v_mov_b32_e32 v1, 0x7f800001
	s_and_saveexec_b64 s[36:37], s[8:9]
	s_cbranch_execz .LBB376_350
; %bb.349:                              ;   in Loop: Header=BB376_13 Depth=1
	v_and_b32_e32 v1, 7, v56
	v_ffbh_u32_e32 v13, v1
	v_min_u32_e32 v13, 32, v13
	v_subrev_u32_e32 v20, 28, v13
	v_lshlrev_b64 v[20:21], v20, v[56:57]
	v_lshrrev_b32_e32 v4, 3, v3
	v_sub_u32_e32 v13, 29, v13
	v_and_b32_e32 v20, 7, v20
	v_cmp_gt_u32_e64 s[8:9], 8, v3
	v_cndmask_b32_e64 v3, v4, v13, s[8:9]
	v_cndmask_b32_e64 v1, v1, v20, s[8:9]
	v_lshlrev_b32_e32 v4, 16, v46
	v_bfrev_b32_e32 v2, 60
	v_lshlrev_b32_e32 v1, 20, v1
	v_and_b32_e32 v4, 0x80000000, v4
	v_lshl_add_u32 v3, v3, 23, v2
	v_or3_b32 v1, v4, v3, v1
.LBB376_350:                            ;   in Loop: Header=BB376_13 Depth=1
	s_or_b64 exec, exec, s[36:37]
.LBB376_351:                            ;   in Loop: Header=BB376_13 Depth=1
	s_or_b64 exec, exec, s[34:35]
.LBB376_352:                            ;   in Loop: Header=BB376_13 Depth=1
	s_or_b64 exec, exec, s[30:31]
	v_mul_f32_e32 v3, v31, v1
	v_and_b32_e32 v1, 0x7f800000, v3
	v_cmp_ne_u32_e64 s[8:9], s41, v1
                                        ; implicit-def: $vgpr1
	s_and_saveexec_b64 s[30:31], s[8:9]
	s_xor_b64 s[8:9], exec, s[30:31]
; %bb.353:                              ;   in Loop: Header=BB376_13 Depth=1
	v_bfe_u32 v1, v3, 16, 1
	v_add3_u32 v1, v3, v1, s42
                                        ; implicit-def: $vgpr3
; %bb.354:                              ;   in Loop: Header=BB376_13 Depth=1
	s_andn2_saveexec_b64 s[30:31], s[8:9]
; %bb.355:                              ;   in Loop: Header=BB376_13 Depth=1
	v_or_b32_e32 v1, 0x10000, v3
	v_cmp_eq_u32_sdwa s[8:9], v3, v5 src0_sel:WORD_0 src1_sel:DWORD
	v_cndmask_b32_e64 v1, v1, v3, s[8:9]
; %bb.356:                              ;   in Loop: Header=BB376_13 Depth=1
	s_or_b64 exec, exec, s[30:31]
	v_lshrrev_b32_e32 v56, 16, v46
	v_cmp_ne_u16_sdwa s[8:9], v56, v5 src0_sel:BYTE_0 src1_sel:DWORD
	v_mov_b32_e32 v3, 0
	s_and_saveexec_b64 s[30:31], s[8:9]
	s_cbranch_execz .LBB376_362
; %bb.357:                              ;   in Loop: Header=BB376_13 Depth=1
	v_cmp_ne_u16_sdwa s[8:9], v56, s39 src0_sel:BYTE_0 src1_sel:DWORD
	v_bfrev_b32_e32 v3, 1
	s_and_saveexec_b64 s[34:35], s[8:9]
	s_cbranch_execz .LBB376_361
; %bb.358:                              ;   in Loop: Header=BB376_13 Depth=1
	v_bfe_u32 v4, v46, 16, 7
	v_cmp_ne_u32_e64 s[8:9], s40, v4
	v_mov_b32_e32 v3, 0x7f800001
	s_and_saveexec_b64 s[36:37], s[8:9]
	s_cbranch_execz .LBB376_360
; %bb.359:                              ;   in Loop: Header=BB376_13 Depth=1
	v_and_b32_e32 v3, 7, v56
	v_ffbh_u32_e32 v20, v3
	v_min_u32_e32 v30, 32, v20
	v_subrev_u32_e32 v20, 28, v30
	v_lshlrev_b64 v[20:21], v20, v[56:57]
	v_lshrrev_b32_e32 v13, 3, v4
	v_sub_u32_e32 v21, 29, v30
	v_and_b32_e32 v20, 7, v20
	v_cmp_gt_u32_e64 s[8:9], 8, v4
	v_cndmask_b32_e64 v4, v13, v21, s[8:9]
	v_cndmask_b32_e64 v3, v3, v20, s[8:9]
	v_lshlrev_b32_e32 v13, 24, v56
	v_bfrev_b32_e32 v2, 60
	v_lshlrev_b32_e32 v3, 20, v3
	v_and_b32_e32 v13, 0x80000000, v13
	v_lshl_add_u32 v4, v4, 23, v2
	v_or3_b32 v3, v13, v4, v3
.LBB376_360:                            ;   in Loop: Header=BB376_13 Depth=1
	s_or_b64 exec, exec, s[36:37]
.LBB376_361:                            ;   in Loop: Header=BB376_13 Depth=1
	s_or_b64 exec, exec, s[34:35]
.LBB376_362:                            ;   in Loop: Header=BB376_13 Depth=1
	s_or_b64 exec, exec, s[30:31]
	v_mul_f32_e32 v3, v31, v3
	v_and_b32_e32 v4, 0x7f800000, v3
	v_cmp_ne_u32_e64 s[8:9], s41, v4
                                        ; implicit-def: $vgpr30
	s_and_saveexec_b64 s[30:31], s[8:9]
	s_xor_b64 s[8:9], exec, s[30:31]
; %bb.363:                              ;   in Loop: Header=BB376_13 Depth=1
	v_bfe_u32 v4, v3, 16, 1
	v_add3_u32 v30, v3, v4, s42
                                        ; implicit-def: $vgpr3
; %bb.364:                              ;   in Loop: Header=BB376_13 Depth=1
	s_andn2_saveexec_b64 s[30:31], s[8:9]
; %bb.365:                              ;   in Loop: Header=BB376_13 Depth=1
	v_or_b32_e32 v4, 0x10000, v3
	v_cmp_eq_u32_sdwa s[8:9], v3, v5 src0_sel:WORD_0 src1_sel:DWORD
	v_cndmask_b32_e64 v30, v4, v3, s[8:9]
; %bb.366:                              ;   in Loop: Header=BB376_13 Depth=1
	s_or_b64 exec, exec, s[30:31]
	v_cmp_lt_u32_e64 s[8:9], s43, v46
	v_mov_b32_e32 v3, 0
	s_and_saveexec_b64 s[30:31], s[8:9]
	s_cbranch_execz .LBB376_372
; %bb.367:                              ;   in Loop: Header=BB376_13 Depth=1
	v_lshrrev_b32_e32 v56, 24, v46
	v_cmp_ne_u32_e64 s[8:9], s39, v56
	v_bfrev_b32_e32 v3, 1
	s_and_saveexec_b64 s[34:35], s[8:9]
	s_cbranch_execz .LBB376_371
; %bb.368:                              ;   in Loop: Header=BB376_13 Depth=1
	v_bfe_u32 v4, v46, 24, 7
	v_cmp_ne_u32_e64 s[8:9], s40, v4
	v_mov_b32_e32 v3, 0x7f800001
	s_and_saveexec_b64 s[36:37], s[8:9]
	s_cbranch_execz .LBB376_370
; %bb.369:                              ;   in Loop: Header=BB376_13 Depth=1
	v_and_b32_e32 v3, 7, v56
	v_ffbh_u32_e32 v20, v3
	v_min_u32_e32 v54, 32, v20
	v_subrev_u32_e32 v20, 28, v54
	v_lshlrev_b64 v[20:21], v20, v[56:57]
	v_lshrrev_b32_e32 v13, 3, v4
	v_sub_u32_e32 v21, 29, v54
	v_and_b32_e32 v20, 7, v20
	v_cmp_gt_u32_e64 s[8:9], 8, v4
	v_cndmask_b32_e64 v4, v13, v21, s[8:9]
	v_cndmask_b32_e64 v3, v3, v20, s[8:9]
	v_lshlrev_b32_e32 v13, 24, v56
	v_bfrev_b32_e32 v2, 60
	v_lshlrev_b32_e32 v3, 20, v3
	v_and_b32_e32 v13, 0x80000000, v13
	v_lshl_add_u32 v4, v4, 23, v2
	v_or3_b32 v3, v13, v4, v3
.LBB376_370:                            ;   in Loop: Header=BB376_13 Depth=1
	s_or_b64 exec, exec, s[36:37]
.LBB376_371:                            ;   in Loop: Header=BB376_13 Depth=1
	s_or_b64 exec, exec, s[34:35]
.LBB376_372:                            ;   in Loop: Header=BB376_13 Depth=1
	s_or_b64 exec, exec, s[30:31]
	v_mul_f32_e32 v3, v31, v3
	v_and_b32_e32 v4, 0x7f800000, v3
	v_cmp_ne_u32_e64 s[8:9], s41, v4
                                        ; implicit-def: $vgpr56
	s_and_saveexec_b64 s[30:31], s[8:9]
	s_xor_b64 s[8:9], exec, s[30:31]
; %bb.373:                              ;   in Loop: Header=BB376_13 Depth=1
	v_bfe_u32 v4, v3, 16, 1
	v_add3_u32 v56, v3, v4, s42
                                        ; implicit-def: $vgpr3
; %bb.374:                              ;   in Loop: Header=BB376_13 Depth=1
	s_andn2_saveexec_b64 s[30:31], s[8:9]
; %bb.375:                              ;   in Loop: Header=BB376_13 Depth=1
	v_or_b32_e32 v4, 0x10000, v3
	v_cmp_eq_u32_sdwa s[8:9], v3, v5 src0_sel:WORD_0 src1_sel:DWORD
	v_cndmask_b32_e64 v56, v4, v3, s[8:9]
; %bb.376:                              ;   in Loop: Header=BB376_13 Depth=1
	s_or_b64 exec, exec, s[30:31]
	flat_load_dword v44, v[44:45] offset:2056
	v_mov_b32_e32 v3, 0
	s_waitcnt vmcnt(0) lgkmcnt(0)
	v_cmp_ne_u16_sdwa s[8:9], v44, v5 src0_sel:BYTE_0 src1_sel:DWORD
	s_and_saveexec_b64 s[30:31], s[8:9]
	s_cbranch_execz .LBB376_382
; %bb.377:                              ;   in Loop: Header=BB376_13 Depth=1
	v_cmp_ne_u16_sdwa s[8:9], v44, s39 src0_sel:BYTE_0 src1_sel:DWORD
	v_bfrev_b32_e32 v3, 1
	s_and_saveexec_b64 s[34:35], s[8:9]
	s_cbranch_execz .LBB376_381
; %bb.378:                              ;   in Loop: Header=BB376_13 Depth=1
	v_and_b32_e32 v4, 0x7f, v44
	v_cmp_ne_u32_e64 s[8:9], s40, v4
	v_mov_b32_e32 v3, 0x7f800001
	s_and_saveexec_b64 s[36:37], s[8:9]
	s_cbranch_execz .LBB376_380
; %bb.379:                              ;   in Loop: Header=BB376_13 Depth=1
	v_and_b32_e32 v3, 7, v44
	v_ffbh_u32_e32 v20, v3
	v_min_u32_e32 v54, 32, v20
	v_subrev_u32_e32 v20, 28, v54
	v_lshlrev_b64 v[20:21], v20, v[44:45]
	v_lshrrev_b32_e32 v13, 3, v4
	v_sub_u32_e32 v21, 29, v54
	v_and_b32_e32 v20, 7, v20
	v_cmp_gt_u32_e64 s[8:9], 8, v4
	v_cndmask_b32_e64 v4, v13, v21, s[8:9]
	v_cndmask_b32_e64 v3, v3, v20, s[8:9]
	v_lshlrev_b32_e32 v13, 24, v44
	v_bfrev_b32_e32 v2, 60
	v_lshlrev_b32_e32 v3, 20, v3
	v_and_b32_e32 v13, 0x80000000, v13
	v_lshl_add_u32 v4, v4, 23, v2
	v_or3_b32 v3, v13, v4, v3
.LBB376_380:                            ;   in Loop: Header=BB376_13 Depth=1
	s_or_b64 exec, exec, s[36:37]
.LBB376_381:                            ;   in Loop: Header=BB376_13 Depth=1
	s_or_b64 exec, exec, s[34:35]
.LBB376_382:                            ;   in Loop: Header=BB376_13 Depth=1
	s_or_b64 exec, exec, s[30:31]
	v_mul_f32_e32 v3, v31, v3
	v_and_b32_e32 v4, 0x7f800000, v3
	v_cmp_ne_u32_e64 s[8:9], s41, v4
                                        ; implicit-def: $vgpr45
	s_and_saveexec_b64 s[30:31], s[8:9]
	s_xor_b64 s[8:9], exec, s[30:31]
; %bb.383:                              ;   in Loop: Header=BB376_13 Depth=1
	v_bfe_u32 v4, v3, 16, 1
	v_add3_u32 v45, v3, v4, s42
                                        ; implicit-def: $vgpr3
; %bb.384:                              ;   in Loop: Header=BB376_13 Depth=1
	s_andn2_saveexec_b64 s[30:31], s[8:9]
; %bb.385:                              ;   in Loop: Header=BB376_13 Depth=1
	v_or_b32_e32 v4, 0x10000, v3
	v_cmp_eq_u32_sdwa s[8:9], v3, v5 src0_sel:WORD_0 src1_sel:DWORD
	v_cndmask_b32_e64 v45, v4, v3, s[8:9]
; %bb.386:                              ;   in Loop: Header=BB376_13 Depth=1
	s_or_b64 exec, exec, s[30:31]
	v_lshrrev_b16_e32 v46, 8, v44
	v_cmp_ne_u16_e64 s[8:9], 0, v46
	v_mov_b32_e32 v3, 0
	s_and_saveexec_b64 s[30:31], s[8:9]
	s_cbranch_execz .LBB376_392
; %bb.387:                              ;   in Loop: Header=BB376_13 Depth=1
	v_cmp_ne_u16_e64 s[8:9], s39, v46
	v_bfrev_b32_e32 v3, 1
	s_and_saveexec_b64 s[34:35], s[8:9]
	s_cbranch_execz .LBB376_391
; %bb.388:                              ;   in Loop: Header=BB376_13 Depth=1
	v_and_b32_e32 v4, 0x7f, v46
	v_cmp_ne_u32_e64 s[8:9], s40, v4
	v_mov_b32_e32 v3, 0x7f800001
	s_and_saveexec_b64 s[36:37], s[8:9]
	s_cbranch_execz .LBB376_390
; %bb.389:                              ;   in Loop: Header=BB376_13 Depth=1
	v_and_b32_e32 v3, 7, v46
	v_ffbh_u32_e32 v20, v3
	v_min_u32_e32 v54, 32, v20
	v_subrev_u32_e32 v20, 28, v54
	v_lshlrev_b64 v[20:21], v20, v[46:47]
	v_lshrrev_b32_e32 v13, 3, v4
	v_sub_u32_e32 v21, 29, v54
	v_and_b32_e32 v20, 7, v20
	v_cmp_gt_u32_e64 s[8:9], 8, v4
	v_cndmask_b32_e64 v4, v13, v21, s[8:9]
	v_cndmask_b32_e64 v3, v3, v20, s[8:9]
	v_lshlrev_b32_e32 v13, 16, v44
	v_bfrev_b32_e32 v2, 60
	v_lshlrev_b32_e32 v3, 20, v3
	v_and_b32_e32 v13, 0x80000000, v13
	v_lshl_add_u32 v4, v4, 23, v2
	v_or3_b32 v3, v13, v4, v3
.LBB376_390:                            ;   in Loop: Header=BB376_13 Depth=1
	s_or_b64 exec, exec, s[36:37]
.LBB376_391:                            ;   in Loop: Header=BB376_13 Depth=1
	s_or_b64 exec, exec, s[34:35]
.LBB376_392:                            ;   in Loop: Header=BB376_13 Depth=1
	s_or_b64 exec, exec, s[30:31]
	v_mul_f32_e32 v3, v31, v3
	v_and_b32_e32 v4, 0x7f800000, v3
	v_cmp_ne_u32_e64 s[8:9], s41, v4
                                        ; implicit-def: $vgpr4
	s_and_saveexec_b64 s[30:31], s[8:9]
	s_xor_b64 s[8:9], exec, s[30:31]
; %bb.393:                              ;   in Loop: Header=BB376_13 Depth=1
	v_bfe_u32 v4, v3, 16, 1
	v_add3_u32 v4, v3, v4, s42
                                        ; implicit-def: $vgpr3
; %bb.394:                              ;   in Loop: Header=BB376_13 Depth=1
	s_andn2_saveexec_b64 s[30:31], s[8:9]
; %bb.395:                              ;   in Loop: Header=BB376_13 Depth=1
	v_or_b32_e32 v4, 0x10000, v3
	v_cmp_eq_u32_sdwa s[8:9], v3, v5 src0_sel:WORD_0 src1_sel:DWORD
	v_cndmask_b32_e64 v4, v4, v3, s[8:9]
; %bb.396:                              ;   in Loop: Header=BB376_13 Depth=1
	s_or_b64 exec, exec, s[30:31]
	v_lshrrev_b32_e32 v46, 16, v44
	v_cmp_ne_u16_sdwa s[8:9], v46, v5 src0_sel:BYTE_0 src1_sel:DWORD
	v_mov_b32_e32 v3, 0
	s_and_saveexec_b64 s[30:31], s[8:9]
	s_cbranch_execz .LBB376_402
; %bb.397:                              ;   in Loop: Header=BB376_13 Depth=1
	v_cmp_ne_u16_sdwa s[8:9], v46, s39 src0_sel:BYTE_0 src1_sel:DWORD
	v_bfrev_b32_e32 v3, 1
	s_and_saveexec_b64 s[34:35], s[8:9]
	s_cbranch_execz .LBB376_401
; %bb.398:                              ;   in Loop: Header=BB376_13 Depth=1
	v_bfe_u32 v13, v44, 16, 7
	v_cmp_ne_u32_e64 s[8:9], s40, v13
	v_mov_b32_e32 v3, 0x7f800001
	s_and_saveexec_b64 s[36:37], s[8:9]
	s_cbranch_execz .LBB376_400
; %bb.399:                              ;   in Loop: Header=BB376_13 Depth=1
	v_and_b32_e32 v3, 7, v46
	v_ffbh_u32_e32 v20, v3
	v_min_u32_e32 v55, 32, v20
	v_subrev_u32_e32 v20, 28, v55
	v_lshlrev_b64 v[20:21], v20, v[46:47]
	v_lshrrev_b32_e32 v54, 3, v13
	v_sub_u32_e32 v21, 29, v55
	v_and_b32_e32 v20, 7, v20
	v_cmp_gt_u32_e64 s[8:9], 8, v13
	v_cndmask_b32_e64 v13, v54, v21, s[8:9]
	v_cndmask_b32_e64 v3, v3, v20, s[8:9]
	v_lshlrev_b32_e32 v20, 24, v46
	v_bfrev_b32_e32 v2, 60
	v_lshlrev_b32_e32 v3, 20, v3
	v_and_b32_e32 v20, 0x80000000, v20
	v_lshl_add_u32 v13, v13, 23, v2
	v_or3_b32 v3, v20, v13, v3
.LBB376_400:                            ;   in Loop: Header=BB376_13 Depth=1
	s_or_b64 exec, exec, s[36:37]
.LBB376_401:                            ;   in Loop: Header=BB376_13 Depth=1
	s_or_b64 exec, exec, s[34:35]
.LBB376_402:                            ;   in Loop: Header=BB376_13 Depth=1
	s_or_b64 exec, exec, s[30:31]
	v_mul_f32_e32 v3, v31, v3
	v_and_b32_e32 v13, 0x7f800000, v3
	v_cmp_ne_u32_e64 s[8:9], s41, v13
                                        ; implicit-def: $vgpr13
	s_and_saveexec_b64 s[30:31], s[8:9]
	s_xor_b64 s[8:9], exec, s[30:31]
; %bb.403:                              ;   in Loop: Header=BB376_13 Depth=1
	v_bfe_u32 v13, v3, 16, 1
	v_add3_u32 v13, v3, v13, s42
                                        ; implicit-def: $vgpr3
; %bb.404:                              ;   in Loop: Header=BB376_13 Depth=1
	s_andn2_saveexec_b64 s[30:31], s[8:9]
; %bb.405:                              ;   in Loop: Header=BB376_13 Depth=1
	v_or_b32_e32 v13, 0x10000, v3
	v_cmp_eq_u32_sdwa s[8:9], v3, v5 src0_sel:WORD_0 src1_sel:DWORD
	v_cndmask_b32_e64 v13, v13, v3, s[8:9]
; %bb.406:                              ;   in Loop: Header=BB376_13 Depth=1
	s_or_b64 exec, exec, s[30:31]
	v_cmp_lt_u32_e64 s[8:9], s43, v44
	v_mov_b32_e32 v3, 0
	s_and_saveexec_b64 s[30:31], s[8:9]
	s_cbranch_execz .LBB376_412
; %bb.407:                              ;   in Loop: Header=BB376_13 Depth=1
	v_lshrrev_b32_e32 v46, 24, v44
	v_cmp_ne_u32_e64 s[8:9], s39, v46
	v_bfrev_b32_e32 v3, 1
	s_and_saveexec_b64 s[34:35], s[8:9]
	s_cbranch_execz .LBB376_411
; %bb.408:                              ;   in Loop: Header=BB376_13 Depth=1
	v_bfe_u32 v20, v44, 24, 7
	v_cmp_ne_u32_e64 s[8:9], s40, v20
	v_mov_b32_e32 v3, 0x7f800001
	s_and_saveexec_b64 s[36:37], s[8:9]
	s_cbranch_execz .LBB376_410
; %bb.409:                              ;   in Loop: Header=BB376_13 Depth=1
	v_and_b32_e32 v3, 7, v46
	v_ffbh_u32_e32 v54, v3
	v_min_u32_e32 v40, 32, v54
	v_subrev_u32_e32 v54, 28, v40
	v_lshlrev_b64 v[54:55], v54, v[46:47]
	v_lshrrev_b32_e32 v21, 3, v20
	v_sub_u32_e32 v55, 29, v40
	v_and_b32_e32 v54, 7, v54
	v_cmp_gt_u32_e64 s[8:9], 8, v20
	v_cndmask_b32_e64 v20, v21, v55, s[8:9]
	v_cndmask_b32_e64 v3, v3, v54, s[8:9]
	v_lshlrev_b32_e32 v21, 24, v46
	v_bfrev_b32_e32 v2, 60
	v_lshlrev_b32_e32 v3, 20, v3
	v_and_b32_e32 v21, 0x80000000, v21
	v_lshl_add_u32 v20, v20, 23, v2
	v_or3_b32 v3, v21, v20, v3
.LBB376_410:                            ;   in Loop: Header=BB376_13 Depth=1
	s_or_b64 exec, exec, s[36:37]
.LBB376_411:                            ;   in Loop: Header=BB376_13 Depth=1
	s_or_b64 exec, exec, s[34:35]
.LBB376_412:                            ;   in Loop: Header=BB376_13 Depth=1
	s_or_b64 exec, exec, s[30:31]
	v_mul_f32_e32 v3, v31, v3
	v_and_b32_e32 v20, 0x7f800000, v3
	v_cmp_ne_u32_e64 s[8:9], s41, v20
                                        ; implicit-def: $vgpr31
	s_and_saveexec_b64 s[30:31], s[8:9]
	s_xor_b64 s[8:9], exec, s[30:31]
; %bb.413:                              ;   in Loop: Header=BB376_13 Depth=1
	v_bfe_u32 v20, v3, 16, 1
	v_add3_u32 v31, v3, v20, s42
                                        ; implicit-def: $vgpr3
; %bb.414:                              ;   in Loop: Header=BB376_13 Depth=1
	s_andn2_saveexec_b64 s[30:31], s[8:9]
; %bb.415:                              ;   in Loop: Header=BB376_13 Depth=1
	v_or_b32_e32 v20, 0x10000, v3
	v_cmp_eq_u32_sdwa s[8:9], v3, v5 src0_sel:WORD_0 src1_sel:DWORD
	v_cndmask_b32_e64 v31, v20, v3, s[8:9]
; %bb.416:                              ;   in Loop: Header=BB376_13 Depth=1
	s_or_b64 exec, exec, s[30:31]
	v_accvgpr_read_b32 v2, a49
	v_lshlrev_b32_e32 v54, 16, v48
	v_lshlrev_b32_e32 v60, 16, v50
	v_and_b32_e32 v24, 0xffff0000, v48
	v_lshlrev_b32_e32 v15, 16, v37
	v_and_b32_e32 v14, 0xffff0000, v37
	v_lshlrev_b32_e32 v40, 16, v32
	v_lshlrev_b32_e32 v46, 16, v34
	;; [unrolled: 1-line block ×3, first 2 shown]
	v_and_b32_e32 v21, 0xffff0000, v32
	v_and_b32_e32 v57, 0xffff0000, v34
	;; [unrolled: 1-line block ×3, first 2 shown]
	v_lshlrev_b32_e32 v35, 16, v18
	v_lshlrev_b32_e32 v32, 16, v19
	v_and_b32_e32 v37, 0xffff0000, v18
	v_and_b32_e32 v34, 0xffff0000, v19
	v_lshlrev_b32_e32 v18, 16, v7
	v_and_b32_e32 v19, 0xffff0000, v7
	v_and_b32_e32 v7, 0xffff0000, v2
	;; [unrolled: 1-line block ×3, first 2 shown]
	v_lshlrev_b32_e32 v62, 16, v36
	v_and_b32_e32 v29, 0xffff0000, v36
	v_lshlrev_b32_e32 v58, 16, v33
	v_and_b32_e32 v47, 0xffff0000, v33
	;; [unrolled: 2-line block ×3, first 2 shown]
	v_lshlrev_b32_e32 v33, 16, v6
	v_lshlrev_b32_e32 v16, 16, v9
	v_and_b32_e32 v36, 0xffff0000, v6
	v_and_b32_e32 v6, 0xffff0000, v9
	v_mul_f32_e32 v7, v60, v7
	v_and_b32_e32 v9, 0xffff0000, v11
	v_accvgpr_read_b32 v2, a50
	v_fmac_f32_e32 v7, v54, v9
	v_and_b32_e32 v9, 0xffff0000, v2
	v_mul_f32_e32 v9, v10, v9
	v_and_b32_e32 v10, 0xffff0000, v23
	v_accvgpr_read_b32 v2, a51
	v_lshlrev_b32_e32 v25, 16, v51
	v_fmac_f32_e32 v9, v24, v10
	v_and_b32_e32 v10, 0xffff0000, v2
	v_lshlrev_b32_e32 v22, 16, v49
	v_lshlrev_b32_e32 v28, 16, v38
	v_and_b32_e32 v3, 0xffff0000, v38
	v_mul_f32_e32 v38, v25, v10
	v_and_b32_e32 v10, 0xffff0000, v41
	v_accvgpr_read_b32 v2, a52
	v_and_b32_e32 v51, 0xffff0000, v51
	v_fmac_f32_e32 v38, v22, v10
	v_and_b32_e32 v10, 0xffff0000, v2
	v_and_b32_e32 v52, 0xffff0000, v49
	v_mul_f32_e32 v51, v51, v10
	v_and_b32_e32 v10, 0xffff0000, v61
	v_accvgpr_read_b32 v2, a53
	v_fmac_f32_e32 v51, v52, v10
	v_and_b32_e32 v10, 0xffff0000, v2
	v_accvgpr_read_b32 v2, a54
	v_fmac_f32_e32 v7, v62, v10
	;; [unrolled: 3-line block ×5, first 2 shown]
	v_and_b32_e32 v10, 0xffff0000, v2
	v_accvgpr_read_b32 v2, a26
	v_accvgpr_read_b32 v61, a46
	v_and_b32_e32 v22, 0xffff0000, v2
	v_accvgpr_read_b32 v2, a36
	v_fmac_f32_e32 v7, v28, v10
	v_and_b32_e32 v10, 64, v61
	v_and_b32_e32 v24, 0xffff0000, v2
	v_accvgpr_read_b32 v2, a29
	v_add_u32_e32 v10, 64, v10
	v_xor_b32_e32 v14, 1, v61
	v_and_b32_e32 v25, 0xffff0000, v2
	v_accvgpr_read_b32 v2, a28
	v_cmp_lt_i32_e64 s[8:9], v14, v10
	v_and_b32_e32 v10, 0xffff0000, v26
	v_and_b32_e32 v26, 0xffff0000, v2
	v_accvgpr_read_b32 v2, a31
	v_and_b32_e32 v28, 0xffff0000, v2
	v_accvgpr_read_b32 v2, a32
	;; [unrolled: 2-line block ×4, first 2 shown]
	v_and_b32_e32 v15, 0xffff0000, v53
	v_and_b32_e32 v53, 0xffff0000, v2
	v_accvgpr_read_b32 v2, a63
	v_and_b32_e32 v54, 0xffff0000, v30
	v_and_b32_e32 v30, 0xffff0000, v56
	;; [unrolled: 1-line block ×3, first 2 shown]
	v_accvgpr_read_b32 v2, a27
	v_and_b32_e32 v60, 0xffff0000, v2
	v_accvgpr_read_b32 v2, a62
	v_and_b32_e32 v62, 0xffff0000, v2
	;; [unrolled: 2-line block ×6, first 2 shown]
	v_lshlrev_b32_e32 v55, 16, v39
	v_fmac_f32_e32 v9, v3, v2
	v_and_b32_e32 v20, 0xffff0000, v39
	v_fmac_f32_e32 v38, v55, v41
	v_fmac_f32_e32 v7, v40, v23
	v_fmac_f32_e32 v9, v21, v62
	v_fmac_f32_e32 v51, v20, v11
	v_fmac_f32_e32 v38, v58, v56
	v_fmac_f32_e32 v7, v46, v53
	v_fmac_f32_e32 v9, v57, v52
	v_lshlrev_b32_e32 v39, 16, v17
	v_and_b32_e32 v12, 0xffff0000, v12
	v_fmac_f32_e32 v51, v47, v60
	v_fmac_f32_e32 v38, v48, v28
	;; [unrolled: 1-line block ×4, first 2 shown]
	v_and_b32_e32 v49, 0xffff0000, v17
	v_and_b32_e32 v1, 0xffff0000, v1
	;; [unrolled: 1-line block ×3, first 2 shown]
	v_fmac_f32_e32 v51, v44, v29
	v_fmac_f32_e32 v38, v39, v22
	;; [unrolled: 1-line block ×4, first 2 shown]
	v_lshlrev_b32_e32 v17, 16, v8
	v_and_b32_e32 v8, 0xffff0000, v8
	v_and_b32_e32 v4, 0xffff0000, v4
	;; [unrolled: 1-line block ×4, first 2 shown]
	v_fmac_f32_e32 v51, v49, v24
	v_fmac_f32_e32 v38, v32, v10
	;; [unrolled: 1-line block ×4, first 2 shown]
	v_and_b32_e32 v13, 0xffff0000, v13
	v_fmac_f32_e32 v51, v34, v0
	v_fmac_f32_e32 v38, v18, v54
	;; [unrolled: 1-line block ×4, first 2 shown]
	v_and_b32_e32 v31, 0xffff0000, v31
	v_fmac_f32_e32 v51, v19, v30
	v_fmac_f32_e32 v38, v16, v13
	v_add_f32_e32 v0, v7, v9
	v_cndmask_b32_e64 v14, v61, v14, s[8:9]
	v_fmac_f32_e32 v51, v6, v31
	v_add_f32_e32 v0, v0, v38
	v_lshlrev_b32_e32 v14, 2, v14
	v_add_f32_e32 v0, v51, v0
	ds_bpermute_b32 v1, v14, v0
	s_and_saveexec_b64 s[30:31], vcc
	s_cbranch_execz .LBB376_11
; %bb.417:                              ;   in Loop: Header=BB376_13 Depth=1
	v_accvgpr_read_b32 v2, a45
	v_accvgpr_read_b32 v4, a47
	;; [unrolled: 1-line block ×3, first 2 shown]
	v_add_u32_e32 v2, v2, v4
	v_add_u32_e32 v3, v3, v4
	buffer_load_dword v4, off, s[0:3], s32 offset:200 ; 4-byte Folded Reload
	v_cvt_f32_i32_e32 v2, v2
	s_waitcnt lgkmcnt(0)
	v_add_f32_e32 v0, v0, v1
	v_accvgpr_read_b32 v1, a33
	s_load_dword s8, s[26:27], 0x0
	s_waitcnt vmcnt(0)
	v_mul_f32_e32 v2, v4, v2
	v_cndmask_b32_e64 v2, 0, v2, s[6:7]
	v_fmac_f32_e32 v2, v0, v1
	buffer_load_dword v1, off, s[0:3], s32 offset:196 ; 4-byte Folded Reload
	v_accvgpr_read_b32 v4, a43
	v_accvgpr_read_b32 v0, a3
	s_waitcnt lgkmcnt(0)
	v_add_u32_e32 v4, s8, v4
	v_cmp_lt_i32_e64 s[8:9], v3, v0
	v_cndmask_b32_e64 v0, 0, v2, s[8:9]
	ds_write_b32 v4, v0
	s_waitcnt vmcnt(0)
	v_max_f32_e32 v0, v1, v1
	v_max_f32_e32 v0, v0, v2
	v_cndmask_b32_e64 v1, v1, v0, s[8:9]
	buffer_store_dword v1, off, s[0:3], s32 offset:196 ; 4-byte Folded Spill
	s_branch .LBB376_11
.LBB376_418:
	s_or_b64 exec, exec, s[28:29]
	buffer_load_dword v31, off, s[0:3], s32 offset:208 ; 4-byte Folded Reload
	buffer_load_dword v28, off, s[0:3], s32 offset:232 ; 4-byte Folded Reload
	;; [unrolled: 1-line block ×9, first 2 shown]
	v_accvgpr_read_b32 v15, a16
	v_accvgpr_read_b32 v14, a17
	;; [unrolled: 1-line block ×9, first 2 shown]
	v_mbcnt_lo_u32_b32 v4, -1, 0
.LBB376_419:
	s_or_b64 exec, exec, s[24:25]
	v_mbcnt_hi_u32_b32 v0, -1, v4
	v_and_b32_e32 v1, 64, v0
	v_add_u32_e32 v1, 64, v1
	v_xor_b32_e32 v2, 32, v0
	v_cmp_lt_i32_e32 vcc, v2, v1
	v_cndmask_b32_e32 v2, v0, v2, vcc
	v_lshlrev_b32_e32 v2, 2, v2
	s_waitcnt vmcnt(0)
	ds_bpermute_b32 v3, v2, v7
	v_xor_b32_e32 v5, 16, v0
	v_max_f32_e32 v4, v7, v7
	v_cmp_lt_i32_e32 vcc, v5, v1
	v_xor_b32_e32 v6, 8, v0
	s_waitcnt lgkmcnt(0)
	v_max_f32_e32 v3, v3, v3
	v_max_f32_e32 v4, v4, v3
	v_cndmask_b32_e32 v3, v0, v5, vcc
	v_lshlrev_b32_e32 v3, 2, v3
	ds_bpermute_b32 v5, v3, v4
	v_cmp_lt_i32_e32 vcc, v6, v1
	v_xor_b32_e32 v7, 4, v0
	v_xor_b32_e32 v8, 2, v0
	s_lshr_b32 s28, s38, 16
	s_waitcnt lgkmcnt(0)
	v_max_f32_e32 v5, v5, v5
	v_max_f32_e32 v5, v4, v5
	v_cndmask_b32_e32 v4, v0, v6, vcc
	v_lshlrev_b32_e32 v4, 2, v4
	ds_bpermute_b32 v6, v4, v5
	v_cmp_lt_i32_e32 vcc, v7, v1
	s_waitcnt lgkmcnt(0)
	v_max_f32_e32 v6, v6, v6
	v_max_f32_e32 v6, v5, v6
	v_cndmask_b32_e32 v5, v0, v7, vcc
	v_lshlrev_b32_e32 v5, 2, v5
	ds_bpermute_b32 v7, v5, v6
	v_cmp_lt_i32_e32 vcc, v8, v1
	s_waitcnt lgkmcnt(0)
	v_max_f32_e32 v7, v7, v7
	v_max_f32_e32 v7, v6, v7
	v_cndmask_b32_e32 v6, v0, v8, vcc
	v_lshlrev_b32_e32 v18, 2, v6
	ds_bpermute_b32 v8, v18, v7
	v_accvgpr_read_b32 v6, a2
	v_and_b32_e32 v41, 63, v6
	v_cmp_eq_u32_e32 vcc, 0, v41
	v_lshlrev_b32_e32 v6, 2, v28
	s_and_saveexec_b64 s[6:7], vcc
	s_cbranch_execz .LBB376_421
; %bb.420:
	s_waitcnt lgkmcnt(0)
	v_max_f32_e32 v8, v8, v8
	v_max_f32_e32 v7, v7, v7
	;; [unrolled: 1-line block ×3, first 2 shown]
	ds_write_b32 v6, v7 offset:160
.LBB376_421:
	s_or_b64 exec, exec, s[6:7]
	v_cmp_gt_u32_e64 s[6:7], 2, v41
	s_waitcnt lgkmcnt(0)
	v_mov_b32_e32 v8, 0xff7fffff
	v_lshlrev_b32_e32 v7, 2, v41
	s_barrier
	s_and_saveexec_b64 s[8:9], s[6:7]
	s_cbranch_execz .LBB376_423
; %bb.422:
	ds_read_b32 v8, v7 offset:160
.LBB376_423:
	s_or_b64 exec, exec, s[8:9]
	v_xor_b32_e32 v9, 1, v0
	v_cmp_lt_i32_e64 s[8:9], v9, v1
	v_cndmask_b32_e64 v1, v0, v9, s[8:9]
	v_lshlrev_b32_e32 v19, 2, v1
	s_waitcnt lgkmcnt(0)
	ds_bpermute_b32 v1, v19, v8
	v_accvgpr_read_b32 v9, a11
	v_subrev_u32_e32 v9, s21, v9
	v_max_f32_e32 v8, v8, v8
	v_lshlrev_b32_e32 v0, 2, v0
	s_waitcnt lgkmcnt(0)
	v_max_f32_e32 v1, v1, v1
	v_lshl_add_u32 v10, v9, 5, s15
	v_max_f32_e32 v1, v8, v1
	v_and_b32_e32 v9, 0x100, v0
	ds_bpermute_b32 v0, v9, v1
	v_accvgpr_read_b32 v1, a3
	v_min_i32_e32 v8, v10, v1
	v_subrev_u32_e32 v1, s15, v8
	v_accvgpr_read_b32 v10, a2
	v_cmp_lt_i32_e64 s[8:9], v10, v1
	v_mov_b32_e32 v10, 0
	s_and_saveexec_b64 s[24:25], s[8:9]
	s_cbranch_execz .LBB376_427
; %bb.424:
	s_ashr_i32 s23, s22, 31
	s_lshl_b64 s[10:11], s[22:23], 2
	s_getpc_b64 s[26:27]
	s_add_u32 s26, s26, llvm.amdgcn.dynlds.offset.table@rel32@lo+4
	s_addc_u32 s27, s27, llvm.amdgcn.dynlds.offset.table@rel32@hi+12
	s_add_u32 s10, s10, s26
	s_addc_u32 s11, s11, s27
	s_load_dword s10, s[10:11], 0x0
	v_accvgpr_read_b32 v12, a2
	s_mov_b64 s[26:27], 0
	v_mov_b32_e32 v10, 0
	s_waitcnt lgkmcnt(0)
	v_lshl_add_u32 v11, v12, 2, s10
.LBB376_425:                            ; =>This Inner Loop Header: Depth=1
	ds_read_b32 v13, v11
	v_add_u32_e32 v12, 0x80, v12
	v_cmp_ge_i32_e64 s[10:11], v12, v1
	s_or_b64 s[26:27], s[10:11], s[26:27]
	s_waitcnt lgkmcnt(0)
	v_sub_f32_e32 v13, v13, v0
	v_mul_f32_e32 v13, 0x3fb8aa3b, v13
	v_exp_f32_e32 v13, v13
	ds_write_b32 v11, v13
	v_add_f32_e32 v10, v10, v13
	v_add_u32_e32 v11, 0x200, v11
	s_andn2_b64 exec, exec, s[26:27]
	s_cbranch_execnz .LBB376_425
; %bb.426:
	s_or_b64 exec, exec, s[26:27]
.LBB376_427:
	s_or_b64 exec, exec, s[24:25]
	ds_bpermute_b32 v2, v2, v10
	s_waitcnt lgkmcnt(0)
	v_add_f32_e32 v2, v10, v2
	ds_bpermute_b32 v3, v3, v2
	s_waitcnt lgkmcnt(0)
	v_add_f32_e32 v2, v2, v3
	;; [unrolled: 3-line block ×6, first 2 shown]
	s_and_saveexec_b64 s[10:11], vcc
	s_cbranch_execz .LBB376_429
; %bb.428:
	ds_write_b32 v6, v2 offset:168
.LBB376_429:
	s_or_b64 exec, exec, s[10:11]
	s_waitcnt lgkmcnt(0)
	s_barrier
	s_and_saveexec_b64 s[10:11], s[6:7]
	s_cbranch_execz .LBB376_431
; %bb.430:
	ds_read_b32 v2, v7 offset:168
.LBB376_431:
	s_or_b64 exec, exec, s[10:11]
	s_waitcnt lgkmcnt(0)
	ds_bpermute_b32 v3, v19, v2
	s_waitcnt lgkmcnt(0)
	v_add_f32_e32 v2, v2, v3
	ds_bpermute_b32 v2, v9, v2
	s_and_saveexec_b64 s[6:7], s[8:9]
	s_cbranch_execz .LBB376_444
; %bb.432:
	s_waitcnt lgkmcnt(0)
	v_add_f32_e32 v3, 0x358637bd, v2
	v_div_scale_f32 v4, s[8:9], v3, v3, 1.0
	v_rcp_f32_e32 v5, v4
	v_div_scale_f32 v6, vcc, 1.0, v3, 1.0
	s_movk_i32 s8, 0x7f
	v_fma_f32 v7, -v4, v5, 1.0
	v_fmac_f32_e32 v5, v7, v5
	v_mul_f32_e32 v7, v6, v5
	v_fma_f32 v9, -v4, v7, v6
	v_fmac_f32_e32 v7, v9, v5
	v_fma_f32 v4, -v4, v7, v6
	v_div_fmas_f32 v4, v4, v5, v7
	v_accvgpr_read_b32 v5, a2
	v_div_fixup_f32 v6, v4, v3, 1.0
	v_xad_u32 v3, v5, -1, v8
	v_subrev_u32_e32 v4, s15, v3
	v_cmp_lt_u32_e32 vcc, s8, v4
	s_mov_b64 s[10:11], -1
	v_accvgpr_read_b32 v3, a2
	s_and_saveexec_b64 s[8:9], vcc
	s_cbranch_execz .LBB376_441
; %bb.433:
	v_lshrrev_b32_e32 v3, 7, v4
	v_add_u32_e32 v5, -1, v3
	v_lshrrev_b32_e32 v4, 1, v5
	v_mov_b32_e32 v7, v6
	v_add_u32_e32 v4, 1, v4
	v_cmp_lt_u32_e32 vcc, 13, v5
	v_mov_b32_e32 v9, 0
	s_and_saveexec_b64 s[10:11], vcc
	s_cbranch_execz .LBB376_437
; %bb.434:
	s_ashr_i32 s23, s22, 31
	s_lshl_b64 s[24:25], s[22:23], 2
	s_getpc_b64 s[26:27]
	s_add_u32 s26, s26, llvm.amdgcn.dynlds.offset.table@rel32@lo+4
	s_addc_u32 s27, s27, llvm.amdgcn.dynlds.offset.table@rel32@hi+12
	s_add_u32 s24, s24, s26
	s_addc_u32 s25, s25, s27
	s_load_dword s21, s[24:25], 0x0
	v_accvgpr_read_b32 v8, a2
	v_and_b32_e32 v5, -8, v4
	s_mov_b32 s15, 0
	s_mov_b64 s[24:25], 0
	s_waitcnt lgkmcnt(0)
	v_lshl_add_u32 v8, v8, 2, s21
.LBB376_435:                            ; =>This Inner Loop Header: Depth=1
	ds_read2st64_b32 v[10:11], v8 offset1:2
	ds_read2st64_b32 v[12:13], v8 offset0:4 offset1:6
	ds_read2st64_b32 v[20:21], v8 offset0:8 offset1:10
	ds_read2st64_b32 v[16:17], v8 offset0:12 offset1:14
	v_add_u32_e32 v5, -8, v5
	s_waitcnt lgkmcnt(3)
	v_pk_mul_f32 v[10:11], v[6:7], v[10:11]
	s_waitcnt lgkmcnt(2)
	v_pk_mul_f32 v[12:13], v[6:7], v[12:13]
	ds_write2st64_b32 v8, v10, v11 offset1:2
	ds_write2st64_b32 v8, v12, v13 offset0:4 offset1:6
	ds_read2st64_b32 v[12:13], v8 offset0:16 offset1:18
	s_waitcnt lgkmcnt(4)
	v_pk_mul_f32 v[10:11], v[6:7], v[20:21]
	ds_write2st64_b32 v8, v10, v11 offset0:8 offset1:10
	s_waitcnt lgkmcnt(4)
	v_pk_mul_f32 v[10:11], v[6:7], v[16:17]
	ds_write2st64_b32 v8, v10, v11 offset0:12 offset1:14
	ds_read2st64_b32 v[10:11], v8 offset0:20 offset1:22
	s_waitcnt lgkmcnt(3)
	v_pk_mul_f32 v[12:13], v[6:7], v[12:13]
	ds_read2st64_b32 v[16:17], v8 offset0:24 offset1:26
	ds_write2st64_b32 v8, v12, v13 offset0:16 offset1:18
	ds_read2st64_b32 v[12:13], v8 offset0:28 offset1:30
	s_waitcnt lgkmcnt(3)
	v_pk_mul_f32 v[10:11], v[6:7], v[10:11]
	ds_write2st64_b32 v8, v10, v11 offset0:20 offset1:22
	s_waitcnt lgkmcnt(3)
	v_pk_mul_f32 v[10:11], v[6:7], v[16:17]
	ds_write2st64_b32 v8, v10, v11 offset0:24 offset1:26
	s_waitcnt lgkmcnt(2)
	v_pk_mul_f32 v[10:11], v[6:7], v[12:13]
	s_add_i32 s15, s15, 16
	v_cmp_eq_u32_e32 vcc, 0, v5
	ds_write2st64_b32 v8, v10, v11 offset0:28 offset1:30
	v_add_u32_e32 v8, 0x2000, v8
	s_or_b64 s[24:25], vcc, s[24:25]
	v_mov_b32_e32 v9, s15
	s_andn2_b64 exec, exec, s[24:25]
	s_cbranch_execnz .LBB376_435
; %bb.436:
	s_or_b64 exec, exec, s[24:25]
.LBB376_437:
	s_or_b64 exec, exec, s[10:11]
	v_and_b32_e32 v4, 7, v4
	v_cmp_ne_u32_e32 vcc, 0, v4
	s_and_saveexec_b64 s[10:11], vcc
	s_cbranch_execz .LBB376_440
; %bb.438:
	s_ashr_i32 s23, s22, 31
	s_lshl_b64 s[24:25], s[22:23], 2
	s_getpc_b64 s[26:27]
	s_add_u32 s26, s26, llvm.amdgcn.dynlds.offset.table@rel32@lo+4
	s_addc_u32 s27, s27, llvm.amdgcn.dynlds.offset.table@rel32@hi+12
	s_add_u32 s24, s24, s26
	s_addc_u32 s25, s25, s27
	s_load_dword s15, s[24:25], 0x0
	v_accvgpr_read_b32 v8, a2
	v_lshlrev_b32_e32 v5, 9, v9
	v_lshlrev_b32_e32 v8, 2, v8
	s_mov_b64 s[24:25], 0
	s_waitcnt lgkmcnt(0)
	v_add3_u32 v5, v5, v8, s15
.LBB376_439:                            ; =>This Inner Loop Header: Depth=1
	ds_read2st64_b32 v[8:9], v5 offset1:2
	v_add_u32_e32 v4, -1, v4
	v_cmp_eq_u32_e32 vcc, 0, v4
	s_or_b64 s[24:25], vcc, s[24:25]
	s_waitcnt lgkmcnt(0)
	v_pk_mul_f32 v[8:9], v[6:7], v[8:9]
	ds_write2st64_b32 v5, v8, v9 offset1:2
	v_add_u32_e32 v5, 0x400, v5
	s_andn2_b64 exec, exec, s[24:25]
	s_cbranch_execnz .LBB376_439
.LBB376_440:
	s_or_b64 exec, exec, s[10:11]
	v_add_u32_e32 v4, 1, v3
	v_and_b32_e32 v5, 0x3fffffe, v4
	v_accvgpr_read_b32 v3, a2
	v_cmp_ne_u32_e32 vcc, v4, v5
	v_lshl_add_u32 v3, v5, 7, v3
	s_orn2_b64 s[10:11], vcc, exec
.LBB376_441:
	s_or_b64 exec, exec, s[8:9]
	s_and_b64 exec, exec, s[10:11]
	s_cbranch_execz .LBB376_444
; %bb.442:
	s_ashr_i32 s23, s22, 31
	s_lshl_b64 s[8:9], s[22:23], 2
	s_getpc_b64 s[10:11]
	s_add_u32 s10, s10, llvm.amdgcn.dynlds.offset.table@rel32@lo+4
	s_addc_u32 s11, s11, llvm.amdgcn.dynlds.offset.table@rel32@hi+12
	s_add_u32 s8, s8, s10
	s_addc_u32 s9, s9, s11
	s_load_dword s8, s[8:9], 0x0
	s_waitcnt lgkmcnt(0)
	v_lshl_add_u32 v4, v3, 2, s8
	s_mov_b64 s[8:9], 0
.LBB376_443:                            ; =>This Inner Loop Header: Depth=1
	ds_read_b32 v5, v4
	v_add_u32_e32 v3, 0x80, v3
	v_cmp_ge_i32_e32 vcc, v3, v1
	s_or_b64 s[8:9], vcc, s[8:9]
	s_waitcnt lgkmcnt(0)
	v_mul_f32_e32 v5, v6, v5
	ds_write_b32 v4, v5
	v_add_u32_e32 v4, 0x200, v4
	s_andn2_b64 exec, exec, s[8:9]
	s_cbranch_execnz .LBB376_443
.LBB376_444:
	s_or_b64 exec, exec, s[6:7]
	v_cmp_ne_u16_e64 s[6:7], s28, 0
	s_cmp_lg_u64 s[6:7], 0
	v_accvgpr_read_b32 v1, a2
	s_addc_u32 s21, s13, 0
	v_cmp_eq_u32_e32 vcc, 0, v1
	s_waitcnt lgkmcnt(0)
	s_barrier
	s_and_saveexec_b64 s[6:7], vcc
	s_cbranch_execz .LBB376_446
; %bb.445:
	s_mul_i32 s8, s21, s18
	s_mul_i32 s8, s8, s19
	;; [unrolled: 1-line block ×3, first 2 shown]
	s_ashr_i32 s9, s8, 31
	s_ashr_i32 s11, s10, 31
	;; [unrolled: 1-line block ×3, first 2 shown]
	s_lshl_b64 s[8:9], s[8:9], 2
	s_lshl_b64 s[10:11], s[10:11], 2
	;; [unrolled: 1-line block ×3, first 2 shown]
	s_add_u32 s10, s12, s10
	s_addc_u32 s11, s13, s11
	s_add_u32 s8, s10, s8
	s_addc_u32 s9, s11, s9
	v_mov_b32_e32 v1, s9
	v_add_co_u32_e32 v4, vcc, s8, v34
	v_addc_co_u32_e32 v5, vcc, v1, v27, vcc
	flat_store_dword v[4:5], v0
	v_add_co_u32_e32 v0, vcc, s8, v26
	v_addc_co_u32_e32 v1, vcc, v1, v25, vcc
	flat_store_dword v[0:1], v2
.LBB376_446:
	s_or_b64 exec, exec, s[6:7]
	s_ashr_i32 s23, s22, 31
	s_lshl_b64 s[6:7], s[22:23], 2
	s_getpc_b64 s[8:9]
	s_add_u32 s8, s8, llvm.amdgcn.dynlds.offset.table@rel32@lo+4
	s_addc_u32 s9, s9, llvm.amdgcn.dynlds.offset.table@rel32@hi+12
	s_add_u32 s6, s6, s8
	v_accvgpr_read_b32 v0, a2
	s_addc_u32 s7, s7, s9
	v_mov_b32_e32 v6, 0
	v_and_b32_e32 v20, 3, v0
	v_mov_b32_e32 v13, 0
	v_mov_b32_e32 v12, 0
	;; [unrolled: 1-line block ×4, first 2 shown]
	s_and_saveexec_b64 s[8:9], s[4:5]
	s_cbranch_execz .LBB376_1054
; %bb.447:
	v_and_b32_e32 v0, 24, v31
	v_max_i32_e32 v30, v30, v36
	v_accvgpr_write_b32 a19, v0
	v_cvt_f32_u32_e32 v0, v30
	v_sub_u32_e32 v4, 0, v30
	v_add_co_u32_e32 v1, vcc, v24, v23
	v_rcp_iflag_f32_e32 v0, v0
	v_add_u32_e32 v3, -1, v35
	v_addc_co_u32_e32 v2, vcc, v22, v29, vcc
	v_mul_f32_e32 v0, 0x4f7ffffe, v0
	v_cvt_u32_f32_e32 v0, v0
	v_accvgpr_write_b32 a20, v3
	v_and_b32_e32 v3, 0x1f8, v31
	s_load_dword s4, s[6:7], 0x0
	v_mul_lo_u32 v4, v4, v0
	v_mul_hi_u32 v4, v0, v4
	v_add_u32_e32 v0, v0, v4
	v_accvgpr_write_b32 a22, v0
	v_add_co_u32_e32 v0, vcc, v1, v3
	v_addc_co_u32_e32 v1, vcc, 0, v2, vcc
	v_accvgpr_write_b32 a25, v1
	v_accvgpr_write_b32 a24, v0
	v_accvgpr_read_b32 v0, a12
	v_accvgpr_read_b32 v1, a13
	v_lshlrev_b64 v[0:1], 2, v[0:1]
	v_add_co_u32_e32 v0, vcc, v32, v0
	v_addc_co_u32_e32 v1, vcc, v33, v1, vcc
	v_add_co_u32_e32 v14, vcc, v14, v0
	v_lshlrev_b32_e32 v0, 5, v20
	s_mov_b32 s10, -1
	v_lshl_or_b32 v0, v28, 7, v0
	v_accvgpr_write_b32 a17, v19
	v_accvgpr_write_b32 a16, v18
	s_mov_b32 s11, 0xffffff
	v_mov_b32_e32 v11, 0
	v_addc_co_u32_e32 v15, vcc, v15, v1, vcc
	v_accvgpr_write_b32 a18, v20
	s_waitcnt lgkmcnt(0)
	v_add_u32_e32 v29, s4, v0
	s_mov_b64 s[12:13], 0
	s_mov_b32 s15, 0x7f800000
	s_movk_i32 s30, 0x7fff
	s_movk_i32 s31, 0x80
	;; [unrolled: 1-line block ×3, first 2 shown]
	v_bfrev_b32_e32 v28, 60
	v_mov_b32_e32 v16, 0
	v_mov_b32_e32 v17, 0
	;; [unrolled: 1-line block ×5, first 2 shown]
	v_accvgpr_read_b32 v1, a15
	s_branch .LBB376_450
.LBB376_448:                            ;   in Loop: Header=BB376_450 Depth=1
	s_or_b64 exec, exec, s[4:5]
	v_and_b32_e32 v8, 0xffff0000, v54
	v_and_b32_e32 v54, 0xffff0000, v53
	;; [unrolled: 1-line block ×8, first 2 shown]
	v_pk_add_f32 v[52:53], v[42:43], v[52:53]
	v_pk_add_f32 v[8:9], v[54:55], v[8:9]
	v_add_f32_e32 v3, v52, v53
	v_add_f32_e32 v3, v3, v8
	v_and_b32_e32 v53, 0xffff0000, v59
	v_and_b32_e32 v52, 0xffff0000, v57
	;; [unrolled: 1-line block ×4, first 2 shown]
	v_add_f32_e32 v3, v3, v9
	v_and_b32_e32 v9, 0xffff0000, v20
	v_and_b32_e32 v8, 0xffff0000, v24
	;; [unrolled: 1-line block ×4, first 2 shown]
	v_pk_add_f32 v[20:21], v[54:55], v[52:53]
	v_add_f32_e32 v13, v13, v3
	v_pk_add_f32 v[8:9], v[24:25], v[8:9]
	v_add_f32_e32 v3, v20, v21
	v_add_f32_e32 v3, v3, v8
	v_and_b32_e32 v21, 0xffff0000, v18
	v_and_b32_e32 v25, 0xffff0000, v33
	;; [unrolled: 1-line block ×5, first 2 shown]
	v_add_f32_e32 v3, v3, v9
	v_and_b32_e32 v9, 0xffff0000, v27
	v_and_b32_e32 v8, 0xffff0000, v37
	;; [unrolled: 1-line block ×3, first 2 shown]
	v_pk_add_f32 v[18:19], v[18:19], v[24:25]
	v_add_f32_e32 v12, v12, v3
	v_pk_add_f32 v[8:9], v[20:21], v[8:9]
	v_add_f32_e32 v3, v18, v19
	v_add_f32_e32 v3, v3, v8
	;; [unrolled: 1-line block ×4, first 2 shown]
	v_accvgpr_read_b32 v3, a27
	v_and_b32_e32 v21, 0xffff0000, v3
	v_accvgpr_read_b32 v3, a23
	v_and_b32_e32 v20, 0xffff0000, v3
	v_accvgpr_read_b32 v3, a26
	v_and_b32_e32 v25, 0xffff0000, v3
	v_accvgpr_read_b32 v3, a21
	v_and_b32_e32 v24, 0xffff0000, v3
	v_and_b32_e32 v9, 0xffff0000, v50
	v_and_b32_e32 v8, 0xffff0000, v48
	;; [unrolled: 1-line block ×4, first 2 shown]
	v_pk_add_f32 v[20:21], v[24:25], v[20:21]
	v_pk_add_f32 v[8:9], v[18:19], v[8:9]
	v_add_f32_e32 v3, v20, v21
	v_add_f32_e32 v3, v3, v8
	;; [unrolled: 1-line block ×3, first 2 shown]
	v_and_b32_e32 v9, 0xffff0000, v10
	v_and_b32_e32 v8, 0xffff0000, v1
	;; [unrolled: 1-line block ×4, first 2 shown]
	v_add_f32_e32 v16, v16, v3
	v_and_b32_e32 v3, 0xffff0000, v2
	v_and_b32_e32 v2, 0xffff0000, v5
	v_and_b32_e32 v7, 0xffff0000, v7
	v_and_b32_e32 v6, 0xffff0000, v35
	v_pk_add_f32 v[0:1], v[0:1], v[8:9]
	v_pk_add_f32 v[2:3], v[6:7], v[2:3]
	v_add_f32_e32 v0, v0, v1
	v_add_f32_e32 v0, v0, v2
	;; [unrolled: 1-line block ×3, first 2 shown]
	v_accvgpr_read_b32 v6, a15
	v_add_f32_e32 v6, v6, v0
.LBB376_449:                            ;   in Loop: Header=BB376_450 Depth=1
	s_or_b64 exec, exec, s[22:23]
	v_accvgpr_read_b32 v2, a12
	v_add_co_u32_e32 v14, vcc, 8, v14
	v_add_u32_e32 v2, 2, v2
	v_addc_co_u32_e32 v15, vcc, 0, v15, vcc
	v_accvgpr_read_b32 v0, a11
	v_accvgpr_read_b32 v1, a13
	v_cmp_ge_i32_e32 vcc, v2, v0
	v_add_u32_e32 v1, 64, v1
	v_accvgpr_write_b32 a12, v2
	s_or_b64 s[12:13], vcc, s[12:13]
	v_add_u32_e32 v29, 0x100, v29
	s_andn2_b64 exec, exec, s[12:13]
	s_cbranch_execz .LBB376_1053
.LBB376_450:                            ; =>This Inner Loop Header: Depth=1
	v_ashrrev_i32_e32 v0, 31, v1
	v_mov_b32_e32 v2, v1
	v_accvgpr_read_b32 v1, a9
	v_xor_b32_e32 v0, v0, v1
	v_sub_u32_e32 v1, 0, v2
	v_accvgpr_write_b32 a13, v2
	v_max_i32_e32 v1, v2, v1
	v_accvgpr_read_b32 v2, a8
	v_mul_hi_u32 v2, v1, v2
	v_accvgpr_read_b32 v4, a7
	v_mul_lo_u32 v3, v2, v4
	v_sub_u32_e32 v1, v1, v3
	v_add_u32_e32 v3, 1, v2
	v_cmp_ge_u32_e32 vcc, v1, v4
	v_cndmask_b32_e32 v2, v2, v3, vcc
	v_sub_u32_e32 v3, v1, v4
	v_cndmask_b32_e32 v1, v1, v3, vcc
	v_add_u32_e32 v3, 1, v2
	v_cmp_ge_u32_e32 vcc, v1, v4
	v_cndmask_b32_e32 v1, v2, v3, vcc
	v_xor_b32_e32 v1, v1, v0
	v_sub_u32_e32 v0, v1, v0
	v_accvgpr_read_b32 v2, a10
	v_add_u32_e32 v1, v0, v2
	v_sub_u32_e32 v3, 0, v1
	v_ashrrev_i32_e32 v2, 31, v1
	v_max_i32_e32 v1, v1, v3
	v_accvgpr_read_b32 v4, a22
	v_mul_hi_u32 v3, v1, v4
	v_mul_lo_u32 v3, v3, v30
	v_sub_u32_e32 v1, v1, v3
	v_sub_u32_e32 v3, v1, v30
	v_cmp_ge_u32_e32 vcc, v1, v30
	v_cndmask_b32_e32 v1, v1, v3, vcc
	v_sub_u32_e32 v3, v1, v30
	v_cmp_ge_u32_e32 vcc, v1, v30
	v_cndmask_b32_e32 v1, v1, v3, vcc
	v_xor_b32_e32 v1, v1, v2
	v_sub_u32_e32 v1, v1, v2
	v_cmp_eq_u32_e32 vcc, 0, v1
	v_accvgpr_read_b32 v1, a14
	v_cmp_gt_i32_e64 s[4:5], v0, v1
	s_or_b64 s[4:5], vcc, s[4:5]
	s_and_saveexec_b64 s[22:23], s[4:5]
	s_cbranch_execz .LBB376_449
; %bb.451:                              ;   in Loop: Header=BB376_450 Depth=1
	flat_load_dword v10, v[14:15]
	v_accvgpr_write_b32 a15, v6
	ds_read2_b64 v[6:9], v29 offset1:1
	ds_read2_b64 v[0:3], v29 offset0:2 offset1:3
	s_waitcnt lgkmcnt(0)
	v_and_b32_e32 v4, 0x7f800000, v6
	v_cmp_ne_u32_e32 vcc, s15, v4
                                        ; implicit-def: $vgpr4
	s_and_saveexec_b64 s[4:5], vcc
	s_xor_b64 s[4:5], exec, s[4:5]
; %bb.452:                              ;   in Loop: Header=BB376_450 Depth=1
	v_bfe_u32 v4, v6, 16, 1
	v_add3_u32 v4, v6, v4, s30
; %bb.453:                              ;   in Loop: Header=BB376_450 Depth=1
	s_andn2_saveexec_b64 s[4:5], s[4:5]
; %bb.454:                              ;   in Loop: Header=BB376_450 Depth=1
	v_or_b32_e32 v4, 0x10000, v6
	v_cmp_eq_u32_sdwa vcc, v6, v11 src0_sel:WORD_0 src1_sel:DWORD
	v_cndmask_b32_e32 v4, v4, v6, vcc
; %bb.455:                              ;   in Loop: Header=BB376_450 Depth=1
	s_or_b64 exec, exec, s[4:5]
	v_and_b32_e32 v5, 0x7f800000, v7
	v_cmp_ne_u32_e32 vcc, s15, v5
                                        ; implicit-def: $vgpr5
	s_and_saveexec_b64 s[4:5], vcc
	s_xor_b64 s[4:5], exec, s[4:5]
; %bb.456:                              ;   in Loop: Header=BB376_450 Depth=1
	v_bfe_u32 v5, v7, 16, 1
	v_add3_u32 v5, v7, v5, s30
; %bb.457:                              ;   in Loop: Header=BB376_450 Depth=1
	s_andn2_saveexec_b64 s[4:5], s[4:5]
; %bb.458:                              ;   in Loop: Header=BB376_450 Depth=1
	v_or_b32_e32 v5, 0x10000, v7
	v_cmp_eq_u32_sdwa vcc, v7, v11 src0_sel:WORD_0 src1_sel:DWORD
	v_cndmask_b32_e32 v5, v5, v7, vcc
; %bb.459:                              ;   in Loop: Header=BB376_450 Depth=1
	s_or_b64 exec, exec, s[4:5]
	v_and_b32_e32 v6, 0x7f800000, v8
	v_cmp_ne_u32_e32 vcc, s15, v6
                                        ; implicit-def: $vgpr24
	s_and_saveexec_b64 s[4:5], vcc
	s_xor_b64 s[4:5], exec, s[4:5]
; %bb.460:                              ;   in Loop: Header=BB376_450 Depth=1
	v_bfe_u32 v6, v8, 16, 1
	v_add3_u32 v24, v8, v6, s30
; %bb.461:                              ;   in Loop: Header=BB376_450 Depth=1
	s_andn2_saveexec_b64 s[4:5], s[4:5]
; %bb.462:                              ;   in Loop: Header=BB376_450 Depth=1
	v_or_b32_e32 v6, 0x10000, v8
	v_cmp_eq_u32_sdwa vcc, v8, v11 src0_sel:WORD_0 src1_sel:DWORD
	v_cndmask_b32_e32 v24, v6, v8, vcc
; %bb.463:                              ;   in Loop: Header=BB376_450 Depth=1
	s_or_b64 exec, exec, s[4:5]
	v_and_b32_e32 v6, 0x7f800000, v9
	v_cmp_ne_u32_e32 vcc, s15, v6
                                        ; implicit-def: $vgpr22
	s_and_saveexec_b64 s[4:5], vcc
	s_xor_b64 s[4:5], exec, s[4:5]
; %bb.464:                              ;   in Loop: Header=BB376_450 Depth=1
	v_bfe_u32 v6, v9, 16, 1
	v_add3_u32 v22, v9, v6, s30
                                        ; implicit-def: $vgpr6_vgpr7_vgpr8_vgpr9
; %bb.465:                              ;   in Loop: Header=BB376_450 Depth=1
	s_andn2_saveexec_b64 s[4:5], s[4:5]
; %bb.466:                              ;   in Loop: Header=BB376_450 Depth=1
	v_or_b32_e32 v6, 0x10000, v9
	v_cmp_eq_u32_sdwa vcc, v9, v11 src0_sel:WORD_0 src1_sel:DWORD
	v_cndmask_b32_e32 v22, v6, v9, vcc
; %bb.467:                              ;   in Loop: Header=BB376_450 Depth=1
	s_or_b64 exec, exec, s[4:5]
	v_and_b32_e32 v6, 0x7f800000, v0
	v_cmp_ne_u32_e32 vcc, s15, v6
                                        ; implicit-def: $vgpr21
	s_and_saveexec_b64 s[4:5], vcc
	s_xor_b64 s[4:5], exec, s[4:5]
; %bb.468:                              ;   in Loop: Header=BB376_450 Depth=1
	v_bfe_u32 v6, v0, 16, 1
	v_add3_u32 v21, v0, v6, s30
; %bb.469:                              ;   in Loop: Header=BB376_450 Depth=1
	s_andn2_saveexec_b64 s[4:5], s[4:5]
; %bb.470:                              ;   in Loop: Header=BB376_450 Depth=1
	v_or_b32_e32 v6, 0x10000, v0
	v_cmp_eq_u32_sdwa vcc, v0, v11 src0_sel:WORD_0 src1_sel:DWORD
	v_cndmask_b32_e32 v21, v6, v0, vcc
; %bb.471:                              ;   in Loop: Header=BB376_450 Depth=1
	s_or_b64 exec, exec, s[4:5]
	v_and_b32_e32 v0, 0x7f800000, v1
	v_cmp_ne_u32_e32 vcc, s15, v0
                                        ; implicit-def: $vgpr20
	s_and_saveexec_b64 s[4:5], vcc
	s_xor_b64 s[4:5], exec, s[4:5]
; %bb.472:                              ;   in Loop: Header=BB376_450 Depth=1
	v_bfe_u32 v0, v1, 16, 1
	v_add3_u32 v20, v1, v0, s30
; %bb.473:                              ;   in Loop: Header=BB376_450 Depth=1
	s_andn2_saveexec_b64 s[4:5], s[4:5]
; %bb.474:                              ;   in Loop: Header=BB376_450 Depth=1
	v_or_b32_e32 v0, 0x10000, v1
	v_cmp_eq_u32_sdwa vcc, v1, v11 src0_sel:WORD_0 src1_sel:DWORD
	v_cndmask_b32_e32 v20, v0, v1, vcc
; %bb.475:                              ;   in Loop: Header=BB376_450 Depth=1
	s_or_b64 exec, exec, s[4:5]
	v_and_b32_e32 v0, 0x7f800000, v2
	v_cmp_ne_u32_e32 vcc, s15, v0
                                        ; implicit-def: $vgpr19
	s_and_saveexec_b64 s[4:5], vcc
	s_xor_b64 s[4:5], exec, s[4:5]
; %bb.476:                              ;   in Loop: Header=BB376_450 Depth=1
	v_bfe_u32 v0, v2, 16, 1
	v_add3_u32 v19, v2, v0, s30
; %bb.477:                              ;   in Loop: Header=BB376_450 Depth=1
	s_andn2_saveexec_b64 s[4:5], s[4:5]
; %bb.478:                              ;   in Loop: Header=BB376_450 Depth=1
	v_or_b32_e32 v0, 0x10000, v2
	v_cmp_eq_u32_sdwa vcc, v2, v11 src0_sel:WORD_0 src1_sel:DWORD
	v_cndmask_b32_e32 v19, v0, v2, vcc
; %bb.479:                              ;   in Loop: Header=BB376_450 Depth=1
	s_or_b64 exec, exec, s[4:5]
	v_and_b32_e32 v0, 0x7f800000, v3
	v_cmp_ne_u32_e32 vcc, s15, v0
                                        ; implicit-def: $vgpr18
	s_and_saveexec_b64 s[4:5], vcc
	s_xor_b64 s[4:5], exec, s[4:5]
; %bb.480:                              ;   in Loop: Header=BB376_450 Depth=1
	v_bfe_u32 v0, v3, 16, 1
	v_add3_u32 v18, v3, v0, s30
                                        ; implicit-def: $vgpr0_vgpr1_vgpr2_vgpr3
; %bb.481:                              ;   in Loop: Header=BB376_450 Depth=1
	s_andn2_saveexec_b64 s[4:5], s[4:5]
; %bb.482:                              ;   in Loop: Header=BB376_450 Depth=1
	v_or_b32_e32 v0, 0x10000, v3
	v_cmp_eq_u32_sdwa vcc, v3, v11 src0_sel:WORD_0 src1_sel:DWORD
	v_cndmask_b32_e32 v18, v0, v3, vcc
; %bb.483:                              ;   in Loop: Header=BB376_450 Depth=1
	s_or_b64 exec, exec, s[4:5]
	v_accvgpr_read_b32 v2, a24
	v_accvgpr_read_b32 v0, a6
	;; [unrolled: 1-line block ×3, first 2 shown]
	s_waitcnt vmcnt(0)
	v_mad_i64_i32 v[0:1], s[4:5], v10, v0, v[2:3]
	v_accvgpr_read_b32 v7, a5
	flat_load_dwordx2 v[2:3], v[0:1]
	v_accvgpr_read_b32 v6, a4
	flat_load_dword v7, v[6:7]
	v_mov_b32_e32 v6, 0
	s_waitcnt vmcnt(0) lgkmcnt(0)
	v_cmp_ne_u16_sdwa s[24:25], v2, v11 src0_sel:BYTE_0 src1_sel:DWORD
	s_and_saveexec_b64 s[4:5], s[24:25]
	s_cbranch_execz .LBB376_489
; %bb.484:                              ;   in Loop: Header=BB376_450 Depth=1
	v_cmp_ne_u16_sdwa s[26:27], v2, s31 src0_sel:BYTE_0 src1_sel:DWORD
	v_bfrev_b32_e32 v6, 1
	s_and_saveexec_b64 s[24:25], s[26:27]
	s_cbranch_execz .LBB376_488
; %bb.485:                              ;   in Loop: Header=BB376_450 Depth=1
	v_and_b32_e32 v8, 0x7f, v2
	v_cmp_ne_u32_e32 vcc, s34, v8
	v_mov_b32_e32 v6, 0x7f800001
	s_and_saveexec_b64 s[26:27], vcc
	s_cbranch_execz .LBB376_487
; %bb.486:                              ;   in Loop: Header=BB376_450 Depth=1
	v_and_b32_e32 v6, 7, v2
	v_ffbh_u32_e32 v6, v6
	v_min_u32_e32 v6, 32, v6
	v_subrev_u32_e32 v10, 28, v6
	v_cmp_gt_u32_e32 vcc, 8, v8
	v_lshrrev_b32_e32 v9, 3, v8
	v_sub_u32_e32 v6, 29, v6
	v_cndmask_b32_e32 v8, 0, v10, vcc
	v_cndmask_b32_e32 v6, v9, v6, vcc
	v_lshlrev_b64 v[8:9], v8, v[2:3]
	v_lshlrev_b32_e32 v8, 20, v8
	v_lshlrev_b32_e32 v9, 24, v2
	v_and_b32_e32 v8, 0x700000, v8
	v_and_b32_e32 v9, 0x80000000, v9
	v_lshl_add_u32 v6, v6, 23, v28
	v_or3_b32 v6, v9, v6, v8
.LBB376_487:                            ;   in Loop: Header=BB376_450 Depth=1
	s_or_b64 exec, exec, s[26:27]
.LBB376_488:                            ;   in Loop: Header=BB376_450 Depth=1
	s_or_b64 exec, exec, s[24:25]
.LBB376_489:                            ;   in Loop: Header=BB376_450 Depth=1
	s_or_b64 exec, exec, s[4:5]
	v_mul_f32_e32 v6, v7, v6
	v_and_b32_e32 v8, 0x7f800000, v6
	v_cmp_ne_u32_e32 vcc, s15, v8
                                        ; implicit-def: $vgpr8
	s_and_saveexec_b64 s[4:5], vcc
	s_xor_b64 s[4:5], exec, s[4:5]
; %bb.490:                              ;   in Loop: Header=BB376_450 Depth=1
	v_bfe_u32 v8, v6, 16, 1
	v_add3_u32 v8, v6, v8, s30
                                        ; implicit-def: $vgpr6
; %bb.491:                              ;   in Loop: Header=BB376_450 Depth=1
	s_andn2_saveexec_b64 s[4:5], s[4:5]
; %bb.492:                              ;   in Loop: Header=BB376_450 Depth=1
	v_or_b32_e32 v8, 0x10000, v6
	v_cmp_eq_u32_sdwa vcc, v6, v11 src0_sel:WORD_0 src1_sel:DWORD
	v_cndmask_b32_e32 v8, v8, v6, vcc
; %bb.493:                              ;   in Loop: Header=BB376_450 Depth=1
	s_or_b64 exec, exec, s[4:5]
	v_lshrrev_b16_e32 v6, 8, v2
	v_cmp_ne_u16_e32 vcc, 0, v6
	v_mov_b32_e32 v9, 0
	s_and_saveexec_b64 s[4:5], vcc
	s_cbranch_execz .LBB376_499
; %bb.494:                              ;   in Loop: Header=BB376_450 Depth=1
	v_cmp_ne_u16_e32 vcc, s31, v6
	v_bfrev_b32_e32 v9, 1
	s_and_saveexec_b64 s[24:25], vcc
	s_cbranch_execz .LBB376_498
; %bb.495:                              ;   in Loop: Header=BB376_450 Depth=1
	v_and_b32_e32 v10, 0x7f, v6
	v_cmp_ne_u32_e32 vcc, s34, v10
	v_mov_b32_e32 v9, 0x7f800001
	s_and_saveexec_b64 s[26:27], vcc
	s_cbranch_execz .LBB376_497
; %bb.496:                              ;   in Loop: Header=BB376_450 Depth=1
	v_and_b32_e32 v9, 7, v6
	v_ffbh_u32_e32 v25, v9
	v_min_u32_e32 v25, 32, v25
	v_subrev_u32_e32 v26, 28, v25
	v_lshlrev_b64 v[26:27], v26, v[6:7]
	v_lshrrev_b32_e32 v23, 3, v10
	v_sub_u32_e32 v6, 29, v25
	v_and_b32_e32 v25, 7, v26
	v_cmp_gt_u32_e32 vcc, 8, v10
	v_cndmask_b32_e32 v6, v23, v6, vcc
	v_cndmask_b32_e32 v9, v9, v25, vcc
	v_lshlrev_b32_e32 v10, 16, v2
	v_lshlrev_b32_e32 v9, 20, v9
	v_and_b32_e32 v10, 0x80000000, v10
	v_lshl_add_u32 v6, v6, 23, v28
	v_or3_b32 v9, v10, v6, v9
.LBB376_497:                            ;   in Loop: Header=BB376_450 Depth=1
	s_or_b64 exec, exec, s[26:27]
.LBB376_498:                            ;   in Loop: Header=BB376_450 Depth=1
	s_or_b64 exec, exec, s[24:25]
.LBB376_499:                            ;   in Loop: Header=BB376_450 Depth=1
	s_or_b64 exec, exec, s[4:5]
	v_mul_f32_e32 v6, v7, v9
	v_and_b32_e32 v9, 0x7f800000, v6
	v_cmp_ne_u32_e32 vcc, s15, v9
                                        ; implicit-def: $vgpr9
	s_and_saveexec_b64 s[4:5], vcc
	s_xor_b64 s[4:5], exec, s[4:5]
; %bb.500:                              ;   in Loop: Header=BB376_450 Depth=1
	v_bfe_u32 v9, v6, 16, 1
	v_add3_u32 v9, v6, v9, s30
                                        ; implicit-def: $vgpr6
; %bb.501:                              ;   in Loop: Header=BB376_450 Depth=1
	s_andn2_saveexec_b64 s[4:5], s[4:5]
; %bb.502:                              ;   in Loop: Header=BB376_450 Depth=1
	v_or_b32_e32 v9, 0x10000, v6
	v_cmp_eq_u32_sdwa vcc, v6, v11 src0_sel:WORD_0 src1_sel:DWORD
	v_cndmask_b32_e32 v9, v9, v6, vcc
; %bb.503:                              ;   in Loop: Header=BB376_450 Depth=1
	s_or_b64 exec, exec, s[4:5]
	v_lshrrev_b32_e32 v6, 16, v2
	v_cmp_ne_u16_sdwa s[24:25], v6, v11 src0_sel:BYTE_0 src1_sel:DWORD
	v_mov_b32_e32 v10, 0
	s_and_saveexec_b64 s[4:5], s[24:25]
	s_cbranch_execz .LBB376_509
; %bb.504:                              ;   in Loop: Header=BB376_450 Depth=1
	v_cmp_ne_u16_sdwa s[26:27], v6, s31 src0_sel:BYTE_0 src1_sel:DWORD
	v_bfrev_b32_e32 v10, 1
	s_and_saveexec_b64 s[24:25], s[26:27]
	s_cbranch_execz .LBB376_508
; %bb.505:                              ;   in Loop: Header=BB376_450 Depth=1
	v_bfe_u32 v25, v2, 16, 7
	v_cmp_ne_u32_e32 vcc, s34, v25
	v_mov_b32_e32 v10, 0x7f800001
	s_and_saveexec_b64 s[26:27], vcc
	s_cbranch_execz .LBB376_507
; %bb.506:                              ;   in Loop: Header=BB376_450 Depth=1
	v_and_b32_e32 v10, 7, v6
	v_ffbh_u32_e32 v26, v10
	v_min_u32_e32 v28, 32, v26
	v_subrev_u32_e32 v26, 28, v28
	v_lshlrev_b64 v[26:27], v26, v[6:7]
	v_lshrrev_b32_e32 v23, 3, v25
	v_sub_u32_e32 v27, 29, v28
	v_and_b32_e32 v26, 7, v26
	v_cmp_gt_u32_e32 vcc, 8, v25
	v_bfrev_b32_e32 v28, 60
	v_cndmask_b32_e32 v23, v23, v27, vcc
	v_cndmask_b32_e32 v10, v10, v26, vcc
	v_lshlrev_b32_e32 v6, 24, v6
	v_lshlrev_b32_e32 v10, 20, v10
	v_and_b32_e32 v6, 0x80000000, v6
	v_lshl_add_u32 v23, v23, 23, v28
	v_or3_b32 v10, v6, v23, v10
.LBB376_507:                            ;   in Loop: Header=BB376_450 Depth=1
	s_or_b64 exec, exec, s[26:27]
.LBB376_508:                            ;   in Loop: Header=BB376_450 Depth=1
	s_or_b64 exec, exec, s[24:25]
.LBB376_509:                            ;   in Loop: Header=BB376_450 Depth=1
	s_or_b64 exec, exec, s[4:5]
	v_mul_f32_e32 v6, v7, v10
	v_and_b32_e32 v10, 0x7f800000, v6
	v_cmp_ne_u32_e32 vcc, s15, v10
                                        ; implicit-def: $vgpr25
	s_and_saveexec_b64 s[4:5], vcc
	s_xor_b64 s[4:5], exec, s[4:5]
; %bb.510:                              ;   in Loop: Header=BB376_450 Depth=1
	v_bfe_u32 v10, v6, 16, 1
	v_add3_u32 v25, v6, v10, s30
                                        ; implicit-def: $vgpr6
; %bb.511:                              ;   in Loop: Header=BB376_450 Depth=1
	s_andn2_saveexec_b64 s[4:5], s[4:5]
; %bb.512:                              ;   in Loop: Header=BB376_450 Depth=1
	v_or_b32_e32 v10, 0x10000, v6
	v_cmp_eq_u32_sdwa vcc, v6, v11 src0_sel:WORD_0 src1_sel:DWORD
	v_cndmask_b32_e32 v25, v10, v6, vcc
; %bb.513:                              ;   in Loop: Header=BB376_450 Depth=1
	s_or_b64 exec, exec, s[4:5]
	v_cmp_lt_u32_e32 vcc, s11, v2
	v_mov_b32_e32 v10, 0
	s_and_saveexec_b64 s[4:5], vcc
	s_cbranch_execz .LBB376_519
; %bb.514:                              ;   in Loop: Header=BB376_450 Depth=1
	v_lshrrev_b32_e32 v6, 24, v2
	v_cmp_ne_u32_e32 vcc, s31, v6
	v_bfrev_b32_e32 v10, 1
	s_and_saveexec_b64 s[24:25], vcc
	s_cbranch_execz .LBB376_518
; %bb.515:                              ;   in Loop: Header=BB376_450 Depth=1
	v_bfe_u32 v26, v2, 24, 7
	v_cmp_ne_u32_e32 vcc, s34, v26
	v_mov_b32_e32 v10, 0x7f800001
	s_and_saveexec_b64 s[26:27], vcc
	s_cbranch_execz .LBB376_517
; %bb.516:                              ;   in Loop: Header=BB376_450 Depth=1
	v_and_b32_e32 v10, 7, v6
	v_ffbh_u32_e32 v27, v10
	v_min_u32_e32 v27, 32, v27
	v_subrev_u32_e32 v28, 28, v27
	v_lshlrev_b64 v[32:33], v28, v[6:7]
	v_lshrrev_b32_e32 v23, 3, v26
	v_sub_u32_e32 v27, 29, v27
	v_and_b32_e32 v28, 7, v32
	v_cmp_gt_u32_e32 vcc, 8, v26
	v_cndmask_b32_e32 v23, v23, v27, vcc
	v_cndmask_b32_e32 v10, v10, v28, vcc
	v_bfrev_b32_e32 v28, 60
	v_lshlrev_b32_e32 v6, 24, v6
	v_lshlrev_b32_e32 v10, 20, v10
	v_and_b32_e32 v6, 0x80000000, v6
	v_lshl_add_u32 v23, v23, 23, v28
	v_or3_b32 v10, v6, v23, v10
.LBB376_517:                            ;   in Loop: Header=BB376_450 Depth=1
	s_or_b64 exec, exec, s[26:27]
.LBB376_518:                            ;   in Loop: Header=BB376_450 Depth=1
	s_or_b64 exec, exec, s[24:25]
.LBB376_519:                            ;   in Loop: Header=BB376_450 Depth=1
	s_or_b64 exec, exec, s[4:5]
	v_mul_f32_e32 v6, v7, v10
	v_and_b32_e32 v10, 0x7f800000, v6
	v_cmp_ne_u32_e32 vcc, s15, v10
                                        ; implicit-def: $vgpr26
	s_and_saveexec_b64 s[4:5], vcc
	s_xor_b64 s[4:5], exec, s[4:5]
; %bb.520:                              ;   in Loop: Header=BB376_450 Depth=1
	v_bfe_u32 v10, v6, 16, 1
	v_add3_u32 v26, v6, v10, s30
                                        ; implicit-def: $vgpr6
; %bb.521:                              ;   in Loop: Header=BB376_450 Depth=1
	s_andn2_saveexec_b64 s[4:5], s[4:5]
; %bb.522:                              ;   in Loop: Header=BB376_450 Depth=1
	v_or_b32_e32 v10, 0x10000, v6
	v_cmp_eq_u32_sdwa vcc, v6, v11 src0_sel:WORD_0 src1_sel:DWORD
	v_cndmask_b32_e32 v26, v10, v6, vcc
; %bb.523:                              ;   in Loop: Header=BB376_450 Depth=1
	s_or_b64 exec, exec, s[4:5]
	v_mov_b32_e32 v10, v3
	v_cmp_ne_u16_sdwa s[24:25], v3, v11 src0_sel:BYTE_0 src1_sel:DWORD
	v_mov_b32_e32 v6, 0
	s_and_saveexec_b64 s[4:5], s[24:25]
	s_cbranch_execz .LBB376_529
; %bb.524:                              ;   in Loop: Header=BB376_450 Depth=1
	v_cmp_ne_u16_sdwa s[26:27], v3, s31 src0_sel:BYTE_0 src1_sel:DWORD
	v_bfrev_b32_e32 v6, 1
	s_and_saveexec_b64 s[24:25], s[26:27]
	s_cbranch_execz .LBB376_528
; %bb.525:                              ;   in Loop: Header=BB376_450 Depth=1
	v_and_b32_e32 v27, 0x7f, v3
	v_cmp_ne_u32_e32 vcc, s34, v27
	v_mov_b32_e32 v6, 0x7f800001
	s_and_saveexec_b64 s[26:27], vcc
	s_cbranch_execz .LBB376_527
; %bb.526:                              ;   in Loop: Header=BB376_450 Depth=1
	v_and_b32_e32 v6, 7, v3
	v_ffbh_u32_e32 v6, v6
	v_min_u32_e32 v6, 32, v6
	v_lshrrev_b32_e32 v23, 3, v27
	v_subrev_u32_e32 v28, 28, v6
	v_sub_u32_e32 v6, 29, v6
	v_cmp_gt_u32_e32 vcc, 8, v27
	v_cndmask_b32_e32 v6, v23, v6, vcc
	v_cndmask_b32_e32 v23, 0, v28, vcc
	v_lshlrev_b64 v[32:33], v23, v[10:11]
	v_bfrev_b32_e32 v28, 60
	v_lshlrev_b32_e32 v23, 20, v32
	v_lshlrev_b32_e32 v27, 24, v10
	v_and_b32_e32 v23, 0x700000, v23
	v_and_b32_e32 v27, 0x80000000, v27
	v_lshl_add_u32 v6, v6, 23, v28
	v_or3_b32 v6, v27, v6, v23
.LBB376_527:                            ;   in Loop: Header=BB376_450 Depth=1
	s_or_b64 exec, exec, s[26:27]
.LBB376_528:                            ;   in Loop: Header=BB376_450 Depth=1
	s_or_b64 exec, exec, s[24:25]
.LBB376_529:                            ;   in Loop: Header=BB376_450 Depth=1
	s_or_b64 exec, exec, s[4:5]
	v_mul_f32_e32 v6, v7, v6
	v_and_b32_e32 v23, 0x7f800000, v6
	v_cmp_ne_u32_e32 vcc, s15, v23
                                        ; implicit-def: $vgpr27
	s_and_saveexec_b64 s[4:5], vcc
	s_xor_b64 s[4:5], exec, s[4:5]
; %bb.530:                              ;   in Loop: Header=BB376_450 Depth=1
	v_bfe_u32 v23, v6, 16, 1
	v_add3_u32 v27, v6, v23, s30
                                        ; implicit-def: $vgpr6
; %bb.531:                              ;   in Loop: Header=BB376_450 Depth=1
	s_andn2_saveexec_b64 s[4:5], s[4:5]
; %bb.532:                              ;   in Loop: Header=BB376_450 Depth=1
	v_or_b32_e32 v23, 0x10000, v6
	v_cmp_eq_u32_sdwa vcc, v6, v11 src0_sel:WORD_0 src1_sel:DWORD
	v_cndmask_b32_e32 v27, v23, v6, vcc
; %bb.533:                              ;   in Loop: Header=BB376_450 Depth=1
	s_or_b64 exec, exec, s[4:5]
	v_lshrrev_b16_e32 v6, 8, v10
	v_cmp_ne_u16_e32 vcc, 0, v6
	v_mov_b32_e32 v31, 0
	s_and_saveexec_b64 s[4:5], vcc
	s_cbranch_execz .LBB376_539
; %bb.534:                              ;   in Loop: Header=BB376_450 Depth=1
	v_cmp_ne_u16_e32 vcc, s31, v6
	v_bfrev_b32_e32 v31, 1
	s_and_saveexec_b64 s[24:25], vcc
	s_cbranch_execz .LBB376_538
; %bb.535:                              ;   in Loop: Header=BB376_450 Depth=1
	v_and_b32_e32 v32, 0x7f, v6
	v_cmp_ne_u32_e32 vcc, s34, v32
	v_mov_b32_e32 v31, 0x7f800001
	s_and_saveexec_b64 s[26:27], vcc
	s_cbranch_execz .LBB376_537
; %bb.536:                              ;   in Loop: Header=BB376_450 Depth=1
	v_and_b32_e32 v23, 7, v6
	v_ffbh_u32_e32 v31, v23
	v_min_u32_e32 v31, 32, v31
	v_subrev_u32_e32 v33, 28, v31
	v_lshlrev_b64 v[34:35], v33, v[6:7]
	v_lshrrev_b32_e32 v28, 3, v32
	v_sub_u32_e32 v6, 29, v31
	v_and_b32_e32 v31, 7, v34
	v_cmp_gt_u32_e32 vcc, 8, v32
	v_cndmask_b32_e32 v6, v28, v6, vcc
	v_bfrev_b32_e32 v28, 60
	v_cndmask_b32_e32 v23, v23, v31, vcc
	v_lshlrev_b32_e32 v10, 16, v10
	v_lshlrev_b32_e32 v23, 20, v23
	v_and_b32_e32 v10, 0x80000000, v10
	v_lshl_add_u32 v6, v6, 23, v28
	v_or3_b32 v31, v10, v6, v23
.LBB376_537:                            ;   in Loop: Header=BB376_450 Depth=1
	s_or_b64 exec, exec, s[26:27]
.LBB376_538:                            ;   in Loop: Header=BB376_450 Depth=1
	s_or_b64 exec, exec, s[24:25]
.LBB376_539:                            ;   in Loop: Header=BB376_450 Depth=1
	s_or_b64 exec, exec, s[4:5]
	v_mul_f32_e32 v6, v7, v31
	v_and_b32_e32 v10, 0x7f800000, v6
	v_cmp_ne_u32_e32 vcc, s15, v10
                                        ; implicit-def: $vgpr10
	s_and_saveexec_b64 s[4:5], vcc
	s_xor_b64 s[4:5], exec, s[4:5]
; %bb.540:                              ;   in Loop: Header=BB376_450 Depth=1
	v_bfe_u32 v10, v6, 16, 1
	v_add3_u32 v10, v6, v10, s30
                                        ; implicit-def: $vgpr6
; %bb.541:                              ;   in Loop: Header=BB376_450 Depth=1
	s_andn2_saveexec_b64 s[4:5], s[4:5]
; %bb.542:                              ;   in Loop: Header=BB376_450 Depth=1
	v_or_b32_e32 v10, 0x10000, v6
	v_cmp_eq_u32_sdwa vcc, v6, v11 src0_sel:WORD_0 src1_sel:DWORD
	v_cndmask_b32_e32 v10, v10, v6, vcc
; %bb.543:                              ;   in Loop: Header=BB376_450 Depth=1
	s_or_b64 exec, exec, s[4:5]
	v_lshrrev_b32_e32 v6, 16, v3
	v_cmp_ne_u16_sdwa s[24:25], v6, v11 src0_sel:BYTE_0 src1_sel:DWORD
	v_mov_b32_e32 v31, 0
	s_and_saveexec_b64 s[4:5], s[24:25]
	s_cbranch_execz .LBB376_549
; %bb.544:                              ;   in Loop: Header=BB376_450 Depth=1
	v_cmp_ne_u16_sdwa s[26:27], v6, s31 src0_sel:BYTE_0 src1_sel:DWORD
	v_bfrev_b32_e32 v31, 1
	s_and_saveexec_b64 s[24:25], s[26:27]
	s_cbranch_execz .LBB376_548
; %bb.545:                              ;   in Loop: Header=BB376_450 Depth=1
	v_bfe_u32 v32, v3, 16, 7
	v_cmp_ne_u32_e32 vcc, s34, v32
	v_mov_b32_e32 v31, 0x7f800001
	s_and_saveexec_b64 s[26:27], vcc
	s_cbranch_execz .LBB376_547
; %bb.546:                              ;   in Loop: Header=BB376_450 Depth=1
	v_and_b32_e32 v23, 7, v6
	v_ffbh_u32_e32 v31, v23
	v_min_u32_e32 v31, 32, v31
	v_subrev_u32_e32 v33, 28, v31
	v_lshlrev_b64 v[34:35], v33, v[6:7]
	v_lshrrev_b32_e32 v28, 3, v32
	v_sub_u32_e32 v31, 29, v31
	v_and_b32_e32 v33, 7, v34
	v_cmp_gt_u32_e32 vcc, 8, v32
	v_bfrev_b32_e32 v36, 60
	v_cndmask_b32_e32 v28, v28, v31, vcc
	v_cndmask_b32_e32 v23, v23, v33, vcc
	v_lshlrev_b32_e32 v6, 24, v6
	v_lshlrev_b32_e32 v23, 20, v23
	v_and_b32_e32 v6, 0x80000000, v6
	v_lshl_add_u32 v28, v28, 23, v36
	v_or3_b32 v31, v6, v28, v23
	v_bfrev_b32_e32 v28, 60
.LBB376_547:                            ;   in Loop: Header=BB376_450 Depth=1
	s_or_b64 exec, exec, s[26:27]
.LBB376_548:                            ;   in Loop: Header=BB376_450 Depth=1
	s_or_b64 exec, exec, s[24:25]
.LBB376_549:                            ;   in Loop: Header=BB376_450 Depth=1
	s_or_b64 exec, exec, s[4:5]
	v_mul_f32_e32 v6, v7, v31
	v_and_b32_e32 v23, 0x7f800000, v6
	v_cmp_ne_u32_e32 vcc, s15, v23
                                        ; implicit-def: $vgpr31
	s_and_saveexec_b64 s[4:5], vcc
	s_xor_b64 s[4:5], exec, s[4:5]
; %bb.550:                              ;   in Loop: Header=BB376_450 Depth=1
	v_bfe_u32 v23, v6, 16, 1
	v_add3_u32 v31, v6, v23, s30
                                        ; implicit-def: $vgpr6
; %bb.551:                              ;   in Loop: Header=BB376_450 Depth=1
	s_andn2_saveexec_b64 s[4:5], s[4:5]
; %bb.552:                              ;   in Loop: Header=BB376_450 Depth=1
	v_or_b32_e32 v23, 0x10000, v6
	v_cmp_eq_u32_sdwa vcc, v6, v11 src0_sel:WORD_0 src1_sel:DWORD
	v_cndmask_b32_e32 v31, v23, v6, vcc
; %bb.553:                              ;   in Loop: Header=BB376_450 Depth=1
	s_or_b64 exec, exec, s[4:5]
	v_cmp_lt_u64_e32 vcc, s[10:11], v[2:3]
	v_mov_b32_e32 v6, 0
	s_and_saveexec_b64 s[4:5], vcc
	s_cbranch_execz .LBB376_559
; %bb.554:                              ;   in Loop: Header=BB376_450 Depth=1
	v_lshrrev_b32_e32 v2, 24, v3
	v_cmp_ne_u32_e32 vcc, s31, v2
	v_bfrev_b32_e32 v6, 1
	s_and_saveexec_b64 s[24:25], vcc
	s_cbranch_execz .LBB376_558
; %bb.555:                              ;   in Loop: Header=BB376_450 Depth=1
	v_bfe_u32 v3, v3, 24, 7
	v_cmp_ne_u32_e32 vcc, s34, v3
	v_mov_b32_e32 v6, 0x7f800001
	s_and_saveexec_b64 s[26:27], vcc
	s_cbranch_execz .LBB376_557
; %bb.556:                              ;   in Loop: Header=BB376_450 Depth=1
	v_and_b32_e32 v6, 7, v2
	v_ffbh_u32_e32 v28, v6
	v_min_u32_e32 v28, 32, v28
	v_subrev_u32_e32 v32, 28, v28
	v_lshlrev_b64 v[32:33], v32, v[2:3]
	v_lshrrev_b32_e32 v23, 3, v3
	v_sub_u32_e32 v28, 29, v28
	v_and_b32_e32 v32, 7, v32
	v_cmp_gt_u32_e32 vcc, 8, v3
	v_cndmask_b32_e32 v3, v23, v28, vcc
	v_bfrev_b32_e32 v28, 60
	v_cndmask_b32_e32 v6, v6, v32, vcc
	v_lshlrev_b32_e32 v2, 24, v2
	v_lshlrev_b32_e32 v6, 20, v6
	v_and_b32_e32 v2, 0x80000000, v2
	v_lshl_add_u32 v3, v3, 23, v28
	v_or3_b32 v6, v2, v3, v6
.LBB376_557:                            ;   in Loop: Header=BB376_450 Depth=1
	s_or_b64 exec, exec, s[26:27]
.LBB376_558:                            ;   in Loop: Header=BB376_450 Depth=1
	s_or_b64 exec, exec, s[24:25]
.LBB376_559:                            ;   in Loop: Header=BB376_450 Depth=1
	s_or_b64 exec, exec, s[4:5]
	v_mul_f32_e32 v3, v7, v6
	v_and_b32_e32 v2, 0x7f800000, v3
	v_cmp_ne_u32_e32 vcc, s15, v2
                                        ; implicit-def: $vgpr2
	s_and_saveexec_b64 s[4:5], vcc
	s_xor_b64 s[4:5], exec, s[4:5]
; %bb.560:                              ;   in Loop: Header=BB376_450 Depth=1
	v_bfe_u32 v2, v3, 16, 1
	v_add3_u32 v2, v3, v2, s30
                                        ; implicit-def: $vgpr3
; %bb.561:                              ;   in Loop: Header=BB376_450 Depth=1
	s_andn2_saveexec_b64 s[4:5], s[4:5]
; %bb.562:                              ;   in Loop: Header=BB376_450 Depth=1
	v_or_b32_e32 v2, 0x10000, v3
	v_cmp_eq_u32_sdwa vcc, v3, v11 src0_sel:WORD_0 src1_sel:DWORD
	v_cndmask_b32_e32 v2, v2, v3, vcc
; %bb.563:                              ;   in Loop: Header=BB376_450 Depth=1
	s_or_b64 exec, exec, s[4:5]
	v_accvgpr_read_b32 v6, a12
	v_accvgpr_read_b32 v3, a20
	v_cmp_eq_u32_e32 vcc, v3, v6
	v_accvgpr_read_b32 v3, a13
	v_accvgpr_read_b32 v6, a19
	v_add_u32_e32 v51, v6, v3
	v_add_u32_e32 v23, 1, v51
	v_accvgpr_write_b32 a34, v23
	v_add_u32_e32 v23, 2, v51
	v_accvgpr_write_b32 a33, v23
	;; [unrolled: 2-line block ×6, first 2 shown]
	v_add_u32_e32 v23, 7, v51
	v_lshrrev_b32_e32 v6, 16, v10
	v_lshrrev_b32_e32 v10, 16, v27
	;; [unrolled: 1-line block ×8, first 2 shown]
	v_accvgpr_write_b32 a28, v23
	s_and_saveexec_b64 s[24:25], vcc
	s_cbranch_execz .LBB376_565
; %bb.564:                              ;   in Loop: Header=BB376_450 Depth=1
	v_accvgpr_read_b32 v23, a3
	v_cmp_lt_i32_e64 s[4:5], v51, v23
	v_accvgpr_read_b32 v27, a34
	v_cndmask_b32_e64 v8, 0, v8, s[4:5]
	v_cmp_lt_i32_e64 s[4:5], v27, v23
	v_accvgpr_read_b32 v27, a33
	v_cndmask_b32_e64 v9, 0, v9, s[4:5]
	;; [unrolled: 3-line block ×7, first 2 shown]
	v_cmp_lt_i32_e64 s[4:5], v27, v23
	v_cndmask_b32_e64 v2, 0, v2, s[4:5]
.LBB376_565:                            ;   in Loop: Header=BB376_450 Depth=1
	s_or_b64 exec, exec, s[24:25]
	v_and_b32_e32 v44, 0xffff0000, v4
	v_lshlrev_b32_e32 v4, 16, v8
	v_mul_f32_e32 v4, v44, v4
	v_and_b32_e32 v8, 0x7f800000, v4
	v_cmp_ne_u32_e64 s[4:5], s15, v8
                                        ; implicit-def: $agpr21
	s_and_saveexec_b64 s[24:25], s[4:5]
	s_xor_b64 s[4:5], exec, s[24:25]
; %bb.566:                              ;   in Loop: Header=BB376_450 Depth=1
	v_bfe_u32 v8, v4, 16, 1
	v_add3_u32 v4, v4, v8, s30
	v_accvgpr_write_b32 a21, v4
                                        ; implicit-def: $vgpr4
; %bb.567:                              ;   in Loop: Header=BB376_450 Depth=1
	s_andn2_saveexec_b64 s[24:25], s[4:5]
; %bb.568:                              ;   in Loop: Header=BB376_450 Depth=1
	v_or_b32_e32 v8, 0x10000, v4
	v_cmp_eq_u32_sdwa s[4:5], v4, v11 src0_sel:WORD_0 src1_sel:DWORD
	v_cndmask_b32_e64 v4, v8, v4, s[4:5]
	v_accvgpr_write_b32 a21, v4
; %bb.569:                              ;   in Loop: Header=BB376_450 Depth=1
	s_or_b64 exec, exec, s[24:25]
	v_and_b32_e32 v45, 0xffff0000, v5
	v_lshlrev_b32_e32 v4, 16, v9
	v_mul_f32_e32 v4, v45, v4
	v_and_b32_e32 v5, 0x7f800000, v4
	v_cmp_ne_u32_e64 s[4:5], s15, v5
                                        ; implicit-def: $agpr23
	s_and_saveexec_b64 s[24:25], s[4:5]
	s_xor_b64 s[4:5], exec, s[24:25]
; %bb.570:                              ;   in Loop: Header=BB376_450 Depth=1
	v_bfe_u32 v5, v4, 16, 1
	v_add3_u32 v4, v4, v5, s30
	v_accvgpr_write_b32 a23, v4
                                        ; implicit-def: $vgpr4
; %bb.571:                              ;   in Loop: Header=BB376_450 Depth=1
	s_andn2_saveexec_b64 s[24:25], s[4:5]
; %bb.572:                              ;   in Loop: Header=BB376_450 Depth=1
	v_or_b32_e32 v5, 0x10000, v4
	v_cmp_eq_u32_sdwa s[4:5], v4, v11 src0_sel:WORD_0 src1_sel:DWORD
	v_cndmask_b32_e64 v4, v5, v4, s[4:5]
	v_accvgpr_write_b32 a23, v4
; %bb.573:                              ;   in Loop: Header=BB376_450 Depth=1
	s_or_b64 exec, exec, s[24:25]
	v_and_b32_e32 v46, 0xffff0000, v24
	v_lshlrev_b32_e32 v4, 16, v25
	v_mul_f32_e32 v4, v46, v4
	v_and_b32_e32 v5, 0x7f800000, v4
	v_cmp_ne_u32_e64 s[4:5], s15, v5
                                        ; implicit-def: $agpr26
	s_and_saveexec_b64 s[24:25], s[4:5]
	s_xor_b64 s[4:5], exec, s[24:25]
; %bb.574:                              ;   in Loop: Header=BB376_450 Depth=1
	v_bfe_u32 v5, v4, 16, 1
	v_add3_u32 v4, v4, v5, s30
	v_accvgpr_write_b32 a26, v4
                                        ; implicit-def: $vgpr4
; %bb.575:                              ;   in Loop: Header=BB376_450 Depth=1
	s_andn2_saveexec_b64 s[24:25], s[4:5]
; %bb.576:                              ;   in Loop: Header=BB376_450 Depth=1
	v_or_b32_e32 v5, 0x10000, v4
	v_cmp_eq_u32_sdwa s[4:5], v4, v11 src0_sel:WORD_0 src1_sel:DWORD
	v_cndmask_b32_e64 v4, v5, v4, s[4:5]
	v_accvgpr_write_b32 a26, v4
; %bb.577:                              ;   in Loop: Header=BB376_450 Depth=1
	s_or_b64 exec, exec, s[24:25]
	v_and_b32_e32 v56, 0xffff0000, v22
	v_lshlrev_b32_e32 v4, 16, v26
	v_mul_f32_e32 v4, v56, v4
	v_and_b32_e32 v5, 0x7f800000, v4
	v_cmp_ne_u32_e64 s[4:5], s15, v5
                                        ; implicit-def: $agpr27
	s_and_saveexec_b64 s[24:25], s[4:5]
	s_xor_b64 s[4:5], exec, s[24:25]
; %bb.578:                              ;   in Loop: Header=BB376_450 Depth=1
	v_bfe_u32 v5, v4, 16, 1
	v_add3_u32 v4, v4, v5, s30
	v_accvgpr_write_b32 a27, v4
                                        ; implicit-def: $vgpr4
; %bb.579:                              ;   in Loop: Header=BB376_450 Depth=1
	s_andn2_saveexec_b64 s[24:25], s[4:5]
; %bb.580:                              ;   in Loop: Header=BB376_450 Depth=1
	v_or_b32_e32 v5, 0x10000, v4
	v_cmp_eq_u32_sdwa s[4:5], v4, v11 src0_sel:WORD_0 src1_sel:DWORD
	v_cndmask_b32_e64 v4, v5, v4, s[4:5]
	v_accvgpr_write_b32 a27, v4
; %bb.581:                              ;   in Loop: Header=BB376_450 Depth=1
	s_or_b64 exec, exec, s[24:25]
	v_and_b32_e32 v60, 0xffff0000, v21
	v_lshlrev_b32_e32 v4, 16, v10
	v_mul_f32_e32 v4, v60, v4
	v_and_b32_e32 v5, 0x7f800000, v4
	v_cmp_ne_u32_e64 s[4:5], s15, v5
                                        ; implicit-def: $vgpr39
	s_and_saveexec_b64 s[24:25], s[4:5]
	s_xor_b64 s[4:5], exec, s[24:25]
; %bb.582:                              ;   in Loop: Header=BB376_450 Depth=1
	v_bfe_u32 v5, v4, 16, 1
	v_add3_u32 v39, v4, v5, s30
                                        ; implicit-def: $vgpr4
; %bb.583:                              ;   in Loop: Header=BB376_450 Depth=1
	s_andn2_saveexec_b64 s[24:25], s[4:5]
; %bb.584:                              ;   in Loop: Header=BB376_450 Depth=1
	v_or_b32_e32 v5, 0x10000, v4
	v_cmp_eq_u32_sdwa s[4:5], v4, v11 src0_sel:WORD_0 src1_sel:DWORD
	v_cndmask_b32_e64 v39, v5, v4, s[4:5]
; %bb.585:                              ;   in Loop: Header=BB376_450 Depth=1
	s_or_b64 exec, exec, s[24:25]
	v_and_b32_e32 v61, 0xffff0000, v20
	v_lshlrev_b32_e32 v4, 16, v6
	v_mul_f32_e32 v4, v61, v4
	v_and_b32_e32 v5, 0x7f800000, v4
	v_cmp_ne_u32_e64 s[4:5], s15, v5
                                        ; implicit-def: $vgpr48
	s_and_saveexec_b64 s[24:25], s[4:5]
	s_xor_b64 s[4:5], exec, s[24:25]
; %bb.586:                              ;   in Loop: Header=BB376_450 Depth=1
	v_bfe_u32 v5, v4, 16, 1
	v_add3_u32 v48, v4, v5, s30
                                        ; implicit-def: $vgpr4
; %bb.587:                              ;   in Loop: Header=BB376_450 Depth=1
	s_andn2_saveexec_b64 s[24:25], s[4:5]
; %bb.588:                              ;   in Loop: Header=BB376_450 Depth=1
	v_or_b32_e32 v5, 0x10000, v4
	v_cmp_eq_u32_sdwa s[4:5], v4, v11 src0_sel:WORD_0 src1_sel:DWORD
	v_cndmask_b32_e64 v48, v5, v4, s[4:5]
; %bb.589:                              ;   in Loop: Header=BB376_450 Depth=1
	s_or_b64 exec, exec, s[24:25]
	v_and_b32_e32 v62, 0xffff0000, v19
	v_lshlrev_b32_e32 v3, 16, v3
	v_mul_f32_e32 v3, v62, v3
	v_and_b32_e32 v4, 0x7f800000, v3
	v_cmp_ne_u32_e64 s[4:5], s15, v4
                                        ; implicit-def: $vgpr49
	s_and_saveexec_b64 s[24:25], s[4:5]
	s_xor_b64 s[4:5], exec, s[24:25]
; %bb.590:                              ;   in Loop: Header=BB376_450 Depth=1
	v_bfe_u32 v4, v3, 16, 1
	v_add3_u32 v49, v3, v4, s30
                                        ; implicit-def: $vgpr3
; %bb.591:                              ;   in Loop: Header=BB376_450 Depth=1
	s_andn2_saveexec_b64 s[24:25], s[4:5]
; %bb.592:                              ;   in Loop: Header=BB376_450 Depth=1
	v_or_b32_e32 v4, 0x10000, v3
	v_cmp_eq_u32_sdwa s[4:5], v3, v11 src0_sel:WORD_0 src1_sel:DWORD
	v_cndmask_b32_e64 v49, v4, v3, s[4:5]
; %bb.593:                              ;   in Loop: Header=BB376_450 Depth=1
	s_or_b64 exec, exec, s[24:25]
	v_and_b32_e32 v34, 0xffff0000, v18
	v_lshlrev_b32_e32 v2, 16, v2
	v_mul_f32_e32 v2, v34, v2
	v_and_b32_e32 v3, 0x7f800000, v2
	v_cmp_ne_u32_e64 s[4:5], s15, v3
                                        ; implicit-def: $vgpr50
	s_and_saveexec_b64 s[24:25], s[4:5]
	s_xor_b64 s[4:5], exec, s[24:25]
; %bb.594:                              ;   in Loop: Header=BB376_450 Depth=1
	v_bfe_u32 v3, v2, 16, 1
	v_add3_u32 v50, v2, v3, s30
                                        ; implicit-def: $vgpr2
; %bb.595:                              ;   in Loop: Header=BB376_450 Depth=1
	s_andn2_saveexec_b64 s[24:25], s[4:5]
; %bb.596:                              ;   in Loop: Header=BB376_450 Depth=1
	v_or_b32_e32 v3, 0x10000, v2
	v_cmp_eq_u32_sdwa s[4:5], v2, v11 src0_sel:WORD_0 src1_sel:DWORD
	v_cndmask_b32_e64 v50, v3, v2, s[4:5]
; %bb.597:                              ;   in Loop: Header=BB376_450 Depth=1
	s_or_b64 exec, exec, s[24:25]
	flat_load_dwordx2 v[2:3], v[0:1] offset:512
	v_mov_b32_e32 v4, 0
	s_waitcnt vmcnt(0) lgkmcnt(0)
	v_cmp_ne_u16_sdwa s[4:5], v2, v11 src0_sel:BYTE_0 src1_sel:DWORD
	s_and_saveexec_b64 s[24:25], s[4:5]
	s_cbranch_execz .LBB376_603
; %bb.598:                              ;   in Loop: Header=BB376_450 Depth=1
	v_cmp_ne_u16_sdwa s[4:5], v2, s31 src0_sel:BYTE_0 src1_sel:DWORD
	v_bfrev_b32_e32 v4, 1
	s_and_saveexec_b64 s[26:27], s[4:5]
	s_cbranch_execz .LBB376_602
; %bb.599:                              ;   in Loop: Header=BB376_450 Depth=1
	v_and_b32_e32 v5, 0x7f, v2
	v_cmp_ne_u32_e64 s[4:5], s34, v5
	v_mov_b32_e32 v4, 0x7f800001
	s_and_saveexec_b64 s[28:29], s[4:5]
	s_cbranch_execz .LBB376_601
; %bb.600:                              ;   in Loop: Header=BB376_450 Depth=1
	v_and_b32_e32 v4, 7, v2
	v_ffbh_u32_e32 v4, v4
	v_min_u32_e32 v4, 32, v4
	v_lshrrev_b32_e32 v6, 3, v5
	v_subrev_u32_e32 v8, 28, v4
	v_sub_u32_e32 v4, 29, v4
	v_cmp_gt_u32_e64 s[4:5], 8, v5
	v_cndmask_b32_e64 v6, v6, v4, s[4:5]
	v_cndmask_b32_e64 v4, 0, v8, s[4:5]
	v_lshlrev_b64 v[4:5], v4, v[2:3]
	v_lshlrev_b32_e32 v4, 20, v4
	v_lshlrev_b32_e32 v5, 24, v2
	v_and_b32_e32 v4, 0x700000, v4
	v_and_b32_e32 v5, 0x80000000, v5
	v_lshl_add_u32 v6, v6, 23, v28
	v_or3_b32 v4, v5, v6, v4
.LBB376_601:                            ;   in Loop: Header=BB376_450 Depth=1
	s_or_b64 exec, exec, s[28:29]
.LBB376_602:                            ;   in Loop: Header=BB376_450 Depth=1
	s_or_b64 exec, exec, s[26:27]
.LBB376_603:                            ;   in Loop: Header=BB376_450 Depth=1
	s_or_b64 exec, exec, s[24:25]
	v_mul_f32_e32 v4, v7, v4
	v_and_b32_e32 v5, 0x7f800000, v4
	v_cmp_ne_u32_e64 s[4:5], s15, v5
                                        ; implicit-def: $vgpr18
	s_and_saveexec_b64 s[24:25], s[4:5]
	s_xor_b64 s[4:5], exec, s[24:25]
; %bb.604:                              ;   in Loop: Header=BB376_450 Depth=1
	v_bfe_u32 v5, v4, 16, 1
	v_add3_u32 v18, v4, v5, s30
                                        ; implicit-def: $vgpr4
; %bb.605:                              ;   in Loop: Header=BB376_450 Depth=1
	s_andn2_saveexec_b64 s[24:25], s[4:5]
; %bb.606:                              ;   in Loop: Header=BB376_450 Depth=1
	v_or_b32_e32 v5, 0x10000, v4
	v_cmp_eq_u32_sdwa s[4:5], v4, v11 src0_sel:WORD_0 src1_sel:DWORD
	v_cndmask_b32_e64 v18, v5, v4, s[4:5]
; %bb.607:                              ;   in Loop: Header=BB376_450 Depth=1
	s_or_b64 exec, exec, s[24:25]
	v_lshrrev_b16_e32 v6, 8, v2
	v_cmp_ne_u16_e64 s[4:5], 0, v6
	v_mov_b32_e32 v4, 0
	s_and_saveexec_b64 s[24:25], s[4:5]
	s_cbranch_execz .LBB376_613
; %bb.608:                              ;   in Loop: Header=BB376_450 Depth=1
	v_cmp_ne_u16_e64 s[4:5], s31, v6
	v_bfrev_b32_e32 v4, 1
	s_and_saveexec_b64 s[26:27], s[4:5]
	s_cbranch_execz .LBB376_612
; %bb.609:                              ;   in Loop: Header=BB376_450 Depth=1
	v_and_b32_e32 v5, 0x7f, v6
	v_cmp_ne_u32_e64 s[4:5], s34, v5
	v_mov_b32_e32 v4, 0x7f800001
	s_and_saveexec_b64 s[28:29], s[4:5]
	s_cbranch_execz .LBB376_611
; %bb.610:                              ;   in Loop: Header=BB376_450 Depth=1
	v_and_b32_e32 v4, 7, v6
	v_ffbh_u32_e32 v9, v4
	v_min_u32_e32 v9, 32, v9
	v_subrev_u32_e32 v10, 28, v9
	v_lshlrev_b64 v[20:21], v10, v[6:7]
	v_lshrrev_b32_e32 v8, 3, v5
	v_sub_u32_e32 v6, 29, v9
	v_and_b32_e32 v9, 7, v20
	v_cmp_gt_u32_e64 s[4:5], 8, v5
	v_cndmask_b32_e64 v5, v8, v6, s[4:5]
	v_cndmask_b32_e64 v4, v4, v9, s[4:5]
	v_lshlrev_b32_e32 v6, 16, v2
	v_lshlrev_b32_e32 v4, 20, v4
	v_and_b32_e32 v6, 0x80000000, v6
	v_lshl_add_u32 v5, v5, 23, v28
	v_or3_b32 v4, v6, v5, v4
.LBB376_611:                            ;   in Loop: Header=BB376_450 Depth=1
	s_or_b64 exec, exec, s[28:29]
.LBB376_612:                            ;   in Loop: Header=BB376_450 Depth=1
	s_or_b64 exec, exec, s[26:27]
.LBB376_613:                            ;   in Loop: Header=BB376_450 Depth=1
	s_or_b64 exec, exec, s[24:25]
	v_mul_f32_e32 v4, v7, v4
	v_and_b32_e32 v5, 0x7f800000, v4
	v_cmp_ne_u32_e64 s[4:5], s15, v5
                                        ; implicit-def: $vgpr19
	s_and_saveexec_b64 s[24:25], s[4:5]
	s_xor_b64 s[4:5], exec, s[24:25]
; %bb.614:                              ;   in Loop: Header=BB376_450 Depth=1
	v_bfe_u32 v5, v4, 16, 1
	v_add3_u32 v19, v4, v5, s30
                                        ; implicit-def: $vgpr4
; %bb.615:                              ;   in Loop: Header=BB376_450 Depth=1
	s_andn2_saveexec_b64 s[24:25], s[4:5]
; %bb.616:                              ;   in Loop: Header=BB376_450 Depth=1
	v_or_b32_e32 v5, 0x10000, v4
	v_cmp_eq_u32_sdwa s[4:5], v4, v11 src0_sel:WORD_0 src1_sel:DWORD
	v_cndmask_b32_e64 v19, v5, v4, s[4:5]
; %bb.617:                              ;   in Loop: Header=BB376_450 Depth=1
	s_or_b64 exec, exec, s[24:25]
	v_lshrrev_b32_e32 v6, 16, v2
	v_cmp_ne_u16_sdwa s[4:5], v6, v11 src0_sel:BYTE_0 src1_sel:DWORD
	v_mov_b32_e32 v4, 0
	s_and_saveexec_b64 s[24:25], s[4:5]
	s_cbranch_execz .LBB376_623
; %bb.618:                              ;   in Loop: Header=BB376_450 Depth=1
	v_cmp_ne_u16_sdwa s[4:5], v6, s31 src0_sel:BYTE_0 src1_sel:DWORD
	v_bfrev_b32_e32 v4, 1
	s_and_saveexec_b64 s[26:27], s[4:5]
	s_cbranch_execz .LBB376_622
; %bb.619:                              ;   in Loop: Header=BB376_450 Depth=1
	v_bfe_u32 v5, v2, 16, 7
	v_cmp_ne_u32_e64 s[4:5], s34, v5
	v_mov_b32_e32 v4, 0x7f800001
	s_and_saveexec_b64 s[28:29], s[4:5]
	s_cbranch_execz .LBB376_621
; %bb.620:                              ;   in Loop: Header=BB376_450 Depth=1
	v_and_b32_e32 v4, 7, v6
	v_ffbh_u32_e32 v9, v4
	v_min_u32_e32 v9, 32, v9
	v_subrev_u32_e32 v10, 28, v9
	v_lshlrev_b64 v[20:21], v10, v[6:7]
	v_lshrrev_b32_e32 v8, 3, v5
	v_sub_u32_e32 v9, 29, v9
	v_and_b32_e32 v10, 7, v20
	v_cmp_gt_u32_e64 s[4:5], 8, v5
	v_cndmask_b32_e64 v5, v8, v9, s[4:5]
	v_cndmask_b32_e64 v4, v4, v10, s[4:5]
	v_lshlrev_b32_e32 v6, 24, v6
	v_lshlrev_b32_e32 v4, 20, v4
	v_and_b32_e32 v6, 0x80000000, v6
	v_lshl_add_u32 v5, v5, 23, v28
	v_or3_b32 v4, v6, v5, v4
.LBB376_621:                            ;   in Loop: Header=BB376_450 Depth=1
	s_or_b64 exec, exec, s[28:29]
.LBB376_622:                            ;   in Loop: Header=BB376_450 Depth=1
	s_or_b64 exec, exec, s[26:27]
.LBB376_623:                            ;   in Loop: Header=BB376_450 Depth=1
	s_or_b64 exec, exec, s[24:25]
	v_mul_f32_e32 v4, v7, v4
	v_and_b32_e32 v5, 0x7f800000, v4
	v_cmp_ne_u32_e64 s[4:5], s15, v5
                                        ; implicit-def: $vgpr20
	s_and_saveexec_b64 s[24:25], s[4:5]
	s_xor_b64 s[4:5], exec, s[24:25]
; %bb.624:                              ;   in Loop: Header=BB376_450 Depth=1
	v_bfe_u32 v5, v4, 16, 1
	v_add3_u32 v20, v4, v5, s30
                                        ; implicit-def: $vgpr4
; %bb.625:                              ;   in Loop: Header=BB376_450 Depth=1
	s_andn2_saveexec_b64 s[24:25], s[4:5]
; %bb.626:                              ;   in Loop: Header=BB376_450 Depth=1
	v_or_b32_e32 v5, 0x10000, v4
	v_cmp_eq_u32_sdwa s[4:5], v4, v11 src0_sel:WORD_0 src1_sel:DWORD
	v_cndmask_b32_e64 v20, v5, v4, s[4:5]
; %bb.627:                              ;   in Loop: Header=BB376_450 Depth=1
	s_or_b64 exec, exec, s[24:25]
	v_cmp_lt_u32_e64 s[4:5], s11, v2
	v_mov_b32_e32 v4, 0
	s_and_saveexec_b64 s[24:25], s[4:5]
	s_cbranch_execz .LBB376_633
; %bb.628:                              ;   in Loop: Header=BB376_450 Depth=1
	v_lshrrev_b32_e32 v6, 24, v2
	v_cmp_ne_u32_e64 s[4:5], s31, v6
	v_bfrev_b32_e32 v4, 1
	s_and_saveexec_b64 s[26:27], s[4:5]
	s_cbranch_execz .LBB376_632
; %bb.629:                              ;   in Loop: Header=BB376_450 Depth=1
	v_bfe_u32 v5, v2, 24, 7
	v_cmp_ne_u32_e64 s[4:5], s34, v5
	v_mov_b32_e32 v4, 0x7f800001
	s_and_saveexec_b64 s[28:29], s[4:5]
	s_cbranch_execz .LBB376_631
; %bb.630:                              ;   in Loop: Header=BB376_450 Depth=1
	v_and_b32_e32 v4, 7, v6
	v_ffbh_u32_e32 v9, v4
	v_min_u32_e32 v9, 32, v9
	v_subrev_u32_e32 v10, 28, v9
	v_lshlrev_b64 v[24:25], v10, v[6:7]
	v_lshrrev_b32_e32 v8, 3, v5
	v_sub_u32_e32 v9, 29, v9
	v_and_b32_e32 v10, 7, v24
	v_cmp_gt_u32_e64 s[4:5], 8, v5
	v_cndmask_b32_e64 v5, v8, v9, s[4:5]
	v_cndmask_b32_e64 v4, v4, v10, s[4:5]
	v_lshlrev_b32_e32 v6, 24, v6
	v_lshlrev_b32_e32 v4, 20, v4
	v_and_b32_e32 v6, 0x80000000, v6
	v_lshl_add_u32 v5, v5, 23, v28
	v_or3_b32 v4, v6, v5, v4
.LBB376_631:                            ;   in Loop: Header=BB376_450 Depth=1
	s_or_b64 exec, exec, s[28:29]
.LBB376_632:                            ;   in Loop: Header=BB376_450 Depth=1
	s_or_b64 exec, exec, s[26:27]
.LBB376_633:                            ;   in Loop: Header=BB376_450 Depth=1
	s_or_b64 exec, exec, s[24:25]
	v_mul_f32_e32 v4, v7, v4
	v_and_b32_e32 v5, 0x7f800000, v4
	v_cmp_ne_u32_e64 s[4:5], s15, v5
                                        ; implicit-def: $vgpr21
	s_and_saveexec_b64 s[24:25], s[4:5]
	s_xor_b64 s[4:5], exec, s[24:25]
; %bb.634:                              ;   in Loop: Header=BB376_450 Depth=1
	v_bfe_u32 v5, v4, 16, 1
	v_add3_u32 v21, v4, v5, s30
                                        ; implicit-def: $vgpr4
; %bb.635:                              ;   in Loop: Header=BB376_450 Depth=1
	s_andn2_saveexec_b64 s[24:25], s[4:5]
; %bb.636:                              ;   in Loop: Header=BB376_450 Depth=1
	v_or_b32_e32 v5, 0x10000, v4
	v_cmp_eq_u32_sdwa s[4:5], v4, v11 src0_sel:WORD_0 src1_sel:DWORD
	v_cndmask_b32_e64 v21, v5, v4, s[4:5]
; %bb.637:                              ;   in Loop: Header=BB376_450 Depth=1
	s_or_b64 exec, exec, s[24:25]
	v_mov_b32_e32 v10, v3
	v_cmp_ne_u16_sdwa s[4:5], v3, v11 src0_sel:BYTE_0 src1_sel:DWORD
	v_mov_b32_e32 v4, 0
	s_and_saveexec_b64 s[24:25], s[4:5]
	s_cbranch_execz .LBB376_643
; %bb.638:                              ;   in Loop: Header=BB376_450 Depth=1
	v_cmp_ne_u16_sdwa s[4:5], v3, s31 src0_sel:BYTE_0 src1_sel:DWORD
	v_bfrev_b32_e32 v4, 1
	s_and_saveexec_b64 s[26:27], s[4:5]
	s_cbranch_execz .LBB376_642
; %bb.639:                              ;   in Loop: Header=BB376_450 Depth=1
	v_and_b32_e32 v5, 0x7f, v3
	v_cmp_ne_u32_e64 s[4:5], s34, v5
	v_mov_b32_e32 v4, 0x7f800001
	s_and_saveexec_b64 s[28:29], s[4:5]
	s_cbranch_execz .LBB376_641
; %bb.640:                              ;   in Loop: Header=BB376_450 Depth=1
	v_and_b32_e32 v4, 7, v3
	v_ffbh_u32_e32 v4, v4
	v_min_u32_e32 v4, 32, v4
	v_lshrrev_b32_e32 v6, 3, v5
	v_subrev_u32_e32 v8, 28, v4
	v_sub_u32_e32 v4, 29, v4
	v_cmp_gt_u32_e64 s[4:5], 8, v5
	v_cndmask_b32_e64 v6, v6, v4, s[4:5]
	v_cndmask_b32_e64 v4, 0, v8, s[4:5]
	v_lshlrev_b64 v[4:5], v4, v[10:11]
	v_lshlrev_b32_e32 v4, 20, v4
	v_lshlrev_b32_e32 v5, 24, v10
	v_and_b32_e32 v4, 0x700000, v4
	v_and_b32_e32 v5, 0x80000000, v5
	v_lshl_add_u32 v6, v6, 23, v28
	v_or3_b32 v4, v5, v6, v4
.LBB376_641:                            ;   in Loop: Header=BB376_450 Depth=1
	s_or_b64 exec, exec, s[28:29]
.LBB376_642:                            ;   in Loop: Header=BB376_450 Depth=1
	s_or_b64 exec, exec, s[26:27]
.LBB376_643:                            ;   in Loop: Header=BB376_450 Depth=1
	s_or_b64 exec, exec, s[24:25]
	v_mul_f32_e32 v5, v7, v4
	v_and_b32_e32 v4, 0x7f800000, v5
	v_cmp_ne_u32_e64 s[4:5], s15, v4
                                        ; implicit-def: $vgpr4
	s_and_saveexec_b64 s[24:25], s[4:5]
	s_xor_b64 s[4:5], exec, s[24:25]
; %bb.644:                              ;   in Loop: Header=BB376_450 Depth=1
	v_bfe_u32 v4, v5, 16, 1
	v_add3_u32 v4, v5, v4, s30
                                        ; implicit-def: $vgpr5
; %bb.645:                              ;   in Loop: Header=BB376_450 Depth=1
	s_andn2_saveexec_b64 s[24:25], s[4:5]
; %bb.646:                              ;   in Loop: Header=BB376_450 Depth=1
	v_or_b32_e32 v4, 0x10000, v5
	v_cmp_eq_u32_sdwa s[4:5], v5, v11 src0_sel:WORD_0 src1_sel:DWORD
	v_cndmask_b32_e64 v4, v4, v5, s[4:5]
; %bb.647:                              ;   in Loop: Header=BB376_450 Depth=1
	s_or_b64 exec, exec, s[24:25]
	v_lshrrev_b16_e32 v6, 8, v10
	v_cmp_ne_u16_e64 s[4:5], 0, v6
	v_mov_b32_e32 v5, 0
	s_and_saveexec_b64 s[24:25], s[4:5]
	s_cbranch_execz .LBB376_653
; %bb.648:                              ;   in Loop: Header=BB376_450 Depth=1
	v_cmp_ne_u16_e64 s[4:5], s31, v6
	v_bfrev_b32_e32 v5, 1
	s_and_saveexec_b64 s[26:27], s[4:5]
	s_cbranch_execz .LBB376_652
; %bb.649:                              ;   in Loop: Header=BB376_450 Depth=1
	v_and_b32_e32 v22, 0x7f, v6
	v_cmp_ne_u32_e64 s[4:5], s34, v22
	v_mov_b32_e32 v5, 0x7f800001
	s_and_saveexec_b64 s[28:29], s[4:5]
	s_cbranch_execz .LBB376_651
; %bb.650:                              ;   in Loop: Header=BB376_450 Depth=1
	v_and_b32_e32 v5, 7, v6
	v_ffbh_u32_e32 v9, v5
	v_min_u32_e32 v9, 32, v9
	v_subrev_u32_e32 v23, 28, v9
	v_lshlrev_b64 v[24:25], v23, v[6:7]
	v_lshrrev_b32_e32 v8, 3, v22
	v_sub_u32_e32 v6, 29, v9
	v_and_b32_e32 v9, 7, v24
	v_cmp_gt_u32_e64 s[4:5], 8, v22
	v_cndmask_b32_e64 v6, v8, v6, s[4:5]
	v_cndmask_b32_e64 v5, v5, v9, s[4:5]
	v_lshlrev_b32_e32 v8, 16, v10
	v_lshlrev_b32_e32 v5, 20, v5
	v_and_b32_e32 v8, 0x80000000, v8
	v_lshl_add_u32 v6, v6, 23, v28
	v_or3_b32 v5, v8, v6, v5
.LBB376_651:                            ;   in Loop: Header=BB376_450 Depth=1
	s_or_b64 exec, exec, s[28:29]
.LBB376_652:                            ;   in Loop: Header=BB376_450 Depth=1
	s_or_b64 exec, exec, s[26:27]
.LBB376_653:                            ;   in Loop: Header=BB376_450 Depth=1
	s_or_b64 exec, exec, s[24:25]
	v_mul_f32_e32 v6, v7, v5
	v_and_b32_e32 v5, 0x7f800000, v6
	v_cmp_ne_u32_e64 s[4:5], s15, v5
                                        ; implicit-def: $vgpr5
	s_and_saveexec_b64 s[24:25], s[4:5]
	s_xor_b64 s[4:5], exec, s[24:25]
; %bb.654:                              ;   in Loop: Header=BB376_450 Depth=1
	v_bfe_u32 v5, v6, 16, 1
	v_add3_u32 v5, v6, v5, s30
                                        ; implicit-def: $vgpr6
; %bb.655:                              ;   in Loop: Header=BB376_450 Depth=1
	s_andn2_saveexec_b64 s[24:25], s[4:5]
; %bb.656:                              ;   in Loop: Header=BB376_450 Depth=1
	v_or_b32_e32 v5, 0x10000, v6
	v_cmp_eq_u32_sdwa s[4:5], v6, v11 src0_sel:WORD_0 src1_sel:DWORD
	v_cndmask_b32_e64 v5, v5, v6, s[4:5]
; %bb.657:                              ;   in Loop: Header=BB376_450 Depth=1
	s_or_b64 exec, exec, s[24:25]
	v_lshrrev_b32_e32 v6, 16, v3
	v_cmp_ne_u16_sdwa s[4:5], v6, v11 src0_sel:BYTE_0 src1_sel:DWORD
	v_mov_b32_e32 v10, 0
	s_and_saveexec_b64 s[24:25], s[4:5]
	s_cbranch_execz .LBB376_663
; %bb.658:                              ;   in Loop: Header=BB376_450 Depth=1
	v_cmp_ne_u16_sdwa s[4:5], v6, s31 src0_sel:BYTE_0 src1_sel:DWORD
	v_bfrev_b32_e32 v10, 1
	s_and_saveexec_b64 s[26:27], s[4:5]
	s_cbranch_execz .LBB376_662
; %bb.659:                              ;   in Loop: Header=BB376_450 Depth=1
	v_bfe_u32 v22, v3, 16, 7
	v_cmp_ne_u32_e64 s[4:5], s34, v22
	v_mov_b32_e32 v10, 0x7f800001
	s_and_saveexec_b64 s[28:29], s[4:5]
	s_cbranch_execz .LBB376_661
; %bb.660:                              ;   in Loop: Header=BB376_450 Depth=1
	v_and_b32_e32 v8, 7, v6
	v_ffbh_u32_e32 v10, v8
	v_min_u32_e32 v10, 32, v10
	v_subrev_u32_e32 v23, 28, v10
	v_lshlrev_b64 v[24:25], v23, v[6:7]
	v_lshrrev_b32_e32 v9, 3, v22
	v_sub_u32_e32 v10, 29, v10
	v_and_b32_e32 v23, 7, v24
	v_cmp_gt_u32_e64 s[4:5], 8, v22
	v_cndmask_b32_e64 v9, v9, v10, s[4:5]
	v_cndmask_b32_e64 v8, v8, v23, s[4:5]
	v_lshlrev_b32_e32 v6, 24, v6
	v_lshlrev_b32_e32 v8, 20, v8
	v_and_b32_e32 v6, 0x80000000, v6
	v_lshl_add_u32 v9, v9, 23, v28
	v_or3_b32 v10, v6, v9, v8
.LBB376_661:                            ;   in Loop: Header=BB376_450 Depth=1
	s_or_b64 exec, exec, s[28:29]
.LBB376_662:                            ;   in Loop: Header=BB376_450 Depth=1
	s_or_b64 exec, exec, s[26:27]
.LBB376_663:                            ;   in Loop: Header=BB376_450 Depth=1
	s_or_b64 exec, exec, s[24:25]
	v_mul_f32_e32 v6, v7, v10
	v_and_b32_e32 v8, 0x7f800000, v6
	v_cmp_ne_u32_e64 s[4:5], s15, v8
                                        ; implicit-def: $vgpr10
	s_and_saveexec_b64 s[24:25], s[4:5]
	s_xor_b64 s[4:5], exec, s[24:25]
; %bb.664:                              ;   in Loop: Header=BB376_450 Depth=1
	v_bfe_u32 v8, v6, 16, 1
	v_add3_u32 v10, v6, v8, s30
                                        ; implicit-def: $vgpr6
; %bb.665:                              ;   in Loop: Header=BB376_450 Depth=1
	s_andn2_saveexec_b64 s[24:25], s[4:5]
; %bb.666:                              ;   in Loop: Header=BB376_450 Depth=1
	v_or_b32_e32 v8, 0x10000, v6
	v_cmp_eq_u32_sdwa s[4:5], v6, v11 src0_sel:WORD_0 src1_sel:DWORD
	v_cndmask_b32_e64 v10, v8, v6, s[4:5]
; %bb.667:                              ;   in Loop: Header=BB376_450 Depth=1
	s_or_b64 exec, exec, s[24:25]
	v_cmp_lt_u64_e64 s[4:5], s[10:11], v[2:3]
	v_mov_b32_e32 v6, 0
	s_and_saveexec_b64 s[24:25], s[4:5]
	s_cbranch_execz .LBB376_673
; %bb.668:                              ;   in Loop: Header=BB376_450 Depth=1
	v_lshrrev_b32_e32 v2, 24, v3
	v_cmp_ne_u32_e64 s[4:5], s31, v2
	v_bfrev_b32_e32 v6, 1
	s_and_saveexec_b64 s[26:27], s[4:5]
	s_cbranch_execz .LBB376_672
; %bb.669:                              ;   in Loop: Header=BB376_450 Depth=1
	v_bfe_u32 v3, v3, 24, 7
	v_cmp_ne_u32_e64 s[4:5], s34, v3
	v_mov_b32_e32 v6, 0x7f800001
	s_and_saveexec_b64 s[28:29], s[4:5]
	s_cbranch_execz .LBB376_671
; %bb.670:                              ;   in Loop: Header=BB376_450 Depth=1
	v_and_b32_e32 v6, 7, v2
	v_ffbh_u32_e32 v9, v6
	v_min_u32_e32 v9, 32, v9
	v_subrev_u32_e32 v22, 28, v9
	v_lshlrev_b64 v[24:25], v22, v[2:3]
	v_lshrrev_b32_e32 v8, 3, v3
	v_sub_u32_e32 v9, 29, v9
	v_and_b32_e32 v22, 7, v24
	v_cmp_gt_u32_e64 s[4:5], 8, v3
	v_cndmask_b32_e64 v3, v8, v9, s[4:5]
	v_cndmask_b32_e64 v6, v6, v22, s[4:5]
	v_lshlrev_b32_e32 v2, 24, v2
	v_lshlrev_b32_e32 v6, 20, v6
	v_and_b32_e32 v2, 0x80000000, v2
	v_lshl_add_u32 v3, v3, 23, v28
	v_or3_b32 v6, v2, v3, v6
.LBB376_671:                            ;   in Loop: Header=BB376_450 Depth=1
	s_or_b64 exec, exec, s[28:29]
.LBB376_672:                            ;   in Loop: Header=BB376_450 Depth=1
	s_or_b64 exec, exec, s[26:27]
.LBB376_673:                            ;   in Loop: Header=BB376_450 Depth=1
	s_or_b64 exec, exec, s[24:25]
	v_mul_f32_e32 v3, v7, v6
	v_and_b32_e32 v2, 0x7f800000, v3
	v_cmp_ne_u32_e64 s[4:5], s15, v2
                                        ; implicit-def: $vgpr2
	s_and_saveexec_b64 s[24:25], s[4:5]
	s_xor_b64 s[4:5], exec, s[24:25]
; %bb.674:                              ;   in Loop: Header=BB376_450 Depth=1
	v_bfe_u32 v2, v3, 16, 1
	v_add3_u32 v2, v3, v2, s30
                                        ; implicit-def: $vgpr3
; %bb.675:                              ;   in Loop: Header=BB376_450 Depth=1
	s_andn2_saveexec_b64 s[24:25], s[4:5]
; %bb.676:                              ;   in Loop: Header=BB376_450 Depth=1
	v_or_b32_e32 v2, 0x10000, v3
	v_cmp_eq_u32_sdwa s[4:5], v3, v11 src0_sel:WORD_0 src1_sel:DWORD
	v_cndmask_b32_e64 v2, v2, v3, s[4:5]
; %bb.677:                              ;   in Loop: Header=BB376_450 Depth=1
	s_or_b64 exec, exec, s[24:25]
	v_lshrrev_b32_e32 v6, 16, v5
	v_lshrrev_b32_e32 v4, 16, v4
	;; [unrolled: 1-line block ×8, first 2 shown]
	s_and_saveexec_b64 s[24:25], vcc
	s_cbranch_execz .LBB376_679
; %bb.678:                              ;   in Loop: Header=BB376_450 Depth=1
	v_accvgpr_read_b32 v8, a3
	v_cmp_lt_i32_e64 s[4:5], v51, v8
	v_accvgpr_read_b32 v9, a34
	v_cndmask_b32_e64 v18, 0, v18, s[4:5]
	v_cmp_lt_i32_e64 s[4:5], v9, v8
	v_accvgpr_read_b32 v9, a33
	v_cndmask_b32_e64 v19, 0, v19, s[4:5]
	;; [unrolled: 3-line block ×7, first 2 shown]
	v_cmp_lt_i32_e64 s[4:5], v9, v8
	v_cndmask_b32_e64 v2, 0, v2, s[4:5]
.LBB376_679:                            ;   in Loop: Header=BB376_450 Depth=1
	s_or_b64 exec, exec, s[24:25]
	v_lshlrev_b32_e32 v8, 16, v18
	v_mul_f32_e32 v10, v44, v8
	v_and_b32_e32 v8, 0x7f800000, v10
	v_cmp_ne_u32_e64 s[4:5], s15, v8
                                        ; implicit-def: $vgpr31
	s_and_saveexec_b64 s[24:25], s[4:5]
	s_xor_b64 s[4:5], exec, s[24:25]
; %bb.680:                              ;   in Loop: Header=BB376_450 Depth=1
	v_bfe_u32 v8, v10, 16, 1
	v_add3_u32 v31, v10, v8, s30
                                        ; implicit-def: $vgpr10
; %bb.681:                              ;   in Loop: Header=BB376_450 Depth=1
	s_andn2_saveexec_b64 s[24:25], s[4:5]
; %bb.682:                              ;   in Loop: Header=BB376_450 Depth=1
	v_or_b32_e32 v8, 0x10000, v10
	v_cmp_eq_u32_sdwa s[4:5], v10, v11 src0_sel:WORD_0 src1_sel:DWORD
	v_cndmask_b32_e64 v31, v8, v10, s[4:5]
; %bb.683:                              ;   in Loop: Header=BB376_450 Depth=1
	s_or_b64 exec, exec, s[24:25]
	v_lshlrev_b32_e32 v8, 16, v19
	v_mul_f32_e32 v10, v45, v8
	v_and_b32_e32 v8, 0x7f800000, v10
	v_cmp_ne_u32_e64 s[4:5], s15, v8
                                        ; implicit-def: $vgpr19
	s_and_saveexec_b64 s[24:25], s[4:5]
	s_xor_b64 s[4:5], exec, s[24:25]
; %bb.684:                              ;   in Loop: Header=BB376_450 Depth=1
	v_bfe_u32 v8, v10, 16, 1
	v_add3_u32 v19, v10, v8, s30
                                        ; implicit-def: $vgpr10
; %bb.685:                              ;   in Loop: Header=BB376_450 Depth=1
	s_andn2_saveexec_b64 s[24:25], s[4:5]
; %bb.686:                              ;   in Loop: Header=BB376_450 Depth=1
	v_or_b32_e32 v8, 0x10000, v10
	v_cmp_eq_u32_sdwa s[4:5], v10, v11 src0_sel:WORD_0 src1_sel:DWORD
	v_cndmask_b32_e64 v19, v8, v10, s[4:5]
; %bb.687:                              ;   in Loop: Header=BB376_450 Depth=1
	s_or_b64 exec, exec, s[24:25]
	v_lshlrev_b32_e32 v8, 16, v20
	v_mul_f32_e32 v10, v46, v8
	v_and_b32_e32 v8, 0x7f800000, v10
	v_cmp_ne_u32_e64 s[4:5], s15, v8
                                        ; implicit-def: $vgpr32
	s_and_saveexec_b64 s[24:25], s[4:5]
	s_xor_b64 s[4:5], exec, s[24:25]
; %bb.688:                              ;   in Loop: Header=BB376_450 Depth=1
	v_bfe_u32 v8, v10, 16, 1
	v_add3_u32 v32, v10, v8, s30
                                        ; implicit-def: $vgpr10
; %bb.689:                              ;   in Loop: Header=BB376_450 Depth=1
	s_andn2_saveexec_b64 s[24:25], s[4:5]
; %bb.690:                              ;   in Loop: Header=BB376_450 Depth=1
	v_or_b32_e32 v8, 0x10000, v10
	v_cmp_eq_u32_sdwa s[4:5], v10, v11 src0_sel:WORD_0 src1_sel:DWORD
	v_cndmask_b32_e64 v32, v8, v10, s[4:5]
; %bb.691:                              ;   in Loop: Header=BB376_450 Depth=1
	s_or_b64 exec, exec, s[24:25]
	v_lshlrev_b32_e32 v5, 16, v5
	v_mul_f32_e32 v5, v56, v5
	v_and_b32_e32 v8, 0x7f800000, v5
	v_cmp_ne_u32_e64 s[4:5], s15, v8
                                        ; implicit-def: $vgpr33
	s_and_saveexec_b64 s[24:25], s[4:5]
	s_xor_b64 s[4:5], exec, s[24:25]
; %bb.692:                              ;   in Loop: Header=BB376_450 Depth=1
	v_bfe_u32 v8, v5, 16, 1
	v_add3_u32 v33, v5, v8, s30
                                        ; implicit-def: $vgpr5
; %bb.693:                              ;   in Loop: Header=BB376_450 Depth=1
	s_andn2_saveexec_b64 s[24:25], s[4:5]
; %bb.694:                              ;   in Loop: Header=BB376_450 Depth=1
	v_or_b32_e32 v8, 0x10000, v5
	v_cmp_eq_u32_sdwa s[4:5], v5, v11 src0_sel:WORD_0 src1_sel:DWORD
	v_cndmask_b32_e64 v33, v8, v5, s[4:5]
; %bb.695:                              ;   in Loop: Header=BB376_450 Depth=1
	s_or_b64 exec, exec, s[24:25]
	v_lshlrev_b32_e32 v4, 16, v4
	v_mul_f32_e32 v4, v60, v4
	v_and_b32_e32 v5, 0x7f800000, v4
	v_cmp_ne_u32_e64 s[4:5], s15, v5
                                        ; implicit-def: $vgpr36
	s_and_saveexec_b64 s[24:25], s[4:5]
	s_xor_b64 s[4:5], exec, s[24:25]
; %bb.696:                              ;   in Loop: Header=BB376_450 Depth=1
	v_bfe_u32 v5, v4, 16, 1
	v_add3_u32 v36, v4, v5, s30
                                        ; implicit-def: $vgpr4
; %bb.697:                              ;   in Loop: Header=BB376_450 Depth=1
	s_andn2_saveexec_b64 s[24:25], s[4:5]
; %bb.698:                              ;   in Loop: Header=BB376_450 Depth=1
	v_or_b32_e32 v5, 0x10000, v4
	v_cmp_eq_u32_sdwa s[4:5], v4, v11 src0_sel:WORD_0 src1_sel:DWORD
	v_cndmask_b32_e64 v36, v5, v4, s[4:5]
; %bb.699:                              ;   in Loop: Header=BB376_450 Depth=1
	s_or_b64 exec, exec, s[24:25]
	v_lshlrev_b32_e32 v4, 16, v6
	v_mul_f32_e32 v4, v61, v4
	v_and_b32_e32 v5, 0x7f800000, v4
	v_cmp_ne_u32_e64 s[4:5], s15, v5
                                        ; implicit-def: $vgpr37
	s_and_saveexec_b64 s[24:25], s[4:5]
	s_xor_b64 s[4:5], exec, s[24:25]
; %bb.700:                              ;   in Loop: Header=BB376_450 Depth=1
	v_bfe_u32 v5, v4, 16, 1
	v_add3_u32 v37, v4, v5, s30
                                        ; implicit-def: $vgpr4
; %bb.701:                              ;   in Loop: Header=BB376_450 Depth=1
	s_andn2_saveexec_b64 s[24:25], s[4:5]
; %bb.702:                              ;   in Loop: Header=BB376_450 Depth=1
	v_or_b32_e32 v5, 0x10000, v4
	v_cmp_eq_u32_sdwa s[4:5], v4, v11 src0_sel:WORD_0 src1_sel:DWORD
	v_cndmask_b32_e64 v37, v5, v4, s[4:5]
; %bb.703:                              ;   in Loop: Header=BB376_450 Depth=1
	s_or_b64 exec, exec, s[24:25]
	v_lshlrev_b32_e32 v3, 16, v3
	v_mul_f32_e32 v3, v62, v3
	v_and_b32_e32 v4, 0x7f800000, v3
	v_cmp_ne_u32_e64 s[4:5], s15, v4
                                        ; implicit-def: $vgpr18
	s_and_saveexec_b64 s[24:25], s[4:5]
	s_xor_b64 s[4:5], exec, s[24:25]
; %bb.704:                              ;   in Loop: Header=BB376_450 Depth=1
	v_bfe_u32 v4, v3, 16, 1
	v_add3_u32 v18, v3, v4, s30
                                        ; implicit-def: $vgpr3
; %bb.705:                              ;   in Loop: Header=BB376_450 Depth=1
	s_andn2_saveexec_b64 s[24:25], s[4:5]
; %bb.706:                              ;   in Loop: Header=BB376_450 Depth=1
	v_or_b32_e32 v4, 0x10000, v3
	v_cmp_eq_u32_sdwa s[4:5], v3, v11 src0_sel:WORD_0 src1_sel:DWORD
	v_cndmask_b32_e64 v18, v4, v3, s[4:5]
; %bb.707:                              ;   in Loop: Header=BB376_450 Depth=1
	s_or_b64 exec, exec, s[24:25]
	v_lshlrev_b32_e32 v2, 16, v2
	v_mul_f32_e32 v2, v34, v2
	v_and_b32_e32 v3, 0x7f800000, v2
	v_cmp_ne_u32_e64 s[4:5], s15, v3
                                        ; implicit-def: $vgpr27
	s_and_saveexec_b64 s[24:25], s[4:5]
	s_xor_b64 s[4:5], exec, s[24:25]
; %bb.708:                              ;   in Loop: Header=BB376_450 Depth=1
	v_bfe_u32 v3, v2, 16, 1
	v_add3_u32 v27, v2, v3, s30
                                        ; implicit-def: $vgpr2
; %bb.709:                              ;   in Loop: Header=BB376_450 Depth=1
	s_andn2_saveexec_b64 s[24:25], s[4:5]
; %bb.710:                              ;   in Loop: Header=BB376_450 Depth=1
	v_or_b32_e32 v3, 0x10000, v2
	v_cmp_eq_u32_sdwa s[4:5], v2, v11 src0_sel:WORD_0 src1_sel:DWORD
	v_cndmask_b32_e64 v27, v3, v2, s[4:5]
; %bb.711:                              ;   in Loop: Header=BB376_450 Depth=1
	s_or_b64 exec, exec, s[24:25]
	flat_load_dwordx2 v[2:3], v[0:1] offset:1024
	v_mov_b32_e32 v4, 0
	s_waitcnt vmcnt(0) lgkmcnt(0)
	v_cmp_ne_u16_sdwa s[4:5], v2, v11 src0_sel:BYTE_0 src1_sel:DWORD
	s_and_saveexec_b64 s[24:25], s[4:5]
	s_cbranch_execz .LBB376_717
; %bb.712:                              ;   in Loop: Header=BB376_450 Depth=1
	v_cmp_ne_u16_sdwa s[4:5], v2, s31 src0_sel:BYTE_0 src1_sel:DWORD
	v_bfrev_b32_e32 v4, 1
	s_and_saveexec_b64 s[26:27], s[4:5]
	s_cbranch_execz .LBB376_716
; %bb.713:                              ;   in Loop: Header=BB376_450 Depth=1
	v_and_b32_e32 v5, 0x7f, v2
	v_cmp_ne_u32_e64 s[4:5], s34, v5
	v_mov_b32_e32 v4, 0x7f800001
	s_and_saveexec_b64 s[28:29], s[4:5]
	s_cbranch_execz .LBB376_715
; %bb.714:                              ;   in Loop: Header=BB376_450 Depth=1
	v_and_b32_e32 v4, 7, v2
	v_ffbh_u32_e32 v4, v4
	v_min_u32_e32 v4, 32, v4
	v_lshrrev_b32_e32 v6, 3, v5
	v_subrev_u32_e32 v8, 28, v4
	v_sub_u32_e32 v4, 29, v4
	v_cmp_gt_u32_e64 s[4:5], 8, v5
	v_cndmask_b32_e64 v6, v6, v4, s[4:5]
	v_cndmask_b32_e64 v4, 0, v8, s[4:5]
	v_lshlrev_b64 v[4:5], v4, v[2:3]
	v_lshlrev_b32_e32 v4, 20, v4
	v_lshlrev_b32_e32 v5, 24, v2
	v_and_b32_e32 v4, 0x700000, v4
	v_and_b32_e32 v5, 0x80000000, v5
	v_lshl_add_u32 v6, v6, 23, v28
	v_or3_b32 v4, v5, v6, v4
.LBB376_715:                            ;   in Loop: Header=BB376_450 Depth=1
	s_or_b64 exec, exec, s[28:29]
.LBB376_716:                            ;   in Loop: Header=BB376_450 Depth=1
	s_or_b64 exec, exec, s[26:27]
.LBB376_717:                            ;   in Loop: Header=BB376_450 Depth=1
	s_or_b64 exec, exec, s[24:25]
	v_mul_f32_e32 v4, v7, v4
	v_and_b32_e32 v5, 0x7f800000, v4
	v_cmp_ne_u32_e64 s[4:5], s15, v5
                                        ; implicit-def: $vgpr20
	s_and_saveexec_b64 s[24:25], s[4:5]
	s_xor_b64 s[4:5], exec, s[24:25]
; %bb.718:                              ;   in Loop: Header=BB376_450 Depth=1
	v_bfe_u32 v5, v4, 16, 1
	v_add3_u32 v20, v4, v5, s30
                                        ; implicit-def: $vgpr4
; %bb.719:                              ;   in Loop: Header=BB376_450 Depth=1
	s_andn2_saveexec_b64 s[24:25], s[4:5]
; %bb.720:                              ;   in Loop: Header=BB376_450 Depth=1
	v_or_b32_e32 v5, 0x10000, v4
	v_cmp_eq_u32_sdwa s[4:5], v4, v11 src0_sel:WORD_0 src1_sel:DWORD
	v_cndmask_b32_e64 v20, v5, v4, s[4:5]
; %bb.721:                              ;   in Loop: Header=BB376_450 Depth=1
	s_or_b64 exec, exec, s[24:25]
	v_lshrrev_b16_e32 v6, 8, v2
	v_cmp_ne_u16_e64 s[4:5], 0, v6
	v_mov_b32_e32 v4, 0
	s_and_saveexec_b64 s[24:25], s[4:5]
	s_cbranch_execz .LBB376_727
; %bb.722:                              ;   in Loop: Header=BB376_450 Depth=1
	v_cmp_ne_u16_e64 s[4:5], s31, v6
	v_bfrev_b32_e32 v4, 1
	s_and_saveexec_b64 s[26:27], s[4:5]
	s_cbranch_execz .LBB376_726
; %bb.723:                              ;   in Loop: Header=BB376_450 Depth=1
	v_and_b32_e32 v5, 0x7f, v6
	v_cmp_ne_u32_e64 s[4:5], s34, v5
	v_mov_b32_e32 v4, 0x7f800001
	s_and_saveexec_b64 s[28:29], s[4:5]
	s_cbranch_execz .LBB376_725
; %bb.724:                              ;   in Loop: Header=BB376_450 Depth=1
	v_and_b32_e32 v4, 7, v6
	v_ffbh_u32_e32 v9, v4
	v_min_u32_e32 v9, 32, v9
	v_subrev_u32_e32 v10, 28, v9
	v_lshlrev_b64 v[24:25], v10, v[6:7]
	v_lshrrev_b32_e32 v8, 3, v5
	v_sub_u32_e32 v6, 29, v9
	v_and_b32_e32 v9, 7, v24
	v_cmp_gt_u32_e64 s[4:5], 8, v5
	v_cndmask_b32_e64 v5, v8, v6, s[4:5]
	v_cndmask_b32_e64 v4, v4, v9, s[4:5]
	v_lshlrev_b32_e32 v6, 16, v2
	v_lshlrev_b32_e32 v4, 20, v4
	v_and_b32_e32 v6, 0x80000000, v6
	v_lshl_add_u32 v5, v5, 23, v28
	v_or3_b32 v4, v6, v5, v4
.LBB376_725:                            ;   in Loop: Header=BB376_450 Depth=1
	s_or_b64 exec, exec, s[28:29]
.LBB376_726:                            ;   in Loop: Header=BB376_450 Depth=1
	s_or_b64 exec, exec, s[26:27]
.LBB376_727:                            ;   in Loop: Header=BB376_450 Depth=1
	s_or_b64 exec, exec, s[24:25]
	v_mul_f32_e32 v4, v7, v4
	v_and_b32_e32 v5, 0x7f800000, v4
	v_cmp_ne_u32_e64 s[4:5], s15, v5
                                        ; implicit-def: $vgpr21
	s_and_saveexec_b64 s[24:25], s[4:5]
	s_xor_b64 s[4:5], exec, s[24:25]
; %bb.728:                              ;   in Loop: Header=BB376_450 Depth=1
	v_bfe_u32 v5, v4, 16, 1
	v_add3_u32 v21, v4, v5, s30
                                        ; implicit-def: $vgpr4
; %bb.729:                              ;   in Loop: Header=BB376_450 Depth=1
	s_andn2_saveexec_b64 s[24:25], s[4:5]
; %bb.730:                              ;   in Loop: Header=BB376_450 Depth=1
	v_or_b32_e32 v5, 0x10000, v4
	v_cmp_eq_u32_sdwa s[4:5], v4, v11 src0_sel:WORD_0 src1_sel:DWORD
	v_cndmask_b32_e64 v21, v5, v4, s[4:5]
; %bb.731:                              ;   in Loop: Header=BB376_450 Depth=1
	s_or_b64 exec, exec, s[24:25]
	v_lshrrev_b32_e32 v6, 16, v2
	v_cmp_ne_u16_sdwa s[4:5], v6, v11 src0_sel:BYTE_0 src1_sel:DWORD
	v_mov_b32_e32 v4, 0
	s_and_saveexec_b64 s[24:25], s[4:5]
	s_cbranch_execz .LBB376_737
; %bb.732:                              ;   in Loop: Header=BB376_450 Depth=1
	v_cmp_ne_u16_sdwa s[4:5], v6, s31 src0_sel:BYTE_0 src1_sel:DWORD
	v_bfrev_b32_e32 v4, 1
	s_and_saveexec_b64 s[26:27], s[4:5]
	s_cbranch_execz .LBB376_736
; %bb.733:                              ;   in Loop: Header=BB376_450 Depth=1
	v_bfe_u32 v5, v2, 16, 7
	v_cmp_ne_u32_e64 s[4:5], s34, v5
	v_mov_b32_e32 v4, 0x7f800001
	s_and_saveexec_b64 s[28:29], s[4:5]
	s_cbranch_execz .LBB376_735
; %bb.734:                              ;   in Loop: Header=BB376_450 Depth=1
	v_and_b32_e32 v4, 7, v6
	v_ffbh_u32_e32 v9, v4
	v_min_u32_e32 v9, 32, v9
	v_subrev_u32_e32 v10, 28, v9
	v_lshlrev_b64 v[24:25], v10, v[6:7]
	v_lshrrev_b32_e32 v8, 3, v5
	v_sub_u32_e32 v9, 29, v9
	v_and_b32_e32 v10, 7, v24
	v_cmp_gt_u32_e64 s[4:5], 8, v5
	v_cndmask_b32_e64 v5, v8, v9, s[4:5]
	v_cndmask_b32_e64 v4, v4, v10, s[4:5]
	v_lshlrev_b32_e32 v6, 24, v6
	v_lshlrev_b32_e32 v4, 20, v4
	v_and_b32_e32 v6, 0x80000000, v6
	v_lshl_add_u32 v5, v5, 23, v28
	v_or3_b32 v4, v6, v5, v4
.LBB376_735:                            ;   in Loop: Header=BB376_450 Depth=1
	s_or_b64 exec, exec, s[28:29]
.LBB376_736:                            ;   in Loop: Header=BB376_450 Depth=1
	s_or_b64 exec, exec, s[26:27]
.LBB376_737:                            ;   in Loop: Header=BB376_450 Depth=1
	s_or_b64 exec, exec, s[24:25]
	v_mul_f32_e32 v4, v7, v4
	v_and_b32_e32 v5, 0x7f800000, v4
	v_cmp_ne_u32_e64 s[4:5], s15, v5
                                        ; implicit-def: $vgpr22
	s_and_saveexec_b64 s[24:25], s[4:5]
	s_xor_b64 s[4:5], exec, s[24:25]
; %bb.738:                              ;   in Loop: Header=BB376_450 Depth=1
	v_bfe_u32 v5, v4, 16, 1
	v_add3_u32 v22, v4, v5, s30
                                        ; implicit-def: $vgpr4
; %bb.739:                              ;   in Loop: Header=BB376_450 Depth=1
	s_andn2_saveexec_b64 s[24:25], s[4:5]
; %bb.740:                              ;   in Loop: Header=BB376_450 Depth=1
	v_or_b32_e32 v5, 0x10000, v4
	v_cmp_eq_u32_sdwa s[4:5], v4, v11 src0_sel:WORD_0 src1_sel:DWORD
	v_cndmask_b32_e64 v22, v5, v4, s[4:5]
; %bb.741:                              ;   in Loop: Header=BB376_450 Depth=1
	s_or_b64 exec, exec, s[24:25]
	v_cmp_lt_u32_e64 s[4:5], s11, v2
	v_mov_b32_e32 v4, 0
	s_and_saveexec_b64 s[24:25], s[4:5]
	s_cbranch_execz .LBB376_747
; %bb.742:                              ;   in Loop: Header=BB376_450 Depth=1
	v_lshrrev_b32_e32 v6, 24, v2
	v_cmp_ne_u32_e64 s[4:5], s31, v6
	v_bfrev_b32_e32 v4, 1
	s_and_saveexec_b64 s[26:27], s[4:5]
	s_cbranch_execz .LBB376_746
; %bb.743:                              ;   in Loop: Header=BB376_450 Depth=1
	v_bfe_u32 v5, v2, 24, 7
	v_cmp_ne_u32_e64 s[4:5], s34, v5
	v_mov_b32_e32 v4, 0x7f800001
	s_and_saveexec_b64 s[28:29], s[4:5]
	s_cbranch_execz .LBB376_745
; %bb.744:                              ;   in Loop: Header=BB376_450 Depth=1
	v_and_b32_e32 v4, 7, v6
	v_ffbh_u32_e32 v9, v4
	v_min_u32_e32 v9, 32, v9
	v_subrev_u32_e32 v10, 28, v9
	v_lshlrev_b64 v[24:25], v10, v[6:7]
	v_lshrrev_b32_e32 v8, 3, v5
	v_sub_u32_e32 v9, 29, v9
	v_and_b32_e32 v10, 7, v24
	v_cmp_gt_u32_e64 s[4:5], 8, v5
	v_cndmask_b32_e64 v5, v8, v9, s[4:5]
	v_cndmask_b32_e64 v4, v4, v10, s[4:5]
	v_lshlrev_b32_e32 v6, 24, v6
	v_lshlrev_b32_e32 v4, 20, v4
	v_and_b32_e32 v6, 0x80000000, v6
	v_lshl_add_u32 v5, v5, 23, v28
	v_or3_b32 v4, v6, v5, v4
.LBB376_745:                            ;   in Loop: Header=BB376_450 Depth=1
	s_or_b64 exec, exec, s[28:29]
.LBB376_746:                            ;   in Loop: Header=BB376_450 Depth=1
	s_or_b64 exec, exec, s[26:27]
.LBB376_747:                            ;   in Loop: Header=BB376_450 Depth=1
	s_or_b64 exec, exec, s[24:25]
	v_mul_f32_e32 v4, v7, v4
	v_and_b32_e32 v5, 0x7f800000, v4
	v_cmp_ne_u32_e64 s[4:5], s15, v5
                                        ; implicit-def: $vgpr24
	s_and_saveexec_b64 s[24:25], s[4:5]
	s_xor_b64 s[4:5], exec, s[24:25]
; %bb.748:                              ;   in Loop: Header=BB376_450 Depth=1
	v_bfe_u32 v5, v4, 16, 1
	v_add3_u32 v24, v4, v5, s30
                                        ; implicit-def: $vgpr4
; %bb.749:                              ;   in Loop: Header=BB376_450 Depth=1
	s_andn2_saveexec_b64 s[24:25], s[4:5]
; %bb.750:                              ;   in Loop: Header=BB376_450 Depth=1
	v_or_b32_e32 v5, 0x10000, v4
	v_cmp_eq_u32_sdwa s[4:5], v4, v11 src0_sel:WORD_0 src1_sel:DWORD
	v_cndmask_b32_e64 v24, v5, v4, s[4:5]
; %bb.751:                              ;   in Loop: Header=BB376_450 Depth=1
	s_or_b64 exec, exec, s[24:25]
	v_mov_b32_e32 v10, v3
	v_cmp_ne_u16_sdwa s[4:5], v3, v11 src0_sel:BYTE_0 src1_sel:DWORD
	v_mov_b32_e32 v4, 0
	s_and_saveexec_b64 s[24:25], s[4:5]
	s_cbranch_execz .LBB376_757
; %bb.752:                              ;   in Loop: Header=BB376_450 Depth=1
	v_cmp_ne_u16_sdwa s[4:5], v3, s31 src0_sel:BYTE_0 src1_sel:DWORD
	v_bfrev_b32_e32 v4, 1
	s_and_saveexec_b64 s[26:27], s[4:5]
	s_cbranch_execz .LBB376_756
; %bb.753:                              ;   in Loop: Header=BB376_450 Depth=1
	v_and_b32_e32 v5, 0x7f, v3
	v_cmp_ne_u32_e64 s[4:5], s34, v5
	v_mov_b32_e32 v4, 0x7f800001
	s_and_saveexec_b64 s[28:29], s[4:5]
	s_cbranch_execz .LBB376_755
; %bb.754:                              ;   in Loop: Header=BB376_450 Depth=1
	v_and_b32_e32 v4, 7, v3
	v_ffbh_u32_e32 v4, v4
	v_min_u32_e32 v4, 32, v4
	v_lshrrev_b32_e32 v6, 3, v5
	v_subrev_u32_e32 v8, 28, v4
	v_sub_u32_e32 v4, 29, v4
	v_cmp_gt_u32_e64 s[4:5], 8, v5
	v_cndmask_b32_e64 v6, v6, v4, s[4:5]
	v_cndmask_b32_e64 v4, 0, v8, s[4:5]
	v_lshlrev_b64 v[4:5], v4, v[10:11]
	v_lshlrev_b32_e32 v4, 20, v4
	v_lshlrev_b32_e32 v5, 24, v10
	v_and_b32_e32 v4, 0x700000, v4
	v_and_b32_e32 v5, 0x80000000, v5
	v_lshl_add_u32 v6, v6, 23, v28
	v_or3_b32 v4, v5, v6, v4
.LBB376_755:                            ;   in Loop: Header=BB376_450 Depth=1
	s_or_b64 exec, exec, s[28:29]
.LBB376_756:                            ;   in Loop: Header=BB376_450 Depth=1
	s_or_b64 exec, exec, s[26:27]
.LBB376_757:                            ;   in Loop: Header=BB376_450 Depth=1
	s_or_b64 exec, exec, s[24:25]
	v_mul_f32_e32 v5, v7, v4
	v_and_b32_e32 v4, 0x7f800000, v5
	v_cmp_ne_u32_e64 s[4:5], s15, v4
                                        ; implicit-def: $vgpr4
	s_and_saveexec_b64 s[24:25], s[4:5]
	s_xor_b64 s[4:5], exec, s[24:25]
; %bb.758:                              ;   in Loop: Header=BB376_450 Depth=1
	v_bfe_u32 v4, v5, 16, 1
	v_add3_u32 v4, v5, v4, s30
                                        ; implicit-def: $vgpr5
; %bb.759:                              ;   in Loop: Header=BB376_450 Depth=1
	s_andn2_saveexec_b64 s[24:25], s[4:5]
; %bb.760:                              ;   in Loop: Header=BB376_450 Depth=1
	v_or_b32_e32 v4, 0x10000, v5
	v_cmp_eq_u32_sdwa s[4:5], v5, v11 src0_sel:WORD_0 src1_sel:DWORD
	v_cndmask_b32_e64 v4, v4, v5, s[4:5]
; %bb.761:                              ;   in Loop: Header=BB376_450 Depth=1
	s_or_b64 exec, exec, s[24:25]
	v_lshrrev_b16_e32 v6, 8, v10
	v_cmp_ne_u16_e64 s[4:5], 0, v6
	v_mov_b32_e32 v5, 0
	s_and_saveexec_b64 s[24:25], s[4:5]
	s_cbranch_execz .LBB376_767
; %bb.762:                              ;   in Loop: Header=BB376_450 Depth=1
	v_cmp_ne_u16_e64 s[4:5], s31, v6
	v_bfrev_b32_e32 v5, 1
	s_and_saveexec_b64 s[26:27], s[4:5]
	s_cbranch_execz .LBB376_766
; %bb.763:                              ;   in Loop: Header=BB376_450 Depth=1
	v_and_b32_e32 v25, 0x7f, v6
	v_cmp_ne_u32_e64 s[4:5], s34, v25
	v_mov_b32_e32 v5, 0x7f800001
	s_and_saveexec_b64 s[28:29], s[4:5]
	s_cbranch_execz .LBB376_765
; %bb.764:                              ;   in Loop: Header=BB376_450 Depth=1
	v_and_b32_e32 v5, 7, v6
	v_ffbh_u32_e32 v9, v5
	v_min_u32_e32 v9, 32, v9
	v_subrev_u32_e32 v23, 28, v9
	v_lshlrev_b64 v[52:53], v23, v[6:7]
	v_lshrrev_b32_e32 v8, 3, v25
	v_sub_u32_e32 v6, 29, v9
	v_and_b32_e32 v9, 7, v52
	v_cmp_gt_u32_e64 s[4:5], 8, v25
	v_cndmask_b32_e64 v6, v8, v6, s[4:5]
	v_cndmask_b32_e64 v5, v5, v9, s[4:5]
	v_lshlrev_b32_e32 v8, 16, v10
	v_lshlrev_b32_e32 v5, 20, v5
	v_and_b32_e32 v8, 0x80000000, v8
	v_lshl_add_u32 v6, v6, 23, v28
	v_or3_b32 v5, v8, v6, v5
.LBB376_765:                            ;   in Loop: Header=BB376_450 Depth=1
	s_or_b64 exec, exec, s[28:29]
.LBB376_766:                            ;   in Loop: Header=BB376_450 Depth=1
	s_or_b64 exec, exec, s[26:27]
.LBB376_767:                            ;   in Loop: Header=BB376_450 Depth=1
	s_or_b64 exec, exec, s[24:25]
	v_mul_f32_e32 v6, v7, v5
	v_and_b32_e32 v5, 0x7f800000, v6
	v_cmp_ne_u32_e64 s[4:5], s15, v5
                                        ; implicit-def: $vgpr5
	s_and_saveexec_b64 s[24:25], s[4:5]
	s_xor_b64 s[4:5], exec, s[24:25]
; %bb.768:                              ;   in Loop: Header=BB376_450 Depth=1
	v_bfe_u32 v5, v6, 16, 1
	v_add3_u32 v5, v6, v5, s30
                                        ; implicit-def: $vgpr6
; %bb.769:                              ;   in Loop: Header=BB376_450 Depth=1
	s_andn2_saveexec_b64 s[24:25], s[4:5]
; %bb.770:                              ;   in Loop: Header=BB376_450 Depth=1
	v_or_b32_e32 v5, 0x10000, v6
	v_cmp_eq_u32_sdwa s[4:5], v6, v11 src0_sel:WORD_0 src1_sel:DWORD
	v_cndmask_b32_e64 v5, v5, v6, s[4:5]
; %bb.771:                              ;   in Loop: Header=BB376_450 Depth=1
	s_or_b64 exec, exec, s[24:25]
	v_lshrrev_b32_e32 v6, 16, v3
	v_cmp_ne_u16_sdwa s[4:5], v6, v11 src0_sel:BYTE_0 src1_sel:DWORD
	v_mov_b32_e32 v10, 0
	s_and_saveexec_b64 s[24:25], s[4:5]
	s_cbranch_execz .LBB376_777
; %bb.772:                              ;   in Loop: Header=BB376_450 Depth=1
	v_cmp_ne_u16_sdwa s[4:5], v6, s31 src0_sel:BYTE_0 src1_sel:DWORD
	v_bfrev_b32_e32 v10, 1
	s_and_saveexec_b64 s[26:27], s[4:5]
	s_cbranch_execz .LBB376_776
; %bb.773:                              ;   in Loop: Header=BB376_450 Depth=1
	v_bfe_u32 v25, v3, 16, 7
	v_cmp_ne_u32_e64 s[4:5], s34, v25
	v_mov_b32_e32 v10, 0x7f800001
	s_and_saveexec_b64 s[28:29], s[4:5]
	s_cbranch_execz .LBB376_775
; %bb.774:                              ;   in Loop: Header=BB376_450 Depth=1
	v_and_b32_e32 v8, 7, v6
	v_ffbh_u32_e32 v10, v8
	v_min_u32_e32 v10, 32, v10
	v_subrev_u32_e32 v23, 28, v10
	v_lshlrev_b64 v[52:53], v23, v[6:7]
	v_lshrrev_b32_e32 v9, 3, v25
	v_sub_u32_e32 v10, 29, v10
	v_and_b32_e32 v23, 7, v52
	v_cmp_gt_u32_e64 s[4:5], 8, v25
	v_cndmask_b32_e64 v9, v9, v10, s[4:5]
	v_cndmask_b32_e64 v8, v8, v23, s[4:5]
	v_lshlrev_b32_e32 v6, 24, v6
	v_lshlrev_b32_e32 v8, 20, v8
	v_and_b32_e32 v6, 0x80000000, v6
	v_lshl_add_u32 v9, v9, 23, v28
	v_or3_b32 v10, v6, v9, v8
.LBB376_775:                            ;   in Loop: Header=BB376_450 Depth=1
	s_or_b64 exec, exec, s[28:29]
.LBB376_776:                            ;   in Loop: Header=BB376_450 Depth=1
	s_or_b64 exec, exec, s[26:27]
.LBB376_777:                            ;   in Loop: Header=BB376_450 Depth=1
	s_or_b64 exec, exec, s[24:25]
	v_mul_f32_e32 v6, v7, v10
	v_and_b32_e32 v8, 0x7f800000, v6
	v_cmp_ne_u32_e64 s[4:5], s15, v8
                                        ; implicit-def: $vgpr10
	s_and_saveexec_b64 s[24:25], s[4:5]
	s_xor_b64 s[4:5], exec, s[24:25]
; %bb.778:                              ;   in Loop: Header=BB376_450 Depth=1
	v_bfe_u32 v8, v6, 16, 1
	v_add3_u32 v10, v6, v8, s30
                                        ; implicit-def: $vgpr6
; %bb.779:                              ;   in Loop: Header=BB376_450 Depth=1
	s_andn2_saveexec_b64 s[24:25], s[4:5]
; %bb.780:                              ;   in Loop: Header=BB376_450 Depth=1
	v_or_b32_e32 v8, 0x10000, v6
	v_cmp_eq_u32_sdwa s[4:5], v6, v11 src0_sel:WORD_0 src1_sel:DWORD
	v_cndmask_b32_e64 v10, v8, v6, s[4:5]
; %bb.781:                              ;   in Loop: Header=BB376_450 Depth=1
	s_or_b64 exec, exec, s[24:25]
	v_cmp_lt_u64_e64 s[4:5], s[10:11], v[2:3]
	v_mov_b32_e32 v6, 0
	s_and_saveexec_b64 s[24:25], s[4:5]
	s_cbranch_execz .LBB376_787
; %bb.782:                              ;   in Loop: Header=BB376_450 Depth=1
	v_lshrrev_b32_e32 v2, 24, v3
	v_cmp_ne_u32_e64 s[4:5], s31, v2
	v_bfrev_b32_e32 v6, 1
	s_and_saveexec_b64 s[26:27], s[4:5]
	s_cbranch_execz .LBB376_786
; %bb.783:                              ;   in Loop: Header=BB376_450 Depth=1
	v_bfe_u32 v3, v3, 24, 7
	v_cmp_ne_u32_e64 s[4:5], s34, v3
	v_mov_b32_e32 v6, 0x7f800001
	s_and_saveexec_b64 s[28:29], s[4:5]
	s_cbranch_execz .LBB376_785
; %bb.784:                              ;   in Loop: Header=BB376_450 Depth=1
	v_and_b32_e32 v6, 7, v2
	v_ffbh_u32_e32 v9, v6
	v_min_u32_e32 v9, 32, v9
	v_subrev_u32_e32 v23, 28, v9
	v_lshlrev_b64 v[52:53], v23, v[2:3]
	v_lshrrev_b32_e32 v8, 3, v3
	v_sub_u32_e32 v9, 29, v9
	v_and_b32_e32 v23, 7, v52
	v_cmp_gt_u32_e64 s[4:5], 8, v3
	v_cndmask_b32_e64 v3, v8, v9, s[4:5]
	v_cndmask_b32_e64 v6, v6, v23, s[4:5]
	v_lshlrev_b32_e32 v2, 24, v2
	v_lshlrev_b32_e32 v6, 20, v6
	v_and_b32_e32 v2, 0x80000000, v2
	v_lshl_add_u32 v3, v3, 23, v28
	v_or3_b32 v6, v2, v3, v6
.LBB376_785:                            ;   in Loop: Header=BB376_450 Depth=1
	s_or_b64 exec, exec, s[28:29]
.LBB376_786:                            ;   in Loop: Header=BB376_450 Depth=1
	s_or_b64 exec, exec, s[26:27]
.LBB376_787:                            ;   in Loop: Header=BB376_450 Depth=1
	s_or_b64 exec, exec, s[24:25]
	v_mul_f32_e32 v3, v7, v6
	v_and_b32_e32 v2, 0x7f800000, v3
	v_cmp_ne_u32_e64 s[4:5], s15, v2
                                        ; implicit-def: $vgpr2
	s_and_saveexec_b64 s[24:25], s[4:5]
	s_xor_b64 s[4:5], exec, s[24:25]
; %bb.788:                              ;   in Loop: Header=BB376_450 Depth=1
	v_bfe_u32 v2, v3, 16, 1
	v_add3_u32 v2, v3, v2, s30
                                        ; implicit-def: $vgpr3
; %bb.789:                              ;   in Loop: Header=BB376_450 Depth=1
	s_andn2_saveexec_b64 s[24:25], s[4:5]
; %bb.790:                              ;   in Loop: Header=BB376_450 Depth=1
	v_or_b32_e32 v2, 0x10000, v3
	v_cmp_eq_u32_sdwa s[4:5], v3, v11 src0_sel:WORD_0 src1_sel:DWORD
	v_cndmask_b32_e64 v2, v2, v3, s[4:5]
; %bb.791:                              ;   in Loop: Header=BB376_450 Depth=1
	s_or_b64 exec, exec, s[24:25]
	v_lshrrev_b32_e32 v6, 16, v5
	v_lshrrev_b32_e32 v4, 16, v4
	;; [unrolled: 1-line block ×8, first 2 shown]
	s_and_saveexec_b64 s[24:25], vcc
	s_cbranch_execz .LBB376_793
; %bb.792:                              ;   in Loop: Header=BB376_450 Depth=1
	v_accvgpr_read_b32 v8, a3
	v_cmp_lt_i32_e64 s[4:5], v51, v8
	v_accvgpr_read_b32 v9, a34
	v_cndmask_b32_e64 v20, 0, v20, s[4:5]
	v_cmp_lt_i32_e64 s[4:5], v9, v8
	v_accvgpr_read_b32 v9, a33
	v_cndmask_b32_e64 v24, 0, v24, s[4:5]
	;; [unrolled: 3-line block ×7, first 2 shown]
	v_cmp_lt_i32_e64 s[4:5], v9, v8
	v_cndmask_b32_e64 v2, 0, v2, s[4:5]
.LBB376_793:                            ;   in Loop: Header=BB376_450 Depth=1
	s_or_b64 exec, exec, s[24:25]
	v_lshlrev_b32_e32 v8, 16, v20
	v_mul_f32_e32 v10, v44, v8
	v_and_b32_e32 v8, 0x7f800000, v10
	v_cmp_ne_u32_e64 s[4:5], s15, v8
                                        ; implicit-def: $vgpr21
	s_and_saveexec_b64 s[24:25], s[4:5]
	s_xor_b64 s[4:5], exec, s[24:25]
; %bb.794:                              ;   in Loop: Header=BB376_450 Depth=1
	v_bfe_u32 v8, v10, 16, 1
	v_add3_u32 v21, v10, v8, s30
                                        ; implicit-def: $vgpr10
; %bb.795:                              ;   in Loop: Header=BB376_450 Depth=1
	s_andn2_saveexec_b64 s[24:25], s[4:5]
; %bb.796:                              ;   in Loop: Header=BB376_450 Depth=1
	v_or_b32_e32 v8, 0x10000, v10
	v_cmp_eq_u32_sdwa s[4:5], v10, v11 src0_sel:WORD_0 src1_sel:DWORD
	v_cndmask_b32_e64 v21, v8, v10, s[4:5]
; %bb.797:                              ;   in Loop: Header=BB376_450 Depth=1
	s_or_b64 exec, exec, s[24:25]
	v_lshlrev_b32_e32 v8, 16, v24
	v_mul_f32_e32 v10, v45, v8
	v_and_b32_e32 v8, 0x7f800000, v10
	v_cmp_ne_u32_e64 s[4:5], s15, v8
                                        ; implicit-def: $vgpr57
	s_and_saveexec_b64 s[24:25], s[4:5]
	s_xor_b64 s[4:5], exec, s[24:25]
; %bb.798:                              ;   in Loop: Header=BB376_450 Depth=1
	v_bfe_u32 v8, v10, 16, 1
	v_add3_u32 v57, v10, v8, s30
                                        ; implicit-def: $vgpr10
; %bb.799:                              ;   in Loop: Header=BB376_450 Depth=1
	s_andn2_saveexec_b64 s[24:25], s[4:5]
; %bb.800:                              ;   in Loop: Header=BB376_450 Depth=1
	v_or_b32_e32 v8, 0x10000, v10
	v_cmp_eq_u32_sdwa s[4:5], v10, v11 src0_sel:WORD_0 src1_sel:DWORD
	v_cndmask_b32_e64 v57, v8, v10, s[4:5]
; %bb.801:                              ;   in Loop: Header=BB376_450 Depth=1
	s_or_b64 exec, exec, s[24:25]
	v_lshlrev_b32_e32 v8, 16, v22
	v_mul_f32_e32 v10, v46, v8
	v_and_b32_e32 v8, 0x7f800000, v10
	v_cmp_ne_u32_e64 s[4:5], s15, v8
                                        ; implicit-def: $vgpr58
	s_and_saveexec_b64 s[24:25], s[4:5]
	s_xor_b64 s[4:5], exec, s[24:25]
; %bb.802:                              ;   in Loop: Header=BB376_450 Depth=1
	v_bfe_u32 v8, v10, 16, 1
	v_add3_u32 v58, v10, v8, s30
                                        ; implicit-def: $vgpr10
; %bb.803:                              ;   in Loop: Header=BB376_450 Depth=1
	s_andn2_saveexec_b64 s[24:25], s[4:5]
; %bb.804:                              ;   in Loop: Header=BB376_450 Depth=1
	v_or_b32_e32 v8, 0x10000, v10
	v_cmp_eq_u32_sdwa s[4:5], v10, v11 src0_sel:WORD_0 src1_sel:DWORD
	v_cndmask_b32_e64 v58, v8, v10, s[4:5]
; %bb.805:                              ;   in Loop: Header=BB376_450 Depth=1
	s_or_b64 exec, exec, s[24:25]
	v_lshlrev_b32_e32 v5, 16, v5
	v_mul_f32_e32 v5, v56, v5
	v_and_b32_e32 v8, 0x7f800000, v5
	v_cmp_ne_u32_e64 s[4:5], s15, v8
                                        ; implicit-def: $vgpr59
	s_and_saveexec_b64 s[24:25], s[4:5]
	s_xor_b64 s[4:5], exec, s[24:25]
; %bb.806:                              ;   in Loop: Header=BB376_450 Depth=1
	v_bfe_u32 v8, v5, 16, 1
	v_add3_u32 v59, v5, v8, s30
                                        ; implicit-def: $vgpr5
; %bb.807:                              ;   in Loop: Header=BB376_450 Depth=1
	s_andn2_saveexec_b64 s[24:25], s[4:5]
; %bb.808:                              ;   in Loop: Header=BB376_450 Depth=1
	v_or_b32_e32 v8, 0x10000, v5
	v_cmp_eq_u32_sdwa s[4:5], v5, v11 src0_sel:WORD_0 src1_sel:DWORD
	v_cndmask_b32_e64 v59, v8, v5, s[4:5]
; %bb.809:                              ;   in Loop: Header=BB376_450 Depth=1
	s_or_b64 exec, exec, s[24:25]
	v_lshlrev_b32_e32 v4, 16, v4
	v_mul_f32_e32 v4, v60, v4
	v_and_b32_e32 v5, 0x7f800000, v4
	v_cmp_ne_u32_e64 s[4:5], s15, v5
                                        ; implicit-def: $vgpr26
	s_and_saveexec_b64 s[24:25], s[4:5]
	s_xor_b64 s[4:5], exec, s[24:25]
; %bb.810:                              ;   in Loop: Header=BB376_450 Depth=1
	v_bfe_u32 v5, v4, 16, 1
	v_add3_u32 v26, v4, v5, s30
                                        ; implicit-def: $vgpr4
; %bb.811:                              ;   in Loop: Header=BB376_450 Depth=1
	s_andn2_saveexec_b64 s[24:25], s[4:5]
; %bb.812:                              ;   in Loop: Header=BB376_450 Depth=1
	v_or_b32_e32 v5, 0x10000, v4
	v_cmp_eq_u32_sdwa s[4:5], v4, v11 src0_sel:WORD_0 src1_sel:DWORD
	v_cndmask_b32_e64 v26, v5, v4, s[4:5]
; %bb.813:                              ;   in Loop: Header=BB376_450 Depth=1
	s_or_b64 exec, exec, s[24:25]
	v_lshlrev_b32_e32 v4, 16, v6
	v_mul_f32_e32 v4, v61, v4
	v_and_b32_e32 v5, 0x7f800000, v4
	v_cmp_ne_u32_e64 s[4:5], s15, v5
                                        ; implicit-def: $vgpr24
	s_and_saveexec_b64 s[24:25], s[4:5]
	s_xor_b64 s[4:5], exec, s[24:25]
; %bb.814:                              ;   in Loop: Header=BB376_450 Depth=1
	v_bfe_u32 v5, v4, 16, 1
	v_add3_u32 v24, v4, v5, s30
                                        ; implicit-def: $vgpr4
; %bb.815:                              ;   in Loop: Header=BB376_450 Depth=1
	s_andn2_saveexec_b64 s[24:25], s[4:5]
; %bb.816:                              ;   in Loop: Header=BB376_450 Depth=1
	v_or_b32_e32 v5, 0x10000, v4
	v_cmp_eq_u32_sdwa s[4:5], v4, v11 src0_sel:WORD_0 src1_sel:DWORD
	v_cndmask_b32_e64 v24, v5, v4, s[4:5]
; %bb.817:                              ;   in Loop: Header=BB376_450 Depth=1
	s_or_b64 exec, exec, s[24:25]
	v_lshlrev_b32_e32 v3, 16, v3
	v_mul_f32_e32 v3, v62, v3
	v_and_b32_e32 v4, 0x7f800000, v3
	v_cmp_ne_u32_e64 s[4:5], s15, v4
                                        ; implicit-def: $vgpr25
	s_and_saveexec_b64 s[24:25], s[4:5]
	s_xor_b64 s[4:5], exec, s[24:25]
; %bb.818:                              ;   in Loop: Header=BB376_450 Depth=1
	v_bfe_u32 v4, v3, 16, 1
	v_add3_u32 v25, v3, v4, s30
                                        ; implicit-def: $vgpr3
; %bb.819:                              ;   in Loop: Header=BB376_450 Depth=1
	s_andn2_saveexec_b64 s[24:25], s[4:5]
; %bb.820:                              ;   in Loop: Header=BB376_450 Depth=1
	v_or_b32_e32 v4, 0x10000, v3
	v_cmp_eq_u32_sdwa s[4:5], v3, v11 src0_sel:WORD_0 src1_sel:DWORD
	v_cndmask_b32_e64 v25, v4, v3, s[4:5]
; %bb.821:                              ;   in Loop: Header=BB376_450 Depth=1
	s_or_b64 exec, exec, s[24:25]
	v_lshlrev_b32_e32 v2, 16, v2
	v_mul_f32_e32 v2, v34, v2
	v_and_b32_e32 v3, 0x7f800000, v2
	v_cmp_ne_u32_e64 s[4:5], s15, v3
                                        ; implicit-def: $vgpr20
	s_and_saveexec_b64 s[24:25], s[4:5]
	s_xor_b64 s[4:5], exec, s[24:25]
; %bb.822:                              ;   in Loop: Header=BB376_450 Depth=1
	v_bfe_u32 v3, v2, 16, 1
	v_add3_u32 v20, v2, v3, s30
                                        ; implicit-def: $vgpr2
; %bb.823:                              ;   in Loop: Header=BB376_450 Depth=1
	s_andn2_saveexec_b64 s[24:25], s[4:5]
; %bb.824:                              ;   in Loop: Header=BB376_450 Depth=1
	v_or_b32_e32 v3, 0x10000, v2
	v_cmp_eq_u32_sdwa s[4:5], v2, v11 src0_sel:WORD_0 src1_sel:DWORD
	v_cndmask_b32_e64 v20, v3, v2, s[4:5]
; %bb.825:                              ;   in Loop: Header=BB376_450 Depth=1
	s_or_b64 exec, exec, s[24:25]
	flat_load_dwordx2 v[2:3], v[0:1] offset:1536
	v_mov_b32_e32 v4, 0
	s_waitcnt vmcnt(0) lgkmcnt(0)
	v_cmp_ne_u16_sdwa s[4:5], v2, v11 src0_sel:BYTE_0 src1_sel:DWORD
	s_and_saveexec_b64 s[24:25], s[4:5]
	s_cbranch_execz .LBB376_831
; %bb.826:                              ;   in Loop: Header=BB376_450 Depth=1
	v_cmp_ne_u16_sdwa s[4:5], v2, s31 src0_sel:BYTE_0 src1_sel:DWORD
	v_bfrev_b32_e32 v4, 1
	s_and_saveexec_b64 s[26:27], s[4:5]
	s_cbranch_execz .LBB376_830
; %bb.827:                              ;   in Loop: Header=BB376_450 Depth=1
	v_and_b32_e32 v5, 0x7f, v2
	v_cmp_ne_u32_e64 s[4:5], s34, v5
	v_mov_b32_e32 v4, 0x7f800001
	s_and_saveexec_b64 s[28:29], s[4:5]
	s_cbranch_execz .LBB376_829
; %bb.828:                              ;   in Loop: Header=BB376_450 Depth=1
	v_and_b32_e32 v4, 7, v2
	v_ffbh_u32_e32 v4, v4
	v_min_u32_e32 v4, 32, v4
	v_lshrrev_b32_e32 v6, 3, v5
	v_subrev_u32_e32 v8, 28, v4
	v_sub_u32_e32 v4, 29, v4
	v_cmp_gt_u32_e64 s[4:5], 8, v5
	v_cndmask_b32_e64 v6, v6, v4, s[4:5]
	v_cndmask_b32_e64 v4, 0, v8, s[4:5]
	v_lshlrev_b64 v[4:5], v4, v[2:3]
	v_lshlrev_b32_e32 v4, 20, v4
	v_lshlrev_b32_e32 v5, 24, v2
	v_and_b32_e32 v4, 0x700000, v4
	v_and_b32_e32 v5, 0x80000000, v5
	v_lshl_add_u32 v6, v6, 23, v28
	v_or3_b32 v4, v5, v6, v4
.LBB376_829:                            ;   in Loop: Header=BB376_450 Depth=1
	s_or_b64 exec, exec, s[28:29]
.LBB376_830:                            ;   in Loop: Header=BB376_450 Depth=1
	s_or_b64 exec, exec, s[26:27]
.LBB376_831:                            ;   in Loop: Header=BB376_450 Depth=1
	s_or_b64 exec, exec, s[24:25]
	v_mul_f32_e32 v4, v7, v4
	v_and_b32_e32 v5, 0x7f800000, v4
	v_cmp_ne_u32_e64 s[4:5], s15, v5
                                        ; implicit-def: $vgpr22
	s_and_saveexec_b64 s[24:25], s[4:5]
	s_xor_b64 s[4:5], exec, s[24:25]
; %bb.832:                              ;   in Loop: Header=BB376_450 Depth=1
	v_bfe_u32 v5, v4, 16, 1
	v_add3_u32 v22, v4, v5, s30
                                        ; implicit-def: $vgpr4
; %bb.833:                              ;   in Loop: Header=BB376_450 Depth=1
	s_andn2_saveexec_b64 s[24:25], s[4:5]
; %bb.834:                              ;   in Loop: Header=BB376_450 Depth=1
	v_or_b32_e32 v5, 0x10000, v4
	v_cmp_eq_u32_sdwa s[4:5], v4, v11 src0_sel:WORD_0 src1_sel:DWORD
	v_cndmask_b32_e64 v22, v5, v4, s[4:5]
; %bb.835:                              ;   in Loop: Header=BB376_450 Depth=1
	s_or_b64 exec, exec, s[24:25]
	v_lshrrev_b16_e32 v6, 8, v2
	v_cmp_ne_u16_e64 s[4:5], 0, v6
	v_mov_b32_e32 v4, 0
	s_and_saveexec_b64 s[24:25], s[4:5]
	s_cbranch_execz .LBB376_841
; %bb.836:                              ;   in Loop: Header=BB376_450 Depth=1
	v_cmp_ne_u16_e64 s[4:5], s31, v6
	v_bfrev_b32_e32 v4, 1
	s_and_saveexec_b64 s[26:27], s[4:5]
	s_cbranch_execz .LBB376_840
; %bb.837:                              ;   in Loop: Header=BB376_450 Depth=1
	v_and_b32_e32 v5, 0x7f, v6
	v_cmp_ne_u32_e64 s[4:5], s34, v5
	v_mov_b32_e32 v4, 0x7f800001
	s_and_saveexec_b64 s[28:29], s[4:5]
	s_cbranch_execz .LBB376_839
; %bb.838:                              ;   in Loop: Header=BB376_450 Depth=1
	v_and_b32_e32 v4, 7, v6
	v_ffbh_u32_e32 v9, v4
	v_min_u32_e32 v9, 32, v9
	v_subrev_u32_e32 v10, 28, v9
	v_lshlrev_b64 v[52:53], v10, v[6:7]
	v_lshrrev_b32_e32 v8, 3, v5
	v_sub_u32_e32 v6, 29, v9
	v_and_b32_e32 v9, 7, v52
	v_cmp_gt_u32_e64 s[4:5], 8, v5
	v_cndmask_b32_e64 v5, v8, v6, s[4:5]
	v_cndmask_b32_e64 v4, v4, v9, s[4:5]
	v_lshlrev_b32_e32 v6, 16, v2
	v_lshlrev_b32_e32 v4, 20, v4
	v_and_b32_e32 v6, 0x80000000, v6
	v_lshl_add_u32 v5, v5, 23, v28
	v_or3_b32 v4, v6, v5, v4
.LBB376_839:                            ;   in Loop: Header=BB376_450 Depth=1
	s_or_b64 exec, exec, s[28:29]
.LBB376_840:                            ;   in Loop: Header=BB376_450 Depth=1
	s_or_b64 exec, exec, s[26:27]
.LBB376_841:                            ;   in Loop: Header=BB376_450 Depth=1
	s_or_b64 exec, exec, s[24:25]
	v_mul_f32_e32 v4, v7, v4
	v_and_b32_e32 v5, 0x7f800000, v4
	v_cmp_ne_u32_e64 s[4:5], s15, v5
                                        ; implicit-def: $vgpr52
	s_and_saveexec_b64 s[24:25], s[4:5]
	s_xor_b64 s[4:5], exec, s[24:25]
; %bb.842:                              ;   in Loop: Header=BB376_450 Depth=1
	v_bfe_u32 v5, v4, 16, 1
	v_add3_u32 v52, v4, v5, s30
                                        ; implicit-def: $vgpr4
; %bb.843:                              ;   in Loop: Header=BB376_450 Depth=1
	s_andn2_saveexec_b64 s[24:25], s[4:5]
; %bb.844:                              ;   in Loop: Header=BB376_450 Depth=1
	v_or_b32_e32 v5, 0x10000, v4
	v_cmp_eq_u32_sdwa s[4:5], v4, v11 src0_sel:WORD_0 src1_sel:DWORD
	v_cndmask_b32_e64 v52, v5, v4, s[4:5]
; %bb.845:                              ;   in Loop: Header=BB376_450 Depth=1
	s_or_b64 exec, exec, s[24:25]
	v_lshrrev_b32_e32 v6, 16, v2
	v_cmp_ne_u16_sdwa s[4:5], v6, v11 src0_sel:BYTE_0 src1_sel:DWORD
	v_mov_b32_e32 v4, 0
	s_and_saveexec_b64 s[24:25], s[4:5]
	s_cbranch_execz .LBB376_851
; %bb.846:                              ;   in Loop: Header=BB376_450 Depth=1
	v_cmp_ne_u16_sdwa s[4:5], v6, s31 src0_sel:BYTE_0 src1_sel:DWORD
	v_bfrev_b32_e32 v4, 1
	s_and_saveexec_b64 s[26:27], s[4:5]
	s_cbranch_execz .LBB376_850
; %bb.847:                              ;   in Loop: Header=BB376_450 Depth=1
	v_bfe_u32 v5, v2, 16, 7
	v_cmp_ne_u32_e64 s[4:5], s34, v5
	v_mov_b32_e32 v4, 0x7f800001
	s_and_saveexec_b64 s[28:29], s[4:5]
	s_cbranch_execz .LBB376_849
; %bb.848:                              ;   in Loop: Header=BB376_450 Depth=1
	v_and_b32_e32 v4, 7, v6
	v_ffbh_u32_e32 v9, v4
	v_min_u32_e32 v9, 32, v9
	v_subrev_u32_e32 v10, 28, v9
	v_lshlrev_b64 v[54:55], v10, v[6:7]
	v_lshrrev_b32_e32 v8, 3, v5
	v_sub_u32_e32 v9, 29, v9
	v_and_b32_e32 v10, 7, v54
	v_cmp_gt_u32_e64 s[4:5], 8, v5
	v_cndmask_b32_e64 v5, v8, v9, s[4:5]
	v_cndmask_b32_e64 v4, v4, v10, s[4:5]
	v_lshlrev_b32_e32 v6, 24, v6
	v_lshlrev_b32_e32 v4, 20, v4
	v_and_b32_e32 v6, 0x80000000, v6
	v_lshl_add_u32 v5, v5, 23, v28
	v_or3_b32 v4, v6, v5, v4
.LBB376_849:                            ;   in Loop: Header=BB376_450 Depth=1
	s_or_b64 exec, exec, s[28:29]
.LBB376_850:                            ;   in Loop: Header=BB376_450 Depth=1
	s_or_b64 exec, exec, s[26:27]
.LBB376_851:                            ;   in Loop: Header=BB376_450 Depth=1
	s_or_b64 exec, exec, s[24:25]
	v_mul_f32_e32 v4, v7, v4
	v_and_b32_e32 v5, 0x7f800000, v4
	v_cmp_ne_u32_e64 s[4:5], s15, v5
                                        ; implicit-def: $vgpr53
	s_and_saveexec_b64 s[24:25], s[4:5]
	s_xor_b64 s[4:5], exec, s[24:25]
; %bb.852:                              ;   in Loop: Header=BB376_450 Depth=1
	v_bfe_u32 v5, v4, 16, 1
	v_add3_u32 v53, v4, v5, s30
                                        ; implicit-def: $vgpr4
; %bb.853:                              ;   in Loop: Header=BB376_450 Depth=1
	s_andn2_saveexec_b64 s[24:25], s[4:5]
; %bb.854:                              ;   in Loop: Header=BB376_450 Depth=1
	v_or_b32_e32 v5, 0x10000, v4
	v_cmp_eq_u32_sdwa s[4:5], v4, v11 src0_sel:WORD_0 src1_sel:DWORD
	v_cndmask_b32_e64 v53, v5, v4, s[4:5]
; %bb.855:                              ;   in Loop: Header=BB376_450 Depth=1
	s_or_b64 exec, exec, s[24:25]
	v_cmp_lt_u32_e64 s[4:5], s11, v2
	v_mov_b32_e32 v4, 0
	s_and_saveexec_b64 s[24:25], s[4:5]
	s_cbranch_execz .LBB376_861
; %bb.856:                              ;   in Loop: Header=BB376_450 Depth=1
	v_lshrrev_b32_e32 v6, 24, v2
	v_cmp_ne_u32_e64 s[4:5], s31, v6
	v_bfrev_b32_e32 v4, 1
	s_and_saveexec_b64 s[26:27], s[4:5]
	s_cbranch_execz .LBB376_860
; %bb.857:                              ;   in Loop: Header=BB376_450 Depth=1
	v_bfe_u32 v5, v2, 24, 7
	v_cmp_ne_u32_e64 s[4:5], s34, v5
	v_mov_b32_e32 v4, 0x7f800001
	s_and_saveexec_b64 s[28:29], s[4:5]
	s_cbranch_execz .LBB376_859
; %bb.858:                              ;   in Loop: Header=BB376_450 Depth=1
	v_and_b32_e32 v4, 7, v6
	v_ffbh_u32_e32 v9, v4
	v_min_u32_e32 v9, 32, v9
	v_subrev_u32_e32 v10, 28, v9
	v_lshlrev_b64 v[54:55], v10, v[6:7]
	v_lshrrev_b32_e32 v8, 3, v5
	v_sub_u32_e32 v9, 29, v9
	v_and_b32_e32 v10, 7, v54
	v_cmp_gt_u32_e64 s[4:5], 8, v5
	v_cndmask_b32_e64 v5, v8, v9, s[4:5]
	v_cndmask_b32_e64 v4, v4, v10, s[4:5]
	v_lshlrev_b32_e32 v6, 24, v6
	v_lshlrev_b32_e32 v4, 20, v4
	v_and_b32_e32 v6, 0x80000000, v6
	v_lshl_add_u32 v5, v5, 23, v28
	v_or3_b32 v4, v6, v5, v4
.LBB376_859:                            ;   in Loop: Header=BB376_450 Depth=1
	s_or_b64 exec, exec, s[28:29]
.LBB376_860:                            ;   in Loop: Header=BB376_450 Depth=1
	s_or_b64 exec, exec, s[26:27]
.LBB376_861:                            ;   in Loop: Header=BB376_450 Depth=1
	s_or_b64 exec, exec, s[24:25]
	v_mul_f32_e32 v4, v7, v4
	v_and_b32_e32 v5, 0x7f800000, v4
	v_cmp_ne_u32_e64 s[4:5], s15, v5
                                        ; implicit-def: $vgpr35
	s_and_saveexec_b64 s[24:25], s[4:5]
	s_xor_b64 s[4:5], exec, s[24:25]
; %bb.862:                              ;   in Loop: Header=BB376_450 Depth=1
	v_bfe_u32 v5, v4, 16, 1
	v_add3_u32 v35, v4, v5, s30
                                        ; implicit-def: $vgpr4
; %bb.863:                              ;   in Loop: Header=BB376_450 Depth=1
	s_andn2_saveexec_b64 s[24:25], s[4:5]
; %bb.864:                              ;   in Loop: Header=BB376_450 Depth=1
	v_or_b32_e32 v5, 0x10000, v4
	v_cmp_eq_u32_sdwa s[4:5], v4, v11 src0_sel:WORD_0 src1_sel:DWORD
	v_cndmask_b32_e64 v35, v5, v4, s[4:5]
; %bb.865:                              ;   in Loop: Header=BB376_450 Depth=1
	s_or_b64 exec, exec, s[24:25]
	v_mov_b32_e32 v10, v3
	v_cmp_ne_u16_sdwa s[4:5], v3, v11 src0_sel:BYTE_0 src1_sel:DWORD
	v_mov_b32_e32 v4, 0
	s_and_saveexec_b64 s[24:25], s[4:5]
	s_cbranch_execz .LBB376_871
; %bb.866:                              ;   in Loop: Header=BB376_450 Depth=1
	v_cmp_ne_u16_sdwa s[4:5], v3, s31 src0_sel:BYTE_0 src1_sel:DWORD
	v_bfrev_b32_e32 v4, 1
	s_and_saveexec_b64 s[26:27], s[4:5]
	s_cbranch_execz .LBB376_870
; %bb.867:                              ;   in Loop: Header=BB376_450 Depth=1
	v_and_b32_e32 v5, 0x7f, v3
	v_cmp_ne_u32_e64 s[4:5], s34, v5
	v_mov_b32_e32 v4, 0x7f800001
	s_and_saveexec_b64 s[28:29], s[4:5]
	s_cbranch_execz .LBB376_869
; %bb.868:                              ;   in Loop: Header=BB376_450 Depth=1
	v_and_b32_e32 v4, 7, v3
	v_ffbh_u32_e32 v4, v4
	v_min_u32_e32 v4, 32, v4
	v_lshrrev_b32_e32 v6, 3, v5
	v_subrev_u32_e32 v8, 28, v4
	v_sub_u32_e32 v4, 29, v4
	v_cmp_gt_u32_e64 s[4:5], 8, v5
	v_cndmask_b32_e64 v6, v6, v4, s[4:5]
	v_cndmask_b32_e64 v4, 0, v8, s[4:5]
	v_lshlrev_b64 v[4:5], v4, v[10:11]
	v_lshlrev_b32_e32 v4, 20, v4
	v_lshlrev_b32_e32 v5, 24, v10
	v_and_b32_e32 v4, 0x700000, v4
	v_and_b32_e32 v5, 0x80000000, v5
	v_lshl_add_u32 v6, v6, 23, v28
	v_or3_b32 v4, v5, v6, v4
.LBB376_869:                            ;   in Loop: Header=BB376_450 Depth=1
	s_or_b64 exec, exec, s[28:29]
.LBB376_870:                            ;   in Loop: Header=BB376_450 Depth=1
	s_or_b64 exec, exec, s[26:27]
.LBB376_871:                            ;   in Loop: Header=BB376_450 Depth=1
	s_or_b64 exec, exec, s[24:25]
	v_mul_f32_e32 v5, v7, v4
	v_and_b32_e32 v4, 0x7f800000, v5
	v_cmp_ne_u32_e64 s[4:5], s15, v4
                                        ; implicit-def: $vgpr4
	s_and_saveexec_b64 s[24:25], s[4:5]
	s_xor_b64 s[4:5], exec, s[24:25]
; %bb.872:                              ;   in Loop: Header=BB376_450 Depth=1
	v_bfe_u32 v4, v5, 16, 1
	v_add3_u32 v4, v5, v4, s30
                                        ; implicit-def: $vgpr5
; %bb.873:                              ;   in Loop: Header=BB376_450 Depth=1
	s_andn2_saveexec_b64 s[24:25], s[4:5]
; %bb.874:                              ;   in Loop: Header=BB376_450 Depth=1
	v_or_b32_e32 v4, 0x10000, v5
	v_cmp_eq_u32_sdwa s[4:5], v5, v11 src0_sel:WORD_0 src1_sel:DWORD
	v_cndmask_b32_e64 v4, v4, v5, s[4:5]
; %bb.875:                              ;   in Loop: Header=BB376_450 Depth=1
	s_or_b64 exec, exec, s[24:25]
	v_lshrrev_b16_e32 v6, 8, v10
	v_cmp_ne_u16_e64 s[4:5], 0, v6
	v_mov_b32_e32 v5, 0
	s_and_saveexec_b64 s[24:25], s[4:5]
	s_cbranch_execz .LBB376_881
; %bb.876:                              ;   in Loop: Header=BB376_450 Depth=1
	v_cmp_ne_u16_e64 s[4:5], s31, v6
	v_bfrev_b32_e32 v5, 1
	s_and_saveexec_b64 s[26:27], s[4:5]
	s_cbranch_execz .LBB376_880
; %bb.877:                              ;   in Loop: Header=BB376_450 Depth=1
	v_and_b32_e32 v38, 0x7f, v6
	v_cmp_ne_u32_e64 s[4:5], s34, v38
	v_mov_b32_e32 v5, 0x7f800001
	s_and_saveexec_b64 s[28:29], s[4:5]
	s_cbranch_execz .LBB376_879
; %bb.878:                              ;   in Loop: Header=BB376_450 Depth=1
	v_and_b32_e32 v5, 7, v6
	v_ffbh_u32_e32 v9, v5
	v_min_u32_e32 v9, 32, v9
	v_subrev_u32_e32 v23, 28, v9
	v_lshlrev_b64 v[54:55], v23, v[6:7]
	v_lshrrev_b32_e32 v8, 3, v38
	v_sub_u32_e32 v6, 29, v9
	v_and_b32_e32 v9, 7, v54
	v_cmp_gt_u32_e64 s[4:5], 8, v38
	v_cndmask_b32_e64 v6, v8, v6, s[4:5]
	v_cndmask_b32_e64 v5, v5, v9, s[4:5]
	v_lshlrev_b32_e32 v8, 16, v10
	v_lshlrev_b32_e32 v5, 20, v5
	v_and_b32_e32 v8, 0x80000000, v8
	v_lshl_add_u32 v6, v6, 23, v28
	v_or3_b32 v5, v8, v6, v5
.LBB376_879:                            ;   in Loop: Header=BB376_450 Depth=1
	s_or_b64 exec, exec, s[28:29]
.LBB376_880:                            ;   in Loop: Header=BB376_450 Depth=1
	s_or_b64 exec, exec, s[26:27]
.LBB376_881:                            ;   in Loop: Header=BB376_450 Depth=1
	s_or_b64 exec, exec, s[24:25]
	v_mul_f32_e32 v6, v7, v5
	v_and_b32_e32 v5, 0x7f800000, v6
	v_cmp_ne_u32_e64 s[4:5], s15, v5
                                        ; implicit-def: $vgpr5
	s_and_saveexec_b64 s[24:25], s[4:5]
	s_xor_b64 s[4:5], exec, s[24:25]
; %bb.882:                              ;   in Loop: Header=BB376_450 Depth=1
	v_bfe_u32 v5, v6, 16, 1
	v_add3_u32 v5, v6, v5, s30
                                        ; implicit-def: $vgpr6
; %bb.883:                              ;   in Loop: Header=BB376_450 Depth=1
	s_andn2_saveexec_b64 s[24:25], s[4:5]
; %bb.884:                              ;   in Loop: Header=BB376_450 Depth=1
	v_or_b32_e32 v5, 0x10000, v6
	v_cmp_eq_u32_sdwa s[4:5], v6, v11 src0_sel:WORD_0 src1_sel:DWORD
	v_cndmask_b32_e64 v5, v5, v6, s[4:5]
; %bb.885:                              ;   in Loop: Header=BB376_450 Depth=1
	s_or_b64 exec, exec, s[24:25]
	v_lshrrev_b32_e32 v6, 16, v3
	v_cmp_ne_u16_sdwa s[4:5], v6, v11 src0_sel:BYTE_0 src1_sel:DWORD
	v_mov_b32_e32 v10, 0
	s_and_saveexec_b64 s[24:25], s[4:5]
	s_cbranch_execz .LBB376_891
; %bb.886:                              ;   in Loop: Header=BB376_450 Depth=1
	v_cmp_ne_u16_sdwa s[4:5], v6, s31 src0_sel:BYTE_0 src1_sel:DWORD
	v_bfrev_b32_e32 v10, 1
	s_and_saveexec_b64 s[26:27], s[4:5]
	s_cbranch_execz .LBB376_890
; %bb.887:                              ;   in Loop: Header=BB376_450 Depth=1
	v_bfe_u32 v38, v3, 16, 7
	v_cmp_ne_u32_e64 s[4:5], s34, v38
	v_mov_b32_e32 v10, 0x7f800001
	s_and_saveexec_b64 s[28:29], s[4:5]
	s_cbranch_execz .LBB376_889
; %bb.888:                              ;   in Loop: Header=BB376_450 Depth=1
	v_and_b32_e32 v8, 7, v6
	v_ffbh_u32_e32 v10, v8
	v_min_u32_e32 v10, 32, v10
	v_subrev_u32_e32 v23, 28, v10
	v_lshlrev_b64 v[54:55], v23, v[6:7]
	v_lshrrev_b32_e32 v9, 3, v38
	v_sub_u32_e32 v10, 29, v10
	v_and_b32_e32 v23, 7, v54
	v_cmp_gt_u32_e64 s[4:5], 8, v38
	v_cndmask_b32_e64 v9, v9, v10, s[4:5]
	v_cndmask_b32_e64 v8, v8, v23, s[4:5]
	v_lshlrev_b32_e32 v6, 24, v6
	v_lshlrev_b32_e32 v8, 20, v8
	v_and_b32_e32 v6, 0x80000000, v6
	v_lshl_add_u32 v9, v9, 23, v28
	v_or3_b32 v10, v6, v9, v8
.LBB376_889:                            ;   in Loop: Header=BB376_450 Depth=1
	s_or_b64 exec, exec, s[28:29]
.LBB376_890:                            ;   in Loop: Header=BB376_450 Depth=1
	s_or_b64 exec, exec, s[26:27]
.LBB376_891:                            ;   in Loop: Header=BB376_450 Depth=1
	s_or_b64 exec, exec, s[24:25]
	v_mul_f32_e32 v10, v7, v10
	v_and_b32_e32 v6, 0x7f800000, v10
	v_cmp_ne_u32_e64 s[4:5], s15, v6
                                        ; implicit-def: $vgpr6
	s_and_saveexec_b64 s[24:25], s[4:5]
	s_xor_b64 s[4:5], exec, s[24:25]
; %bb.892:                              ;   in Loop: Header=BB376_450 Depth=1
	v_bfe_u32 v6, v10, 16, 1
	v_add3_u32 v6, v10, v6, s30
                                        ; implicit-def: $vgpr10
; %bb.893:                              ;   in Loop: Header=BB376_450 Depth=1
	s_andn2_saveexec_b64 s[24:25], s[4:5]
; %bb.894:                              ;   in Loop: Header=BB376_450 Depth=1
	v_or_b32_e32 v6, 0x10000, v10
	v_cmp_eq_u32_sdwa s[4:5], v10, v11 src0_sel:WORD_0 src1_sel:DWORD
	v_cndmask_b32_e64 v6, v6, v10, s[4:5]
; %bb.895:                              ;   in Loop: Header=BB376_450 Depth=1
	s_or_b64 exec, exec, s[24:25]
	v_cmp_lt_u64_e64 s[4:5], s[10:11], v[2:3]
	v_mov_b32_e32 v10, 0
	s_and_saveexec_b64 s[24:25], s[4:5]
	s_cbranch_execz .LBB376_901
; %bb.896:                              ;   in Loop: Header=BB376_450 Depth=1
	v_lshrrev_b32_e32 v2, 24, v3
	v_cmp_ne_u32_e64 s[4:5], s31, v2
	v_bfrev_b32_e32 v10, 1
	s_and_saveexec_b64 s[26:27], s[4:5]
	s_cbranch_execz .LBB376_900
; %bb.897:                              ;   in Loop: Header=BB376_450 Depth=1
	v_bfe_u32 v3, v3, 24, 7
	v_cmp_ne_u32_e64 s[4:5], s34, v3
	v_mov_b32_e32 v10, 0x7f800001
	s_and_saveexec_b64 s[28:29], s[4:5]
	s_cbranch_execz .LBB376_899
; %bb.898:                              ;   in Loop: Header=BB376_450 Depth=1
	v_and_b32_e32 v8, 7, v2
	v_ffbh_u32_e32 v10, v8
	v_min_u32_e32 v10, 32, v10
	v_subrev_u32_e32 v23, 28, v10
	v_lshlrev_b64 v[54:55], v23, v[2:3]
	v_lshrrev_b32_e32 v9, 3, v3
	v_sub_u32_e32 v10, 29, v10
	v_and_b32_e32 v23, 7, v54
	v_cmp_gt_u32_e64 s[4:5], 8, v3
	v_cndmask_b32_e64 v3, v9, v10, s[4:5]
	v_cndmask_b32_e64 v8, v8, v23, s[4:5]
	v_lshlrev_b32_e32 v2, 24, v2
	v_lshlrev_b32_e32 v8, 20, v8
	v_and_b32_e32 v2, 0x80000000, v2
	v_lshl_add_u32 v3, v3, 23, v28
	v_or3_b32 v10, v2, v3, v8
.LBB376_899:                            ;   in Loop: Header=BB376_450 Depth=1
	s_or_b64 exec, exec, s[28:29]
.LBB376_900:                            ;   in Loop: Header=BB376_450 Depth=1
	s_or_b64 exec, exec, s[26:27]
.LBB376_901:                            ;   in Loop: Header=BB376_450 Depth=1
	s_or_b64 exec, exec, s[24:25]
	v_mul_f32_e32 v3, v7, v10
	v_and_b32_e32 v2, 0x7f800000, v3
	v_cmp_ne_u32_e64 s[4:5], s15, v2
                                        ; implicit-def: $vgpr2
	s_and_saveexec_b64 s[24:25], s[4:5]
	s_xor_b64 s[4:5], exec, s[24:25]
; %bb.902:                              ;   in Loop: Header=BB376_450 Depth=1
	v_bfe_u32 v2, v3, 16, 1
	v_add3_u32 v2, v3, v2, s30
                                        ; implicit-def: $vgpr3
; %bb.903:                              ;   in Loop: Header=BB376_450 Depth=1
	s_andn2_saveexec_b64 s[24:25], s[4:5]
; %bb.904:                              ;   in Loop: Header=BB376_450 Depth=1
	v_or_b32_e32 v2, 0x10000, v3
	v_cmp_eq_u32_sdwa s[4:5], v3, v11 src0_sel:WORD_0 src1_sel:DWORD
	v_cndmask_b32_e64 v2, v2, v3, s[4:5]
; %bb.905:                              ;   in Loop: Header=BB376_450 Depth=1
	s_or_b64 exec, exec, s[24:25]
	v_lshrrev_b32_e32 v10, 16, v5
	v_lshrrev_b32_e32 v5, 16, v4
	;; [unrolled: 1-line block ×8, first 2 shown]
	s_and_saveexec_b64 s[24:25], vcc
	s_cbranch_execz .LBB376_907
; %bb.906:                              ;   in Loop: Header=BB376_450 Depth=1
	v_accvgpr_read_b32 v6, a3
	v_cmp_lt_i32_e64 s[4:5], v51, v6
	v_accvgpr_read_b32 v8, a34
	v_cndmask_b32_e64 v3, 0, v3, s[4:5]
	v_cmp_lt_i32_e64 s[4:5], v8, v6
	v_accvgpr_read_b32 v8, a33
	v_cndmask_b32_e64 v52, 0, v52, s[4:5]
	;; [unrolled: 3-line block ×7, first 2 shown]
	v_cmp_lt_i32_e64 s[4:5], v8, v6
	v_cndmask_b32_e64 v2, 0, v2, s[4:5]
.LBB376_907:                            ;   in Loop: Header=BB376_450 Depth=1
	s_or_b64 exec, exec, s[24:25]
	v_lshlrev_b32_e32 v3, 16, v3
	v_mul_f32_e32 v6, v44, v3
	v_and_b32_e32 v3, 0x7f800000, v6
	v_cmp_ne_u32_e64 s[4:5], s15, v3
                                        ; implicit-def: $vgpr3
	s_and_saveexec_b64 s[24:25], s[4:5]
	s_xor_b64 s[4:5], exec, s[24:25]
; %bb.908:                              ;   in Loop: Header=BB376_450 Depth=1
	v_bfe_u32 v3, v6, 16, 1
	v_add3_u32 v3, v6, v3, s30
                                        ; implicit-def: $vgpr6
; %bb.909:                              ;   in Loop: Header=BB376_450 Depth=1
	s_andn2_saveexec_b64 s[24:25], s[4:5]
; %bb.910:                              ;   in Loop: Header=BB376_450 Depth=1
	v_or_b32_e32 v3, 0x10000, v6
	v_cmp_eq_u32_sdwa s[4:5], v6, v11 src0_sel:WORD_0 src1_sel:DWORD
	v_cndmask_b32_e64 v3, v3, v6, s[4:5]
; %bb.911:                              ;   in Loop: Header=BB376_450 Depth=1
	s_or_b64 exec, exec, s[24:25]
	v_lshlrev_b32_e32 v6, 16, v52
	v_mul_f32_e32 v22, v45, v6
	v_and_b32_e32 v6, 0x7f800000, v22
	v_cmp_ne_u32_e64 s[4:5], s15, v6
                                        ; implicit-def: $vgpr6
	s_and_saveexec_b64 s[24:25], s[4:5]
	s_xor_b64 s[4:5], exec, s[24:25]
; %bb.912:                              ;   in Loop: Header=BB376_450 Depth=1
	v_bfe_u32 v6, v22, 16, 1
	v_add3_u32 v6, v22, v6, s30
                                        ; implicit-def: $vgpr22
; %bb.913:                              ;   in Loop: Header=BB376_450 Depth=1
	s_andn2_saveexec_b64 s[24:25], s[4:5]
; %bb.914:                              ;   in Loop: Header=BB376_450 Depth=1
	v_or_b32_e32 v6, 0x10000, v22
	v_cmp_eq_u32_sdwa s[4:5], v22, v11 src0_sel:WORD_0 src1_sel:DWORD
	v_cndmask_b32_e64 v6, v6, v22, s[4:5]
; %bb.915:                              ;   in Loop: Header=BB376_450 Depth=1
	s_or_b64 exec, exec, s[24:25]
	v_lshlrev_b32_e32 v8, 16, v38
	v_mul_f32_e32 v38, v46, v8
	v_and_b32_e32 v8, 0x7f800000, v38
	v_cmp_ne_u32_e64 s[4:5], s15, v8
                                        ; implicit-def: $vgpr22
	s_and_saveexec_b64 s[24:25], s[4:5]
	s_xor_b64 s[4:5], exec, s[24:25]
; %bb.916:                              ;   in Loop: Header=BB376_450 Depth=1
	v_bfe_u32 v8, v38, 16, 1
	v_add3_u32 v22, v38, v8, s30
                                        ; implicit-def: $vgpr38
; %bb.917:                              ;   in Loop: Header=BB376_450 Depth=1
	s_andn2_saveexec_b64 s[24:25], s[4:5]
; %bb.918:                              ;   in Loop: Header=BB376_450 Depth=1
	v_or_b32_e32 v8, 0x10000, v38
	v_cmp_eq_u32_sdwa s[4:5], v38, v11 src0_sel:WORD_0 src1_sel:DWORD
	v_cndmask_b32_e64 v22, v8, v38, s[4:5]
; %bb.919:                              ;   in Loop: Header=BB376_450 Depth=1
	s_or_b64 exec, exec, s[24:25]
	v_lshlrev_b32_e32 v8, 16, v35
	v_mul_f32_e32 v35, v56, v8
	v_and_b32_e32 v8, 0x7f800000, v35
	v_cmp_ne_u32_e64 s[4:5], s15, v8
                                        ; implicit-def: $vgpr52
	s_and_saveexec_b64 s[24:25], s[4:5]
	s_xor_b64 s[4:5], exec, s[24:25]
; %bb.920:                              ;   in Loop: Header=BB376_450 Depth=1
	v_bfe_u32 v8, v35, 16, 1
	v_add3_u32 v52, v35, v8, s30
                                        ; implicit-def: $vgpr35
; %bb.921:                              ;   in Loop: Header=BB376_450 Depth=1
	s_andn2_saveexec_b64 s[24:25], s[4:5]
; %bb.922:                              ;   in Loop: Header=BB376_450 Depth=1
	v_or_b32_e32 v8, 0x10000, v35
	v_cmp_eq_u32_sdwa s[4:5], v35, v11 src0_sel:WORD_0 src1_sel:DWORD
	v_cndmask_b32_e64 v52, v8, v35, s[4:5]
; %bb.923:                              ;   in Loop: Header=BB376_450 Depth=1
	s_or_b64 exec, exec, s[24:25]
	v_lshlrev_b32_e32 v5, 16, v5
	v_mul_f32_e32 v5, v60, v5
	v_and_b32_e32 v8, 0x7f800000, v5
	v_cmp_ne_u32_e64 s[4:5], s15, v8
                                        ; implicit-def: $vgpr53
	s_and_saveexec_b64 s[24:25], s[4:5]
	s_xor_b64 s[4:5], exec, s[24:25]
; %bb.924:                              ;   in Loop: Header=BB376_450 Depth=1
	v_bfe_u32 v8, v5, 16, 1
	v_add3_u32 v53, v5, v8, s30
                                        ; implicit-def: $vgpr5
; %bb.925:                              ;   in Loop: Header=BB376_450 Depth=1
	s_andn2_saveexec_b64 s[24:25], s[4:5]
; %bb.926:                              ;   in Loop: Header=BB376_450 Depth=1
	v_or_b32_e32 v8, 0x10000, v5
	v_cmp_eq_u32_sdwa s[4:5], v5, v11 src0_sel:WORD_0 src1_sel:DWORD
	v_cndmask_b32_e64 v53, v8, v5, s[4:5]
; %bb.927:                              ;   in Loop: Header=BB376_450 Depth=1
	s_or_b64 exec, exec, s[24:25]
	v_lshlrev_b32_e32 v5, 16, v10
	v_mul_f32_e32 v5, v61, v5
	v_and_b32_e32 v8, 0x7f800000, v5
	v_cmp_ne_u32_e64 s[4:5], s15, v8
                                        ; implicit-def: $vgpr54
	s_and_saveexec_b64 s[24:25], s[4:5]
	s_xor_b64 s[4:5], exec, s[24:25]
; %bb.928:                              ;   in Loop: Header=BB376_450 Depth=1
	v_bfe_u32 v8, v5, 16, 1
	v_add3_u32 v54, v5, v8, s30
                                        ; implicit-def: $vgpr5
; %bb.929:                              ;   in Loop: Header=BB376_450 Depth=1
	s_andn2_saveexec_b64 s[24:25], s[4:5]
; %bb.930:                              ;   in Loop: Header=BB376_450 Depth=1
	v_or_b32_e32 v8, 0x10000, v5
	v_cmp_eq_u32_sdwa s[4:5], v5, v11 src0_sel:WORD_0 src1_sel:DWORD
	v_cndmask_b32_e64 v54, v8, v5, s[4:5]
; %bb.931:                              ;   in Loop: Header=BB376_450 Depth=1
	s_or_b64 exec, exec, s[24:25]
	v_lshlrev_b32_e32 v4, 16, v4
	v_mul_f32_e32 v4, v62, v4
	v_and_b32_e32 v5, 0x7f800000, v4
	v_cmp_ne_u32_e64 s[4:5], s15, v5
                                        ; implicit-def: $vgpr55
	s_and_saveexec_b64 s[24:25], s[4:5]
	s_xor_b64 s[4:5], exec, s[24:25]
; %bb.932:                              ;   in Loop: Header=BB376_450 Depth=1
	v_bfe_u32 v5, v4, 16, 1
	v_add3_u32 v55, v4, v5, s30
                                        ; implicit-def: $vgpr4
; %bb.933:                              ;   in Loop: Header=BB376_450 Depth=1
	s_andn2_saveexec_b64 s[24:25], s[4:5]
; %bb.934:                              ;   in Loop: Header=BB376_450 Depth=1
	v_or_b32_e32 v5, 0x10000, v4
	v_cmp_eq_u32_sdwa s[4:5], v4, v11 src0_sel:WORD_0 src1_sel:DWORD
	v_cndmask_b32_e64 v55, v5, v4, s[4:5]
; %bb.935:                              ;   in Loop: Header=BB376_450 Depth=1
	s_or_b64 exec, exec, s[24:25]
	v_lshlrev_b32_e32 v2, 16, v2
	v_mul_f32_e32 v2, v34, v2
	v_and_b32_e32 v4, 0x7f800000, v2
	v_cmp_ne_u32_e64 s[4:5], s15, v4
                                        ; implicit-def: $vgpr40
	s_and_saveexec_b64 s[24:25], s[4:5]
	s_xor_b64 s[4:5], exec, s[24:25]
; %bb.936:                              ;   in Loop: Header=BB376_450 Depth=1
	v_bfe_u32 v4, v2, 16, 1
	v_add3_u32 v40, v2, v4, s30
                                        ; implicit-def: $vgpr2
; %bb.937:                              ;   in Loop: Header=BB376_450 Depth=1
	s_andn2_saveexec_b64 s[24:25], s[4:5]
; %bb.938:                              ;   in Loop: Header=BB376_450 Depth=1
	v_or_b32_e32 v4, 0x10000, v2
	v_cmp_eq_u32_sdwa s[4:5], v2, v11 src0_sel:WORD_0 src1_sel:DWORD
	v_cndmask_b32_e64 v40, v4, v2, s[4:5]
; %bb.939:                              ;   in Loop: Header=BB376_450 Depth=1
	s_or_b64 exec, exec, s[24:25]
	flat_load_dwordx2 v[0:1], v[0:1] offset:2048
	v_mov_b32_e32 v2, 0
	s_waitcnt vmcnt(0) lgkmcnt(0)
	v_cmp_ne_u16_sdwa s[4:5], v0, v11 src0_sel:BYTE_0 src1_sel:DWORD
	s_and_saveexec_b64 s[24:25], s[4:5]
	s_cbranch_execz .LBB376_945
; %bb.940:                              ;   in Loop: Header=BB376_450 Depth=1
	v_cmp_ne_u16_sdwa s[4:5], v0, s31 src0_sel:BYTE_0 src1_sel:DWORD
	v_bfrev_b32_e32 v2, 1
	s_and_saveexec_b64 s[26:27], s[4:5]
	s_cbranch_execz .LBB376_944
; %bb.941:                              ;   in Loop: Header=BB376_450 Depth=1
	v_and_b32_e32 v4, 0x7f, v0
	v_cmp_ne_u32_e64 s[4:5], s34, v4
	v_mov_b32_e32 v2, 0x7f800001
	s_and_saveexec_b64 s[28:29], s[4:5]
	s_cbranch_execz .LBB376_943
; %bb.942:                              ;   in Loop: Header=BB376_450 Depth=1
	v_and_b32_e32 v2, 7, v0
	v_ffbh_u32_e32 v2, v2
	v_min_u32_e32 v2, 32, v2
	v_subrev_u32_e32 v8, 28, v2
	v_cmp_gt_u32_e64 s[4:5], 8, v4
	v_lshrrev_b32_e32 v5, 3, v4
	v_sub_u32_e32 v2, 29, v2
	v_cndmask_b32_e64 v4, 0, v8, s[4:5]
	v_cndmask_b32_e64 v2, v5, v2, s[4:5]
	v_lshlrev_b64 v[4:5], v4, v[0:1]
	v_lshlrev_b32_e32 v4, 20, v4
	v_lshlrev_b32_e32 v5, 24, v0
	v_and_b32_e32 v4, 0x700000, v4
	v_and_b32_e32 v5, 0x80000000, v5
	v_lshl_add_u32 v2, v2, 23, v28
	v_or3_b32 v2, v5, v2, v4
.LBB376_943:                            ;   in Loop: Header=BB376_450 Depth=1
	s_or_b64 exec, exec, s[28:29]
.LBB376_944:                            ;   in Loop: Header=BB376_450 Depth=1
	s_or_b64 exec, exec, s[26:27]
.LBB376_945:                            ;   in Loop: Header=BB376_450 Depth=1
	s_or_b64 exec, exec, s[24:25]
	v_mul_f32_e32 v2, v7, v2
	v_and_b32_e32 v4, 0x7f800000, v2
	v_cmp_ne_u32_e64 s[4:5], s15, v4
                                        ; implicit-def: $vgpr42
	s_and_saveexec_b64 s[24:25], s[4:5]
	s_xor_b64 s[4:5], exec, s[24:25]
; %bb.946:                              ;   in Loop: Header=BB376_450 Depth=1
	v_bfe_u32 v4, v2, 16, 1
	v_add3_u32 v42, v2, v4, s30
                                        ; implicit-def: $vgpr2
; %bb.947:                              ;   in Loop: Header=BB376_450 Depth=1
	s_andn2_saveexec_b64 s[24:25], s[4:5]
; %bb.948:                              ;   in Loop: Header=BB376_450 Depth=1
	v_or_b32_e32 v4, 0x10000, v2
	v_cmp_eq_u32_sdwa s[4:5], v2, v11 src0_sel:WORD_0 src1_sel:DWORD
	v_cndmask_b32_e64 v42, v4, v2, s[4:5]
; %bb.949:                              ;   in Loop: Header=BB376_450 Depth=1
	s_or_b64 exec, exec, s[24:25]
	v_lshrrev_b16_e32 v2, 8, v0
	v_cmp_ne_u16_e64 s[4:5], 0, v2
	v_mov_b32_e32 v4, 0
	s_and_saveexec_b64 s[24:25], s[4:5]
	s_cbranch_execz .LBB376_955
; %bb.950:                              ;   in Loop: Header=BB376_450 Depth=1
	v_cmp_ne_u16_e64 s[4:5], s31, v2
	v_bfrev_b32_e32 v4, 1
	s_and_saveexec_b64 s[26:27], s[4:5]
	s_cbranch_execz .LBB376_954
; %bb.951:                              ;   in Loop: Header=BB376_450 Depth=1
	v_and_b32_e32 v5, 0x7f, v2
	v_cmp_ne_u32_e64 s[4:5], s34, v5
	v_mov_b32_e32 v4, 0x7f800001
	s_and_saveexec_b64 s[28:29], s[4:5]
	s_cbranch_execz .LBB376_953
; %bb.952:                              ;   in Loop: Header=BB376_450 Depth=1
	v_and_b32_e32 v4, 7, v2
	v_ffbh_u32_e32 v8, v4
	v_min_u32_e32 v23, 32, v8
	v_subrev_u32_e32 v8, 28, v23
	v_lshlrev_b64 v[8:9], v8, v[2:3]
	v_lshrrev_b32_e32 v10, 3, v5
	v_sub_u32_e32 v2, 29, v23
	v_and_b32_e32 v8, 7, v8
	v_cmp_gt_u32_e64 s[4:5], 8, v5
	v_cndmask_b32_e64 v2, v10, v2, s[4:5]
	v_cndmask_b32_e64 v4, v4, v8, s[4:5]
	v_lshlrev_b32_e32 v5, 16, v0
	v_lshlrev_b32_e32 v4, 20, v4
	v_and_b32_e32 v5, 0x80000000, v5
	v_lshl_add_u32 v2, v2, 23, v28
	v_or3_b32 v4, v5, v2, v4
.LBB376_953:                            ;   in Loop: Header=BB376_450 Depth=1
	s_or_b64 exec, exec, s[28:29]
.LBB376_954:                            ;   in Loop: Header=BB376_450 Depth=1
	s_or_b64 exec, exec, s[26:27]
.LBB376_955:                            ;   in Loop: Header=BB376_450 Depth=1
	s_or_b64 exec, exec, s[24:25]
	v_mul_f32_e32 v2, v7, v4
	v_and_b32_e32 v4, 0x7f800000, v2
	v_cmp_ne_u32_e64 s[4:5], s15, v4
                                        ; implicit-def: $vgpr43
	s_and_saveexec_b64 s[24:25], s[4:5]
	s_xor_b64 s[4:5], exec, s[24:25]
; %bb.956:                              ;   in Loop: Header=BB376_450 Depth=1
	v_bfe_u32 v4, v2, 16, 1
	v_add3_u32 v43, v2, v4, s30
                                        ; implicit-def: $vgpr2
; %bb.957:                              ;   in Loop: Header=BB376_450 Depth=1
	s_andn2_saveexec_b64 s[24:25], s[4:5]
; %bb.958:                              ;   in Loop: Header=BB376_450 Depth=1
	v_or_b32_e32 v4, 0x10000, v2
	v_cmp_eq_u32_sdwa s[4:5], v2, v11 src0_sel:WORD_0 src1_sel:DWORD
	v_cndmask_b32_e64 v43, v4, v2, s[4:5]
; %bb.959:                              ;   in Loop: Header=BB376_450 Depth=1
	s_or_b64 exec, exec, s[24:25]
	v_lshrrev_b32_e32 v2, 16, v0
	v_cmp_ne_u16_sdwa s[4:5], v2, v11 src0_sel:BYTE_0 src1_sel:DWORD
	v_mov_b32_e32 v4, 0
	s_and_saveexec_b64 s[24:25], s[4:5]
	s_cbranch_execz .LBB376_965
; %bb.960:                              ;   in Loop: Header=BB376_450 Depth=1
	v_cmp_ne_u16_sdwa s[4:5], v2, s31 src0_sel:BYTE_0 src1_sel:DWORD
	v_bfrev_b32_e32 v4, 1
	s_and_saveexec_b64 s[26:27], s[4:5]
	s_cbranch_execz .LBB376_964
; %bb.961:                              ;   in Loop: Header=BB376_450 Depth=1
	v_bfe_u32 v5, v0, 16, 7
	v_cmp_ne_u32_e64 s[4:5], s34, v5
	v_mov_b32_e32 v4, 0x7f800001
	s_and_saveexec_b64 s[28:29], s[4:5]
	s_cbranch_execz .LBB376_963
; %bb.962:                              ;   in Loop: Header=BB376_450 Depth=1
	v_and_b32_e32 v4, 7, v2
	v_ffbh_u32_e32 v8, v4
	v_min_u32_e32 v23, 32, v8
	v_subrev_u32_e32 v8, 28, v23
	v_lshlrev_b64 v[8:9], v8, v[2:3]
	v_lshrrev_b32_e32 v10, 3, v5
	v_sub_u32_e32 v9, 29, v23
	v_and_b32_e32 v8, 7, v8
	v_cmp_gt_u32_e64 s[4:5], 8, v5
	v_cndmask_b32_e64 v5, v10, v9, s[4:5]
	v_cndmask_b32_e64 v4, v4, v8, s[4:5]
	v_lshlrev_b32_e32 v2, 24, v2
	v_lshlrev_b32_e32 v4, 20, v4
	v_and_b32_e32 v2, 0x80000000, v2
	v_lshl_add_u32 v5, v5, 23, v28
	v_or3_b32 v4, v2, v5, v4
.LBB376_963:                            ;   in Loop: Header=BB376_450 Depth=1
	s_or_b64 exec, exec, s[28:29]
.LBB376_964:                            ;   in Loop: Header=BB376_450 Depth=1
	s_or_b64 exec, exec, s[26:27]
.LBB376_965:                            ;   in Loop: Header=BB376_450 Depth=1
	s_or_b64 exec, exec, s[24:25]
	v_mul_f32_e32 v2, v7, v4
	v_and_b32_e32 v4, 0x7f800000, v2
	v_cmp_ne_u32_e64 s[4:5], s15, v4
                                        ; implicit-def: $vgpr35
	s_and_saveexec_b64 s[24:25], s[4:5]
	s_xor_b64 s[4:5], exec, s[24:25]
; %bb.966:                              ;   in Loop: Header=BB376_450 Depth=1
	v_bfe_u32 v4, v2, 16, 1
	v_add3_u32 v35, v2, v4, s30
                                        ; implicit-def: $vgpr2
; %bb.967:                              ;   in Loop: Header=BB376_450 Depth=1
	s_andn2_saveexec_b64 s[24:25], s[4:5]
; %bb.968:                              ;   in Loop: Header=BB376_450 Depth=1
	v_or_b32_e32 v4, 0x10000, v2
	v_cmp_eq_u32_sdwa s[4:5], v2, v11 src0_sel:WORD_0 src1_sel:DWORD
	v_cndmask_b32_e64 v35, v4, v2, s[4:5]
; %bb.969:                              ;   in Loop: Header=BB376_450 Depth=1
	s_or_b64 exec, exec, s[24:25]
	v_cmp_lt_u32_e64 s[4:5], s11, v0
	v_mov_b32_e32 v4, 0
	s_and_saveexec_b64 s[24:25], s[4:5]
	s_cbranch_execz .LBB376_975
; %bb.970:                              ;   in Loop: Header=BB376_450 Depth=1
	v_lshrrev_b32_e32 v2, 24, v0
	v_cmp_ne_u32_e64 s[4:5], s31, v2
	v_bfrev_b32_e32 v4, 1
	s_and_saveexec_b64 s[26:27], s[4:5]
	s_cbranch_execz .LBB376_974
; %bb.971:                              ;   in Loop: Header=BB376_450 Depth=1
	v_bfe_u32 v5, v0, 24, 7
	v_cmp_ne_u32_e64 s[4:5], s34, v5
	v_mov_b32_e32 v4, 0x7f800001
	s_and_saveexec_b64 s[28:29], s[4:5]
	s_cbranch_execz .LBB376_973
; %bb.972:                              ;   in Loop: Header=BB376_450 Depth=1
	v_and_b32_e32 v4, 7, v2
	v_ffbh_u32_e32 v8, v4
	v_min_u32_e32 v23, 32, v8
	v_subrev_u32_e32 v8, 28, v23
	v_lshlrev_b64 v[8:9], v8, v[2:3]
	v_lshrrev_b32_e32 v10, 3, v5
	v_sub_u32_e32 v9, 29, v23
	v_and_b32_e32 v8, 7, v8
	v_cmp_gt_u32_e64 s[4:5], 8, v5
	v_cndmask_b32_e64 v5, v10, v9, s[4:5]
	v_cndmask_b32_e64 v4, v4, v8, s[4:5]
	v_lshlrev_b32_e32 v2, 24, v2
	v_lshlrev_b32_e32 v4, 20, v4
	v_and_b32_e32 v2, 0x80000000, v2
	v_lshl_add_u32 v5, v5, 23, v28
	v_or3_b32 v4, v2, v5, v4
.LBB376_973:                            ;   in Loop: Header=BB376_450 Depth=1
	s_or_b64 exec, exec, s[28:29]
.LBB376_974:                            ;   in Loop: Header=BB376_450 Depth=1
	s_or_b64 exec, exec, s[26:27]
.LBB376_975:                            ;   in Loop: Header=BB376_450 Depth=1
	s_or_b64 exec, exec, s[24:25]
	v_mul_f32_e32 v2, v7, v4
	v_and_b32_e32 v4, 0x7f800000, v2
	v_cmp_ne_u32_e64 s[4:5], s15, v4
                                        ; implicit-def: $vgpr4
	s_and_saveexec_b64 s[24:25], s[4:5]
	s_xor_b64 s[4:5], exec, s[24:25]
; %bb.976:                              ;   in Loop: Header=BB376_450 Depth=1
	v_bfe_u32 v4, v2, 16, 1
	v_add3_u32 v4, v2, v4, s30
                                        ; implicit-def: $vgpr2
; %bb.977:                              ;   in Loop: Header=BB376_450 Depth=1
	s_andn2_saveexec_b64 s[24:25], s[4:5]
; %bb.978:                              ;   in Loop: Header=BB376_450 Depth=1
	v_or_b32_e32 v4, 0x10000, v2
	v_cmp_eq_u32_sdwa s[4:5], v2, v11 src0_sel:WORD_0 src1_sel:DWORD
	v_cndmask_b32_e64 v4, v4, v2, s[4:5]
; %bb.979:                              ;   in Loop: Header=BB376_450 Depth=1
	s_or_b64 exec, exec, s[24:25]
	v_mov_b32_e32 v10, v1
	v_cmp_ne_u16_sdwa s[4:5], v1, v11 src0_sel:BYTE_0 src1_sel:DWORD
	v_mov_b32_e32 v2, 0
	s_and_saveexec_b64 s[24:25], s[4:5]
	s_cbranch_execz .LBB376_985
; %bb.980:                              ;   in Loop: Header=BB376_450 Depth=1
	v_cmp_ne_u16_sdwa s[4:5], v1, s31 src0_sel:BYTE_0 src1_sel:DWORD
	v_bfrev_b32_e32 v2, 1
	s_and_saveexec_b64 s[26:27], s[4:5]
	s_cbranch_execz .LBB376_984
; %bb.981:                              ;   in Loop: Header=BB376_450 Depth=1
	v_and_b32_e32 v5, 0x7f, v1
	v_cmp_ne_u32_e64 s[4:5], s34, v5
	v_mov_b32_e32 v2, 0x7f800001
	s_and_saveexec_b64 s[28:29], s[4:5]
	s_cbranch_execz .LBB376_983
; %bb.982:                              ;   in Loop: Header=BB376_450 Depth=1
	v_and_b32_e32 v2, 7, v1
	v_ffbh_u32_e32 v2, v2
	v_min_u32_e32 v2, 32, v2
	v_subrev_u32_e32 v9, 28, v2
	v_cmp_gt_u32_e64 s[4:5], 8, v5
	v_lshrrev_b32_e32 v8, 3, v5
	v_sub_u32_e32 v2, 29, v2
	v_cndmask_b32_e64 v5, 0, v9, s[4:5]
	v_cndmask_b32_e64 v2, v8, v2, s[4:5]
	v_lshlrev_b64 v[8:9], v5, v[10:11]
	v_lshlrev_b32_e32 v5, 20, v8
	v_lshlrev_b32_e32 v8, 24, v10
	v_and_b32_e32 v5, 0x700000, v5
	v_and_b32_e32 v8, 0x80000000, v8
	v_lshl_add_u32 v2, v2, 23, v28
	v_or3_b32 v2, v8, v2, v5
.LBB376_983:                            ;   in Loop: Header=BB376_450 Depth=1
	s_or_b64 exec, exec, s[28:29]
.LBB376_984:                            ;   in Loop: Header=BB376_450 Depth=1
	s_or_b64 exec, exec, s[26:27]
.LBB376_985:                            ;   in Loop: Header=BB376_450 Depth=1
	s_or_b64 exec, exec, s[24:25]
	v_mul_f32_e32 v2, v7, v2
	v_and_b32_e32 v5, 0x7f800000, v2
	v_cmp_ne_u32_e64 s[4:5], s15, v5
                                        ; implicit-def: $vgpr38
	s_and_saveexec_b64 s[24:25], s[4:5]
	s_xor_b64 s[4:5], exec, s[24:25]
; %bb.986:                              ;   in Loop: Header=BB376_450 Depth=1
	v_bfe_u32 v5, v2, 16, 1
	v_add3_u32 v38, v2, v5, s30
                                        ; implicit-def: $vgpr2
; %bb.987:                              ;   in Loop: Header=BB376_450 Depth=1
	s_andn2_saveexec_b64 s[24:25], s[4:5]
; %bb.988:                              ;   in Loop: Header=BB376_450 Depth=1
	v_or_b32_e32 v5, 0x10000, v2
	v_cmp_eq_u32_sdwa s[4:5], v2, v11 src0_sel:WORD_0 src1_sel:DWORD
	v_cndmask_b32_e64 v38, v5, v2, s[4:5]
; %bb.989:                              ;   in Loop: Header=BB376_450 Depth=1
	s_or_b64 exec, exec, s[24:25]
	v_lshrrev_b16_e32 v2, 8, v10
	v_cmp_ne_u16_e64 s[4:5], 0, v2
	v_mov_b32_e32 v5, 0
	s_and_saveexec_b64 s[24:25], s[4:5]
	s_cbranch_execz .LBB376_995
; %bb.990:                              ;   in Loop: Header=BB376_450 Depth=1
	v_cmp_ne_u16_e64 s[4:5], s31, v2
	v_bfrev_b32_e32 v5, 1
	s_and_saveexec_b64 s[26:27], s[4:5]
	s_cbranch_execz .LBB376_994
; %bb.991:                              ;   in Loop: Header=BB376_450 Depth=1
	v_and_b32_e32 v47, 0x7f, v2
	v_cmp_ne_u32_e64 s[4:5], s34, v47
	v_mov_b32_e32 v5, 0x7f800001
	s_and_saveexec_b64 s[28:29], s[4:5]
	s_cbranch_execz .LBB376_993
; %bb.992:                              ;   in Loop: Header=BB376_450 Depth=1
	v_and_b32_e32 v5, 7, v2
	v_ffbh_u32_e32 v8, v5
	v_min_u32_e32 v28, 32, v8
	v_subrev_u32_e32 v8, 28, v28
	v_lshlrev_b64 v[8:9], v8, v[2:3]
	v_lshrrev_b32_e32 v23, 3, v47
	v_sub_u32_e32 v2, 29, v28
	v_and_b32_e32 v8, 7, v8
	v_cmp_gt_u32_e64 s[4:5], 8, v47
	v_bfrev_b32_e32 v28, 60
	v_cndmask_b32_e64 v2, v23, v2, s[4:5]
	v_cndmask_b32_e64 v5, v5, v8, s[4:5]
	v_lshlrev_b32_e32 v8, 16, v10
	v_lshlrev_b32_e32 v5, 20, v5
	v_and_b32_e32 v8, 0x80000000, v8
	v_lshl_add_u32 v2, v2, 23, v28
	v_or3_b32 v5, v8, v2, v5
.LBB376_993:                            ;   in Loop: Header=BB376_450 Depth=1
	s_or_b64 exec, exec, s[28:29]
.LBB376_994:                            ;   in Loop: Header=BB376_450 Depth=1
	s_or_b64 exec, exec, s[26:27]
.LBB376_995:                            ;   in Loop: Header=BB376_450 Depth=1
	s_or_b64 exec, exec, s[24:25]
	v_mul_f32_e32 v2, v7, v5
	v_and_b32_e32 v5, 0x7f800000, v2
	v_cmp_ne_u32_e64 s[4:5], s15, v5
                                        ; implicit-def: $vgpr5
	s_and_saveexec_b64 s[24:25], s[4:5]
	s_xor_b64 s[4:5], exec, s[24:25]
; %bb.996:                              ;   in Loop: Header=BB376_450 Depth=1
	v_bfe_u32 v5, v2, 16, 1
	v_add3_u32 v5, v2, v5, s30
                                        ; implicit-def: $vgpr2
; %bb.997:                              ;   in Loop: Header=BB376_450 Depth=1
	s_andn2_saveexec_b64 s[24:25], s[4:5]
; %bb.998:                              ;   in Loop: Header=BB376_450 Depth=1
	v_or_b32_e32 v5, 0x10000, v2
	v_cmp_eq_u32_sdwa s[4:5], v2, v11 src0_sel:WORD_0 src1_sel:DWORD
	v_cndmask_b32_e64 v5, v5, v2, s[4:5]
; %bb.999:                              ;   in Loop: Header=BB376_450 Depth=1
	s_or_b64 exec, exec, s[24:25]
	v_lshrrev_b32_e32 v2, 16, v1
	v_cmp_ne_u16_sdwa s[4:5], v2, v11 src0_sel:BYTE_0 src1_sel:DWORD
	v_mov_b32_e32 v10, 0
	s_and_saveexec_b64 s[24:25], s[4:5]
	s_cbranch_execz .LBB376_1005
; %bb.1000:                             ;   in Loop: Header=BB376_450 Depth=1
	v_cmp_ne_u16_sdwa s[4:5], v2, s31 src0_sel:BYTE_0 src1_sel:DWORD
	v_bfrev_b32_e32 v10, 1
	s_and_saveexec_b64 s[26:27], s[4:5]
	s_cbranch_execz .LBB376_1004
; %bb.1001:                             ;   in Loop: Header=BB376_450 Depth=1
	v_bfe_u32 v47, v1, 16, 7
	v_cmp_ne_u32_e64 s[4:5], s34, v47
	v_mov_b32_e32 v10, 0x7f800001
	s_and_saveexec_b64 s[28:29], s[4:5]
	s_cbranch_execz .LBB376_1003
; %bb.1002:                             ;   in Loop: Header=BB376_450 Depth=1
	v_and_b32_e32 v10, 7, v2
	v_ffbh_u32_e32 v8, v10
	v_min_u32_e32 v28, 32, v8
	v_subrev_u32_e32 v8, 28, v28
	v_lshlrev_b64 v[8:9], v8, v[2:3]
	v_lshrrev_b32_e32 v23, 3, v47
	v_sub_u32_e32 v9, 29, v28
	v_and_b32_e32 v8, 7, v8
	v_cmp_gt_u32_e64 s[4:5], 8, v47
	v_bfrev_b32_e32 v28, 60
	v_cndmask_b32_e64 v9, v23, v9, s[4:5]
	v_cndmask_b32_e64 v8, v10, v8, s[4:5]
	v_lshlrev_b32_e32 v2, 24, v2
	v_lshlrev_b32_e32 v8, 20, v8
	v_and_b32_e32 v2, 0x80000000, v2
	v_lshl_add_u32 v9, v9, 23, v28
	v_or3_b32 v10, v2, v9, v8
.LBB376_1003:                           ;   in Loop: Header=BB376_450 Depth=1
	s_or_b64 exec, exec, s[28:29]
.LBB376_1004:                           ;   in Loop: Header=BB376_450 Depth=1
	s_or_b64 exec, exec, s[26:27]
.LBB376_1005:                           ;   in Loop: Header=BB376_450 Depth=1
	s_or_b64 exec, exec, s[24:25]
	v_mul_f32_e32 v10, v7, v10
	v_and_b32_e32 v2, 0x7f800000, v10
	v_cmp_ne_u32_e64 s[4:5], s15, v2
                                        ; implicit-def: $vgpr2
	s_and_saveexec_b64 s[24:25], s[4:5]
	s_xor_b64 s[4:5], exec, s[24:25]
; %bb.1006:                             ;   in Loop: Header=BB376_450 Depth=1
	v_bfe_u32 v2, v10, 16, 1
	v_add3_u32 v2, v10, v2, s30
                                        ; implicit-def: $vgpr10
; %bb.1007:                             ;   in Loop: Header=BB376_450 Depth=1
	s_andn2_saveexec_b64 s[24:25], s[4:5]
; %bb.1008:                             ;   in Loop: Header=BB376_450 Depth=1
	v_or_b32_e32 v2, 0x10000, v10
	v_cmp_eq_u32_sdwa s[4:5], v10, v11 src0_sel:WORD_0 src1_sel:DWORD
	v_cndmask_b32_e64 v2, v2, v10, s[4:5]
; %bb.1009:                             ;   in Loop: Header=BB376_450 Depth=1
	s_or_b64 exec, exec, s[24:25]
	v_cmp_lt_u64_e64 s[4:5], s[10:11], v[0:1]
	v_mov_b32_e32 v10, 0
	s_and_saveexec_b64 s[24:25], s[4:5]
	s_cbranch_execz .LBB376_1015
; %bb.1010:                             ;   in Loop: Header=BB376_450 Depth=1
	v_lshrrev_b32_e32 v0, 24, v1
	v_cmp_ne_u32_e64 s[4:5], s31, v0
	v_bfrev_b32_e32 v10, 1
	s_and_saveexec_b64 s[26:27], s[4:5]
	s_cbranch_execz .LBB376_1014
; %bb.1011:                             ;   in Loop: Header=BB376_450 Depth=1
	v_bfe_u32 v1, v1, 24, 7
	v_cmp_ne_u32_e64 s[4:5], s34, v1
	v_mov_b32_e32 v10, 0x7f800001
	s_and_saveexec_b64 s[28:29], s[4:5]
	s_cbranch_execz .LBB376_1013
; %bb.1012:                             ;   in Loop: Header=BB376_450 Depth=1
	v_and_b32_e32 v10, 7, v0
	v_ffbh_u32_e32 v8, v10
	v_min_u32_e32 v28, 32, v8
	v_subrev_u32_e32 v8, 28, v28
	v_lshlrev_b64 v[8:9], v8, v[0:1]
	v_lshrrev_b32_e32 v23, 3, v1
	v_sub_u32_e32 v9, 29, v28
	v_and_b32_e32 v8, 7, v8
	v_cmp_gt_u32_e64 s[4:5], 8, v1
	v_bfrev_b32_e32 v28, 60
	v_cndmask_b32_e64 v1, v23, v9, s[4:5]
	v_cndmask_b32_e64 v8, v10, v8, s[4:5]
	v_lshlrev_b32_e32 v0, 24, v0
	v_lshlrev_b32_e32 v8, 20, v8
	v_and_b32_e32 v0, 0x80000000, v0
	v_lshl_add_u32 v1, v1, 23, v28
	v_or3_b32 v10, v0, v1, v8
.LBB376_1013:                           ;   in Loop: Header=BB376_450 Depth=1
	s_or_b64 exec, exec, s[28:29]
.LBB376_1014:                           ;   in Loop: Header=BB376_450 Depth=1
	s_or_b64 exec, exec, s[26:27]
.LBB376_1015:                           ;   in Loop: Header=BB376_450 Depth=1
	s_or_b64 exec, exec, s[24:25]
	v_mul_f32_e32 v0, v7, v10
	v_and_b32_e32 v1, 0x7f800000, v0
	v_cmp_ne_u32_e64 s[4:5], s15, v1
                                        ; implicit-def: $vgpr47
	s_and_saveexec_b64 s[24:25], s[4:5]
	s_xor_b64 s[4:5], exec, s[24:25]
; %bb.1016:                             ;   in Loop: Header=BB376_450 Depth=1
	v_bfe_u32 v1, v0, 16, 1
	v_add3_u32 v47, v0, v1, s30
                                        ; implicit-def: $vgpr0
; %bb.1017:                             ;   in Loop: Header=BB376_450 Depth=1
	s_andn2_saveexec_b64 s[24:25], s[4:5]
; %bb.1018:                             ;   in Loop: Header=BB376_450 Depth=1
	v_or_b32_e32 v1, 0x10000, v0
	v_cmp_eq_u32_sdwa s[4:5], v0, v11 src0_sel:WORD_0 src1_sel:DWORD
	v_cndmask_b32_e64 v47, v1, v0, s[4:5]
; %bb.1019:                             ;   in Loop: Header=BB376_450 Depth=1
	s_or_b64 exec, exec, s[24:25]
	v_lshrrev_b32_e32 v5, 16, v5
	v_lshrrev_b32_e32 v38, 16, v38
	;; [unrolled: 1-line block ×8, first 2 shown]
	s_and_saveexec_b64 s[4:5], vcc
	s_cbranch_execz .LBB376_1021
; %bb.1020:                             ;   in Loop: Header=BB376_450 Depth=1
	v_accvgpr_read_b32 v8, a3
	v_cmp_lt_i32_e32 vcc, v51, v8
	v_accvgpr_read_b32 v9, a34
	v_cndmask_b32_e32 v0, 0, v0, vcc
	v_cmp_lt_i32_e32 vcc, v9, v8
	v_accvgpr_read_b32 v9, a33
	v_cndmask_b32_e32 v1, 0, v1, vcc
	;; [unrolled: 3-line block ×7, first 2 shown]
	v_cmp_lt_i32_e32 vcc, v9, v8
	v_cndmask_b32_e32 v2, 0, v2, vcc
.LBB376_1021:                           ;   in Loop: Header=BB376_450 Depth=1
	s_or_b64 exec, exec, s[4:5]
	v_lshlrev_b32_e32 v0, 16, v0
	v_mul_f32_e32 v35, v44, v0
	v_and_b32_e32 v0, 0x7f800000, v35
	v_cmp_ne_u32_e32 vcc, s15, v0
                                        ; implicit-def: $vgpr0
	s_and_saveexec_b64 s[4:5], vcc
	s_xor_b64 s[4:5], exec, s[4:5]
; %bb.1022:                             ;   in Loop: Header=BB376_450 Depth=1
	v_bfe_u32 v0, v35, 16, 1
	v_add3_u32 v0, v35, v0, s30
                                        ; implicit-def: $vgpr35
; %bb.1023:                             ;   in Loop: Header=BB376_450 Depth=1
	s_andn2_saveexec_b64 s[4:5], s[4:5]
; %bb.1024:                             ;   in Loop: Header=BB376_450 Depth=1
	v_or_b32_e32 v0, 0x10000, v35
	v_cmp_eq_u32_sdwa vcc, v35, v11 src0_sel:WORD_0 src1_sel:DWORD
	v_cndmask_b32_e32 v0, v0, v35, vcc
; %bb.1025:                             ;   in Loop: Header=BB376_450 Depth=1
	s_or_b64 exec, exec, s[4:5]
	v_lshlrev_b32_e32 v1, 16, v1
	v_mul_f32_e32 v35, v45, v1
	v_and_b32_e32 v1, 0x7f800000, v35
	v_cmp_ne_u32_e32 vcc, s15, v1
                                        ; implicit-def: $vgpr1
	s_and_saveexec_b64 s[4:5], vcc
	s_xor_b64 s[4:5], exec, s[4:5]
; %bb.1026:                             ;   in Loop: Header=BB376_450 Depth=1
	v_bfe_u32 v1, v35, 16, 1
	v_add3_u32 v1, v35, v1, s30
                                        ; implicit-def: $vgpr35
; %bb.1027:                             ;   in Loop: Header=BB376_450 Depth=1
	s_andn2_saveexec_b64 s[4:5], s[4:5]
; %bb.1028:                             ;   in Loop: Header=BB376_450 Depth=1
	v_or_b32_e32 v1, 0x10000, v35
	v_cmp_eq_u32_sdwa vcc, v35, v11 src0_sel:WORD_0 src1_sel:DWORD
	v_cndmask_b32_e32 v1, v1, v35, vcc
; %bb.1029:                             ;   in Loop: Header=BB376_450 Depth=1
	s_or_b64 exec, exec, s[4:5]
	v_lshlrev_b32_e32 v4, 16, v4
	v_mul_f32_e32 v35, v46, v4
	v_and_b32_e32 v4, 0x7f800000, v35
	v_cmp_ne_u32_e32 vcc, s15, v4
                                        ; implicit-def: $vgpr4
	s_and_saveexec_b64 s[4:5], vcc
	s_xor_b64 s[4:5], exec, s[4:5]
; %bb.1030:                             ;   in Loop: Header=BB376_450 Depth=1
	v_bfe_u32 v4, v35, 16, 1
	v_add3_u32 v4, v35, v4, s30
                                        ; implicit-def: $vgpr35
; %bb.1031:                             ;   in Loop: Header=BB376_450 Depth=1
	s_andn2_saveexec_b64 s[4:5], s[4:5]
; %bb.1032:                             ;   in Loop: Header=BB376_450 Depth=1
	v_or_b32_e32 v4, 0x10000, v35
	v_cmp_eq_u32_sdwa vcc, v35, v11 src0_sel:WORD_0 src1_sel:DWORD
	v_cndmask_b32_e32 v4, v4, v35, vcc
; %bb.1033:                             ;   in Loop: Header=BB376_450 Depth=1
	s_or_b64 exec, exec, s[4:5]
	v_lshlrev_b32_e32 v8, 16, v10
	v_mul_f32_e32 v35, v56, v8
	v_and_b32_e32 v8, 0x7f800000, v35
	v_cmp_ne_u32_e32 vcc, s15, v8
                                        ; implicit-def: $vgpr10
	s_and_saveexec_b64 s[4:5], vcc
	s_xor_b64 s[4:5], exec, s[4:5]
; %bb.1034:                             ;   in Loop: Header=BB376_450 Depth=1
	v_bfe_u32 v8, v35, 16, 1
	v_add3_u32 v10, v35, v8, s30
                                        ; implicit-def: $vgpr35
; %bb.1035:                             ;   in Loop: Header=BB376_450 Depth=1
	s_andn2_saveexec_b64 s[4:5], s[4:5]
; %bb.1036:                             ;   in Loop: Header=BB376_450 Depth=1
	v_or_b32_e32 v8, 0x10000, v35
	v_cmp_eq_u32_sdwa vcc, v35, v11 src0_sel:WORD_0 src1_sel:DWORD
	v_cndmask_b32_e32 v10, v8, v35, vcc
; %bb.1037:                             ;   in Loop: Header=BB376_450 Depth=1
	s_or_b64 exec, exec, s[4:5]
	v_lshlrev_b32_e32 v8, 16, v38
	v_mul_f32_e32 v38, v60, v8
	v_and_b32_e32 v8, 0x7f800000, v38
	v_cmp_ne_u32_e32 vcc, s15, v8
                                        ; implicit-def: $vgpr35
	s_and_saveexec_b64 s[4:5], vcc
	s_xor_b64 s[4:5], exec, s[4:5]
; %bb.1038:                             ;   in Loop: Header=BB376_450 Depth=1
	v_bfe_u32 v8, v38, 16, 1
	v_add3_u32 v35, v38, v8, s30
                                        ; implicit-def: $vgpr38
; %bb.1039:                             ;   in Loop: Header=BB376_450 Depth=1
	s_andn2_saveexec_b64 s[4:5], s[4:5]
; %bb.1040:                             ;   in Loop: Header=BB376_450 Depth=1
	v_or_b32_e32 v8, 0x10000, v38
	v_cmp_eq_u32_sdwa vcc, v38, v11 src0_sel:WORD_0 src1_sel:DWORD
	v_cndmask_b32_e32 v35, v8, v38, vcc
; %bb.1041:                             ;   in Loop: Header=BB376_450 Depth=1
	s_or_b64 exec, exec, s[4:5]
	v_lshlrev_b32_e32 v5, 16, v5
	v_mul_f32_e32 v38, v61, v5
	v_and_b32_e32 v5, 0x7f800000, v38
	v_cmp_ne_u32_e32 vcc, s15, v5
                                        ; implicit-def: $vgpr5
	s_and_saveexec_b64 s[4:5], vcc
	s_xor_b64 s[4:5], exec, s[4:5]
; %bb.1042:                             ;   in Loop: Header=BB376_450 Depth=1
	v_bfe_u32 v5, v38, 16, 1
	v_add3_u32 v5, v38, v5, s30
                                        ; implicit-def: $vgpr38
; %bb.1043:                             ;   in Loop: Header=BB376_450 Depth=1
	s_andn2_saveexec_b64 s[4:5], s[4:5]
; %bb.1044:                             ;   in Loop: Header=BB376_450 Depth=1
	v_or_b32_e32 v5, 0x10000, v38
	v_cmp_eq_u32_sdwa vcc, v38, v11 src0_sel:WORD_0 src1_sel:DWORD
	v_cndmask_b32_e32 v5, v5, v38, vcc
; %bb.1045:                             ;   in Loop: Header=BB376_450 Depth=1
	s_or_b64 exec, exec, s[4:5]
	v_lshlrev_b32_e32 v7, 16, v7
	v_mul_f32_e32 v38, v62, v7
	v_and_b32_e32 v7, 0x7f800000, v38
	v_cmp_ne_u32_e32 vcc, s15, v7
                                        ; implicit-def: $vgpr7
	s_and_saveexec_b64 s[4:5], vcc
	s_xor_b64 s[4:5], exec, s[4:5]
; %bb.1046:                             ;   in Loop: Header=BB376_450 Depth=1
	v_bfe_u32 v7, v38, 16, 1
	v_add3_u32 v7, v38, v7, s30
                                        ; implicit-def: $vgpr38
; %bb.1047:                             ;   in Loop: Header=BB376_450 Depth=1
	s_andn2_saveexec_b64 s[4:5], s[4:5]
; %bb.1048:                             ;   in Loop: Header=BB376_450 Depth=1
	v_or_b32_e32 v7, 0x10000, v38
	v_cmp_eq_u32_sdwa vcc, v38, v11 src0_sel:WORD_0 src1_sel:DWORD
	v_cndmask_b32_e32 v7, v7, v38, vcc
; %bb.1049:                             ;   in Loop: Header=BB376_450 Depth=1
	s_or_b64 exec, exec, s[4:5]
	v_lshlrev_b32_e32 v2, 16, v2
	v_mul_f32_e32 v34, v34, v2
	v_and_b32_e32 v2, 0x7f800000, v34
	v_cmp_ne_u32_e32 vcc, s15, v2
                                        ; implicit-def: $vgpr2
	s_and_saveexec_b64 s[4:5], vcc
	s_xor_b64 s[4:5], exec, s[4:5]
; %bb.1050:                             ;   in Loop: Header=BB376_450 Depth=1
	v_bfe_u32 v2, v34, 16, 1
	v_add3_u32 v2, v34, v2, s30
                                        ; implicit-def: $vgpr34
; %bb.1051:                             ;   in Loop: Header=BB376_450 Depth=1
	s_andn2_saveexec_b64 s[4:5], s[4:5]
	s_cbranch_execz .LBB376_448
; %bb.1052:                             ;   in Loop: Header=BB376_450 Depth=1
	v_or_b32_e32 v2, 0x10000, v34
	v_cmp_eq_u32_sdwa vcc, v34, v11 src0_sel:WORD_0 src1_sel:DWORD
	v_cndmask_b32_e32 v2, v2, v34, vcc
	s_branch .LBB376_448
.LBB376_1053:
	s_or_b64 exec, exec, s[12:13]
	v_accvgpr_read_b32 v18, a16
	v_accvgpr_read_b32 v19, a17
	;; [unrolled: 1-line block ×3, first 2 shown]
.LBB376_1054:
	s_or_b64 exec, exec, s[8:9]
	ds_bpermute_b32 v0, v18, v16
	ds_bpermute_b32 v1, v18, v17
	;; [unrolled: 1-line block ×5, first 2 shown]
	v_mov_b32_e32 v11, v6
	s_waitcnt lgkmcnt(0)
	v_pk_add_f32 v[0:1], v[16:17], v[0:1]
	ds_bpermute_b32 v4, v19, v0
	ds_bpermute_b32 v5, v19, v1
	v_pk_add_f32 v[6:7], v[12:13], v[2:3]
	v_add_f32_e32 v10, v11, v10
	ds_bpermute_b32 v8, v19, v6
	ds_bpermute_b32 v9, v19, v7
	;; [unrolled: 1-line block ×3, first 2 shown]
	s_waitcnt lgkmcnt(0)
	v_pk_add_f32 v[2:3], v[0:1], v[4:5]
	v_accvgpr_read_b32 v4, a2
	v_and_b32_e32 v4, 0x3c3, v4
	v_pk_add_f32 v[0:1], v[6:7], v[8:9]
	v_add_f32_e32 v6, v10, v11
	v_cmp_eq_u32_e32 vcc, 64, v4
	s_barrier
	s_and_saveexec_b64 s[4:5], vcc
	s_cbranch_execz .LBB376_1056
; %bb.1055:
	s_load_dword s8, s[6:7], 0x0
	s_waitcnt lgkmcnt(0)
	v_add_u32_e32 v4, s8, v41
	ds_write2_b32 v4, v2, v3 offset1:16
	ds_write2_b32 v4, v0, v1 offset0:32 offset1:48
	ds_write_b32 v4, v6 offset:256
.LBB376_1056:
	s_or_b64 exec, exec, s[4:5]
	v_accvgpr_read_b32 v4, a2
	v_cmp_gt_u32_e32 vcc, 64, v4
	s_waitcnt lgkmcnt(0)
	s_barrier
	s_mov_b64 s[8:9], exec
	s_and_b64 s[4:5], s[8:9], vcc
	v_accvgpr_read_b32 v7, a0
	v_accvgpr_read_b32 v8, a1
	s_mov_b64 exec, s[4:5]
	s_cbranch_execz .LBB376_1064
; %bb.1057:
	v_accvgpr_read_b32 v4, a2
	v_cmp_eq_u32_e64 s[4:5], 0, v20
	v_lshrrev_b32_e32 v4, 2, v4
	s_and_saveexec_b64 s[10:11], s[4:5]
	s_cbranch_execnz .LBB376_1088
; %bb.1058:
	s_or_b64 exec, exec, s[10:11]
	s_and_saveexec_b64 s[10:11], s[4:5]
	s_cbranch_execnz .LBB376_1089
.LBB376_1059:
	s_or_b64 exec, exec, s[10:11]
	s_and_saveexec_b64 s[10:11], s[4:5]
	s_cbranch_execnz .LBB376_1090
.LBB376_1060:
	s_or_b64 exec, exec, s[10:11]
	s_and_saveexec_b64 s[10:11], s[4:5]
	s_cbranch_execnz .LBB376_1091
.LBB376_1061:
	s_or_b64 exec, exec, s[10:11]
	s_and_saveexec_b64 s[10:11], s[4:5]
	s_cbranch_execz .LBB376_1063
.LBB376_1062:
	s_load_dword s4, s[6:7], 0x0
	s_waitcnt lgkmcnt(0)
	v_lshl_add_u32 v4, v4, 2, s4
	ds_read_b32 v4, v4 offset:256
	s_waitcnt lgkmcnt(0)
	v_add_f32_e32 v6, v6, v4
.LBB376_1063:
	s_or_b64 exec, exec, s[10:11]
.LBB376_1064:
	s_or_b64 exec, exec, s[8:9]
	s_barrier
	s_and_b64 exec, exec, vcc
	s_cbranch_execz .LBB376_1087
; %bb.1065:
	v_cmp_eq_u32_e32 vcc, 0, v20
	s_and_b64 exec, exec, vcc
	s_cbranch_execz .LBB376_1087
; %bb.1066:
	s_mov_b32 s4, 0x7f800000
	v_and_b32_e32 v4, 0x7f800000, v2
	v_cmp_ne_u32_e32 vcc, s4, v4
                                        ; implicit-def: $vgpr4
	s_and_saveexec_b64 s[4:5], vcc
	s_xor_b64 s[4:5], exec, s[4:5]
; %bb.1067:
	v_bfe_u32 v4, v2, 16, 1
	s_movk_i32 s6, 0x7fff
	v_add3_u32 v4, v2, v4, s6
; %bb.1068:
	s_andn2_saveexec_b64 s[4:5], s[4:5]
; %bb.1069:
	v_mov_b32_e32 v4, 0
	v_or_b32_e32 v5, 0x10000, v2
	v_cmp_eq_u32_sdwa vcc, v2, v4 src0_sel:WORD_0 src1_sel:DWORD
	v_cndmask_b32_e32 v4, v5, v2, vcc
; %bb.1070:
	s_or_b64 exec, exec, s[4:5]
	s_mul_i32 s4, s21, s18
	s_mul_i32 s4, s4, s19
	s_mulk_i32 s4, 0x50
	s_mul_i32 s6, s20, s21
	s_mul_i32 s8, s14, 0x50
	s_ashr_i32 s5, s4, 31
	s_ashr_i32 s7, s6, 31
	;; [unrolled: 1-line block ×3, first 2 shown]
	s_lshl_b64 s[4:5], s[4:5], 1
	s_lshl_b64 s[6:7], s[6:7], 1
	;; [unrolled: 1-line block ×3, first 2 shown]
	s_add_u32 s6, s8, s6
	s_addc_u32 s7, s9, s7
	s_add_u32 s4, s6, s4
	s_addc_u32 s5, s7, s5
	v_mov_b32_e32 v2, s5
	v_add_co_u32_e32 v5, vcc, s4, v8
	v_addc_co_u32_e32 v2, vcc, v2, v7, vcc
	v_accvgpr_read_b32 v7, a2
	v_lshrrev_b32_e32 v7, 1, v7
	v_and_b32_e32 v7, 0x1fe, v7
	v_add_co_u32_e32 v8, vcc, v5, v7
	v_addc_co_u32_e32 v9, vcc, 0, v2, vcc
	s_mov_b32 s4, 0x7f800000
	v_and_b32_e32 v2, 0x7f800000, v3
	v_cmp_ne_u32_e32 vcc, s4, v2
	flat_store_short_d16_hi v[8:9], v4
                                        ; implicit-def: $vgpr2
	s_and_saveexec_b64 s[4:5], vcc
	s_xor_b64 s[4:5], exec, s[4:5]
; %bb.1071:
	v_bfe_u32 v2, v3, 16, 1
	s_movk_i32 s6, 0x7fff
	v_add3_u32 v2, v3, v2, s6
; %bb.1072:
	s_andn2_saveexec_b64 s[4:5], s[4:5]
; %bb.1073:
	v_mov_b32_e32 v2, 0
	v_or_b32_e32 v4, 0x10000, v3
	v_cmp_eq_u32_sdwa vcc, v3, v2 src0_sel:WORD_0 src1_sel:DWORD
	v_cndmask_b32_e32 v2, v4, v3, vcc
; %bb.1074:
	s_or_b64 exec, exec, s[4:5]
	flat_store_short_d16_hi v[8:9], v2 offset:32
	s_mov_b32 s4, 0x7f800000
	v_and_b32_e32 v2, 0x7f800000, v0
	v_cmp_ne_u32_e32 vcc, s4, v2
                                        ; implicit-def: $vgpr2
	s_and_saveexec_b64 s[4:5], vcc
	s_xor_b64 s[4:5], exec, s[4:5]
; %bb.1075:
	v_bfe_u32 v2, v0, 16, 1
	s_movk_i32 s6, 0x7fff
	v_add3_u32 v2, v0, v2, s6
; %bb.1076:
	s_andn2_saveexec_b64 s[4:5], s[4:5]
; %bb.1077:
	v_mov_b32_e32 v2, 0
	v_or_b32_e32 v3, 0x10000, v0
	v_cmp_eq_u32_sdwa vcc, v0, v2 src0_sel:WORD_0 src1_sel:DWORD
	v_cndmask_b32_e32 v2, v3, v0, vcc
; %bb.1078:
	s_or_b64 exec, exec, s[4:5]
	s_mov_b32 s4, 0x7f800000
	v_and_b32_e32 v0, 0x7f800000, v1
	v_cmp_ne_u32_e32 vcc, s4, v0
	flat_store_short_d16_hi v[8:9], v2 offset:64
                                        ; implicit-def: $vgpr0
	s_and_saveexec_b64 s[4:5], vcc
	s_xor_b64 s[4:5], exec, s[4:5]
; %bb.1079:
	v_bfe_u32 v0, v1, 16, 1
	s_movk_i32 s6, 0x7fff
	v_add3_u32 v0, v1, v0, s6
; %bb.1080:
	s_andn2_saveexec_b64 s[4:5], s[4:5]
; %bb.1081:
	v_mov_b32_e32 v0, 0
	v_or_b32_e32 v2, 0x10000, v1
	v_cmp_eq_u32_sdwa vcc, v1, v0 src0_sel:WORD_0 src1_sel:DWORD
	v_cndmask_b32_e32 v0, v2, v1, vcc
; %bb.1082:
	s_or_b64 exec, exec, s[4:5]
	flat_store_short_d16_hi v[8:9], v0 offset:96
	s_mov_b32 s4, 0x7f800000
	v_and_b32_e32 v0, 0x7f800000, v6
	v_cmp_ne_u32_e32 vcc, s4, v0
                                        ; implicit-def: $vgpr0
	s_and_saveexec_b64 s[4:5], vcc
	s_xor_b64 s[4:5], exec, s[4:5]
; %bb.1083:
	v_bfe_u32 v0, v6, 16, 1
	s_movk_i32 s6, 0x7fff
	v_add3_u32 v0, v6, v0, s6
                                        ; implicit-def: $vgpr2_vgpr3_vgpr4_vgpr5_vgpr6
; %bb.1084:
	s_andn2_saveexec_b64 s[4:5], s[4:5]
; %bb.1085:
	v_mov_b32_e32 v0, 0
	v_or_b32_e32 v1, 0x10000, v6
	v_cmp_eq_u32_sdwa vcc, v6, v0 src0_sel:WORD_0 src1_sel:DWORD
	v_cndmask_b32_e32 v0, v1, v6, vcc
; %bb.1086:
	s_or_b64 exec, exec, s[4:5]
	flat_store_short_d16_hi v[8:9], v0 offset:128
.LBB376_1087:
	s_or_b64 exec, exec, s[16:17]
	buffer_load_dword a63, off, s[0:3], s32 offset:8 ; 4-byte Folded Reload
	buffer_load_dword a62, off, s[0:3], s32 offset:12 ; 4-byte Folded Reload
	;; [unrolled: 1-line block ×47, first 2 shown]
	v_readlane_b32 s30, v63, 10
	v_readlane_b32 s31, v63, 11
	;; [unrolled: 1-line block ×12, first 2 shown]
	s_or_saveexec_b64 s[4:5], -1
	buffer_load_dword v63, off, s[0:3], s32 offset:236 ; 4-byte Folded Reload
	s_mov_b64 exec, s[4:5]
	s_waitcnt vmcnt(0) lgkmcnt(0)
	s_setpc_b64 s[30:31]
.LBB376_1088:
	s_load_dword s12, s[6:7], 0x0
	s_waitcnt lgkmcnt(0)
	v_lshl_add_u32 v5, v4, 2, s12
	ds_read_b32 v5, v5
	s_waitcnt lgkmcnt(0)
	v_add_f32_e32 v2, v2, v5
	s_or_b64 exec, exec, s[10:11]
	s_and_saveexec_b64 s[10:11], s[4:5]
	s_cbranch_execz .LBB376_1059
.LBB376_1089:
	s_load_dword s12, s[6:7], 0x0
	s_waitcnt lgkmcnt(0)
	v_lshl_add_u32 v5, v4, 2, s12
	ds_read_b32 v5, v5 offset:64
	s_waitcnt lgkmcnt(0)
	v_add_f32_e32 v3, v3, v5
	s_or_b64 exec, exec, s[10:11]
	s_and_saveexec_b64 s[10:11], s[4:5]
	s_cbranch_execz .LBB376_1060
.LBB376_1090:
	s_load_dword s12, s[6:7], 0x0
	s_waitcnt lgkmcnt(0)
	v_lshl_add_u32 v5, v4, 2, s12
	ds_read_b32 v5, v5 offset:128
	s_waitcnt lgkmcnt(0)
	v_add_f32_e32 v0, v0, v5
	s_or_b64 exec, exec, s[10:11]
	s_and_saveexec_b64 s[10:11], s[4:5]
	s_cbranch_execz .LBB376_1061
.LBB376_1091:
	s_load_dword s12, s[6:7], 0x0
	s_waitcnt lgkmcnt(0)
	v_lshl_add_u32 v5, v4, 2, s12
	ds_read_b32 v5, v5 offset:192
	s_waitcnt lgkmcnt(0)
	v_add_f32_e32 v1, v1, v5
	s_or_b64 exec, exec, s[10:11]
	s_and_saveexec_b64 s[10:11], s[4:5]
	s_cbranch_execnz .LBB376_1062
	s_branch .LBB376_1063
.Lfunc_end376:
	.size	_ZN4vllm22paged_attention_kernelI14__hip_bfloat16hLi80ELi32ELi128ELNS_18Fp8KVCacheDataTypeE1ELb1ELi512EEEvPfS3_PT_PKS4_PKT0_SA_ifPKiSC_iPKfiiiSE_SE_iiiii, .Lfunc_end376-_ZN4vllm22paged_attention_kernelI14__hip_bfloat16hLi80ELi32ELi128ELNS_18Fp8KVCacheDataTypeE1ELb1ELi512EEEvPfS3_PT_PKS4_PKT0_SA_ifPKiSC_iPKfiiiSE_SE_iiiii
                                        ; -- End function
	.section	.AMDGPU.csdata,"",@progbits
; Function info:
; codeLenInByte = 34844
; NumSgprs: 48
; NumVgprs: 64
; NumAgprs: 64
; TotalNumVgprs: 128
; ScratchSize: 244
; MemoryBound: 0
	.section	.text._ZN4vllm25paged_attention_v2_kernelI14__hip_bfloat16hLi80ELi32ELi128ELNS_18Fp8KVCacheDataTypeE1ELb1ELi512EEEvPfS3_PT_PKS4_PKT0_SA_ifPKiSC_iPKfiiiSE_SE_iiiii,"axG",@progbits,_ZN4vllm25paged_attention_v2_kernelI14__hip_bfloat16hLi80ELi32ELi128ELNS_18Fp8KVCacheDataTypeE1ELb1ELi512EEEvPfS3_PT_PKS4_PKT0_SA_ifPKiSC_iPKfiiiSE_SE_iiiii,comdat
	.protected	_ZN4vllm25paged_attention_v2_kernelI14__hip_bfloat16hLi80ELi32ELi128ELNS_18Fp8KVCacheDataTypeE1ELb1ELi512EEEvPfS3_PT_PKS4_PKT0_SA_ifPKiSC_iPKfiiiSE_SE_iiiii ; -- Begin function _ZN4vllm25paged_attention_v2_kernelI14__hip_bfloat16hLi80ELi32ELi128ELNS_18Fp8KVCacheDataTypeE1ELb1ELi512EEEvPfS3_PT_PKS4_PKT0_SA_ifPKiSC_iPKfiiiSE_SE_iiiii
	.globl	_ZN4vllm25paged_attention_v2_kernelI14__hip_bfloat16hLi80ELi32ELi128ELNS_18Fp8KVCacheDataTypeE1ELb1ELi512EEEvPfS3_PT_PKS4_PKT0_SA_ifPKiSC_iPKfiiiSE_SE_iiiii
	.p2align	8
	.type	_ZN4vllm25paged_attention_v2_kernelI14__hip_bfloat16hLi80ELi32ELi128ELNS_18Fp8KVCacheDataTypeE1ELb1ELi512EEEvPfS3_PT_PKS4_PKT0_SA_ifPKiSC_iPKfiiiSE_SE_iiiii,@function
_ZN4vllm25paged_attention_v2_kernelI14__hip_bfloat16hLi80ELi32ELi128ELNS_18Fp8KVCacheDataTypeE1ELb1ELi512EEEvPfS3_PT_PKS4_PKT0_SA_ifPKiSC_iPKfiiiSE_SE_iiiii: ; @_ZN4vllm25paged_attention_v2_kernelI14__hip_bfloat16hLi80ELi32ELi128ELNS_18Fp8KVCacheDataTypeE1ELb1ELi512EEEvPfS3_PT_PKS4_PKT0_SA_ifPKiSC_iPKfiiiSE_SE_iiiii
; %bb.0:
	s_add_u32 flat_scratch_lo, s6, s11
	s_addc_u32 flat_scratch_hi, s7, 0
	s_add_u32 s0, s0, s11
	s_mov_b32 s12, s8
	s_load_dwordx8 s[24:31], s[4:5], 0x0
	s_load_dwordx8 s[16:23], s[4:5], 0x20
	s_load_dwordx2 s[6:7], s[4:5], 0x40
	s_load_dwordx4 s[44:47], s[4:5], 0x78
	s_load_dwordx2 s[34:35], s[4:5], 0x50
	s_load_dword s11, s[4:5], 0x48
	s_load_dword s8, s[4:5], 0x88
	s_load_dwordx8 s[36:43], s[4:5], 0x58
	s_mov_b32 s32, 0
	s_addc_u32 s1, s1, 0
	s_waitcnt lgkmcnt(0)
	v_mov_b32_e32 v1, s47
	buffer_store_dword v1, off, s[0:3], s32
	v_mov_b32_e32 v1, s8
	s_add_u32 s8, s4, 0x90
	s_mov_b32 s13, s9
	buffer_store_dword v1, off, s[0:3], s32 offset:4
	s_addc_u32 s9, s5, 0
	s_mov_b32 s14, s10
	s_mov_b32 s15, 25
	v_mov_b32_e32 v31, v0
	v_mov_b32_e32 v0, s24
	;; [unrolled: 1-line block ×32, first 2 shown]
	s_getpc_b64 s[4:5]
	s_add_u32 s4, s4, _ZN4vllm22paged_attention_kernelI14__hip_bfloat16hLi80ELi32ELi128ELNS_18Fp8KVCacheDataTypeE1ELb1ELi512EEEvPfS3_PT_PKS4_PKT0_SA_ifPKiSC_iPKfiiiSE_SE_iiiii@rel32@lo+4
	s_addc_u32 s5, s5, _ZN4vllm22paged_attention_kernelI14__hip_bfloat16hLi80ELi32ELi128ELNS_18Fp8KVCacheDataTypeE1ELb1ELi512EEEvPfS3_PT_PKS4_PKT0_SA_ifPKiSC_iPKfiiiSE_SE_iiiii@rel32@hi+12
	s_swappc_b64 s[30:31], s[4:5]
	s_endpgm
	.section	.rodata,"a",@progbits
	.p2align	6, 0x0
	.amdhsa_kernel _ZN4vllm25paged_attention_v2_kernelI14__hip_bfloat16hLi80ELi32ELi128ELNS_18Fp8KVCacheDataTypeE1ELb1ELi512EEEvPfS3_PT_PKS4_PKT0_SA_ifPKiSC_iPKfiiiSE_SE_iiiii
		.amdhsa_group_segment_fixed_size 176
		.amdhsa_private_segment_fixed_size 244
		.amdhsa_kernarg_size 400
		.amdhsa_user_sgpr_count 8
		.amdhsa_user_sgpr_private_segment_buffer 1
		.amdhsa_user_sgpr_dispatch_ptr 0
		.amdhsa_user_sgpr_queue_ptr 0
		.amdhsa_user_sgpr_kernarg_segment_ptr 1
		.amdhsa_user_sgpr_dispatch_id 0
		.amdhsa_user_sgpr_flat_scratch_init 1
		.amdhsa_user_sgpr_kernarg_preload_length 0
		.amdhsa_user_sgpr_kernarg_preload_offset 0
		.amdhsa_user_sgpr_private_segment_size 0
		.amdhsa_uses_dynamic_stack 0
		.amdhsa_system_sgpr_private_segment_wavefront_offset 1
		.amdhsa_system_sgpr_workgroup_id_x 1
		.amdhsa_system_sgpr_workgroup_id_y 1
		.amdhsa_system_sgpr_workgroup_id_z 1
		.amdhsa_system_sgpr_workgroup_info 0
		.amdhsa_system_vgpr_workitem_id 0
		.amdhsa_next_free_vgpr 128
		.amdhsa_next_free_sgpr 48
		.amdhsa_accum_offset 64
		.amdhsa_reserve_vcc 1
		.amdhsa_reserve_flat_scratch 1
		.amdhsa_float_round_mode_32 0
		.amdhsa_float_round_mode_16_64 0
		.amdhsa_float_denorm_mode_32 3
		.amdhsa_float_denorm_mode_16_64 3
		.amdhsa_dx10_clamp 1
		.amdhsa_ieee_mode 1
		.amdhsa_fp16_overflow 0
		.amdhsa_tg_split 0
		.amdhsa_exception_fp_ieee_invalid_op 0
		.amdhsa_exception_fp_denorm_src 0
		.amdhsa_exception_fp_ieee_div_zero 0
		.amdhsa_exception_fp_ieee_overflow 0
		.amdhsa_exception_fp_ieee_underflow 0
		.amdhsa_exception_fp_ieee_inexact 0
		.amdhsa_exception_int_div_zero 0
	.end_amdhsa_kernel
	.section	.text._ZN4vllm25paged_attention_v2_kernelI14__hip_bfloat16hLi80ELi32ELi128ELNS_18Fp8KVCacheDataTypeE1ELb1ELi512EEEvPfS3_PT_PKS4_PKT0_SA_ifPKiSC_iPKfiiiSE_SE_iiiii,"axG",@progbits,_ZN4vllm25paged_attention_v2_kernelI14__hip_bfloat16hLi80ELi32ELi128ELNS_18Fp8KVCacheDataTypeE1ELb1ELi512EEEvPfS3_PT_PKS4_PKT0_SA_ifPKiSC_iPKfiiiSE_SE_iiiii,comdat
.Lfunc_end377:
	.size	_ZN4vllm25paged_attention_v2_kernelI14__hip_bfloat16hLi80ELi32ELi128ELNS_18Fp8KVCacheDataTypeE1ELb1ELi512EEEvPfS3_PT_PKS4_PKT0_SA_ifPKiSC_iPKfiiiSE_SE_iiiii, .Lfunc_end377-_ZN4vllm25paged_attention_v2_kernelI14__hip_bfloat16hLi80ELi32ELi128ELNS_18Fp8KVCacheDataTypeE1ELb1ELi512EEEvPfS3_PT_PKS4_PKT0_SA_ifPKiSC_iPKfiiiSE_SE_iiiii
                                        ; -- End function
	.section	.AMDGPU.csdata,"",@progbits
; Kernel info:
; codeLenInByte = 296
; NumSgprs: 54
; NumVgprs: 64
; NumAgprs: 64
; TotalNumVgprs: 128
; ScratchSize: 244
; MemoryBound: 0
; FloatMode: 240
; IeeeMode: 1
; LDSByteSize: 176 bytes/workgroup (compile time only)
; SGPRBlocks: 6
; VGPRBlocks: 15
; NumSGPRsForWavesPerEU: 54
; NumVGPRsForWavesPerEU: 128
; AccumOffset: 64
; Occupancy: 4
; WaveLimiterHint : 1
; COMPUTE_PGM_RSRC2:SCRATCH_EN: 1
; COMPUTE_PGM_RSRC2:USER_SGPR: 8
; COMPUTE_PGM_RSRC2:TRAP_HANDLER: 0
; COMPUTE_PGM_RSRC2:TGID_X_EN: 1
; COMPUTE_PGM_RSRC2:TGID_Y_EN: 1
; COMPUTE_PGM_RSRC2:TGID_Z_EN: 1
; COMPUTE_PGM_RSRC2:TIDIG_COMP_CNT: 0
; COMPUTE_PGM_RSRC3_GFX90A:ACCUM_OFFSET: 15
; COMPUTE_PGM_RSRC3_GFX90A:TG_SPLIT: 0
	.text
	.p2align	2                               ; -- Begin function _ZN4vllm22paged_attention_kernelI14__hip_bfloat16hLi96ELi32ELi128ELNS_18Fp8KVCacheDataTypeE1ELb1ELi512EEEvPfS3_PT_PKS4_PKT0_SA_ifPKiSC_iPKfiiiSE_SE_iiiii
	.type	_ZN4vllm22paged_attention_kernelI14__hip_bfloat16hLi96ELi32ELi128ELNS_18Fp8KVCacheDataTypeE1ELb1ELi512EEEvPfS3_PT_PKS4_PKT0_SA_ifPKiSC_iPKfiiiSE_SE_iiiii,@function
_ZN4vllm22paged_attention_kernelI14__hip_bfloat16hLi96ELi32ELi128ELNS_18Fp8KVCacheDataTypeE1ELb1ELi512EEEvPfS3_PT_PKS4_PKT0_SA_ifPKiSC_iPKfiiiSE_SE_iiiii: ; @_ZN4vllm22paged_attention_kernelI14__hip_bfloat16hLi96ELi32ELi128ELNS_18Fp8KVCacheDataTypeE1ELb1ELi512EEEvPfS3_PT_PKS4_PKT0_SA_ifPKiSC_iPKfiiiSE_SE_iiiii
; %bb.0:
	s_waitcnt vmcnt(0) expcnt(0) lgkmcnt(0)
	s_or_saveexec_b64 s[4:5], -1
	buffer_store_dword v63, off, s[0:3], s32 offset:300 ; 4-byte Folded Spill
	s_mov_b64 exec, s[4:5]
	v_accvgpr_write_b32 a5, v40             ;  Reload Reuse
	buffer_store_dword v41, off, s[0:3], s32 offset:188 ; 4-byte Folded Spill
	buffer_store_dword v42, off, s[0:3], s32 offset:184 ; 4-byte Folded Spill
	;; [unrolled: 1-line block ×46, first 2 shown]
	v_writelane_b32 v63, s34, 0
	v_writelane_b32 v63, s35, 1
	;; [unrolled: 1-line block ×12, first 2 shown]
	s_mov_b32 s18, s13
	s_ashr_i32 s19, s13, 31
	buffer_store_dword v26, off, s[0:3], s32 offset:196 ; 4-byte Folded Spill
	s_nop 0
	buffer_store_dword v27, off, s[0:3], s32 offset:200 ; 4-byte Folded Spill
	s_lshl_b64 s[4:5], s[18:19], 2
	v_accvgpr_write_b32 a6, v22
	v_mov_b32_e32 v22, v1
	v_mov_b32_e32 v26, v0
	v_mov_b32_e32 v1, s5
	v_add_co_u32_e32 v0, vcc, s4, v16
	v_addc_co_u32_e32 v1, vcc, v17, v1, vcc
	v_mov_b32_e32 v34, v2
	flat_load_dword v2, v[0:1]
	s_nop 0
	buffer_load_dword v0, off, s[0:3], s32 offset:4
	buffer_load_dword v1, off, s[0:3], s32
	v_accvgpr_write_b32 a35, v25
	s_mov_b32 s22, s15
	s_lshl_b32 s15, s14, 9
	v_accvgpr_write_b32 a34, v24
	v_mov_b32_e32 v33, v20
	v_mov_b32_e32 v32, v19
	v_accvgpr_write_b32 a33, v13
	v_mov_b32_e32 v24, v11
	v_mov_b32_e32 v25, v10
	;; [unrolled: 1-line block ×3, first 2 shown]
	s_waitcnt vmcnt(0) lgkmcnt(0)
	v_accvgpr_write_b32 a3, v2
	v_cmp_lt_i32_e32 vcc, s15, v2
	s_and_saveexec_b64 s[16:17], vcc
	s_cbranch_execz .LBB378_1286
; %bb.1:
	v_sub_u32_e32 v2, 0, v12
	v_max_i32_e32 v2, v12, v2
	v_cvt_f32_u32_e32 v3, v2
	buffer_store_dword v4, off, s[0:3], s32 offset:220 ; 4-byte Folded Spill
	buffer_store_dword v5, off, s[0:3], s32 offset:224 ; 4-byte Folded Spill
	s_load_dword s4, s[8:9], 0x10
	s_load_dword s6, s[8:9], 0x0
	v_sub_u32_e32 v5, 0, v2
	v_rcp_iflag_f32_e32 v3, v3
	s_waitcnt lgkmcnt(0)
	s_lshr_b32 s4, s4, 16
	s_cmp_lg_u32 s4, 0
	v_mul_f32_e32 v3, 0x4f7ffffe, v3
	v_cvt_u32_f32_e32 v3, v3
	s_cselect_b64 s[4:5], -1, 0
	s_cmp_lg_u64 s[4:5], 0
	s_addc_u32 s19, s6, 0
	v_mul_lo_u32 v5, v5, v3
	v_mul_hi_u32 v5, v3, v5
	s_abs_i32 s4, s19
	v_add_u32_e32 v3, v3, v5
	v_mul_hi_u32 v3, s4, v3
	v_mul_lo_u32 v5, v3, v2
	v_sub_u32_e32 v5, s4, v5
	v_add_u32_e32 v10, 1, v3
	v_cmp_ge_u32_e32 vcc, v5, v2
	v_cndmask_b32_e32 v3, v3, v10, vcc
	v_sub_u32_e32 v10, v5, v2
	v_cndmask_b32_e32 v5, v5, v10, vcc
	v_xor_b32_e32 v4, s19, v12
	v_add_u32_e32 v10, 1, v3
	v_cmp_ge_u32_e32 vcc, v5, v2
	v_ashrrev_i32_e32 v4, 31, v4
	v_cndmask_b32_e32 v2, v3, v10, vcc
	v_xor_b32_e32 v2, v2, v4
	v_sub_u32_e32 v2, v2, v4
	v_sub_u32_e32 v3, 0, v2
	v_max_i32_e32 v3, v2, v3
	v_cvt_f32_u32_e32 v4, v3
	v_sub_u32_e32 v5, 0, v3
	s_abs_i32 s6, s12
	v_cmp_ne_u64_e32 vcc, 0, v[32:33]
	v_rcp_iflag_f32_e32 v4, v4
	v_mul_f32_e32 v4, 0x4f7ffffe, v4
	v_cvt_u32_f32_e32 v4, v4
	v_mul_lo_u32 v5, v5, v4
	v_mul_hi_u32 v5, v4, v5
	v_add_u32_e32 v4, v4, v5
	v_mad_u64_u32 v[16:17], s[4:5], s6, v4, 0
	v_mov_b32_e32 v4, 0
	buffer_store_dword v4, off, s[0:3], s32 offset:208 ; 4-byte Folded Spill
	s_and_saveexec_b64 s[4:5], vcc
	s_cbranch_execz .LBB378_3
; %bb.2:
	s_ashr_i32 s13, s12, 31
	s_lshl_b64 s[10:11], s[12:13], 2
	v_mov_b32_e32 v5, s11
	v_add_co_u32_e32 v4, vcc, s10, v32
	v_addc_co_u32_e32 v5, vcc, v33, v5, vcc
	flat_load_dword v4, v[4:5]
	s_waitcnt vmcnt(0) lgkmcnt(0)
	buffer_store_dword v4, off, s[0:3], s32 offset:208 ; 4-byte Folded Spill
.LBB378_3:
	s_or_b64 exec, exec, s[4:5]
	v_and_b32_e32 v5, 0x3ff, v31
	s_ashr_i32 s7, s12, 31
	v_ashrrev_i32_e32 v4, 31, v2
	v_and_b32_e32 v2, 1, v5
	s_movk_i32 s10, 0x60
	s_mul_i32 s20, s12, 0x60
	v_cmp_gt_u32_e32 vcc, 24, v5
	v_lshlrev_b32_e32 v31, 3, v5
	buffer_store_dword v5, off, s[0:3], s32 offset:192 ; 4-byte Folded Spill
	s_and_saveexec_b64 s[4:5], vcc
	s_cbranch_execz .LBB378_5
; %bb.4:
	v_mul_lo_u32 v10, s18, v21
	v_ashrrev_i32_e32 v11, 31, v10
	v_lshlrev_b64 v[10:11], 1, v[10:11]
	v_add_co_u32_e32 v5, vcc, v6, v10
	s_ashr_i32 s21, s20, 31
	v_addc_co_u32_e32 v6, vcc, v7, v11, vcc
	s_lshl_b64 s[24:25], s[20:21], 1
	v_mov_b32_e32 v7, s25
	v_add_co_u32_e32 v5, vcc, s24, v5
	v_addc_co_u32_e32 v7, vcc, v6, v7, vcc
	v_add_co_u32_e32 v6, vcc, v5, v31
	buffer_load_dword v5, off, s[0:3], s32 offset:192 ; 4-byte Folded Reload
	v_addc_co_u32_e32 v7, vcc, 0, v7, vcc
	flat_load_dwordx2 v[6:7], v[6:7]
	s_waitcnt vmcnt(0)
	v_lshlrev_b32_e32 v5, 2, v5
	v_and_b32_e32 v5, 0xff8, v5
	v_mad_u32_u24 v5, v2, s10, v5
	s_waitcnt lgkmcnt(0)
	ds_write_b64 v5, v[6:7]
.LBB378_5:
	s_or_b64 exec, exec, s[4:5]
	v_mul_lo_u32 v5, v17, v3
	v_sub_u32_e32 v5, s6, v5
	v_add_u32_e32 v6, 1, v17
	v_cmp_ge_u32_e32 vcc, v5, v3
	v_sub_u32_e32 v7, v5, v3
	v_cndmask_b32_e32 v6, v17, v6, vcc
	v_cndmask_b32_e32 v5, v5, v7, vcc
	v_add_u32_e32 v7, 1, v6
	v_cmp_ge_u32_e32 vcc, v5, v3
	v_sub_u32_e32 v5, 0, v1
	v_cndmask_b32_e32 v3, v6, v7, vcc
	v_max_i32_e32 v7, v1, v5
	v_cvt_f32_u32_e32 v5, v7
	v_xor_b32_e32 v4, s7, v4
	v_xor_b32_e32 v3, v3, v4
	v_sub_u32_e32 v6, v3, v4
	v_rcp_iflag_f32_e32 v3, v5
	v_accvgpr_read_b32 v4, a3
	v_accvgpr_write_b32 a7, v7
	v_sub_u32_e32 v7, 0, v7
	v_mul_f32_e32 v3, 0x4f7ffffe, v3
	v_cvt_u32_f32_e32 v5, v3
	v_add_u32_e32 v4, -1, v4
	v_sub_u32_e32 v3, 0, v4
	v_max_i32_e32 v3, v4, v3
	v_mul_lo_u32 v7, v7, v5
	v_mul_hi_u32 v7, v5, v7
	v_add_u32_e32 v5, v5, v7
	v_accvgpr_write_b32 a8, v5
	v_mad_u64_u32 v[16:17], s[4:5], v3, v5, 0
	v_cmp_gt_i32_e32 vcc, 0, v0
	s_waitcnt lgkmcnt(0)
	s_barrier
	s_waitcnt lgkmcnt(0)
                                        ; implicit-def: $agpr10
	s_and_saveexec_b64 s[4:5], vcc
	s_xor_b64 s[4:5], exec, s[4:5]
; %bb.6:
	v_mad_u64_u32 v[10:11], s[6:7], v28, v12, v[6:7]
	v_mul_lo_u32 v0, v10, v0
	v_sub_u32_e32 v0, 1, v0
	v_accvgpr_write_b32 a10, v0
                                        ; implicit-def: $vgpr28
                                        ; implicit-def: $vgpr0
; %bb.7:
	s_or_saveexec_b64 s[4:5], s[4:5]
	v_ashrrev_i32_e32 v1, 31, v1
	v_ashrrev_i32_e32 v4, 31, v4
	v_accvgpr_write_b32 a9, v1
	s_xor_b64 exec, exec, s[4:5]
; %bb.8:
	v_mul_lo_u32 v1, s19, v28
	v_add_u32_e32 v1, s12, v1
	v_mad_u64_u32 v[0:1], s[6:7], v1, v0, 1
	v_accvgpr_write_b32 a10, v0
; %bb.9:
	s_or_b64 exec, exec, s[4:5]
	v_accvgpr_read_b32 v5, a9
	v_accvgpr_read_b32 v10, a7
	v_xor_b32_e32 v4, v4, v5
	v_mul_lo_u32 v5, v17, v10
	v_sub_u32_e32 v3, v3, v5
	v_add_u32_e32 v5, 1, v17
	v_cmp_ge_u32_e32 vcc, v3, v10
	v_sub_u32_e32 v7, v3, v10
	v_cndmask_b32_e32 v5, v17, v5, vcc
	v_cndmask_b32_e32 v3, v3, v7, vcc
	v_add_u32_e32 v7, 1, v5
	v_cmp_ge_u32_e32 vcc, v3, v10
	v_cndmask_b32_e32 v3, v5, v7, vcc
	v_xor_b32_e32 v3, v3, v4
	v_sub_u32_e32 v3, v3, v4
	v_accvgpr_read_b32 v4, a3
	v_add_u32_e32 v4, 31, v4
	v_ashrrev_i32_e32 v5, 31, v4
	v_lshrrev_b32_e32 v5, 27, v5
	v_add_u32_e32 v4, v4, v5
	s_load_dword s38, s[8:9], 0x14
	s_load_dword s13, s[8:9], 0x8
	v_ashrrev_i32_e32 v35, 5, v4
	buffer_load_dword v4, off, s[0:3], s32 offset:192 ; 4-byte Folded Reload
	s_lshl_b32 s21, s14, 4
	s_add_i32 s4, s21, 16
	v_min_i32_e32 v5, s4, v35
	v_mul_lo_u32 v0, s18, v18
	v_accvgpr_write_b32 a11, v5
	v_ashrrev_i32_e32 v1, 31, v0
	v_sub_u32_e32 v3, v3, v29
	v_mul_lo_u32 v23, v6, v23
	v_mov_b32_e32 v7, 0xff7fffff
	v_accvgpr_write_b32 a14, v3
	v_ashrrev_i32_e32 v29, 31, v23
	v_sub_u32_e32 v36, 0, v30
	v_lshlrev_b64 v[32:33], 2, v[0:1]
	v_mbcnt_lo_u32_b32 v1, -1, 0
	s_waitcnt vmcnt(0)
	v_lshrrev_b32_e32 v28, 6, v4
	v_or_b32_e32 v4, s21, v28
	v_cmp_lt_i32_e64 s[4:5], v4, v5
	v_ashrrev_i32_e32 v5, 31, v4
	v_accvgpr_write_b32 a13, v5
	v_accvgpr_write_b32 a12, v4
	v_lshl_add_u32 v0, v28, 5, s15
	buffer_store_dword v0, off, s[0:3], s32 offset:228 ; 4-byte Folded Spill
	s_and_saveexec_b64 s[24:25], s[4:5]
	s_cbranch_execz .LBB378_499
; %bb.10:
	buffer_store_dword v35, off, s[0:3], s32 offset:232 ; 4-byte Folded Spill
	buffer_store_dword v31, off, s[0:3], s32 offset:236 ; 4-byte Folded Spill
	;; [unrolled: 1-line block ×8, first 2 shown]
	buffer_load_dword v0, off, s[0:3], s32 offset:192 ; 4-byte Folded Reload
	v_mov_b32_e32 v5, v1
	buffer_store_dword v23, off, s[0:3], s32 offset:240 ; 4-byte Folded Spill
	buffer_store_dword v29, off, s[0:3], s32 offset:244 ; 4-byte Folded Spill
	;; [unrolled: 1-line block ×4, first 2 shown]
	s_ashr_i32 s23, s22, 31
	s_lshl_b64 s[8:9], s[22:23], 2
	v_cmp_eq_u32_e32 vcc, 0, v2
	s_getpc_b64 s[10:11]
	s_add_u32 s10, s10, llvm.amdgcn.dynlds.offset.table@rel32@lo+4
	s_addc_u32 s11, s11, llvm.amdgcn.dynlds.offset.table@rel32@hi+12
	s_add_u32 s26, s8, s10
	s_addc_u32 s27, s9, s11
	s_load_dword s23, s[26:27], 0x0
	v_mov_b32_e32 v4, 0
	s_mov_b64 s[28:29], 0
	s_movk_i32 s39, 0x80
	s_movk_i32 s40, 0x7f
	s_mov_b32 s41, 0x7f800000
	s_movk_i32 s42, 0x7fff
	s_mov_b32 s43, 0xffffff
	s_waitcnt vmcnt(4)
	v_bfe_u32 v6, v0, 1, 5
	v_add_co_u32_e64 v0, s[6:7], v8, v23
	v_addc_co_u32_e64 v1, s[6:7], v9, v29, s[6:7]
	v_lshlrev_b32_e32 v3, 4, v6
	v_add_co_u32_e64 v0, s[6:7], v0, v3
	v_addc_co_u32_e64 v1, s[6:7], 0, v1, s[6:7]
	v_accvgpr_write_b32 a39, v1
	v_accvgpr_write_b32 a38, v0
	v_mul_u32_u24_e32 v1, 0x60, v2
	v_accvgpr_write_b32 a42, v1
	buffer_load_dword v1, off, s[0:3], s32 offset:208 ; 4-byte Folded Reload
	v_lshlrev_b32_e32 v0, 2, v2
	v_max_i32_e32 v3, v30, v36
	v_accvgpr_write_b32 a40, v0
	v_cvt_f32_u32_e32 v0, v3
	v_accvgpr_write_b32 a41, v3
	v_rcp_iflag_f32_e32 v0, v0
	v_mul_f32_e32 v0, 0x4f7ffffe, v0
	v_cvt_u32_f32_e32 v0, v0
	s_waitcnt vmcnt(0)
	v_cmp_neq_f32_e64 s[6:7], 0, v1
	v_sub_u32_e32 v1, 0, v3
	v_mul_lo_u32 v1, v1, v0
	v_mul_hi_u32 v1, v0, v1
	v_accvgpr_read_b32 v2, a12
	v_add_u32_e32 v0, v0, v1
	v_accvgpr_read_b32 v3, a13
	v_accvgpr_write_b32 a44, v0
	v_lshlrev_b64 v[0:1], 2, v[2:3]
	v_add_co_u32_e64 v0, s[8:9], v32, v0
	buffer_store_dword v32, off, s[0:3], s32 offset:252 ; 4-byte Folded Spill
	s_nop 0
	buffer_store_dword v33, off, s[0:3], s32 offset:256 ; 4-byte Folded Spill
	buffer_store_dword v14, off, s[0:3], s32 offset:292 ; 4-byte Folded Spill
	;; [unrolled: 1-line block ×5, first 2 shown]
	v_addc_co_u32_e64 v1, s[8:9], v33, v1, s[8:9]
	v_add_co_u32_e64 v46, s[8:9], v14, v0
	v_addc_co_u32_e64 v47, s[8:9], v15, v1, s[8:9]
	v_lshlrev_b32_e32 v1, 2, v6
	v_lshl_or_b32 v1, v28, 7, v1
	v_accvgpr_write_b32 a43, v1
	v_accvgpr_read_b32 v1, a3
	v_sub_u32_e32 v1, v6, v1
	v_add_u32_e32 v1, 1, v1
	buffer_store_dword v1, off, s[0:3], s32 offset:216 ; 4-byte Folded Spill
	v_mbcnt_hi_u32_b32 v1, -1, v5
	v_lshl_add_u32 v0, v28, 5, s15
	v_accvgpr_write_b32 a46, v1
	v_mov_b32_e32 v1, 0xff7fffff
	buffer_store_dword v1, off, s[0:3], s32 offset:204 ; 4-byte Folded Spill
	s_branch .LBB378_13
.LBB378_11:                             ;   in Loop: Header=BB378_13 Depth=1
	s_or_b64 exec, exec, s[30:31]
	v_accvgpr_read_b32 v0, a47
.LBB378_12:                             ;   in Loop: Header=BB378_13 Depth=1
	s_or_b64 exec, exec, s[10:11]
	s_waitcnt lgkmcnt(0)
	v_accvgpr_read_b32 v2, a48
	v_add_co_u32_e64 v46, s[8:9], 8, v46
	v_add_u32_e32 v2, 2, v2
	v_addc_co_u32_e64 v47, s[8:9], 0, v47, s[8:9]
	v_accvgpr_read_b32 v1, a11
	v_cmp_ge_i32_e64 s[8:9], v2, v1
	v_accvgpr_read_b32 v1, a43
	v_add_u32_e32 v1, 0x100, v1
	v_add_u32_e32 v0, 64, v0
	s_or_b64 s[28:29], s[8:9], s[28:29]
	v_accvgpr_write_b32 a43, v1
	s_andn2_b64 exec, exec, s[28:29]
	s_cbranch_execz .LBB378_498
.LBB378_13:                             ; =>This Inner Loop Header: Depth=1
	v_accvgpr_write_b32 a48, v2
	v_ashrrev_i32_e32 v1, 31, v0
	v_accvgpr_read_b32 v2, a9
	v_xor_b32_e32 v1, v1, v2
	v_sub_u32_e32 v2, 0, v0
	v_max_i32_e32 v2, v0, v2
	v_accvgpr_read_b32 v3, a8
	v_mul_hi_u32 v5, v2, v3
	v_accvgpr_read_b32 v3, a7
	v_mul_lo_u32 v6, v5, v3
	v_sub_u32_e32 v2, v2, v6
	v_add_u32_e32 v6, 1, v5
	v_cmp_ge_u32_e64 s[8:9], v2, v3
	v_cndmask_b32_e64 v5, v5, v6, s[8:9]
	v_sub_u32_e32 v6, v2, v3
	v_cndmask_b32_e64 v2, v2, v6, s[8:9]
	v_add_u32_e32 v6, 1, v5
	v_cmp_ge_u32_e64 s[8:9], v2, v3
	v_cndmask_b32_e64 v2, v5, v6, s[8:9]
	v_xor_b32_e32 v2, v2, v1
	v_sub_u32_e32 v1, v2, v1
	v_accvgpr_read_b32 v2, a10
	v_add_u32_e32 v2, v1, v2
	v_sub_u32_e32 v6, 0, v2
	v_ashrrev_i32_e32 v5, 31, v2
	v_max_i32_e32 v2, v2, v6
	v_accvgpr_read_b32 v6, a44
	v_mul_hi_u32 v6, v2, v6
	v_accvgpr_read_b32 v3, a41
	v_mul_lo_u32 v6, v6, v3
	v_sub_u32_e32 v2, v2, v6
	v_sub_u32_e32 v6, v2, v3
	v_cmp_ge_u32_e64 s[8:9], v2, v3
	v_cndmask_b32_e64 v2, v2, v6, s[8:9]
	v_sub_u32_e32 v6, v2, v3
	v_cmp_ge_u32_e64 s[8:9], v2, v3
	v_cndmask_b32_e64 v2, v2, v6, s[8:9]
	v_xor_b32_e32 v2, v2, v5
	v_sub_u32_e32 v2, v2, v5
	v_cmp_ne_u32_e64 s[8:9], 0, v2
	v_accvgpr_read_b32 v2, a14
	v_cmp_le_i32_e64 s[10:11], v1, v2
	s_and_b64 s[8:9], s[8:9], s[10:11]
	v_accvgpr_write_b32 a47, v0
	s_and_b64 s[30:31], vcc, s[8:9]
	s_and_saveexec_b64 s[10:11], s[30:31]
	s_cbranch_execz .LBB378_15
; %bb.14:                               ;   in Loop: Header=BB378_13 Depth=1
	v_accvgpr_read_b32 v1, a43
	s_waitcnt lgkmcnt(0)
	v_add_u32_e32 v1, s23, v1
	v_mov_b32_e32 v2, 0xff7fffff
	ds_write_b32 v1, v2
.LBB378_15:                             ;   in Loop: Header=BB378_13 Depth=1
	s_or_b64 exec, exec, s[10:11]
	s_xor_b64 s[8:9], s[8:9], -1
	s_mov_b64 s[10:11], exec
	s_and_b64 s[8:9], s[10:11], s[8:9]
	v_accvgpr_read_b32 v0, a47
	s_mov_b64 exec, s[8:9]
	s_cbranch_execz .LBB378_12
; %bb.16:                               ;   in Loop: Header=BB378_13 Depth=1
	flat_load_dword v1, v[46:47]
	v_accvgpr_read_b32 v6, a38
	v_accvgpr_read_b32 v2, a6
	;; [unrolled: 1-line block ×3, first 2 shown]
	s_waitcnt vmcnt(0) lgkmcnt(0)
	v_mad_i64_i32 v[6:7], s[8:9], v1, v2, v[6:7]
	v_accvgpr_read_b32 v2, a40
	v_add_co_u32_e64 v56, s[8:9], v6, v2
	v_addc_co_u32_e64 v57, s[8:9], 0, v7, s[8:9]
	v_accvgpr_read_b32 v2, a34
	flat_load_dword v58, v[56:57]
	v_accvgpr_read_b32 v3, a35
	flat_load_dword v26, v[2:3]
	v_accvgpr_read_b32 v1, a42
	ds_read_b128 v[52:55], v1
	ds_read_b128 v[48:51], v1 offset:16
	ds_read_b128 v[36:39], v1 offset:32
	;; [unrolled: 1-line block ×5, first 2 shown]
	v_mov_b32_e32 v1, 0
	s_waitcnt vmcnt(0) lgkmcnt(0)
	v_cmp_ne_u16_sdwa s[8:9], v58, v4 src0_sel:BYTE_0 src1_sel:DWORD
	s_and_saveexec_b64 s[30:31], s[8:9]
	s_cbranch_execz .LBB378_22
; %bb.17:                               ;   in Loop: Header=BB378_13 Depth=1
	v_cmp_ne_u16_sdwa s[8:9], v58, s39 src0_sel:BYTE_0 src1_sel:DWORD
	v_bfrev_b32_e32 v1, 1
	s_and_saveexec_b64 s[34:35], s[8:9]
	s_cbranch_execz .LBB378_21
; %bb.18:                               ;   in Loop: Header=BB378_13 Depth=1
	v_and_b32_e32 v2, 0x7f, v58
	v_cmp_ne_u32_e64 s[8:9], s40, v2
	v_mov_b32_e32 v1, 0x7f800001
	s_and_saveexec_b64 s[36:37], s[8:9]
	s_cbranch_execz .LBB378_20
; %bb.19:                               ;   in Loop: Header=BB378_13 Depth=1
	v_and_b32_e32 v1, 7, v58
	v_ffbh_u32_e32 v10, v1
	v_min_u32_e32 v10, 32, v10
	v_subrev_u32_e32 v12, 28, v10
	v_lshlrev_b64 v[12:13], v12, v[58:59]
	v_lshrrev_b32_e32 v5, 3, v2
	v_sub_u32_e32 v10, 29, v10
	v_and_b32_e32 v12, 7, v12
	v_cmp_gt_u32_e64 s[8:9], 8, v2
	v_cndmask_b32_e64 v2, v5, v10, s[8:9]
	v_cndmask_b32_e64 v1, v1, v12, s[8:9]
	v_lshlrev_b32_e32 v5, 24, v58
	v_bfrev_b32_e32 v3, 60
	v_lshlrev_b32_e32 v1, 20, v1
	v_and_b32_e32 v5, 0x80000000, v5
	v_lshl_add_u32 v2, v2, 23, v3
	v_or3_b32 v1, v5, v2, v1
.LBB378_20:                             ;   in Loop: Header=BB378_13 Depth=1
	s_or_b64 exec, exec, s[36:37]
.LBB378_21:                             ;   in Loop: Header=BB378_13 Depth=1
	s_or_b64 exec, exec, s[34:35]
.LBB378_22:                             ;   in Loop: Header=BB378_13 Depth=1
	s_or_b64 exec, exec, s[30:31]
	v_mul_f32_e32 v1, v26, v1
	v_and_b32_e32 v2, 0x7f800000, v1
	v_cmp_ne_u32_e64 s[8:9], s41, v2
                                        ; implicit-def: $vgpr0
	s_and_saveexec_b64 s[30:31], s[8:9]
	s_xor_b64 s[8:9], exec, s[30:31]
; %bb.23:                               ;   in Loop: Header=BB378_13 Depth=1
	v_bfe_u32 v2, v1, 16, 1
	v_add3_u32 v0, v1, v2, s42
                                        ; implicit-def: $vgpr1
; %bb.24:                               ;   in Loop: Header=BB378_13 Depth=1
	s_andn2_saveexec_b64 s[30:31], s[8:9]
; %bb.25:                               ;   in Loop: Header=BB378_13 Depth=1
	v_or_b32_e32 v2, 0x10000, v1
	v_cmp_eq_u32_sdwa s[8:9], v1, v4 src0_sel:WORD_0 src1_sel:DWORD
	v_cndmask_b32_e64 v0, v2, v1, s[8:9]
; %bb.26:                               ;   in Loop: Header=BB378_13 Depth=1
	s_or_b64 exec, exec, s[30:31]
	v_lshrrev_b16_e32 v60, 8, v58
	v_cmp_ne_u16_e64 s[8:9], 0, v60
	v_mov_b32_e32 v1, 0
	s_and_saveexec_b64 s[30:31], s[8:9]
	s_cbranch_execz .LBB378_32
; %bb.27:                               ;   in Loop: Header=BB378_13 Depth=1
	v_cmp_ne_u16_e64 s[8:9], s39, v60
	v_bfrev_b32_e32 v1, 1
	s_and_saveexec_b64 s[34:35], s[8:9]
	s_cbranch_execz .LBB378_31
; %bb.28:                               ;   in Loop: Header=BB378_13 Depth=1
	v_and_b32_e32 v2, 0x7f, v60
	v_cmp_ne_u32_e64 s[8:9], s40, v2
	v_mov_b32_e32 v1, 0x7f800001
	s_and_saveexec_b64 s[36:37], s[8:9]
	s_cbranch_execz .LBB378_30
; %bb.29:                               ;   in Loop: Header=BB378_13 Depth=1
	v_and_b32_e32 v1, 7, v60
	v_ffbh_u32_e32 v10, v1
	v_min_u32_e32 v10, 32, v10
	v_subrev_u32_e32 v12, 28, v10
	v_lshlrev_b64 v[12:13], v12, v[60:61]
	v_lshrrev_b32_e32 v5, 3, v2
	v_sub_u32_e32 v10, 29, v10
	v_and_b32_e32 v12, 7, v12
	v_cmp_gt_u32_e64 s[8:9], 8, v2
	v_cndmask_b32_e64 v2, v5, v10, s[8:9]
	v_cndmask_b32_e64 v1, v1, v12, s[8:9]
	v_lshlrev_b32_e32 v5, 16, v58
	v_bfrev_b32_e32 v3, 60
	v_lshlrev_b32_e32 v1, 20, v1
	v_and_b32_e32 v5, 0x80000000, v5
	v_lshl_add_u32 v2, v2, 23, v3
	v_or3_b32 v1, v5, v2, v1
.LBB378_30:                             ;   in Loop: Header=BB378_13 Depth=1
	s_or_b64 exec, exec, s[36:37]
.LBB378_31:                             ;   in Loop: Header=BB378_13 Depth=1
	s_or_b64 exec, exec, s[34:35]
.LBB378_32:                             ;   in Loop: Header=BB378_13 Depth=1
	s_or_b64 exec, exec, s[30:31]
	v_mul_f32_e32 v1, v26, v1
	v_and_b32_e32 v2, 0x7f800000, v1
	v_cmp_ne_u32_e64 s[8:9], s41, v2
                                        ; implicit-def: $vgpr15
	s_and_saveexec_b64 s[30:31], s[8:9]
	s_xor_b64 s[8:9], exec, s[30:31]
; %bb.33:                               ;   in Loop: Header=BB378_13 Depth=1
	v_bfe_u32 v2, v1, 16, 1
	v_add3_u32 v15, v1, v2, s42
                                        ; implicit-def: $vgpr1
; %bb.34:                               ;   in Loop: Header=BB378_13 Depth=1
	s_andn2_saveexec_b64 s[30:31], s[8:9]
; %bb.35:                               ;   in Loop: Header=BB378_13 Depth=1
	v_or_b32_e32 v2, 0x10000, v1
	v_cmp_eq_u32_sdwa s[8:9], v1, v4 src0_sel:WORD_0 src1_sel:DWORD
	v_cndmask_b32_e64 v15, v2, v1, s[8:9]
; %bb.36:                               ;   in Loop: Header=BB378_13 Depth=1
	s_or_b64 exec, exec, s[30:31]
	v_lshrrev_b32_e32 v60, 16, v58
	v_cmp_ne_u16_sdwa s[8:9], v60, v4 src0_sel:BYTE_0 src1_sel:DWORD
	v_mov_b32_e32 v1, 0
	s_and_saveexec_b64 s[30:31], s[8:9]
	s_cbranch_execz .LBB378_42
; %bb.37:                               ;   in Loop: Header=BB378_13 Depth=1
	v_cmp_ne_u16_sdwa s[8:9], v60, s39 src0_sel:BYTE_0 src1_sel:DWORD
	v_bfrev_b32_e32 v1, 1
	s_and_saveexec_b64 s[34:35], s[8:9]
	s_cbranch_execz .LBB378_41
; %bb.38:                               ;   in Loop: Header=BB378_13 Depth=1
	v_bfe_u32 v2, v58, 16, 7
	v_cmp_ne_u32_e64 s[8:9], s40, v2
	v_mov_b32_e32 v1, 0x7f800001
	s_and_saveexec_b64 s[36:37], s[8:9]
	s_cbranch_execz .LBB378_40
; %bb.39:                               ;   in Loop: Header=BB378_13 Depth=1
	v_and_b32_e32 v1, 7, v60
	v_ffbh_u32_e32 v10, v1
	v_min_u32_e32 v10, 32, v10
	v_subrev_u32_e32 v12, 28, v10
	v_lshlrev_b64 v[12:13], v12, v[60:61]
	v_lshrrev_b32_e32 v5, 3, v2
	v_sub_u32_e32 v10, 29, v10
	v_and_b32_e32 v12, 7, v12
	v_cmp_gt_u32_e64 s[8:9], 8, v2
	v_cndmask_b32_e64 v2, v5, v10, s[8:9]
	v_cndmask_b32_e64 v1, v1, v12, s[8:9]
	v_lshlrev_b32_e32 v5, 24, v60
	v_bfrev_b32_e32 v3, 60
	v_lshlrev_b32_e32 v1, 20, v1
	v_and_b32_e32 v5, 0x80000000, v5
	v_lshl_add_u32 v2, v2, 23, v3
	v_or3_b32 v1, v5, v2, v1
.LBB378_40:                             ;   in Loop: Header=BB378_13 Depth=1
	s_or_b64 exec, exec, s[36:37]
.LBB378_41:                             ;   in Loop: Header=BB378_13 Depth=1
	s_or_b64 exec, exec, s[34:35]
.LBB378_42:                             ;   in Loop: Header=BB378_13 Depth=1
	s_or_b64 exec, exec, s[30:31]
	v_mul_f32_e32 v1, v26, v1
	v_and_b32_e32 v2, 0x7f800000, v1
	v_cmp_ne_u32_e64 s[8:9], s41, v2
                                        ; implicit-def: $agpr49
	s_and_saveexec_b64 s[30:31], s[8:9]
	s_xor_b64 s[8:9], exec, s[30:31]
; %bb.43:                               ;   in Loop: Header=BB378_13 Depth=1
	v_bfe_u32 v2, v1, 16, 1
	v_add3_u32 v1, v1, v2, s42
	v_accvgpr_write_b32 a49, v1
                                        ; implicit-def: $vgpr1
; %bb.44:                               ;   in Loop: Header=BB378_13 Depth=1
	s_andn2_saveexec_b64 s[30:31], s[8:9]
; %bb.45:                               ;   in Loop: Header=BB378_13 Depth=1
	v_or_b32_e32 v2, 0x10000, v1
	v_cmp_eq_u32_sdwa s[8:9], v1, v4 src0_sel:WORD_0 src1_sel:DWORD
	v_cndmask_b32_e64 v1, v2, v1, s[8:9]
	v_accvgpr_write_b32 a49, v1
; %bb.46:                               ;   in Loop: Header=BB378_13 Depth=1
	s_or_b64 exec, exec, s[30:31]
	v_cmp_lt_u32_e64 s[8:9], s43, v58
	v_mov_b32_e32 v1, 0
	s_and_saveexec_b64 s[30:31], s[8:9]
	s_cbranch_execz .LBB378_52
; %bb.47:                               ;   in Loop: Header=BB378_13 Depth=1
	v_lshrrev_b32_e32 v60, 24, v58
	v_cmp_ne_u32_e64 s[8:9], s39, v60
	v_bfrev_b32_e32 v1, 1
	s_and_saveexec_b64 s[34:35], s[8:9]
	s_cbranch_execz .LBB378_51
; %bb.48:                               ;   in Loop: Header=BB378_13 Depth=1
	v_bfe_u32 v2, v58, 24, 7
	v_cmp_ne_u32_e64 s[8:9], s40, v2
	v_mov_b32_e32 v1, 0x7f800001
	s_and_saveexec_b64 s[36:37], s[8:9]
	s_cbranch_execz .LBB378_50
; %bb.49:                               ;   in Loop: Header=BB378_13 Depth=1
	v_and_b32_e32 v1, 7, v60
	v_ffbh_u32_e32 v10, v1
	v_min_u32_e32 v10, 32, v10
	v_subrev_u32_e32 v12, 28, v10
	v_lshlrev_b64 v[12:13], v12, v[60:61]
	v_lshrrev_b32_e32 v5, 3, v2
	v_sub_u32_e32 v10, 29, v10
	v_and_b32_e32 v12, 7, v12
	v_cmp_gt_u32_e64 s[8:9], 8, v2
	v_cndmask_b32_e64 v2, v5, v10, s[8:9]
	v_cndmask_b32_e64 v1, v1, v12, s[8:9]
	v_lshlrev_b32_e32 v5, 24, v60
	v_bfrev_b32_e32 v3, 60
	v_lshlrev_b32_e32 v1, 20, v1
	v_and_b32_e32 v5, 0x80000000, v5
	v_lshl_add_u32 v2, v2, 23, v3
	v_or3_b32 v1, v5, v2, v1
.LBB378_50:                             ;   in Loop: Header=BB378_13 Depth=1
	s_or_b64 exec, exec, s[36:37]
.LBB378_51:                             ;   in Loop: Header=BB378_13 Depth=1
	s_or_b64 exec, exec, s[34:35]
.LBB378_52:                             ;   in Loop: Header=BB378_13 Depth=1
	s_or_b64 exec, exec, s[30:31]
	v_mul_f32_e32 v1, v26, v1
	v_and_b32_e32 v2, 0x7f800000, v1
	v_cmp_ne_u32_e64 s[8:9], s41, v2
                                        ; implicit-def: $agpr50
	s_and_saveexec_b64 s[30:31], s[8:9]
	s_xor_b64 s[8:9], exec, s[30:31]
; %bb.53:                               ;   in Loop: Header=BB378_13 Depth=1
	v_bfe_u32 v2, v1, 16, 1
	v_add3_u32 v1, v1, v2, s42
	v_accvgpr_write_b32 a50, v1
                                        ; implicit-def: $vgpr1
; %bb.54:                               ;   in Loop: Header=BB378_13 Depth=1
	s_andn2_saveexec_b64 s[30:31], s[8:9]
; %bb.55:                               ;   in Loop: Header=BB378_13 Depth=1
	v_or_b32_e32 v2, 0x10000, v1
	v_cmp_eq_u32_sdwa s[8:9], v1, v4 src0_sel:WORD_0 src1_sel:DWORD
	v_cndmask_b32_e64 v1, v2, v1, s[8:9]
	v_accvgpr_write_b32 a50, v1
; %bb.56:                               ;   in Loop: Header=BB378_13 Depth=1
	s_or_b64 exec, exec, s[30:31]
	flat_load_dword v58, v[56:57] offset:8
	v_mov_b32_e32 v1, 0
	s_waitcnt vmcnt(0) lgkmcnt(0)
	v_cmp_ne_u16_sdwa s[8:9], v58, v4 src0_sel:BYTE_0 src1_sel:DWORD
	s_and_saveexec_b64 s[30:31], s[8:9]
	s_cbranch_execz .LBB378_62
; %bb.57:                               ;   in Loop: Header=BB378_13 Depth=1
	v_cmp_ne_u16_sdwa s[8:9], v58, s39 src0_sel:BYTE_0 src1_sel:DWORD
	v_bfrev_b32_e32 v1, 1
	s_and_saveexec_b64 s[34:35], s[8:9]
	s_cbranch_execz .LBB378_61
; %bb.58:                               ;   in Loop: Header=BB378_13 Depth=1
	v_and_b32_e32 v2, 0x7f, v58
	v_cmp_ne_u32_e64 s[8:9], s40, v2
	v_mov_b32_e32 v1, 0x7f800001
	s_and_saveexec_b64 s[36:37], s[8:9]
	s_cbranch_execz .LBB378_60
; %bb.59:                               ;   in Loop: Header=BB378_13 Depth=1
	v_and_b32_e32 v1, 7, v58
	v_ffbh_u32_e32 v10, v1
	v_min_u32_e32 v10, 32, v10
	v_subrev_u32_e32 v12, 28, v10
	v_lshlrev_b64 v[12:13], v12, v[58:59]
	v_lshrrev_b32_e32 v5, 3, v2
	v_sub_u32_e32 v10, 29, v10
	v_and_b32_e32 v12, 7, v12
	v_cmp_gt_u32_e64 s[8:9], 8, v2
	v_cndmask_b32_e64 v2, v5, v10, s[8:9]
	v_cndmask_b32_e64 v1, v1, v12, s[8:9]
	v_lshlrev_b32_e32 v5, 24, v58
	v_bfrev_b32_e32 v3, 60
	v_lshlrev_b32_e32 v1, 20, v1
	v_and_b32_e32 v5, 0x80000000, v5
	v_lshl_add_u32 v2, v2, 23, v3
	v_or3_b32 v1, v5, v2, v1
.LBB378_60:                             ;   in Loop: Header=BB378_13 Depth=1
	s_or_b64 exec, exec, s[36:37]
.LBB378_61:                             ;   in Loop: Header=BB378_13 Depth=1
	s_or_b64 exec, exec, s[34:35]
.LBB378_62:                             ;   in Loop: Header=BB378_13 Depth=1
	s_or_b64 exec, exec, s[30:31]
	v_mul_f32_e32 v1, v26, v1
	v_and_b32_e32 v2, 0x7f800000, v1
	v_cmp_ne_u32_e64 s[8:9], s41, v2
                                        ; implicit-def: $agpr51
	s_and_saveexec_b64 s[30:31], s[8:9]
	s_xor_b64 s[8:9], exec, s[30:31]
; %bb.63:                               ;   in Loop: Header=BB378_13 Depth=1
	v_bfe_u32 v2, v1, 16, 1
	v_add3_u32 v1, v1, v2, s42
	v_accvgpr_write_b32 a51, v1
                                        ; implicit-def: $vgpr1
; %bb.64:                               ;   in Loop: Header=BB378_13 Depth=1
	s_andn2_saveexec_b64 s[30:31], s[8:9]
; %bb.65:                               ;   in Loop: Header=BB378_13 Depth=1
	v_or_b32_e32 v2, 0x10000, v1
	v_cmp_eq_u32_sdwa s[8:9], v1, v4 src0_sel:WORD_0 src1_sel:DWORD
	v_cndmask_b32_e64 v1, v2, v1, s[8:9]
	v_accvgpr_write_b32 a51, v1
; %bb.66:                               ;   in Loop: Header=BB378_13 Depth=1
	s_or_b64 exec, exec, s[30:31]
	v_lshrrev_b16_e32 v60, 8, v58
	v_cmp_ne_u16_e64 s[8:9], 0, v60
	v_mov_b32_e32 v1, 0
	s_and_saveexec_b64 s[30:31], s[8:9]
	s_cbranch_execz .LBB378_72
; %bb.67:                               ;   in Loop: Header=BB378_13 Depth=1
	v_cmp_ne_u16_e64 s[8:9], s39, v60
	v_bfrev_b32_e32 v1, 1
	s_and_saveexec_b64 s[34:35], s[8:9]
	s_cbranch_execz .LBB378_71
; %bb.68:                               ;   in Loop: Header=BB378_13 Depth=1
	v_and_b32_e32 v2, 0x7f, v60
	v_cmp_ne_u32_e64 s[8:9], s40, v2
	v_mov_b32_e32 v1, 0x7f800001
	s_and_saveexec_b64 s[36:37], s[8:9]
	s_cbranch_execz .LBB378_70
; %bb.69:                               ;   in Loop: Header=BB378_13 Depth=1
	v_and_b32_e32 v1, 7, v60
	v_lshrrev_b32_e32 v5, 3, v2
	v_cmp_gt_u32_e64 s[8:9], 8, v2
	v_ffbh_u32_e32 v2, v1
	v_min_u32_e32 v2, 32, v2
	v_subrev_u32_e32 v10, 28, v2
	v_lshlrev_b64 v[12:13], v10, v[60:61]
	v_sub_u32_e32 v2, 29, v2
	v_and_b32_e32 v10, 7, v12
	v_cndmask_b32_e64 v2, v5, v2, s[8:9]
	v_cndmask_b32_e64 v1, v1, v10, s[8:9]
	v_lshlrev_b32_e32 v5, 16, v58
	v_bfrev_b32_e32 v3, 60
	v_lshlrev_b32_e32 v1, 20, v1
	v_and_b32_e32 v5, 0x80000000, v5
	v_lshl_add_u32 v2, v2, 23, v3
	v_or3_b32 v1, v5, v2, v1
.LBB378_70:                             ;   in Loop: Header=BB378_13 Depth=1
	s_or_b64 exec, exec, s[36:37]
.LBB378_71:                             ;   in Loop: Header=BB378_13 Depth=1
	s_or_b64 exec, exec, s[34:35]
.LBB378_72:                             ;   in Loop: Header=BB378_13 Depth=1
	s_or_b64 exec, exec, s[30:31]
	v_mul_f32_e32 v1, v26, v1
	v_and_b32_e32 v2, 0x7f800000, v1
	v_cmp_ne_u32_e64 s[8:9], s41, v2
                                        ; implicit-def: $agpr52
	s_and_saveexec_b64 s[30:31], s[8:9]
	s_xor_b64 s[8:9], exec, s[30:31]
; %bb.73:                               ;   in Loop: Header=BB378_13 Depth=1
	v_bfe_u32 v2, v1, 16, 1
	v_add3_u32 v1, v1, v2, s42
	v_accvgpr_write_b32 a52, v1
                                        ; implicit-def: $vgpr1
; %bb.74:                               ;   in Loop: Header=BB378_13 Depth=1
	s_andn2_saveexec_b64 s[30:31], s[8:9]
; %bb.75:                               ;   in Loop: Header=BB378_13 Depth=1
	v_or_b32_e32 v2, 0x10000, v1
	v_cmp_eq_u32_sdwa s[8:9], v1, v4 src0_sel:WORD_0 src1_sel:DWORD
	v_cndmask_b32_e64 v1, v2, v1, s[8:9]
	v_accvgpr_write_b32 a52, v1
; %bb.76:                               ;   in Loop: Header=BB378_13 Depth=1
	s_or_b64 exec, exec, s[30:31]
	v_lshrrev_b32_e32 v60, 16, v58
	v_cmp_ne_u16_sdwa s[8:9], v60, v4 src0_sel:BYTE_0 src1_sel:DWORD
	v_mov_b32_e32 v1, 0
	s_and_saveexec_b64 s[30:31], s[8:9]
	s_cbranch_execz .LBB378_82
; %bb.77:                               ;   in Loop: Header=BB378_13 Depth=1
	v_cmp_ne_u16_sdwa s[8:9], v60, s39 src0_sel:BYTE_0 src1_sel:DWORD
	v_bfrev_b32_e32 v1, 1
	s_and_saveexec_b64 s[34:35], s[8:9]
	s_cbranch_execz .LBB378_81
; %bb.78:                               ;   in Loop: Header=BB378_13 Depth=1
	v_bfe_u32 v2, v58, 16, 7
	v_cmp_ne_u32_e64 s[8:9], s40, v2
	v_mov_b32_e32 v1, 0x7f800001
	s_and_saveexec_b64 s[36:37], s[8:9]
	s_cbranch_execz .LBB378_80
; %bb.79:                               ;   in Loop: Header=BB378_13 Depth=1
	v_and_b32_e32 v1, 7, v60
	v_ffbh_u32_e32 v10, v1
	v_min_u32_e32 v10, 32, v10
	v_subrev_u32_e32 v12, 28, v10
	v_lshlrev_b64 v[12:13], v12, v[60:61]
	v_lshrrev_b32_e32 v5, 3, v2
	v_sub_u32_e32 v10, 29, v10
	v_and_b32_e32 v12, 7, v12
	v_cmp_gt_u32_e64 s[8:9], 8, v2
	v_cndmask_b32_e64 v2, v5, v10, s[8:9]
	v_cndmask_b32_e64 v1, v1, v12, s[8:9]
	v_lshlrev_b32_e32 v5, 24, v60
	v_bfrev_b32_e32 v3, 60
	v_lshlrev_b32_e32 v1, 20, v1
	v_and_b32_e32 v5, 0x80000000, v5
	v_lshl_add_u32 v2, v2, 23, v3
	v_or3_b32 v1, v5, v2, v1
.LBB378_80:                             ;   in Loop: Header=BB378_13 Depth=1
	s_or_b64 exec, exec, s[36:37]
.LBB378_81:                             ;   in Loop: Header=BB378_13 Depth=1
	s_or_b64 exec, exec, s[34:35]
.LBB378_82:                             ;   in Loop: Header=BB378_13 Depth=1
	s_or_b64 exec, exec, s[30:31]
	v_mul_f32_e32 v1, v26, v1
	v_and_b32_e32 v2, 0x7f800000, v1
	v_cmp_ne_u32_e64 s[8:9], s41, v2
                                        ; implicit-def: $agpr53
	s_and_saveexec_b64 s[30:31], s[8:9]
	s_xor_b64 s[8:9], exec, s[30:31]
; %bb.83:                               ;   in Loop: Header=BB378_13 Depth=1
	v_bfe_u32 v2, v1, 16, 1
	v_add3_u32 v1, v1, v2, s42
	v_accvgpr_write_b32 a53, v1
                                        ; implicit-def: $vgpr1
; %bb.84:                               ;   in Loop: Header=BB378_13 Depth=1
	s_andn2_saveexec_b64 s[30:31], s[8:9]
; %bb.85:                               ;   in Loop: Header=BB378_13 Depth=1
	v_or_b32_e32 v2, 0x10000, v1
	v_cmp_eq_u32_sdwa s[8:9], v1, v4 src0_sel:WORD_0 src1_sel:DWORD
	v_cndmask_b32_e64 v1, v2, v1, s[8:9]
	v_accvgpr_write_b32 a53, v1
; %bb.86:                               ;   in Loop: Header=BB378_13 Depth=1
	s_or_b64 exec, exec, s[30:31]
	v_cmp_lt_u32_e64 s[8:9], s43, v58
	v_mov_b32_e32 v1, 0
	s_and_saveexec_b64 s[30:31], s[8:9]
	s_cbranch_execz .LBB378_92
; %bb.87:                               ;   in Loop: Header=BB378_13 Depth=1
	v_lshrrev_b32_e32 v60, 24, v58
	v_cmp_ne_u32_e64 s[8:9], s39, v60
	v_bfrev_b32_e32 v1, 1
	s_and_saveexec_b64 s[34:35], s[8:9]
	s_cbranch_execz .LBB378_91
; %bb.88:                               ;   in Loop: Header=BB378_13 Depth=1
	v_bfe_u32 v2, v58, 24, 7
	v_cmp_ne_u32_e64 s[8:9], s40, v2
	v_mov_b32_e32 v1, 0x7f800001
	s_and_saveexec_b64 s[36:37], s[8:9]
	s_cbranch_execz .LBB378_90
; %bb.89:                               ;   in Loop: Header=BB378_13 Depth=1
	v_and_b32_e32 v1, 7, v60
	v_ffbh_u32_e32 v10, v1
	v_min_u32_e32 v10, 32, v10
	v_subrev_u32_e32 v12, 28, v10
	v_lshlrev_b64 v[12:13], v12, v[60:61]
	v_lshrrev_b32_e32 v5, 3, v2
	v_sub_u32_e32 v10, 29, v10
	v_and_b32_e32 v12, 7, v12
	v_cmp_gt_u32_e64 s[8:9], 8, v2
	v_cndmask_b32_e64 v2, v5, v10, s[8:9]
	v_cndmask_b32_e64 v1, v1, v12, s[8:9]
	v_lshlrev_b32_e32 v5, 24, v60
	v_bfrev_b32_e32 v3, 60
	v_lshlrev_b32_e32 v1, 20, v1
	v_and_b32_e32 v5, 0x80000000, v5
	v_lshl_add_u32 v2, v2, 23, v3
	v_or3_b32 v1, v5, v2, v1
.LBB378_90:                             ;   in Loop: Header=BB378_13 Depth=1
	s_or_b64 exec, exec, s[36:37]
.LBB378_91:                             ;   in Loop: Header=BB378_13 Depth=1
	s_or_b64 exec, exec, s[34:35]
.LBB378_92:                             ;   in Loop: Header=BB378_13 Depth=1
	s_or_b64 exec, exec, s[30:31]
	v_mul_f32_e32 v1, v26, v1
	v_and_b32_e32 v2, 0x7f800000, v1
	v_cmp_ne_u32_e64 s[8:9], s41, v2
                                        ; implicit-def: $agpr54
	s_and_saveexec_b64 s[30:31], s[8:9]
	s_xor_b64 s[8:9], exec, s[30:31]
; %bb.93:                               ;   in Loop: Header=BB378_13 Depth=1
	v_bfe_u32 v2, v1, 16, 1
	v_add3_u32 v1, v1, v2, s42
	v_accvgpr_write_b32 a54, v1
                                        ; implicit-def: $vgpr1
; %bb.94:                               ;   in Loop: Header=BB378_13 Depth=1
	s_andn2_saveexec_b64 s[30:31], s[8:9]
; %bb.95:                               ;   in Loop: Header=BB378_13 Depth=1
	v_or_b32_e32 v2, 0x10000, v1
	v_cmp_eq_u32_sdwa s[8:9], v1, v4 src0_sel:WORD_0 src1_sel:DWORD
	v_cndmask_b32_e64 v1, v2, v1, s[8:9]
	v_accvgpr_write_b32 a54, v1
; %bb.96:                               ;   in Loop: Header=BB378_13 Depth=1
	s_or_b64 exec, exec, s[30:31]
	flat_load_dword v58, v[56:57] offset:512
	v_mov_b32_e32 v1, 0
	s_waitcnt vmcnt(0) lgkmcnt(0)
	v_cmp_ne_u16_sdwa s[8:9], v58, v4 src0_sel:BYTE_0 src1_sel:DWORD
	s_and_saveexec_b64 s[30:31], s[8:9]
	s_cbranch_execz .LBB378_102
; %bb.97:                               ;   in Loop: Header=BB378_13 Depth=1
	v_cmp_ne_u16_sdwa s[8:9], v58, s39 src0_sel:BYTE_0 src1_sel:DWORD
	v_bfrev_b32_e32 v1, 1
	s_and_saveexec_b64 s[34:35], s[8:9]
	s_cbranch_execz .LBB378_101
; %bb.98:                               ;   in Loop: Header=BB378_13 Depth=1
	v_and_b32_e32 v2, 0x7f, v58
	v_cmp_ne_u32_e64 s[8:9], s40, v2
	v_mov_b32_e32 v1, 0x7f800001
	s_and_saveexec_b64 s[36:37], s[8:9]
	s_cbranch_execz .LBB378_100
; %bb.99:                               ;   in Loop: Header=BB378_13 Depth=1
	v_and_b32_e32 v1, 7, v58
	v_ffbh_u32_e32 v10, v1
	v_min_u32_e32 v10, 32, v10
	v_subrev_u32_e32 v12, 28, v10
	v_lshlrev_b64 v[12:13], v12, v[58:59]
	v_lshrrev_b32_e32 v5, 3, v2
	v_sub_u32_e32 v10, 29, v10
	v_and_b32_e32 v12, 7, v12
	v_cmp_gt_u32_e64 s[8:9], 8, v2
	v_cndmask_b32_e64 v2, v5, v10, s[8:9]
	v_cndmask_b32_e64 v1, v1, v12, s[8:9]
	v_lshlrev_b32_e32 v5, 24, v58
	v_bfrev_b32_e32 v3, 60
	v_lshlrev_b32_e32 v1, 20, v1
	v_and_b32_e32 v5, 0x80000000, v5
	v_lshl_add_u32 v2, v2, 23, v3
	v_or3_b32 v1, v5, v2, v1
.LBB378_100:                            ;   in Loop: Header=BB378_13 Depth=1
	s_or_b64 exec, exec, s[36:37]
.LBB378_101:                            ;   in Loop: Header=BB378_13 Depth=1
	s_or_b64 exec, exec, s[34:35]
.LBB378_102:                            ;   in Loop: Header=BB378_13 Depth=1
	s_or_b64 exec, exec, s[30:31]
	v_mul_f32_e32 v1, v26, v1
	v_and_b32_e32 v2, 0x7f800000, v1
	v_cmp_ne_u32_e64 s[8:9], s41, v2
                                        ; implicit-def: $agpr55
	s_and_saveexec_b64 s[30:31], s[8:9]
	s_xor_b64 s[8:9], exec, s[30:31]
; %bb.103:                              ;   in Loop: Header=BB378_13 Depth=1
	v_bfe_u32 v2, v1, 16, 1
	v_add3_u32 v1, v1, v2, s42
	v_accvgpr_write_b32 a55, v1
                                        ; implicit-def: $vgpr1
; %bb.104:                              ;   in Loop: Header=BB378_13 Depth=1
	s_andn2_saveexec_b64 s[30:31], s[8:9]
; %bb.105:                              ;   in Loop: Header=BB378_13 Depth=1
	v_or_b32_e32 v2, 0x10000, v1
	v_cmp_eq_u32_sdwa s[8:9], v1, v4 src0_sel:WORD_0 src1_sel:DWORD
	v_cndmask_b32_e64 v1, v2, v1, s[8:9]
	v_accvgpr_write_b32 a55, v1
; %bb.106:                              ;   in Loop: Header=BB378_13 Depth=1
	s_or_b64 exec, exec, s[30:31]
	v_lshrrev_b16_e32 v60, 8, v58
	v_cmp_ne_u16_e64 s[8:9], 0, v60
	v_mov_b32_e32 v1, 0
	s_and_saveexec_b64 s[30:31], s[8:9]
	s_cbranch_execz .LBB378_112
; %bb.107:                              ;   in Loop: Header=BB378_13 Depth=1
	v_cmp_ne_u16_e64 s[8:9], s39, v60
	v_bfrev_b32_e32 v1, 1
	s_and_saveexec_b64 s[34:35], s[8:9]
	s_cbranch_execz .LBB378_111
; %bb.108:                              ;   in Loop: Header=BB378_13 Depth=1
	v_and_b32_e32 v2, 0x7f, v60
	v_cmp_ne_u32_e64 s[8:9], s40, v2
	v_mov_b32_e32 v1, 0x7f800001
	s_and_saveexec_b64 s[36:37], s[8:9]
	s_cbranch_execz .LBB378_110
; %bb.109:                              ;   in Loop: Header=BB378_13 Depth=1
	v_and_b32_e32 v1, 7, v60
	v_ffbh_u32_e32 v10, v1
	v_min_u32_e32 v10, 32, v10
	v_subrev_u32_e32 v12, 28, v10
	v_lshlrev_b64 v[12:13], v12, v[60:61]
	v_lshrrev_b32_e32 v5, 3, v2
	v_sub_u32_e32 v10, 29, v10
	v_and_b32_e32 v12, 7, v12
	v_cmp_gt_u32_e64 s[8:9], 8, v2
	v_cndmask_b32_e64 v2, v5, v10, s[8:9]
	v_cndmask_b32_e64 v1, v1, v12, s[8:9]
	v_lshlrev_b32_e32 v5, 16, v58
	v_bfrev_b32_e32 v3, 60
	v_lshlrev_b32_e32 v1, 20, v1
	v_and_b32_e32 v5, 0x80000000, v5
	v_lshl_add_u32 v2, v2, 23, v3
	v_or3_b32 v1, v5, v2, v1
.LBB378_110:                            ;   in Loop: Header=BB378_13 Depth=1
	s_or_b64 exec, exec, s[36:37]
.LBB378_111:                            ;   in Loop: Header=BB378_13 Depth=1
	s_or_b64 exec, exec, s[34:35]
.LBB378_112:                            ;   in Loop: Header=BB378_13 Depth=1
	s_or_b64 exec, exec, s[30:31]
	v_mul_f32_e32 v1, v26, v1
	v_and_b32_e32 v2, 0x7f800000, v1
	v_cmp_ne_u32_e64 s[8:9], s41, v2
                                        ; implicit-def: $agpr56
	s_and_saveexec_b64 s[30:31], s[8:9]
	s_xor_b64 s[8:9], exec, s[30:31]
; %bb.113:                              ;   in Loop: Header=BB378_13 Depth=1
	v_bfe_u32 v2, v1, 16, 1
	v_add3_u32 v1, v1, v2, s42
	v_accvgpr_write_b32 a56, v1
                                        ; implicit-def: $vgpr1
; %bb.114:                              ;   in Loop: Header=BB378_13 Depth=1
	s_andn2_saveexec_b64 s[30:31], s[8:9]
; %bb.115:                              ;   in Loop: Header=BB378_13 Depth=1
	v_or_b32_e32 v2, 0x10000, v1
	v_cmp_eq_u32_sdwa s[8:9], v1, v4 src0_sel:WORD_0 src1_sel:DWORD
	v_cndmask_b32_e64 v1, v2, v1, s[8:9]
	v_accvgpr_write_b32 a56, v1
; %bb.116:                              ;   in Loop: Header=BB378_13 Depth=1
	s_or_b64 exec, exec, s[30:31]
	v_lshrrev_b32_e32 v60, 16, v58
	v_cmp_ne_u16_sdwa s[8:9], v60, v4 src0_sel:BYTE_0 src1_sel:DWORD
	v_mov_b32_e32 v1, 0
	s_and_saveexec_b64 s[30:31], s[8:9]
	s_cbranch_execz .LBB378_122
; %bb.117:                              ;   in Loop: Header=BB378_13 Depth=1
	v_cmp_ne_u16_sdwa s[8:9], v60, s39 src0_sel:BYTE_0 src1_sel:DWORD
	v_bfrev_b32_e32 v1, 1
	s_and_saveexec_b64 s[34:35], s[8:9]
	s_cbranch_execz .LBB378_121
; %bb.118:                              ;   in Loop: Header=BB378_13 Depth=1
	v_bfe_u32 v2, v58, 16, 7
	v_cmp_ne_u32_e64 s[8:9], s40, v2
	v_mov_b32_e32 v1, 0x7f800001
	s_and_saveexec_b64 s[36:37], s[8:9]
	s_cbranch_execz .LBB378_120
; %bb.119:                              ;   in Loop: Header=BB378_13 Depth=1
	v_and_b32_e32 v1, 7, v60
	v_ffbh_u32_e32 v10, v1
	v_min_u32_e32 v10, 32, v10
	v_subrev_u32_e32 v12, 28, v10
	v_lshlrev_b64 v[12:13], v12, v[60:61]
	v_lshrrev_b32_e32 v5, 3, v2
	v_sub_u32_e32 v10, 29, v10
	v_and_b32_e32 v12, 7, v12
	v_cmp_gt_u32_e64 s[8:9], 8, v2
	v_cndmask_b32_e64 v2, v5, v10, s[8:9]
	v_cndmask_b32_e64 v1, v1, v12, s[8:9]
	v_lshlrev_b32_e32 v5, 24, v60
	v_bfrev_b32_e32 v3, 60
	v_lshlrev_b32_e32 v1, 20, v1
	v_and_b32_e32 v5, 0x80000000, v5
	v_lshl_add_u32 v2, v2, 23, v3
	v_or3_b32 v1, v5, v2, v1
.LBB378_120:                            ;   in Loop: Header=BB378_13 Depth=1
	s_or_b64 exec, exec, s[36:37]
.LBB378_121:                            ;   in Loop: Header=BB378_13 Depth=1
	s_or_b64 exec, exec, s[34:35]
.LBB378_122:                            ;   in Loop: Header=BB378_13 Depth=1
	s_or_b64 exec, exec, s[30:31]
	v_mul_f32_e32 v1, v26, v1
	v_and_b32_e32 v2, 0x7f800000, v1
	v_cmp_ne_u32_e64 s[8:9], s41, v2
                                        ; implicit-def: $agpr57
	s_and_saveexec_b64 s[30:31], s[8:9]
	s_xor_b64 s[8:9], exec, s[30:31]
; %bb.123:                              ;   in Loop: Header=BB378_13 Depth=1
	v_bfe_u32 v2, v1, 16, 1
	v_add3_u32 v1, v1, v2, s42
	v_accvgpr_write_b32 a57, v1
                                        ; implicit-def: $vgpr1
; %bb.124:                              ;   in Loop: Header=BB378_13 Depth=1
	s_andn2_saveexec_b64 s[30:31], s[8:9]
; %bb.125:                              ;   in Loop: Header=BB378_13 Depth=1
	v_or_b32_e32 v2, 0x10000, v1
	v_cmp_eq_u32_sdwa s[8:9], v1, v4 src0_sel:WORD_0 src1_sel:DWORD
	v_cndmask_b32_e64 v1, v2, v1, s[8:9]
	v_accvgpr_write_b32 a57, v1
; %bb.126:                              ;   in Loop: Header=BB378_13 Depth=1
	s_or_b64 exec, exec, s[30:31]
	v_cmp_lt_u32_e64 s[8:9], s43, v58
	v_mov_b32_e32 v1, 0
	s_and_saveexec_b64 s[30:31], s[8:9]
	s_cbranch_execz .LBB378_132
; %bb.127:                              ;   in Loop: Header=BB378_13 Depth=1
	v_lshrrev_b32_e32 v60, 24, v58
	v_cmp_ne_u32_e64 s[8:9], s39, v60
	v_bfrev_b32_e32 v1, 1
	s_and_saveexec_b64 s[34:35], s[8:9]
	s_cbranch_execz .LBB378_131
; %bb.128:                              ;   in Loop: Header=BB378_13 Depth=1
	v_bfe_u32 v2, v58, 24, 7
	v_cmp_ne_u32_e64 s[8:9], s40, v2
	v_mov_b32_e32 v1, 0x7f800001
	s_and_saveexec_b64 s[36:37], s[8:9]
	s_cbranch_execz .LBB378_130
; %bb.129:                              ;   in Loop: Header=BB378_13 Depth=1
	v_and_b32_e32 v1, 7, v60
	v_ffbh_u32_e32 v10, v1
	v_min_u32_e32 v10, 32, v10
	v_subrev_u32_e32 v12, 28, v10
	v_lshlrev_b64 v[12:13], v12, v[60:61]
	v_lshrrev_b32_e32 v5, 3, v2
	v_sub_u32_e32 v10, 29, v10
	v_and_b32_e32 v12, 7, v12
	v_cmp_gt_u32_e64 s[8:9], 8, v2
	v_cndmask_b32_e64 v2, v5, v10, s[8:9]
	v_cndmask_b32_e64 v1, v1, v12, s[8:9]
	v_lshlrev_b32_e32 v5, 24, v60
	v_bfrev_b32_e32 v3, 60
	v_lshlrev_b32_e32 v1, 20, v1
	v_and_b32_e32 v5, 0x80000000, v5
	v_lshl_add_u32 v2, v2, 23, v3
	v_or3_b32 v1, v5, v2, v1
.LBB378_130:                            ;   in Loop: Header=BB378_13 Depth=1
	s_or_b64 exec, exec, s[36:37]
.LBB378_131:                            ;   in Loop: Header=BB378_13 Depth=1
	s_or_b64 exec, exec, s[34:35]
.LBB378_132:                            ;   in Loop: Header=BB378_13 Depth=1
	s_or_b64 exec, exec, s[30:31]
	v_mul_f32_e32 v1, v26, v1
	v_and_b32_e32 v2, 0x7f800000, v1
	v_cmp_ne_u32_e64 s[8:9], s41, v2
                                        ; implicit-def: $agpr58
	s_and_saveexec_b64 s[30:31], s[8:9]
	s_xor_b64 s[8:9], exec, s[30:31]
; %bb.133:                              ;   in Loop: Header=BB378_13 Depth=1
	v_bfe_u32 v2, v1, 16, 1
	v_add3_u32 v1, v1, v2, s42
	v_accvgpr_write_b32 a58, v1
                                        ; implicit-def: $vgpr1
; %bb.134:                              ;   in Loop: Header=BB378_13 Depth=1
	s_andn2_saveexec_b64 s[30:31], s[8:9]
; %bb.135:                              ;   in Loop: Header=BB378_13 Depth=1
	v_or_b32_e32 v2, 0x10000, v1
	v_cmp_eq_u32_sdwa s[8:9], v1, v4 src0_sel:WORD_0 src1_sel:DWORD
	v_cndmask_b32_e64 v1, v2, v1, s[8:9]
	v_accvgpr_write_b32 a58, v1
; %bb.136:                              ;   in Loop: Header=BB378_13 Depth=1
	s_or_b64 exec, exec, s[30:31]
	flat_load_dword v58, v[56:57] offset:520
	v_mov_b32_e32 v1, 0
	s_waitcnt vmcnt(0) lgkmcnt(0)
	v_cmp_ne_u16_sdwa s[8:9], v58, v4 src0_sel:BYTE_0 src1_sel:DWORD
	s_and_saveexec_b64 s[30:31], s[8:9]
	s_cbranch_execz .LBB378_142
; %bb.137:                              ;   in Loop: Header=BB378_13 Depth=1
	v_cmp_ne_u16_sdwa s[8:9], v58, s39 src0_sel:BYTE_0 src1_sel:DWORD
	v_bfrev_b32_e32 v1, 1
	s_and_saveexec_b64 s[34:35], s[8:9]
	s_cbranch_execz .LBB378_141
; %bb.138:                              ;   in Loop: Header=BB378_13 Depth=1
	v_and_b32_e32 v2, 0x7f, v58
	v_cmp_ne_u32_e64 s[8:9], s40, v2
	v_mov_b32_e32 v1, 0x7f800001
	s_and_saveexec_b64 s[36:37], s[8:9]
	s_cbranch_execz .LBB378_140
; %bb.139:                              ;   in Loop: Header=BB378_13 Depth=1
	v_and_b32_e32 v1, 7, v58
	v_ffbh_u32_e32 v10, v1
	v_min_u32_e32 v10, 32, v10
	v_subrev_u32_e32 v12, 28, v10
	v_lshlrev_b64 v[12:13], v12, v[58:59]
	v_lshrrev_b32_e32 v5, 3, v2
	v_sub_u32_e32 v10, 29, v10
	v_and_b32_e32 v12, 7, v12
	v_cmp_gt_u32_e64 s[8:9], 8, v2
	v_cndmask_b32_e64 v2, v5, v10, s[8:9]
	v_cndmask_b32_e64 v1, v1, v12, s[8:9]
	v_lshlrev_b32_e32 v5, 24, v58
	v_bfrev_b32_e32 v3, 60
	v_lshlrev_b32_e32 v1, 20, v1
	v_and_b32_e32 v5, 0x80000000, v5
	v_lshl_add_u32 v2, v2, 23, v3
	v_or3_b32 v1, v5, v2, v1
.LBB378_140:                            ;   in Loop: Header=BB378_13 Depth=1
	s_or_b64 exec, exec, s[36:37]
.LBB378_141:                            ;   in Loop: Header=BB378_13 Depth=1
	s_or_b64 exec, exec, s[34:35]
.LBB378_142:                            ;   in Loop: Header=BB378_13 Depth=1
	s_or_b64 exec, exec, s[30:31]
	v_mul_f32_e32 v1, v26, v1
	v_and_b32_e32 v2, 0x7f800000, v1
	v_cmp_ne_u32_e64 s[8:9], s41, v2
                                        ; implicit-def: $agpr59
	s_and_saveexec_b64 s[30:31], s[8:9]
	s_xor_b64 s[8:9], exec, s[30:31]
; %bb.143:                              ;   in Loop: Header=BB378_13 Depth=1
	v_bfe_u32 v2, v1, 16, 1
	v_add3_u32 v1, v1, v2, s42
	v_accvgpr_write_b32 a59, v1
                                        ; implicit-def: $vgpr1
; %bb.144:                              ;   in Loop: Header=BB378_13 Depth=1
	s_andn2_saveexec_b64 s[30:31], s[8:9]
; %bb.145:                              ;   in Loop: Header=BB378_13 Depth=1
	v_or_b32_e32 v2, 0x10000, v1
	v_cmp_eq_u32_sdwa s[8:9], v1, v4 src0_sel:WORD_0 src1_sel:DWORD
	v_cndmask_b32_e64 v1, v2, v1, s[8:9]
	v_accvgpr_write_b32 a59, v1
; %bb.146:                              ;   in Loop: Header=BB378_13 Depth=1
	s_or_b64 exec, exec, s[30:31]
	v_lshrrev_b16_e32 v60, 8, v58
	v_cmp_ne_u16_e64 s[8:9], 0, v60
	v_mov_b32_e32 v1, 0
	s_and_saveexec_b64 s[30:31], s[8:9]
	s_cbranch_execz .LBB378_152
; %bb.147:                              ;   in Loop: Header=BB378_13 Depth=1
	v_cmp_ne_u16_e64 s[8:9], s39, v60
	v_bfrev_b32_e32 v1, 1
	s_and_saveexec_b64 s[34:35], s[8:9]
	s_cbranch_execz .LBB378_151
; %bb.148:                              ;   in Loop: Header=BB378_13 Depth=1
	v_and_b32_e32 v2, 0x7f, v60
	v_cmp_ne_u32_e64 s[8:9], s40, v2
	v_mov_b32_e32 v1, 0x7f800001
	s_and_saveexec_b64 s[36:37], s[8:9]
	s_cbranch_execz .LBB378_150
; %bb.149:                              ;   in Loop: Header=BB378_13 Depth=1
	v_and_b32_e32 v1, 7, v60
	v_ffbh_u32_e32 v10, v1
	v_min_u32_e32 v10, 32, v10
	v_subrev_u32_e32 v12, 28, v10
	v_lshlrev_b64 v[12:13], v12, v[60:61]
	v_lshrrev_b32_e32 v5, 3, v2
	v_sub_u32_e32 v10, 29, v10
	v_and_b32_e32 v12, 7, v12
	v_cmp_gt_u32_e64 s[8:9], 8, v2
	v_cndmask_b32_e64 v2, v5, v10, s[8:9]
	v_cndmask_b32_e64 v1, v1, v12, s[8:9]
	v_lshlrev_b32_e32 v5, 16, v58
	v_bfrev_b32_e32 v3, 60
	v_lshlrev_b32_e32 v1, 20, v1
	v_and_b32_e32 v5, 0x80000000, v5
	v_lshl_add_u32 v2, v2, 23, v3
	v_or3_b32 v1, v5, v2, v1
.LBB378_150:                            ;   in Loop: Header=BB378_13 Depth=1
	s_or_b64 exec, exec, s[36:37]
.LBB378_151:                            ;   in Loop: Header=BB378_13 Depth=1
	s_or_b64 exec, exec, s[34:35]
.LBB378_152:                            ;   in Loop: Header=BB378_13 Depth=1
	s_or_b64 exec, exec, s[30:31]
	v_mul_f32_e32 v1, v26, v1
	v_and_b32_e32 v2, 0x7f800000, v1
	v_cmp_ne_u32_e64 s[8:9], s41, v2
                                        ; implicit-def: $agpr60
	s_and_saveexec_b64 s[30:31], s[8:9]
	s_xor_b64 s[8:9], exec, s[30:31]
; %bb.153:                              ;   in Loop: Header=BB378_13 Depth=1
	v_bfe_u32 v2, v1, 16, 1
	v_add3_u32 v1, v1, v2, s42
	v_accvgpr_write_b32 a60, v1
                                        ; implicit-def: $vgpr1
; %bb.154:                              ;   in Loop: Header=BB378_13 Depth=1
	s_andn2_saveexec_b64 s[30:31], s[8:9]
; %bb.155:                              ;   in Loop: Header=BB378_13 Depth=1
	v_or_b32_e32 v2, 0x10000, v1
	v_cmp_eq_u32_sdwa s[8:9], v1, v4 src0_sel:WORD_0 src1_sel:DWORD
	v_cndmask_b32_e64 v1, v2, v1, s[8:9]
	v_accvgpr_write_b32 a60, v1
; %bb.156:                              ;   in Loop: Header=BB378_13 Depth=1
	s_or_b64 exec, exec, s[30:31]
	v_lshrrev_b32_e32 v60, 16, v58
	v_cmp_ne_u16_sdwa s[8:9], v60, v4 src0_sel:BYTE_0 src1_sel:DWORD
	v_mov_b32_e32 v1, 0
	s_and_saveexec_b64 s[30:31], s[8:9]
	s_cbranch_execz .LBB378_162
; %bb.157:                              ;   in Loop: Header=BB378_13 Depth=1
	v_cmp_ne_u16_sdwa s[8:9], v60, s39 src0_sel:BYTE_0 src1_sel:DWORD
	v_bfrev_b32_e32 v1, 1
	s_and_saveexec_b64 s[34:35], s[8:9]
	s_cbranch_execz .LBB378_161
; %bb.158:                              ;   in Loop: Header=BB378_13 Depth=1
	v_bfe_u32 v2, v58, 16, 7
	v_cmp_ne_u32_e64 s[8:9], s40, v2
	v_mov_b32_e32 v1, 0x7f800001
	s_and_saveexec_b64 s[36:37], s[8:9]
	s_cbranch_execz .LBB378_160
; %bb.159:                              ;   in Loop: Header=BB378_13 Depth=1
	v_and_b32_e32 v1, 7, v60
	v_ffbh_u32_e32 v10, v1
	v_min_u32_e32 v10, 32, v10
	v_subrev_u32_e32 v12, 28, v10
	v_lshlrev_b64 v[12:13], v12, v[60:61]
	v_lshrrev_b32_e32 v5, 3, v2
	v_sub_u32_e32 v10, 29, v10
	v_and_b32_e32 v12, 7, v12
	v_cmp_gt_u32_e64 s[8:9], 8, v2
	v_cndmask_b32_e64 v2, v5, v10, s[8:9]
	v_cndmask_b32_e64 v1, v1, v12, s[8:9]
	v_lshlrev_b32_e32 v5, 24, v60
	v_bfrev_b32_e32 v3, 60
	v_lshlrev_b32_e32 v1, 20, v1
	v_and_b32_e32 v5, 0x80000000, v5
	v_lshl_add_u32 v2, v2, 23, v3
	v_or3_b32 v1, v5, v2, v1
.LBB378_160:                            ;   in Loop: Header=BB378_13 Depth=1
	s_or_b64 exec, exec, s[36:37]
.LBB378_161:                            ;   in Loop: Header=BB378_13 Depth=1
	s_or_b64 exec, exec, s[34:35]
.LBB378_162:                            ;   in Loop: Header=BB378_13 Depth=1
	s_or_b64 exec, exec, s[30:31]
	v_mul_f32_e32 v1, v26, v1
	v_and_b32_e32 v2, 0x7f800000, v1
	v_cmp_ne_u32_e64 s[8:9], s41, v2
                                        ; implicit-def: $agpr61
	s_and_saveexec_b64 s[30:31], s[8:9]
	s_xor_b64 s[8:9], exec, s[30:31]
; %bb.163:                              ;   in Loop: Header=BB378_13 Depth=1
	v_bfe_u32 v2, v1, 16, 1
	v_add3_u32 v1, v1, v2, s42
	v_accvgpr_write_b32 a61, v1
                                        ; implicit-def: $vgpr1
; %bb.164:                              ;   in Loop: Header=BB378_13 Depth=1
	s_andn2_saveexec_b64 s[30:31], s[8:9]
; %bb.165:                              ;   in Loop: Header=BB378_13 Depth=1
	v_or_b32_e32 v2, 0x10000, v1
	v_cmp_eq_u32_sdwa s[8:9], v1, v4 src0_sel:WORD_0 src1_sel:DWORD
	v_cndmask_b32_e64 v1, v2, v1, s[8:9]
	v_accvgpr_write_b32 a61, v1
; %bb.166:                              ;   in Loop: Header=BB378_13 Depth=1
	s_or_b64 exec, exec, s[30:31]
	v_cmp_lt_u32_e64 s[8:9], s43, v58
	v_mov_b32_e32 v1, 0
	s_and_saveexec_b64 s[30:31], s[8:9]
	s_cbranch_execz .LBB378_172
; %bb.167:                              ;   in Loop: Header=BB378_13 Depth=1
	v_lshrrev_b32_e32 v60, 24, v58
	v_cmp_ne_u32_e64 s[8:9], s39, v60
	v_bfrev_b32_e32 v1, 1
	s_and_saveexec_b64 s[34:35], s[8:9]
	s_cbranch_execz .LBB378_171
; %bb.168:                              ;   in Loop: Header=BB378_13 Depth=1
	v_bfe_u32 v2, v58, 24, 7
	v_cmp_ne_u32_e64 s[8:9], s40, v2
	v_mov_b32_e32 v1, 0x7f800001
	s_and_saveexec_b64 s[36:37], s[8:9]
	s_cbranch_execz .LBB378_170
; %bb.169:                              ;   in Loop: Header=BB378_13 Depth=1
	v_and_b32_e32 v1, 7, v60
	v_ffbh_u32_e32 v10, v1
	v_min_u32_e32 v10, 32, v10
	v_subrev_u32_e32 v12, 28, v10
	v_lshlrev_b64 v[12:13], v12, v[60:61]
	v_lshrrev_b32_e32 v5, 3, v2
	v_sub_u32_e32 v10, 29, v10
	v_and_b32_e32 v12, 7, v12
	v_cmp_gt_u32_e64 s[8:9], 8, v2
	v_cndmask_b32_e64 v2, v5, v10, s[8:9]
	v_cndmask_b32_e64 v1, v1, v12, s[8:9]
	v_lshlrev_b32_e32 v5, 24, v60
	v_bfrev_b32_e32 v3, 60
	v_lshlrev_b32_e32 v1, 20, v1
	v_and_b32_e32 v5, 0x80000000, v5
	v_lshl_add_u32 v2, v2, 23, v3
	v_or3_b32 v1, v5, v2, v1
.LBB378_170:                            ;   in Loop: Header=BB378_13 Depth=1
	s_or_b64 exec, exec, s[36:37]
.LBB378_171:                            ;   in Loop: Header=BB378_13 Depth=1
	s_or_b64 exec, exec, s[34:35]
.LBB378_172:                            ;   in Loop: Header=BB378_13 Depth=1
	s_or_b64 exec, exec, s[30:31]
	v_mul_f32_e32 v1, v26, v1
	v_and_b32_e32 v2, 0x7f800000, v1
	v_cmp_ne_u32_e64 s[8:9], s41, v2
                                        ; implicit-def: $agpr62
	s_and_saveexec_b64 s[30:31], s[8:9]
	s_xor_b64 s[8:9], exec, s[30:31]
; %bb.173:                              ;   in Loop: Header=BB378_13 Depth=1
	v_bfe_u32 v2, v1, 16, 1
	v_add3_u32 v1, v1, v2, s42
	v_accvgpr_write_b32 a62, v1
                                        ; implicit-def: $vgpr1
; %bb.174:                              ;   in Loop: Header=BB378_13 Depth=1
	s_andn2_saveexec_b64 s[30:31], s[8:9]
; %bb.175:                              ;   in Loop: Header=BB378_13 Depth=1
	v_or_b32_e32 v2, 0x10000, v1
	v_cmp_eq_u32_sdwa s[8:9], v1, v4 src0_sel:WORD_0 src1_sel:DWORD
	v_cndmask_b32_e64 v1, v2, v1, s[8:9]
	v_accvgpr_write_b32 a62, v1
; %bb.176:                              ;   in Loop: Header=BB378_13 Depth=1
	s_or_b64 exec, exec, s[30:31]
	flat_load_dword v58, v[56:57] offset:1024
	v_mov_b32_e32 v1, 0
	s_waitcnt vmcnt(0) lgkmcnt(0)
	v_cmp_ne_u16_sdwa s[8:9], v58, v4 src0_sel:BYTE_0 src1_sel:DWORD
	s_and_saveexec_b64 s[30:31], s[8:9]
	s_cbranch_execz .LBB378_182
; %bb.177:                              ;   in Loop: Header=BB378_13 Depth=1
	v_cmp_ne_u16_sdwa s[8:9], v58, s39 src0_sel:BYTE_0 src1_sel:DWORD
	v_bfrev_b32_e32 v1, 1
	s_and_saveexec_b64 s[34:35], s[8:9]
	s_cbranch_execz .LBB378_181
; %bb.178:                              ;   in Loop: Header=BB378_13 Depth=1
	v_and_b32_e32 v2, 0x7f, v58
	v_cmp_ne_u32_e64 s[8:9], s40, v2
	v_mov_b32_e32 v1, 0x7f800001
	s_and_saveexec_b64 s[36:37], s[8:9]
	s_cbranch_execz .LBB378_180
; %bb.179:                              ;   in Loop: Header=BB378_13 Depth=1
	v_and_b32_e32 v1, 7, v58
	v_ffbh_u32_e32 v10, v1
	v_min_u32_e32 v10, 32, v10
	v_subrev_u32_e32 v12, 28, v10
	v_lshlrev_b64 v[12:13], v12, v[58:59]
	v_lshrrev_b32_e32 v5, 3, v2
	v_sub_u32_e32 v10, 29, v10
	v_and_b32_e32 v12, 7, v12
	v_cmp_gt_u32_e64 s[8:9], 8, v2
	v_cndmask_b32_e64 v2, v5, v10, s[8:9]
	v_cndmask_b32_e64 v1, v1, v12, s[8:9]
	v_lshlrev_b32_e32 v5, 24, v58
	v_bfrev_b32_e32 v3, 60
	v_lshlrev_b32_e32 v1, 20, v1
	v_and_b32_e32 v5, 0x80000000, v5
	v_lshl_add_u32 v2, v2, 23, v3
	v_or3_b32 v1, v5, v2, v1
.LBB378_180:                            ;   in Loop: Header=BB378_13 Depth=1
	s_or_b64 exec, exec, s[36:37]
.LBB378_181:                            ;   in Loop: Header=BB378_13 Depth=1
	s_or_b64 exec, exec, s[34:35]
.LBB378_182:                            ;   in Loop: Header=BB378_13 Depth=1
	s_or_b64 exec, exec, s[30:31]
	v_mul_f32_e32 v1, v26, v1
	v_and_b32_e32 v2, 0x7f800000, v1
	v_cmp_ne_u32_e64 s[8:9], s41, v2
                                        ; implicit-def: $agpr63
	s_and_saveexec_b64 s[30:31], s[8:9]
	s_xor_b64 s[8:9], exec, s[30:31]
; %bb.183:                              ;   in Loop: Header=BB378_13 Depth=1
	v_bfe_u32 v2, v1, 16, 1
	v_add3_u32 v1, v1, v2, s42
	v_accvgpr_write_b32 a63, v1
                                        ; implicit-def: $vgpr1
; %bb.184:                              ;   in Loop: Header=BB378_13 Depth=1
	s_andn2_saveexec_b64 s[30:31], s[8:9]
; %bb.185:                              ;   in Loop: Header=BB378_13 Depth=1
	v_or_b32_e32 v2, 0x10000, v1
	v_cmp_eq_u32_sdwa s[8:9], v1, v4 src0_sel:WORD_0 src1_sel:DWORD
	v_cndmask_b32_e64 v1, v2, v1, s[8:9]
	v_accvgpr_write_b32 a63, v1
; %bb.186:                              ;   in Loop: Header=BB378_13 Depth=1
	s_or_b64 exec, exec, s[30:31]
	v_lshrrev_b16_e32 v60, 8, v58
	v_cmp_ne_u16_e64 s[8:9], 0, v60
	v_mov_b32_e32 v1, 0
	s_and_saveexec_b64 s[30:31], s[8:9]
	s_cbranch_execz .LBB378_192
; %bb.187:                              ;   in Loop: Header=BB378_13 Depth=1
	v_cmp_ne_u16_e64 s[8:9], s39, v60
	v_bfrev_b32_e32 v1, 1
	s_and_saveexec_b64 s[34:35], s[8:9]
	s_cbranch_execz .LBB378_191
; %bb.188:                              ;   in Loop: Header=BB378_13 Depth=1
	v_and_b32_e32 v2, 0x7f, v60
	v_cmp_ne_u32_e64 s[8:9], s40, v2
	v_mov_b32_e32 v1, 0x7f800001
	s_and_saveexec_b64 s[36:37], s[8:9]
	s_cbranch_execz .LBB378_190
; %bb.189:                              ;   in Loop: Header=BB378_13 Depth=1
	v_and_b32_e32 v1, 7, v60
	v_ffbh_u32_e32 v10, v1
	v_min_u32_e32 v10, 32, v10
	v_subrev_u32_e32 v12, 28, v10
	v_lshlrev_b64 v[12:13], v12, v[60:61]
	v_lshrrev_b32_e32 v5, 3, v2
	v_sub_u32_e32 v10, 29, v10
	v_and_b32_e32 v12, 7, v12
	v_cmp_gt_u32_e64 s[8:9], 8, v2
	v_cndmask_b32_e64 v2, v5, v10, s[8:9]
	v_cndmask_b32_e64 v1, v1, v12, s[8:9]
	v_lshlrev_b32_e32 v5, 16, v58
	v_bfrev_b32_e32 v3, 60
	v_lshlrev_b32_e32 v1, 20, v1
	v_and_b32_e32 v5, 0x80000000, v5
	v_lshl_add_u32 v2, v2, 23, v3
	v_or3_b32 v1, v5, v2, v1
.LBB378_190:                            ;   in Loop: Header=BB378_13 Depth=1
	s_or_b64 exec, exec, s[36:37]
.LBB378_191:                            ;   in Loop: Header=BB378_13 Depth=1
	s_or_b64 exec, exec, s[34:35]
.LBB378_192:                            ;   in Loop: Header=BB378_13 Depth=1
	s_or_b64 exec, exec, s[30:31]
	v_mul_f32_e32 v1, v26, v1
	v_and_b32_e32 v2, 0x7f800000, v1
	v_cmp_ne_u32_e64 s[8:9], s41, v2
                                        ; implicit-def: $agpr27
	s_and_saveexec_b64 s[30:31], s[8:9]
	s_xor_b64 s[8:9], exec, s[30:31]
; %bb.193:                              ;   in Loop: Header=BB378_13 Depth=1
	v_bfe_u32 v2, v1, 16, 1
	v_add3_u32 v1, v1, v2, s42
	v_accvgpr_write_b32 a27, v1
                                        ; implicit-def: $vgpr1
; %bb.194:                              ;   in Loop: Header=BB378_13 Depth=1
	s_andn2_saveexec_b64 s[30:31], s[8:9]
; %bb.195:                              ;   in Loop: Header=BB378_13 Depth=1
	v_or_b32_e32 v2, 0x10000, v1
	v_cmp_eq_u32_sdwa s[8:9], v1, v4 src0_sel:WORD_0 src1_sel:DWORD
	v_cndmask_b32_e64 v1, v2, v1, s[8:9]
	v_accvgpr_write_b32 a27, v1
; %bb.196:                              ;   in Loop: Header=BB378_13 Depth=1
	s_or_b64 exec, exec, s[30:31]
	v_lshrrev_b32_e32 v60, 16, v58
	v_cmp_ne_u16_sdwa s[8:9], v60, v4 src0_sel:BYTE_0 src1_sel:DWORD
	v_mov_b32_e32 v1, 0
	s_and_saveexec_b64 s[30:31], s[8:9]
	s_cbranch_execz .LBB378_202
; %bb.197:                              ;   in Loop: Header=BB378_13 Depth=1
	v_cmp_ne_u16_sdwa s[8:9], v60, s39 src0_sel:BYTE_0 src1_sel:DWORD
	v_bfrev_b32_e32 v1, 1
	s_and_saveexec_b64 s[34:35], s[8:9]
	s_cbranch_execz .LBB378_201
; %bb.198:                              ;   in Loop: Header=BB378_13 Depth=1
	v_bfe_u32 v2, v58, 16, 7
	v_cmp_ne_u32_e64 s[8:9], s40, v2
	v_mov_b32_e32 v1, 0x7f800001
	s_and_saveexec_b64 s[36:37], s[8:9]
	s_cbranch_execz .LBB378_200
; %bb.199:                              ;   in Loop: Header=BB378_13 Depth=1
	v_and_b32_e32 v1, 7, v60
	v_ffbh_u32_e32 v10, v1
	v_min_u32_e32 v10, 32, v10
	v_subrev_u32_e32 v12, 28, v10
	v_lshlrev_b64 v[12:13], v12, v[60:61]
	v_lshrrev_b32_e32 v5, 3, v2
	v_sub_u32_e32 v10, 29, v10
	v_and_b32_e32 v12, 7, v12
	v_cmp_gt_u32_e64 s[8:9], 8, v2
	v_cndmask_b32_e64 v2, v5, v10, s[8:9]
	v_cndmask_b32_e64 v1, v1, v12, s[8:9]
	v_lshlrev_b32_e32 v5, 24, v60
	v_bfrev_b32_e32 v3, 60
	v_lshlrev_b32_e32 v1, 20, v1
	v_and_b32_e32 v5, 0x80000000, v5
	v_lshl_add_u32 v2, v2, 23, v3
	v_or3_b32 v1, v5, v2, v1
.LBB378_200:                            ;   in Loop: Header=BB378_13 Depth=1
	s_or_b64 exec, exec, s[36:37]
.LBB378_201:                            ;   in Loop: Header=BB378_13 Depth=1
	s_or_b64 exec, exec, s[34:35]
.LBB378_202:                            ;   in Loop: Header=BB378_13 Depth=1
	s_or_b64 exec, exec, s[30:31]
	v_mul_f32_e32 v1, v26, v1
	v_and_b32_e32 v2, 0x7f800000, v1
	v_cmp_ne_u32_e64 s[8:9], s41, v2
                                        ; implicit-def: $agpr25
	s_and_saveexec_b64 s[30:31], s[8:9]
	s_xor_b64 s[8:9], exec, s[30:31]
; %bb.203:                              ;   in Loop: Header=BB378_13 Depth=1
	v_bfe_u32 v2, v1, 16, 1
	v_add3_u32 v1, v1, v2, s42
	v_accvgpr_write_b32 a25, v1
                                        ; implicit-def: $vgpr1
; %bb.204:                              ;   in Loop: Header=BB378_13 Depth=1
	s_andn2_saveexec_b64 s[30:31], s[8:9]
; %bb.205:                              ;   in Loop: Header=BB378_13 Depth=1
	v_or_b32_e32 v2, 0x10000, v1
	v_cmp_eq_u32_sdwa s[8:9], v1, v4 src0_sel:WORD_0 src1_sel:DWORD
	v_cndmask_b32_e64 v1, v2, v1, s[8:9]
	v_accvgpr_write_b32 a25, v1
; %bb.206:                              ;   in Loop: Header=BB378_13 Depth=1
	s_or_b64 exec, exec, s[30:31]
	v_cmp_lt_u32_e64 s[8:9], s43, v58
	v_mov_b32_e32 v1, 0
	s_and_saveexec_b64 s[30:31], s[8:9]
	s_cbranch_execz .LBB378_212
; %bb.207:                              ;   in Loop: Header=BB378_13 Depth=1
	v_lshrrev_b32_e32 v60, 24, v58
	v_cmp_ne_u32_e64 s[8:9], s39, v60
	v_bfrev_b32_e32 v1, 1
	s_and_saveexec_b64 s[34:35], s[8:9]
	s_cbranch_execz .LBB378_211
; %bb.208:                              ;   in Loop: Header=BB378_13 Depth=1
	v_bfe_u32 v2, v58, 24, 7
	v_cmp_ne_u32_e64 s[8:9], s40, v2
	v_mov_b32_e32 v1, 0x7f800001
	s_and_saveexec_b64 s[36:37], s[8:9]
	s_cbranch_execz .LBB378_210
; %bb.209:                              ;   in Loop: Header=BB378_13 Depth=1
	v_and_b32_e32 v1, 7, v60
	v_ffbh_u32_e32 v10, v1
	v_min_u32_e32 v10, 32, v10
	v_subrev_u32_e32 v12, 28, v10
	v_lshlrev_b64 v[12:13], v12, v[60:61]
	v_lshrrev_b32_e32 v5, 3, v2
	v_sub_u32_e32 v10, 29, v10
	v_and_b32_e32 v12, 7, v12
	v_cmp_gt_u32_e64 s[8:9], 8, v2
	v_cndmask_b32_e64 v2, v5, v10, s[8:9]
	v_cndmask_b32_e64 v1, v1, v12, s[8:9]
	v_lshlrev_b32_e32 v5, 24, v60
	v_bfrev_b32_e32 v3, 60
	v_lshlrev_b32_e32 v1, 20, v1
	v_and_b32_e32 v5, 0x80000000, v5
	v_lshl_add_u32 v2, v2, 23, v3
	v_or3_b32 v1, v5, v2, v1
.LBB378_210:                            ;   in Loop: Header=BB378_13 Depth=1
	s_or_b64 exec, exec, s[36:37]
.LBB378_211:                            ;   in Loop: Header=BB378_13 Depth=1
	s_or_b64 exec, exec, s[34:35]
.LBB378_212:                            ;   in Loop: Header=BB378_13 Depth=1
	s_or_b64 exec, exec, s[30:31]
	v_mul_f32_e32 v1, v26, v1
	v_and_b32_e32 v2, 0x7f800000, v1
	v_cmp_ne_u32_e64 s[8:9], s41, v2
                                        ; implicit-def: $agpr30
	s_and_saveexec_b64 s[30:31], s[8:9]
	s_xor_b64 s[8:9], exec, s[30:31]
; %bb.213:                              ;   in Loop: Header=BB378_13 Depth=1
	v_bfe_u32 v2, v1, 16, 1
	v_add3_u32 v1, v1, v2, s42
	v_accvgpr_write_b32 a30, v1
                                        ; implicit-def: $vgpr1
; %bb.214:                              ;   in Loop: Header=BB378_13 Depth=1
	s_andn2_saveexec_b64 s[30:31], s[8:9]
; %bb.215:                              ;   in Loop: Header=BB378_13 Depth=1
	v_or_b32_e32 v2, 0x10000, v1
	v_cmp_eq_u32_sdwa s[8:9], v1, v4 src0_sel:WORD_0 src1_sel:DWORD
	v_cndmask_b32_e64 v1, v2, v1, s[8:9]
	v_accvgpr_write_b32 a30, v1
; %bb.216:                              ;   in Loop: Header=BB378_13 Depth=1
	s_or_b64 exec, exec, s[30:31]
	flat_load_dword v58, v[56:57] offset:1032
	v_mov_b32_e32 v1, 0
	s_waitcnt vmcnt(0) lgkmcnt(0)
	v_cmp_ne_u16_sdwa s[8:9], v58, v4 src0_sel:BYTE_0 src1_sel:DWORD
	s_and_saveexec_b64 s[30:31], s[8:9]
	s_cbranch_execz .LBB378_222
; %bb.217:                              ;   in Loop: Header=BB378_13 Depth=1
	v_cmp_ne_u16_sdwa s[8:9], v58, s39 src0_sel:BYTE_0 src1_sel:DWORD
	v_bfrev_b32_e32 v1, 1
	s_and_saveexec_b64 s[34:35], s[8:9]
	s_cbranch_execz .LBB378_221
; %bb.218:                              ;   in Loop: Header=BB378_13 Depth=1
	v_and_b32_e32 v2, 0x7f, v58
	v_cmp_ne_u32_e64 s[8:9], s40, v2
	v_mov_b32_e32 v1, 0x7f800001
	s_and_saveexec_b64 s[36:37], s[8:9]
	s_cbranch_execz .LBB378_220
; %bb.219:                              ;   in Loop: Header=BB378_13 Depth=1
	v_and_b32_e32 v1, 7, v58
	v_ffbh_u32_e32 v10, v1
	v_min_u32_e32 v10, 32, v10
	v_subrev_u32_e32 v12, 28, v10
	v_lshlrev_b64 v[12:13], v12, v[58:59]
	v_lshrrev_b32_e32 v5, 3, v2
	v_sub_u32_e32 v10, 29, v10
	v_and_b32_e32 v12, 7, v12
	v_cmp_gt_u32_e64 s[8:9], 8, v2
	v_cndmask_b32_e64 v2, v5, v10, s[8:9]
	v_cndmask_b32_e64 v1, v1, v12, s[8:9]
	v_lshlrev_b32_e32 v5, 24, v58
	v_bfrev_b32_e32 v3, 60
	v_lshlrev_b32_e32 v1, 20, v1
	v_and_b32_e32 v5, 0x80000000, v5
	v_lshl_add_u32 v2, v2, 23, v3
	v_or3_b32 v1, v5, v2, v1
.LBB378_220:                            ;   in Loop: Header=BB378_13 Depth=1
	s_or_b64 exec, exec, s[36:37]
.LBB378_221:                            ;   in Loop: Header=BB378_13 Depth=1
	s_or_b64 exec, exec, s[34:35]
.LBB378_222:                            ;   in Loop: Header=BB378_13 Depth=1
	s_or_b64 exec, exec, s[30:31]
	v_mul_f32_e32 v1, v26, v1
	v_and_b32_e32 v2, 0x7f800000, v1
	v_cmp_ne_u32_e64 s[8:9], s41, v2
                                        ; implicit-def: $agpr31
	s_and_saveexec_b64 s[30:31], s[8:9]
	s_xor_b64 s[8:9], exec, s[30:31]
; %bb.223:                              ;   in Loop: Header=BB378_13 Depth=1
	v_bfe_u32 v2, v1, 16, 1
	v_add3_u32 v1, v1, v2, s42
	v_accvgpr_write_b32 a31, v1
                                        ; implicit-def: $vgpr1
; %bb.224:                              ;   in Loop: Header=BB378_13 Depth=1
	s_andn2_saveexec_b64 s[30:31], s[8:9]
; %bb.225:                              ;   in Loop: Header=BB378_13 Depth=1
	v_or_b32_e32 v2, 0x10000, v1
	v_cmp_eq_u32_sdwa s[8:9], v1, v4 src0_sel:WORD_0 src1_sel:DWORD
	v_cndmask_b32_e64 v1, v2, v1, s[8:9]
	v_accvgpr_write_b32 a31, v1
; %bb.226:                              ;   in Loop: Header=BB378_13 Depth=1
	s_or_b64 exec, exec, s[30:31]
	v_lshrrev_b16_e32 v60, 8, v58
	v_cmp_ne_u16_e64 s[8:9], 0, v60
	v_mov_b32_e32 v1, 0
	s_and_saveexec_b64 s[30:31], s[8:9]
	s_cbranch_execz .LBB378_232
; %bb.227:                              ;   in Loop: Header=BB378_13 Depth=1
	v_cmp_ne_u16_e64 s[8:9], s39, v60
	v_bfrev_b32_e32 v1, 1
	s_and_saveexec_b64 s[34:35], s[8:9]
	s_cbranch_execz .LBB378_231
; %bb.228:                              ;   in Loop: Header=BB378_13 Depth=1
	v_and_b32_e32 v2, 0x7f, v60
	v_cmp_ne_u32_e64 s[8:9], s40, v2
	v_mov_b32_e32 v1, 0x7f800001
	s_and_saveexec_b64 s[36:37], s[8:9]
	s_cbranch_execz .LBB378_230
; %bb.229:                              ;   in Loop: Header=BB378_13 Depth=1
	v_and_b32_e32 v1, 7, v60
	v_ffbh_u32_e32 v10, v1
	v_min_u32_e32 v10, 32, v10
	v_subrev_u32_e32 v12, 28, v10
	v_lshlrev_b64 v[12:13], v12, v[60:61]
	v_lshrrev_b32_e32 v5, 3, v2
	v_sub_u32_e32 v10, 29, v10
	v_and_b32_e32 v12, 7, v12
	v_cmp_gt_u32_e64 s[8:9], 8, v2
	v_cndmask_b32_e64 v2, v5, v10, s[8:9]
	v_cndmask_b32_e64 v1, v1, v12, s[8:9]
	v_lshlrev_b32_e32 v5, 16, v58
	v_bfrev_b32_e32 v3, 60
	v_lshlrev_b32_e32 v1, 20, v1
	v_and_b32_e32 v5, 0x80000000, v5
	v_lshl_add_u32 v2, v2, 23, v3
	v_or3_b32 v1, v5, v2, v1
.LBB378_230:                            ;   in Loop: Header=BB378_13 Depth=1
	s_or_b64 exec, exec, s[36:37]
.LBB378_231:                            ;   in Loop: Header=BB378_13 Depth=1
	s_or_b64 exec, exec, s[34:35]
.LBB378_232:                            ;   in Loop: Header=BB378_13 Depth=1
	s_or_b64 exec, exec, s[30:31]
	v_mul_f32_e32 v1, v26, v1
	v_and_b32_e32 v2, 0x7f800000, v1
	v_cmp_ne_u32_e64 s[8:9], s41, v2
                                        ; implicit-def: $agpr32
	s_and_saveexec_b64 s[30:31], s[8:9]
	s_xor_b64 s[8:9], exec, s[30:31]
; %bb.233:                              ;   in Loop: Header=BB378_13 Depth=1
	v_bfe_u32 v2, v1, 16, 1
	v_add3_u32 v1, v1, v2, s42
	v_accvgpr_write_b32 a32, v1
                                        ; implicit-def: $vgpr1
; %bb.234:                              ;   in Loop: Header=BB378_13 Depth=1
	s_andn2_saveexec_b64 s[30:31], s[8:9]
; %bb.235:                              ;   in Loop: Header=BB378_13 Depth=1
	v_or_b32_e32 v2, 0x10000, v1
	v_cmp_eq_u32_sdwa s[8:9], v1, v4 src0_sel:WORD_0 src1_sel:DWORD
	v_cndmask_b32_e64 v1, v2, v1, s[8:9]
	v_accvgpr_write_b32 a32, v1
; %bb.236:                              ;   in Loop: Header=BB378_13 Depth=1
	s_or_b64 exec, exec, s[30:31]
	v_lshrrev_b32_e32 v60, 16, v58
	v_cmp_ne_u16_sdwa s[8:9], v60, v4 src0_sel:BYTE_0 src1_sel:DWORD
	v_mov_b32_e32 v1, 0
	s_and_saveexec_b64 s[30:31], s[8:9]
	s_cbranch_execz .LBB378_242
; %bb.237:                              ;   in Loop: Header=BB378_13 Depth=1
	v_cmp_ne_u16_sdwa s[8:9], v60, s39 src0_sel:BYTE_0 src1_sel:DWORD
	v_bfrev_b32_e32 v1, 1
	s_and_saveexec_b64 s[34:35], s[8:9]
	s_cbranch_execz .LBB378_241
; %bb.238:                              ;   in Loop: Header=BB378_13 Depth=1
	v_bfe_u32 v2, v58, 16, 7
	v_cmp_ne_u32_e64 s[8:9], s40, v2
	v_mov_b32_e32 v1, 0x7f800001
	s_and_saveexec_b64 s[36:37], s[8:9]
	s_cbranch_execz .LBB378_240
; %bb.239:                              ;   in Loop: Header=BB378_13 Depth=1
	v_and_b32_e32 v1, 7, v60
	v_ffbh_u32_e32 v10, v1
	v_min_u32_e32 v10, 32, v10
	v_subrev_u32_e32 v12, 28, v10
	v_lshlrev_b64 v[12:13], v12, v[60:61]
	v_lshrrev_b32_e32 v5, 3, v2
	v_sub_u32_e32 v10, 29, v10
	v_and_b32_e32 v12, 7, v12
	v_cmp_gt_u32_e64 s[8:9], 8, v2
	v_cndmask_b32_e64 v2, v5, v10, s[8:9]
	v_cndmask_b32_e64 v1, v1, v12, s[8:9]
	v_lshlrev_b32_e32 v5, 24, v60
	v_bfrev_b32_e32 v3, 60
	v_lshlrev_b32_e32 v1, 20, v1
	v_and_b32_e32 v5, 0x80000000, v5
	v_lshl_add_u32 v2, v2, 23, v3
	v_or3_b32 v1, v5, v2, v1
.LBB378_240:                            ;   in Loop: Header=BB378_13 Depth=1
	s_or_b64 exec, exec, s[36:37]
.LBB378_241:                            ;   in Loop: Header=BB378_13 Depth=1
	s_or_b64 exec, exec, s[34:35]
.LBB378_242:                            ;   in Loop: Header=BB378_13 Depth=1
	s_or_b64 exec, exec, s[30:31]
	v_mul_f32_e32 v1, v26, v1
	v_and_b32_e32 v2, 0x7f800000, v1
	v_cmp_ne_u32_e64 s[8:9], s41, v2
                                        ; implicit-def: $agpr28
	s_and_saveexec_b64 s[30:31], s[8:9]
	s_xor_b64 s[8:9], exec, s[30:31]
; %bb.243:                              ;   in Loop: Header=BB378_13 Depth=1
	v_bfe_u32 v2, v1, 16, 1
	v_add3_u32 v1, v1, v2, s42
	v_accvgpr_write_b32 a28, v1
                                        ; implicit-def: $vgpr1
; %bb.244:                              ;   in Loop: Header=BB378_13 Depth=1
	s_andn2_saveexec_b64 s[30:31], s[8:9]
; %bb.245:                              ;   in Loop: Header=BB378_13 Depth=1
	v_or_b32_e32 v2, 0x10000, v1
	v_cmp_eq_u32_sdwa s[8:9], v1, v4 src0_sel:WORD_0 src1_sel:DWORD
	v_cndmask_b32_e64 v1, v2, v1, s[8:9]
	v_accvgpr_write_b32 a28, v1
; %bb.246:                              ;   in Loop: Header=BB378_13 Depth=1
	s_or_b64 exec, exec, s[30:31]
	v_cmp_lt_u32_e64 s[8:9], s43, v58
	v_mov_b32_e32 v1, 0
	s_and_saveexec_b64 s[30:31], s[8:9]
	s_cbranch_execz .LBB378_252
; %bb.247:                              ;   in Loop: Header=BB378_13 Depth=1
	v_lshrrev_b32_e32 v60, 24, v58
	v_cmp_ne_u32_e64 s[8:9], s39, v60
	v_bfrev_b32_e32 v1, 1
	s_and_saveexec_b64 s[34:35], s[8:9]
	s_cbranch_execz .LBB378_251
; %bb.248:                              ;   in Loop: Header=BB378_13 Depth=1
	v_bfe_u32 v2, v58, 24, 7
	v_cmp_ne_u32_e64 s[8:9], s40, v2
	v_mov_b32_e32 v1, 0x7f800001
	s_and_saveexec_b64 s[36:37], s[8:9]
	s_cbranch_execz .LBB378_250
; %bb.249:                              ;   in Loop: Header=BB378_13 Depth=1
	v_and_b32_e32 v1, 7, v60
	v_ffbh_u32_e32 v10, v1
	v_min_u32_e32 v10, 32, v10
	v_subrev_u32_e32 v12, 28, v10
	v_lshlrev_b64 v[12:13], v12, v[60:61]
	v_lshrrev_b32_e32 v5, 3, v2
	v_sub_u32_e32 v10, 29, v10
	v_and_b32_e32 v12, 7, v12
	v_cmp_gt_u32_e64 s[8:9], 8, v2
	v_cndmask_b32_e64 v2, v5, v10, s[8:9]
	v_cndmask_b32_e64 v1, v1, v12, s[8:9]
	v_lshlrev_b32_e32 v5, 24, v60
	v_bfrev_b32_e32 v3, 60
	v_lshlrev_b32_e32 v1, 20, v1
	v_and_b32_e32 v5, 0x80000000, v5
	v_lshl_add_u32 v2, v2, 23, v3
	v_or3_b32 v1, v5, v2, v1
.LBB378_250:                            ;   in Loop: Header=BB378_13 Depth=1
	s_or_b64 exec, exec, s[36:37]
.LBB378_251:                            ;   in Loop: Header=BB378_13 Depth=1
	s_or_b64 exec, exec, s[34:35]
.LBB378_252:                            ;   in Loop: Header=BB378_13 Depth=1
	s_or_b64 exec, exec, s[30:31]
	v_mul_f32_e32 v1, v26, v1
	v_and_b32_e32 v2, 0x7f800000, v1
	v_cmp_ne_u32_e64 s[8:9], s41, v2
                                        ; implicit-def: $agpr29
	s_and_saveexec_b64 s[30:31], s[8:9]
	s_xor_b64 s[8:9], exec, s[30:31]
; %bb.253:                              ;   in Loop: Header=BB378_13 Depth=1
	v_bfe_u32 v2, v1, 16, 1
	v_add3_u32 v1, v1, v2, s42
	v_accvgpr_write_b32 a29, v1
                                        ; implicit-def: $vgpr1
; %bb.254:                              ;   in Loop: Header=BB378_13 Depth=1
	s_andn2_saveexec_b64 s[30:31], s[8:9]
; %bb.255:                              ;   in Loop: Header=BB378_13 Depth=1
	v_or_b32_e32 v2, 0x10000, v1
	v_cmp_eq_u32_sdwa s[8:9], v1, v4 src0_sel:WORD_0 src1_sel:DWORD
	v_cndmask_b32_e64 v1, v2, v1, s[8:9]
	v_accvgpr_write_b32 a29, v1
; %bb.256:                              ;   in Loop: Header=BB378_13 Depth=1
	s_or_b64 exec, exec, s[30:31]
	flat_load_dword v58, v[56:57] offset:1536
	v_mov_b32_e32 v1, 0
	s_waitcnt vmcnt(0) lgkmcnt(0)
	v_cmp_ne_u16_sdwa s[8:9], v58, v4 src0_sel:BYTE_0 src1_sel:DWORD
	s_and_saveexec_b64 s[30:31], s[8:9]
	s_cbranch_execz .LBB378_262
; %bb.257:                              ;   in Loop: Header=BB378_13 Depth=1
	v_cmp_ne_u16_sdwa s[8:9], v58, s39 src0_sel:BYTE_0 src1_sel:DWORD
	v_bfrev_b32_e32 v1, 1
	s_and_saveexec_b64 s[34:35], s[8:9]
	s_cbranch_execz .LBB378_261
; %bb.258:                              ;   in Loop: Header=BB378_13 Depth=1
	v_and_b32_e32 v2, 0x7f, v58
	v_cmp_ne_u32_e64 s[8:9], s40, v2
	v_mov_b32_e32 v1, 0x7f800001
	s_and_saveexec_b64 s[36:37], s[8:9]
	s_cbranch_execz .LBB378_260
; %bb.259:                              ;   in Loop: Header=BB378_13 Depth=1
	v_and_b32_e32 v1, 7, v58
	v_ffbh_u32_e32 v10, v1
	v_min_u32_e32 v10, 32, v10
	v_subrev_u32_e32 v12, 28, v10
	v_lshlrev_b64 v[12:13], v12, v[58:59]
	v_lshrrev_b32_e32 v5, 3, v2
	v_sub_u32_e32 v10, 29, v10
	v_and_b32_e32 v12, 7, v12
	v_cmp_gt_u32_e64 s[8:9], 8, v2
	v_cndmask_b32_e64 v2, v5, v10, s[8:9]
	v_cndmask_b32_e64 v1, v1, v12, s[8:9]
	v_lshlrev_b32_e32 v5, 24, v58
	v_bfrev_b32_e32 v3, 60
	v_lshlrev_b32_e32 v1, 20, v1
	v_and_b32_e32 v5, 0x80000000, v5
	v_lshl_add_u32 v2, v2, 23, v3
	v_or3_b32 v1, v5, v2, v1
.LBB378_260:                            ;   in Loop: Header=BB378_13 Depth=1
	s_or_b64 exec, exec, s[36:37]
.LBB378_261:                            ;   in Loop: Header=BB378_13 Depth=1
	s_or_b64 exec, exec, s[34:35]
.LBB378_262:                            ;   in Loop: Header=BB378_13 Depth=1
	s_or_b64 exec, exec, s[30:31]
	v_mul_f32_e32 v1, v26, v1
	v_and_b32_e32 v2, 0x7f800000, v1
	v_cmp_ne_u32_e64 s[8:9], s41, v2
                                        ; implicit-def: $agpr26
	s_and_saveexec_b64 s[30:31], s[8:9]
	s_xor_b64 s[8:9], exec, s[30:31]
; %bb.263:                              ;   in Loop: Header=BB378_13 Depth=1
	v_bfe_u32 v2, v1, 16, 1
	v_add3_u32 v1, v1, v2, s42
	v_accvgpr_write_b32 a26, v1
                                        ; implicit-def: $vgpr1
; %bb.264:                              ;   in Loop: Header=BB378_13 Depth=1
	s_andn2_saveexec_b64 s[30:31], s[8:9]
; %bb.265:                              ;   in Loop: Header=BB378_13 Depth=1
	v_or_b32_e32 v2, 0x10000, v1
	v_cmp_eq_u32_sdwa s[8:9], v1, v4 src0_sel:WORD_0 src1_sel:DWORD
	v_cndmask_b32_e64 v1, v2, v1, s[8:9]
	v_accvgpr_write_b32 a26, v1
; %bb.266:                              ;   in Loop: Header=BB378_13 Depth=1
	s_or_b64 exec, exec, s[30:31]
	v_lshrrev_b16_e32 v60, 8, v58
	v_cmp_ne_u16_e64 s[8:9], 0, v60
	v_mov_b32_e32 v1, 0
	s_and_saveexec_b64 s[30:31], s[8:9]
	s_cbranch_execz .LBB378_272
; %bb.267:                              ;   in Loop: Header=BB378_13 Depth=1
	v_cmp_ne_u16_e64 s[8:9], s39, v60
	v_bfrev_b32_e32 v1, 1
	s_and_saveexec_b64 s[34:35], s[8:9]
	s_cbranch_execz .LBB378_271
; %bb.268:                              ;   in Loop: Header=BB378_13 Depth=1
	v_and_b32_e32 v2, 0x7f, v60
	v_cmp_ne_u32_e64 s[8:9], s40, v2
	v_mov_b32_e32 v1, 0x7f800001
	s_and_saveexec_b64 s[36:37], s[8:9]
	s_cbranch_execz .LBB378_270
; %bb.269:                              ;   in Loop: Header=BB378_13 Depth=1
	v_and_b32_e32 v1, 7, v60
	v_ffbh_u32_e32 v10, v1
	v_min_u32_e32 v10, 32, v10
	v_subrev_u32_e32 v12, 28, v10
	v_lshlrev_b64 v[12:13], v12, v[60:61]
	v_lshrrev_b32_e32 v5, 3, v2
	v_sub_u32_e32 v10, 29, v10
	v_and_b32_e32 v12, 7, v12
	v_cmp_gt_u32_e64 s[8:9], 8, v2
	v_cndmask_b32_e64 v2, v5, v10, s[8:9]
	v_cndmask_b32_e64 v1, v1, v12, s[8:9]
	v_lshlrev_b32_e32 v5, 16, v58
	v_bfrev_b32_e32 v3, 60
	v_lshlrev_b32_e32 v1, 20, v1
	v_and_b32_e32 v5, 0x80000000, v5
	v_lshl_add_u32 v2, v2, 23, v3
	v_or3_b32 v1, v5, v2, v1
.LBB378_270:                            ;   in Loop: Header=BB378_13 Depth=1
	s_or_b64 exec, exec, s[36:37]
.LBB378_271:                            ;   in Loop: Header=BB378_13 Depth=1
	s_or_b64 exec, exec, s[34:35]
.LBB378_272:                            ;   in Loop: Header=BB378_13 Depth=1
	s_or_b64 exec, exec, s[30:31]
	v_mul_f32_e32 v1, v26, v1
	v_and_b32_e32 v2, 0x7f800000, v1
	v_cmp_ne_u32_e64 s[8:9], s41, v2
                                        ; implicit-def: $agpr36
	s_and_saveexec_b64 s[30:31], s[8:9]
	s_xor_b64 s[8:9], exec, s[30:31]
; %bb.273:                              ;   in Loop: Header=BB378_13 Depth=1
	v_bfe_u32 v2, v1, 16, 1
	v_add3_u32 v1, v1, v2, s42
	v_accvgpr_write_b32 a36, v1
                                        ; implicit-def: $vgpr1
; %bb.274:                              ;   in Loop: Header=BB378_13 Depth=1
	s_andn2_saveexec_b64 s[30:31], s[8:9]
; %bb.275:                              ;   in Loop: Header=BB378_13 Depth=1
	v_or_b32_e32 v2, 0x10000, v1
	v_cmp_eq_u32_sdwa s[8:9], v1, v4 src0_sel:WORD_0 src1_sel:DWORD
	v_cndmask_b32_e64 v1, v2, v1, s[8:9]
	v_accvgpr_write_b32 a36, v1
; %bb.276:                              ;   in Loop: Header=BB378_13 Depth=1
	s_or_b64 exec, exec, s[30:31]
	v_lshrrev_b32_e32 v60, 16, v58
	v_cmp_ne_u16_sdwa s[8:9], v60, v4 src0_sel:BYTE_0 src1_sel:DWORD
	v_mov_b32_e32 v1, 0
	s_and_saveexec_b64 s[30:31], s[8:9]
	s_cbranch_execz .LBB378_282
; %bb.277:                              ;   in Loop: Header=BB378_13 Depth=1
	v_cmp_ne_u16_sdwa s[8:9], v60, s39 src0_sel:BYTE_0 src1_sel:DWORD
	v_bfrev_b32_e32 v1, 1
	s_and_saveexec_b64 s[34:35], s[8:9]
	s_cbranch_execz .LBB378_281
; %bb.278:                              ;   in Loop: Header=BB378_13 Depth=1
	v_bfe_u32 v2, v58, 16, 7
	v_cmp_ne_u32_e64 s[8:9], s40, v2
	v_mov_b32_e32 v1, 0x7f800001
	s_and_saveexec_b64 s[36:37], s[8:9]
	s_cbranch_execz .LBB378_280
; %bb.279:                              ;   in Loop: Header=BB378_13 Depth=1
	v_and_b32_e32 v1, 7, v60
	v_ffbh_u32_e32 v10, v1
	v_min_u32_e32 v10, 32, v10
	v_subrev_u32_e32 v12, 28, v10
	v_lshlrev_b64 v[12:13], v12, v[60:61]
	v_lshrrev_b32_e32 v5, 3, v2
	v_sub_u32_e32 v10, 29, v10
	v_and_b32_e32 v12, 7, v12
	v_cmp_gt_u32_e64 s[8:9], 8, v2
	v_cndmask_b32_e64 v2, v5, v10, s[8:9]
	v_cndmask_b32_e64 v1, v1, v12, s[8:9]
	v_lshlrev_b32_e32 v5, 24, v60
	v_bfrev_b32_e32 v3, 60
	v_lshlrev_b32_e32 v1, 20, v1
	v_and_b32_e32 v5, 0x80000000, v5
	v_lshl_add_u32 v2, v2, 23, v3
	v_or3_b32 v1, v5, v2, v1
.LBB378_280:                            ;   in Loop: Header=BB378_13 Depth=1
	s_or_b64 exec, exec, s[36:37]
.LBB378_281:                            ;   in Loop: Header=BB378_13 Depth=1
	s_or_b64 exec, exec, s[34:35]
.LBB378_282:                            ;   in Loop: Header=BB378_13 Depth=1
	s_or_b64 exec, exec, s[30:31]
	v_mul_f32_e32 v1, v26, v1
	v_and_b32_e32 v2, 0x7f800000, v1
	v_cmp_ne_u32_e64 s[8:9], s41, v2
                                        ; implicit-def: $agpr15
	s_and_saveexec_b64 s[30:31], s[8:9]
	s_xor_b64 s[8:9], exec, s[30:31]
; %bb.283:                              ;   in Loop: Header=BB378_13 Depth=1
	v_bfe_u32 v2, v1, 16, 1
	v_add3_u32 v1, v1, v2, s42
	v_accvgpr_write_b32 a15, v1
                                        ; implicit-def: $vgpr1
; %bb.284:                              ;   in Loop: Header=BB378_13 Depth=1
	s_andn2_saveexec_b64 s[30:31], s[8:9]
; %bb.285:                              ;   in Loop: Header=BB378_13 Depth=1
	v_or_b32_e32 v2, 0x10000, v1
	v_cmp_eq_u32_sdwa s[8:9], v1, v4 src0_sel:WORD_0 src1_sel:DWORD
	v_cndmask_b32_e64 v1, v2, v1, s[8:9]
	v_accvgpr_write_b32 a15, v1
; %bb.286:                              ;   in Loop: Header=BB378_13 Depth=1
	s_or_b64 exec, exec, s[30:31]
	v_cmp_lt_u32_e64 s[8:9], s43, v58
	v_mov_b32_e32 v1, 0
	s_and_saveexec_b64 s[30:31], s[8:9]
	s_cbranch_execz .LBB378_292
; %bb.287:                              ;   in Loop: Header=BB378_13 Depth=1
	v_lshrrev_b32_e32 v60, 24, v58
	v_cmp_ne_u32_e64 s[8:9], s39, v60
	v_bfrev_b32_e32 v1, 1
	s_and_saveexec_b64 s[34:35], s[8:9]
	s_cbranch_execz .LBB378_291
; %bb.288:                              ;   in Loop: Header=BB378_13 Depth=1
	v_bfe_u32 v2, v58, 24, 7
	v_cmp_ne_u32_e64 s[8:9], s40, v2
	v_mov_b32_e32 v1, 0x7f800001
	s_and_saveexec_b64 s[36:37], s[8:9]
	s_cbranch_execz .LBB378_290
; %bb.289:                              ;   in Loop: Header=BB378_13 Depth=1
	v_and_b32_e32 v1, 7, v60
	v_ffbh_u32_e32 v10, v1
	v_min_u32_e32 v10, 32, v10
	v_subrev_u32_e32 v12, 28, v10
	v_lshlrev_b64 v[12:13], v12, v[60:61]
	v_lshrrev_b32_e32 v5, 3, v2
	v_sub_u32_e32 v10, 29, v10
	v_and_b32_e32 v12, 7, v12
	v_cmp_gt_u32_e64 s[8:9], 8, v2
	v_cndmask_b32_e64 v2, v5, v10, s[8:9]
	v_cndmask_b32_e64 v1, v1, v12, s[8:9]
	v_lshlrev_b32_e32 v5, 24, v60
	v_bfrev_b32_e32 v3, 60
	v_lshlrev_b32_e32 v1, 20, v1
	v_and_b32_e32 v5, 0x80000000, v5
	v_lshl_add_u32 v2, v2, 23, v3
	v_or3_b32 v1, v5, v2, v1
.LBB378_290:                            ;   in Loop: Header=BB378_13 Depth=1
	s_or_b64 exec, exec, s[36:37]
.LBB378_291:                            ;   in Loop: Header=BB378_13 Depth=1
	s_or_b64 exec, exec, s[34:35]
.LBB378_292:                            ;   in Loop: Header=BB378_13 Depth=1
	s_or_b64 exec, exec, s[30:31]
	v_mul_f32_e32 v1, v26, v1
	v_and_b32_e32 v2, 0x7f800000, v1
	v_cmp_ne_u32_e64 s[8:9], s41, v2
                                        ; implicit-def: $agpr1
	s_and_saveexec_b64 s[30:31], s[8:9]
	s_xor_b64 s[8:9], exec, s[30:31]
; %bb.293:                              ;   in Loop: Header=BB378_13 Depth=1
	v_bfe_u32 v2, v1, 16, 1
	v_add3_u32 v1, v1, v2, s42
	v_accvgpr_write_b32 a1, v1
                                        ; implicit-def: $vgpr1
; %bb.294:                              ;   in Loop: Header=BB378_13 Depth=1
	s_andn2_saveexec_b64 s[30:31], s[8:9]
; %bb.295:                              ;   in Loop: Header=BB378_13 Depth=1
	v_or_b32_e32 v2, 0x10000, v1
	v_cmp_eq_u32_sdwa s[8:9], v1, v4 src0_sel:WORD_0 src1_sel:DWORD
	v_cndmask_b32_e64 v1, v2, v1, s[8:9]
	v_accvgpr_write_b32 a1, v1
; %bb.296:                              ;   in Loop: Header=BB378_13 Depth=1
	s_or_b64 exec, exec, s[30:31]
	flat_load_dword v58, v[56:57] offset:1544
	v_mov_b32_e32 v1, 0
	s_waitcnt vmcnt(0) lgkmcnt(0)
	v_cmp_ne_u16_sdwa s[8:9], v58, v4 src0_sel:BYTE_0 src1_sel:DWORD
	s_and_saveexec_b64 s[30:31], s[8:9]
	s_cbranch_execz .LBB378_302
; %bb.297:                              ;   in Loop: Header=BB378_13 Depth=1
	v_cmp_ne_u16_sdwa s[8:9], v58, s39 src0_sel:BYTE_0 src1_sel:DWORD
	v_bfrev_b32_e32 v1, 1
	s_and_saveexec_b64 s[34:35], s[8:9]
	s_cbranch_execz .LBB378_301
; %bb.298:                              ;   in Loop: Header=BB378_13 Depth=1
	v_and_b32_e32 v2, 0x7f, v58
	v_cmp_ne_u32_e64 s[8:9], s40, v2
	v_mov_b32_e32 v1, 0x7f800001
	s_and_saveexec_b64 s[36:37], s[8:9]
	s_cbranch_execz .LBB378_300
; %bb.299:                              ;   in Loop: Header=BB378_13 Depth=1
	v_and_b32_e32 v1, 7, v58
	v_ffbh_u32_e32 v10, v1
	v_min_u32_e32 v10, 32, v10
	v_subrev_u32_e32 v12, 28, v10
	v_lshlrev_b64 v[12:13], v12, v[58:59]
	v_lshrrev_b32_e32 v5, 3, v2
	v_sub_u32_e32 v10, 29, v10
	v_and_b32_e32 v12, 7, v12
	v_cmp_gt_u32_e64 s[8:9], 8, v2
	v_cndmask_b32_e64 v2, v5, v10, s[8:9]
	v_cndmask_b32_e64 v1, v1, v12, s[8:9]
	v_lshlrev_b32_e32 v5, 24, v58
	v_bfrev_b32_e32 v3, 60
	v_lshlrev_b32_e32 v1, 20, v1
	v_and_b32_e32 v5, 0x80000000, v5
	v_lshl_add_u32 v2, v2, 23, v3
	v_or3_b32 v1, v5, v2, v1
.LBB378_300:                            ;   in Loop: Header=BB378_13 Depth=1
	s_or_b64 exec, exec, s[36:37]
.LBB378_301:                            ;   in Loop: Header=BB378_13 Depth=1
	s_or_b64 exec, exec, s[34:35]
.LBB378_302:                            ;   in Loop: Header=BB378_13 Depth=1
	s_or_b64 exec, exec, s[30:31]
	v_mul_f32_e32 v1, v26, v1
	v_and_b32_e32 v2, 0x7f800000, v1
	v_cmp_ne_u32_e64 s[8:9], s41, v2
                                        ; implicit-def: $agpr0
	s_and_saveexec_b64 s[30:31], s[8:9]
	s_xor_b64 s[8:9], exec, s[30:31]
; %bb.303:                              ;   in Loop: Header=BB378_13 Depth=1
	v_bfe_u32 v2, v1, 16, 1
	v_add3_u32 v1, v1, v2, s42
	v_accvgpr_write_b32 a0, v1
                                        ; implicit-def: $vgpr1
; %bb.304:                              ;   in Loop: Header=BB378_13 Depth=1
	s_andn2_saveexec_b64 s[30:31], s[8:9]
; %bb.305:                              ;   in Loop: Header=BB378_13 Depth=1
	v_or_b32_e32 v2, 0x10000, v1
	v_cmp_eq_u32_sdwa s[8:9], v1, v4 src0_sel:WORD_0 src1_sel:DWORD
	v_cndmask_b32_e64 v1, v2, v1, s[8:9]
	v_accvgpr_write_b32 a0, v1
; %bb.306:                              ;   in Loop: Header=BB378_13 Depth=1
	s_or_b64 exec, exec, s[30:31]
	v_lshrrev_b16_e32 v60, 8, v58
	v_cmp_ne_u16_e64 s[8:9], 0, v60
	v_mov_b32_e32 v1, 0
	s_and_saveexec_b64 s[30:31], s[8:9]
	s_cbranch_execz .LBB378_312
; %bb.307:                              ;   in Loop: Header=BB378_13 Depth=1
	v_cmp_ne_u16_e64 s[8:9], s39, v60
	v_bfrev_b32_e32 v1, 1
	s_and_saveexec_b64 s[34:35], s[8:9]
	s_cbranch_execz .LBB378_311
; %bb.308:                              ;   in Loop: Header=BB378_13 Depth=1
	v_and_b32_e32 v2, 0x7f, v60
	v_cmp_ne_u32_e64 s[8:9], s40, v2
	v_mov_b32_e32 v1, 0x7f800001
	s_and_saveexec_b64 s[36:37], s[8:9]
	s_cbranch_execz .LBB378_310
; %bb.309:                              ;   in Loop: Header=BB378_13 Depth=1
	v_and_b32_e32 v1, 7, v60
	v_ffbh_u32_e32 v10, v1
	v_min_u32_e32 v10, 32, v10
	v_subrev_u32_e32 v12, 28, v10
	v_lshlrev_b64 v[12:13], v12, v[60:61]
	v_lshrrev_b32_e32 v5, 3, v2
	v_sub_u32_e32 v10, 29, v10
	v_and_b32_e32 v12, 7, v12
	v_cmp_gt_u32_e64 s[8:9], 8, v2
	v_cndmask_b32_e64 v2, v5, v10, s[8:9]
	v_cndmask_b32_e64 v1, v1, v12, s[8:9]
	v_lshlrev_b32_e32 v5, 16, v58
	v_bfrev_b32_e32 v3, 60
	v_lshlrev_b32_e32 v1, 20, v1
	v_and_b32_e32 v5, 0x80000000, v5
	v_lshl_add_u32 v2, v2, 23, v3
	v_or3_b32 v1, v5, v2, v1
.LBB378_310:                            ;   in Loop: Header=BB378_13 Depth=1
	s_or_b64 exec, exec, s[36:37]
.LBB378_311:                            ;   in Loop: Header=BB378_13 Depth=1
	s_or_b64 exec, exec, s[34:35]
.LBB378_312:                            ;   in Loop: Header=BB378_13 Depth=1
	s_or_b64 exec, exec, s[30:31]
	v_mul_f32_e32 v1, v26, v1
	v_and_b32_e32 v2, 0x7f800000, v1
	v_cmp_ne_u32_e64 s[8:9], s41, v2
                                        ; implicit-def: $agpr23
	s_and_saveexec_b64 s[30:31], s[8:9]
	s_xor_b64 s[8:9], exec, s[30:31]
; %bb.313:                              ;   in Loop: Header=BB378_13 Depth=1
	v_bfe_u32 v2, v1, 16, 1
	v_add3_u32 v1, v1, v2, s42
	v_accvgpr_write_b32 a23, v1
                                        ; implicit-def: $vgpr1
; %bb.314:                              ;   in Loop: Header=BB378_13 Depth=1
	s_andn2_saveexec_b64 s[30:31], s[8:9]
; %bb.315:                              ;   in Loop: Header=BB378_13 Depth=1
	v_or_b32_e32 v2, 0x10000, v1
	v_cmp_eq_u32_sdwa s[8:9], v1, v4 src0_sel:WORD_0 src1_sel:DWORD
	v_cndmask_b32_e64 v1, v2, v1, s[8:9]
	v_accvgpr_write_b32 a23, v1
; %bb.316:                              ;   in Loop: Header=BB378_13 Depth=1
	s_or_b64 exec, exec, s[30:31]
	v_lshrrev_b32_e32 v60, 16, v58
	v_cmp_ne_u16_sdwa s[8:9], v60, v4 src0_sel:BYTE_0 src1_sel:DWORD
	v_mov_b32_e32 v1, 0
	s_and_saveexec_b64 s[30:31], s[8:9]
	s_cbranch_execz .LBB378_322
; %bb.317:                              ;   in Loop: Header=BB378_13 Depth=1
	v_cmp_ne_u16_sdwa s[8:9], v60, s39 src0_sel:BYTE_0 src1_sel:DWORD
	v_bfrev_b32_e32 v1, 1
	s_and_saveexec_b64 s[34:35], s[8:9]
	s_cbranch_execz .LBB378_321
; %bb.318:                              ;   in Loop: Header=BB378_13 Depth=1
	v_bfe_u32 v2, v58, 16, 7
	v_cmp_ne_u32_e64 s[8:9], s40, v2
	v_mov_b32_e32 v1, 0x7f800001
	s_and_saveexec_b64 s[36:37], s[8:9]
	s_cbranch_execz .LBB378_320
; %bb.319:                              ;   in Loop: Header=BB378_13 Depth=1
	v_and_b32_e32 v1, 7, v60
	v_ffbh_u32_e32 v10, v1
	v_min_u32_e32 v10, 32, v10
	v_subrev_u32_e32 v12, 28, v10
	v_lshlrev_b64 v[12:13], v12, v[60:61]
	v_lshrrev_b32_e32 v5, 3, v2
	v_sub_u32_e32 v10, 29, v10
	v_and_b32_e32 v12, 7, v12
	v_cmp_gt_u32_e64 s[8:9], 8, v2
	v_cndmask_b32_e64 v2, v5, v10, s[8:9]
	v_cndmask_b32_e64 v1, v1, v12, s[8:9]
	v_lshlrev_b32_e32 v5, 24, v60
	v_bfrev_b32_e32 v3, 60
	v_lshlrev_b32_e32 v1, 20, v1
	v_and_b32_e32 v5, 0x80000000, v5
	v_lshl_add_u32 v2, v2, 23, v3
	v_or3_b32 v1, v5, v2, v1
.LBB378_320:                            ;   in Loop: Header=BB378_13 Depth=1
	s_or_b64 exec, exec, s[36:37]
.LBB378_321:                            ;   in Loop: Header=BB378_13 Depth=1
	s_or_b64 exec, exec, s[34:35]
.LBB378_322:                            ;   in Loop: Header=BB378_13 Depth=1
	s_or_b64 exec, exec, s[30:31]
	v_mul_f32_e32 v1, v26, v1
	v_and_b32_e32 v2, 0x7f800000, v1
	v_cmp_ne_u32_e64 s[8:9], s41, v2
                                        ; implicit-def: $agpr24
	s_and_saveexec_b64 s[30:31], s[8:9]
	s_xor_b64 s[8:9], exec, s[30:31]
; %bb.323:                              ;   in Loop: Header=BB378_13 Depth=1
	v_bfe_u32 v2, v1, 16, 1
	v_add3_u32 v1, v1, v2, s42
	v_accvgpr_write_b32 a24, v1
                                        ; implicit-def: $vgpr1
; %bb.324:                              ;   in Loop: Header=BB378_13 Depth=1
	s_andn2_saveexec_b64 s[30:31], s[8:9]
; %bb.325:                              ;   in Loop: Header=BB378_13 Depth=1
	v_or_b32_e32 v2, 0x10000, v1
	v_cmp_eq_u32_sdwa s[8:9], v1, v4 src0_sel:WORD_0 src1_sel:DWORD
	v_cndmask_b32_e64 v1, v2, v1, s[8:9]
	v_accvgpr_write_b32 a24, v1
; %bb.326:                              ;   in Loop: Header=BB378_13 Depth=1
	s_or_b64 exec, exec, s[30:31]
	v_cmp_lt_u32_e64 s[8:9], s43, v58
	v_mov_b32_e32 v1, 0
	s_and_saveexec_b64 s[30:31], s[8:9]
	s_cbranch_execz .LBB378_332
; %bb.327:                              ;   in Loop: Header=BB378_13 Depth=1
	v_lshrrev_b32_e32 v60, 24, v58
	v_cmp_ne_u32_e64 s[8:9], s39, v60
	v_bfrev_b32_e32 v1, 1
	s_and_saveexec_b64 s[34:35], s[8:9]
	s_cbranch_execz .LBB378_331
; %bb.328:                              ;   in Loop: Header=BB378_13 Depth=1
	v_bfe_u32 v2, v58, 24, 7
	v_cmp_ne_u32_e64 s[8:9], s40, v2
	v_mov_b32_e32 v1, 0x7f800001
	s_and_saveexec_b64 s[36:37], s[8:9]
	s_cbranch_execz .LBB378_330
; %bb.329:                              ;   in Loop: Header=BB378_13 Depth=1
	v_and_b32_e32 v1, 7, v60
	v_ffbh_u32_e32 v10, v1
	v_min_u32_e32 v10, 32, v10
	v_subrev_u32_e32 v12, 28, v10
	v_lshlrev_b64 v[12:13], v12, v[60:61]
	v_lshrrev_b32_e32 v5, 3, v2
	v_sub_u32_e32 v10, 29, v10
	v_and_b32_e32 v12, 7, v12
	v_cmp_gt_u32_e64 s[8:9], 8, v2
	v_cndmask_b32_e64 v2, v5, v10, s[8:9]
	v_cndmask_b32_e64 v1, v1, v12, s[8:9]
	v_lshlrev_b32_e32 v5, 24, v60
	v_bfrev_b32_e32 v3, 60
	v_lshlrev_b32_e32 v1, 20, v1
	v_and_b32_e32 v5, 0x80000000, v5
	v_lshl_add_u32 v2, v2, 23, v3
	v_or3_b32 v1, v5, v2, v1
.LBB378_330:                            ;   in Loop: Header=BB378_13 Depth=1
	s_or_b64 exec, exec, s[36:37]
.LBB378_331:                            ;   in Loop: Header=BB378_13 Depth=1
	s_or_b64 exec, exec, s[34:35]
.LBB378_332:                            ;   in Loop: Header=BB378_13 Depth=1
	s_or_b64 exec, exec, s[30:31]
	v_mul_f32_e32 v1, v26, v1
	v_and_b32_e32 v2, 0x7f800000, v1
	v_cmp_ne_u32_e64 s[8:9], s41, v2
                                        ; implicit-def: $agpr21
	s_and_saveexec_b64 s[30:31], s[8:9]
	s_xor_b64 s[8:9], exec, s[30:31]
; %bb.333:                              ;   in Loop: Header=BB378_13 Depth=1
	v_bfe_u32 v2, v1, 16, 1
	v_add3_u32 v1, v1, v2, s42
	v_accvgpr_write_b32 a21, v1
                                        ; implicit-def: $vgpr1
; %bb.334:                              ;   in Loop: Header=BB378_13 Depth=1
	s_andn2_saveexec_b64 s[30:31], s[8:9]
; %bb.335:                              ;   in Loop: Header=BB378_13 Depth=1
	v_or_b32_e32 v2, 0x10000, v1
	v_cmp_eq_u32_sdwa s[8:9], v1, v4 src0_sel:WORD_0 src1_sel:DWORD
	v_cndmask_b32_e64 v1, v2, v1, s[8:9]
	v_accvgpr_write_b32 a21, v1
; %bb.336:                              ;   in Loop: Header=BB378_13 Depth=1
	s_or_b64 exec, exec, s[30:31]
	flat_load_dword v58, v[56:57] offset:2048
	v_mov_b32_e32 v1, 0
	s_waitcnt vmcnt(0) lgkmcnt(0)
	v_cmp_ne_u16_sdwa s[8:9], v58, v4 src0_sel:BYTE_0 src1_sel:DWORD
	s_and_saveexec_b64 s[30:31], s[8:9]
	s_cbranch_execz .LBB378_342
; %bb.337:                              ;   in Loop: Header=BB378_13 Depth=1
	v_cmp_ne_u16_sdwa s[8:9], v58, s39 src0_sel:BYTE_0 src1_sel:DWORD
	v_bfrev_b32_e32 v1, 1
	s_and_saveexec_b64 s[34:35], s[8:9]
	s_cbranch_execz .LBB378_341
; %bb.338:                              ;   in Loop: Header=BB378_13 Depth=1
	v_and_b32_e32 v2, 0x7f, v58
	v_cmp_ne_u32_e64 s[8:9], s40, v2
	v_mov_b32_e32 v1, 0x7f800001
	s_and_saveexec_b64 s[36:37], s[8:9]
	s_cbranch_execz .LBB378_340
; %bb.339:                              ;   in Loop: Header=BB378_13 Depth=1
	v_and_b32_e32 v1, 7, v58
	v_ffbh_u32_e32 v10, v1
	v_min_u32_e32 v10, 32, v10
	v_subrev_u32_e32 v12, 28, v10
	v_lshlrev_b64 v[12:13], v12, v[58:59]
	v_lshrrev_b32_e32 v5, 3, v2
	v_sub_u32_e32 v10, 29, v10
	v_and_b32_e32 v12, 7, v12
	v_cmp_gt_u32_e64 s[8:9], 8, v2
	v_cndmask_b32_e64 v2, v5, v10, s[8:9]
	v_cndmask_b32_e64 v1, v1, v12, s[8:9]
	v_lshlrev_b32_e32 v5, 24, v58
	v_bfrev_b32_e32 v3, 60
	v_lshlrev_b32_e32 v1, 20, v1
	v_and_b32_e32 v5, 0x80000000, v5
	v_lshl_add_u32 v2, v2, 23, v3
	v_or3_b32 v1, v5, v2, v1
.LBB378_340:                            ;   in Loop: Header=BB378_13 Depth=1
	s_or_b64 exec, exec, s[36:37]
.LBB378_341:                            ;   in Loop: Header=BB378_13 Depth=1
	s_or_b64 exec, exec, s[34:35]
.LBB378_342:                            ;   in Loop: Header=BB378_13 Depth=1
	s_or_b64 exec, exec, s[30:31]
	v_mul_f32_e32 v1, v26, v1
	v_and_b32_e32 v2, 0x7f800000, v1
	v_cmp_ne_u32_e64 s[8:9], s41, v2
                                        ; implicit-def: $agpr22
	s_and_saveexec_b64 s[30:31], s[8:9]
	s_xor_b64 s[8:9], exec, s[30:31]
; %bb.343:                              ;   in Loop: Header=BB378_13 Depth=1
	v_bfe_u32 v2, v1, 16, 1
	v_add3_u32 v1, v1, v2, s42
	v_accvgpr_write_b32 a22, v1
                                        ; implicit-def: $vgpr1
; %bb.344:                              ;   in Loop: Header=BB378_13 Depth=1
	s_andn2_saveexec_b64 s[30:31], s[8:9]
; %bb.345:                              ;   in Loop: Header=BB378_13 Depth=1
	v_or_b32_e32 v2, 0x10000, v1
	v_cmp_eq_u32_sdwa s[8:9], v1, v4 src0_sel:WORD_0 src1_sel:DWORD
	v_cndmask_b32_e64 v1, v2, v1, s[8:9]
	v_accvgpr_write_b32 a22, v1
; %bb.346:                              ;   in Loop: Header=BB378_13 Depth=1
	s_or_b64 exec, exec, s[30:31]
	v_lshrrev_b16_e32 v60, 8, v58
	v_cmp_ne_u16_e64 s[8:9], 0, v60
	v_mov_b32_e32 v1, 0
	s_and_saveexec_b64 s[30:31], s[8:9]
	s_cbranch_execz .LBB378_352
; %bb.347:                              ;   in Loop: Header=BB378_13 Depth=1
	v_cmp_ne_u16_e64 s[8:9], s39, v60
	v_bfrev_b32_e32 v1, 1
	s_and_saveexec_b64 s[34:35], s[8:9]
	s_cbranch_execz .LBB378_351
; %bb.348:                              ;   in Loop: Header=BB378_13 Depth=1
	v_and_b32_e32 v2, 0x7f, v60
	v_cmp_ne_u32_e64 s[8:9], s40, v2
	v_mov_b32_e32 v1, 0x7f800001
	s_and_saveexec_b64 s[36:37], s[8:9]
	s_cbranch_execz .LBB378_350
; %bb.349:                              ;   in Loop: Header=BB378_13 Depth=1
	v_and_b32_e32 v1, 7, v60
	v_ffbh_u32_e32 v10, v1
	v_min_u32_e32 v10, 32, v10
	v_subrev_u32_e32 v12, 28, v10
	v_lshlrev_b64 v[12:13], v12, v[60:61]
	v_lshrrev_b32_e32 v5, 3, v2
	v_sub_u32_e32 v10, 29, v10
	v_and_b32_e32 v12, 7, v12
	v_cmp_gt_u32_e64 s[8:9], 8, v2
	v_cndmask_b32_e64 v2, v5, v10, s[8:9]
	v_cndmask_b32_e64 v1, v1, v12, s[8:9]
	v_lshlrev_b32_e32 v5, 16, v58
	v_bfrev_b32_e32 v3, 60
	v_lshlrev_b32_e32 v1, 20, v1
	v_and_b32_e32 v5, 0x80000000, v5
	v_lshl_add_u32 v2, v2, 23, v3
	v_or3_b32 v1, v5, v2, v1
.LBB378_350:                            ;   in Loop: Header=BB378_13 Depth=1
	s_or_b64 exec, exec, s[36:37]
.LBB378_351:                            ;   in Loop: Header=BB378_13 Depth=1
	s_or_b64 exec, exec, s[34:35]
.LBB378_352:                            ;   in Loop: Header=BB378_13 Depth=1
	s_or_b64 exec, exec, s[30:31]
	v_mul_f32_e32 v1, v26, v1
	v_and_b32_e32 v2, 0x7f800000, v1
	v_cmp_ne_u32_e64 s[8:9], s41, v2
                                        ; implicit-def: $agpr19
	s_and_saveexec_b64 s[30:31], s[8:9]
	s_xor_b64 s[8:9], exec, s[30:31]
; %bb.353:                              ;   in Loop: Header=BB378_13 Depth=1
	v_bfe_u32 v2, v1, 16, 1
	v_add3_u32 v1, v1, v2, s42
	v_accvgpr_write_b32 a19, v1
                                        ; implicit-def: $vgpr1
; %bb.354:                              ;   in Loop: Header=BB378_13 Depth=1
	s_andn2_saveexec_b64 s[30:31], s[8:9]
; %bb.355:                              ;   in Loop: Header=BB378_13 Depth=1
	v_or_b32_e32 v2, 0x10000, v1
	v_cmp_eq_u32_sdwa s[8:9], v1, v4 src0_sel:WORD_0 src1_sel:DWORD
	v_cndmask_b32_e64 v1, v2, v1, s[8:9]
	v_accvgpr_write_b32 a19, v1
; %bb.356:                              ;   in Loop: Header=BB378_13 Depth=1
	s_or_b64 exec, exec, s[30:31]
	v_lshrrev_b32_e32 v60, 16, v58
	v_cmp_ne_u16_sdwa s[8:9], v60, v4 src0_sel:BYTE_0 src1_sel:DWORD
	v_mov_b32_e32 v1, 0
	s_and_saveexec_b64 s[30:31], s[8:9]
	s_cbranch_execz .LBB378_362
; %bb.357:                              ;   in Loop: Header=BB378_13 Depth=1
	v_cmp_ne_u16_sdwa s[8:9], v60, s39 src0_sel:BYTE_0 src1_sel:DWORD
	v_bfrev_b32_e32 v1, 1
	s_and_saveexec_b64 s[34:35], s[8:9]
	s_cbranch_execz .LBB378_361
; %bb.358:                              ;   in Loop: Header=BB378_13 Depth=1
	v_bfe_u32 v2, v58, 16, 7
	v_cmp_ne_u32_e64 s[8:9], s40, v2
	v_mov_b32_e32 v1, 0x7f800001
	s_and_saveexec_b64 s[36:37], s[8:9]
	s_cbranch_execz .LBB378_360
; %bb.359:                              ;   in Loop: Header=BB378_13 Depth=1
	v_and_b32_e32 v1, 7, v60
	v_ffbh_u32_e32 v10, v1
	v_min_u32_e32 v10, 32, v10
	v_subrev_u32_e32 v12, 28, v10
	v_lshlrev_b64 v[12:13], v12, v[60:61]
	v_lshrrev_b32_e32 v5, 3, v2
	v_sub_u32_e32 v10, 29, v10
	v_and_b32_e32 v12, 7, v12
	v_cmp_gt_u32_e64 s[8:9], 8, v2
	v_cndmask_b32_e64 v2, v5, v10, s[8:9]
	v_cndmask_b32_e64 v1, v1, v12, s[8:9]
	v_lshlrev_b32_e32 v5, 24, v60
	v_bfrev_b32_e32 v3, 60
	v_lshlrev_b32_e32 v1, 20, v1
	v_and_b32_e32 v5, 0x80000000, v5
	v_lshl_add_u32 v2, v2, 23, v3
	v_or3_b32 v1, v5, v2, v1
.LBB378_360:                            ;   in Loop: Header=BB378_13 Depth=1
	s_or_b64 exec, exec, s[36:37]
.LBB378_361:                            ;   in Loop: Header=BB378_13 Depth=1
	s_or_b64 exec, exec, s[34:35]
.LBB378_362:                            ;   in Loop: Header=BB378_13 Depth=1
	s_or_b64 exec, exec, s[30:31]
	v_mul_f32_e32 v1, v26, v1
	v_and_b32_e32 v2, 0x7f800000, v1
	v_cmp_ne_u32_e64 s[8:9], s41, v2
                                        ; implicit-def: $agpr20
	s_and_saveexec_b64 s[30:31], s[8:9]
	s_xor_b64 s[8:9], exec, s[30:31]
; %bb.363:                              ;   in Loop: Header=BB378_13 Depth=1
	v_bfe_u32 v2, v1, 16, 1
	v_add3_u32 v1, v1, v2, s42
	v_accvgpr_write_b32 a20, v1
                                        ; implicit-def: $vgpr1
; %bb.364:                              ;   in Loop: Header=BB378_13 Depth=1
	s_andn2_saveexec_b64 s[30:31], s[8:9]
; %bb.365:                              ;   in Loop: Header=BB378_13 Depth=1
	v_or_b32_e32 v2, 0x10000, v1
	v_cmp_eq_u32_sdwa s[8:9], v1, v4 src0_sel:WORD_0 src1_sel:DWORD
	v_cndmask_b32_e64 v1, v2, v1, s[8:9]
	v_accvgpr_write_b32 a20, v1
; %bb.366:                              ;   in Loop: Header=BB378_13 Depth=1
	s_or_b64 exec, exec, s[30:31]
	v_cmp_lt_u32_e64 s[8:9], s43, v58
	v_mov_b32_e32 v1, 0
	s_and_saveexec_b64 s[30:31], s[8:9]
	s_cbranch_execz .LBB378_372
; %bb.367:                              ;   in Loop: Header=BB378_13 Depth=1
	v_lshrrev_b32_e32 v60, 24, v58
	v_cmp_ne_u32_e64 s[8:9], s39, v60
	v_bfrev_b32_e32 v1, 1
	s_and_saveexec_b64 s[34:35], s[8:9]
	s_cbranch_execz .LBB378_371
; %bb.368:                              ;   in Loop: Header=BB378_13 Depth=1
	v_bfe_u32 v2, v58, 24, 7
	v_cmp_ne_u32_e64 s[8:9], s40, v2
	v_mov_b32_e32 v1, 0x7f800001
	s_and_saveexec_b64 s[36:37], s[8:9]
	s_cbranch_execz .LBB378_370
; %bb.369:                              ;   in Loop: Header=BB378_13 Depth=1
	v_and_b32_e32 v1, 7, v60
	v_ffbh_u32_e32 v12, v1
	v_min_u32_e32 v14, 32, v12
	v_subrev_u32_e32 v12, 28, v14
	v_lshlrev_b64 v[12:13], v12, v[60:61]
	v_lshrrev_b32_e32 v5, 3, v2
	v_sub_u32_e32 v13, 29, v14
	v_and_b32_e32 v12, 7, v12
	v_cmp_gt_u32_e64 s[8:9], 8, v2
	v_cndmask_b32_e64 v2, v5, v13, s[8:9]
	v_cndmask_b32_e64 v1, v1, v12, s[8:9]
	v_lshlrev_b32_e32 v5, 24, v60
	v_bfrev_b32_e32 v3, 60
	v_lshlrev_b32_e32 v1, 20, v1
	v_and_b32_e32 v5, 0x80000000, v5
	v_lshl_add_u32 v2, v2, 23, v3
	v_or3_b32 v1, v5, v2, v1
.LBB378_370:                            ;   in Loop: Header=BB378_13 Depth=1
	s_or_b64 exec, exec, s[36:37]
.LBB378_371:                            ;   in Loop: Header=BB378_13 Depth=1
	s_or_b64 exec, exec, s[34:35]
.LBB378_372:                            ;   in Loop: Header=BB378_13 Depth=1
	s_or_b64 exec, exec, s[30:31]
	v_mul_f32_e32 v1, v26, v1
	v_and_b32_e32 v2, 0x7f800000, v1
	v_cmp_ne_u32_e64 s[8:9], s41, v2
                                        ; implicit-def: $agpr18
	s_and_saveexec_b64 s[30:31], s[8:9]
	s_xor_b64 s[8:9], exec, s[30:31]
; %bb.373:                              ;   in Loop: Header=BB378_13 Depth=1
	v_bfe_u32 v2, v1, 16, 1
	v_add3_u32 v1, v1, v2, s42
	v_accvgpr_write_b32 a18, v1
                                        ; implicit-def: $vgpr1
; %bb.374:                              ;   in Loop: Header=BB378_13 Depth=1
	s_andn2_saveexec_b64 s[30:31], s[8:9]
; %bb.375:                              ;   in Loop: Header=BB378_13 Depth=1
	v_or_b32_e32 v2, 0x10000, v1
	v_cmp_eq_u32_sdwa s[8:9], v1, v4 src0_sel:WORD_0 src1_sel:DWORD
	v_cndmask_b32_e64 v1, v2, v1, s[8:9]
	v_accvgpr_write_b32 a18, v1
; %bb.376:                              ;   in Loop: Header=BB378_13 Depth=1
	s_or_b64 exec, exec, s[30:31]
	flat_load_dword v58, v[56:57] offset:2056
	v_mov_b32_e32 v1, 0
	s_waitcnt vmcnt(0) lgkmcnt(0)
	v_cmp_ne_u16_sdwa s[8:9], v58, v4 src0_sel:BYTE_0 src1_sel:DWORD
	s_and_saveexec_b64 s[30:31], s[8:9]
	s_cbranch_execz .LBB378_382
; %bb.377:                              ;   in Loop: Header=BB378_13 Depth=1
	v_cmp_ne_u16_sdwa s[8:9], v58, s39 src0_sel:BYTE_0 src1_sel:DWORD
	v_bfrev_b32_e32 v1, 1
	s_and_saveexec_b64 s[34:35], s[8:9]
	s_cbranch_execz .LBB378_381
; %bb.378:                              ;   in Loop: Header=BB378_13 Depth=1
	v_and_b32_e32 v2, 0x7f, v58
	v_cmp_ne_u32_e64 s[8:9], s40, v2
	v_mov_b32_e32 v1, 0x7f800001
	s_and_saveexec_b64 s[36:37], s[8:9]
	s_cbranch_execz .LBB378_380
; %bb.379:                              ;   in Loop: Header=BB378_13 Depth=1
	v_and_b32_e32 v1, 7, v58
	v_ffbh_u32_e32 v12, v1
	v_min_u32_e32 v14, 32, v12
	v_subrev_u32_e32 v12, 28, v14
	v_lshlrev_b64 v[12:13], v12, v[58:59]
	v_lshrrev_b32_e32 v5, 3, v2
	v_sub_u32_e32 v13, 29, v14
	v_and_b32_e32 v12, 7, v12
	v_cmp_gt_u32_e64 s[8:9], 8, v2
	v_cndmask_b32_e64 v2, v5, v13, s[8:9]
	v_cndmask_b32_e64 v1, v1, v12, s[8:9]
	v_lshlrev_b32_e32 v5, 24, v58
	v_bfrev_b32_e32 v3, 60
	v_lshlrev_b32_e32 v1, 20, v1
	v_and_b32_e32 v5, 0x80000000, v5
	v_lshl_add_u32 v2, v2, 23, v3
	v_or3_b32 v1, v5, v2, v1
.LBB378_380:                            ;   in Loop: Header=BB378_13 Depth=1
	s_or_b64 exec, exec, s[36:37]
.LBB378_381:                            ;   in Loop: Header=BB378_13 Depth=1
	s_or_b64 exec, exec, s[34:35]
.LBB378_382:                            ;   in Loop: Header=BB378_13 Depth=1
	s_or_b64 exec, exec, s[30:31]
	v_mul_f32_e32 v1, v26, v1
	v_and_b32_e32 v2, 0x7f800000, v1
	v_cmp_ne_u32_e64 s[8:9], s41, v2
                                        ; implicit-def: $agpr17
	s_and_saveexec_b64 s[30:31], s[8:9]
	s_xor_b64 s[8:9], exec, s[30:31]
; %bb.383:                              ;   in Loop: Header=BB378_13 Depth=1
	v_bfe_u32 v2, v1, 16, 1
	v_add3_u32 v1, v1, v2, s42
	v_accvgpr_write_b32 a17, v1
                                        ; implicit-def: $vgpr1
; %bb.384:                              ;   in Loop: Header=BB378_13 Depth=1
	s_andn2_saveexec_b64 s[30:31], s[8:9]
; %bb.385:                              ;   in Loop: Header=BB378_13 Depth=1
	v_or_b32_e32 v2, 0x10000, v1
	v_cmp_eq_u32_sdwa s[8:9], v1, v4 src0_sel:WORD_0 src1_sel:DWORD
	v_cndmask_b32_e64 v1, v2, v1, s[8:9]
	v_accvgpr_write_b32 a17, v1
; %bb.386:                              ;   in Loop: Header=BB378_13 Depth=1
	s_or_b64 exec, exec, s[30:31]
	v_lshrrev_b16_e32 v60, 8, v58
	v_cmp_ne_u16_e64 s[8:9], 0, v60
	v_mov_b32_e32 v1, 0
	s_and_saveexec_b64 s[30:31], s[8:9]
	s_cbranch_execz .LBB378_392
; %bb.387:                              ;   in Loop: Header=BB378_13 Depth=1
	v_cmp_ne_u16_e64 s[8:9], s39, v60
	v_bfrev_b32_e32 v1, 1
	s_and_saveexec_b64 s[34:35], s[8:9]
	s_cbranch_execz .LBB378_391
; %bb.388:                              ;   in Loop: Header=BB378_13 Depth=1
	v_and_b32_e32 v2, 0x7f, v60
	v_cmp_ne_u32_e64 s[8:9], s40, v2
	v_mov_b32_e32 v1, 0x7f800001
	s_and_saveexec_b64 s[36:37], s[8:9]
	s_cbranch_execz .LBB378_390
; %bb.389:                              ;   in Loop: Header=BB378_13 Depth=1
	v_and_b32_e32 v1, 7, v60
	v_lshrrev_b32_e32 v5, 3, v2
	v_cmp_gt_u32_e64 s[8:9], 8, v2
	v_ffbh_u32_e32 v2, v1
	v_min_u32_e32 v2, 32, v2
	v_subrev_u32_e32 v12, 28, v2
	v_lshlrev_b64 v[12:13], v12, v[60:61]
	v_sub_u32_e32 v2, 29, v2
	v_and_b32_e32 v12, 7, v12
	v_cndmask_b32_e64 v2, v5, v2, s[8:9]
	v_cndmask_b32_e64 v1, v1, v12, s[8:9]
	v_lshlrev_b32_e32 v5, 16, v58
	v_bfrev_b32_e32 v3, 60
	v_lshlrev_b32_e32 v1, 20, v1
	v_and_b32_e32 v5, 0x80000000, v5
	v_lshl_add_u32 v2, v2, 23, v3
	v_or3_b32 v1, v5, v2, v1
.LBB378_390:                            ;   in Loop: Header=BB378_13 Depth=1
	s_or_b64 exec, exec, s[36:37]
.LBB378_391:                            ;   in Loop: Header=BB378_13 Depth=1
	s_or_b64 exec, exec, s[34:35]
.LBB378_392:                            ;   in Loop: Header=BB378_13 Depth=1
	s_or_b64 exec, exec, s[30:31]
	v_mul_f32_e32 v1, v26, v1
	v_and_b32_e32 v2, 0x7f800000, v1
	v_cmp_ne_u32_e64 s[8:9], s41, v2
                                        ; implicit-def: $agpr16
	s_and_saveexec_b64 s[30:31], s[8:9]
	s_xor_b64 s[8:9], exec, s[30:31]
; %bb.393:                              ;   in Loop: Header=BB378_13 Depth=1
	v_bfe_u32 v2, v1, 16, 1
	v_add3_u32 v1, v1, v2, s42
	v_accvgpr_write_b32 a16, v1
                                        ; implicit-def: $vgpr1
; %bb.394:                              ;   in Loop: Header=BB378_13 Depth=1
	s_andn2_saveexec_b64 s[30:31], s[8:9]
; %bb.395:                              ;   in Loop: Header=BB378_13 Depth=1
	v_or_b32_e32 v2, 0x10000, v1
	v_cmp_eq_u32_sdwa s[8:9], v1, v4 src0_sel:WORD_0 src1_sel:DWORD
	v_cndmask_b32_e64 v1, v2, v1, s[8:9]
	v_accvgpr_write_b32 a16, v1
; %bb.396:                              ;   in Loop: Header=BB378_13 Depth=1
	s_or_b64 exec, exec, s[30:31]
	v_lshrrev_b32_e32 v60, 16, v58
	v_cmp_ne_u16_sdwa s[8:9], v60, v4 src0_sel:BYTE_0 src1_sel:DWORD
	v_mov_b32_e32 v1, 0
	s_and_saveexec_b64 s[30:31], s[8:9]
	s_cbranch_execz .LBB378_402
; %bb.397:                              ;   in Loop: Header=BB378_13 Depth=1
	v_cmp_ne_u16_sdwa s[8:9], v60, s39 src0_sel:BYTE_0 src1_sel:DWORD
	v_bfrev_b32_e32 v1, 1
	s_and_saveexec_b64 s[34:35], s[8:9]
	s_cbranch_execz .LBB378_401
; %bb.398:                              ;   in Loop: Header=BB378_13 Depth=1
	v_bfe_u32 v2, v58, 16, 7
	v_cmp_ne_u32_e64 s[8:9], s40, v2
	v_mov_b32_e32 v1, 0x7f800001
	s_and_saveexec_b64 s[36:37], s[8:9]
	s_cbranch_execz .LBB378_400
; %bb.399:                              ;   in Loop: Header=BB378_13 Depth=1
	v_and_b32_e32 v1, 7, v60
	v_lshrrev_b32_e32 v5, 3, v2
	v_cmp_gt_u32_e64 s[8:9], 8, v2
	v_ffbh_u32_e32 v2, v1
	v_min_u32_e32 v2, 32, v2
	v_subrev_u32_e32 v12, 28, v2
	v_lshlrev_b64 v[12:13], v12, v[60:61]
	v_sub_u32_e32 v2, 29, v2
	v_and_b32_e32 v12, 7, v12
	v_cndmask_b32_e64 v2, v5, v2, s[8:9]
	v_cndmask_b32_e64 v1, v1, v12, s[8:9]
	v_lshlrev_b32_e32 v5, 24, v60
	v_bfrev_b32_e32 v3, 60
	v_lshlrev_b32_e32 v1, 20, v1
	v_and_b32_e32 v5, 0x80000000, v5
	v_lshl_add_u32 v2, v2, 23, v3
	v_or3_b32 v1, v5, v2, v1
.LBB378_400:                            ;   in Loop: Header=BB378_13 Depth=1
	s_or_b64 exec, exec, s[36:37]
.LBB378_401:                            ;   in Loop: Header=BB378_13 Depth=1
	s_or_b64 exec, exec, s[34:35]
.LBB378_402:                            ;   in Loop: Header=BB378_13 Depth=1
	s_or_b64 exec, exec, s[30:31]
	v_mul_f32_e32 v1, v26, v1
	v_and_b32_e32 v2, 0x7f800000, v1
	v_cmp_ne_u32_e64 s[8:9], s41, v2
                                        ; implicit-def: $agpr2
	s_and_saveexec_b64 s[30:31], s[8:9]
	s_xor_b64 s[8:9], exec, s[30:31]
; %bb.403:                              ;   in Loop: Header=BB378_13 Depth=1
	v_bfe_u32 v2, v1, 16, 1
	v_add3_u32 v1, v1, v2, s42
	v_accvgpr_write_b32 a2, v1
                                        ; implicit-def: $vgpr1
; %bb.404:                              ;   in Loop: Header=BB378_13 Depth=1
	s_andn2_saveexec_b64 s[30:31], s[8:9]
; %bb.405:                              ;   in Loop: Header=BB378_13 Depth=1
	v_or_b32_e32 v2, 0x10000, v1
	v_cmp_eq_u32_sdwa s[8:9], v1, v4 src0_sel:WORD_0 src1_sel:DWORD
	v_cndmask_b32_e64 v1, v2, v1, s[8:9]
	v_accvgpr_write_b32 a2, v1
; %bb.406:                              ;   in Loop: Header=BB378_13 Depth=1
	s_or_b64 exec, exec, s[30:31]
	v_cmp_lt_u32_e64 s[8:9], s43, v58
	v_mov_b32_e32 v1, 0
	s_and_saveexec_b64 s[30:31], s[8:9]
	s_cbranch_execz .LBB378_412
; %bb.407:                              ;   in Loop: Header=BB378_13 Depth=1
	v_lshrrev_b32_e32 v60, 24, v58
	v_cmp_ne_u32_e64 s[8:9], s39, v60
	v_bfrev_b32_e32 v1, 1
	s_and_saveexec_b64 s[34:35], s[8:9]
	s_cbranch_execz .LBB378_411
; %bb.408:                              ;   in Loop: Header=BB378_13 Depth=1
	v_bfe_u32 v2, v58, 24, 7
	v_cmp_ne_u32_e64 s[8:9], s40, v2
	v_mov_b32_e32 v1, 0x7f800001
	s_and_saveexec_b64 s[36:37], s[8:9]
	s_cbranch_execz .LBB378_410
; %bb.409:                              ;   in Loop: Header=BB378_13 Depth=1
	v_and_b32_e32 v1, 7, v60
	v_lshrrev_b32_e32 v5, 3, v2
	v_cmp_gt_u32_e64 s[8:9], 8, v2
	v_ffbh_u32_e32 v2, v1
	v_min_u32_e32 v2, 32, v2
	v_subrev_u32_e32 v12, 28, v2
	v_lshlrev_b64 v[12:13], v12, v[60:61]
	v_sub_u32_e32 v2, 29, v2
	v_and_b32_e32 v12, 7, v12
	v_cndmask_b32_e64 v2, v5, v2, s[8:9]
	v_cndmask_b32_e64 v1, v1, v12, s[8:9]
	v_lshlrev_b32_e32 v5, 24, v60
	v_bfrev_b32_e32 v3, 60
	v_lshlrev_b32_e32 v1, 20, v1
	v_and_b32_e32 v5, 0x80000000, v5
	v_lshl_add_u32 v2, v2, 23, v3
	v_or3_b32 v1, v5, v2, v1
.LBB378_410:                            ;   in Loop: Header=BB378_13 Depth=1
	s_or_b64 exec, exec, s[36:37]
.LBB378_411:                            ;   in Loop: Header=BB378_13 Depth=1
	s_or_b64 exec, exec, s[34:35]
.LBB378_412:                            ;   in Loop: Header=BB378_13 Depth=1
	s_or_b64 exec, exec, s[30:31]
	v_mul_f32_e32 v2, v26, v1
	v_and_b32_e32 v1, 0x7f800000, v2
	v_cmp_ne_u32_e64 s[8:9], s41, v1
                                        ; implicit-def: $agpr37
	s_and_saveexec_b64 s[30:31], s[8:9]
	s_xor_b64 s[8:9], exec, s[30:31]
; %bb.413:                              ;   in Loop: Header=BB378_13 Depth=1
	v_bfe_u32 v1, v2, 16, 1
	v_add3_u32 v1, v2, v1, s42
	v_accvgpr_write_b32 a37, v1
                                        ; implicit-def: $vgpr2
; %bb.414:                              ;   in Loop: Header=BB378_13 Depth=1
	s_andn2_saveexec_b64 s[30:31], s[8:9]
; %bb.415:                              ;   in Loop: Header=BB378_13 Depth=1
	v_or_b32_e32 v1, 0x10000, v2
	v_cmp_eq_u32_sdwa s[8:9], v2, v4 src0_sel:WORD_0 src1_sel:DWORD
	v_cndmask_b32_e64 v1, v1, v2, s[8:9]
	v_accvgpr_write_b32 a37, v1
; %bb.416:                              ;   in Loop: Header=BB378_13 Depth=1
	s_or_b64 exec, exec, s[30:31]
	flat_load_dword v58, v[56:57] offset:2560
	v_mov_b32_e32 v2, 0
	s_waitcnt vmcnt(0) lgkmcnt(0)
	v_cmp_ne_u16_sdwa s[8:9], v58, v4 src0_sel:BYTE_0 src1_sel:DWORD
	s_and_saveexec_b64 s[30:31], s[8:9]
	s_cbranch_execz .LBB378_422
; %bb.417:                              ;   in Loop: Header=BB378_13 Depth=1
	v_cmp_ne_u16_sdwa s[8:9], v58, s39 src0_sel:BYTE_0 src1_sel:DWORD
	v_bfrev_b32_e32 v2, 1
	s_and_saveexec_b64 s[34:35], s[8:9]
	s_cbranch_execz .LBB378_421
; %bb.418:                              ;   in Loop: Header=BB378_13 Depth=1
	v_and_b32_e32 v5, 0x7f, v58
	v_cmp_ne_u32_e64 s[8:9], s40, v5
	v_mov_b32_e32 v2, 0x7f800001
	s_and_saveexec_b64 s[36:37], s[8:9]
	s_cbranch_execz .LBB378_420
; %bb.419:                              ;   in Loop: Header=BB378_13 Depth=1
	v_and_b32_e32 v2, 7, v58
	v_lshrrev_b32_e32 v14, 3, v5
	v_cmp_gt_u32_e64 s[8:9], 8, v5
	v_ffbh_u32_e32 v5, v2
	v_min_u32_e32 v5, 32, v5
	v_subrev_u32_e32 v12, 28, v5
	v_lshlrev_b64 v[12:13], v12, v[58:59]
	v_sub_u32_e32 v5, 29, v5
	v_and_b32_e32 v12, 7, v12
	v_cndmask_b32_e64 v5, v14, v5, s[8:9]
	v_cndmask_b32_e64 v2, v2, v12, s[8:9]
	v_lshlrev_b32_e32 v12, 24, v58
	v_bfrev_b32_e32 v1, 60
	v_lshlrev_b32_e32 v2, 20, v2
	v_and_b32_e32 v12, 0x80000000, v12
	v_lshl_add_u32 v5, v5, 23, v1
	v_or3_b32 v2, v12, v5, v2
.LBB378_420:                            ;   in Loop: Header=BB378_13 Depth=1
	s_or_b64 exec, exec, s[36:37]
.LBB378_421:                            ;   in Loop: Header=BB378_13 Depth=1
	s_or_b64 exec, exec, s[34:35]
.LBB378_422:                            ;   in Loop: Header=BB378_13 Depth=1
	s_or_b64 exec, exec, s[30:31]
	v_mul_f32_e32 v2, v26, v2
	v_and_b32_e32 v5, 0x7f800000, v2
	v_cmp_ne_u32_e64 s[8:9], s41, v5
                                        ; implicit-def: $agpr45
	s_and_saveexec_b64 s[30:31], s[8:9]
	s_xor_b64 s[8:9], exec, s[30:31]
; %bb.423:                              ;   in Loop: Header=BB378_13 Depth=1
	v_bfe_u32 v5, v2, 16, 1
	v_add3_u32 v1, v2, v5, s42
	v_accvgpr_write_b32 a45, v1
                                        ; implicit-def: $vgpr2
; %bb.424:                              ;   in Loop: Header=BB378_13 Depth=1
	s_andn2_saveexec_b64 s[30:31], s[8:9]
; %bb.425:                              ;   in Loop: Header=BB378_13 Depth=1
	v_or_b32_e32 v5, 0x10000, v2
	v_cmp_eq_u32_sdwa s[8:9], v2, v4 src0_sel:WORD_0 src1_sel:DWORD
	v_cndmask_b32_e64 v1, v5, v2, s[8:9]
	v_accvgpr_write_b32 a45, v1
; %bb.426:                              ;   in Loop: Header=BB378_13 Depth=1
	s_or_b64 exec, exec, s[30:31]
	v_lshrrev_b16_e32 v60, 8, v58
	v_cmp_ne_u16_e64 s[8:9], 0, v60
	v_mov_b32_e32 v2, 0
	s_and_saveexec_b64 s[30:31], s[8:9]
	s_cbranch_execz .LBB378_432
; %bb.427:                              ;   in Loop: Header=BB378_13 Depth=1
	v_cmp_ne_u16_e64 s[8:9], s39, v60
	v_bfrev_b32_e32 v2, 1
	s_and_saveexec_b64 s[34:35], s[8:9]
	s_cbranch_execz .LBB378_431
; %bb.428:                              ;   in Loop: Header=BB378_13 Depth=1
	v_and_b32_e32 v5, 0x7f, v60
	v_cmp_ne_u32_e64 s[8:9], s40, v5
	v_mov_b32_e32 v2, 0x7f800001
	s_and_saveexec_b64 s[36:37], s[8:9]
	s_cbranch_execz .LBB378_430
; %bb.429:                              ;   in Loop: Header=BB378_13 Depth=1
	v_and_b32_e32 v2, 7, v60
	v_lshrrev_b32_e32 v14, 3, v5
	v_cmp_gt_u32_e64 s[8:9], 8, v5
	v_ffbh_u32_e32 v5, v2
	v_min_u32_e32 v5, 32, v5
	v_subrev_u32_e32 v12, 28, v5
	v_lshlrev_b64 v[12:13], v12, v[60:61]
	v_sub_u32_e32 v5, 29, v5
	v_and_b32_e32 v12, 7, v12
	v_cndmask_b32_e64 v5, v14, v5, s[8:9]
	v_cndmask_b32_e64 v2, v2, v12, s[8:9]
	v_lshlrev_b32_e32 v12, 16, v58
	v_bfrev_b32_e32 v1, 60
	v_lshlrev_b32_e32 v2, 20, v2
	v_and_b32_e32 v12, 0x80000000, v12
	v_lshl_add_u32 v5, v5, 23, v1
	v_or3_b32 v2, v12, v5, v2
.LBB378_430:                            ;   in Loop: Header=BB378_13 Depth=1
	s_or_b64 exec, exec, s[36:37]
.LBB378_431:                            ;   in Loop: Header=BB378_13 Depth=1
	s_or_b64 exec, exec, s[34:35]
.LBB378_432:                            ;   in Loop: Header=BB378_13 Depth=1
	s_or_b64 exec, exec, s[30:31]
	v_mul_f32_e32 v2, v26, v2
	v_and_b32_e32 v5, 0x7f800000, v2
	v_cmp_ne_u32_e64 s[8:9], s41, v5
                                        ; implicit-def: $agpr4
	s_and_saveexec_b64 s[30:31], s[8:9]
	s_xor_b64 s[8:9], exec, s[30:31]
; %bb.433:                              ;   in Loop: Header=BB378_13 Depth=1
	v_bfe_u32 v5, v2, 16, 1
	v_add3_u32 v1, v2, v5, s42
	v_accvgpr_write_b32 a4, v1
                                        ; implicit-def: $vgpr2
; %bb.434:                              ;   in Loop: Header=BB378_13 Depth=1
	s_andn2_saveexec_b64 s[30:31], s[8:9]
; %bb.435:                              ;   in Loop: Header=BB378_13 Depth=1
	v_or_b32_e32 v5, 0x10000, v2
	v_cmp_eq_u32_sdwa s[8:9], v2, v4 src0_sel:WORD_0 src1_sel:DWORD
	v_cndmask_b32_e64 v1, v5, v2, s[8:9]
	v_accvgpr_write_b32 a4, v1
; %bb.436:                              ;   in Loop: Header=BB378_13 Depth=1
	s_or_b64 exec, exec, s[30:31]
	v_lshrrev_b32_e32 v60, 16, v58
	v_cmp_ne_u16_sdwa s[8:9], v60, v4 src0_sel:BYTE_0 src1_sel:DWORD
	v_mov_b32_e32 v2, 0
	s_and_saveexec_b64 s[30:31], s[8:9]
	s_cbranch_execz .LBB378_442
; %bb.437:                              ;   in Loop: Header=BB378_13 Depth=1
	v_cmp_ne_u16_sdwa s[8:9], v60, s39 src0_sel:BYTE_0 src1_sel:DWORD
	v_bfrev_b32_e32 v2, 1
	s_and_saveexec_b64 s[34:35], s[8:9]
	s_cbranch_execz .LBB378_441
; %bb.438:                              ;   in Loop: Header=BB378_13 Depth=1
	v_bfe_u32 v5, v58, 16, 7
	v_cmp_ne_u32_e64 s[8:9], s40, v5
	v_mov_b32_e32 v2, 0x7f800001
	s_and_saveexec_b64 s[36:37], s[8:9]
	s_cbranch_execz .LBB378_440
; %bb.439:                              ;   in Loop: Header=BB378_13 Depth=1
	v_and_b32_e32 v2, 7, v60
	v_lshrrev_b32_e32 v14, 3, v5
	v_cmp_gt_u32_e64 s[8:9], 8, v5
	v_ffbh_u32_e32 v5, v2
	v_min_u32_e32 v5, 32, v5
	v_subrev_u32_e32 v12, 28, v5
	v_lshlrev_b64 v[12:13], v12, v[60:61]
	v_sub_u32_e32 v5, 29, v5
	v_and_b32_e32 v12, 7, v12
	v_cndmask_b32_e64 v5, v14, v5, s[8:9]
	v_cndmask_b32_e64 v2, v2, v12, s[8:9]
	v_lshlrev_b32_e32 v12, 24, v60
	v_bfrev_b32_e32 v1, 60
	v_lshlrev_b32_e32 v2, 20, v2
	v_and_b32_e32 v12, 0x80000000, v12
	v_lshl_add_u32 v5, v5, 23, v1
	v_or3_b32 v2, v12, v5, v2
.LBB378_440:                            ;   in Loop: Header=BB378_13 Depth=1
	s_or_b64 exec, exec, s[36:37]
.LBB378_441:                            ;   in Loop: Header=BB378_13 Depth=1
	s_or_b64 exec, exec, s[34:35]
.LBB378_442:                            ;   in Loop: Header=BB378_13 Depth=1
	s_or_b64 exec, exec, s[30:31]
	v_mul_f32_e32 v2, v26, v2
	v_and_b32_e32 v5, 0x7f800000, v2
	v_cmp_ne_u32_e64 s[8:9], s41, v5
                                        ; implicit-def: $vgpr24
	s_and_saveexec_b64 s[30:31], s[8:9]
	s_xor_b64 s[8:9], exec, s[30:31]
; %bb.443:                              ;   in Loop: Header=BB378_13 Depth=1
	v_bfe_u32 v5, v2, 16, 1
	v_add3_u32 v24, v2, v5, s42
                                        ; implicit-def: $vgpr2
; %bb.444:                              ;   in Loop: Header=BB378_13 Depth=1
	s_andn2_saveexec_b64 s[30:31], s[8:9]
; %bb.445:                              ;   in Loop: Header=BB378_13 Depth=1
	v_or_b32_e32 v5, 0x10000, v2
	v_cmp_eq_u32_sdwa s[8:9], v2, v4 src0_sel:WORD_0 src1_sel:DWORD
	v_cndmask_b32_e64 v24, v5, v2, s[8:9]
; %bb.446:                              ;   in Loop: Header=BB378_13 Depth=1
	s_or_b64 exec, exec, s[30:31]
	v_cmp_lt_u32_e64 s[8:9], s43, v58
	v_mov_b32_e32 v2, 0
	s_and_saveexec_b64 s[30:31], s[8:9]
	s_cbranch_execz .LBB378_452
; %bb.447:                              ;   in Loop: Header=BB378_13 Depth=1
	v_lshrrev_b32_e32 v60, 24, v58
	v_cmp_ne_u32_e64 s[8:9], s39, v60
	v_bfrev_b32_e32 v2, 1
	s_and_saveexec_b64 s[34:35], s[8:9]
	s_cbranch_execz .LBB378_451
; %bb.448:                              ;   in Loop: Header=BB378_13 Depth=1
	v_bfe_u32 v5, v58, 24, 7
	v_cmp_ne_u32_e64 s[8:9], s40, v5
	v_mov_b32_e32 v2, 0x7f800001
	s_and_saveexec_b64 s[36:37], s[8:9]
	s_cbranch_execz .LBB378_450
; %bb.449:                              ;   in Loop: Header=BB378_13 Depth=1
	v_and_b32_e32 v2, 7, v60
	v_lshrrev_b32_e32 v14, 3, v5
	v_cmp_gt_u32_e64 s[8:9], 8, v5
	v_ffbh_u32_e32 v5, v2
	v_min_u32_e32 v5, 32, v5
	v_subrev_u32_e32 v12, 28, v5
	v_lshlrev_b64 v[12:13], v12, v[60:61]
	v_sub_u32_e32 v5, 29, v5
	v_and_b32_e32 v12, 7, v12
	v_cndmask_b32_e64 v5, v14, v5, s[8:9]
	v_cndmask_b32_e64 v2, v2, v12, s[8:9]
	v_lshlrev_b32_e32 v12, 24, v60
	v_bfrev_b32_e32 v1, 60
	v_lshlrev_b32_e32 v2, 20, v2
	v_and_b32_e32 v12, 0x80000000, v12
	v_lshl_add_u32 v5, v5, 23, v1
	v_or3_b32 v2, v12, v5, v2
.LBB378_450:                            ;   in Loop: Header=BB378_13 Depth=1
	s_or_b64 exec, exec, s[36:37]
.LBB378_451:                            ;   in Loop: Header=BB378_13 Depth=1
	s_or_b64 exec, exec, s[34:35]
.LBB378_452:                            ;   in Loop: Header=BB378_13 Depth=1
	s_or_b64 exec, exec, s[30:31]
	v_mul_f32_e32 v2, v26, v2
	v_and_b32_e32 v5, 0x7f800000, v2
	v_cmp_ne_u32_e64 s[8:9], s41, v5
                                        ; implicit-def: $vgpr60
	s_and_saveexec_b64 s[30:31], s[8:9]
	s_xor_b64 s[8:9], exec, s[30:31]
; %bb.453:                              ;   in Loop: Header=BB378_13 Depth=1
	v_bfe_u32 v5, v2, 16, 1
	v_add3_u32 v60, v2, v5, s42
                                        ; implicit-def: $vgpr2
; %bb.454:                              ;   in Loop: Header=BB378_13 Depth=1
	s_andn2_saveexec_b64 s[30:31], s[8:9]
; %bb.455:                              ;   in Loop: Header=BB378_13 Depth=1
	v_or_b32_e32 v5, 0x10000, v2
	v_cmp_eq_u32_sdwa s[8:9], v2, v4 src0_sel:WORD_0 src1_sel:DWORD
	v_cndmask_b32_e64 v60, v5, v2, s[8:9]
; %bb.456:                              ;   in Loop: Header=BB378_13 Depth=1
	s_or_b64 exec, exec, s[30:31]
	flat_load_dword v56, v[56:57] offset:2568
	v_mov_b32_e32 v2, 0
	s_waitcnt vmcnt(0) lgkmcnt(0)
	v_cmp_ne_u16_sdwa s[8:9], v56, v4 src0_sel:BYTE_0 src1_sel:DWORD
	s_and_saveexec_b64 s[30:31], s[8:9]
	s_cbranch_execz .LBB378_462
; %bb.457:                              ;   in Loop: Header=BB378_13 Depth=1
	v_cmp_ne_u16_sdwa s[8:9], v56, s39 src0_sel:BYTE_0 src1_sel:DWORD
	v_bfrev_b32_e32 v2, 1
	s_and_saveexec_b64 s[34:35], s[8:9]
	s_cbranch_execz .LBB378_461
; %bb.458:                              ;   in Loop: Header=BB378_13 Depth=1
	v_and_b32_e32 v5, 0x7f, v56
	v_cmp_ne_u32_e64 s[8:9], s40, v5
	v_mov_b32_e32 v2, 0x7f800001
	s_and_saveexec_b64 s[36:37], s[8:9]
	s_cbranch_execz .LBB378_460
; %bb.459:                              ;   in Loop: Header=BB378_13 Depth=1
	v_and_b32_e32 v2, 7, v56
	v_lshrrev_b32_e32 v14, 3, v5
	v_cmp_gt_u32_e64 s[8:9], 8, v5
	v_ffbh_u32_e32 v5, v2
	v_min_u32_e32 v5, 32, v5
	v_subrev_u32_e32 v12, 28, v5
	v_lshlrev_b64 v[12:13], v12, v[56:57]
	v_sub_u32_e32 v5, 29, v5
	v_and_b32_e32 v12, 7, v12
	v_cndmask_b32_e64 v5, v14, v5, s[8:9]
	v_cndmask_b32_e64 v2, v2, v12, s[8:9]
	v_lshlrev_b32_e32 v12, 24, v56
	v_bfrev_b32_e32 v1, 60
	v_lshlrev_b32_e32 v2, 20, v2
	v_and_b32_e32 v12, 0x80000000, v12
	v_lshl_add_u32 v5, v5, 23, v1
	v_or3_b32 v2, v12, v5, v2
.LBB378_460:                            ;   in Loop: Header=BB378_13 Depth=1
	s_or_b64 exec, exec, s[36:37]
.LBB378_461:                            ;   in Loop: Header=BB378_13 Depth=1
	s_or_b64 exec, exec, s[34:35]
.LBB378_462:                            ;   in Loop: Header=BB378_13 Depth=1
	s_or_b64 exec, exec, s[30:31]
	v_mul_f32_e32 v2, v26, v2
	v_and_b32_e32 v5, 0x7f800000, v2
	v_cmp_ne_u32_e64 s[8:9], s41, v5
                                        ; implicit-def: $vgpr57
	s_and_saveexec_b64 s[30:31], s[8:9]
	s_xor_b64 s[8:9], exec, s[30:31]
; %bb.463:                              ;   in Loop: Header=BB378_13 Depth=1
	v_bfe_u32 v5, v2, 16, 1
	v_add3_u32 v57, v2, v5, s42
                                        ; implicit-def: $vgpr2
; %bb.464:                              ;   in Loop: Header=BB378_13 Depth=1
	s_andn2_saveexec_b64 s[30:31], s[8:9]
; %bb.465:                              ;   in Loop: Header=BB378_13 Depth=1
	v_or_b32_e32 v5, 0x10000, v2
	v_cmp_eq_u32_sdwa s[8:9], v2, v4 src0_sel:WORD_0 src1_sel:DWORD
	v_cndmask_b32_e64 v57, v5, v2, s[8:9]
; %bb.466:                              ;   in Loop: Header=BB378_13 Depth=1
	s_or_b64 exec, exec, s[30:31]
	v_lshrrev_b16_e32 v58, 8, v56
	v_cmp_ne_u16_e64 s[8:9], 0, v58
	v_mov_b32_e32 v2, 0
	s_and_saveexec_b64 s[30:31], s[8:9]
	s_cbranch_execz .LBB378_472
; %bb.467:                              ;   in Loop: Header=BB378_13 Depth=1
	v_cmp_ne_u16_e64 s[8:9], s39, v58
	v_bfrev_b32_e32 v2, 1
	s_and_saveexec_b64 s[34:35], s[8:9]
	s_cbranch_execz .LBB378_471
; %bb.468:                              ;   in Loop: Header=BB378_13 Depth=1
	v_and_b32_e32 v5, 0x7f, v58
	v_cmp_ne_u32_e64 s[8:9], s40, v5
	v_mov_b32_e32 v2, 0x7f800001
	s_and_saveexec_b64 s[36:37], s[8:9]
	s_cbranch_execz .LBB378_470
; %bb.469:                              ;   in Loop: Header=BB378_13 Depth=1
	v_and_b32_e32 v2, 7, v58
	v_lshrrev_b32_e32 v14, 3, v5
	v_cmp_gt_u32_e64 s[8:9], 8, v5
	v_ffbh_u32_e32 v5, v2
	v_min_u32_e32 v5, 32, v5
	v_subrev_u32_e32 v12, 28, v5
	v_lshlrev_b64 v[12:13], v12, v[58:59]
	v_sub_u32_e32 v5, 29, v5
	v_and_b32_e32 v12, 7, v12
	v_cndmask_b32_e64 v5, v14, v5, s[8:9]
	v_cndmask_b32_e64 v2, v2, v12, s[8:9]
	v_lshlrev_b32_e32 v12, 16, v56
	v_bfrev_b32_e32 v1, 60
	v_lshlrev_b32_e32 v2, 20, v2
	v_and_b32_e32 v12, 0x80000000, v12
	v_lshl_add_u32 v5, v5, 23, v1
	v_or3_b32 v2, v12, v5, v2
.LBB378_470:                            ;   in Loop: Header=BB378_13 Depth=1
	s_or_b64 exec, exec, s[36:37]
.LBB378_471:                            ;   in Loop: Header=BB378_13 Depth=1
	s_or_b64 exec, exec, s[34:35]
.LBB378_472:                            ;   in Loop: Header=BB378_13 Depth=1
	s_or_b64 exec, exec, s[30:31]
	v_mul_f32_e32 v2, v26, v2
	v_and_b32_e32 v5, 0x7f800000, v2
	v_cmp_ne_u32_e64 s[8:9], s41, v5
                                        ; implicit-def: $vgpr14
	s_and_saveexec_b64 s[30:31], s[8:9]
	s_xor_b64 s[8:9], exec, s[30:31]
; %bb.473:                              ;   in Loop: Header=BB378_13 Depth=1
	v_bfe_u32 v5, v2, 16, 1
	v_add3_u32 v14, v2, v5, s42
                                        ; implicit-def: $vgpr2
; %bb.474:                              ;   in Loop: Header=BB378_13 Depth=1
	s_andn2_saveexec_b64 s[30:31], s[8:9]
; %bb.475:                              ;   in Loop: Header=BB378_13 Depth=1
	v_or_b32_e32 v5, 0x10000, v2
	v_cmp_eq_u32_sdwa s[8:9], v2, v4 src0_sel:WORD_0 src1_sel:DWORD
	v_cndmask_b32_e64 v14, v5, v2, s[8:9]
; %bb.476:                              ;   in Loop: Header=BB378_13 Depth=1
	s_or_b64 exec, exec, s[30:31]
	v_lshrrev_b32_e32 v58, 16, v56
	v_cmp_ne_u16_sdwa s[8:9], v58, v4 src0_sel:BYTE_0 src1_sel:DWORD
	v_mov_b32_e32 v2, 0
	s_and_saveexec_b64 s[30:31], s[8:9]
	s_cbranch_execz .LBB378_482
; %bb.477:                              ;   in Loop: Header=BB378_13 Depth=1
	v_cmp_ne_u16_sdwa s[8:9], v58, s39 src0_sel:BYTE_0 src1_sel:DWORD
	v_bfrev_b32_e32 v2, 1
	s_and_saveexec_b64 s[34:35], s[8:9]
	s_cbranch_execz .LBB378_481
; %bb.478:                              ;   in Loop: Header=BB378_13 Depth=1
	v_bfe_u32 v5, v56, 16, 7
	v_cmp_ne_u32_e64 s[8:9], s40, v5
	v_mov_b32_e32 v2, 0x7f800001
	s_and_saveexec_b64 s[36:37], s[8:9]
	s_cbranch_execz .LBB378_480
; %bb.479:                              ;   in Loop: Header=BB378_13 Depth=1
	v_and_b32_e32 v2, 7, v58
	v_lshrrev_b32_e32 v27, 3, v5
	v_cmp_gt_u32_e64 s[8:9], 8, v5
	v_ffbh_u32_e32 v5, v2
	v_min_u32_e32 v5, 32, v5
	v_subrev_u32_e32 v12, 28, v5
	v_lshlrev_b64 v[12:13], v12, v[58:59]
	v_sub_u32_e32 v5, 29, v5
	v_and_b32_e32 v12, 7, v12
	v_cndmask_b32_e64 v5, v27, v5, s[8:9]
	v_cndmask_b32_e64 v2, v2, v12, s[8:9]
	v_lshlrev_b32_e32 v12, 24, v58
	v_bfrev_b32_e32 v1, 60
	v_lshlrev_b32_e32 v2, 20, v2
	v_and_b32_e32 v12, 0x80000000, v12
	v_lshl_add_u32 v5, v5, 23, v1
	v_or3_b32 v2, v12, v5, v2
.LBB378_480:                            ;   in Loop: Header=BB378_13 Depth=1
	s_or_b64 exec, exec, s[36:37]
.LBB378_481:                            ;   in Loop: Header=BB378_13 Depth=1
	s_or_b64 exec, exec, s[34:35]
.LBB378_482:                            ;   in Loop: Header=BB378_13 Depth=1
	s_or_b64 exec, exec, s[30:31]
	v_mul_f32_e32 v2, v26, v2
	v_and_b32_e32 v5, 0x7f800000, v2
	v_cmp_ne_u32_e64 s[8:9], s41, v5
                                        ; implicit-def: $vgpr27
	s_and_saveexec_b64 s[30:31], s[8:9]
	s_xor_b64 s[8:9], exec, s[30:31]
; %bb.483:                              ;   in Loop: Header=BB378_13 Depth=1
	v_bfe_u32 v5, v2, 16, 1
	v_add3_u32 v27, v2, v5, s42
                                        ; implicit-def: $vgpr2
; %bb.484:                              ;   in Loop: Header=BB378_13 Depth=1
	s_andn2_saveexec_b64 s[30:31], s[8:9]
; %bb.485:                              ;   in Loop: Header=BB378_13 Depth=1
	v_or_b32_e32 v5, 0x10000, v2
	v_cmp_eq_u32_sdwa s[8:9], v2, v4 src0_sel:WORD_0 src1_sel:DWORD
	v_cndmask_b32_e64 v27, v5, v2, s[8:9]
; %bb.486:                              ;   in Loop: Header=BB378_13 Depth=1
	s_or_b64 exec, exec, s[30:31]
	v_cmp_lt_u32_e64 s[8:9], s43, v56
	v_mov_b32_e32 v2, 0
	s_and_saveexec_b64 s[30:31], s[8:9]
	s_cbranch_execz .LBB378_492
; %bb.487:                              ;   in Loop: Header=BB378_13 Depth=1
	v_lshrrev_b32_e32 v58, 24, v56
	v_cmp_ne_u32_e64 s[8:9], s39, v58
	v_bfrev_b32_e32 v2, 1
	s_and_saveexec_b64 s[34:35], s[8:9]
	s_cbranch_execz .LBB378_491
; %bb.488:                              ;   in Loop: Header=BB378_13 Depth=1
	v_bfe_u32 v5, v56, 24, 7
	v_cmp_ne_u32_e64 s[8:9], s40, v5
	v_mov_b32_e32 v2, 0x7f800001
	s_and_saveexec_b64 s[36:37], s[8:9]
	s_cbranch_execz .LBB378_490
; %bb.489:                              ;   in Loop: Header=BB378_13 Depth=1
	v_and_b32_e32 v2, 7, v58
	v_lshrrev_b32_e32 v30, 3, v5
	v_cmp_gt_u32_e64 s[8:9], 8, v5
	v_ffbh_u32_e32 v5, v2
	v_min_u32_e32 v5, 32, v5
	v_subrev_u32_e32 v12, 28, v5
	v_lshlrev_b64 v[12:13], v12, v[58:59]
	v_sub_u32_e32 v5, 29, v5
	v_and_b32_e32 v12, 7, v12
	v_cndmask_b32_e64 v5, v30, v5, s[8:9]
	v_cndmask_b32_e64 v2, v2, v12, s[8:9]
	v_lshlrev_b32_e32 v12, 24, v58
	v_bfrev_b32_e32 v1, 60
	v_lshlrev_b32_e32 v2, 20, v2
	v_and_b32_e32 v12, 0x80000000, v12
	v_lshl_add_u32 v5, v5, 23, v1
	v_or3_b32 v2, v12, v5, v2
.LBB378_490:                            ;   in Loop: Header=BB378_13 Depth=1
	s_or_b64 exec, exec, s[36:37]
.LBB378_491:                            ;   in Loop: Header=BB378_13 Depth=1
	s_or_b64 exec, exec, s[34:35]
.LBB378_492:                            ;   in Loop: Header=BB378_13 Depth=1
	s_or_b64 exec, exec, s[30:31]
	v_mul_f32_e32 v2, v26, v2
	v_and_b32_e32 v5, 0x7f800000, v2
	v_cmp_ne_u32_e64 s[8:9], s41, v5
                                        ; implicit-def: $vgpr26
	s_and_saveexec_b64 s[30:31], s[8:9]
	s_xor_b64 s[8:9], exec, s[30:31]
; %bb.493:                              ;   in Loop: Header=BB378_13 Depth=1
	v_bfe_u32 v5, v2, 16, 1
	v_add3_u32 v26, v2, v5, s42
                                        ; implicit-def: $vgpr2
; %bb.494:                              ;   in Loop: Header=BB378_13 Depth=1
	s_andn2_saveexec_b64 s[30:31], s[8:9]
; %bb.495:                              ;   in Loop: Header=BB378_13 Depth=1
	v_or_b32_e32 v5, 0x10000, v2
	v_cmp_eq_u32_sdwa s[8:9], v2, v4 src0_sel:WORD_0 src1_sel:DWORD
	v_cndmask_b32_e64 v26, v5, v2, s[8:9]
; %bb.496:                              ;   in Loop: Header=BB378_13 Depth=1
	s_or_b64 exec, exec, s[30:31]
	v_lshlrev_b32_e32 v41, 16, v52
	v_lshlrev_b32_e32 v62, 16, v53
	;; [unrolled: 1-line block ×3, first 2 shown]
	v_and_b32_e32 v21, 0xffff0000, v52
	v_and_b32_e32 v44, 0xffff0000, v53
	;; [unrolled: 1-line block ×3, first 2 shown]
	v_lshlrev_b32_e32 v29, 16, v48
	v_and_b32_e32 v23, 0xffff0000, v48
	v_lshlrev_b32_e32 v1, 16, v37
	v_and_b32_e32 v3, 0xffff0000, v37
	v_lshlrev_b32_e32 v2, 16, v32
	v_lshlrev_b32_e32 v53, 16, v34
	;; [unrolled: 1-line block ×3, first 2 shown]
	v_and_b32_e32 v12, 0xffff0000, v32
	v_and_b32_e32 v55, 0xffff0000, v34
	v_and_b32_e32 v52, 0xffff0000, v35
	v_lshlrev_b32_e32 v35, 16, v18
	v_lshlrev_b32_e32 v32, 16, v19
	v_and_b32_e32 v37, 0xffff0000, v18
	v_and_b32_e32 v34, 0xffff0000, v19
	v_lshlrev_b32_e32 v18, 16, v7
	v_and_b32_e32 v19, 0xffff0000, v7
	v_accvgpr_read_b32 v7, a51
	v_lshlrev_b32_e32 v11, 16, v54
	v_and_b32_e32 v7, 0xffff0000, v7
	v_and_b32_e32 v42, 0xffff0000, v54
	v_lshlrev_b32_e32 v10, 16, v50
	v_and_b32_e32 v22, 0xffff0000, v50
	v_lshlrev_b32_e32 v59, 16, v36
	;; [unrolled: 2-line block ×5, first 2 shown]
	v_lshlrev_b32_e32 v16, 16, v9
	v_and_b32_e32 v36, 0xffff0000, v6
	v_and_b32_e32 v6, 0xffff0000, v9
	v_mul_f32_e32 v7, v11, v7
	v_and_b32_e32 v9, 0xffff0000, v0
	v_accvgpr_read_b32 v0, a52
	v_fmac_f32_e32 v7, v41, v9
	v_and_b32_e32 v9, 0xffff0000, v0
	v_mul_f32_e32 v9, v42, v9
	v_and_b32_e32 v11, 0xffff0000, v15
	v_accvgpr_read_b32 v0, a53
	v_fmac_f32_e32 v9, v21, v11
	v_and_b32_e32 v11, 0xffff0000, v0
	v_accvgpr_read_b32 v0, a49
	v_lshlrev_b32_e32 v61, 16, v38
	v_and_b32_e32 v13, 0xffff0000, v38
	v_mul_f32_e32 v38, v40, v11
	v_and_b32_e32 v11, 0xffff0000, v0
	v_accvgpr_read_b32 v0, a54
	v_fmac_f32_e32 v38, v62, v11
	v_and_b32_e32 v11, 0xffff0000, v0
	v_accvgpr_read_b32 v0, a50
	v_lshlrev_b32_e32 v20, 16, v51
	v_and_b32_e32 v31, 0xffff0000, v51
	v_mul_f32_e32 v51, v28, v11
	v_and_b32_e32 v11, 0xffff0000, v0
	v_accvgpr_read_b32 v0, a55
	v_fmac_f32_e32 v51, v44, v11
	v_and_b32_e32 v11, 0xffff0000, v0
	v_accvgpr_read_b32 v0, a56
	v_fmac_f32_e32 v7, v29, v11
	v_and_b32_e32 v11, 0xffff0000, v0
	v_accvgpr_read_b32 v0, a57
	v_lshlrev_b32_e32 v43, 16, v49
	v_fmac_f32_e32 v9, v23, v11
	v_and_b32_e32 v11, 0xffff0000, v0
	v_accvgpr_read_b32 v0, a58
	v_and_b32_e32 v45, 0xffff0000, v49
	v_fmac_f32_e32 v38, v43, v11
	v_and_b32_e32 v11, 0xffff0000, v0
	v_accvgpr_read_b32 v0, a59
	v_fmac_f32_e32 v51, v45, v11
	v_and_b32_e32 v11, 0xffff0000, v0
	v_accvgpr_read_b32 v0, a60
	;; [unrolled: 3-line block ×5, first 2 shown]
	v_and_b32_e32 v21, 0xffff0000, v15
	v_accvgpr_read_b32 v15, a18
	v_and_b32_e32 v22, 0xffff0000, v15
	v_accvgpr_read_b32 v15, a19
	v_and_b32_e32 v23, 0xffff0000, v15
	v_accvgpr_read_b32 v15, a22
	v_accvgpr_read_b32 v0, a62
	v_and_b32_e32 v28, 0xffff0000, v15
	v_accvgpr_read_b32 v15, a24
	v_and_b32_e32 v10, 0xffff0000, v0
	v_and_b32_e32 v29, 0xffff0000, v15
	v_accvgpr_read_b32 v15, a21
	v_fmac_f32_e32 v51, v31, v10
	v_and_b32_e32 v31, 0xffff0000, v15
	v_accvgpr_read_b32 v15, a23
	v_accvgpr_read_b32 v0, a63
	v_and_b32_e32 v40, 0xffff0000, v15
	v_accvgpr_read_b32 v15, a0
	v_and_b32_e32 v10, 0xffff0000, v0
	v_accvgpr_read_b32 v0, a27
	v_and_b32_e32 v42, 0xffff0000, v15
	v_accvgpr_read_b32 v15, a15
	v_fmac_f32_e32 v7, v59, v10
	v_and_b32_e32 v10, 0xffff0000, v0
	v_accvgpr_read_b32 v0, a25
	v_and_b32_e32 v43, 0xffff0000, v15
	v_accvgpr_read_b32 v15, a1
	v_fmac_f32_e32 v9, v25, v10
	v_and_b32_e32 v10, 0xffff0000, v0
	v_accvgpr_read_b32 v0, a30
	v_and_b32_e32 v44, 0xffff0000, v15
	;; [unrolled: 5-line block ×3, first 2 shown]
	v_accvgpr_read_b32 v15, a26
	v_fmac_f32_e32 v51, v3, v1
	v_and_b32_e32 v1, 0xffff0000, v0
	v_and_b32_e32 v59, 0xffff0000, v15
	v_accvgpr_read_b32 v15, a28
	v_fmac_f32_e32 v7, v61, v1
	v_and_b32_e32 v61, 0xffff0000, v15
	v_accvgpr_read_b32 v15, a29
	v_accvgpr_read_b32 v0, a46
	v_and_b32_e32 v62, 0xffff0000, v15
	v_accvgpr_read_b32 v15, a32
	v_and_b32_e32 v1, 64, v0
	v_and_b32_e32 v15, 0xffff0000, v15
	v_lshlrev_b32_e32 v30, 16, v39
	v_add_u32_e32 v1, 64, v1
	v_xor_b32_e32 v3, 1, v0
	v_fmac_f32_e32 v9, v13, v15
	v_and_b32_e32 v5, 0xffff0000, v39
	v_cmp_lt_i32_e64 s[8:9], v3, v1
	v_accvgpr_read_b32 v1, a4
	v_fmac_f32_e32 v38, v30, v61
	v_fmac_f32_e32 v7, v2, v59
	v_fmac_f32_e32 v9, v12, v45
	v_and_b32_e32 v25, 0xffff0000, v1
	v_accvgpr_read_b32 v1, a45
	v_accvgpr_read_b32 v11, a16
	v_fmac_f32_e32 v51, v5, v62
	v_fmac_f32_e32 v38, v56, v43
	;; [unrolled: 1-line block ×4, first 2 shown]
	v_lshlrev_b32_e32 v39, 16, v17
	v_and_b32_e32 v41, 0xffff0000, v24
	v_and_b32_e32 v24, 0xffff0000, v60
	;; [unrolled: 1-line block ×3, first 2 shown]
	v_accvgpr_read_b32 v1, a2
	v_and_b32_e32 v11, 0xffff0000, v11
	v_fmac_f32_e32 v51, v58, v44
	v_fmac_f32_e32 v38, v48, v29
	;; [unrolled: 1-line block ×4, first 2 shown]
	v_and_b32_e32 v49, 0xffff0000, v17
	v_and_b32_e32 v1, 0xffff0000, v1
	v_accvgpr_read_b32 v10, a37
	v_fmac_f32_e32 v51, v52, v31
	v_fmac_f32_e32 v38, v39, v21
	;; [unrolled: 1-line block ×4, first 2 shown]
	v_lshlrev_b32_e32 v17, 16, v8
	v_and_b32_e32 v8, 0xffff0000, v8
	v_and_b32_e32 v14, 0xffff0000, v14
	;; [unrolled: 1-line block ×4, first 2 shown]
	v_fmac_f32_e32 v51, v49, v22
	v_fmac_f32_e32 v38, v32, v1
	;; [unrolled: 1-line block ×4, first 2 shown]
	v_and_b32_e32 v27, 0xffff0000, v27
	v_fmac_f32_e32 v51, v34, v10
	v_fmac_f32_e32 v38, v18, v41
	;; [unrolled: 1-line block ×4, first 2 shown]
	v_and_b32_e32 v26, 0xffff0000, v26
	v_fmac_f32_e32 v51, v19, v24
	v_fmac_f32_e32 v38, v16, v27
	v_add_f32_e32 v1, v7, v9
	v_cndmask_b32_e64 v3, v0, v3, s[8:9]
	v_fmac_f32_e32 v51, v6, v26
	v_add_f32_e32 v1, v1, v38
	v_lshlrev_b32_e32 v3, 2, v3
	v_add_f32_e32 v1, v51, v1
	ds_bpermute_b32 v2, v3, v1
	s_and_saveexec_b64 s[30:31], vcc
	s_cbranch_execz .LBB378_11
; %bb.497:                              ;   in Loop: Header=BB378_13 Depth=1
	buffer_load_dword v3, off, s[0:3], s32 offset:216 ; 4-byte Folded Reload
	buffer_load_dword v6, off, s[0:3], s32 offset:208 ; 4-byte Folded Reload
	v_accvgpr_read_b32 v0, a47
	buffer_load_dword v5, off, s[0:3], s32 offset:212 ; 4-byte Folded Reload
	s_waitcnt lgkmcnt(0)
	v_add_f32_e32 v1, v1, v2
	v_accvgpr_read_b32 v2, a33
	s_load_dword s8, s[26:27], 0x0
	s_waitcnt vmcnt(2)
	v_add_u32_e32 v3, v3, v0
	v_cvt_f32_i32_e32 v3, v3
	s_waitcnt vmcnt(1)
	v_mul_f32_e32 v3, v6, v3
	v_cndmask_b32_e64 v3, 0, v3, s[6:7]
	v_fmac_f32_e32 v3, v1, v2
	buffer_load_dword v2, off, s[0:3], s32 offset:204 ; 4-byte Folded Reload
	s_waitcnt vmcnt(1)
	v_add_u32_e32 v5, v5, v0
	v_accvgpr_read_b32 v6, a43
	v_accvgpr_read_b32 v1, a3
	s_waitcnt lgkmcnt(0)
	v_add_u32_e32 v6, s8, v6
	v_cmp_lt_i32_e64 s[8:9], v5, v1
	v_cndmask_b32_e64 v1, 0, v3, s[8:9]
	ds_write_b32 v6, v1
	s_waitcnt vmcnt(0)
	v_max_f32_e32 v1, v2, v2
	v_max_f32_e32 v1, v1, v3
	v_cndmask_b32_e64 v2, v2, v1, s[8:9]
	buffer_store_dword v2, off, s[0:3], s32 offset:204 ; 4-byte Folded Spill
	s_branch .LBB378_11
.LBB378_498:
	s_or_b64 exec, exec, s[28:29]
	buffer_load_dword v15, off, s[0:3], s32 offset:296 ; 4-byte Folded Reload
	buffer_load_dword v14, off, s[0:3], s32 offset:292 ; 4-byte Folded Reload
	buffer_load_dword v30, off, s[0:3], s32 offset:288 ; 4-byte Folded Reload
	buffer_load_dword v24, off, s[0:3], s32 offset:280 ; 4-byte Folded Reload
	buffer_load_dword v25, off, s[0:3], s32 offset:284 ; 4-byte Folded Reload
	buffer_load_dword v22, off, s[0:3], s32 offset:272 ; 4-byte Folded Reload
	buffer_load_dword v26, off, s[0:3], s32 offset:276 ; 4-byte Folded Reload
	buffer_load_dword v27, off, s[0:3], s32 offset:264 ; 4-byte Folded Reload
	buffer_load_dword v34, off, s[0:3], s32 offset:268 ; 4-byte Folded Reload
	buffer_load_dword v31, off, s[0:3], s32 offset:236 ; 4-byte Folded Reload
	buffer_load_dword v28, off, s[0:3], s32 offset:260 ; 4-byte Folded Reload
	buffer_load_dword v32, off, s[0:3], s32 offset:252 ; 4-byte Folded Reload
	buffer_load_dword v33, off, s[0:3], s32 offset:256 ; 4-byte Folded Reload
	buffer_load_dword v35, off, s[0:3], s32 offset:232 ; 4-byte Folded Reload
	buffer_load_dword v23, off, s[0:3], s32 offset:240 ; 4-byte Folded Reload
	buffer_load_dword v29, off, s[0:3], s32 offset:244 ; 4-byte Folded Reload
	buffer_load_dword v36, off, s[0:3], s32 offset:248 ; 4-byte Folded Reload
	buffer_load_dword v7, off, s[0:3], s32 offset:204 ; 4-byte Folded Reload
	v_mbcnt_lo_u32_b32 v1, -1, 0
.LBB378_499:
	s_or_b64 exec, exec, s[24:25]
	v_mbcnt_hi_u32_b32 v0, -1, v1
	v_and_b32_e32 v1, 64, v0
	v_add_u32_e32 v1, 64, v1
	v_xor_b32_e32 v2, 32, v0
	v_cmp_lt_i32_e32 vcc, v2, v1
	v_cndmask_b32_e32 v2, v0, v2, vcc
	v_lshlrev_b32_e32 v2, 2, v2
	s_waitcnt vmcnt(0)
	ds_bpermute_b32 v3, v2, v7
	v_xor_b32_e32 v5, 16, v0
	v_max_f32_e32 v4, v7, v7
	v_cmp_lt_i32_e32 vcc, v5, v1
	v_xor_b32_e32 v6, 8, v0
	s_waitcnt lgkmcnt(0)
	v_max_f32_e32 v3, v3, v3
	v_max_f32_e32 v4, v4, v3
	v_cndmask_b32_e32 v3, v0, v5, vcc
	v_lshlrev_b32_e32 v3, 2, v3
	ds_bpermute_b32 v5, v3, v4
	v_cmp_lt_i32_e32 vcc, v6, v1
	v_xor_b32_e32 v7, 4, v0
	v_xor_b32_e32 v8, 2, v0
	s_lshr_b32 s28, s38, 16
	s_waitcnt lgkmcnt(0)
	v_max_f32_e32 v5, v5, v5
	v_max_f32_e32 v5, v4, v5
	v_cndmask_b32_e32 v4, v0, v6, vcc
	v_lshlrev_b32_e32 v4, 2, v4
	ds_bpermute_b32 v6, v4, v5
	v_cmp_lt_i32_e32 vcc, v7, v1
	s_waitcnt lgkmcnt(0)
	v_max_f32_e32 v6, v6, v6
	v_max_f32_e32 v6, v5, v6
	v_cndmask_b32_e32 v5, v0, v7, vcc
	v_lshlrev_b32_e32 v5, 2, v5
	ds_bpermute_b32 v7, v5, v6
	v_cmp_lt_i32_e32 vcc, v8, v1
	s_waitcnt lgkmcnt(0)
	v_max_f32_e32 v7, v7, v7
	v_max_f32_e32 v7, v6, v7
	v_cndmask_b32_e32 v6, v0, v8, vcc
	v_lshlrev_b32_e32 v20, 2, v6
	buffer_load_dword v6, off, s[0:3], s32 offset:192 ; 4-byte Folded Reload
	ds_bpermute_b32 v8, v20, v7
	s_waitcnt vmcnt(0)
	v_and_b32_e32 v59, 63, v6
	v_cmp_eq_u32_e32 vcc, 0, v59
	v_lshlrev_b32_e32 v6, 2, v28
	s_and_saveexec_b64 s[6:7], vcc
	s_cbranch_execz .LBB378_501
; %bb.500:
	s_waitcnt lgkmcnt(0)
	v_max_f32_e32 v8, v8, v8
	v_max_f32_e32 v7, v7, v7
	;; [unrolled: 1-line block ×3, first 2 shown]
	ds_write_b32 v6, v7 offset:192
.LBB378_501:
	s_or_b64 exec, exec, s[6:7]
	v_cmp_gt_u32_e64 s[6:7], 2, v59
	s_waitcnt lgkmcnt(0)
	v_mov_b32_e32 v8, 0xff7fffff
	v_lshlrev_b32_e32 v7, 2, v59
	s_barrier
	s_and_saveexec_b64 s[8:9], s[6:7]
	s_cbranch_execz .LBB378_503
; %bb.502:
	ds_read_b32 v8, v7 offset:192
.LBB378_503:
	s_or_b64 exec, exec, s[8:9]
	v_xor_b32_e32 v9, 1, v0
	v_cmp_lt_i32_e64 s[8:9], v9, v1
	v_cndmask_b32_e64 v1, v0, v9, s[8:9]
	v_lshlrev_b32_e32 v21, 2, v1
	s_waitcnt lgkmcnt(0)
	ds_bpermute_b32 v1, v21, v8
	v_accvgpr_read_b32 v9, a11
	v_subrev_u32_e32 v9, s21, v9
	v_max_f32_e32 v8, v8, v8
	v_lshlrev_b32_e32 v0, 2, v0
	s_waitcnt lgkmcnt(0)
	v_max_f32_e32 v1, v1, v1
	v_lshl_add_u32 v10, v9, 5, s15
	v_max_f32_e32 v1, v8, v1
	v_and_b32_e32 v9, 0x100, v0
	ds_bpermute_b32 v0, v9, v1
	v_accvgpr_read_b32 v1, a3
	v_min_i32_e32 v8, v10, v1
	buffer_load_dword v10, off, s[0:3], s32 offset:192 ; 4-byte Folded Reload
	v_subrev_u32_e32 v1, s15, v8
	s_waitcnt vmcnt(0)
	v_cmp_lt_i32_e64 s[8:9], v10, v1
	v_mov_b32_e32 v10, 0
	s_and_saveexec_b64 s[24:25], s[8:9]
	s_cbranch_execz .LBB378_507
; %bb.504:
	buffer_load_dword v12, off, s[0:3], s32 offset:192 ; 4-byte Folded Reload
	s_ashr_i32 s23, s22, 31
	s_lshl_b64 s[10:11], s[22:23], 2
	s_getpc_b64 s[26:27]
	s_add_u32 s26, s26, llvm.amdgcn.dynlds.offset.table@rel32@lo+4
	s_addc_u32 s27, s27, llvm.amdgcn.dynlds.offset.table@rel32@hi+12
	s_add_u32 s10, s10, s26
	s_addc_u32 s11, s11, s27
	s_load_dword s10, s[10:11], 0x0
	s_mov_b64 s[26:27], 0
	v_mov_b32_e32 v10, 0
	s_waitcnt vmcnt(0) lgkmcnt(0)
	v_lshl_add_u32 v11, v12, 2, s10
.LBB378_505:                            ; =>This Inner Loop Header: Depth=1
	ds_read_b32 v13, v11
	v_add_u32_e32 v12, 0x80, v12
	v_cmp_ge_i32_e64 s[10:11], v12, v1
	s_or_b64 s[26:27], s[10:11], s[26:27]
	s_waitcnt lgkmcnt(0)
	v_sub_f32_e32 v13, v13, v0
	v_mul_f32_e32 v13, 0x3fb8aa3b, v13
	v_exp_f32_e32 v13, v13
	ds_write_b32 v11, v13
	v_add_f32_e32 v10, v10, v13
	v_add_u32_e32 v11, 0x200, v11
	s_andn2_b64 exec, exec, s[26:27]
	s_cbranch_execnz .LBB378_505
; %bb.506:
	s_or_b64 exec, exec, s[26:27]
.LBB378_507:
	s_or_b64 exec, exec, s[24:25]
	ds_bpermute_b32 v2, v2, v10
	s_waitcnt lgkmcnt(0)
	v_add_f32_e32 v2, v10, v2
	ds_bpermute_b32 v3, v3, v2
	s_waitcnt lgkmcnt(0)
	v_add_f32_e32 v2, v2, v3
	ds_bpermute_b32 v3, v4, v2
	s_waitcnt lgkmcnt(0)
	v_add_f32_e32 v2, v2, v3
	ds_bpermute_b32 v3, v5, v2
	s_waitcnt lgkmcnt(0)
	v_add_f32_e32 v2, v2, v3
	ds_bpermute_b32 v3, v20, v2
	s_waitcnt lgkmcnt(0)
	v_add_f32_e32 v2, v2, v3
	ds_bpermute_b32 v3, v21, v2
	s_waitcnt lgkmcnt(0)
	v_add_f32_e32 v2, v2, v3
	s_and_saveexec_b64 s[10:11], vcc
	s_cbranch_execz .LBB378_509
; %bb.508:
	ds_write_b32 v6, v2 offset:200
.LBB378_509:
	s_or_b64 exec, exec, s[10:11]
	s_waitcnt lgkmcnt(0)
	s_barrier
	s_and_saveexec_b64 s[10:11], s[6:7]
	s_cbranch_execz .LBB378_511
; %bb.510:
	ds_read_b32 v2, v7 offset:200
.LBB378_511:
	s_or_b64 exec, exec, s[10:11]
	s_waitcnt lgkmcnt(0)
	ds_bpermute_b32 v3, v21, v2
	s_waitcnt lgkmcnt(0)
	v_add_f32_e32 v2, v2, v3
	ds_bpermute_b32 v2, v9, v2
	s_and_saveexec_b64 s[6:7], s[8:9]
	s_cbranch_execz .LBB378_524
; %bb.512:
	s_waitcnt lgkmcnt(0)
	v_add_f32_e32 v3, 0x358637bd, v2
	v_div_scale_f32 v4, s[8:9], v3, v3, 1.0
	v_rcp_f32_e32 v5, v4
	v_div_scale_f32 v6, vcc, 1.0, v3, 1.0
	s_movk_i32 s8, 0x7f
	v_fma_f32 v7, -v4, v5, 1.0
	v_fmac_f32_e32 v5, v7, v5
	v_mul_f32_e32 v7, v6, v5
	v_fma_f32 v9, -v4, v7, v6
	v_fmac_f32_e32 v7, v9, v5
	v_fma_f32 v4, -v4, v7, v6
	v_div_fmas_f32 v4, v4, v5, v7
	buffer_load_dword v5, off, s[0:3], s32 offset:192 ; 4-byte Folded Reload
	v_div_fixup_f32 v6, v4, v3, 1.0
	s_mov_b64 s[10:11], -1
	s_waitcnt vmcnt(0)
	v_xad_u32 v3, v5, -1, v8
	v_subrev_u32_e32 v4, s15, v3
	v_cmp_lt_u32_e32 vcc, s8, v4
	v_mov_b32_e32 v3, v5
	s_and_saveexec_b64 s[8:9], vcc
	s_cbranch_execz .LBB378_521
; %bb.513:
	v_lshrrev_b32_e32 v3, 7, v4
	v_add_u32_e32 v5, -1, v3
	v_lshrrev_b32_e32 v4, 1, v5
	v_mov_b32_e32 v7, v6
	v_add_u32_e32 v4, 1, v4
	v_cmp_lt_u32_e32 vcc, 13, v5
	v_mov_b32_e32 v9, 0
	s_and_saveexec_b64 s[10:11], vcc
	s_cbranch_execz .LBB378_517
; %bb.514:
	buffer_load_dword v8, off, s[0:3], s32 offset:192 ; 4-byte Folded Reload
	s_ashr_i32 s23, s22, 31
	s_lshl_b64 s[24:25], s[22:23], 2
	s_getpc_b64 s[26:27]
	s_add_u32 s26, s26, llvm.amdgcn.dynlds.offset.table@rel32@lo+4
	s_addc_u32 s27, s27, llvm.amdgcn.dynlds.offset.table@rel32@hi+12
	s_add_u32 s24, s24, s26
	s_addc_u32 s25, s25, s27
	s_load_dword s21, s[24:25], 0x0
	v_and_b32_e32 v5, -8, v4
	s_mov_b32 s15, 0
	s_mov_b64 s[24:25], 0
	s_waitcnt vmcnt(0) lgkmcnt(0)
	v_lshl_add_u32 v8, v8, 2, s21
.LBB378_515:                            ; =>This Inner Loop Header: Depth=1
	ds_read2st64_b32 v[10:11], v8 offset1:2
	ds_read2st64_b32 v[12:13], v8 offset0:4 offset1:6
	ds_read2st64_b32 v[18:19], v8 offset0:8 offset1:10
	;; [unrolled: 1-line block ×3, first 2 shown]
	v_add_u32_e32 v5, -8, v5
	s_waitcnt lgkmcnt(3)
	v_pk_mul_f32 v[10:11], v[6:7], v[10:11]
	s_waitcnt lgkmcnt(2)
	v_pk_mul_f32 v[12:13], v[6:7], v[12:13]
	ds_write2st64_b32 v8, v10, v11 offset1:2
	ds_write2st64_b32 v8, v12, v13 offset0:4 offset1:6
	ds_read2st64_b32 v[12:13], v8 offset0:16 offset1:18
	s_waitcnt lgkmcnt(4)
	v_pk_mul_f32 v[10:11], v[6:7], v[18:19]
	ds_write2st64_b32 v8, v10, v11 offset0:8 offset1:10
	s_waitcnt lgkmcnt(4)
	v_pk_mul_f32 v[10:11], v[6:7], v[16:17]
	ds_write2st64_b32 v8, v10, v11 offset0:12 offset1:14
	ds_read2st64_b32 v[10:11], v8 offset0:20 offset1:22
	s_waitcnt lgkmcnt(3)
	v_pk_mul_f32 v[12:13], v[6:7], v[12:13]
	ds_read2st64_b32 v[16:17], v8 offset0:24 offset1:26
	ds_write2st64_b32 v8, v12, v13 offset0:16 offset1:18
	ds_read2st64_b32 v[12:13], v8 offset0:28 offset1:30
	s_waitcnt lgkmcnt(3)
	v_pk_mul_f32 v[10:11], v[6:7], v[10:11]
	ds_write2st64_b32 v8, v10, v11 offset0:20 offset1:22
	s_waitcnt lgkmcnt(3)
	v_pk_mul_f32 v[10:11], v[6:7], v[16:17]
	ds_write2st64_b32 v8, v10, v11 offset0:24 offset1:26
	s_waitcnt lgkmcnt(2)
	v_pk_mul_f32 v[10:11], v[6:7], v[12:13]
	s_add_i32 s15, s15, 16
	v_cmp_eq_u32_e32 vcc, 0, v5
	ds_write2st64_b32 v8, v10, v11 offset0:28 offset1:30
	v_add_u32_e32 v8, 0x2000, v8
	s_or_b64 s[24:25], vcc, s[24:25]
	v_mov_b32_e32 v9, s15
	s_andn2_b64 exec, exec, s[24:25]
	s_cbranch_execnz .LBB378_515
; %bb.516:
	s_or_b64 exec, exec, s[24:25]
.LBB378_517:
	s_or_b64 exec, exec, s[10:11]
	v_and_b32_e32 v4, 7, v4
	v_cmp_ne_u32_e32 vcc, 0, v4
	s_and_saveexec_b64 s[10:11], vcc
	s_cbranch_execz .LBB378_520
; %bb.518:
	buffer_load_dword v8, off, s[0:3], s32 offset:192 ; 4-byte Folded Reload
	s_ashr_i32 s23, s22, 31
	s_lshl_b64 s[24:25], s[22:23], 2
	s_getpc_b64 s[26:27]
	s_add_u32 s26, s26, llvm.amdgcn.dynlds.offset.table@rel32@lo+4
	s_addc_u32 s27, s27, llvm.amdgcn.dynlds.offset.table@rel32@hi+12
	s_add_u32 s24, s24, s26
	s_addc_u32 s25, s25, s27
	s_load_dword s15, s[24:25], 0x0
	v_lshlrev_b32_e32 v5, 9, v9
	s_mov_b64 s[24:25], 0
	s_waitcnt vmcnt(0)
	v_lshlrev_b32_e32 v8, 2, v8
	s_waitcnt lgkmcnt(0)
	v_add3_u32 v5, v5, v8, s15
.LBB378_519:                            ; =>This Inner Loop Header: Depth=1
	ds_read2st64_b32 v[8:9], v5 offset1:2
	v_add_u32_e32 v4, -1, v4
	v_cmp_eq_u32_e32 vcc, 0, v4
	s_or_b64 s[24:25], vcc, s[24:25]
	s_waitcnt lgkmcnt(0)
	v_pk_mul_f32 v[8:9], v[6:7], v[8:9]
	ds_write2st64_b32 v5, v8, v9 offset1:2
	v_add_u32_e32 v5, 0x400, v5
	s_andn2_b64 exec, exec, s[24:25]
	s_cbranch_execnz .LBB378_519
.LBB378_520:
	s_or_b64 exec, exec, s[10:11]
	v_add_u32_e32 v4, 1, v3
	buffer_load_dword v3, off, s[0:3], s32 offset:192 ; 4-byte Folded Reload
	v_and_b32_e32 v5, 0x3fffffe, v4
	v_cmp_ne_u32_e32 vcc, v4, v5
	s_orn2_b64 s[10:11], vcc, exec
	s_waitcnt vmcnt(0)
	v_lshl_add_u32 v3, v5, 7, v3
.LBB378_521:
	s_or_b64 exec, exec, s[8:9]
	s_and_b64 exec, exec, s[10:11]
	s_cbranch_execz .LBB378_524
; %bb.522:
	s_ashr_i32 s23, s22, 31
	s_lshl_b64 s[8:9], s[22:23], 2
	s_getpc_b64 s[10:11]
	s_add_u32 s10, s10, llvm.amdgcn.dynlds.offset.table@rel32@lo+4
	s_addc_u32 s11, s11, llvm.amdgcn.dynlds.offset.table@rel32@hi+12
	s_add_u32 s8, s8, s10
	s_addc_u32 s9, s9, s11
	s_load_dword s8, s[8:9], 0x0
	s_waitcnt lgkmcnt(0)
	v_lshl_add_u32 v4, v3, 2, s8
	s_mov_b64 s[8:9], 0
.LBB378_523:                            ; =>This Inner Loop Header: Depth=1
	ds_read_b32 v5, v4
	v_add_u32_e32 v3, 0x80, v3
	v_cmp_ge_i32_e32 vcc, v3, v1
	s_or_b64 s[8:9], vcc, s[8:9]
	s_waitcnt lgkmcnt(0)
	v_mul_f32_e32 v5, v6, v5
	ds_write_b32 v4, v5
	v_add_u32_e32 v4, 0x200, v4
	s_andn2_b64 exec, exec, s[8:9]
	s_cbranch_execnz .LBB378_523
.LBB378_524:
	s_or_b64 exec, exec, s[6:7]
	s_waitcnt lgkmcnt(0)
	s_barrier
	buffer_load_dword v1, off, s[0:3], s32 offset:192 ; 4-byte Folded Reload
	v_cmp_ne_u16_e64 s[6:7], s28, 0
	s_cmp_lg_u64 s[6:7], 0
	s_addc_u32 s21, s13, 0
	s_waitcnt vmcnt(0)
	v_cmp_eq_u32_e32 vcc, 0, v1
	s_and_saveexec_b64 s[6:7], vcc
	s_cbranch_execz .LBB378_526
; %bb.525:
	s_mul_i32 s8, s21, s18
	s_mul_i32 s8, s8, s19
	;; [unrolled: 1-line block ×3, first 2 shown]
	s_ashr_i32 s9, s8, 31
	s_ashr_i32 s11, s10, 31
	;; [unrolled: 1-line block ×3, first 2 shown]
	s_lshl_b64 s[8:9], s[8:9], 2
	s_lshl_b64 s[10:11], s[10:11], 2
	;; [unrolled: 1-line block ×3, first 2 shown]
	s_add_u32 s10, s12, s10
	s_addc_u32 s11, s13, s11
	s_add_u32 s8, s10, s8
	s_addc_u32 s9, s11, s9
	v_mov_b32_e32 v1, s9
	v_add_co_u32_e32 v4, vcc, s8, v34
	v_addc_co_u32_e32 v5, vcc, v1, v27, vcc
	flat_store_dword v[4:5], v0
	v_add_co_u32_e32 v0, vcc, s8, v26
	v_addc_co_u32_e32 v1, vcc, v1, v22, vcc
	flat_store_dword v[0:1], v2
.LBB378_526:
	s_or_b64 exec, exec, s[6:7]
	buffer_load_dword v0, off, s[0:3], s32 offset:192 ; 4-byte Folded Reload
	s_ashr_i32 s23, s22, 31
	s_lshl_b64 s[6:7], s[22:23], 2
	s_getpc_b64 s[8:9]
	s_add_u32 s8, s8, llvm.amdgcn.dynlds.offset.table@rel32@lo+4
	s_addc_u32 s9, s9, llvm.amdgcn.dynlds.offset.table@rel32@hi+12
	s_add_u32 s6, s6, s8
	s_addc_u32 s7, s7, s9
	v_mov_b32_e32 v13, 0
	v_mov_b32_e32 v12, 0
	;; [unrolled: 1-line block ×6, first 2 shown]
	s_waitcnt vmcnt(0)
	v_and_b32_e32 v22, 3, v0
	s_and_saveexec_b64 s[8:9], s[4:5]
	s_cbranch_execz .LBB378_1248
; %bb.527:
	v_and_b32_e32 v0, 24, v31
	v_max_i32_e32 v36, v30, v36
	v_accvgpr_write_b32 a19, v0
	v_cvt_f32_u32_e32 v0, v36
	v_sub_u32_e32 v4, 0, v36
	v_add_co_u32_e32 v1, vcc, v25, v23
	v_rcp_iflag_f32_e32 v0, v0
	v_add_u32_e32 v3, -1, v35
	v_addc_co_u32_e32 v2, vcc, v24, v29, vcc
	v_mul_f32_e32 v0, 0x4f7ffffe, v0
	v_cvt_u32_f32_e32 v0, v0
	v_accvgpr_write_b32 a20, v3
	v_and_b32_e32 v3, 0x1f8, v31
	s_load_dword s4, s[6:7], 0x0
	v_mul_lo_u32 v4, v4, v0
	v_mul_hi_u32 v4, v0, v4
	v_add_u32_e32 v0, v0, v4
	v_accvgpr_write_b32 a22, v0
	v_add_co_u32_e32 v0, vcc, v1, v3
	v_addc_co_u32_e32 v1, vcc, 0, v2, vcc
	v_accvgpr_write_b32 a25, v1
	v_accvgpr_write_b32 a24, v0
	v_accvgpr_read_b32 v0, a12
	v_accvgpr_read_b32 v1, a13
	v_lshlrev_b64 v[0:1], 2, v[0:1]
	v_add_co_u32_e32 v0, vcc, v32, v0
	v_addc_co_u32_e32 v1, vcc, v33, v1, vcc
	v_add_co_u32_e32 v14, vcc, v14, v0
	v_addc_co_u32_e32 v15, vcc, v15, v1, vcc
	buffer_load_dword v1, off, s[0:3], s32 offset:228 ; 4-byte Folded Reload
	v_mov_b32_e32 v2, v22
	v_lshlrev_b32_e32 v0, 5, v2
	s_mov_b32 s10, -1
	v_lshl_or_b32 v0, v28, 7, v0
	v_accvgpr_write_b32 a17, v21
	v_accvgpr_write_b32 a16, v20
	s_mov_b32 s11, 0xffffff
	v_mov_b32_e32 v11, 0
	v_accvgpr_write_b32 a18, v22
	s_waitcnt lgkmcnt(0)
	v_add_u32_e32 v4, s4, v0
	s_mov_b64 s[12:13], 0
	s_mov_b32 s15, 0x7f800000
	s_movk_i32 s30, 0x7fff
	s_movk_i32 s31, 0x80
	;; [unrolled: 1-line block ×3, first 2 shown]
	v_bfrev_b32_e32 v28, 60
	v_mov_b32_e32 v18, 0
	v_mov_b32_e32 v19, 0
	;; [unrolled: 1-line block ×6, first 2 shown]
	s_branch .LBB378_530
.LBB378_528:                            ;   in Loop: Header=BB378_530 Depth=1
	s_or_b64 exec, exec, s[4:5]
	v_and_b32_e32 v27, 0xffff0000, v43
	v_and_b32_e32 v26, 0xffff0000, v55
	;; [unrolled: 1-line block ×8, first 2 shown]
	v_pk_add_f32 v[52:53], v[52:53], v[42:43]
	v_pk_add_f32 v[26:27], v[54:55], v[26:27]
	v_add_f32_e32 v3, v52, v53
	v_add_f32_e32 v3, v3, v26
	;; [unrolled: 1-line block ×3, first 2 shown]
	v_and_b32_e32 v27, 0xffff0000, v50
	v_and_b32_e32 v26, 0xffff0000, v48
	;; [unrolled: 1-line block ×8, first 2 shown]
	v_pk_add_f32 v[38:39], v[50:51], v[38:39]
	v_add_f32_e32 v12, v12, v3
	v_pk_add_f32 v[26:27], v[48:49], v[26:27]
	v_add_f32_e32 v3, v38, v39
	v_add_f32_e32 v3, v3, v26
	v_and_b32_e32 v9, 0xffff0000, v8
	v_and_b32_e32 v8, 0xffff0000, v31
	;; [unrolled: 1-line block ×7, first 2 shown]
	v_add_f32_e32 v3, v3, v27
	v_and_b32_e32 v27, 0xffff0000, v20
	v_pk_add_f32 v[20:21], v[38:39], v[30:31]
	v_add_f32_e32 v17, v17, v3
	v_pk_add_f32 v[8:9], v[26:27], v[8:9]
	v_add_f32_e32 v3, v20, v21
	v_add_f32_e32 v3, v3, v8
	v_add_f32_e32 v3, v3, v9
	v_add_f32_e32 v16, v16, v3
	v_accvgpr_read_b32 v3, a44
	v_and_b32_e32 v9, 0xffff0000, v3
	v_accvgpr_read_b32 v3, a43
	v_and_b32_e32 v8, 0xffff0000, v3
	v_accvgpr_read_b32 v3, a42
	v_and_b32_e32 v20, 0xffff0000, v3
	v_accvgpr_read_b32 v3, a41
	v_and_b32_e32 v25, 0xffff0000, v3
	v_accvgpr_read_b32 v3, a39
	v_and_b32_e32 v21, 0xffff0000, v24
	v_and_b32_e32 v24, 0xffff0000, v3
	v_accvgpr_read_b32 v3, a40
	v_and_b32_e32 v27, 0xffff0000, v3
	v_accvgpr_read_b32 v3, a38
	v_and_b32_e32 v26, 0xffff0000, v3
	v_pk_add_f32 v[24:25], v[26:27], v[24:25]
	v_pk_add_f32 v[8:9], v[20:21], v[8:9]
	v_add_f32_e32 v3, v24, v25
	v_add_f32_e32 v3, v3, v8
	v_add_f32_e32 v3, v3, v9
	v_add_f32_e32 v19, v19, v3
	v_accvgpr_read_b32 v3, a30
	v_and_b32_e32 v9, 0xffff0000, v3
	v_accvgpr_read_b32 v3, a28
	v_and_b32_e32 v8, 0xffff0000, v3
	;; [unrolled: 2-line block ×8, first 2 shown]
	v_pk_add_f32 v[24:25], v[26:27], v[24:25]
	v_pk_add_f32 v[8:9], v[20:21], v[8:9]
	v_add_f32_e32 v3, v24, v25
	v_add_f32_e32 v3, v3, v8
	v_and_b32_e32 v7, 0xffff0000, v7
	v_and_b32_e32 v6, 0xffff0000, v1
	;; [unrolled: 1-line block ×4, first 2 shown]
	v_add_f32_e32 v3, v3, v9
	v_and_b32_e32 v9, 0xffff0000, v5
	v_and_b32_e32 v8, 0xffff0000, v35
	;; [unrolled: 1-line block ×4, first 2 shown]
	v_pk_add_f32 v[0:1], v[0:1], v[6:7]
	v_add_f32_e32 v18, v18, v3
	v_pk_add_f32 v[2:3], v[20:21], v[8:9]
	v_add_f32_e32 v0, v0, v1
	v_add_f32_e32 v0, v0, v2
	v_add_f32_e32 v0, v0, v3
	v_add_f32_e32 v13, v13, v0
.LBB378_529:                            ;   in Loop: Header=BB378_530 Depth=1
	s_or_b64 exec, exec, s[22:23]
	v_accvgpr_read_b32 v2, a12
	v_add_co_u32_e32 v14, vcc, 8, v14
	v_add_u32_e32 v2, 2, v2
	v_addc_co_u32_e32 v15, vcc, 0, v15, vcc
	v_accvgpr_read_b32 v0, a11
	v_accvgpr_read_b32 v1, a13
	v_cmp_ge_i32_e32 vcc, v2, v0
	v_add_u32_e32 v1, 64, v1
	v_accvgpr_write_b32 a12, v2
	s_or_b64 s[12:13], vcc, s[12:13]
	v_add_u32_e32 v4, 0x100, v4
	s_andn2_b64 exec, exec, s[12:13]
	s_cbranch_execz .LBB378_1247
.LBB378_530:                            ; =>This Inner Loop Header: Depth=1
	s_waitcnt vmcnt(0)
	v_ashrrev_i32_e32 v0, 31, v1
	v_mov_b32_e32 v2, v1
	v_accvgpr_read_b32 v1, a9
	v_xor_b32_e32 v0, v0, v1
	v_sub_u32_e32 v1, 0, v2
	v_accvgpr_write_b32 a13, v2
	v_max_i32_e32 v1, v2, v1
	v_accvgpr_read_b32 v2, a8
	v_mul_hi_u32 v2, v1, v2
	v_accvgpr_read_b32 v5, a7
	v_mul_lo_u32 v3, v2, v5
	v_sub_u32_e32 v1, v1, v3
	v_add_u32_e32 v3, 1, v2
	v_cmp_ge_u32_e32 vcc, v1, v5
	v_cndmask_b32_e32 v2, v2, v3, vcc
	v_sub_u32_e32 v3, v1, v5
	v_cndmask_b32_e32 v1, v1, v3, vcc
	v_add_u32_e32 v3, 1, v2
	v_cmp_ge_u32_e32 vcc, v1, v5
	v_cndmask_b32_e32 v1, v2, v3, vcc
	v_xor_b32_e32 v1, v1, v0
	v_sub_u32_e32 v0, v1, v0
	v_accvgpr_read_b32 v2, a10
	v_add_u32_e32 v1, v0, v2
	v_sub_u32_e32 v3, 0, v1
	v_ashrrev_i32_e32 v2, 31, v1
	v_max_i32_e32 v1, v1, v3
	v_accvgpr_read_b32 v6, a22
	v_mul_hi_u32 v3, v1, v6
	v_mul_lo_u32 v3, v3, v36
	v_sub_u32_e32 v1, v1, v3
	v_sub_u32_e32 v3, v1, v36
	v_cmp_ge_u32_e32 vcc, v1, v36
	v_cndmask_b32_e32 v1, v1, v3, vcc
	v_sub_u32_e32 v3, v1, v36
	v_cmp_ge_u32_e32 vcc, v1, v36
	v_cndmask_b32_e32 v1, v1, v3, vcc
	v_xor_b32_e32 v1, v1, v2
	v_sub_u32_e32 v1, v1, v2
	v_cmp_eq_u32_e32 vcc, 0, v1
	v_accvgpr_read_b32 v1, a14
	v_cmp_gt_i32_e64 s[4:5], v0, v1
	s_or_b64 s[4:5], vcc, s[4:5]
	s_and_saveexec_b64 s[22:23], s[4:5]
	s_cbranch_execz .LBB378_529
; %bb.531:                              ;   in Loop: Header=BB378_530 Depth=1
	flat_load_dword v5, v[14:15]
	ds_read2_b64 v[6:9], v4 offset1:1
	ds_read2_b64 v[0:3], v4 offset0:2 offset1:3
                                        ; implicit-def: $vgpr26
	s_waitcnt lgkmcnt(0)
	v_and_b32_e32 v10, 0x7f800000, v6
	v_cmp_ne_u32_e32 vcc, s15, v10
	s_and_saveexec_b64 s[4:5], vcc
	s_xor_b64 s[4:5], exec, s[4:5]
; %bb.532:                              ;   in Loop: Header=BB378_530 Depth=1
	v_bfe_u32 v10, v6, 16, 1
	v_add3_u32 v26, v6, v10, s30
; %bb.533:                              ;   in Loop: Header=BB378_530 Depth=1
	s_andn2_saveexec_b64 s[4:5], s[4:5]
; %bb.534:                              ;   in Loop: Header=BB378_530 Depth=1
	v_or_b32_e32 v10, 0x10000, v6
	v_cmp_eq_u32_sdwa vcc, v6, v11 src0_sel:WORD_0 src1_sel:DWORD
	v_cndmask_b32_e32 v26, v10, v6, vcc
; %bb.535:                              ;   in Loop: Header=BB378_530 Depth=1
	s_or_b64 exec, exec, s[4:5]
	v_and_b32_e32 v6, 0x7f800000, v7
	v_cmp_ne_u32_e32 vcc, s15, v6
                                        ; implicit-def: $vgpr25
	s_and_saveexec_b64 s[4:5], vcc
	s_xor_b64 s[4:5], exec, s[4:5]
; %bb.536:                              ;   in Loop: Header=BB378_530 Depth=1
	v_bfe_u32 v6, v7, 16, 1
	v_add3_u32 v25, v7, v6, s30
; %bb.537:                              ;   in Loop: Header=BB378_530 Depth=1
	s_andn2_saveexec_b64 s[4:5], s[4:5]
; %bb.538:                              ;   in Loop: Header=BB378_530 Depth=1
	v_or_b32_e32 v6, 0x10000, v7
	v_cmp_eq_u32_sdwa vcc, v7, v11 src0_sel:WORD_0 src1_sel:DWORD
	v_cndmask_b32_e32 v25, v6, v7, vcc
; %bb.539:                              ;   in Loop: Header=BB378_530 Depth=1
	s_or_b64 exec, exec, s[4:5]
	v_and_b32_e32 v6, 0x7f800000, v8
	v_cmp_ne_u32_e32 vcc, s15, v6
                                        ; implicit-def: $vgpr24
	s_and_saveexec_b64 s[4:5], vcc
	s_xor_b64 s[4:5], exec, s[4:5]
; %bb.540:                              ;   in Loop: Header=BB378_530 Depth=1
	v_bfe_u32 v6, v8, 16, 1
	v_add3_u32 v24, v8, v6, s30
; %bb.541:                              ;   in Loop: Header=BB378_530 Depth=1
	s_andn2_saveexec_b64 s[4:5], s[4:5]
; %bb.542:                              ;   in Loop: Header=BB378_530 Depth=1
	v_or_b32_e32 v6, 0x10000, v8
	v_cmp_eq_u32_sdwa vcc, v8, v11 src0_sel:WORD_0 src1_sel:DWORD
	v_cndmask_b32_e32 v24, v6, v8, vcc
; %bb.543:                              ;   in Loop: Header=BB378_530 Depth=1
	s_or_b64 exec, exec, s[4:5]
	v_and_b32_e32 v6, 0x7f800000, v9
	v_cmp_ne_u32_e32 vcc, s15, v6
                                        ; implicit-def: $vgpr22
	s_and_saveexec_b64 s[4:5], vcc
	s_xor_b64 s[4:5], exec, s[4:5]
; %bb.544:                              ;   in Loop: Header=BB378_530 Depth=1
	v_bfe_u32 v6, v9, 16, 1
	v_add3_u32 v22, v9, v6, s30
                                        ; implicit-def: $vgpr6_vgpr7_vgpr8_vgpr9
; %bb.545:                              ;   in Loop: Header=BB378_530 Depth=1
	s_andn2_saveexec_b64 s[4:5], s[4:5]
; %bb.546:                              ;   in Loop: Header=BB378_530 Depth=1
	v_or_b32_e32 v6, 0x10000, v9
	v_cmp_eq_u32_sdwa vcc, v9, v11 src0_sel:WORD_0 src1_sel:DWORD
	v_cndmask_b32_e32 v22, v6, v9, vcc
; %bb.547:                              ;   in Loop: Header=BB378_530 Depth=1
	s_or_b64 exec, exec, s[4:5]
	v_and_b32_e32 v6, 0x7f800000, v0
	v_cmp_ne_u32_e32 vcc, s15, v6
                                        ; implicit-def: $vgpr21
	s_and_saveexec_b64 s[4:5], vcc
	s_xor_b64 s[4:5], exec, s[4:5]
; %bb.548:                              ;   in Loop: Header=BB378_530 Depth=1
	v_bfe_u32 v6, v0, 16, 1
	v_add3_u32 v21, v0, v6, s30
; %bb.549:                              ;   in Loop: Header=BB378_530 Depth=1
	s_andn2_saveexec_b64 s[4:5], s[4:5]
; %bb.550:                              ;   in Loop: Header=BB378_530 Depth=1
	v_or_b32_e32 v6, 0x10000, v0
	v_cmp_eq_u32_sdwa vcc, v0, v11 src0_sel:WORD_0 src1_sel:DWORD
	v_cndmask_b32_e32 v21, v6, v0, vcc
; %bb.551:                              ;   in Loop: Header=BB378_530 Depth=1
	s_or_b64 exec, exec, s[4:5]
	v_and_b32_e32 v0, 0x7f800000, v1
	v_cmp_ne_u32_e32 vcc, s15, v0
                                        ; implicit-def: $vgpr20
	s_and_saveexec_b64 s[4:5], vcc
	s_xor_b64 s[4:5], exec, s[4:5]
; %bb.552:                              ;   in Loop: Header=BB378_530 Depth=1
	v_bfe_u32 v0, v1, 16, 1
	v_add3_u32 v20, v1, v0, s30
; %bb.553:                              ;   in Loop: Header=BB378_530 Depth=1
	s_andn2_saveexec_b64 s[4:5], s[4:5]
; %bb.554:                              ;   in Loop: Header=BB378_530 Depth=1
	v_or_b32_e32 v0, 0x10000, v1
	v_cmp_eq_u32_sdwa vcc, v1, v11 src0_sel:WORD_0 src1_sel:DWORD
	v_cndmask_b32_e32 v20, v0, v1, vcc
; %bb.555:                              ;   in Loop: Header=BB378_530 Depth=1
	s_or_b64 exec, exec, s[4:5]
	v_and_b32_e32 v0, 0x7f800000, v2
	v_cmp_ne_u32_e32 vcc, s15, v0
                                        ; implicit-def: $vgpr9
	s_and_saveexec_b64 s[4:5], vcc
	s_xor_b64 s[4:5], exec, s[4:5]
; %bb.556:                              ;   in Loop: Header=BB378_530 Depth=1
	v_bfe_u32 v0, v2, 16, 1
	v_add3_u32 v9, v2, v0, s30
; %bb.557:                              ;   in Loop: Header=BB378_530 Depth=1
	s_andn2_saveexec_b64 s[4:5], s[4:5]
; %bb.558:                              ;   in Loop: Header=BB378_530 Depth=1
	v_or_b32_e32 v0, 0x10000, v2
	v_cmp_eq_u32_sdwa vcc, v2, v11 src0_sel:WORD_0 src1_sel:DWORD
	v_cndmask_b32_e32 v9, v0, v2, vcc
; %bb.559:                              ;   in Loop: Header=BB378_530 Depth=1
	s_or_b64 exec, exec, s[4:5]
	v_and_b32_e32 v0, 0x7f800000, v3
	v_cmp_ne_u32_e32 vcc, s15, v0
                                        ; implicit-def: $vgpr8
	s_and_saveexec_b64 s[4:5], vcc
	s_xor_b64 s[4:5], exec, s[4:5]
; %bb.560:                              ;   in Loop: Header=BB378_530 Depth=1
	v_bfe_u32 v0, v3, 16, 1
	v_add3_u32 v8, v3, v0, s30
                                        ; implicit-def: $vgpr0_vgpr1_vgpr2_vgpr3
; %bb.561:                              ;   in Loop: Header=BB378_530 Depth=1
	s_andn2_saveexec_b64 s[4:5], s[4:5]
; %bb.562:                              ;   in Loop: Header=BB378_530 Depth=1
	v_or_b32_e32 v0, 0x10000, v3
	v_cmp_eq_u32_sdwa vcc, v3, v11 src0_sel:WORD_0 src1_sel:DWORD
	v_cndmask_b32_e32 v8, v0, v3, vcc
; %bb.563:                              ;   in Loop: Header=BB378_530 Depth=1
	s_or_b64 exec, exec, s[4:5]
	v_accvgpr_read_b32 v2, a24
	v_accvgpr_read_b32 v0, a6
	;; [unrolled: 1-line block ×3, first 2 shown]
	s_waitcnt vmcnt(0)
	v_mad_i64_i32 v[0:1], s[4:5], v5, v0, v[2:3]
	flat_load_dwordx2 v[2:3], v[0:1]
	buffer_load_dword v6, off, s[0:3], s32 offset:196 ; 4-byte Folded Reload
	buffer_load_dword v7, off, s[0:3], s32 offset:200 ; 4-byte Folded Reload
	v_mov_b32_e32 v5, 0
	s_waitcnt vmcnt(0) lgkmcnt(0)
	v_cmp_ne_u16_sdwa s[24:25], v2, v11 src0_sel:BYTE_0 src1_sel:DWORD
	flat_load_dword v7, v[6:7]
	s_and_saveexec_b64 s[4:5], s[24:25]
	s_cbranch_execz .LBB378_569
; %bb.564:                              ;   in Loop: Header=BB378_530 Depth=1
	v_cmp_ne_u16_sdwa s[26:27], v2, s31 src0_sel:BYTE_0 src1_sel:DWORD
	v_bfrev_b32_e32 v5, 1
	s_and_saveexec_b64 s[24:25], s[26:27]
	s_cbranch_execz .LBB378_568
; %bb.565:                              ;   in Loop: Header=BB378_530 Depth=1
	v_and_b32_e32 v6, 0x7f, v2
	v_cmp_ne_u32_e32 vcc, s34, v6
	v_mov_b32_e32 v5, 0x7f800001
	s_and_saveexec_b64 s[26:27], vcc
	s_cbranch_execz .LBB378_567
; %bb.566:                              ;   in Loop: Header=BB378_530 Depth=1
	v_and_b32_e32 v5, 7, v2
	v_ffbh_u32_e32 v5, v5
	v_min_u32_e32 v5, 32, v5
	v_subrev_u32_e32 v23, 28, v5
	v_cmp_gt_u32_e32 vcc, 8, v6
	v_lshrrev_b32_e32 v10, 3, v6
	v_cndmask_b32_e32 v6, 0, v23, vcc
	v_sub_u32_e32 v5, 29, v5
	v_lshlrev_b64 v[30:31], v6, v[2:3]
	v_cndmask_b32_e32 v5, v10, v5, vcc
	v_lshlrev_b32_e32 v6, 20, v30
	v_lshlrev_b32_e32 v10, 24, v2
	v_and_b32_e32 v6, 0x700000, v6
	v_and_b32_e32 v10, 0x80000000, v10
	v_lshl_add_u32 v5, v5, 23, v28
	v_or3_b32 v5, v10, v5, v6
.LBB378_567:                            ;   in Loop: Header=BB378_530 Depth=1
	s_or_b64 exec, exec, s[26:27]
.LBB378_568:                            ;   in Loop: Header=BB378_530 Depth=1
	s_or_b64 exec, exec, s[24:25]
.LBB378_569:                            ;   in Loop: Header=BB378_530 Depth=1
	s_or_b64 exec, exec, s[4:5]
	s_waitcnt vmcnt(0) lgkmcnt(0)
	v_mul_f32_e32 v5, v7, v5
	v_and_b32_e32 v6, 0x7f800000, v5
	v_cmp_ne_u32_e32 vcc, s15, v6
                                        ; implicit-def: $vgpr27
	s_and_saveexec_b64 s[4:5], vcc
	s_xor_b64 s[4:5], exec, s[4:5]
; %bb.570:                              ;   in Loop: Header=BB378_530 Depth=1
	v_bfe_u32 v6, v5, 16, 1
	v_add3_u32 v27, v5, v6, s30
                                        ; implicit-def: $vgpr5
; %bb.571:                              ;   in Loop: Header=BB378_530 Depth=1
	s_andn2_saveexec_b64 s[4:5], s[4:5]
; %bb.572:                              ;   in Loop: Header=BB378_530 Depth=1
	v_or_b32_e32 v6, 0x10000, v5
	v_cmp_eq_u32_sdwa vcc, v5, v11 src0_sel:WORD_0 src1_sel:DWORD
	v_cndmask_b32_e32 v27, v6, v5, vcc
; %bb.573:                              ;   in Loop: Header=BB378_530 Depth=1
	s_or_b64 exec, exec, s[4:5]
	v_lshrrev_b16_e32 v6, 8, v2
	v_cmp_ne_u16_e32 vcc, 0, v6
	v_mov_b32_e32 v5, 0
	s_and_saveexec_b64 s[4:5], vcc
	s_cbranch_execz .LBB378_579
; %bb.574:                              ;   in Loop: Header=BB378_530 Depth=1
	v_cmp_ne_u16_e32 vcc, s31, v6
	v_bfrev_b32_e32 v5, 1
	s_and_saveexec_b64 s[24:25], vcc
	s_cbranch_execz .LBB378_578
; %bb.575:                              ;   in Loop: Header=BB378_530 Depth=1
	v_and_b32_e32 v10, 0x7f, v6
	v_cmp_ne_u32_e32 vcc, s34, v10
	v_mov_b32_e32 v5, 0x7f800001
	s_and_saveexec_b64 s[26:27], vcc
	s_cbranch_execz .LBB378_577
; %bb.576:                              ;   in Loop: Header=BB378_530 Depth=1
	v_and_b32_e32 v5, 7, v6
	v_ffbh_u32_e32 v28, v5
	v_min_u32_e32 v28, 32, v28
	v_subrev_u32_e32 v29, 28, v28
	v_lshlrev_b64 v[30:31], v29, v[6:7]
	v_lshrrev_b32_e32 v23, 3, v10
	v_sub_u32_e32 v6, 29, v28
	v_and_b32_e32 v28, 7, v30
	v_cmp_gt_u32_e32 vcc, 8, v10
	v_cndmask_b32_e32 v6, v23, v6, vcc
	v_cndmask_b32_e32 v5, v5, v28, vcc
	v_bfrev_b32_e32 v28, 60
	v_lshlrev_b32_e32 v10, 16, v2
	v_lshlrev_b32_e32 v5, 20, v5
	v_and_b32_e32 v10, 0x80000000, v10
	v_lshl_add_u32 v6, v6, 23, v28
	v_or3_b32 v5, v10, v6, v5
.LBB378_577:                            ;   in Loop: Header=BB378_530 Depth=1
	s_or_b64 exec, exec, s[26:27]
.LBB378_578:                            ;   in Loop: Header=BB378_530 Depth=1
	s_or_b64 exec, exec, s[24:25]
.LBB378_579:                            ;   in Loop: Header=BB378_530 Depth=1
	s_or_b64 exec, exec, s[4:5]
	v_mul_f32_e32 v5, v7, v5
	v_and_b32_e32 v6, 0x7f800000, v5
	v_cmp_ne_u32_e32 vcc, s15, v6
                                        ; implicit-def: $vgpr29
	s_and_saveexec_b64 s[4:5], vcc
	s_xor_b64 s[4:5], exec, s[4:5]
; %bb.580:                              ;   in Loop: Header=BB378_530 Depth=1
	v_bfe_u32 v6, v5, 16, 1
	v_add3_u32 v29, v5, v6, s30
                                        ; implicit-def: $vgpr5
; %bb.581:                              ;   in Loop: Header=BB378_530 Depth=1
	s_andn2_saveexec_b64 s[4:5], s[4:5]
; %bb.582:                              ;   in Loop: Header=BB378_530 Depth=1
	v_or_b32_e32 v6, 0x10000, v5
	v_cmp_eq_u32_sdwa vcc, v5, v11 src0_sel:WORD_0 src1_sel:DWORD
	v_cndmask_b32_e32 v29, v6, v5, vcc
; %bb.583:                              ;   in Loop: Header=BB378_530 Depth=1
	s_or_b64 exec, exec, s[4:5]
	v_lshrrev_b32_e32 v6, 16, v2
	v_cmp_ne_u16_sdwa s[24:25], v6, v11 src0_sel:BYTE_0 src1_sel:DWORD
	v_mov_b32_e32 v5, 0
	s_and_saveexec_b64 s[4:5], s[24:25]
	s_cbranch_execz .LBB378_589
; %bb.584:                              ;   in Loop: Header=BB378_530 Depth=1
	v_cmp_ne_u16_sdwa s[26:27], v6, s31 src0_sel:BYTE_0 src1_sel:DWORD
	v_bfrev_b32_e32 v5, 1
	s_and_saveexec_b64 s[24:25], s[26:27]
	s_cbranch_execz .LBB378_588
; %bb.585:                              ;   in Loop: Header=BB378_530 Depth=1
	v_bfe_u32 v10, v2, 16, 7
	v_cmp_ne_u32_e32 vcc, s34, v10
	v_mov_b32_e32 v5, 0x7f800001
	s_and_saveexec_b64 s[26:27], vcc
	s_cbranch_execz .LBB378_587
; %bb.586:                              ;   in Loop: Header=BB378_530 Depth=1
	v_and_b32_e32 v5, 7, v6
	v_ffbh_u32_e32 v28, v5
	v_min_u32_e32 v28, 32, v28
	v_subrev_u32_e32 v30, 28, v28
	v_lshlrev_b64 v[30:31], v30, v[6:7]
	v_lshrrev_b32_e32 v23, 3, v10
	v_sub_u32_e32 v28, 29, v28
	v_and_b32_e32 v30, 7, v30
	v_cmp_gt_u32_e32 vcc, 8, v10
	v_cndmask_b32_e32 v10, v23, v28, vcc
	v_bfrev_b32_e32 v28, 60
	v_cndmask_b32_e32 v5, v5, v30, vcc
	v_lshlrev_b32_e32 v6, 24, v6
	v_lshlrev_b32_e32 v5, 20, v5
	v_and_b32_e32 v6, 0x80000000, v6
	v_lshl_add_u32 v10, v10, 23, v28
	v_or3_b32 v5, v6, v10, v5
.LBB378_587:                            ;   in Loop: Header=BB378_530 Depth=1
	s_or_b64 exec, exec, s[26:27]
.LBB378_588:                            ;   in Loop: Header=BB378_530 Depth=1
	s_or_b64 exec, exec, s[24:25]
.LBB378_589:                            ;   in Loop: Header=BB378_530 Depth=1
	s_or_b64 exec, exec, s[4:5]
	v_mul_f32_e32 v5, v7, v5
	v_and_b32_e32 v6, 0x7f800000, v5
	v_cmp_ne_u32_e32 vcc, s15, v6
                                        ; implicit-def: $vgpr30
	s_and_saveexec_b64 s[4:5], vcc
	s_xor_b64 s[4:5], exec, s[4:5]
; %bb.590:                              ;   in Loop: Header=BB378_530 Depth=1
	v_bfe_u32 v6, v5, 16, 1
	v_add3_u32 v30, v5, v6, s30
                                        ; implicit-def: $vgpr5
; %bb.591:                              ;   in Loop: Header=BB378_530 Depth=1
	s_andn2_saveexec_b64 s[4:5], s[4:5]
; %bb.592:                              ;   in Loop: Header=BB378_530 Depth=1
	v_or_b32_e32 v6, 0x10000, v5
	v_cmp_eq_u32_sdwa vcc, v5, v11 src0_sel:WORD_0 src1_sel:DWORD
	v_cndmask_b32_e32 v30, v6, v5, vcc
; %bb.593:                              ;   in Loop: Header=BB378_530 Depth=1
	s_or_b64 exec, exec, s[4:5]
	v_cmp_lt_u32_e32 vcc, s11, v2
	v_mov_b32_e32 v5, 0
	s_and_saveexec_b64 s[4:5], vcc
	s_cbranch_execz .LBB378_599
; %bb.594:                              ;   in Loop: Header=BB378_530 Depth=1
	v_lshrrev_b32_e32 v6, 24, v2
	v_cmp_ne_u32_e32 vcc, s31, v6
	v_bfrev_b32_e32 v5, 1
	s_and_saveexec_b64 s[24:25], vcc
	s_cbranch_execz .LBB378_598
; %bb.595:                              ;   in Loop: Header=BB378_530 Depth=1
	v_bfe_u32 v10, v2, 24, 7
	v_cmp_ne_u32_e32 vcc, s34, v10
	v_mov_b32_e32 v5, 0x7f800001
	s_and_saveexec_b64 s[26:27], vcc
	s_cbranch_execz .LBB378_597
; %bb.596:                              ;   in Loop: Header=BB378_530 Depth=1
	v_and_b32_e32 v5, 7, v6
	v_ffbh_u32_e32 v28, v5
	v_min_u32_e32 v28, 32, v28
	v_subrev_u32_e32 v31, 28, v28
	v_lshlrev_b64 v[32:33], v31, v[6:7]
	v_lshrrev_b32_e32 v23, 3, v10
	v_sub_u32_e32 v28, 29, v28
	v_and_b32_e32 v31, 7, v32
	v_cmp_gt_u32_e32 vcc, 8, v10
	v_cndmask_b32_e32 v10, v23, v28, vcc
	v_bfrev_b32_e32 v28, 60
	v_cndmask_b32_e32 v5, v5, v31, vcc
	v_lshlrev_b32_e32 v6, 24, v6
	v_lshlrev_b32_e32 v5, 20, v5
	v_and_b32_e32 v6, 0x80000000, v6
	v_lshl_add_u32 v10, v10, 23, v28
	v_or3_b32 v5, v6, v10, v5
.LBB378_597:                            ;   in Loop: Header=BB378_530 Depth=1
	s_or_b64 exec, exec, s[26:27]
.LBB378_598:                            ;   in Loop: Header=BB378_530 Depth=1
	s_or_b64 exec, exec, s[24:25]
.LBB378_599:                            ;   in Loop: Header=BB378_530 Depth=1
	s_or_b64 exec, exec, s[4:5]
	v_mul_f32_e32 v5, v7, v5
	v_and_b32_e32 v6, 0x7f800000, v5
	v_cmp_ne_u32_e32 vcc, s15, v6
                                        ; implicit-def: $vgpr31
	s_and_saveexec_b64 s[4:5], vcc
	s_xor_b64 s[4:5], exec, s[4:5]
; %bb.600:                              ;   in Loop: Header=BB378_530 Depth=1
	v_bfe_u32 v6, v5, 16, 1
	v_add3_u32 v31, v5, v6, s30
                                        ; implicit-def: $vgpr5
; %bb.601:                              ;   in Loop: Header=BB378_530 Depth=1
	s_andn2_saveexec_b64 s[4:5], s[4:5]
; %bb.602:                              ;   in Loop: Header=BB378_530 Depth=1
	v_or_b32_e32 v6, 0x10000, v5
	v_cmp_eq_u32_sdwa vcc, v5, v11 src0_sel:WORD_0 src1_sel:DWORD
	v_cndmask_b32_e32 v31, v6, v5, vcc
; %bb.603:                              ;   in Loop: Header=BB378_530 Depth=1
	s_or_b64 exec, exec, s[4:5]
	v_mov_b32_e32 v10, v3
	v_cmp_ne_u16_sdwa s[24:25], v3, v11 src0_sel:BYTE_0 src1_sel:DWORD
	v_mov_b32_e32 v5, 0
	s_and_saveexec_b64 s[4:5], s[24:25]
	s_cbranch_execz .LBB378_609
; %bb.604:                              ;   in Loop: Header=BB378_530 Depth=1
	v_cmp_ne_u16_sdwa s[26:27], v3, s31 src0_sel:BYTE_0 src1_sel:DWORD
	v_bfrev_b32_e32 v5, 1
	s_and_saveexec_b64 s[24:25], s[26:27]
	s_cbranch_execz .LBB378_608
; %bb.605:                              ;   in Loop: Header=BB378_530 Depth=1
	v_and_b32_e32 v6, 0x7f, v3
	v_cmp_ne_u32_e32 vcc, s34, v6
	v_mov_b32_e32 v5, 0x7f800001
	s_and_saveexec_b64 s[26:27], vcc
	s_cbranch_execz .LBB378_607
; %bb.606:                              ;   in Loop: Header=BB378_530 Depth=1
	v_and_b32_e32 v5, 7, v3
	v_ffbh_u32_e32 v5, v5
	v_min_u32_e32 v5, 32, v5
	v_subrev_u32_e32 v28, 28, v5
	v_cmp_gt_u32_e32 vcc, 8, v6
	v_lshrrev_b32_e32 v23, 3, v6
	v_cndmask_b32_e32 v6, 0, v28, vcc
	v_sub_u32_e32 v5, 29, v5
	v_lshlrev_b64 v[32:33], v6, v[10:11]
	v_cndmask_b32_e32 v5, v23, v5, vcc
	v_bfrev_b32_e32 v28, 60
	v_lshlrev_b32_e32 v6, 20, v32
	v_lshlrev_b32_e32 v23, 24, v10
	v_and_b32_e32 v6, 0x700000, v6
	v_and_b32_e32 v23, 0x80000000, v23
	v_lshl_add_u32 v5, v5, 23, v28
	v_or3_b32 v5, v23, v5, v6
.LBB378_607:                            ;   in Loop: Header=BB378_530 Depth=1
	s_or_b64 exec, exec, s[26:27]
.LBB378_608:                            ;   in Loop: Header=BB378_530 Depth=1
	s_or_b64 exec, exec, s[24:25]
.LBB378_609:                            ;   in Loop: Header=BB378_530 Depth=1
	s_or_b64 exec, exec, s[4:5]
	v_mul_f32_e32 v5, v7, v5
	v_and_b32_e32 v6, 0x7f800000, v5
	v_cmp_ne_u32_e32 vcc, s15, v6
                                        ; implicit-def: $vgpr32
	s_and_saveexec_b64 s[4:5], vcc
	s_xor_b64 s[4:5], exec, s[4:5]
; %bb.610:                              ;   in Loop: Header=BB378_530 Depth=1
	v_bfe_u32 v6, v5, 16, 1
	v_add3_u32 v32, v5, v6, s30
                                        ; implicit-def: $vgpr5
; %bb.611:                              ;   in Loop: Header=BB378_530 Depth=1
	s_andn2_saveexec_b64 s[4:5], s[4:5]
; %bb.612:                              ;   in Loop: Header=BB378_530 Depth=1
	v_or_b32_e32 v6, 0x10000, v5
	v_cmp_eq_u32_sdwa vcc, v5, v11 src0_sel:WORD_0 src1_sel:DWORD
	v_cndmask_b32_e32 v32, v6, v5, vcc
; %bb.613:                              ;   in Loop: Header=BB378_530 Depth=1
	s_or_b64 exec, exec, s[4:5]
	v_lshrrev_b16_e32 v6, 8, v10
	v_cmp_ne_u16_e32 vcc, 0, v6
	v_mov_b32_e32 v5, 0
	s_and_saveexec_b64 s[4:5], vcc
	s_cbranch_execz .LBB378_619
; %bb.614:                              ;   in Loop: Header=BB378_530 Depth=1
	v_cmp_ne_u16_e32 vcc, s31, v6
	v_bfrev_b32_e32 v5, 1
	s_and_saveexec_b64 s[24:25], vcc
	s_cbranch_execz .LBB378_618
; %bb.615:                              ;   in Loop: Header=BB378_530 Depth=1
	v_and_b32_e32 v33, 0x7f, v6
	v_cmp_ne_u32_e32 vcc, s34, v33
	v_mov_b32_e32 v5, 0x7f800001
	s_and_saveexec_b64 s[26:27], vcc
	s_cbranch_execz .LBB378_617
; %bb.616:                              ;   in Loop: Header=BB378_530 Depth=1
	v_and_b32_e32 v5, 7, v6
	v_ffbh_u32_e32 v28, v5
	v_min_u32_e32 v28, 32, v28
	v_subrev_u32_e32 v34, 28, v28
	v_lshlrev_b64 v[34:35], v34, v[6:7]
	v_lshrrev_b32_e32 v23, 3, v33
	v_sub_u32_e32 v6, 29, v28
	v_and_b32_e32 v28, 7, v34
	v_cmp_gt_u32_e32 vcc, 8, v33
	v_cndmask_b32_e32 v6, v23, v6, vcc
	v_cndmask_b32_e32 v5, v5, v28, vcc
	v_bfrev_b32_e32 v28, 60
	v_lshlrev_b32_e32 v10, 16, v10
	v_lshlrev_b32_e32 v5, 20, v5
	v_and_b32_e32 v10, 0x80000000, v10
	v_lshl_add_u32 v6, v6, 23, v28
	v_or3_b32 v5, v10, v6, v5
.LBB378_617:                            ;   in Loop: Header=BB378_530 Depth=1
	s_or_b64 exec, exec, s[26:27]
.LBB378_618:                            ;   in Loop: Header=BB378_530 Depth=1
	s_or_b64 exec, exec, s[24:25]
.LBB378_619:                            ;   in Loop: Header=BB378_530 Depth=1
	s_or_b64 exec, exec, s[4:5]
	v_mul_f32_e32 v6, v7, v5
	v_and_b32_e32 v5, 0x7f800000, v6
	v_cmp_ne_u32_e32 vcc, s15, v5
                                        ; implicit-def: $vgpr5
	s_and_saveexec_b64 s[4:5], vcc
	s_xor_b64 s[4:5], exec, s[4:5]
; %bb.620:                              ;   in Loop: Header=BB378_530 Depth=1
	v_bfe_u32 v5, v6, 16, 1
	v_add3_u32 v5, v6, v5, s30
                                        ; implicit-def: $vgpr6
; %bb.621:                              ;   in Loop: Header=BB378_530 Depth=1
	s_andn2_saveexec_b64 s[4:5], s[4:5]
; %bb.622:                              ;   in Loop: Header=BB378_530 Depth=1
	v_or_b32_e32 v5, 0x10000, v6
	v_cmp_eq_u32_sdwa vcc, v6, v11 src0_sel:WORD_0 src1_sel:DWORD
	v_cndmask_b32_e32 v5, v5, v6, vcc
; %bb.623:                              ;   in Loop: Header=BB378_530 Depth=1
	s_or_b64 exec, exec, s[4:5]
	v_lshrrev_b32_e32 v6, 16, v3
	v_cmp_ne_u16_sdwa s[24:25], v6, v11 src0_sel:BYTE_0 src1_sel:DWORD
	v_mov_b32_e32 v10, 0
	s_and_saveexec_b64 s[4:5], s[24:25]
	s_cbranch_execz .LBB378_629
; %bb.624:                              ;   in Loop: Header=BB378_530 Depth=1
	v_cmp_ne_u16_sdwa s[26:27], v6, s31 src0_sel:BYTE_0 src1_sel:DWORD
	v_bfrev_b32_e32 v10, 1
	s_and_saveexec_b64 s[24:25], s[26:27]
	s_cbranch_execz .LBB378_628
; %bb.625:                              ;   in Loop: Header=BB378_530 Depth=1
	v_bfe_u32 v33, v3, 16, 7
	v_cmp_ne_u32_e32 vcc, s34, v33
	v_mov_b32_e32 v10, 0x7f800001
	s_and_saveexec_b64 s[26:27], vcc
	s_cbranch_execz .LBB378_627
; %bb.626:                              ;   in Loop: Header=BB378_530 Depth=1
	v_and_b32_e32 v10, 7, v6
	v_ffbh_u32_e32 v28, v10
	v_min_u32_e32 v28, 32, v28
	v_subrev_u32_e32 v34, 28, v28
	v_lshlrev_b64 v[34:35], v34, v[6:7]
	v_lshrrev_b32_e32 v23, 3, v33
	v_sub_u32_e32 v28, 29, v28
	v_and_b32_e32 v34, 7, v34
	v_cmp_gt_u32_e32 vcc, 8, v33
	v_cndmask_b32_e32 v23, v23, v28, vcc
	v_bfrev_b32_e32 v28, 60
	v_cndmask_b32_e32 v10, v10, v34, vcc
	v_lshlrev_b32_e32 v6, 24, v6
	v_lshlrev_b32_e32 v10, 20, v10
	v_and_b32_e32 v6, 0x80000000, v6
	v_lshl_add_u32 v23, v23, 23, v28
	v_or3_b32 v10, v6, v23, v10
.LBB378_627:                            ;   in Loop: Header=BB378_530 Depth=1
	s_or_b64 exec, exec, s[26:27]
.LBB378_628:                            ;   in Loop: Header=BB378_530 Depth=1
	s_or_b64 exec, exec, s[24:25]
.LBB378_629:                            ;   in Loop: Header=BB378_530 Depth=1
	s_or_b64 exec, exec, s[4:5]
	v_mul_f32_e32 v6, v7, v10
	v_and_b32_e32 v10, 0x7f800000, v6
	v_cmp_ne_u32_e32 vcc, s15, v10
                                        ; implicit-def: $vgpr33
	s_and_saveexec_b64 s[4:5], vcc
	s_xor_b64 s[4:5], exec, s[4:5]
; %bb.630:                              ;   in Loop: Header=BB378_530 Depth=1
	v_bfe_u32 v10, v6, 16, 1
	v_add3_u32 v33, v6, v10, s30
                                        ; implicit-def: $vgpr6
; %bb.631:                              ;   in Loop: Header=BB378_530 Depth=1
	s_andn2_saveexec_b64 s[4:5], s[4:5]
; %bb.632:                              ;   in Loop: Header=BB378_530 Depth=1
	v_or_b32_e32 v10, 0x10000, v6
	v_cmp_eq_u32_sdwa vcc, v6, v11 src0_sel:WORD_0 src1_sel:DWORD
	v_cndmask_b32_e32 v33, v10, v6, vcc
; %bb.633:                              ;   in Loop: Header=BB378_530 Depth=1
	s_or_b64 exec, exec, s[4:5]
	v_cmp_lt_u64_e32 vcc, s[10:11], v[2:3]
	v_mov_b32_e32 v6, 0
	s_and_saveexec_b64 s[4:5], vcc
	s_cbranch_execz .LBB378_639
; %bb.634:                              ;   in Loop: Header=BB378_530 Depth=1
	v_lshrrev_b32_e32 v2, 24, v3
	v_cmp_ne_u32_e32 vcc, s31, v2
	v_bfrev_b32_e32 v6, 1
	s_and_saveexec_b64 s[24:25], vcc
	s_cbranch_execz .LBB378_638
; %bb.635:                              ;   in Loop: Header=BB378_530 Depth=1
	v_bfe_u32 v3, v3, 24, 7
	v_cmp_ne_u32_e32 vcc, s34, v3
	v_mov_b32_e32 v6, 0x7f800001
	s_and_saveexec_b64 s[26:27], vcc
	s_cbranch_execz .LBB378_637
; %bb.636:                              ;   in Loop: Header=BB378_530 Depth=1
	v_and_b32_e32 v6, 7, v2
	v_ffbh_u32_e32 v23, v6
	v_min_u32_e32 v23, 32, v23
	v_subrev_u32_e32 v28, 28, v23
	v_lshlrev_b64 v[34:35], v28, v[2:3]
	v_lshrrev_b32_e32 v10, 3, v3
	v_sub_u32_e32 v23, 29, v23
	v_and_b32_e32 v28, 7, v34
	v_cmp_gt_u32_e32 vcc, 8, v3
	v_cndmask_b32_e32 v3, v10, v23, vcc
	v_cndmask_b32_e32 v6, v6, v28, vcc
	v_bfrev_b32_e32 v28, 60
	v_lshlrev_b32_e32 v2, 24, v2
	v_lshlrev_b32_e32 v6, 20, v6
	v_and_b32_e32 v2, 0x80000000, v2
	v_lshl_add_u32 v3, v3, 23, v28
	v_or3_b32 v6, v2, v3, v6
.LBB378_637:                            ;   in Loop: Header=BB378_530 Depth=1
	s_or_b64 exec, exec, s[26:27]
.LBB378_638:                            ;   in Loop: Header=BB378_530 Depth=1
	s_or_b64 exec, exec, s[24:25]
.LBB378_639:                            ;   in Loop: Header=BB378_530 Depth=1
	s_or_b64 exec, exec, s[4:5]
	v_mul_f32_e32 v3, v7, v6
	v_and_b32_e32 v2, 0x7f800000, v3
	v_cmp_ne_u32_e32 vcc, s15, v2
                                        ; implicit-def: $vgpr2
	s_and_saveexec_b64 s[4:5], vcc
	s_xor_b64 s[4:5], exec, s[4:5]
; %bb.640:                              ;   in Loop: Header=BB378_530 Depth=1
	v_bfe_u32 v2, v3, 16, 1
	v_add3_u32 v2, v3, v2, s30
                                        ; implicit-def: $vgpr3
; %bb.641:                              ;   in Loop: Header=BB378_530 Depth=1
	s_andn2_saveexec_b64 s[4:5], s[4:5]
; %bb.642:                              ;   in Loop: Header=BB378_530 Depth=1
	v_or_b32_e32 v2, 0x10000, v3
	v_cmp_eq_u32_sdwa vcc, v3, v11 src0_sel:WORD_0 src1_sel:DWORD
	v_cndmask_b32_e32 v2, v2, v3, vcc
; %bb.643:                              ;   in Loop: Header=BB378_530 Depth=1
	s_or_b64 exec, exec, s[4:5]
	v_accvgpr_read_b32 v6, a12
	v_accvgpr_read_b32 v3, a20
	v_cmp_eq_u32_e32 vcc, v3, v6
	v_accvgpr_read_b32 v3, a13
	v_accvgpr_read_b32 v6, a19
	v_add_u32_e32 v51, v6, v3
	v_add_u32_e32 v23, 1, v51
	v_accvgpr_write_b32 a37, v23
	v_add_u32_e32 v23, 2, v51
	v_accvgpr_write_b32 a36, v23
	;; [unrolled: 2-line block ×6, first 2 shown]
	v_add_u32_e32 v23, 7, v51
	v_lshrrev_b32_e32 v5, 16, v5
	v_lshrrev_b32_e32 v6, 16, v32
	;; [unrolled: 1-line block ×8, first 2 shown]
	v_accvgpr_write_b32 a31, v23
	s_and_saveexec_b64 s[24:25], vcc
	s_cbranch_execz .LBB378_645
; %bb.644:                              ;   in Loop: Header=BB378_530 Depth=1
	v_accvgpr_read_b32 v23, a3
	v_cmp_lt_i32_e64 s[4:5], v51, v23
	v_accvgpr_read_b32 v31, a37
	v_cndmask_b32_e64 v27, 0, v27, s[4:5]
	v_cmp_lt_i32_e64 s[4:5], v31, v23
	v_accvgpr_read_b32 v31, a36
	v_cndmask_b32_e64 v29, 0, v29, s[4:5]
	;; [unrolled: 3-line block ×7, first 2 shown]
	v_cmp_lt_i32_e64 s[4:5], v31, v23
	v_cndmask_b32_e64 v2, 0, v2, s[4:5]
.LBB378_645:                            ;   in Loop: Header=BB378_530 Depth=1
	s_or_b64 exec, exec, s[24:25]
	v_and_b32_e32 v46, 0xffff0000, v26
	v_lshlrev_b32_e32 v23, 16, v27
	v_mul_f32_e32 v26, v46, v23
	v_and_b32_e32 v23, 0x7f800000, v26
	v_cmp_ne_u32_e64 s[4:5], s15, v23
                                        ; implicit-def: $agpr15
	s_and_saveexec_b64 s[24:25], s[4:5]
	s_xor_b64 s[4:5], exec, s[24:25]
; %bb.646:                              ;   in Loop: Header=BB378_530 Depth=1
	v_bfe_u32 v23, v26, 16, 1
	v_add3_u32 v23, v26, v23, s30
	v_accvgpr_write_b32 a15, v23
                                        ; implicit-def: $vgpr26
; %bb.647:                              ;   in Loop: Header=BB378_530 Depth=1
	s_andn2_saveexec_b64 s[24:25], s[4:5]
; %bb.648:                              ;   in Loop: Header=BB378_530 Depth=1
	v_or_b32_e32 v23, 0x10000, v26
	v_cmp_eq_u32_sdwa s[4:5], v26, v11 src0_sel:WORD_0 src1_sel:DWORD
	v_cndmask_b32_e64 v23, v23, v26, s[4:5]
	v_accvgpr_write_b32 a15, v23
; %bb.649:                              ;   in Loop: Header=BB378_530 Depth=1
	s_or_b64 exec, exec, s[24:25]
	v_and_b32_e32 v47, 0xffff0000, v25
	v_lshlrev_b32_e32 v23, 16, v29
	v_mul_f32_e32 v25, v47, v23
	v_and_b32_e32 v23, 0x7f800000, v25
	v_cmp_ne_u32_e64 s[4:5], s15, v23
                                        ; implicit-def: $agpr21
	s_and_saveexec_b64 s[24:25], s[4:5]
	s_xor_b64 s[4:5], exec, s[24:25]
; %bb.650:                              ;   in Loop: Header=BB378_530 Depth=1
	v_bfe_u32 v23, v25, 16, 1
	v_add3_u32 v23, v25, v23, s30
	v_accvgpr_write_b32 a21, v23
                                        ; implicit-def: $vgpr25
; %bb.651:                              ;   in Loop: Header=BB378_530 Depth=1
	s_andn2_saveexec_b64 s[24:25], s[4:5]
; %bb.652:                              ;   in Loop: Header=BB378_530 Depth=1
	v_or_b32_e32 v23, 0x10000, v25
	v_cmp_eq_u32_sdwa s[4:5], v25, v11 src0_sel:WORD_0 src1_sel:DWORD
	v_cndmask_b32_e64 v23, v23, v25, s[4:5]
	v_accvgpr_write_b32 a21, v23
; %bb.653:                              ;   in Loop: Header=BB378_530 Depth=1
	s_or_b64 exec, exec, s[24:25]
	v_and_b32_e32 v56, 0xffff0000, v24
	v_lshlrev_b32_e32 v23, 16, v30
	v_mul_f32_e32 v24, v56, v23
	v_and_b32_e32 v23, 0x7f800000, v24
	v_cmp_ne_u32_e64 s[4:5], s15, v23
                                        ; implicit-def: $agpr23
	s_and_saveexec_b64 s[24:25], s[4:5]
	s_xor_b64 s[4:5], exec, s[24:25]
; %bb.654:                              ;   in Loop: Header=BB378_530 Depth=1
	v_bfe_u32 v23, v24, 16, 1
	v_add3_u32 v23, v24, v23, s30
	v_accvgpr_write_b32 a23, v23
                                        ; implicit-def: $vgpr24
; %bb.655:                              ;   in Loop: Header=BB378_530 Depth=1
	s_andn2_saveexec_b64 s[24:25], s[4:5]
; %bb.656:                              ;   in Loop: Header=BB378_530 Depth=1
	v_or_b32_e32 v23, 0x10000, v24
	v_cmp_eq_u32_sdwa s[4:5], v24, v11 src0_sel:WORD_0 src1_sel:DWORD
	v_cndmask_b32_e64 v23, v23, v24, s[4:5]
	v_accvgpr_write_b32 a23, v23
; %bb.657:                              ;   in Loop: Header=BB378_530 Depth=1
	s_or_b64 exec, exec, s[24:25]
	v_and_b32_e32 v57, 0xffff0000, v22
	v_lshlrev_b32_e32 v10, 16, v10
	v_mul_f32_e32 v10, v57, v10
	v_and_b32_e32 v22, 0x7f800000, v10
	v_cmp_ne_u32_e64 s[4:5], s15, v22
                                        ; implicit-def: $agpr26
	s_and_saveexec_b64 s[24:25], s[4:5]
	s_xor_b64 s[4:5], exec, s[24:25]
; %bb.658:                              ;   in Loop: Header=BB378_530 Depth=1
	v_bfe_u32 v22, v10, 16, 1
	v_add3_u32 v10, v10, v22, s30
	v_accvgpr_write_b32 a26, v10
                                        ; implicit-def: $vgpr10
; %bb.659:                              ;   in Loop: Header=BB378_530 Depth=1
	s_andn2_saveexec_b64 s[24:25], s[4:5]
; %bb.660:                              ;   in Loop: Header=BB378_530 Depth=1
	v_or_b32_e32 v22, 0x10000, v10
	v_cmp_eq_u32_sdwa s[4:5], v10, v11 src0_sel:WORD_0 src1_sel:DWORD
	v_cndmask_b32_e64 v10, v22, v10, s[4:5]
	v_accvgpr_write_b32 a26, v10
; %bb.661:                              ;   in Loop: Header=BB378_530 Depth=1
	s_or_b64 exec, exec, s[24:25]
	v_and_b32_e32 v58, 0xffff0000, v21
	v_lshlrev_b32_e32 v6, 16, v6
	v_mul_f32_e32 v6, v58, v6
	v_and_b32_e32 v10, 0x7f800000, v6
	v_cmp_ne_u32_e64 s[4:5], s15, v10
                                        ; implicit-def: $agpr27
	s_and_saveexec_b64 s[24:25], s[4:5]
	s_xor_b64 s[4:5], exec, s[24:25]
; %bb.662:                              ;   in Loop: Header=BB378_530 Depth=1
	v_bfe_u32 v10, v6, 16, 1
	v_add3_u32 v6, v6, v10, s30
	v_accvgpr_write_b32 a27, v6
                                        ; implicit-def: $vgpr6
; %bb.663:                              ;   in Loop: Header=BB378_530 Depth=1
	s_andn2_saveexec_b64 s[24:25], s[4:5]
; %bb.664:                              ;   in Loop: Header=BB378_530 Depth=1
	v_or_b32_e32 v10, 0x10000, v6
	v_cmp_eq_u32_sdwa s[4:5], v6, v11 src0_sel:WORD_0 src1_sel:DWORD
	v_cndmask_b32_e64 v6, v10, v6, s[4:5]
	v_accvgpr_write_b32 a27, v6
; %bb.665:                              ;   in Loop: Header=BB378_530 Depth=1
	s_or_b64 exec, exec, s[24:25]
	v_and_b32_e32 v60, 0xffff0000, v20
	v_lshlrev_b32_e32 v5, 16, v5
	v_mul_f32_e32 v5, v60, v5
	v_and_b32_e32 v6, 0x7f800000, v5
	v_cmp_ne_u32_e64 s[4:5], s15, v6
                                        ; implicit-def: $agpr28
	s_and_saveexec_b64 s[24:25], s[4:5]
	s_xor_b64 s[4:5], exec, s[24:25]
; %bb.666:                              ;   in Loop: Header=BB378_530 Depth=1
	v_bfe_u32 v6, v5, 16, 1
	v_add3_u32 v5, v5, v6, s30
	v_accvgpr_write_b32 a28, v5
                                        ; implicit-def: $vgpr5
; %bb.667:                              ;   in Loop: Header=BB378_530 Depth=1
	s_andn2_saveexec_b64 s[24:25], s[4:5]
; %bb.668:                              ;   in Loop: Header=BB378_530 Depth=1
	v_or_b32_e32 v6, 0x10000, v5
	v_cmp_eq_u32_sdwa s[4:5], v5, v11 src0_sel:WORD_0 src1_sel:DWORD
	v_cndmask_b32_e64 v5, v6, v5, s[4:5]
	v_accvgpr_write_b32 a28, v5
; %bb.669:                              ;   in Loop: Header=BB378_530 Depth=1
	s_or_b64 exec, exec, s[24:25]
	v_and_b32_e32 v34, 0xffff0000, v9
	v_lshlrev_b32_e32 v3, 16, v3
	v_mul_f32_e32 v3, v34, v3
	v_and_b32_e32 v5, 0x7f800000, v3
	v_cmp_ne_u32_e64 s[4:5], s15, v5
                                        ; implicit-def: $agpr29
	s_and_saveexec_b64 s[24:25], s[4:5]
	s_xor_b64 s[4:5], exec, s[24:25]
; %bb.670:                              ;   in Loop: Header=BB378_530 Depth=1
	v_bfe_u32 v5, v3, 16, 1
	v_add3_u32 v3, v3, v5, s30
	v_accvgpr_write_b32 a29, v3
                                        ; implicit-def: $vgpr3
; %bb.671:                              ;   in Loop: Header=BB378_530 Depth=1
	s_andn2_saveexec_b64 s[24:25], s[4:5]
; %bb.672:                              ;   in Loop: Header=BB378_530 Depth=1
	v_or_b32_e32 v5, 0x10000, v3
	v_cmp_eq_u32_sdwa s[4:5], v3, v11 src0_sel:WORD_0 src1_sel:DWORD
	v_cndmask_b32_e64 v3, v5, v3, s[4:5]
	v_accvgpr_write_b32 a29, v3
; %bb.673:                              ;   in Loop: Header=BB378_530 Depth=1
	s_or_b64 exec, exec, s[24:25]
	v_and_b32_e32 v25, 0xffff0000, v8
	v_lshlrev_b32_e32 v2, 16, v2
	v_mul_f32_e32 v2, v25, v2
	v_and_b32_e32 v3, 0x7f800000, v2
	v_cmp_ne_u32_e64 s[4:5], s15, v3
                                        ; implicit-def: $agpr30
	s_and_saveexec_b64 s[24:25], s[4:5]
	s_xor_b64 s[4:5], exec, s[24:25]
; %bb.674:                              ;   in Loop: Header=BB378_530 Depth=1
	v_bfe_u32 v3, v2, 16, 1
	v_add3_u32 v2, v2, v3, s30
	v_accvgpr_write_b32 a30, v2
                                        ; implicit-def: $vgpr2
; %bb.675:                              ;   in Loop: Header=BB378_530 Depth=1
	s_andn2_saveexec_b64 s[24:25], s[4:5]
; %bb.676:                              ;   in Loop: Header=BB378_530 Depth=1
	v_or_b32_e32 v3, 0x10000, v2
	v_cmp_eq_u32_sdwa s[4:5], v2, v11 src0_sel:WORD_0 src1_sel:DWORD
	v_cndmask_b32_e64 v2, v3, v2, s[4:5]
	v_accvgpr_write_b32 a30, v2
; %bb.677:                              ;   in Loop: Header=BB378_530 Depth=1
	s_or_b64 exec, exec, s[24:25]
	flat_load_dwordx2 v[2:3], v[0:1] offset:512
	v_mov_b32_e32 v5, 0
	s_waitcnt vmcnt(0) lgkmcnt(0)
	v_cmp_ne_u16_sdwa s[4:5], v2, v11 src0_sel:BYTE_0 src1_sel:DWORD
	s_and_saveexec_b64 s[24:25], s[4:5]
	s_cbranch_execz .LBB378_683
; %bb.678:                              ;   in Loop: Header=BB378_530 Depth=1
	v_cmp_ne_u16_sdwa s[4:5], v2, s31 src0_sel:BYTE_0 src1_sel:DWORD
	v_bfrev_b32_e32 v5, 1
	s_and_saveexec_b64 s[26:27], s[4:5]
	s_cbranch_execz .LBB378_682
; %bb.679:                              ;   in Loop: Header=BB378_530 Depth=1
	v_and_b32_e32 v6, 0x7f, v2
	v_cmp_ne_u32_e64 s[4:5], s34, v6
	v_mov_b32_e32 v5, 0x7f800001
	s_and_saveexec_b64 s[28:29], s[4:5]
	s_cbranch_execz .LBB378_681
; %bb.680:                              ;   in Loop: Header=BB378_530 Depth=1
	v_and_b32_e32 v5, 7, v2
	v_ffbh_u32_e32 v5, v5
	v_min_u32_e32 v5, 32, v5
	v_subrev_u32_e32 v9, 28, v5
	v_cmp_gt_u32_e64 s[4:5], 8, v6
	v_lshrrev_b32_e32 v8, 3, v6
	v_sub_u32_e32 v5, 29, v5
	v_cndmask_b32_e64 v6, 0, v9, s[4:5]
	v_cndmask_b32_e64 v5, v8, v5, s[4:5]
	v_lshlrev_b64 v[8:9], v6, v[2:3]
	v_lshlrev_b32_e32 v6, 20, v8
	v_lshlrev_b32_e32 v8, 24, v2
	v_and_b32_e32 v6, 0x700000, v6
	v_and_b32_e32 v8, 0x80000000, v8
	v_lshl_add_u32 v5, v5, 23, v28
	v_or3_b32 v5, v8, v5, v6
.LBB378_681:                            ;   in Loop: Header=BB378_530 Depth=1
	s_or_b64 exec, exec, s[28:29]
.LBB378_682:                            ;   in Loop: Header=BB378_530 Depth=1
	s_or_b64 exec, exec, s[26:27]
.LBB378_683:                            ;   in Loop: Header=BB378_530 Depth=1
	s_or_b64 exec, exec, s[24:25]
	v_mul_f32_e32 v5, v7, v5
	v_and_b32_e32 v6, 0x7f800000, v5
	v_cmp_ne_u32_e64 s[4:5], s15, v6
                                        ; implicit-def: $vgpr8
	s_and_saveexec_b64 s[24:25], s[4:5]
	s_xor_b64 s[4:5], exec, s[24:25]
; %bb.684:                              ;   in Loop: Header=BB378_530 Depth=1
	v_bfe_u32 v6, v5, 16, 1
	v_add3_u32 v8, v5, v6, s30
                                        ; implicit-def: $vgpr5
; %bb.685:                              ;   in Loop: Header=BB378_530 Depth=1
	s_andn2_saveexec_b64 s[24:25], s[4:5]
; %bb.686:                              ;   in Loop: Header=BB378_530 Depth=1
	v_or_b32_e32 v6, 0x10000, v5
	v_cmp_eq_u32_sdwa s[4:5], v5, v11 src0_sel:WORD_0 src1_sel:DWORD
	v_cndmask_b32_e64 v8, v6, v5, s[4:5]
; %bb.687:                              ;   in Loop: Header=BB378_530 Depth=1
	s_or_b64 exec, exec, s[24:25]
	v_lshrrev_b16_e32 v6, 8, v2
	v_cmp_ne_u16_e64 s[4:5], 0, v6
	v_mov_b32_e32 v5, 0
	s_and_saveexec_b64 s[24:25], s[4:5]
	s_cbranch_execz .LBB378_693
; %bb.688:                              ;   in Loop: Header=BB378_530 Depth=1
	v_cmp_ne_u16_e64 s[4:5], s31, v6
	v_bfrev_b32_e32 v5, 1
	s_and_saveexec_b64 s[26:27], s[4:5]
	s_cbranch_execz .LBB378_692
; %bb.689:                              ;   in Loop: Header=BB378_530 Depth=1
	v_and_b32_e32 v9, 0x7f, v6
	v_cmp_ne_u32_e64 s[4:5], s34, v9
	v_mov_b32_e32 v5, 0x7f800001
	s_and_saveexec_b64 s[28:29], s[4:5]
	s_cbranch_execz .LBB378_691
; %bb.690:                              ;   in Loop: Header=BB378_530 Depth=1
	v_and_b32_e32 v5, 7, v6
	v_ffbh_u32_e32 v20, v5
	v_min_u32_e32 v22, 32, v20
	v_subrev_u32_e32 v20, 28, v22
	v_lshlrev_b64 v[20:21], v20, v[6:7]
	v_lshrrev_b32_e32 v10, 3, v9
	v_sub_u32_e32 v6, 29, v22
	v_and_b32_e32 v20, 7, v20
	v_cmp_gt_u32_e64 s[4:5], 8, v9
	v_cndmask_b32_e64 v6, v10, v6, s[4:5]
	v_cndmask_b32_e64 v5, v5, v20, s[4:5]
	v_lshlrev_b32_e32 v9, 16, v2
	v_lshlrev_b32_e32 v5, 20, v5
	v_and_b32_e32 v9, 0x80000000, v9
	v_lshl_add_u32 v6, v6, 23, v28
	v_or3_b32 v5, v9, v6, v5
.LBB378_691:                            ;   in Loop: Header=BB378_530 Depth=1
	s_or_b64 exec, exec, s[28:29]
.LBB378_692:                            ;   in Loop: Header=BB378_530 Depth=1
	s_or_b64 exec, exec, s[26:27]
.LBB378_693:                            ;   in Loop: Header=BB378_530 Depth=1
	s_or_b64 exec, exec, s[24:25]
	v_mul_f32_e32 v5, v7, v5
	v_and_b32_e32 v6, 0x7f800000, v5
	v_cmp_ne_u32_e64 s[4:5], s15, v6
                                        ; implicit-def: $vgpr9
	s_and_saveexec_b64 s[24:25], s[4:5]
	s_xor_b64 s[4:5], exec, s[24:25]
; %bb.694:                              ;   in Loop: Header=BB378_530 Depth=1
	v_bfe_u32 v6, v5, 16, 1
	v_add3_u32 v9, v5, v6, s30
                                        ; implicit-def: $vgpr5
; %bb.695:                              ;   in Loop: Header=BB378_530 Depth=1
	s_andn2_saveexec_b64 s[24:25], s[4:5]
; %bb.696:                              ;   in Loop: Header=BB378_530 Depth=1
	v_or_b32_e32 v6, 0x10000, v5
	v_cmp_eq_u32_sdwa s[4:5], v5, v11 src0_sel:WORD_0 src1_sel:DWORD
	v_cndmask_b32_e64 v9, v6, v5, s[4:5]
; %bb.697:                              ;   in Loop: Header=BB378_530 Depth=1
	s_or_b64 exec, exec, s[24:25]
	v_lshrrev_b32_e32 v6, 16, v2
	v_cmp_ne_u16_sdwa s[4:5], v6, v11 src0_sel:BYTE_0 src1_sel:DWORD
	v_mov_b32_e32 v5, 0
	s_and_saveexec_b64 s[24:25], s[4:5]
	s_cbranch_execz .LBB378_703
; %bb.698:                              ;   in Loop: Header=BB378_530 Depth=1
	v_cmp_ne_u16_sdwa s[4:5], v6, s31 src0_sel:BYTE_0 src1_sel:DWORD
	v_bfrev_b32_e32 v5, 1
	s_and_saveexec_b64 s[26:27], s[4:5]
	s_cbranch_execz .LBB378_702
; %bb.699:                              ;   in Loop: Header=BB378_530 Depth=1
	v_bfe_u32 v10, v2, 16, 7
	v_cmp_ne_u32_e64 s[4:5], s34, v10
	v_mov_b32_e32 v5, 0x7f800001
	s_and_saveexec_b64 s[28:29], s[4:5]
	s_cbranch_execz .LBB378_701
; %bb.700:                              ;   in Loop: Header=BB378_530 Depth=1
	v_and_b32_e32 v5, 7, v6
	v_ffbh_u32_e32 v20, v5
	v_min_u32_e32 v23, 32, v20
	v_subrev_u32_e32 v20, 28, v23
	v_lshlrev_b64 v[20:21], v20, v[6:7]
	v_lshrrev_b32_e32 v22, 3, v10
	v_sub_u32_e32 v21, 29, v23
	v_and_b32_e32 v20, 7, v20
	v_cmp_gt_u32_e64 s[4:5], 8, v10
	v_cndmask_b32_e64 v10, v22, v21, s[4:5]
	v_cndmask_b32_e64 v5, v5, v20, s[4:5]
	v_lshlrev_b32_e32 v6, 24, v6
	v_lshlrev_b32_e32 v5, 20, v5
	v_and_b32_e32 v6, 0x80000000, v6
	v_lshl_add_u32 v10, v10, 23, v28
	v_or3_b32 v5, v6, v10, v5
.LBB378_701:                            ;   in Loop: Header=BB378_530 Depth=1
	s_or_b64 exec, exec, s[28:29]
.LBB378_702:                            ;   in Loop: Header=BB378_530 Depth=1
	s_or_b64 exec, exec, s[26:27]
.LBB378_703:                            ;   in Loop: Header=BB378_530 Depth=1
	s_or_b64 exec, exec, s[24:25]
	v_mul_f32_e32 v5, v7, v5
	v_and_b32_e32 v6, 0x7f800000, v5
	v_cmp_ne_u32_e64 s[4:5], s15, v6
                                        ; implicit-def: $vgpr20
	s_and_saveexec_b64 s[24:25], s[4:5]
	s_xor_b64 s[4:5], exec, s[24:25]
; %bb.704:                              ;   in Loop: Header=BB378_530 Depth=1
	v_bfe_u32 v6, v5, 16, 1
	v_add3_u32 v20, v5, v6, s30
                                        ; implicit-def: $vgpr5
; %bb.705:                              ;   in Loop: Header=BB378_530 Depth=1
	s_andn2_saveexec_b64 s[24:25], s[4:5]
; %bb.706:                              ;   in Loop: Header=BB378_530 Depth=1
	v_or_b32_e32 v6, 0x10000, v5
	v_cmp_eq_u32_sdwa s[4:5], v5, v11 src0_sel:WORD_0 src1_sel:DWORD
	v_cndmask_b32_e64 v20, v6, v5, s[4:5]
; %bb.707:                              ;   in Loop: Header=BB378_530 Depth=1
	s_or_b64 exec, exec, s[24:25]
	v_cmp_lt_u32_e64 s[4:5], s11, v2
	v_mov_b32_e32 v5, 0
	s_and_saveexec_b64 s[24:25], s[4:5]
	s_cbranch_execz .LBB378_713
; %bb.708:                              ;   in Loop: Header=BB378_530 Depth=1
	v_lshrrev_b32_e32 v6, 24, v2
	v_cmp_ne_u32_e64 s[4:5], s31, v6
	v_bfrev_b32_e32 v5, 1
	s_and_saveexec_b64 s[26:27], s[4:5]
	s_cbranch_execz .LBB378_712
; %bb.709:                              ;   in Loop: Header=BB378_530 Depth=1
	v_bfe_u32 v10, v2, 24, 7
	v_cmp_ne_u32_e64 s[4:5], s34, v10
	v_mov_b32_e32 v5, 0x7f800001
	s_and_saveexec_b64 s[28:29], s[4:5]
	s_cbranch_execz .LBB378_711
; %bb.710:                              ;   in Loop: Header=BB378_530 Depth=1
	v_and_b32_e32 v5, 7, v6
	v_ffbh_u32_e32 v22, v5
	v_min_u32_e32 v22, 32, v22
	v_subrev_u32_e32 v23, 28, v22
	v_lshlrev_b64 v[26:27], v23, v[6:7]
	v_lshrrev_b32_e32 v21, 3, v10
	v_sub_u32_e32 v22, 29, v22
	v_and_b32_e32 v23, 7, v26
	v_cmp_gt_u32_e64 s[4:5], 8, v10
	v_cndmask_b32_e64 v10, v21, v22, s[4:5]
	v_cndmask_b32_e64 v5, v5, v23, s[4:5]
	v_lshlrev_b32_e32 v6, 24, v6
	v_lshlrev_b32_e32 v5, 20, v5
	v_and_b32_e32 v6, 0x80000000, v6
	v_lshl_add_u32 v10, v10, 23, v28
	v_or3_b32 v5, v6, v10, v5
.LBB378_711:                            ;   in Loop: Header=BB378_530 Depth=1
	s_or_b64 exec, exec, s[28:29]
.LBB378_712:                            ;   in Loop: Header=BB378_530 Depth=1
	s_or_b64 exec, exec, s[26:27]
.LBB378_713:                            ;   in Loop: Header=BB378_530 Depth=1
	s_or_b64 exec, exec, s[24:25]
	v_mul_f32_e32 v5, v7, v5
	v_and_b32_e32 v6, 0x7f800000, v5
	v_cmp_ne_u32_e64 s[4:5], s15, v6
                                        ; implicit-def: $vgpr21
	s_and_saveexec_b64 s[24:25], s[4:5]
	s_xor_b64 s[4:5], exec, s[24:25]
; %bb.714:                              ;   in Loop: Header=BB378_530 Depth=1
	v_bfe_u32 v6, v5, 16, 1
	v_add3_u32 v21, v5, v6, s30
                                        ; implicit-def: $vgpr5
; %bb.715:                              ;   in Loop: Header=BB378_530 Depth=1
	s_andn2_saveexec_b64 s[24:25], s[4:5]
; %bb.716:                              ;   in Loop: Header=BB378_530 Depth=1
	v_or_b32_e32 v6, 0x10000, v5
	v_cmp_eq_u32_sdwa s[4:5], v5, v11 src0_sel:WORD_0 src1_sel:DWORD
	v_cndmask_b32_e64 v21, v6, v5, s[4:5]
; %bb.717:                              ;   in Loop: Header=BB378_530 Depth=1
	s_or_b64 exec, exec, s[24:25]
	v_mov_b32_e32 v10, v3
	v_cmp_ne_u16_sdwa s[4:5], v3, v11 src0_sel:BYTE_0 src1_sel:DWORD
	v_mov_b32_e32 v5, 0
	s_and_saveexec_b64 s[24:25], s[4:5]
	s_cbranch_execz .LBB378_723
; %bb.718:                              ;   in Loop: Header=BB378_530 Depth=1
	v_cmp_ne_u16_sdwa s[4:5], v3, s31 src0_sel:BYTE_0 src1_sel:DWORD
	v_bfrev_b32_e32 v5, 1
	s_and_saveexec_b64 s[26:27], s[4:5]
	s_cbranch_execz .LBB378_722
; %bb.719:                              ;   in Loop: Header=BB378_530 Depth=1
	v_and_b32_e32 v6, 0x7f, v3
	v_cmp_ne_u32_e64 s[4:5], s34, v6
	v_mov_b32_e32 v5, 0x7f800001
	s_and_saveexec_b64 s[28:29], s[4:5]
	s_cbranch_execz .LBB378_721
; %bb.720:                              ;   in Loop: Header=BB378_530 Depth=1
	v_and_b32_e32 v5, 7, v3
	v_ffbh_u32_e32 v5, v5
	v_min_u32_e32 v5, 32, v5
	v_subrev_u32_e32 v23, 28, v5
	v_cmp_gt_u32_e64 s[4:5], 8, v6
	v_lshrrev_b32_e32 v22, 3, v6
	v_cndmask_b32_e64 v6, 0, v23, s[4:5]
	v_sub_u32_e32 v5, 29, v5
	v_lshlrev_b64 v[26:27], v6, v[10:11]
	v_cndmask_b32_e64 v5, v22, v5, s[4:5]
	v_lshlrev_b32_e32 v6, 20, v26
	v_lshlrev_b32_e32 v22, 24, v10
	v_and_b32_e32 v6, 0x700000, v6
	v_and_b32_e32 v22, 0x80000000, v22
	v_lshl_add_u32 v5, v5, 23, v28
	v_or3_b32 v5, v22, v5, v6
.LBB378_721:                            ;   in Loop: Header=BB378_530 Depth=1
	s_or_b64 exec, exec, s[28:29]
.LBB378_722:                            ;   in Loop: Header=BB378_530 Depth=1
	s_or_b64 exec, exec, s[26:27]
.LBB378_723:                            ;   in Loop: Header=BB378_530 Depth=1
	s_or_b64 exec, exec, s[24:25]
	v_mul_f32_e32 v5, v7, v5
	v_and_b32_e32 v6, 0x7f800000, v5
	v_cmp_ne_u32_e64 s[4:5], s15, v6
                                        ; implicit-def: $vgpr22
	s_and_saveexec_b64 s[24:25], s[4:5]
	s_xor_b64 s[4:5], exec, s[24:25]
; %bb.724:                              ;   in Loop: Header=BB378_530 Depth=1
	v_bfe_u32 v6, v5, 16, 1
	v_add3_u32 v22, v5, v6, s30
                                        ; implicit-def: $vgpr5
; %bb.725:                              ;   in Loop: Header=BB378_530 Depth=1
	s_andn2_saveexec_b64 s[24:25], s[4:5]
; %bb.726:                              ;   in Loop: Header=BB378_530 Depth=1
	v_or_b32_e32 v6, 0x10000, v5
	v_cmp_eq_u32_sdwa s[4:5], v5, v11 src0_sel:WORD_0 src1_sel:DWORD
	v_cndmask_b32_e64 v22, v6, v5, s[4:5]
; %bb.727:                              ;   in Loop: Header=BB378_530 Depth=1
	s_or_b64 exec, exec, s[24:25]
	v_lshrrev_b16_e32 v6, 8, v10
	v_cmp_ne_u16_e64 s[4:5], 0, v6
	v_mov_b32_e32 v5, 0
	s_and_saveexec_b64 s[24:25], s[4:5]
	s_cbranch_execz .LBB378_733
; %bb.728:                              ;   in Loop: Header=BB378_530 Depth=1
	v_cmp_ne_u16_e64 s[4:5], s31, v6
	v_bfrev_b32_e32 v5, 1
	s_and_saveexec_b64 s[26:27], s[4:5]
	s_cbranch_execz .LBB378_732
; %bb.729:                              ;   in Loop: Header=BB378_530 Depth=1
	v_and_b32_e32 v24, 0x7f, v6
	v_cmp_ne_u32_e64 s[4:5], s34, v24
	v_mov_b32_e32 v5, 0x7f800001
	s_and_saveexec_b64 s[28:29], s[4:5]
	s_cbranch_execz .LBB378_731
; %bb.730:                              ;   in Loop: Header=BB378_530 Depth=1
	v_and_b32_e32 v5, 7, v6
	v_ffbh_u32_e32 v26, v5
	v_min_u32_e32 v28, 32, v26
	v_subrev_u32_e32 v26, 28, v28
	v_lshlrev_b64 v[26:27], v26, v[6:7]
	v_lshrrev_b32_e32 v23, 3, v24
	v_sub_u32_e32 v6, 29, v28
	v_and_b32_e32 v26, 7, v26
	v_cmp_gt_u32_e64 s[4:5], 8, v24
	v_bfrev_b32_e32 v28, 60
	v_cndmask_b32_e64 v6, v23, v6, s[4:5]
	v_cndmask_b32_e64 v5, v5, v26, s[4:5]
	v_lshlrev_b32_e32 v10, 16, v10
	v_lshlrev_b32_e32 v5, 20, v5
	v_and_b32_e32 v10, 0x80000000, v10
	v_lshl_add_u32 v6, v6, 23, v28
	v_or3_b32 v5, v10, v6, v5
.LBB378_731:                            ;   in Loop: Header=BB378_530 Depth=1
	s_or_b64 exec, exec, s[28:29]
.LBB378_732:                            ;   in Loop: Header=BB378_530 Depth=1
	s_or_b64 exec, exec, s[26:27]
.LBB378_733:                            ;   in Loop: Header=BB378_530 Depth=1
	s_or_b64 exec, exec, s[24:25]
	v_mul_f32_e32 v6, v7, v5
	v_and_b32_e32 v5, 0x7f800000, v6
	v_cmp_ne_u32_e64 s[4:5], s15, v5
                                        ; implicit-def: $vgpr5
	s_and_saveexec_b64 s[24:25], s[4:5]
	s_xor_b64 s[4:5], exec, s[24:25]
; %bb.734:                              ;   in Loop: Header=BB378_530 Depth=1
	v_bfe_u32 v5, v6, 16, 1
	v_add3_u32 v5, v6, v5, s30
                                        ; implicit-def: $vgpr6
; %bb.735:                              ;   in Loop: Header=BB378_530 Depth=1
	s_andn2_saveexec_b64 s[24:25], s[4:5]
; %bb.736:                              ;   in Loop: Header=BB378_530 Depth=1
	v_or_b32_e32 v5, 0x10000, v6
	v_cmp_eq_u32_sdwa s[4:5], v6, v11 src0_sel:WORD_0 src1_sel:DWORD
	v_cndmask_b32_e64 v5, v5, v6, s[4:5]
; %bb.737:                              ;   in Loop: Header=BB378_530 Depth=1
	s_or_b64 exec, exec, s[24:25]
	v_lshrrev_b32_e32 v6, 16, v3
	v_cmp_ne_u16_sdwa s[4:5], v6, v11 src0_sel:BYTE_0 src1_sel:DWORD
	v_mov_b32_e32 v10, 0
	s_and_saveexec_b64 s[24:25], s[4:5]
	s_cbranch_execz .LBB378_743
; %bb.738:                              ;   in Loop: Header=BB378_530 Depth=1
	v_cmp_ne_u16_sdwa s[4:5], v6, s31 src0_sel:BYTE_0 src1_sel:DWORD
	v_bfrev_b32_e32 v10, 1
	s_and_saveexec_b64 s[26:27], s[4:5]
	s_cbranch_execz .LBB378_742
; %bb.739:                              ;   in Loop: Header=BB378_530 Depth=1
	v_bfe_u32 v24, v3, 16, 7
	v_cmp_ne_u32_e64 s[4:5], s34, v24
	v_mov_b32_e32 v10, 0x7f800001
	s_and_saveexec_b64 s[28:29], s[4:5]
	s_cbranch_execz .LBB378_741
; %bb.740:                              ;   in Loop: Header=BB378_530 Depth=1
	v_and_b32_e32 v10, 7, v6
	v_ffbh_u32_e32 v26, v10
	v_min_u32_e32 v28, 32, v26
	v_subrev_u32_e32 v26, 28, v28
	v_lshlrev_b64 v[26:27], v26, v[6:7]
	v_lshrrev_b32_e32 v23, 3, v24
	v_sub_u32_e32 v27, 29, v28
	v_and_b32_e32 v26, 7, v26
	v_cmp_gt_u32_e64 s[4:5], 8, v24
	v_bfrev_b32_e32 v28, 60
	v_cndmask_b32_e64 v23, v23, v27, s[4:5]
	v_cndmask_b32_e64 v10, v10, v26, s[4:5]
	v_lshlrev_b32_e32 v6, 24, v6
	v_lshlrev_b32_e32 v10, 20, v10
	v_and_b32_e32 v6, 0x80000000, v6
	v_lshl_add_u32 v23, v23, 23, v28
	v_or3_b32 v10, v6, v23, v10
.LBB378_741:                            ;   in Loop: Header=BB378_530 Depth=1
	s_or_b64 exec, exec, s[28:29]
.LBB378_742:                            ;   in Loop: Header=BB378_530 Depth=1
	s_or_b64 exec, exec, s[26:27]
.LBB378_743:                            ;   in Loop: Header=BB378_530 Depth=1
	s_or_b64 exec, exec, s[24:25]
	v_mul_f32_e32 v6, v7, v10
	v_and_b32_e32 v10, 0x7f800000, v6
	v_cmp_ne_u32_e64 s[4:5], s15, v10
                                        ; implicit-def: $vgpr24
	s_and_saveexec_b64 s[24:25], s[4:5]
	s_xor_b64 s[4:5], exec, s[24:25]
; %bb.744:                              ;   in Loop: Header=BB378_530 Depth=1
	v_bfe_u32 v10, v6, 16, 1
	v_add3_u32 v24, v6, v10, s30
                                        ; implicit-def: $vgpr6
; %bb.745:                              ;   in Loop: Header=BB378_530 Depth=1
	s_andn2_saveexec_b64 s[24:25], s[4:5]
; %bb.746:                              ;   in Loop: Header=BB378_530 Depth=1
	v_or_b32_e32 v10, 0x10000, v6
	v_cmp_eq_u32_sdwa s[4:5], v6, v11 src0_sel:WORD_0 src1_sel:DWORD
	v_cndmask_b32_e64 v24, v10, v6, s[4:5]
; %bb.747:                              ;   in Loop: Header=BB378_530 Depth=1
	s_or_b64 exec, exec, s[24:25]
	v_cmp_lt_u64_e64 s[4:5], s[10:11], v[2:3]
	v_mov_b32_e32 v6, 0
	s_and_saveexec_b64 s[24:25], s[4:5]
	s_cbranch_execz .LBB378_753
; %bb.748:                              ;   in Loop: Header=BB378_530 Depth=1
	v_lshrrev_b32_e32 v2, 24, v3
	v_cmp_ne_u32_e64 s[4:5], s31, v2
	v_bfrev_b32_e32 v6, 1
	s_and_saveexec_b64 s[26:27], s[4:5]
	s_cbranch_execz .LBB378_752
; %bb.749:                              ;   in Loop: Header=BB378_530 Depth=1
	v_bfe_u32 v3, v3, 24, 7
	v_cmp_ne_u32_e64 s[4:5], s34, v3
	v_mov_b32_e32 v6, 0x7f800001
	s_and_saveexec_b64 s[28:29], s[4:5]
	s_cbranch_execz .LBB378_751
; %bb.750:                              ;   in Loop: Header=BB378_530 Depth=1
	v_and_b32_e32 v6, 7, v2
	v_ffbh_u32_e32 v23, v6
	v_min_u32_e32 v23, 32, v23
	v_subrev_u32_e32 v26, 28, v23
	v_lshlrev_b64 v[26:27], v26, v[2:3]
	v_lshrrev_b32_e32 v10, 3, v3
	v_sub_u32_e32 v23, 29, v23
	v_and_b32_e32 v26, 7, v26
	v_cmp_gt_u32_e64 s[4:5], 8, v3
	v_cndmask_b32_e64 v3, v10, v23, s[4:5]
	v_cndmask_b32_e64 v6, v6, v26, s[4:5]
	v_lshlrev_b32_e32 v2, 24, v2
	v_lshlrev_b32_e32 v6, 20, v6
	v_and_b32_e32 v2, 0x80000000, v2
	v_lshl_add_u32 v3, v3, 23, v28
	v_or3_b32 v6, v2, v3, v6
.LBB378_751:                            ;   in Loop: Header=BB378_530 Depth=1
	s_or_b64 exec, exec, s[28:29]
.LBB378_752:                            ;   in Loop: Header=BB378_530 Depth=1
	s_or_b64 exec, exec, s[26:27]
.LBB378_753:                            ;   in Loop: Header=BB378_530 Depth=1
	s_or_b64 exec, exec, s[24:25]
	v_mul_f32_e32 v3, v7, v6
	v_and_b32_e32 v2, 0x7f800000, v3
	v_cmp_ne_u32_e64 s[4:5], s15, v2
                                        ; implicit-def: $vgpr2
	s_and_saveexec_b64 s[24:25], s[4:5]
	s_xor_b64 s[4:5], exec, s[24:25]
; %bb.754:                              ;   in Loop: Header=BB378_530 Depth=1
	v_bfe_u32 v2, v3, 16, 1
	v_add3_u32 v2, v3, v2, s30
                                        ; implicit-def: $vgpr3
; %bb.755:                              ;   in Loop: Header=BB378_530 Depth=1
	s_andn2_saveexec_b64 s[24:25], s[4:5]
; %bb.756:                              ;   in Loop: Header=BB378_530 Depth=1
	v_or_b32_e32 v2, 0x10000, v3
	v_cmp_eq_u32_sdwa s[4:5], v3, v11 src0_sel:WORD_0 src1_sel:DWORD
	v_cndmask_b32_e64 v2, v2, v3, s[4:5]
; %bb.757:                              ;   in Loop: Header=BB378_530 Depth=1
	s_or_b64 exec, exec, s[24:25]
	v_lshrrev_b32_e32 v5, 16, v5
	v_lshrrev_b32_e32 v6, 16, v22
	;; [unrolled: 1-line block ×8, first 2 shown]
	s_and_saveexec_b64 s[24:25], vcc
	s_cbranch_execz .LBB378_759
; %bb.758:                              ;   in Loop: Header=BB378_530 Depth=1
	v_accvgpr_read_b32 v21, a3
	v_cmp_lt_i32_e64 s[4:5], v51, v21
	v_accvgpr_read_b32 v22, a37
	v_cndmask_b32_e64 v8, 0, v8, s[4:5]
	v_cmp_lt_i32_e64 s[4:5], v22, v21
	v_accvgpr_read_b32 v22, a36
	v_cndmask_b32_e64 v9, 0, v9, s[4:5]
	;; [unrolled: 3-line block ×7, first 2 shown]
	v_cmp_lt_i32_e64 s[4:5], v22, v21
	v_cndmask_b32_e64 v2, 0, v2, s[4:5]
.LBB378_759:                            ;   in Loop: Header=BB378_530 Depth=1
	s_or_b64 exec, exec, s[24:25]
	v_lshlrev_b32_e32 v8, 16, v8
	v_mul_f32_e32 v8, v46, v8
	v_and_b32_e32 v21, 0x7f800000, v8
	v_cmp_ne_u32_e64 s[4:5], s15, v21
                                        ; implicit-def: $agpr38
	s_and_saveexec_b64 s[24:25], s[4:5]
	s_xor_b64 s[4:5], exec, s[24:25]
; %bb.760:                              ;   in Loop: Header=BB378_530 Depth=1
	v_bfe_u32 v21, v8, 16, 1
	v_add3_u32 v8, v8, v21, s30
	v_accvgpr_write_b32 a38, v8
                                        ; implicit-def: $vgpr8
; %bb.761:                              ;   in Loop: Header=BB378_530 Depth=1
	s_andn2_saveexec_b64 s[24:25], s[4:5]
; %bb.762:                              ;   in Loop: Header=BB378_530 Depth=1
	v_or_b32_e32 v21, 0x10000, v8
	v_cmp_eq_u32_sdwa s[4:5], v8, v11 src0_sel:WORD_0 src1_sel:DWORD
	v_cndmask_b32_e64 v8, v21, v8, s[4:5]
	v_accvgpr_write_b32 a38, v8
; %bb.763:                              ;   in Loop: Header=BB378_530 Depth=1
	s_or_b64 exec, exec, s[24:25]
	v_lshlrev_b32_e32 v8, 16, v9
	v_mul_f32_e32 v8, v47, v8
	v_and_b32_e32 v9, 0x7f800000, v8
	v_cmp_ne_u32_e64 s[4:5], s15, v9
                                        ; implicit-def: $agpr39
	s_and_saveexec_b64 s[24:25], s[4:5]
	s_xor_b64 s[4:5], exec, s[24:25]
; %bb.764:                              ;   in Loop: Header=BB378_530 Depth=1
	v_bfe_u32 v9, v8, 16, 1
	v_add3_u32 v8, v8, v9, s30
	v_accvgpr_write_b32 a39, v8
                                        ; implicit-def: $vgpr8
; %bb.765:                              ;   in Loop: Header=BB378_530 Depth=1
	s_andn2_saveexec_b64 s[24:25], s[4:5]
; %bb.766:                              ;   in Loop: Header=BB378_530 Depth=1
	v_or_b32_e32 v9, 0x10000, v8
	v_cmp_eq_u32_sdwa s[4:5], v8, v11 src0_sel:WORD_0 src1_sel:DWORD
	v_cndmask_b32_e64 v8, v9, v8, s[4:5]
	v_accvgpr_write_b32 a39, v8
; %bb.767:                              ;   in Loop: Header=BB378_530 Depth=1
	s_or_b64 exec, exec, s[24:25]
	v_lshlrev_b32_e32 v8, 16, v20
	v_mul_f32_e32 v8, v56, v8
	v_and_b32_e32 v9, 0x7f800000, v8
	v_cmp_ne_u32_e64 s[4:5], s15, v9
                                        ; implicit-def: $agpr40
	s_and_saveexec_b64 s[24:25], s[4:5]
	s_xor_b64 s[4:5], exec, s[24:25]
; %bb.768:                              ;   in Loop: Header=BB378_530 Depth=1
	v_bfe_u32 v9, v8, 16, 1
	v_add3_u32 v8, v8, v9, s30
	v_accvgpr_write_b32 a40, v8
                                        ; implicit-def: $vgpr8
; %bb.769:                              ;   in Loop: Header=BB378_530 Depth=1
	s_andn2_saveexec_b64 s[24:25], s[4:5]
; %bb.770:                              ;   in Loop: Header=BB378_530 Depth=1
	v_or_b32_e32 v9, 0x10000, v8
	v_cmp_eq_u32_sdwa s[4:5], v8, v11 src0_sel:WORD_0 src1_sel:DWORD
	v_cndmask_b32_e64 v8, v9, v8, s[4:5]
	v_accvgpr_write_b32 a40, v8
; %bb.771:                              ;   in Loop: Header=BB378_530 Depth=1
	s_or_b64 exec, exec, s[24:25]
	v_lshlrev_b32_e32 v8, 16, v10
	v_mul_f32_e32 v8, v57, v8
	v_and_b32_e32 v9, 0x7f800000, v8
	v_cmp_ne_u32_e64 s[4:5], s15, v9
                                        ; implicit-def: $agpr41
	s_and_saveexec_b64 s[24:25], s[4:5]
	s_xor_b64 s[4:5], exec, s[24:25]
; %bb.772:                              ;   in Loop: Header=BB378_530 Depth=1
	v_bfe_u32 v9, v8, 16, 1
	v_add3_u32 v8, v8, v9, s30
	v_accvgpr_write_b32 a41, v8
                                        ; implicit-def: $vgpr8
; %bb.773:                              ;   in Loop: Header=BB378_530 Depth=1
	s_andn2_saveexec_b64 s[24:25], s[4:5]
; %bb.774:                              ;   in Loop: Header=BB378_530 Depth=1
	v_or_b32_e32 v9, 0x10000, v8
	v_cmp_eq_u32_sdwa s[4:5], v8, v11 src0_sel:WORD_0 src1_sel:DWORD
	v_cndmask_b32_e64 v8, v9, v8, s[4:5]
	v_accvgpr_write_b32 a41, v8
; %bb.775:                              ;   in Loop: Header=BB378_530 Depth=1
	s_or_b64 exec, exec, s[24:25]
	v_lshlrev_b32_e32 v6, 16, v6
	v_mul_f32_e32 v6, v58, v6
	v_and_b32_e32 v8, 0x7f800000, v6
	v_cmp_ne_u32_e64 s[4:5], s15, v8
                                        ; implicit-def: $agpr42
	s_and_saveexec_b64 s[24:25], s[4:5]
	s_xor_b64 s[4:5], exec, s[24:25]
; %bb.776:                              ;   in Loop: Header=BB378_530 Depth=1
	v_bfe_u32 v8, v6, 16, 1
	v_add3_u32 v6, v6, v8, s30
	v_accvgpr_write_b32 a42, v6
                                        ; implicit-def: $vgpr6
; %bb.777:                              ;   in Loop: Header=BB378_530 Depth=1
	s_andn2_saveexec_b64 s[24:25], s[4:5]
; %bb.778:                              ;   in Loop: Header=BB378_530 Depth=1
	v_or_b32_e32 v8, 0x10000, v6
	v_cmp_eq_u32_sdwa s[4:5], v6, v11 src0_sel:WORD_0 src1_sel:DWORD
	v_cndmask_b32_e64 v6, v8, v6, s[4:5]
	v_accvgpr_write_b32 a42, v6
; %bb.779:                              ;   in Loop: Header=BB378_530 Depth=1
	s_or_b64 exec, exec, s[24:25]
	v_lshlrev_b32_e32 v5, 16, v5
	v_mul_f32_e32 v5, v60, v5
	v_and_b32_e32 v6, 0x7f800000, v5
	v_cmp_ne_u32_e64 s[4:5], s15, v6
                                        ; implicit-def: $agpr43
	s_and_saveexec_b64 s[24:25], s[4:5]
	s_xor_b64 s[4:5], exec, s[24:25]
; %bb.780:                              ;   in Loop: Header=BB378_530 Depth=1
	v_bfe_u32 v6, v5, 16, 1
	v_add3_u32 v5, v5, v6, s30
	v_accvgpr_write_b32 a43, v5
                                        ; implicit-def: $vgpr5
; %bb.781:                              ;   in Loop: Header=BB378_530 Depth=1
	s_andn2_saveexec_b64 s[24:25], s[4:5]
; %bb.782:                              ;   in Loop: Header=BB378_530 Depth=1
	v_or_b32_e32 v6, 0x10000, v5
	v_cmp_eq_u32_sdwa s[4:5], v5, v11 src0_sel:WORD_0 src1_sel:DWORD
	v_cndmask_b32_e64 v5, v6, v5, s[4:5]
	v_accvgpr_write_b32 a43, v5
; %bb.783:                              ;   in Loop: Header=BB378_530 Depth=1
	s_or_b64 exec, exec, s[24:25]
	v_lshlrev_b32_e32 v3, 16, v3
	v_mul_f32_e32 v3, v34, v3
	v_and_b32_e32 v5, 0x7f800000, v3
	v_cmp_ne_u32_e64 s[4:5], s15, v5
                                        ; implicit-def: $vgpr24
	s_and_saveexec_b64 s[24:25], s[4:5]
	s_xor_b64 s[4:5], exec, s[24:25]
; %bb.784:                              ;   in Loop: Header=BB378_530 Depth=1
	v_bfe_u32 v5, v3, 16, 1
	v_add3_u32 v24, v3, v5, s30
                                        ; implicit-def: $vgpr3
; %bb.785:                              ;   in Loop: Header=BB378_530 Depth=1
	s_andn2_saveexec_b64 s[24:25], s[4:5]
; %bb.786:                              ;   in Loop: Header=BB378_530 Depth=1
	v_or_b32_e32 v5, 0x10000, v3
	v_cmp_eq_u32_sdwa s[4:5], v3, v11 src0_sel:WORD_0 src1_sel:DWORD
	v_cndmask_b32_e64 v24, v5, v3, s[4:5]
; %bb.787:                              ;   in Loop: Header=BB378_530 Depth=1
	s_or_b64 exec, exec, s[24:25]
	v_lshlrev_b32_e32 v2, 16, v2
	v_mul_f32_e32 v2, v25, v2
	v_and_b32_e32 v3, 0x7f800000, v2
	v_cmp_ne_u32_e64 s[4:5], s15, v3
                                        ; implicit-def: $agpr44
	s_and_saveexec_b64 s[24:25], s[4:5]
	s_xor_b64 s[4:5], exec, s[24:25]
; %bb.788:                              ;   in Loop: Header=BB378_530 Depth=1
	v_bfe_u32 v3, v2, 16, 1
	v_add3_u32 v2, v2, v3, s30
	v_accvgpr_write_b32 a44, v2
                                        ; implicit-def: $vgpr2
; %bb.789:                              ;   in Loop: Header=BB378_530 Depth=1
	s_andn2_saveexec_b64 s[24:25], s[4:5]
; %bb.790:                              ;   in Loop: Header=BB378_530 Depth=1
	v_or_b32_e32 v3, 0x10000, v2
	v_cmp_eq_u32_sdwa s[4:5], v2, v11 src0_sel:WORD_0 src1_sel:DWORD
	v_cndmask_b32_e64 v2, v3, v2, s[4:5]
	v_accvgpr_write_b32 a44, v2
; %bb.791:                              ;   in Loop: Header=BB378_530 Depth=1
	s_or_b64 exec, exec, s[24:25]
	flat_load_dwordx2 v[2:3], v[0:1] offset:1024
	v_mov_b32_e32 v5, 0
	s_waitcnt vmcnt(0) lgkmcnt(0)
	v_cmp_ne_u16_sdwa s[4:5], v2, v11 src0_sel:BYTE_0 src1_sel:DWORD
	s_and_saveexec_b64 s[24:25], s[4:5]
	s_cbranch_execz .LBB378_797
; %bb.792:                              ;   in Loop: Header=BB378_530 Depth=1
	v_cmp_ne_u16_sdwa s[4:5], v2, s31 src0_sel:BYTE_0 src1_sel:DWORD
	v_bfrev_b32_e32 v5, 1
	s_and_saveexec_b64 s[26:27], s[4:5]
	s_cbranch_execz .LBB378_796
; %bb.793:                              ;   in Loop: Header=BB378_530 Depth=1
	v_and_b32_e32 v6, 0x7f, v2
	v_cmp_ne_u32_e64 s[4:5], s34, v6
	v_mov_b32_e32 v5, 0x7f800001
	s_and_saveexec_b64 s[28:29], s[4:5]
	s_cbranch_execz .LBB378_795
; %bb.794:                              ;   in Loop: Header=BB378_530 Depth=1
	v_and_b32_e32 v5, 7, v2
	v_ffbh_u32_e32 v5, v5
	v_min_u32_e32 v5, 32, v5
	v_subrev_u32_e32 v9, 28, v5
	v_cmp_gt_u32_e64 s[4:5], 8, v6
	v_lshrrev_b32_e32 v8, 3, v6
	v_sub_u32_e32 v5, 29, v5
	v_cndmask_b32_e64 v6, 0, v9, s[4:5]
	v_cndmask_b32_e64 v5, v8, v5, s[4:5]
	v_lshlrev_b64 v[8:9], v6, v[2:3]
	v_lshlrev_b32_e32 v6, 20, v8
	v_lshlrev_b32_e32 v8, 24, v2
	v_and_b32_e32 v6, 0x700000, v6
	v_and_b32_e32 v8, 0x80000000, v8
	v_lshl_add_u32 v5, v5, 23, v28
	v_or3_b32 v5, v8, v5, v6
.LBB378_795:                            ;   in Loop: Header=BB378_530 Depth=1
	s_or_b64 exec, exec, s[28:29]
.LBB378_796:                            ;   in Loop: Header=BB378_530 Depth=1
	s_or_b64 exec, exec, s[26:27]
.LBB378_797:                            ;   in Loop: Header=BB378_530 Depth=1
	s_or_b64 exec, exec, s[24:25]
	v_mul_f32_e32 v5, v7, v5
	v_and_b32_e32 v6, 0x7f800000, v5
	v_cmp_ne_u32_e64 s[4:5], s15, v6
                                        ; implicit-def: $vgpr8
	s_and_saveexec_b64 s[24:25], s[4:5]
	s_xor_b64 s[4:5], exec, s[24:25]
; %bb.798:                              ;   in Loop: Header=BB378_530 Depth=1
	v_bfe_u32 v6, v5, 16, 1
	v_add3_u32 v8, v5, v6, s30
                                        ; implicit-def: $vgpr5
; %bb.799:                              ;   in Loop: Header=BB378_530 Depth=1
	s_andn2_saveexec_b64 s[24:25], s[4:5]
; %bb.800:                              ;   in Loop: Header=BB378_530 Depth=1
	v_or_b32_e32 v6, 0x10000, v5
	v_cmp_eq_u32_sdwa s[4:5], v5, v11 src0_sel:WORD_0 src1_sel:DWORD
	v_cndmask_b32_e64 v8, v6, v5, s[4:5]
; %bb.801:                              ;   in Loop: Header=BB378_530 Depth=1
	s_or_b64 exec, exec, s[24:25]
	v_lshrrev_b16_e32 v6, 8, v2
	v_cmp_ne_u16_e64 s[4:5], 0, v6
	v_mov_b32_e32 v5, 0
	s_and_saveexec_b64 s[24:25], s[4:5]
	s_cbranch_execz .LBB378_807
; %bb.802:                              ;   in Loop: Header=BB378_530 Depth=1
	v_cmp_ne_u16_e64 s[4:5], s31, v6
	v_bfrev_b32_e32 v5, 1
	s_and_saveexec_b64 s[26:27], s[4:5]
	s_cbranch_execz .LBB378_806
; %bb.803:                              ;   in Loop: Header=BB378_530 Depth=1
	v_and_b32_e32 v9, 0x7f, v6
	v_cmp_ne_u32_e64 s[4:5], s34, v9
	v_mov_b32_e32 v5, 0x7f800001
	s_and_saveexec_b64 s[28:29], s[4:5]
	s_cbranch_execz .LBB378_805
; %bb.804:                              ;   in Loop: Header=BB378_530 Depth=1
	v_and_b32_e32 v5, 7, v6
	v_ffbh_u32_e32 v20, v5
	v_min_u32_e32 v22, 32, v20
	v_subrev_u32_e32 v20, 28, v22
	v_lshlrev_b64 v[20:21], v20, v[6:7]
	v_lshrrev_b32_e32 v10, 3, v9
	v_sub_u32_e32 v6, 29, v22
	v_and_b32_e32 v20, 7, v20
	v_cmp_gt_u32_e64 s[4:5], 8, v9
	v_cndmask_b32_e64 v6, v10, v6, s[4:5]
	v_cndmask_b32_e64 v5, v5, v20, s[4:5]
	v_lshlrev_b32_e32 v9, 16, v2
	v_lshlrev_b32_e32 v5, 20, v5
	v_and_b32_e32 v9, 0x80000000, v9
	v_lshl_add_u32 v6, v6, 23, v28
	v_or3_b32 v5, v9, v6, v5
.LBB378_805:                            ;   in Loop: Header=BB378_530 Depth=1
	s_or_b64 exec, exec, s[28:29]
.LBB378_806:                            ;   in Loop: Header=BB378_530 Depth=1
	s_or_b64 exec, exec, s[26:27]
.LBB378_807:                            ;   in Loop: Header=BB378_530 Depth=1
	s_or_b64 exec, exec, s[24:25]
	v_mul_f32_e32 v5, v7, v5
	v_and_b32_e32 v6, 0x7f800000, v5
	v_cmp_ne_u32_e64 s[4:5], s15, v6
                                        ; implicit-def: $vgpr9
	s_and_saveexec_b64 s[24:25], s[4:5]
	s_xor_b64 s[4:5], exec, s[24:25]
; %bb.808:                              ;   in Loop: Header=BB378_530 Depth=1
	v_bfe_u32 v6, v5, 16, 1
	v_add3_u32 v9, v5, v6, s30
                                        ; implicit-def: $vgpr5
; %bb.809:                              ;   in Loop: Header=BB378_530 Depth=1
	s_andn2_saveexec_b64 s[24:25], s[4:5]
; %bb.810:                              ;   in Loop: Header=BB378_530 Depth=1
	v_or_b32_e32 v6, 0x10000, v5
	v_cmp_eq_u32_sdwa s[4:5], v5, v11 src0_sel:WORD_0 src1_sel:DWORD
	v_cndmask_b32_e64 v9, v6, v5, s[4:5]
; %bb.811:                              ;   in Loop: Header=BB378_530 Depth=1
	s_or_b64 exec, exec, s[24:25]
	v_lshrrev_b32_e32 v6, 16, v2
	v_cmp_ne_u16_sdwa s[4:5], v6, v11 src0_sel:BYTE_0 src1_sel:DWORD
	v_mov_b32_e32 v5, 0
	s_and_saveexec_b64 s[24:25], s[4:5]
	s_cbranch_execz .LBB378_817
; %bb.812:                              ;   in Loop: Header=BB378_530 Depth=1
	v_cmp_ne_u16_sdwa s[4:5], v6, s31 src0_sel:BYTE_0 src1_sel:DWORD
	v_bfrev_b32_e32 v5, 1
	s_and_saveexec_b64 s[26:27], s[4:5]
	s_cbranch_execz .LBB378_816
; %bb.813:                              ;   in Loop: Header=BB378_530 Depth=1
	v_bfe_u32 v10, v2, 16, 7
	v_cmp_ne_u32_e64 s[4:5], s34, v10
	v_mov_b32_e32 v5, 0x7f800001
	s_and_saveexec_b64 s[28:29], s[4:5]
	s_cbranch_execz .LBB378_815
; %bb.814:                              ;   in Loop: Header=BB378_530 Depth=1
	v_and_b32_e32 v5, 7, v6
	v_ffbh_u32_e32 v20, v5
	v_min_u32_e32 v23, 32, v20
	v_subrev_u32_e32 v20, 28, v23
	v_lshlrev_b64 v[20:21], v20, v[6:7]
	v_lshrrev_b32_e32 v22, 3, v10
	v_sub_u32_e32 v21, 29, v23
	v_and_b32_e32 v20, 7, v20
	v_cmp_gt_u32_e64 s[4:5], 8, v10
	v_cndmask_b32_e64 v10, v22, v21, s[4:5]
	v_cndmask_b32_e64 v5, v5, v20, s[4:5]
	v_lshlrev_b32_e32 v6, 24, v6
	v_lshlrev_b32_e32 v5, 20, v5
	v_and_b32_e32 v6, 0x80000000, v6
	v_lshl_add_u32 v10, v10, 23, v28
	v_or3_b32 v5, v6, v10, v5
.LBB378_815:                            ;   in Loop: Header=BB378_530 Depth=1
	s_or_b64 exec, exec, s[28:29]
.LBB378_816:                            ;   in Loop: Header=BB378_530 Depth=1
	s_or_b64 exec, exec, s[26:27]
.LBB378_817:                            ;   in Loop: Header=BB378_530 Depth=1
	s_or_b64 exec, exec, s[24:25]
	v_mul_f32_e32 v5, v7, v5
	v_and_b32_e32 v6, 0x7f800000, v5
	v_cmp_ne_u32_e64 s[4:5], s15, v6
                                        ; implicit-def: $vgpr20
	s_and_saveexec_b64 s[24:25], s[4:5]
	s_xor_b64 s[4:5], exec, s[24:25]
; %bb.818:                              ;   in Loop: Header=BB378_530 Depth=1
	v_bfe_u32 v6, v5, 16, 1
	v_add3_u32 v20, v5, v6, s30
                                        ; implicit-def: $vgpr5
; %bb.819:                              ;   in Loop: Header=BB378_530 Depth=1
	s_andn2_saveexec_b64 s[24:25], s[4:5]
; %bb.820:                              ;   in Loop: Header=BB378_530 Depth=1
	v_or_b32_e32 v6, 0x10000, v5
	v_cmp_eq_u32_sdwa s[4:5], v5, v11 src0_sel:WORD_0 src1_sel:DWORD
	v_cndmask_b32_e64 v20, v6, v5, s[4:5]
; %bb.821:                              ;   in Loop: Header=BB378_530 Depth=1
	s_or_b64 exec, exec, s[24:25]
	v_cmp_lt_u32_e64 s[4:5], s11, v2
	v_mov_b32_e32 v5, 0
	s_and_saveexec_b64 s[24:25], s[4:5]
	s_cbranch_execz .LBB378_827
; %bb.822:                              ;   in Loop: Header=BB378_530 Depth=1
	v_lshrrev_b32_e32 v6, 24, v2
	v_cmp_ne_u32_e64 s[4:5], s31, v6
	v_bfrev_b32_e32 v5, 1
	s_and_saveexec_b64 s[26:27], s[4:5]
	s_cbranch_execz .LBB378_826
; %bb.823:                              ;   in Loop: Header=BB378_530 Depth=1
	v_bfe_u32 v10, v2, 24, 7
	v_cmp_ne_u32_e64 s[4:5], s34, v10
	v_mov_b32_e32 v5, 0x7f800001
	s_and_saveexec_b64 s[28:29], s[4:5]
	s_cbranch_execz .LBB378_825
; %bb.824:                              ;   in Loop: Header=BB378_530 Depth=1
	v_and_b32_e32 v5, 7, v6
	v_ffbh_u32_e32 v22, v5
	v_min_u32_e32 v22, 32, v22
	v_subrev_u32_e32 v23, 28, v22
	v_lshlrev_b64 v[30:31], v23, v[6:7]
	v_lshrrev_b32_e32 v21, 3, v10
	v_sub_u32_e32 v22, 29, v22
	v_and_b32_e32 v23, 7, v30
	v_cmp_gt_u32_e64 s[4:5], 8, v10
	v_cndmask_b32_e64 v10, v21, v22, s[4:5]
	v_cndmask_b32_e64 v5, v5, v23, s[4:5]
	v_lshlrev_b32_e32 v6, 24, v6
	v_lshlrev_b32_e32 v5, 20, v5
	v_and_b32_e32 v6, 0x80000000, v6
	v_lshl_add_u32 v10, v10, 23, v28
	v_or3_b32 v5, v6, v10, v5
.LBB378_825:                            ;   in Loop: Header=BB378_530 Depth=1
	s_or_b64 exec, exec, s[28:29]
.LBB378_826:                            ;   in Loop: Header=BB378_530 Depth=1
	s_or_b64 exec, exec, s[26:27]
.LBB378_827:                            ;   in Loop: Header=BB378_530 Depth=1
	s_or_b64 exec, exec, s[24:25]
	v_mul_f32_e32 v5, v7, v5
	v_and_b32_e32 v6, 0x7f800000, v5
	v_cmp_ne_u32_e64 s[4:5], s15, v6
                                        ; implicit-def: $vgpr21
	s_and_saveexec_b64 s[24:25], s[4:5]
	s_xor_b64 s[4:5], exec, s[24:25]
; %bb.828:                              ;   in Loop: Header=BB378_530 Depth=1
	v_bfe_u32 v6, v5, 16, 1
	v_add3_u32 v21, v5, v6, s30
                                        ; implicit-def: $vgpr5
; %bb.829:                              ;   in Loop: Header=BB378_530 Depth=1
	s_andn2_saveexec_b64 s[24:25], s[4:5]
; %bb.830:                              ;   in Loop: Header=BB378_530 Depth=1
	v_or_b32_e32 v6, 0x10000, v5
	v_cmp_eq_u32_sdwa s[4:5], v5, v11 src0_sel:WORD_0 src1_sel:DWORD
	v_cndmask_b32_e64 v21, v6, v5, s[4:5]
; %bb.831:                              ;   in Loop: Header=BB378_530 Depth=1
	s_or_b64 exec, exec, s[24:25]
	v_mov_b32_e32 v10, v3
	v_cmp_ne_u16_sdwa s[4:5], v3, v11 src0_sel:BYTE_0 src1_sel:DWORD
	v_mov_b32_e32 v5, 0
	s_and_saveexec_b64 s[24:25], s[4:5]
	s_cbranch_execz .LBB378_837
; %bb.832:                              ;   in Loop: Header=BB378_530 Depth=1
	v_cmp_ne_u16_sdwa s[4:5], v3, s31 src0_sel:BYTE_0 src1_sel:DWORD
	v_bfrev_b32_e32 v5, 1
	s_and_saveexec_b64 s[26:27], s[4:5]
	s_cbranch_execz .LBB378_836
; %bb.833:                              ;   in Loop: Header=BB378_530 Depth=1
	v_and_b32_e32 v6, 0x7f, v3
	v_cmp_ne_u32_e64 s[4:5], s34, v6
	v_mov_b32_e32 v5, 0x7f800001
	s_and_saveexec_b64 s[28:29], s[4:5]
	s_cbranch_execz .LBB378_835
; %bb.834:                              ;   in Loop: Header=BB378_530 Depth=1
	v_and_b32_e32 v5, 7, v3
	v_ffbh_u32_e32 v5, v5
	v_min_u32_e32 v5, 32, v5
	v_subrev_u32_e32 v23, 28, v5
	v_cmp_gt_u32_e64 s[4:5], 8, v6
	v_lshrrev_b32_e32 v22, 3, v6
	v_cndmask_b32_e64 v6, 0, v23, s[4:5]
	v_sub_u32_e32 v5, 29, v5
	v_lshlrev_b64 v[30:31], v6, v[10:11]
	v_cndmask_b32_e64 v5, v22, v5, s[4:5]
	v_lshlrev_b32_e32 v6, 20, v30
	v_lshlrev_b32_e32 v22, 24, v10
	v_and_b32_e32 v6, 0x700000, v6
	v_and_b32_e32 v22, 0x80000000, v22
	v_lshl_add_u32 v5, v5, 23, v28
	v_or3_b32 v5, v22, v5, v6
.LBB378_835:                            ;   in Loop: Header=BB378_530 Depth=1
	s_or_b64 exec, exec, s[28:29]
.LBB378_836:                            ;   in Loop: Header=BB378_530 Depth=1
	s_or_b64 exec, exec, s[26:27]
.LBB378_837:                            ;   in Loop: Header=BB378_530 Depth=1
	s_or_b64 exec, exec, s[24:25]
	v_mul_f32_e32 v5, v7, v5
	v_and_b32_e32 v6, 0x7f800000, v5
	v_cmp_ne_u32_e64 s[4:5], s15, v6
                                        ; implicit-def: $vgpr22
	s_and_saveexec_b64 s[24:25], s[4:5]
	s_xor_b64 s[4:5], exec, s[24:25]
; %bb.838:                              ;   in Loop: Header=BB378_530 Depth=1
	v_bfe_u32 v6, v5, 16, 1
	v_add3_u32 v22, v5, v6, s30
                                        ; implicit-def: $vgpr5
; %bb.839:                              ;   in Loop: Header=BB378_530 Depth=1
	s_andn2_saveexec_b64 s[24:25], s[4:5]
; %bb.840:                              ;   in Loop: Header=BB378_530 Depth=1
	v_or_b32_e32 v6, 0x10000, v5
	v_cmp_eq_u32_sdwa s[4:5], v5, v11 src0_sel:WORD_0 src1_sel:DWORD
	v_cndmask_b32_e64 v22, v6, v5, s[4:5]
; %bb.841:                              ;   in Loop: Header=BB378_530 Depth=1
	s_or_b64 exec, exec, s[24:25]
	v_lshrrev_b16_e32 v6, 8, v10
	v_cmp_ne_u16_e64 s[4:5], 0, v6
	v_mov_b32_e32 v5, 0
	s_and_saveexec_b64 s[24:25], s[4:5]
	s_cbranch_execz .LBB378_847
; %bb.842:                              ;   in Loop: Header=BB378_530 Depth=1
	v_cmp_ne_u16_e64 s[4:5], s31, v6
	v_bfrev_b32_e32 v5, 1
	s_and_saveexec_b64 s[26:27], s[4:5]
	s_cbranch_execz .LBB378_846
; %bb.843:                              ;   in Loop: Header=BB378_530 Depth=1
	v_and_b32_e32 v29, 0x7f, v6
	v_cmp_ne_u32_e64 s[4:5], s34, v29
	v_mov_b32_e32 v5, 0x7f800001
	s_and_saveexec_b64 s[28:29], s[4:5]
	s_cbranch_execz .LBB378_845
; %bb.844:                              ;   in Loop: Header=BB378_530 Depth=1
	v_and_b32_e32 v5, 7, v6
	v_ffbh_u32_e32 v26, v5
	v_min_u32_e32 v26, 32, v26
	v_subrev_u32_e32 v27, 28, v26
	v_lshlrev_b64 v[30:31], v27, v[6:7]
	v_lshrrev_b32_e32 v23, 3, v29
	v_sub_u32_e32 v6, 29, v26
	v_and_b32_e32 v26, 7, v30
	v_cmp_gt_u32_e64 s[4:5], 8, v29
	v_cndmask_b32_e64 v6, v23, v6, s[4:5]
	v_cndmask_b32_e64 v5, v5, v26, s[4:5]
	v_lshlrev_b32_e32 v10, 16, v10
	v_lshlrev_b32_e32 v5, 20, v5
	v_and_b32_e32 v10, 0x80000000, v10
	v_lshl_add_u32 v6, v6, 23, v28
	v_or3_b32 v5, v10, v6, v5
.LBB378_845:                            ;   in Loop: Header=BB378_530 Depth=1
	s_or_b64 exec, exec, s[28:29]
.LBB378_846:                            ;   in Loop: Header=BB378_530 Depth=1
	s_or_b64 exec, exec, s[26:27]
.LBB378_847:                            ;   in Loop: Header=BB378_530 Depth=1
	s_or_b64 exec, exec, s[24:25]
	v_mul_f32_e32 v6, v7, v5
	v_and_b32_e32 v5, 0x7f800000, v6
	v_cmp_ne_u32_e64 s[4:5], s15, v5
                                        ; implicit-def: $vgpr5
	s_and_saveexec_b64 s[24:25], s[4:5]
	s_xor_b64 s[4:5], exec, s[24:25]
; %bb.848:                              ;   in Loop: Header=BB378_530 Depth=1
	v_bfe_u32 v5, v6, 16, 1
	v_add3_u32 v5, v6, v5, s30
                                        ; implicit-def: $vgpr6
; %bb.849:                              ;   in Loop: Header=BB378_530 Depth=1
	s_andn2_saveexec_b64 s[24:25], s[4:5]
; %bb.850:                              ;   in Loop: Header=BB378_530 Depth=1
	v_or_b32_e32 v5, 0x10000, v6
	v_cmp_eq_u32_sdwa s[4:5], v6, v11 src0_sel:WORD_0 src1_sel:DWORD
	v_cndmask_b32_e64 v5, v5, v6, s[4:5]
; %bb.851:                              ;   in Loop: Header=BB378_530 Depth=1
	s_or_b64 exec, exec, s[24:25]
	v_lshrrev_b32_e32 v6, 16, v3
	v_cmp_ne_u16_sdwa s[4:5], v6, v11 src0_sel:BYTE_0 src1_sel:DWORD
	v_mov_b32_e32 v10, 0
	s_and_saveexec_b64 s[24:25], s[4:5]
	s_cbranch_execz .LBB378_857
; %bb.852:                              ;   in Loop: Header=BB378_530 Depth=1
	v_cmp_ne_u16_sdwa s[4:5], v6, s31 src0_sel:BYTE_0 src1_sel:DWORD
	v_bfrev_b32_e32 v10, 1
	s_and_saveexec_b64 s[26:27], s[4:5]
	s_cbranch_execz .LBB378_856
; %bb.853:                              ;   in Loop: Header=BB378_530 Depth=1
	v_bfe_u32 v29, v3, 16, 7
	v_cmp_ne_u32_e64 s[4:5], s34, v29
	v_mov_b32_e32 v10, 0x7f800001
	s_and_saveexec_b64 s[28:29], s[4:5]
	s_cbranch_execz .LBB378_855
; %bb.854:                              ;   in Loop: Header=BB378_530 Depth=1
	v_and_b32_e32 v10, 7, v6
	v_ffbh_u32_e32 v26, v10
	v_min_u32_e32 v26, 32, v26
	v_subrev_u32_e32 v27, 28, v26
	v_lshlrev_b64 v[30:31], v27, v[6:7]
	v_lshrrev_b32_e32 v23, 3, v29
	v_sub_u32_e32 v26, 29, v26
	v_and_b32_e32 v27, 7, v30
	v_cmp_gt_u32_e64 s[4:5], 8, v29
	v_cndmask_b32_e64 v23, v23, v26, s[4:5]
	v_cndmask_b32_e64 v10, v10, v27, s[4:5]
	v_lshlrev_b32_e32 v6, 24, v6
	v_lshlrev_b32_e32 v10, 20, v10
	v_and_b32_e32 v6, 0x80000000, v6
	v_lshl_add_u32 v23, v23, 23, v28
	v_or3_b32 v10, v6, v23, v10
.LBB378_855:                            ;   in Loop: Header=BB378_530 Depth=1
	s_or_b64 exec, exec, s[28:29]
.LBB378_856:                            ;   in Loop: Header=BB378_530 Depth=1
	s_or_b64 exec, exec, s[26:27]
.LBB378_857:                            ;   in Loop: Header=BB378_530 Depth=1
	s_or_b64 exec, exec, s[24:25]
	v_mul_f32_e32 v6, v7, v10
	v_and_b32_e32 v10, 0x7f800000, v6
	v_cmp_ne_u32_e64 s[4:5], s15, v10
                                        ; implicit-def: $vgpr29
	s_and_saveexec_b64 s[24:25], s[4:5]
	s_xor_b64 s[4:5], exec, s[24:25]
; %bb.858:                              ;   in Loop: Header=BB378_530 Depth=1
	v_bfe_u32 v10, v6, 16, 1
	v_add3_u32 v29, v6, v10, s30
                                        ; implicit-def: $vgpr6
; %bb.859:                              ;   in Loop: Header=BB378_530 Depth=1
	s_andn2_saveexec_b64 s[24:25], s[4:5]
; %bb.860:                              ;   in Loop: Header=BB378_530 Depth=1
	v_or_b32_e32 v10, 0x10000, v6
	v_cmp_eq_u32_sdwa s[4:5], v6, v11 src0_sel:WORD_0 src1_sel:DWORD
	v_cndmask_b32_e64 v29, v10, v6, s[4:5]
; %bb.861:                              ;   in Loop: Header=BB378_530 Depth=1
	s_or_b64 exec, exec, s[24:25]
	v_cmp_lt_u64_e64 s[4:5], s[10:11], v[2:3]
	v_mov_b32_e32 v6, 0
	s_and_saveexec_b64 s[24:25], s[4:5]
	s_cbranch_execz .LBB378_867
; %bb.862:                              ;   in Loop: Header=BB378_530 Depth=1
	v_lshrrev_b32_e32 v2, 24, v3
	v_cmp_ne_u32_e64 s[4:5], s31, v2
	v_bfrev_b32_e32 v6, 1
	s_and_saveexec_b64 s[26:27], s[4:5]
	s_cbranch_execz .LBB378_866
; %bb.863:                              ;   in Loop: Header=BB378_530 Depth=1
	v_bfe_u32 v3, v3, 24, 7
	v_cmp_ne_u32_e64 s[4:5], s34, v3
	v_mov_b32_e32 v6, 0x7f800001
	s_and_saveexec_b64 s[28:29], s[4:5]
	s_cbranch_execz .LBB378_865
; %bb.864:                              ;   in Loop: Header=BB378_530 Depth=1
	v_and_b32_e32 v6, 7, v2
	v_ffbh_u32_e32 v23, v6
	v_min_u32_e32 v23, 32, v23
	v_subrev_u32_e32 v26, 28, v23
	v_lshlrev_b64 v[30:31], v26, v[2:3]
	v_lshrrev_b32_e32 v10, 3, v3
	v_sub_u32_e32 v23, 29, v23
	v_and_b32_e32 v26, 7, v30
	v_cmp_gt_u32_e64 s[4:5], 8, v3
	v_cndmask_b32_e64 v3, v10, v23, s[4:5]
	v_cndmask_b32_e64 v6, v6, v26, s[4:5]
	v_lshlrev_b32_e32 v2, 24, v2
	v_lshlrev_b32_e32 v6, 20, v6
	v_and_b32_e32 v2, 0x80000000, v2
	v_lshl_add_u32 v3, v3, 23, v28
	v_or3_b32 v6, v2, v3, v6
.LBB378_865:                            ;   in Loop: Header=BB378_530 Depth=1
	s_or_b64 exec, exec, s[28:29]
.LBB378_866:                            ;   in Loop: Header=BB378_530 Depth=1
	s_or_b64 exec, exec, s[26:27]
.LBB378_867:                            ;   in Loop: Header=BB378_530 Depth=1
	s_or_b64 exec, exec, s[24:25]
	v_mul_f32_e32 v3, v7, v6
	v_and_b32_e32 v2, 0x7f800000, v3
	v_cmp_ne_u32_e64 s[4:5], s15, v2
                                        ; implicit-def: $vgpr2
	s_and_saveexec_b64 s[24:25], s[4:5]
	s_xor_b64 s[4:5], exec, s[24:25]
; %bb.868:                              ;   in Loop: Header=BB378_530 Depth=1
	v_bfe_u32 v2, v3, 16, 1
	v_add3_u32 v2, v3, v2, s30
                                        ; implicit-def: $vgpr3
; %bb.869:                              ;   in Loop: Header=BB378_530 Depth=1
	s_andn2_saveexec_b64 s[24:25], s[4:5]
; %bb.870:                              ;   in Loop: Header=BB378_530 Depth=1
	v_or_b32_e32 v2, 0x10000, v3
	v_cmp_eq_u32_sdwa s[4:5], v3, v11 src0_sel:WORD_0 src1_sel:DWORD
	v_cndmask_b32_e64 v2, v2, v3, s[4:5]
; %bb.871:                              ;   in Loop: Header=BB378_530 Depth=1
	s_or_b64 exec, exec, s[24:25]
	v_lshrrev_b32_e32 v5, 16, v5
	v_lshrrev_b32_e32 v6, 16, v22
	;; [unrolled: 1-line block ×8, first 2 shown]
	s_and_saveexec_b64 s[24:25], vcc
	s_cbranch_execz .LBB378_873
; %bb.872:                              ;   in Loop: Header=BB378_530 Depth=1
	v_accvgpr_read_b32 v21, a3
	v_cmp_lt_i32_e64 s[4:5], v51, v21
	v_accvgpr_read_b32 v22, a37
	v_cndmask_b32_e64 v8, 0, v8, s[4:5]
	v_cmp_lt_i32_e64 s[4:5], v22, v21
	v_accvgpr_read_b32 v22, a36
	v_cndmask_b32_e64 v9, 0, v9, s[4:5]
	;; [unrolled: 3-line block ×7, first 2 shown]
	v_cmp_lt_i32_e64 s[4:5], v22, v21
	v_cndmask_b32_e64 v2, 0, v2, s[4:5]
.LBB378_873:                            ;   in Loop: Header=BB378_530 Depth=1
	s_or_b64 exec, exec, s[24:25]
	v_lshlrev_b32_e32 v8, 16, v8
	v_mul_f32_e32 v8, v46, v8
	v_and_b32_e32 v21, 0x7f800000, v8
	v_cmp_ne_u32_e64 s[4:5], s15, v21
                                        ; implicit-def: $vgpr21
	s_and_saveexec_b64 s[24:25], s[4:5]
	s_xor_b64 s[4:5], exec, s[24:25]
; %bb.874:                              ;   in Loop: Header=BB378_530 Depth=1
	v_bfe_u32 v21, v8, 16, 1
	v_add3_u32 v21, v8, v21, s30
                                        ; implicit-def: $vgpr8
; %bb.875:                              ;   in Loop: Header=BB378_530 Depth=1
	s_andn2_saveexec_b64 s[24:25], s[4:5]
; %bb.876:                              ;   in Loop: Header=BB378_530 Depth=1
	v_or_b32_e32 v21, 0x10000, v8
	v_cmp_eq_u32_sdwa s[4:5], v8, v11 src0_sel:WORD_0 src1_sel:DWORD
	v_cndmask_b32_e64 v21, v21, v8, s[4:5]
; %bb.877:                              ;   in Loop: Header=BB378_530 Depth=1
	s_or_b64 exec, exec, s[24:25]
	v_lshlrev_b32_e32 v8, 16, v9
	v_mul_f32_e32 v8, v47, v8
	v_and_b32_e32 v9, 0x7f800000, v8
	v_cmp_ne_u32_e64 s[4:5], s15, v9
                                        ; implicit-def: $vgpr40
	s_and_saveexec_b64 s[24:25], s[4:5]
	s_xor_b64 s[4:5], exec, s[24:25]
; %bb.878:                              ;   in Loop: Header=BB378_530 Depth=1
	v_bfe_u32 v9, v8, 16, 1
	v_add3_u32 v40, v8, v9, s30
                                        ; implicit-def: $vgpr8
; %bb.879:                              ;   in Loop: Header=BB378_530 Depth=1
	s_andn2_saveexec_b64 s[24:25], s[4:5]
; %bb.880:                              ;   in Loop: Header=BB378_530 Depth=1
	v_or_b32_e32 v9, 0x10000, v8
	v_cmp_eq_u32_sdwa s[4:5], v8, v11 src0_sel:WORD_0 src1_sel:DWORD
	v_cndmask_b32_e64 v40, v9, v8, s[4:5]
; %bb.881:                              ;   in Loop: Header=BB378_530 Depth=1
	s_or_b64 exec, exec, s[24:25]
	v_lshlrev_b32_e32 v8, 16, v20
	v_mul_f32_e32 v8, v56, v8
	v_and_b32_e32 v9, 0x7f800000, v8
	v_cmp_ne_u32_e64 s[4:5], s15, v9
                                        ; implicit-def: $vgpr41
	s_and_saveexec_b64 s[24:25], s[4:5]
	s_xor_b64 s[4:5], exec, s[24:25]
; %bb.882:                              ;   in Loop: Header=BB378_530 Depth=1
	v_bfe_u32 v9, v8, 16, 1
	v_add3_u32 v41, v8, v9, s30
                                        ; implicit-def: $vgpr8
; %bb.883:                              ;   in Loop: Header=BB378_530 Depth=1
	s_andn2_saveexec_b64 s[24:25], s[4:5]
; %bb.884:                              ;   in Loop: Header=BB378_530 Depth=1
	v_or_b32_e32 v9, 0x10000, v8
	v_cmp_eq_u32_sdwa s[4:5], v8, v11 src0_sel:WORD_0 src1_sel:DWORD
	v_cndmask_b32_e64 v41, v9, v8, s[4:5]
; %bb.885:                              ;   in Loop: Header=BB378_530 Depth=1
	s_or_b64 exec, exec, s[24:25]
	v_lshlrev_b32_e32 v8, 16, v10
	v_mul_f32_e32 v8, v57, v8
	v_and_b32_e32 v9, 0x7f800000, v8
	v_cmp_ne_u32_e64 s[4:5], s15, v9
                                        ; implicit-def: $vgpr62
	s_and_saveexec_b64 s[24:25], s[4:5]
	s_xor_b64 s[4:5], exec, s[24:25]
; %bb.886:                              ;   in Loop: Header=BB378_530 Depth=1
	v_bfe_u32 v9, v8, 16, 1
	v_add3_u32 v62, v8, v9, s30
                                        ; implicit-def: $vgpr8
; %bb.887:                              ;   in Loop: Header=BB378_530 Depth=1
	s_andn2_saveexec_b64 s[24:25], s[4:5]
; %bb.888:                              ;   in Loop: Header=BB378_530 Depth=1
	v_or_b32_e32 v9, 0x10000, v8
	v_cmp_eq_u32_sdwa s[4:5], v8, v11 src0_sel:WORD_0 src1_sel:DWORD
	v_cndmask_b32_e64 v62, v9, v8, s[4:5]
; %bb.889:                              ;   in Loop: Header=BB378_530 Depth=1
	s_or_b64 exec, exec, s[24:25]
	v_lshlrev_b32_e32 v6, 16, v6
	v_mul_f32_e32 v6, v58, v6
	v_and_b32_e32 v8, 0x7f800000, v6
	v_cmp_ne_u32_e64 s[4:5], s15, v8
                                        ; implicit-def: $vgpr30
	s_and_saveexec_b64 s[24:25], s[4:5]
	s_xor_b64 s[4:5], exec, s[24:25]
; %bb.890:                              ;   in Loop: Header=BB378_530 Depth=1
	v_bfe_u32 v8, v6, 16, 1
	v_add3_u32 v30, v6, v8, s30
                                        ; implicit-def: $vgpr6
; %bb.891:                              ;   in Loop: Header=BB378_530 Depth=1
	s_andn2_saveexec_b64 s[24:25], s[4:5]
; %bb.892:                              ;   in Loop: Header=BB378_530 Depth=1
	v_or_b32_e32 v8, 0x10000, v6
	v_cmp_eq_u32_sdwa s[4:5], v6, v11 src0_sel:WORD_0 src1_sel:DWORD
	v_cndmask_b32_e64 v30, v8, v6, s[4:5]
; %bb.893:                              ;   in Loop: Header=BB378_530 Depth=1
	s_or_b64 exec, exec, s[24:25]
	v_lshlrev_b32_e32 v5, 16, v5
	v_mul_f32_e32 v5, v60, v5
	v_and_b32_e32 v6, 0x7f800000, v5
	v_cmp_ne_u32_e64 s[4:5], s15, v6
                                        ; implicit-def: $vgpr31
	s_and_saveexec_b64 s[24:25], s[4:5]
	s_xor_b64 s[4:5], exec, s[24:25]
; %bb.894:                              ;   in Loop: Header=BB378_530 Depth=1
	v_bfe_u32 v6, v5, 16, 1
	v_add3_u32 v31, v5, v6, s30
                                        ; implicit-def: $vgpr5
; %bb.895:                              ;   in Loop: Header=BB378_530 Depth=1
	s_andn2_saveexec_b64 s[24:25], s[4:5]
; %bb.896:                              ;   in Loop: Header=BB378_530 Depth=1
	v_or_b32_e32 v6, 0x10000, v5
	v_cmp_eq_u32_sdwa s[4:5], v5, v11 src0_sel:WORD_0 src1_sel:DWORD
	v_cndmask_b32_e64 v31, v6, v5, s[4:5]
; %bb.897:                              ;   in Loop: Header=BB378_530 Depth=1
	s_or_b64 exec, exec, s[24:25]
	v_lshlrev_b32_e32 v3, 16, v3
	v_mul_f32_e32 v3, v34, v3
	v_and_b32_e32 v5, 0x7f800000, v3
	v_cmp_ne_u32_e64 s[4:5], s15, v5
                                        ; implicit-def: $vgpr20
	s_and_saveexec_b64 s[24:25], s[4:5]
	s_xor_b64 s[4:5], exec, s[24:25]
; %bb.898:                              ;   in Loop: Header=BB378_530 Depth=1
	v_bfe_u32 v5, v3, 16, 1
	v_add3_u32 v20, v3, v5, s30
                                        ; implicit-def: $vgpr3
; %bb.899:                              ;   in Loop: Header=BB378_530 Depth=1
	s_andn2_saveexec_b64 s[24:25], s[4:5]
; %bb.900:                              ;   in Loop: Header=BB378_530 Depth=1
	v_or_b32_e32 v5, 0x10000, v3
	v_cmp_eq_u32_sdwa s[4:5], v3, v11 src0_sel:WORD_0 src1_sel:DWORD
	v_cndmask_b32_e64 v20, v5, v3, s[4:5]
; %bb.901:                              ;   in Loop: Header=BB378_530 Depth=1
	s_or_b64 exec, exec, s[24:25]
	v_lshlrev_b32_e32 v2, 16, v2
	v_mul_f32_e32 v2, v25, v2
	v_and_b32_e32 v3, 0x7f800000, v2
	v_cmp_ne_u32_e64 s[4:5], s15, v3
                                        ; implicit-def: $vgpr8
	s_and_saveexec_b64 s[24:25], s[4:5]
	s_xor_b64 s[4:5], exec, s[24:25]
; %bb.902:                              ;   in Loop: Header=BB378_530 Depth=1
	v_bfe_u32 v3, v2, 16, 1
	v_add3_u32 v8, v2, v3, s30
                                        ; implicit-def: $vgpr2
; %bb.903:                              ;   in Loop: Header=BB378_530 Depth=1
	s_andn2_saveexec_b64 s[24:25], s[4:5]
; %bb.904:                              ;   in Loop: Header=BB378_530 Depth=1
	v_or_b32_e32 v3, 0x10000, v2
	v_cmp_eq_u32_sdwa s[4:5], v2, v11 src0_sel:WORD_0 src1_sel:DWORD
	v_cndmask_b32_e64 v8, v3, v2, s[4:5]
; %bb.905:                              ;   in Loop: Header=BB378_530 Depth=1
	s_or_b64 exec, exec, s[24:25]
	flat_load_dwordx2 v[2:3], v[0:1] offset:1536
	v_mov_b32_e32 v5, 0
	s_waitcnt vmcnt(0) lgkmcnt(0)
	v_cmp_ne_u16_sdwa s[4:5], v2, v11 src0_sel:BYTE_0 src1_sel:DWORD
	s_and_saveexec_b64 s[24:25], s[4:5]
	s_cbranch_execz .LBB378_911
; %bb.906:                              ;   in Loop: Header=BB378_530 Depth=1
	v_cmp_ne_u16_sdwa s[4:5], v2, s31 src0_sel:BYTE_0 src1_sel:DWORD
	v_bfrev_b32_e32 v5, 1
	s_and_saveexec_b64 s[26:27], s[4:5]
	s_cbranch_execz .LBB378_910
; %bb.907:                              ;   in Loop: Header=BB378_530 Depth=1
	v_and_b32_e32 v6, 0x7f, v2
	v_cmp_ne_u32_e64 s[4:5], s34, v6
	v_mov_b32_e32 v5, 0x7f800001
	s_and_saveexec_b64 s[28:29], s[4:5]
	s_cbranch_execz .LBB378_909
; %bb.908:                              ;   in Loop: Header=BB378_530 Depth=1
	v_and_b32_e32 v5, 7, v2
	v_ffbh_u32_e32 v5, v5
	v_min_u32_e32 v5, 32, v5
	v_subrev_u32_e32 v10, 28, v5
	v_cmp_gt_u32_e64 s[4:5], 8, v6
	v_lshrrev_b32_e32 v9, 3, v6
	v_cndmask_b32_e64 v6, 0, v10, s[4:5]
	v_sub_u32_e32 v5, 29, v5
	v_lshlrev_b64 v[32:33], v6, v[2:3]
	v_cndmask_b32_e64 v5, v9, v5, s[4:5]
	v_lshlrev_b32_e32 v6, 20, v32
	v_lshlrev_b32_e32 v9, 24, v2
	v_and_b32_e32 v6, 0x700000, v6
	v_and_b32_e32 v9, 0x80000000, v9
	v_lshl_add_u32 v5, v5, 23, v28
	v_or3_b32 v5, v9, v5, v6
.LBB378_909:                            ;   in Loop: Header=BB378_530 Depth=1
	s_or_b64 exec, exec, s[28:29]
.LBB378_910:                            ;   in Loop: Header=BB378_530 Depth=1
	s_or_b64 exec, exec, s[26:27]
.LBB378_911:                            ;   in Loop: Header=BB378_530 Depth=1
	s_or_b64 exec, exec, s[24:25]
	v_mul_f32_e32 v5, v7, v5
	v_and_b32_e32 v6, 0x7f800000, v5
	v_cmp_ne_u32_e64 s[4:5], s15, v6
                                        ; implicit-def: $vgpr9
	s_and_saveexec_b64 s[24:25], s[4:5]
	s_xor_b64 s[4:5], exec, s[24:25]
; %bb.912:                              ;   in Loop: Header=BB378_530 Depth=1
	v_bfe_u32 v6, v5, 16, 1
	v_add3_u32 v9, v5, v6, s30
                                        ; implicit-def: $vgpr5
; %bb.913:                              ;   in Loop: Header=BB378_530 Depth=1
	s_andn2_saveexec_b64 s[24:25], s[4:5]
; %bb.914:                              ;   in Loop: Header=BB378_530 Depth=1
	v_or_b32_e32 v6, 0x10000, v5
	v_cmp_eq_u32_sdwa s[4:5], v5, v11 src0_sel:WORD_0 src1_sel:DWORD
	v_cndmask_b32_e64 v9, v6, v5, s[4:5]
; %bb.915:                              ;   in Loop: Header=BB378_530 Depth=1
	s_or_b64 exec, exec, s[24:25]
	v_lshrrev_b16_e32 v6, 8, v2
	v_cmp_ne_u16_e64 s[4:5], 0, v6
	v_mov_b32_e32 v5, 0
	s_and_saveexec_b64 s[24:25], s[4:5]
	s_cbranch_execz .LBB378_921
; %bb.916:                              ;   in Loop: Header=BB378_530 Depth=1
	v_cmp_ne_u16_e64 s[4:5], s31, v6
	v_bfrev_b32_e32 v5, 1
	s_and_saveexec_b64 s[26:27], s[4:5]
	s_cbranch_execz .LBB378_920
; %bb.917:                              ;   in Loop: Header=BB378_530 Depth=1
	v_and_b32_e32 v10, 0x7f, v6
	v_cmp_ne_u32_e64 s[4:5], s34, v10
	v_mov_b32_e32 v5, 0x7f800001
	s_and_saveexec_b64 s[28:29], s[4:5]
	s_cbranch_execz .LBB378_919
; %bb.918:                              ;   in Loop: Header=BB378_530 Depth=1
	v_and_b32_e32 v5, 7, v6
	v_ffbh_u32_e32 v23, v5
	v_min_u32_e32 v23, 32, v23
	v_subrev_u32_e32 v26, 28, v23
	v_lshlrev_b64 v[32:33], v26, v[6:7]
	v_lshrrev_b32_e32 v22, 3, v10
	v_sub_u32_e32 v6, 29, v23
	v_and_b32_e32 v23, 7, v32
	v_cmp_gt_u32_e64 s[4:5], 8, v10
	v_cndmask_b32_e64 v6, v22, v6, s[4:5]
	v_cndmask_b32_e64 v5, v5, v23, s[4:5]
	v_lshlrev_b32_e32 v10, 16, v2
	v_lshlrev_b32_e32 v5, 20, v5
	v_and_b32_e32 v10, 0x80000000, v10
	v_lshl_add_u32 v6, v6, 23, v28
	v_or3_b32 v5, v10, v6, v5
.LBB378_919:                            ;   in Loop: Header=BB378_530 Depth=1
	s_or_b64 exec, exec, s[28:29]
.LBB378_920:                            ;   in Loop: Header=BB378_530 Depth=1
	s_or_b64 exec, exec, s[26:27]
.LBB378_921:                            ;   in Loop: Header=BB378_530 Depth=1
	s_or_b64 exec, exec, s[24:25]
	v_mul_f32_e32 v5, v7, v5
	v_and_b32_e32 v6, 0x7f800000, v5
	v_cmp_ne_u32_e64 s[4:5], s15, v6
                                        ; implicit-def: $vgpr22
	s_and_saveexec_b64 s[24:25], s[4:5]
	s_xor_b64 s[4:5], exec, s[24:25]
; %bb.922:                              ;   in Loop: Header=BB378_530 Depth=1
	v_bfe_u32 v6, v5, 16, 1
	v_add3_u32 v22, v5, v6, s30
                                        ; implicit-def: $vgpr5
; %bb.923:                              ;   in Loop: Header=BB378_530 Depth=1
	s_andn2_saveexec_b64 s[24:25], s[4:5]
; %bb.924:                              ;   in Loop: Header=BB378_530 Depth=1
	v_or_b32_e32 v6, 0x10000, v5
	v_cmp_eq_u32_sdwa s[4:5], v5, v11 src0_sel:WORD_0 src1_sel:DWORD
	v_cndmask_b32_e64 v22, v6, v5, s[4:5]
; %bb.925:                              ;   in Loop: Header=BB378_530 Depth=1
	s_or_b64 exec, exec, s[24:25]
	v_lshrrev_b32_e32 v6, 16, v2
	v_cmp_ne_u16_sdwa s[4:5], v6, v11 src0_sel:BYTE_0 src1_sel:DWORD
	v_mov_b32_e32 v5, 0
	s_and_saveexec_b64 s[24:25], s[4:5]
	s_cbranch_execz .LBB378_931
; %bb.926:                              ;   in Loop: Header=BB378_530 Depth=1
	v_cmp_ne_u16_sdwa s[4:5], v6, s31 src0_sel:BYTE_0 src1_sel:DWORD
	v_bfrev_b32_e32 v5, 1
	s_and_saveexec_b64 s[26:27], s[4:5]
	s_cbranch_execz .LBB378_930
; %bb.927:                              ;   in Loop: Header=BB378_530 Depth=1
	v_bfe_u32 v10, v2, 16, 7
	v_cmp_ne_u32_e64 s[4:5], s34, v10
	v_mov_b32_e32 v5, 0x7f800001
	s_and_saveexec_b64 s[28:29], s[4:5]
	s_cbranch_execz .LBB378_929
; %bb.928:                              ;   in Loop: Header=BB378_530 Depth=1
	v_and_b32_e32 v5, 7, v6
	v_ffbh_u32_e32 v26, v5
	v_min_u32_e32 v26, 32, v26
	v_subrev_u32_e32 v27, 28, v26
	v_lshlrev_b64 v[32:33], v27, v[6:7]
	v_lshrrev_b32_e32 v23, 3, v10
	v_sub_u32_e32 v26, 29, v26
	v_and_b32_e32 v27, 7, v32
	v_cmp_gt_u32_e64 s[4:5], 8, v10
	v_cndmask_b32_e64 v10, v23, v26, s[4:5]
	v_cndmask_b32_e64 v5, v5, v27, s[4:5]
	v_lshlrev_b32_e32 v6, 24, v6
	v_lshlrev_b32_e32 v5, 20, v5
	v_and_b32_e32 v6, 0x80000000, v6
	v_lshl_add_u32 v10, v10, 23, v28
	v_or3_b32 v5, v6, v10, v5
.LBB378_929:                            ;   in Loop: Header=BB378_530 Depth=1
	s_or_b64 exec, exec, s[28:29]
.LBB378_930:                            ;   in Loop: Header=BB378_530 Depth=1
	s_or_b64 exec, exec, s[26:27]
.LBB378_931:                            ;   in Loop: Header=BB378_530 Depth=1
	s_or_b64 exec, exec, s[24:25]
	v_mul_f32_e32 v5, v7, v5
	v_and_b32_e32 v6, 0x7f800000, v5
	v_cmp_ne_u32_e64 s[4:5], s15, v6
                                        ; implicit-def: $vgpr29
	s_and_saveexec_b64 s[24:25], s[4:5]
	s_xor_b64 s[4:5], exec, s[24:25]
; %bb.932:                              ;   in Loop: Header=BB378_530 Depth=1
	v_bfe_u32 v6, v5, 16, 1
	v_add3_u32 v29, v5, v6, s30
                                        ; implicit-def: $vgpr5
; %bb.933:                              ;   in Loop: Header=BB378_530 Depth=1
	s_andn2_saveexec_b64 s[24:25], s[4:5]
; %bb.934:                              ;   in Loop: Header=BB378_530 Depth=1
	v_or_b32_e32 v6, 0x10000, v5
	v_cmp_eq_u32_sdwa s[4:5], v5, v11 src0_sel:WORD_0 src1_sel:DWORD
	v_cndmask_b32_e64 v29, v6, v5, s[4:5]
; %bb.935:                              ;   in Loop: Header=BB378_530 Depth=1
	s_or_b64 exec, exec, s[24:25]
	v_cmp_lt_u32_e64 s[4:5], s11, v2
	v_mov_b32_e32 v5, 0
	s_and_saveexec_b64 s[24:25], s[4:5]
	s_cbranch_execz .LBB378_941
; %bb.936:                              ;   in Loop: Header=BB378_530 Depth=1
	v_lshrrev_b32_e32 v6, 24, v2
	v_cmp_ne_u32_e64 s[4:5], s31, v6
	v_bfrev_b32_e32 v5, 1
	s_and_saveexec_b64 s[26:27], s[4:5]
	s_cbranch_execz .LBB378_940
; %bb.937:                              ;   in Loop: Header=BB378_530 Depth=1
	v_bfe_u32 v10, v2, 24, 7
	v_cmp_ne_u32_e64 s[4:5], s34, v10
	v_mov_b32_e32 v5, 0x7f800001
	s_and_saveexec_b64 s[28:29], s[4:5]
	s_cbranch_execz .LBB378_939
; %bb.938:                              ;   in Loop: Header=BB378_530 Depth=1
	v_and_b32_e32 v5, 7, v6
	v_ffbh_u32_e32 v26, v5
	v_min_u32_e32 v26, 32, v26
	v_subrev_u32_e32 v27, 28, v26
	v_lshlrev_b64 v[32:33], v27, v[6:7]
	v_lshrrev_b32_e32 v23, 3, v10
	v_sub_u32_e32 v26, 29, v26
	v_and_b32_e32 v27, 7, v32
	v_cmp_gt_u32_e64 s[4:5], 8, v10
	v_cndmask_b32_e64 v10, v23, v26, s[4:5]
	v_cndmask_b32_e64 v5, v5, v27, s[4:5]
	v_lshlrev_b32_e32 v6, 24, v6
	v_lshlrev_b32_e32 v5, 20, v5
	v_and_b32_e32 v6, 0x80000000, v6
	v_lshl_add_u32 v10, v10, 23, v28
	v_or3_b32 v5, v6, v10, v5
.LBB378_939:                            ;   in Loop: Header=BB378_530 Depth=1
	s_or_b64 exec, exec, s[28:29]
.LBB378_940:                            ;   in Loop: Header=BB378_530 Depth=1
	s_or_b64 exec, exec, s[26:27]
.LBB378_941:                            ;   in Loop: Header=BB378_530 Depth=1
	s_or_b64 exec, exec, s[24:25]
	v_mul_f32_e32 v5, v7, v5
	v_and_b32_e32 v6, 0x7f800000, v5
	v_cmp_ne_u32_e64 s[4:5], s15, v6
                                        ; implicit-def: $vgpr38
	s_and_saveexec_b64 s[24:25], s[4:5]
	s_xor_b64 s[4:5], exec, s[24:25]
; %bb.942:                              ;   in Loop: Header=BB378_530 Depth=1
	v_bfe_u32 v6, v5, 16, 1
	v_add3_u32 v38, v5, v6, s30
                                        ; implicit-def: $vgpr5
; %bb.943:                              ;   in Loop: Header=BB378_530 Depth=1
	s_andn2_saveexec_b64 s[24:25], s[4:5]
; %bb.944:                              ;   in Loop: Header=BB378_530 Depth=1
	v_or_b32_e32 v6, 0x10000, v5
	v_cmp_eq_u32_sdwa s[4:5], v5, v11 src0_sel:WORD_0 src1_sel:DWORD
	v_cndmask_b32_e64 v38, v6, v5, s[4:5]
; %bb.945:                              ;   in Loop: Header=BB378_530 Depth=1
	s_or_b64 exec, exec, s[24:25]
	v_mov_b32_e32 v10, v3
	v_cmp_ne_u16_sdwa s[4:5], v3, v11 src0_sel:BYTE_0 src1_sel:DWORD
	v_mov_b32_e32 v5, 0
	s_and_saveexec_b64 s[24:25], s[4:5]
	s_cbranch_execz .LBB378_951
; %bb.946:                              ;   in Loop: Header=BB378_530 Depth=1
	v_cmp_ne_u16_sdwa s[4:5], v3, s31 src0_sel:BYTE_0 src1_sel:DWORD
	v_bfrev_b32_e32 v5, 1
	s_and_saveexec_b64 s[26:27], s[4:5]
	s_cbranch_execz .LBB378_950
; %bb.947:                              ;   in Loop: Header=BB378_530 Depth=1
	v_and_b32_e32 v6, 0x7f, v3
	v_cmp_ne_u32_e64 s[4:5], s34, v6
	v_mov_b32_e32 v5, 0x7f800001
	s_and_saveexec_b64 s[28:29], s[4:5]
	s_cbranch_execz .LBB378_949
; %bb.948:                              ;   in Loop: Header=BB378_530 Depth=1
	v_and_b32_e32 v5, 7, v3
	v_ffbh_u32_e32 v5, v5
	v_min_u32_e32 v5, 32, v5
	v_subrev_u32_e32 v26, 28, v5
	v_cmp_gt_u32_e64 s[4:5], 8, v6
	v_lshrrev_b32_e32 v23, 3, v6
	v_cndmask_b32_e64 v6, 0, v26, s[4:5]
	v_sub_u32_e32 v5, 29, v5
	v_lshlrev_b64 v[32:33], v6, v[10:11]
	v_cndmask_b32_e64 v5, v23, v5, s[4:5]
	v_lshlrev_b32_e32 v6, 20, v32
	v_lshlrev_b32_e32 v23, 24, v10
	v_and_b32_e32 v6, 0x700000, v6
	v_and_b32_e32 v23, 0x80000000, v23
	v_lshl_add_u32 v5, v5, 23, v28
	v_or3_b32 v5, v23, v5, v6
.LBB378_949:                            ;   in Loop: Header=BB378_530 Depth=1
	s_or_b64 exec, exec, s[28:29]
.LBB378_950:                            ;   in Loop: Header=BB378_530 Depth=1
	s_or_b64 exec, exec, s[26:27]
.LBB378_951:                            ;   in Loop: Header=BB378_530 Depth=1
	s_or_b64 exec, exec, s[24:25]
	v_mul_f32_e32 v5, v7, v5
	v_and_b32_e32 v6, 0x7f800000, v5
	v_cmp_ne_u32_e64 s[4:5], s15, v6
                                        ; implicit-def: $vgpr32
	s_and_saveexec_b64 s[24:25], s[4:5]
	s_xor_b64 s[4:5], exec, s[24:25]
; %bb.952:                              ;   in Loop: Header=BB378_530 Depth=1
	v_bfe_u32 v6, v5, 16, 1
	v_add3_u32 v32, v5, v6, s30
                                        ; implicit-def: $vgpr5
; %bb.953:                              ;   in Loop: Header=BB378_530 Depth=1
	s_andn2_saveexec_b64 s[24:25], s[4:5]
; %bb.954:                              ;   in Loop: Header=BB378_530 Depth=1
	v_or_b32_e32 v6, 0x10000, v5
	v_cmp_eq_u32_sdwa s[4:5], v5, v11 src0_sel:WORD_0 src1_sel:DWORD
	v_cndmask_b32_e64 v32, v6, v5, s[4:5]
; %bb.955:                              ;   in Loop: Header=BB378_530 Depth=1
	s_or_b64 exec, exec, s[24:25]
	v_lshrrev_b16_e32 v6, 8, v10
	v_cmp_ne_u16_e64 s[4:5], 0, v6
	v_mov_b32_e32 v5, 0
	s_and_saveexec_b64 s[24:25], s[4:5]
	s_cbranch_execz .LBB378_961
; %bb.956:                              ;   in Loop: Header=BB378_530 Depth=1
	v_cmp_ne_u16_e64 s[4:5], s31, v6
	v_bfrev_b32_e32 v5, 1
	s_and_saveexec_b64 s[26:27], s[4:5]
	s_cbranch_execz .LBB378_960
; %bb.957:                              ;   in Loop: Header=BB378_530 Depth=1
	v_and_b32_e32 v33, 0x7f, v6
	v_cmp_ne_u32_e64 s[4:5], s34, v33
	v_mov_b32_e32 v5, 0x7f800001
	s_and_saveexec_b64 s[28:29], s[4:5]
	s_cbranch_execz .LBB378_959
; %bb.958:                              ;   in Loop: Header=BB378_530 Depth=1
	v_and_b32_e32 v5, 7, v6
	v_ffbh_u32_e32 v26, v5
	v_min_u32_e32 v26, 32, v26
	v_subrev_u32_e32 v27, 28, v26
	v_lshlrev_b64 v[48:49], v27, v[6:7]
	v_lshrrev_b32_e32 v23, 3, v33
	v_sub_u32_e32 v6, 29, v26
	v_and_b32_e32 v26, 7, v48
	v_cmp_gt_u32_e64 s[4:5], 8, v33
	v_cndmask_b32_e64 v6, v23, v6, s[4:5]
	v_cndmask_b32_e64 v5, v5, v26, s[4:5]
	v_lshlrev_b32_e32 v10, 16, v10
	v_lshlrev_b32_e32 v5, 20, v5
	v_and_b32_e32 v10, 0x80000000, v10
	v_lshl_add_u32 v6, v6, 23, v28
	v_or3_b32 v5, v10, v6, v5
.LBB378_959:                            ;   in Loop: Header=BB378_530 Depth=1
	s_or_b64 exec, exec, s[28:29]
.LBB378_960:                            ;   in Loop: Header=BB378_530 Depth=1
	s_or_b64 exec, exec, s[26:27]
.LBB378_961:                            ;   in Loop: Header=BB378_530 Depth=1
	s_or_b64 exec, exec, s[24:25]
	v_mul_f32_e32 v6, v7, v5
	v_and_b32_e32 v5, 0x7f800000, v6
	v_cmp_ne_u32_e64 s[4:5], s15, v5
                                        ; implicit-def: $vgpr5
	s_and_saveexec_b64 s[24:25], s[4:5]
	s_xor_b64 s[4:5], exec, s[24:25]
; %bb.962:                              ;   in Loop: Header=BB378_530 Depth=1
	v_bfe_u32 v5, v6, 16, 1
	v_add3_u32 v5, v6, v5, s30
                                        ; implicit-def: $vgpr6
; %bb.963:                              ;   in Loop: Header=BB378_530 Depth=1
	s_andn2_saveexec_b64 s[24:25], s[4:5]
; %bb.964:                              ;   in Loop: Header=BB378_530 Depth=1
	v_or_b32_e32 v5, 0x10000, v6
	v_cmp_eq_u32_sdwa s[4:5], v6, v11 src0_sel:WORD_0 src1_sel:DWORD
	v_cndmask_b32_e64 v5, v5, v6, s[4:5]
; %bb.965:                              ;   in Loop: Header=BB378_530 Depth=1
	s_or_b64 exec, exec, s[24:25]
	v_lshrrev_b32_e32 v6, 16, v3
	v_cmp_ne_u16_sdwa s[4:5], v6, v11 src0_sel:BYTE_0 src1_sel:DWORD
	v_mov_b32_e32 v10, 0
	s_and_saveexec_b64 s[24:25], s[4:5]
	s_cbranch_execz .LBB378_971
; %bb.966:                              ;   in Loop: Header=BB378_530 Depth=1
	v_cmp_ne_u16_sdwa s[4:5], v6, s31 src0_sel:BYTE_0 src1_sel:DWORD
	v_bfrev_b32_e32 v10, 1
	s_and_saveexec_b64 s[26:27], s[4:5]
	s_cbranch_execz .LBB378_970
; %bb.967:                              ;   in Loop: Header=BB378_530 Depth=1
	v_bfe_u32 v33, v3, 16, 7
	v_cmp_ne_u32_e64 s[4:5], s34, v33
	v_mov_b32_e32 v10, 0x7f800001
	s_and_saveexec_b64 s[28:29], s[4:5]
	s_cbranch_execz .LBB378_969
; %bb.968:                              ;   in Loop: Header=BB378_530 Depth=1
	v_and_b32_e32 v10, 7, v6
	v_ffbh_u32_e32 v26, v10
	v_min_u32_e32 v26, 32, v26
	v_subrev_u32_e32 v27, 28, v26
	v_lshlrev_b64 v[48:49], v27, v[6:7]
	v_lshrrev_b32_e32 v23, 3, v33
	v_sub_u32_e32 v26, 29, v26
	v_and_b32_e32 v27, 7, v48
	v_cmp_gt_u32_e64 s[4:5], 8, v33
	v_cndmask_b32_e64 v23, v23, v26, s[4:5]
	v_cndmask_b32_e64 v10, v10, v27, s[4:5]
	v_lshlrev_b32_e32 v6, 24, v6
	v_lshlrev_b32_e32 v10, 20, v10
	v_and_b32_e32 v6, 0x80000000, v6
	v_lshl_add_u32 v23, v23, 23, v28
	v_or3_b32 v10, v6, v23, v10
.LBB378_969:                            ;   in Loop: Header=BB378_530 Depth=1
	s_or_b64 exec, exec, s[28:29]
.LBB378_970:                            ;   in Loop: Header=BB378_530 Depth=1
	s_or_b64 exec, exec, s[26:27]
.LBB378_971:                            ;   in Loop: Header=BB378_530 Depth=1
	s_or_b64 exec, exec, s[24:25]
	v_mul_f32_e32 v6, v7, v10
	v_and_b32_e32 v10, 0x7f800000, v6
	v_cmp_ne_u32_e64 s[4:5], s15, v10
                                        ; implicit-def: $vgpr35
	s_and_saveexec_b64 s[24:25], s[4:5]
	s_xor_b64 s[4:5], exec, s[24:25]
; %bb.972:                              ;   in Loop: Header=BB378_530 Depth=1
	v_bfe_u32 v10, v6, 16, 1
	v_add3_u32 v35, v6, v10, s30
                                        ; implicit-def: $vgpr6
; %bb.973:                              ;   in Loop: Header=BB378_530 Depth=1
	s_andn2_saveexec_b64 s[24:25], s[4:5]
; %bb.974:                              ;   in Loop: Header=BB378_530 Depth=1
	v_or_b32_e32 v10, 0x10000, v6
	v_cmp_eq_u32_sdwa s[4:5], v6, v11 src0_sel:WORD_0 src1_sel:DWORD
	v_cndmask_b32_e64 v35, v10, v6, s[4:5]
; %bb.975:                              ;   in Loop: Header=BB378_530 Depth=1
	s_or_b64 exec, exec, s[24:25]
	v_cmp_lt_u64_e64 s[4:5], s[10:11], v[2:3]
	v_mov_b32_e32 v6, 0
	s_and_saveexec_b64 s[24:25], s[4:5]
	s_cbranch_execz .LBB378_981
; %bb.976:                              ;   in Loop: Header=BB378_530 Depth=1
	v_lshrrev_b32_e32 v2, 24, v3
	v_cmp_ne_u32_e64 s[4:5], s31, v2
	v_bfrev_b32_e32 v6, 1
	s_and_saveexec_b64 s[26:27], s[4:5]
	s_cbranch_execz .LBB378_980
; %bb.977:                              ;   in Loop: Header=BB378_530 Depth=1
	v_bfe_u32 v3, v3, 24, 7
	v_cmp_ne_u32_e64 s[4:5], s34, v3
	v_mov_b32_e32 v6, 0x7f800001
	s_and_saveexec_b64 s[28:29], s[4:5]
	s_cbranch_execz .LBB378_979
; %bb.978:                              ;   in Loop: Header=BB378_530 Depth=1
	v_and_b32_e32 v6, 7, v2
	v_ffbh_u32_e32 v23, v6
	v_min_u32_e32 v23, 32, v23
	v_subrev_u32_e32 v26, 28, v23
	v_lshlrev_b64 v[48:49], v26, v[2:3]
	v_lshrrev_b32_e32 v10, 3, v3
	v_sub_u32_e32 v23, 29, v23
	v_and_b32_e32 v26, 7, v48
	v_cmp_gt_u32_e64 s[4:5], 8, v3
	v_cndmask_b32_e64 v3, v10, v23, s[4:5]
	v_cndmask_b32_e64 v6, v6, v26, s[4:5]
	v_lshlrev_b32_e32 v2, 24, v2
	v_lshlrev_b32_e32 v6, 20, v6
	v_and_b32_e32 v2, 0x80000000, v2
	v_lshl_add_u32 v3, v3, 23, v28
	v_or3_b32 v6, v2, v3, v6
.LBB378_979:                            ;   in Loop: Header=BB378_530 Depth=1
	s_or_b64 exec, exec, s[28:29]
.LBB378_980:                            ;   in Loop: Header=BB378_530 Depth=1
	s_or_b64 exec, exec, s[26:27]
.LBB378_981:                            ;   in Loop: Header=BB378_530 Depth=1
	s_or_b64 exec, exec, s[24:25]
	v_mul_f32_e32 v3, v7, v6
	v_and_b32_e32 v2, 0x7f800000, v3
	v_cmp_ne_u32_e64 s[4:5], s15, v2
                                        ; implicit-def: $vgpr2
	s_and_saveexec_b64 s[24:25], s[4:5]
	s_xor_b64 s[4:5], exec, s[24:25]
; %bb.982:                              ;   in Loop: Header=BB378_530 Depth=1
	v_bfe_u32 v2, v3, 16, 1
	v_add3_u32 v2, v3, v2, s30
                                        ; implicit-def: $vgpr3
; %bb.983:                              ;   in Loop: Header=BB378_530 Depth=1
	s_andn2_saveexec_b64 s[24:25], s[4:5]
; %bb.984:                              ;   in Loop: Header=BB378_530 Depth=1
	v_or_b32_e32 v2, 0x10000, v3
	v_cmp_eq_u32_sdwa s[4:5], v3, v11 src0_sel:WORD_0 src1_sel:DWORD
	v_cndmask_b32_e64 v2, v2, v3, s[4:5]
; %bb.985:                              ;   in Loop: Header=BB378_530 Depth=1
	s_or_b64 exec, exec, s[24:25]
	v_lshrrev_b32_e32 v5, 16, v5
	v_lshrrev_b32_e32 v6, 16, v32
	;; [unrolled: 1-line block ×8, first 2 shown]
	s_and_saveexec_b64 s[24:25], vcc
	s_cbranch_execz .LBB378_987
; %bb.986:                              ;   in Loop: Header=BB378_530 Depth=1
	v_accvgpr_read_b32 v22, a3
	v_cmp_lt_i32_e64 s[4:5], v51, v22
	v_accvgpr_read_b32 v23, a37
	v_cndmask_b32_e64 v9, 0, v9, s[4:5]
	v_cmp_lt_i32_e64 s[4:5], v23, v22
	v_accvgpr_read_b32 v23, a36
	v_cndmask_b32_e64 v32, 0, v32, s[4:5]
	;; [unrolled: 3-line block ×7, first 2 shown]
	v_cmp_lt_i32_e64 s[4:5], v23, v22
	v_cndmask_b32_e64 v2, 0, v2, s[4:5]
.LBB378_987:                            ;   in Loop: Header=BB378_530 Depth=1
	s_or_b64 exec, exec, s[24:25]
	v_lshlrev_b32_e32 v9, 16, v9
	v_mul_f32_e32 v9, v46, v9
	v_and_b32_e32 v22, 0x7f800000, v9
	v_cmp_ne_u32_e64 s[4:5], s15, v22
                                        ; implicit-def: $vgpr22
	s_and_saveexec_b64 s[24:25], s[4:5]
	s_xor_b64 s[4:5], exec, s[24:25]
; %bb.988:                              ;   in Loop: Header=BB378_530 Depth=1
	v_bfe_u32 v22, v9, 16, 1
	v_add3_u32 v22, v9, v22, s30
                                        ; implicit-def: $vgpr9
; %bb.989:                              ;   in Loop: Header=BB378_530 Depth=1
	s_andn2_saveexec_b64 s[24:25], s[4:5]
; %bb.990:                              ;   in Loop: Header=BB378_530 Depth=1
	v_or_b32_e32 v22, 0x10000, v9
	v_cmp_eq_u32_sdwa s[4:5], v9, v11 src0_sel:WORD_0 src1_sel:DWORD
	v_cndmask_b32_e64 v22, v22, v9, s[4:5]
; %bb.991:                              ;   in Loop: Header=BB378_530 Depth=1
	s_or_b64 exec, exec, s[24:25]
	v_lshlrev_b32_e32 v9, 16, v32
	v_mul_f32_e32 v32, v47, v9
	v_and_b32_e32 v9, 0x7f800000, v32
	v_cmp_ne_u32_e64 s[4:5], s15, v9
                                        ; implicit-def: $vgpr9
	s_and_saveexec_b64 s[24:25], s[4:5]
	s_xor_b64 s[4:5], exec, s[24:25]
; %bb.992:                              ;   in Loop: Header=BB378_530 Depth=1
	v_bfe_u32 v9, v32, 16, 1
	v_add3_u32 v9, v32, v9, s30
                                        ; implicit-def: $vgpr32
; %bb.993:                              ;   in Loop: Header=BB378_530 Depth=1
	s_andn2_saveexec_b64 s[24:25], s[4:5]
; %bb.994:                              ;   in Loop: Header=BB378_530 Depth=1
	v_or_b32_e32 v9, 0x10000, v32
	v_cmp_eq_u32_sdwa s[4:5], v32, v11 src0_sel:WORD_0 src1_sel:DWORD
	v_cndmask_b32_e64 v9, v9, v32, s[4:5]
; %bb.995:                              ;   in Loop: Header=BB378_530 Depth=1
	s_or_b64 exec, exec, s[24:25]
	v_lshlrev_b32_e32 v23, 16, v29
	v_mul_f32_e32 v32, v56, v23
	v_and_b32_e32 v23, 0x7f800000, v32
	v_cmp_ne_u32_e64 s[4:5], s15, v23
                                        ; implicit-def: $vgpr29
	s_and_saveexec_b64 s[24:25], s[4:5]
	s_xor_b64 s[4:5], exec, s[24:25]
; %bb.996:                              ;   in Loop: Header=BB378_530 Depth=1
	v_bfe_u32 v23, v32, 16, 1
	v_add3_u32 v29, v32, v23, s30
                                        ; implicit-def: $vgpr32
; %bb.997:                              ;   in Loop: Header=BB378_530 Depth=1
	s_andn2_saveexec_b64 s[24:25], s[4:5]
; %bb.998:                              ;   in Loop: Header=BB378_530 Depth=1
	v_or_b32_e32 v23, 0x10000, v32
	v_cmp_eq_u32_sdwa s[4:5], v32, v11 src0_sel:WORD_0 src1_sel:DWORD
	v_cndmask_b32_e64 v29, v23, v32, s[4:5]
; %bb.999:                              ;   in Loop: Header=BB378_530 Depth=1
	s_or_b64 exec, exec, s[24:25]
	v_lshlrev_b32_e32 v10, 16, v10
	v_mul_f32_e32 v10, v57, v10
	v_and_b32_e32 v23, 0x7f800000, v10
	v_cmp_ne_u32_e64 s[4:5], s15, v23
                                        ; implicit-def: $vgpr38
	s_and_saveexec_b64 s[24:25], s[4:5]
	s_xor_b64 s[4:5], exec, s[24:25]
; %bb.1000:                             ;   in Loop: Header=BB378_530 Depth=1
	v_bfe_u32 v23, v10, 16, 1
	v_add3_u32 v38, v10, v23, s30
                                        ; implicit-def: $vgpr10
; %bb.1001:                             ;   in Loop: Header=BB378_530 Depth=1
	s_andn2_saveexec_b64 s[24:25], s[4:5]
; %bb.1002:                             ;   in Loop: Header=BB378_530 Depth=1
	v_or_b32_e32 v23, 0x10000, v10
	v_cmp_eq_u32_sdwa s[4:5], v10, v11 src0_sel:WORD_0 src1_sel:DWORD
	v_cndmask_b32_e64 v38, v23, v10, s[4:5]
; %bb.1003:                             ;   in Loop: Header=BB378_530 Depth=1
	s_or_b64 exec, exec, s[24:25]
	v_lshlrev_b32_e32 v6, 16, v6
	v_mul_f32_e32 v6, v58, v6
	v_and_b32_e32 v10, 0x7f800000, v6
	v_cmp_ne_u32_e64 s[4:5], s15, v10
                                        ; implicit-def: $vgpr39
	s_and_saveexec_b64 s[24:25], s[4:5]
	s_xor_b64 s[4:5], exec, s[24:25]
; %bb.1004:                             ;   in Loop: Header=BB378_530 Depth=1
	v_bfe_u32 v10, v6, 16, 1
	v_add3_u32 v39, v6, v10, s30
                                        ; implicit-def: $vgpr6
; %bb.1005:                             ;   in Loop: Header=BB378_530 Depth=1
	s_andn2_saveexec_b64 s[24:25], s[4:5]
; %bb.1006:                             ;   in Loop: Header=BB378_530 Depth=1
	v_or_b32_e32 v10, 0x10000, v6
	v_cmp_eq_u32_sdwa s[4:5], v6, v11 src0_sel:WORD_0 src1_sel:DWORD
	v_cndmask_b32_e64 v39, v10, v6, s[4:5]
; %bb.1007:                             ;   in Loop: Header=BB378_530 Depth=1
	s_or_b64 exec, exec, s[24:25]
	v_lshlrev_b32_e32 v5, 16, v5
	v_mul_f32_e32 v5, v60, v5
	v_and_b32_e32 v6, 0x7f800000, v5
	v_cmp_ne_u32_e64 s[4:5], s15, v6
                                        ; implicit-def: $vgpr48
	s_and_saveexec_b64 s[24:25], s[4:5]
	s_xor_b64 s[4:5], exec, s[24:25]
; %bb.1008:                             ;   in Loop: Header=BB378_530 Depth=1
	v_bfe_u32 v6, v5, 16, 1
	v_add3_u32 v48, v5, v6, s30
                                        ; implicit-def: $vgpr5
; %bb.1009:                             ;   in Loop: Header=BB378_530 Depth=1
	s_andn2_saveexec_b64 s[24:25], s[4:5]
; %bb.1010:                             ;   in Loop: Header=BB378_530 Depth=1
	v_or_b32_e32 v6, 0x10000, v5
	v_cmp_eq_u32_sdwa s[4:5], v5, v11 src0_sel:WORD_0 src1_sel:DWORD
	v_cndmask_b32_e64 v48, v6, v5, s[4:5]
; %bb.1011:                             ;   in Loop: Header=BB378_530 Depth=1
	s_or_b64 exec, exec, s[24:25]
	v_lshlrev_b32_e32 v3, 16, v3
	v_mul_f32_e32 v3, v34, v3
	v_and_b32_e32 v5, 0x7f800000, v3
	v_cmp_ne_u32_e64 s[4:5], s15, v5
                                        ; implicit-def: $vgpr49
	s_and_saveexec_b64 s[24:25], s[4:5]
	s_xor_b64 s[4:5], exec, s[24:25]
; %bb.1012:                             ;   in Loop: Header=BB378_530 Depth=1
	v_bfe_u32 v5, v3, 16, 1
	v_add3_u32 v49, v3, v5, s30
                                        ; implicit-def: $vgpr3
; %bb.1013:                             ;   in Loop: Header=BB378_530 Depth=1
	s_andn2_saveexec_b64 s[24:25], s[4:5]
; %bb.1014:                             ;   in Loop: Header=BB378_530 Depth=1
	v_or_b32_e32 v5, 0x10000, v3
	v_cmp_eq_u32_sdwa s[4:5], v3, v11 src0_sel:WORD_0 src1_sel:DWORD
	v_cndmask_b32_e64 v49, v5, v3, s[4:5]
; %bb.1015:                             ;   in Loop: Header=BB378_530 Depth=1
	s_or_b64 exec, exec, s[24:25]
	v_lshlrev_b32_e32 v2, 16, v2
	v_mul_f32_e32 v2, v25, v2
	v_and_b32_e32 v3, 0x7f800000, v2
	v_cmp_ne_u32_e64 s[4:5], s15, v3
                                        ; implicit-def: $vgpr50
	s_and_saveexec_b64 s[24:25], s[4:5]
	s_xor_b64 s[4:5], exec, s[24:25]
; %bb.1016:                             ;   in Loop: Header=BB378_530 Depth=1
	v_bfe_u32 v3, v2, 16, 1
	v_add3_u32 v50, v2, v3, s30
                                        ; implicit-def: $vgpr2
; %bb.1017:                             ;   in Loop: Header=BB378_530 Depth=1
	s_andn2_saveexec_b64 s[24:25], s[4:5]
; %bb.1018:                             ;   in Loop: Header=BB378_530 Depth=1
	v_or_b32_e32 v3, 0x10000, v2
	v_cmp_eq_u32_sdwa s[4:5], v2, v11 src0_sel:WORD_0 src1_sel:DWORD
	v_cndmask_b32_e64 v50, v3, v2, s[4:5]
; %bb.1019:                             ;   in Loop: Header=BB378_530 Depth=1
	s_or_b64 exec, exec, s[24:25]
	flat_load_dwordx2 v[2:3], v[0:1] offset:2048
	v_mov_b32_e32 v5, 0
	s_waitcnt vmcnt(0) lgkmcnt(0)
	v_cmp_ne_u16_sdwa s[4:5], v2, v11 src0_sel:BYTE_0 src1_sel:DWORD
	s_and_saveexec_b64 s[24:25], s[4:5]
	s_cbranch_execz .LBB378_1025
; %bb.1020:                             ;   in Loop: Header=BB378_530 Depth=1
	v_cmp_ne_u16_sdwa s[4:5], v2, s31 src0_sel:BYTE_0 src1_sel:DWORD
	v_bfrev_b32_e32 v5, 1
	s_and_saveexec_b64 s[26:27], s[4:5]
	s_cbranch_execz .LBB378_1024
; %bb.1021:                             ;   in Loop: Header=BB378_530 Depth=1
	v_and_b32_e32 v6, 0x7f, v2
	v_cmp_ne_u32_e64 s[4:5], s34, v6
	v_mov_b32_e32 v5, 0x7f800001
	s_and_saveexec_b64 s[28:29], s[4:5]
	s_cbranch_execz .LBB378_1023
; %bb.1022:                             ;   in Loop: Header=BB378_530 Depth=1
	v_and_b32_e32 v5, 7, v2
	v_ffbh_u32_e32 v5, v5
	v_min_u32_e32 v5, 32, v5
	v_subrev_u32_e32 v23, 28, v5
	v_cmp_gt_u32_e64 s[4:5], 8, v6
	v_lshrrev_b32_e32 v10, 3, v6
	v_cndmask_b32_e64 v6, 0, v23, s[4:5]
	v_sub_u32_e32 v5, 29, v5
	v_lshlrev_b64 v[32:33], v6, v[2:3]
	v_cndmask_b32_e64 v5, v10, v5, s[4:5]
	v_lshlrev_b32_e32 v6, 20, v32
	v_lshlrev_b32_e32 v10, 24, v2
	v_and_b32_e32 v6, 0x700000, v6
	v_and_b32_e32 v10, 0x80000000, v10
	v_lshl_add_u32 v5, v5, 23, v28
	v_or3_b32 v5, v10, v5, v6
.LBB378_1023:                           ;   in Loop: Header=BB378_530 Depth=1
	s_or_b64 exec, exec, s[28:29]
.LBB378_1024:                           ;   in Loop: Header=BB378_530 Depth=1
	s_or_b64 exec, exec, s[26:27]
.LBB378_1025:                           ;   in Loop: Header=BB378_530 Depth=1
	s_or_b64 exec, exec, s[24:25]
	v_mul_f32_e32 v5, v7, v5
	v_and_b32_e32 v6, 0x7f800000, v5
	v_cmp_ne_u32_e64 s[4:5], s15, v6
                                        ; implicit-def: $vgpr52
	s_and_saveexec_b64 s[24:25], s[4:5]
	s_xor_b64 s[4:5], exec, s[24:25]
; %bb.1026:                             ;   in Loop: Header=BB378_530 Depth=1
	v_bfe_u32 v6, v5, 16, 1
	v_add3_u32 v52, v5, v6, s30
                                        ; implicit-def: $vgpr5
; %bb.1027:                             ;   in Loop: Header=BB378_530 Depth=1
	s_andn2_saveexec_b64 s[24:25], s[4:5]
; %bb.1028:                             ;   in Loop: Header=BB378_530 Depth=1
	v_or_b32_e32 v6, 0x10000, v5
	v_cmp_eq_u32_sdwa s[4:5], v5, v11 src0_sel:WORD_0 src1_sel:DWORD
	v_cndmask_b32_e64 v52, v6, v5, s[4:5]
; %bb.1029:                             ;   in Loop: Header=BB378_530 Depth=1
	s_or_b64 exec, exec, s[24:25]
	v_lshrrev_b16_e32 v6, 8, v2
	v_cmp_ne_u16_e64 s[4:5], 0, v6
	v_mov_b32_e32 v5, 0
	s_and_saveexec_b64 s[24:25], s[4:5]
	s_cbranch_execz .LBB378_1035
; %bb.1030:                             ;   in Loop: Header=BB378_530 Depth=1
	v_cmp_ne_u16_e64 s[4:5], s31, v6
	v_bfrev_b32_e32 v5, 1
	s_and_saveexec_b64 s[26:27], s[4:5]
	s_cbranch_execz .LBB378_1034
; %bb.1031:                             ;   in Loop: Header=BB378_530 Depth=1
	v_and_b32_e32 v10, 0x7f, v6
	v_cmp_ne_u32_e64 s[4:5], s34, v10
	v_mov_b32_e32 v5, 0x7f800001
	s_and_saveexec_b64 s[28:29], s[4:5]
	s_cbranch_execz .LBB378_1033
; %bb.1032:                             ;   in Loop: Header=BB378_530 Depth=1
	v_and_b32_e32 v5, 7, v6
	v_ffbh_u32_e32 v26, v5
	v_min_u32_e32 v26, 32, v26
	v_subrev_u32_e32 v27, 28, v26
	v_lshlrev_b64 v[32:33], v27, v[6:7]
	v_lshrrev_b32_e32 v23, 3, v10
	v_sub_u32_e32 v6, 29, v26
	v_and_b32_e32 v26, 7, v32
	v_cmp_gt_u32_e64 s[4:5], 8, v10
	v_cndmask_b32_e64 v6, v23, v6, s[4:5]
	v_cndmask_b32_e64 v5, v5, v26, s[4:5]
	v_lshlrev_b32_e32 v10, 16, v2
	v_lshlrev_b32_e32 v5, 20, v5
	v_and_b32_e32 v10, 0x80000000, v10
	v_lshl_add_u32 v6, v6, 23, v28
	v_or3_b32 v5, v10, v6, v5
.LBB378_1033:                           ;   in Loop: Header=BB378_530 Depth=1
	s_or_b64 exec, exec, s[28:29]
.LBB378_1034:                           ;   in Loop: Header=BB378_530 Depth=1
	s_or_b64 exec, exec, s[26:27]
.LBB378_1035:                           ;   in Loop: Header=BB378_530 Depth=1
	s_or_b64 exec, exec, s[24:25]
	v_mul_f32_e32 v5, v7, v5
	v_and_b32_e32 v6, 0x7f800000, v5
	v_cmp_ne_u32_e64 s[4:5], s15, v6
                                        ; implicit-def: $vgpr53
	s_and_saveexec_b64 s[24:25], s[4:5]
	s_xor_b64 s[4:5], exec, s[24:25]
; %bb.1036:                             ;   in Loop: Header=BB378_530 Depth=1
	v_bfe_u32 v6, v5, 16, 1
	v_add3_u32 v53, v5, v6, s30
                                        ; implicit-def: $vgpr5
; %bb.1037:                             ;   in Loop: Header=BB378_530 Depth=1
	s_andn2_saveexec_b64 s[24:25], s[4:5]
; %bb.1038:                             ;   in Loop: Header=BB378_530 Depth=1
	v_or_b32_e32 v6, 0x10000, v5
	v_cmp_eq_u32_sdwa s[4:5], v5, v11 src0_sel:WORD_0 src1_sel:DWORD
	v_cndmask_b32_e64 v53, v6, v5, s[4:5]
; %bb.1039:                             ;   in Loop: Header=BB378_530 Depth=1
	s_or_b64 exec, exec, s[24:25]
	v_lshrrev_b32_e32 v6, 16, v2
	v_cmp_ne_u16_sdwa s[4:5], v6, v11 src0_sel:BYTE_0 src1_sel:DWORD
	v_mov_b32_e32 v5, 0
	s_and_saveexec_b64 s[24:25], s[4:5]
	s_cbranch_execz .LBB378_1045
; %bb.1040:                             ;   in Loop: Header=BB378_530 Depth=1
	v_cmp_ne_u16_sdwa s[4:5], v6, s31 src0_sel:BYTE_0 src1_sel:DWORD
	v_bfrev_b32_e32 v5, 1
	s_and_saveexec_b64 s[26:27], s[4:5]
	s_cbranch_execz .LBB378_1044
; %bb.1041:                             ;   in Loop: Header=BB378_530 Depth=1
	v_bfe_u32 v10, v2, 16, 7
	v_cmp_ne_u32_e64 s[4:5], s34, v10
	v_mov_b32_e32 v5, 0x7f800001
	s_and_saveexec_b64 s[28:29], s[4:5]
	s_cbranch_execz .LBB378_1043
; %bb.1042:                             ;   in Loop: Header=BB378_530 Depth=1
	v_and_b32_e32 v5, 7, v6
	v_ffbh_u32_e32 v26, v5
	v_min_u32_e32 v26, 32, v26
	v_subrev_u32_e32 v27, 28, v26
	v_lshlrev_b64 v[32:33], v27, v[6:7]
	v_lshrrev_b32_e32 v23, 3, v10
	v_sub_u32_e32 v26, 29, v26
	v_and_b32_e32 v27, 7, v32
	v_cmp_gt_u32_e64 s[4:5], 8, v10
	v_cndmask_b32_e64 v10, v23, v26, s[4:5]
	v_cndmask_b32_e64 v5, v5, v27, s[4:5]
	v_lshlrev_b32_e32 v6, 24, v6
	v_lshlrev_b32_e32 v5, 20, v5
	v_and_b32_e32 v6, 0x80000000, v6
	v_lshl_add_u32 v10, v10, 23, v28
	v_or3_b32 v5, v6, v10, v5
.LBB378_1043:                           ;   in Loop: Header=BB378_530 Depth=1
	s_or_b64 exec, exec, s[28:29]
.LBB378_1044:                           ;   in Loop: Header=BB378_530 Depth=1
	s_or_b64 exec, exec, s[26:27]
.LBB378_1045:                           ;   in Loop: Header=BB378_530 Depth=1
	s_or_b64 exec, exec, s[24:25]
	v_mul_f32_e32 v5, v7, v5
	v_and_b32_e32 v6, 0x7f800000, v5
	v_cmp_ne_u32_e64 s[4:5], s15, v6
                                        ; implicit-def: $vgpr54
	s_and_saveexec_b64 s[24:25], s[4:5]
	s_xor_b64 s[4:5], exec, s[24:25]
; %bb.1046:                             ;   in Loop: Header=BB378_530 Depth=1
	v_bfe_u32 v6, v5, 16, 1
	v_add3_u32 v54, v5, v6, s30
                                        ; implicit-def: $vgpr5
; %bb.1047:                             ;   in Loop: Header=BB378_530 Depth=1
	s_andn2_saveexec_b64 s[24:25], s[4:5]
; %bb.1048:                             ;   in Loop: Header=BB378_530 Depth=1
	v_or_b32_e32 v6, 0x10000, v5
	v_cmp_eq_u32_sdwa s[4:5], v5, v11 src0_sel:WORD_0 src1_sel:DWORD
	v_cndmask_b32_e64 v54, v6, v5, s[4:5]
; %bb.1049:                             ;   in Loop: Header=BB378_530 Depth=1
	s_or_b64 exec, exec, s[24:25]
	v_cmp_lt_u32_e64 s[4:5], s11, v2
	v_mov_b32_e32 v5, 0
	s_and_saveexec_b64 s[24:25], s[4:5]
	s_cbranch_execz .LBB378_1055
; %bb.1050:                             ;   in Loop: Header=BB378_530 Depth=1
	v_lshrrev_b32_e32 v6, 24, v2
	v_cmp_ne_u32_e64 s[4:5], s31, v6
	v_bfrev_b32_e32 v5, 1
	s_and_saveexec_b64 s[26:27], s[4:5]
	s_cbranch_execz .LBB378_1054
; %bb.1051:                             ;   in Loop: Header=BB378_530 Depth=1
	v_bfe_u32 v10, v2, 24, 7
	v_cmp_ne_u32_e64 s[4:5], s34, v10
	v_mov_b32_e32 v5, 0x7f800001
	s_and_saveexec_b64 s[28:29], s[4:5]
	s_cbranch_execz .LBB378_1053
; %bb.1052:                             ;   in Loop: Header=BB378_530 Depth=1
	v_and_b32_e32 v5, 7, v6
	v_ffbh_u32_e32 v26, v5
	v_min_u32_e32 v26, 32, v26
	v_subrev_u32_e32 v27, 28, v26
	v_lshlrev_b64 v[32:33], v27, v[6:7]
	v_lshrrev_b32_e32 v23, 3, v10
	v_sub_u32_e32 v26, 29, v26
	v_and_b32_e32 v27, 7, v32
	v_cmp_gt_u32_e64 s[4:5], 8, v10
	v_cndmask_b32_e64 v10, v23, v26, s[4:5]
	v_cndmask_b32_e64 v5, v5, v27, s[4:5]
	v_lshlrev_b32_e32 v6, 24, v6
	v_lshlrev_b32_e32 v5, 20, v5
	v_and_b32_e32 v6, 0x80000000, v6
	v_lshl_add_u32 v10, v10, 23, v28
	v_or3_b32 v5, v6, v10, v5
.LBB378_1053:                           ;   in Loop: Header=BB378_530 Depth=1
	s_or_b64 exec, exec, s[28:29]
.LBB378_1054:                           ;   in Loop: Header=BB378_530 Depth=1
	s_or_b64 exec, exec, s[26:27]
.LBB378_1055:                           ;   in Loop: Header=BB378_530 Depth=1
	s_or_b64 exec, exec, s[24:25]
	v_mul_f32_e32 v5, v7, v5
	v_and_b32_e32 v6, 0x7f800000, v5
	v_cmp_ne_u32_e64 s[4:5], s15, v6
                                        ; implicit-def: $vgpr55
	s_and_saveexec_b64 s[24:25], s[4:5]
	s_xor_b64 s[4:5], exec, s[24:25]
; %bb.1056:                             ;   in Loop: Header=BB378_530 Depth=1
	v_bfe_u32 v6, v5, 16, 1
	v_add3_u32 v55, v5, v6, s30
                                        ; implicit-def: $vgpr5
; %bb.1057:                             ;   in Loop: Header=BB378_530 Depth=1
	s_andn2_saveexec_b64 s[24:25], s[4:5]
; %bb.1058:                             ;   in Loop: Header=BB378_530 Depth=1
	v_or_b32_e32 v6, 0x10000, v5
	v_cmp_eq_u32_sdwa s[4:5], v5, v11 src0_sel:WORD_0 src1_sel:DWORD
	v_cndmask_b32_e64 v55, v6, v5, s[4:5]
; %bb.1059:                             ;   in Loop: Header=BB378_530 Depth=1
	s_or_b64 exec, exec, s[24:25]
	v_mov_b32_e32 v10, v3
	v_cmp_ne_u16_sdwa s[4:5], v3, v11 src0_sel:BYTE_0 src1_sel:DWORD
	v_mov_b32_e32 v5, 0
	s_and_saveexec_b64 s[24:25], s[4:5]
	s_cbranch_execz .LBB378_1065
; %bb.1060:                             ;   in Loop: Header=BB378_530 Depth=1
	v_cmp_ne_u16_sdwa s[4:5], v3, s31 src0_sel:BYTE_0 src1_sel:DWORD
	v_bfrev_b32_e32 v5, 1
	s_and_saveexec_b64 s[26:27], s[4:5]
	s_cbranch_execz .LBB378_1064
; %bb.1061:                             ;   in Loop: Header=BB378_530 Depth=1
	v_and_b32_e32 v6, 0x7f, v3
	v_cmp_ne_u32_e64 s[4:5], s34, v6
	v_mov_b32_e32 v5, 0x7f800001
	s_and_saveexec_b64 s[28:29], s[4:5]
	s_cbranch_execz .LBB378_1063
; %bb.1062:                             ;   in Loop: Header=BB378_530 Depth=1
	v_and_b32_e32 v5, 7, v3
	v_ffbh_u32_e32 v5, v5
	v_min_u32_e32 v5, 32, v5
	v_subrev_u32_e32 v26, 28, v5
	v_cmp_gt_u32_e64 s[4:5], 8, v6
	v_lshrrev_b32_e32 v23, 3, v6
	v_cndmask_b32_e64 v6, 0, v26, s[4:5]
	v_sub_u32_e32 v5, 29, v5
	v_lshlrev_b64 v[32:33], v6, v[10:11]
	v_cndmask_b32_e64 v5, v23, v5, s[4:5]
	v_lshlrev_b32_e32 v6, 20, v32
	v_lshlrev_b32_e32 v23, 24, v10
	v_and_b32_e32 v6, 0x700000, v6
	v_and_b32_e32 v23, 0x80000000, v23
	v_lshl_add_u32 v5, v5, 23, v28
	v_or3_b32 v5, v23, v5, v6
.LBB378_1063:                           ;   in Loop: Header=BB378_530 Depth=1
	s_or_b64 exec, exec, s[28:29]
.LBB378_1064:                           ;   in Loop: Header=BB378_530 Depth=1
	s_or_b64 exec, exec, s[26:27]
.LBB378_1065:                           ;   in Loop: Header=BB378_530 Depth=1
	s_or_b64 exec, exec, s[24:25]
	v_mul_f32_e32 v5, v7, v5
	v_and_b32_e32 v6, 0x7f800000, v5
	v_cmp_ne_u32_e64 s[4:5], s15, v6
                                        ; implicit-def: $vgpr32
	s_and_saveexec_b64 s[24:25], s[4:5]
	s_xor_b64 s[4:5], exec, s[24:25]
; %bb.1066:                             ;   in Loop: Header=BB378_530 Depth=1
	v_bfe_u32 v6, v5, 16, 1
	v_add3_u32 v32, v5, v6, s30
                                        ; implicit-def: $vgpr5
; %bb.1067:                             ;   in Loop: Header=BB378_530 Depth=1
	s_andn2_saveexec_b64 s[24:25], s[4:5]
; %bb.1068:                             ;   in Loop: Header=BB378_530 Depth=1
	v_or_b32_e32 v6, 0x10000, v5
	v_cmp_eq_u32_sdwa s[4:5], v5, v11 src0_sel:WORD_0 src1_sel:DWORD
	v_cndmask_b32_e64 v32, v6, v5, s[4:5]
; %bb.1069:                             ;   in Loop: Header=BB378_530 Depth=1
	s_or_b64 exec, exec, s[24:25]
	v_lshrrev_b16_e32 v6, 8, v10
	v_cmp_ne_u16_e64 s[4:5], 0, v6
	v_mov_b32_e32 v5, 0
	s_and_saveexec_b64 s[24:25], s[4:5]
	s_cbranch_execz .LBB378_1075
; %bb.1070:                             ;   in Loop: Header=BB378_530 Depth=1
	v_cmp_ne_u16_e64 s[4:5], s31, v6
	v_bfrev_b32_e32 v5, 1
	s_and_saveexec_b64 s[26:27], s[4:5]
	s_cbranch_execz .LBB378_1074
; %bb.1071:                             ;   in Loop: Header=BB378_530 Depth=1
	v_and_b32_e32 v33, 0x7f, v6
	v_cmp_ne_u32_e64 s[4:5], s34, v33
	v_mov_b32_e32 v5, 0x7f800001
	s_and_saveexec_b64 s[28:29], s[4:5]
	s_cbranch_execz .LBB378_1073
; %bb.1072:                             ;   in Loop: Header=BB378_530 Depth=1
	v_and_b32_e32 v5, 7, v6
	v_ffbh_u32_e32 v26, v5
	v_min_u32_e32 v26, 32, v26
	v_subrev_u32_e32 v27, 28, v26
	v_lshlrev_b64 v[42:43], v27, v[6:7]
	v_lshrrev_b32_e32 v23, 3, v33
	v_sub_u32_e32 v6, 29, v26
	v_and_b32_e32 v26, 7, v42
	v_cmp_gt_u32_e64 s[4:5], 8, v33
	v_cndmask_b32_e64 v6, v23, v6, s[4:5]
	v_cndmask_b32_e64 v5, v5, v26, s[4:5]
	v_lshlrev_b32_e32 v10, 16, v10
	v_lshlrev_b32_e32 v5, 20, v5
	v_and_b32_e32 v10, 0x80000000, v10
	v_lshl_add_u32 v6, v6, 23, v28
	v_or3_b32 v5, v10, v6, v5
.LBB378_1073:                           ;   in Loop: Header=BB378_530 Depth=1
	s_or_b64 exec, exec, s[28:29]
.LBB378_1074:                           ;   in Loop: Header=BB378_530 Depth=1
	s_or_b64 exec, exec, s[26:27]
.LBB378_1075:                           ;   in Loop: Header=BB378_530 Depth=1
	s_or_b64 exec, exec, s[24:25]
	v_mul_f32_e32 v6, v7, v5
	v_and_b32_e32 v5, 0x7f800000, v6
	v_cmp_ne_u32_e64 s[4:5], s15, v5
                                        ; implicit-def: $vgpr5
	s_and_saveexec_b64 s[24:25], s[4:5]
	s_xor_b64 s[4:5], exec, s[24:25]
; %bb.1076:                             ;   in Loop: Header=BB378_530 Depth=1
	v_bfe_u32 v5, v6, 16, 1
	v_add3_u32 v5, v6, v5, s30
                                        ; implicit-def: $vgpr6
; %bb.1077:                             ;   in Loop: Header=BB378_530 Depth=1
	s_andn2_saveexec_b64 s[24:25], s[4:5]
; %bb.1078:                             ;   in Loop: Header=BB378_530 Depth=1
	v_or_b32_e32 v5, 0x10000, v6
	v_cmp_eq_u32_sdwa s[4:5], v6, v11 src0_sel:WORD_0 src1_sel:DWORD
	v_cndmask_b32_e64 v5, v5, v6, s[4:5]
; %bb.1079:                             ;   in Loop: Header=BB378_530 Depth=1
	s_or_b64 exec, exec, s[24:25]
	v_lshrrev_b32_e32 v6, 16, v3
	v_cmp_ne_u16_sdwa s[4:5], v6, v11 src0_sel:BYTE_0 src1_sel:DWORD
	v_mov_b32_e32 v10, 0
	s_and_saveexec_b64 s[24:25], s[4:5]
	s_cbranch_execz .LBB378_1085
; %bb.1080:                             ;   in Loop: Header=BB378_530 Depth=1
	v_cmp_ne_u16_sdwa s[4:5], v6, s31 src0_sel:BYTE_0 src1_sel:DWORD
	v_bfrev_b32_e32 v10, 1
	s_and_saveexec_b64 s[26:27], s[4:5]
	s_cbranch_execz .LBB378_1084
; %bb.1081:                             ;   in Loop: Header=BB378_530 Depth=1
	v_bfe_u32 v33, v3, 16, 7
	v_cmp_ne_u32_e64 s[4:5], s34, v33
	v_mov_b32_e32 v10, 0x7f800001
	s_and_saveexec_b64 s[28:29], s[4:5]
	s_cbranch_execz .LBB378_1083
; %bb.1082:                             ;   in Loop: Header=BB378_530 Depth=1
	v_and_b32_e32 v10, 7, v6
	v_ffbh_u32_e32 v26, v10
	v_min_u32_e32 v26, 32, v26
	v_subrev_u32_e32 v27, 28, v26
	v_lshlrev_b64 v[42:43], v27, v[6:7]
	v_lshrrev_b32_e32 v23, 3, v33
	v_sub_u32_e32 v26, 29, v26
	v_and_b32_e32 v27, 7, v42
	v_cmp_gt_u32_e64 s[4:5], 8, v33
	v_cndmask_b32_e64 v23, v23, v26, s[4:5]
	v_cndmask_b32_e64 v10, v10, v27, s[4:5]
	v_lshlrev_b32_e32 v6, 24, v6
	v_lshlrev_b32_e32 v10, 20, v10
	v_and_b32_e32 v6, 0x80000000, v6
	v_lshl_add_u32 v23, v23, 23, v28
	v_or3_b32 v10, v6, v23, v10
.LBB378_1083:                           ;   in Loop: Header=BB378_530 Depth=1
	s_or_b64 exec, exec, s[28:29]
.LBB378_1084:                           ;   in Loop: Header=BB378_530 Depth=1
	s_or_b64 exec, exec, s[26:27]
.LBB378_1085:                           ;   in Loop: Header=BB378_530 Depth=1
	s_or_b64 exec, exec, s[24:25]
	v_mul_f32_e32 v10, v7, v10
	v_and_b32_e32 v6, 0x7f800000, v10
	v_cmp_ne_u32_e64 s[4:5], s15, v6
                                        ; implicit-def: $vgpr6
	s_and_saveexec_b64 s[24:25], s[4:5]
	s_xor_b64 s[4:5], exec, s[24:25]
; %bb.1086:                             ;   in Loop: Header=BB378_530 Depth=1
	v_bfe_u32 v6, v10, 16, 1
	v_add3_u32 v6, v10, v6, s30
                                        ; implicit-def: $vgpr10
; %bb.1087:                             ;   in Loop: Header=BB378_530 Depth=1
	s_andn2_saveexec_b64 s[24:25], s[4:5]
; %bb.1088:                             ;   in Loop: Header=BB378_530 Depth=1
	v_or_b32_e32 v6, 0x10000, v10
	v_cmp_eq_u32_sdwa s[4:5], v10, v11 src0_sel:WORD_0 src1_sel:DWORD
	v_cndmask_b32_e64 v6, v6, v10, s[4:5]
; %bb.1089:                             ;   in Loop: Header=BB378_530 Depth=1
	s_or_b64 exec, exec, s[24:25]
	v_cmp_lt_u64_e64 s[4:5], s[10:11], v[2:3]
	v_mov_b32_e32 v10, 0
	s_and_saveexec_b64 s[24:25], s[4:5]
	s_cbranch_execz .LBB378_1095
; %bb.1090:                             ;   in Loop: Header=BB378_530 Depth=1
	v_lshrrev_b32_e32 v2, 24, v3
	v_cmp_ne_u32_e64 s[4:5], s31, v2
	v_bfrev_b32_e32 v10, 1
	s_and_saveexec_b64 s[26:27], s[4:5]
	s_cbranch_execz .LBB378_1094
; %bb.1091:                             ;   in Loop: Header=BB378_530 Depth=1
	v_bfe_u32 v3, v3, 24, 7
	v_cmp_ne_u32_e64 s[4:5], s34, v3
	v_mov_b32_e32 v10, 0x7f800001
	s_and_saveexec_b64 s[28:29], s[4:5]
	s_cbranch_execz .LBB378_1093
; %bb.1092:                             ;   in Loop: Header=BB378_530 Depth=1
	v_and_b32_e32 v10, 7, v2
	v_ffbh_u32_e32 v26, v10
	v_min_u32_e32 v26, 32, v26
	v_subrev_u32_e32 v27, 28, v26
	v_lshlrev_b64 v[42:43], v27, v[2:3]
	v_lshrrev_b32_e32 v23, 3, v3
	v_sub_u32_e32 v26, 29, v26
	v_and_b32_e32 v27, 7, v42
	v_cmp_gt_u32_e64 s[4:5], 8, v3
	v_cndmask_b32_e64 v3, v23, v26, s[4:5]
	v_cndmask_b32_e64 v10, v10, v27, s[4:5]
	v_lshlrev_b32_e32 v2, 24, v2
	v_lshlrev_b32_e32 v10, 20, v10
	v_and_b32_e32 v2, 0x80000000, v2
	v_lshl_add_u32 v3, v3, 23, v28
	v_or3_b32 v10, v2, v3, v10
.LBB378_1093:                           ;   in Loop: Header=BB378_530 Depth=1
	s_or_b64 exec, exec, s[28:29]
.LBB378_1094:                           ;   in Loop: Header=BB378_530 Depth=1
	s_or_b64 exec, exec, s[26:27]
.LBB378_1095:                           ;   in Loop: Header=BB378_530 Depth=1
	s_or_b64 exec, exec, s[24:25]
	v_mul_f32_e32 v3, v7, v10
	v_and_b32_e32 v2, 0x7f800000, v3
	v_cmp_ne_u32_e64 s[4:5], s15, v2
                                        ; implicit-def: $vgpr2
	s_and_saveexec_b64 s[24:25], s[4:5]
	s_xor_b64 s[4:5], exec, s[24:25]
; %bb.1096:                             ;   in Loop: Header=BB378_530 Depth=1
	v_bfe_u32 v2, v3, 16, 1
	v_add3_u32 v2, v3, v2, s30
                                        ; implicit-def: $vgpr3
; %bb.1097:                             ;   in Loop: Header=BB378_530 Depth=1
	s_andn2_saveexec_b64 s[24:25], s[4:5]
; %bb.1098:                             ;   in Loop: Header=BB378_530 Depth=1
	v_or_b32_e32 v2, 0x10000, v3
	v_cmp_eq_u32_sdwa s[4:5], v3, v11 src0_sel:WORD_0 src1_sel:DWORD
	v_cndmask_b32_e64 v2, v2, v3, s[4:5]
; %bb.1099:                             ;   in Loop: Header=BB378_530 Depth=1
	s_or_b64 exec, exec, s[24:25]
	v_lshrrev_b32_e32 v10, 16, v5
	v_lshrrev_b32_e32 v32, 16, v32
	;; [unrolled: 1-line block ×8, first 2 shown]
	s_and_saveexec_b64 s[24:25], vcc
	s_cbranch_execz .LBB378_1101
; %bb.1100:                             ;   in Loop: Header=BB378_530 Depth=1
	v_accvgpr_read_b32 v6, a3
	v_cmp_lt_i32_e64 s[4:5], v51, v6
	v_accvgpr_read_b32 v23, a37
	v_cndmask_b32_e64 v3, 0, v3, s[4:5]
	v_cmp_lt_i32_e64 s[4:5], v23, v6
	v_accvgpr_read_b32 v23, a36
	v_cndmask_b32_e64 v53, 0, v53, s[4:5]
	;; [unrolled: 3-line block ×7, first 2 shown]
	v_cmp_lt_i32_e64 s[4:5], v23, v6
	v_cndmask_b32_e64 v2, 0, v2, s[4:5]
.LBB378_1101:                           ;   in Loop: Header=BB378_530 Depth=1
	s_or_b64 exec, exec, s[24:25]
	v_lshlrev_b32_e32 v3, 16, v3
	v_mul_f32_e32 v6, v46, v3
	v_and_b32_e32 v3, 0x7f800000, v6
	v_cmp_ne_u32_e64 s[4:5], s15, v3
                                        ; implicit-def: $vgpr3
	s_and_saveexec_b64 s[24:25], s[4:5]
	s_xor_b64 s[4:5], exec, s[24:25]
; %bb.1102:                             ;   in Loop: Header=BB378_530 Depth=1
	v_bfe_u32 v3, v6, 16, 1
	v_add3_u32 v3, v6, v3, s30
                                        ; implicit-def: $vgpr6
; %bb.1103:                             ;   in Loop: Header=BB378_530 Depth=1
	s_andn2_saveexec_b64 s[24:25], s[4:5]
; %bb.1104:                             ;   in Loop: Header=BB378_530 Depth=1
	v_or_b32_e32 v3, 0x10000, v6
	v_cmp_eq_u32_sdwa s[4:5], v6, v11 src0_sel:WORD_0 src1_sel:DWORD
	v_cndmask_b32_e64 v3, v3, v6, s[4:5]
; %bb.1105:                             ;   in Loop: Header=BB378_530 Depth=1
	s_or_b64 exec, exec, s[24:25]
	v_lshlrev_b32_e32 v6, 16, v53
	v_mul_f32_e32 v33, v47, v6
	v_and_b32_e32 v6, 0x7f800000, v33
	v_cmp_ne_u32_e64 s[4:5], s15, v6
                                        ; implicit-def: $vgpr6
	s_and_saveexec_b64 s[24:25], s[4:5]
	s_xor_b64 s[4:5], exec, s[24:25]
; %bb.1106:                             ;   in Loop: Header=BB378_530 Depth=1
	v_bfe_u32 v6, v33, 16, 1
	v_add3_u32 v6, v33, v6, s30
                                        ; implicit-def: $vgpr33
; %bb.1107:                             ;   in Loop: Header=BB378_530 Depth=1
	s_andn2_saveexec_b64 s[24:25], s[4:5]
; %bb.1108:                             ;   in Loop: Header=BB378_530 Depth=1
	v_or_b32_e32 v6, 0x10000, v33
	v_cmp_eq_u32_sdwa s[4:5], v33, v11 src0_sel:WORD_0 src1_sel:DWORD
	v_cndmask_b32_e64 v6, v6, v33, s[4:5]
; %bb.1109:                             ;   in Loop: Header=BB378_530 Depth=1
	s_or_b64 exec, exec, s[24:25]
	v_lshlrev_b32_e32 v23, 16, v37
	v_mul_f32_e32 v33, v56, v23
	v_and_b32_e32 v23, 0x7f800000, v33
	v_cmp_ne_u32_e64 s[4:5], s15, v23
                                        ; implicit-def: $vgpr52
	s_and_saveexec_b64 s[24:25], s[4:5]
	s_xor_b64 s[4:5], exec, s[24:25]
; %bb.1110:                             ;   in Loop: Header=BB378_530 Depth=1
	v_bfe_u32 v23, v33, 16, 1
	v_add3_u32 v52, v33, v23, s30
                                        ; implicit-def: $vgpr33
; %bb.1111:                             ;   in Loop: Header=BB378_530 Depth=1
	s_andn2_saveexec_b64 s[24:25], s[4:5]
; %bb.1112:                             ;   in Loop: Header=BB378_530 Depth=1
	v_or_b32_e32 v23, 0x10000, v33
	v_cmp_eq_u32_sdwa s[4:5], v33, v11 src0_sel:WORD_0 src1_sel:DWORD
	v_cndmask_b32_e64 v52, v23, v33, s[4:5]
; %bb.1113:                             ;   in Loop: Header=BB378_530 Depth=1
	s_or_b64 exec, exec, s[24:25]
	v_lshlrev_b32_e32 v23, 16, v35
	v_mul_f32_e32 v33, v57, v23
	v_and_b32_e32 v23, 0x7f800000, v33
	v_cmp_ne_u32_e64 s[4:5], s15, v23
                                        ; implicit-def: $vgpr53
	s_and_saveexec_b64 s[24:25], s[4:5]
	s_xor_b64 s[4:5], exec, s[24:25]
; %bb.1114:                             ;   in Loop: Header=BB378_530 Depth=1
	v_bfe_u32 v23, v33, 16, 1
	v_add3_u32 v53, v33, v23, s30
                                        ; implicit-def: $vgpr33
; %bb.1115:                             ;   in Loop: Header=BB378_530 Depth=1
	s_andn2_saveexec_b64 s[24:25], s[4:5]
; %bb.1116:                             ;   in Loop: Header=BB378_530 Depth=1
	v_or_b32_e32 v23, 0x10000, v33
	v_cmp_eq_u32_sdwa s[4:5], v33, v11 src0_sel:WORD_0 src1_sel:DWORD
	v_cndmask_b32_e64 v53, v23, v33, s[4:5]
; %bb.1117:                             ;   in Loop: Header=BB378_530 Depth=1
	s_or_b64 exec, exec, s[24:25]
	v_lshlrev_b32_e32 v23, 16, v32
	v_mul_f32_e32 v32, v58, v23
	v_and_b32_e32 v23, 0x7f800000, v32
	v_cmp_ne_u32_e64 s[4:5], s15, v23
                                        ; implicit-def: $vgpr54
	s_and_saveexec_b64 s[24:25], s[4:5]
	s_xor_b64 s[4:5], exec, s[24:25]
; %bb.1118:                             ;   in Loop: Header=BB378_530 Depth=1
	v_bfe_u32 v23, v32, 16, 1
	v_add3_u32 v54, v32, v23, s30
                                        ; implicit-def: $vgpr32
; %bb.1119:                             ;   in Loop: Header=BB378_530 Depth=1
	s_andn2_saveexec_b64 s[24:25], s[4:5]
; %bb.1120:                             ;   in Loop: Header=BB378_530 Depth=1
	v_or_b32_e32 v23, 0x10000, v32
	v_cmp_eq_u32_sdwa s[4:5], v32, v11 src0_sel:WORD_0 src1_sel:DWORD
	v_cndmask_b32_e64 v54, v23, v32, s[4:5]
; %bb.1121:                             ;   in Loop: Header=BB378_530 Depth=1
	s_or_b64 exec, exec, s[24:25]
	v_lshlrev_b32_e32 v10, 16, v10
	v_mul_f32_e32 v10, v60, v10
	v_and_b32_e32 v23, 0x7f800000, v10
	v_cmp_ne_u32_e64 s[4:5], s15, v23
                                        ; implicit-def: $vgpr55
	s_and_saveexec_b64 s[24:25], s[4:5]
	s_xor_b64 s[4:5], exec, s[24:25]
; %bb.1122:                             ;   in Loop: Header=BB378_530 Depth=1
	v_bfe_u32 v23, v10, 16, 1
	v_add3_u32 v55, v10, v23, s30
                                        ; implicit-def: $vgpr10
; %bb.1123:                             ;   in Loop: Header=BB378_530 Depth=1
	s_andn2_saveexec_b64 s[24:25], s[4:5]
; %bb.1124:                             ;   in Loop: Header=BB378_530 Depth=1
	v_or_b32_e32 v23, 0x10000, v10
	v_cmp_eq_u32_sdwa s[4:5], v10, v11 src0_sel:WORD_0 src1_sel:DWORD
	v_cndmask_b32_e64 v55, v23, v10, s[4:5]
; %bb.1125:                             ;   in Loop: Header=BB378_530 Depth=1
	s_or_b64 exec, exec, s[24:25]
	v_lshlrev_b32_e32 v5, 16, v5
	v_mul_f32_e32 v5, v34, v5
	v_and_b32_e32 v10, 0x7f800000, v5
	v_cmp_ne_u32_e64 s[4:5], s15, v10
                                        ; implicit-def: $vgpr42
	s_and_saveexec_b64 s[24:25], s[4:5]
	s_xor_b64 s[4:5], exec, s[24:25]
; %bb.1126:                             ;   in Loop: Header=BB378_530 Depth=1
	v_bfe_u32 v10, v5, 16, 1
	v_add3_u32 v42, v5, v10, s30
                                        ; implicit-def: $vgpr5
; %bb.1127:                             ;   in Loop: Header=BB378_530 Depth=1
	s_andn2_saveexec_b64 s[24:25], s[4:5]
; %bb.1128:                             ;   in Loop: Header=BB378_530 Depth=1
	v_or_b32_e32 v10, 0x10000, v5
	v_cmp_eq_u32_sdwa s[4:5], v5, v11 src0_sel:WORD_0 src1_sel:DWORD
	v_cndmask_b32_e64 v42, v10, v5, s[4:5]
; %bb.1129:                             ;   in Loop: Header=BB378_530 Depth=1
	s_or_b64 exec, exec, s[24:25]
	v_lshlrev_b32_e32 v2, 16, v2
	v_mul_f32_e32 v2, v25, v2
	v_and_b32_e32 v5, 0x7f800000, v2
	v_cmp_ne_u32_e64 s[4:5], s15, v5
                                        ; implicit-def: $vgpr43
	s_and_saveexec_b64 s[24:25], s[4:5]
	s_xor_b64 s[4:5], exec, s[24:25]
; %bb.1130:                             ;   in Loop: Header=BB378_530 Depth=1
	v_bfe_u32 v5, v2, 16, 1
	v_add3_u32 v43, v2, v5, s30
                                        ; implicit-def: $vgpr2
; %bb.1131:                             ;   in Loop: Header=BB378_530 Depth=1
	s_andn2_saveexec_b64 s[24:25], s[4:5]
; %bb.1132:                             ;   in Loop: Header=BB378_530 Depth=1
	v_or_b32_e32 v5, 0x10000, v2
	v_cmp_eq_u32_sdwa s[4:5], v2, v11 src0_sel:WORD_0 src1_sel:DWORD
	v_cndmask_b32_e64 v43, v5, v2, s[4:5]
; %bb.1133:                             ;   in Loop: Header=BB378_530 Depth=1
	s_or_b64 exec, exec, s[24:25]
	flat_load_dwordx2 v[0:1], v[0:1] offset:2560
	v_mov_b32_e32 v2, 0
	s_waitcnt vmcnt(0) lgkmcnt(0)
	v_cmp_ne_u16_sdwa s[4:5], v0, v11 src0_sel:BYTE_0 src1_sel:DWORD
	s_and_saveexec_b64 s[24:25], s[4:5]
	s_cbranch_execz .LBB378_1139
; %bb.1134:                             ;   in Loop: Header=BB378_530 Depth=1
	v_cmp_ne_u16_sdwa s[4:5], v0, s31 src0_sel:BYTE_0 src1_sel:DWORD
	v_bfrev_b32_e32 v2, 1
	s_and_saveexec_b64 s[26:27], s[4:5]
	s_cbranch_execz .LBB378_1138
; %bb.1135:                             ;   in Loop: Header=BB378_530 Depth=1
	v_and_b32_e32 v5, 0x7f, v0
	v_cmp_ne_u32_e64 s[4:5], s34, v5
	v_mov_b32_e32 v2, 0x7f800001
	s_and_saveexec_b64 s[28:29], s[4:5]
	s_cbranch_execz .LBB378_1137
; %bb.1136:                             ;   in Loop: Header=BB378_530 Depth=1
	v_and_b32_e32 v2, 7, v0
	v_ffbh_u32_e32 v2, v2
	v_min_u32_e32 v2, 32, v2
	v_subrev_u32_e32 v23, 28, v2
	v_cmp_gt_u32_e64 s[4:5], 8, v5
	v_lshrrev_b32_e32 v10, 3, v5
	v_cndmask_b32_e64 v5, 0, v23, s[4:5]
	v_sub_u32_e32 v2, 29, v2
	v_lshlrev_b64 v[32:33], v5, v[0:1]
	v_cndmask_b32_e64 v2, v10, v2, s[4:5]
	v_lshlrev_b32_e32 v5, 20, v32
	v_lshlrev_b32_e32 v10, 24, v0
	v_and_b32_e32 v5, 0x700000, v5
	v_and_b32_e32 v10, 0x80000000, v10
	v_lshl_add_u32 v2, v2, 23, v28
	v_or3_b32 v2, v10, v2, v5
.LBB378_1137:                           ;   in Loop: Header=BB378_530 Depth=1
	s_or_b64 exec, exec, s[28:29]
.LBB378_1138:                           ;   in Loop: Header=BB378_530 Depth=1
	s_or_b64 exec, exec, s[26:27]
.LBB378_1139:                           ;   in Loop: Header=BB378_530 Depth=1
	s_or_b64 exec, exec, s[24:25]
	v_mul_f32_e32 v2, v7, v2
	v_and_b32_e32 v5, 0x7f800000, v2
	v_cmp_ne_u32_e64 s[4:5], s15, v5
                                        ; implicit-def: $vgpr61
	s_and_saveexec_b64 s[24:25], s[4:5]
	s_xor_b64 s[4:5], exec, s[24:25]
; %bb.1140:                             ;   in Loop: Header=BB378_530 Depth=1
	v_bfe_u32 v5, v2, 16, 1
	v_add3_u32 v61, v2, v5, s30
                                        ; implicit-def: $vgpr2
; %bb.1141:                             ;   in Loop: Header=BB378_530 Depth=1
	s_andn2_saveexec_b64 s[24:25], s[4:5]
; %bb.1142:                             ;   in Loop: Header=BB378_530 Depth=1
	v_or_b32_e32 v5, 0x10000, v2
	v_cmp_eq_u32_sdwa s[4:5], v2, v11 src0_sel:WORD_0 src1_sel:DWORD
	v_cndmask_b32_e64 v61, v5, v2, s[4:5]
; %bb.1143:                             ;   in Loop: Header=BB378_530 Depth=1
	s_or_b64 exec, exec, s[24:25]
	v_lshrrev_b16_e32 v2, 8, v0
	v_cmp_ne_u16_e64 s[4:5], 0, v2
	v_mov_b32_e32 v5, 0
	s_and_saveexec_b64 s[24:25], s[4:5]
	s_cbranch_execz .LBB378_1149
; %bb.1144:                             ;   in Loop: Header=BB378_530 Depth=1
	v_cmp_ne_u16_e64 s[4:5], s31, v2
	v_bfrev_b32_e32 v5, 1
	s_and_saveexec_b64 s[26:27], s[4:5]
	s_cbranch_execz .LBB378_1148
; %bb.1145:                             ;   in Loop: Header=BB378_530 Depth=1
	v_and_b32_e32 v10, 0x7f, v2
	v_cmp_ne_u32_e64 s[4:5], s34, v10
	v_mov_b32_e32 v5, 0x7f800001
	s_and_saveexec_b64 s[28:29], s[4:5]
	s_cbranch_execz .LBB378_1147
; %bb.1146:                             ;   in Loop: Header=BB378_530 Depth=1
	v_and_b32_e32 v5, 7, v2
	v_ffbh_u32_e32 v26, v5
	v_min_u32_e32 v26, 32, v26
	v_subrev_u32_e32 v27, 28, v26
	v_lshlrev_b64 v[32:33], v27, v[2:3]
	v_lshrrev_b32_e32 v23, 3, v10
	v_sub_u32_e32 v2, 29, v26
	v_and_b32_e32 v26, 7, v32
	v_cmp_gt_u32_e64 s[4:5], 8, v10
	v_cndmask_b32_e64 v2, v23, v2, s[4:5]
	v_cndmask_b32_e64 v5, v5, v26, s[4:5]
	v_lshlrev_b32_e32 v10, 16, v0
	v_lshlrev_b32_e32 v5, 20, v5
	v_and_b32_e32 v10, 0x80000000, v10
	v_lshl_add_u32 v2, v2, 23, v28
	v_or3_b32 v5, v10, v2, v5
.LBB378_1147:                           ;   in Loop: Header=BB378_530 Depth=1
	s_or_b64 exec, exec, s[28:29]
.LBB378_1148:                           ;   in Loop: Header=BB378_530 Depth=1
	s_or_b64 exec, exec, s[26:27]
.LBB378_1149:                           ;   in Loop: Header=BB378_530 Depth=1
	s_or_b64 exec, exec, s[24:25]
	v_mul_f32_e32 v2, v7, v5
	v_and_b32_e32 v5, 0x7f800000, v2
	v_cmp_ne_u32_e64 s[4:5], s15, v5
                                        ; implicit-def: $vgpr44
	s_and_saveexec_b64 s[24:25], s[4:5]
	s_xor_b64 s[4:5], exec, s[24:25]
; %bb.1150:                             ;   in Loop: Header=BB378_530 Depth=1
	v_bfe_u32 v5, v2, 16, 1
	v_add3_u32 v44, v2, v5, s30
                                        ; implicit-def: $vgpr2
; %bb.1151:                             ;   in Loop: Header=BB378_530 Depth=1
	s_andn2_saveexec_b64 s[24:25], s[4:5]
; %bb.1152:                             ;   in Loop: Header=BB378_530 Depth=1
	v_or_b32_e32 v5, 0x10000, v2
	v_cmp_eq_u32_sdwa s[4:5], v2, v11 src0_sel:WORD_0 src1_sel:DWORD
	v_cndmask_b32_e64 v44, v5, v2, s[4:5]
; %bb.1153:                             ;   in Loop: Header=BB378_530 Depth=1
	s_or_b64 exec, exec, s[24:25]
	v_lshrrev_b32_e32 v2, 16, v0
	v_cmp_ne_u16_sdwa s[4:5], v2, v11 src0_sel:BYTE_0 src1_sel:DWORD
	v_mov_b32_e32 v5, 0
	s_and_saveexec_b64 s[24:25], s[4:5]
	s_cbranch_execz .LBB378_1159
; %bb.1154:                             ;   in Loop: Header=BB378_530 Depth=1
	v_cmp_ne_u16_sdwa s[4:5], v2, s31 src0_sel:BYTE_0 src1_sel:DWORD
	v_bfrev_b32_e32 v5, 1
	s_and_saveexec_b64 s[26:27], s[4:5]
	s_cbranch_execz .LBB378_1158
; %bb.1155:                             ;   in Loop: Header=BB378_530 Depth=1
	v_bfe_u32 v10, v0, 16, 7
	v_cmp_ne_u32_e64 s[4:5], s34, v10
	v_mov_b32_e32 v5, 0x7f800001
	s_and_saveexec_b64 s[28:29], s[4:5]
	s_cbranch_execz .LBB378_1157
; %bb.1156:                             ;   in Loop: Header=BB378_530 Depth=1
	v_and_b32_e32 v5, 7, v2
	v_ffbh_u32_e32 v26, v5
	v_min_u32_e32 v26, 32, v26
	v_subrev_u32_e32 v27, 28, v26
	v_lshlrev_b64 v[32:33], v27, v[2:3]
	v_lshrrev_b32_e32 v23, 3, v10
	v_sub_u32_e32 v26, 29, v26
	v_and_b32_e32 v27, 7, v32
	v_cmp_gt_u32_e64 s[4:5], 8, v10
	v_cndmask_b32_e64 v10, v23, v26, s[4:5]
	v_cndmask_b32_e64 v5, v5, v27, s[4:5]
	v_lshlrev_b32_e32 v2, 24, v2
	v_lshlrev_b32_e32 v5, 20, v5
	v_and_b32_e32 v2, 0x80000000, v2
	v_lshl_add_u32 v10, v10, 23, v28
	v_or3_b32 v5, v2, v10, v5
.LBB378_1157:                           ;   in Loop: Header=BB378_530 Depth=1
	s_or_b64 exec, exec, s[28:29]
.LBB378_1158:                           ;   in Loop: Header=BB378_530 Depth=1
	s_or_b64 exec, exec, s[26:27]
.LBB378_1159:                           ;   in Loop: Header=BB378_530 Depth=1
	s_or_b64 exec, exec, s[24:25]
	v_mul_f32_e32 v2, v7, v5
	v_and_b32_e32 v5, 0x7f800000, v2
	v_cmp_ne_u32_e64 s[4:5], s15, v5
                                        ; implicit-def: $vgpr45
	s_and_saveexec_b64 s[24:25], s[4:5]
	s_xor_b64 s[4:5], exec, s[24:25]
; %bb.1160:                             ;   in Loop: Header=BB378_530 Depth=1
	v_bfe_u32 v5, v2, 16, 1
	v_add3_u32 v45, v2, v5, s30
                                        ; implicit-def: $vgpr2
; %bb.1161:                             ;   in Loop: Header=BB378_530 Depth=1
	s_andn2_saveexec_b64 s[24:25], s[4:5]
; %bb.1162:                             ;   in Loop: Header=BB378_530 Depth=1
	v_or_b32_e32 v5, 0x10000, v2
	v_cmp_eq_u32_sdwa s[4:5], v2, v11 src0_sel:WORD_0 src1_sel:DWORD
	v_cndmask_b32_e64 v45, v5, v2, s[4:5]
; %bb.1163:                             ;   in Loop: Header=BB378_530 Depth=1
	s_or_b64 exec, exec, s[24:25]
	v_cmp_lt_u32_e64 s[4:5], s11, v0
	v_mov_b32_e32 v5, 0
	s_and_saveexec_b64 s[24:25], s[4:5]
	s_cbranch_execz .LBB378_1169
; %bb.1164:                             ;   in Loop: Header=BB378_530 Depth=1
	v_lshrrev_b32_e32 v2, 24, v0
	v_cmp_ne_u32_e64 s[4:5], s31, v2
	v_bfrev_b32_e32 v5, 1
	s_and_saveexec_b64 s[26:27], s[4:5]
	s_cbranch_execz .LBB378_1168
; %bb.1165:                             ;   in Loop: Header=BB378_530 Depth=1
	v_bfe_u32 v10, v0, 24, 7
	v_cmp_ne_u32_e64 s[4:5], s34, v10
	v_mov_b32_e32 v5, 0x7f800001
	s_and_saveexec_b64 s[28:29], s[4:5]
	s_cbranch_execz .LBB378_1167
; %bb.1166:                             ;   in Loop: Header=BB378_530 Depth=1
	v_and_b32_e32 v5, 7, v2
	v_ffbh_u32_e32 v26, v5
	v_min_u32_e32 v26, 32, v26
	v_subrev_u32_e32 v27, 28, v26
	v_lshlrev_b64 v[32:33], v27, v[2:3]
	v_lshrrev_b32_e32 v23, 3, v10
	v_sub_u32_e32 v26, 29, v26
	v_and_b32_e32 v27, 7, v32
	v_cmp_gt_u32_e64 s[4:5], 8, v10
	v_cndmask_b32_e64 v10, v23, v26, s[4:5]
	v_cndmask_b32_e64 v5, v5, v27, s[4:5]
	v_lshlrev_b32_e32 v2, 24, v2
	v_lshlrev_b32_e32 v5, 20, v5
	v_and_b32_e32 v2, 0x80000000, v2
	v_lshl_add_u32 v10, v10, 23, v28
	v_or3_b32 v5, v2, v10, v5
.LBB378_1167:                           ;   in Loop: Header=BB378_530 Depth=1
	s_or_b64 exec, exec, s[28:29]
.LBB378_1168:                           ;   in Loop: Header=BB378_530 Depth=1
	s_or_b64 exec, exec, s[26:27]
.LBB378_1169:                           ;   in Loop: Header=BB378_530 Depth=1
	s_or_b64 exec, exec, s[24:25]
	v_mul_f32_e32 v2, v7, v5
	v_and_b32_e32 v5, 0x7f800000, v2
	v_cmp_ne_u32_e64 s[4:5], s15, v5
                                        ; implicit-def: $vgpr32
	s_and_saveexec_b64 s[24:25], s[4:5]
	s_xor_b64 s[4:5], exec, s[24:25]
; %bb.1170:                             ;   in Loop: Header=BB378_530 Depth=1
	v_bfe_u32 v5, v2, 16, 1
	v_add3_u32 v32, v2, v5, s30
                                        ; implicit-def: $vgpr2
; %bb.1171:                             ;   in Loop: Header=BB378_530 Depth=1
	s_andn2_saveexec_b64 s[24:25], s[4:5]
; %bb.1172:                             ;   in Loop: Header=BB378_530 Depth=1
	v_or_b32_e32 v5, 0x10000, v2
	v_cmp_eq_u32_sdwa s[4:5], v2, v11 src0_sel:WORD_0 src1_sel:DWORD
	v_cndmask_b32_e64 v32, v5, v2, s[4:5]
; %bb.1173:                             ;   in Loop: Header=BB378_530 Depth=1
	s_or_b64 exec, exec, s[24:25]
	v_mov_b32_e32 v10, v1
	v_cmp_ne_u16_sdwa s[4:5], v1, v11 src0_sel:BYTE_0 src1_sel:DWORD
	v_mov_b32_e32 v2, 0
	s_and_saveexec_b64 s[24:25], s[4:5]
	s_cbranch_execz .LBB378_1179
; %bb.1174:                             ;   in Loop: Header=BB378_530 Depth=1
	v_cmp_ne_u16_sdwa s[4:5], v1, s31 src0_sel:BYTE_0 src1_sel:DWORD
	v_bfrev_b32_e32 v2, 1
	s_and_saveexec_b64 s[26:27], s[4:5]
	s_cbranch_execz .LBB378_1178
; %bb.1175:                             ;   in Loop: Header=BB378_530 Depth=1
	v_and_b32_e32 v5, 0x7f, v1
	v_cmp_ne_u32_e64 s[4:5], s34, v5
	v_mov_b32_e32 v2, 0x7f800001
	s_and_saveexec_b64 s[28:29], s[4:5]
	s_cbranch_execz .LBB378_1177
; %bb.1176:                             ;   in Loop: Header=BB378_530 Depth=1
	v_and_b32_e32 v2, 7, v1
	v_ffbh_u32_e32 v2, v2
	v_min_u32_e32 v2, 32, v2
	v_subrev_u32_e32 v26, 28, v2
	v_cmp_gt_u32_e64 s[4:5], 8, v5
	v_lshrrev_b32_e32 v23, 3, v5
	v_cndmask_b32_e64 v5, 0, v26, s[4:5]
	v_sub_u32_e32 v2, 29, v2
	v_lshlrev_b64 v[26:27], v5, v[10:11]
	v_cndmask_b32_e64 v2, v23, v2, s[4:5]
	v_lshlrev_b32_e32 v5, 20, v26
	v_lshlrev_b32_e32 v23, 24, v10
	v_and_b32_e32 v5, 0x700000, v5
	v_and_b32_e32 v23, 0x80000000, v23
	v_lshl_add_u32 v2, v2, 23, v28
	v_or3_b32 v2, v23, v2, v5
.LBB378_1177:                           ;   in Loop: Header=BB378_530 Depth=1
	s_or_b64 exec, exec, s[28:29]
.LBB378_1178:                           ;   in Loop: Header=BB378_530 Depth=1
	s_or_b64 exec, exec, s[26:27]
.LBB378_1179:                           ;   in Loop: Header=BB378_530 Depth=1
	s_or_b64 exec, exec, s[24:25]
	v_mul_f32_e32 v2, v7, v2
	v_and_b32_e32 v5, 0x7f800000, v2
	v_cmp_ne_u32_e64 s[4:5], s15, v5
                                        ; implicit-def: $vgpr5
	s_and_saveexec_b64 s[24:25], s[4:5]
	s_xor_b64 s[4:5], exec, s[24:25]
; %bb.1180:                             ;   in Loop: Header=BB378_530 Depth=1
	v_bfe_u32 v5, v2, 16, 1
	v_add3_u32 v5, v2, v5, s30
                                        ; implicit-def: $vgpr2
; %bb.1181:                             ;   in Loop: Header=BB378_530 Depth=1
	s_andn2_saveexec_b64 s[24:25], s[4:5]
; %bb.1182:                             ;   in Loop: Header=BB378_530 Depth=1
	v_or_b32_e32 v5, 0x10000, v2
	v_cmp_eq_u32_sdwa s[4:5], v2, v11 src0_sel:WORD_0 src1_sel:DWORD
	v_cndmask_b32_e64 v5, v5, v2, s[4:5]
; %bb.1183:                             ;   in Loop: Header=BB378_530 Depth=1
	s_or_b64 exec, exec, s[24:25]
	v_lshrrev_b16_e32 v2, 8, v10
	v_cmp_ne_u16_e64 s[4:5], 0, v2
	v_mov_b32_e32 v35, 0
	s_and_saveexec_b64 s[24:25], s[4:5]
	s_cbranch_execz .LBB378_1189
; %bb.1184:                             ;   in Loop: Header=BB378_530 Depth=1
	v_cmp_ne_u16_e64 s[4:5], s31, v2
	v_bfrev_b32_e32 v35, 1
	s_and_saveexec_b64 s[26:27], s[4:5]
	s_cbranch_execz .LBB378_1188
; %bb.1185:                             ;   in Loop: Header=BB378_530 Depth=1
	v_and_b32_e32 v33, 0x7f, v2
	v_cmp_ne_u32_e64 s[4:5], s34, v33
	v_mov_b32_e32 v35, 0x7f800001
	s_and_saveexec_b64 s[28:29], s[4:5]
	s_cbranch_execz .LBB378_1187
; %bb.1186:                             ;   in Loop: Header=BB378_530 Depth=1
	v_and_b32_e32 v23, 7, v2
	v_ffbh_u32_e32 v26, v23
	v_min_u32_e32 v35, 32, v26
	v_subrev_u32_e32 v26, 28, v35
	v_lshlrev_b64 v[26:27], v26, v[2:3]
	v_lshrrev_b32_e32 v28, 3, v33
	v_sub_u32_e32 v2, 29, v35
	v_and_b32_e32 v26, 7, v26
	v_cmp_gt_u32_e64 s[4:5], 8, v33
	v_cndmask_b32_e64 v2, v28, v2, s[4:5]
	v_bfrev_b32_e32 v28, 60
	v_cndmask_b32_e64 v23, v23, v26, s[4:5]
	v_lshlrev_b32_e32 v10, 16, v10
	v_lshlrev_b32_e32 v23, 20, v23
	v_and_b32_e32 v10, 0x80000000, v10
	v_lshl_add_u32 v2, v2, 23, v28
	v_or3_b32 v35, v10, v2, v23
.LBB378_1187:                           ;   in Loop: Header=BB378_530 Depth=1
	s_or_b64 exec, exec, s[28:29]
.LBB378_1188:                           ;   in Loop: Header=BB378_530 Depth=1
	s_or_b64 exec, exec, s[26:27]
.LBB378_1189:                           ;   in Loop: Header=BB378_530 Depth=1
	s_or_b64 exec, exec, s[24:25]
	v_mul_f32_e32 v2, v7, v35
	v_and_b32_e32 v10, 0x7f800000, v2
	v_cmp_ne_u32_e64 s[4:5], s15, v10
                                        ; implicit-def: $vgpr10
	s_and_saveexec_b64 s[24:25], s[4:5]
	s_xor_b64 s[4:5], exec, s[24:25]
; %bb.1190:                             ;   in Loop: Header=BB378_530 Depth=1
	v_bfe_u32 v10, v2, 16, 1
	v_add3_u32 v10, v2, v10, s30
                                        ; implicit-def: $vgpr2
; %bb.1191:                             ;   in Loop: Header=BB378_530 Depth=1
	s_andn2_saveexec_b64 s[24:25], s[4:5]
; %bb.1192:                             ;   in Loop: Header=BB378_530 Depth=1
	v_or_b32_e32 v10, 0x10000, v2
	v_cmp_eq_u32_sdwa s[4:5], v2, v11 src0_sel:WORD_0 src1_sel:DWORD
	v_cndmask_b32_e64 v10, v10, v2, s[4:5]
; %bb.1193:                             ;   in Loop: Header=BB378_530 Depth=1
	s_or_b64 exec, exec, s[24:25]
	v_lshrrev_b32_e32 v2, 16, v1
	v_cmp_ne_u16_sdwa s[4:5], v2, v11 src0_sel:BYTE_0 src1_sel:DWORD
	v_mov_b32_e32 v35, 0
	s_and_saveexec_b64 s[24:25], s[4:5]
	s_cbranch_execz .LBB378_1199
; %bb.1194:                             ;   in Loop: Header=BB378_530 Depth=1
	v_cmp_ne_u16_sdwa s[4:5], v2, s31 src0_sel:BYTE_0 src1_sel:DWORD
	v_bfrev_b32_e32 v35, 1
	s_and_saveexec_b64 s[26:27], s[4:5]
	s_cbranch_execz .LBB378_1198
; %bb.1195:                             ;   in Loop: Header=BB378_530 Depth=1
	v_bfe_u32 v33, v1, 16, 7
	v_cmp_ne_u32_e64 s[4:5], s34, v33
	v_mov_b32_e32 v35, 0x7f800001
	s_and_saveexec_b64 s[28:29], s[4:5]
	s_cbranch_execz .LBB378_1197
; %bb.1196:                             ;   in Loop: Header=BB378_530 Depth=1
	v_and_b32_e32 v23, 7, v2
	v_ffbh_u32_e32 v26, v23
	v_min_u32_e32 v35, 32, v26
	v_subrev_u32_e32 v26, 28, v35
	v_lshlrev_b64 v[26:27], v26, v[2:3]
	v_lshrrev_b32_e32 v28, 3, v33
	v_sub_u32_e32 v27, 29, v35
	v_and_b32_e32 v26, 7, v26
	v_cmp_gt_u32_e64 s[4:5], 8, v33
	v_cndmask_b32_e64 v27, v28, v27, s[4:5]
	v_bfrev_b32_e32 v28, 60
	v_cndmask_b32_e64 v23, v23, v26, s[4:5]
	v_lshlrev_b32_e32 v2, 24, v2
	v_lshlrev_b32_e32 v23, 20, v23
	v_and_b32_e32 v2, 0x80000000, v2
	v_lshl_add_u32 v26, v27, 23, v28
	v_or3_b32 v35, v2, v26, v23
.LBB378_1197:                           ;   in Loop: Header=BB378_530 Depth=1
	s_or_b64 exec, exec, s[28:29]
.LBB378_1198:                           ;   in Loop: Header=BB378_530 Depth=1
	s_or_b64 exec, exec, s[26:27]
.LBB378_1199:                           ;   in Loop: Header=BB378_530 Depth=1
	s_or_b64 exec, exec, s[24:25]
	v_mul_f32_e32 v33, v7, v35
	v_and_b32_e32 v2, 0x7f800000, v33
	v_cmp_ne_u32_e64 s[4:5], s15, v2
                                        ; implicit-def: $vgpr2
	s_and_saveexec_b64 s[24:25], s[4:5]
	s_xor_b64 s[4:5], exec, s[24:25]
; %bb.1200:                             ;   in Loop: Header=BB378_530 Depth=1
	v_bfe_u32 v2, v33, 16, 1
	v_add3_u32 v2, v33, v2, s30
                                        ; implicit-def: $vgpr33
; %bb.1201:                             ;   in Loop: Header=BB378_530 Depth=1
	s_andn2_saveexec_b64 s[24:25], s[4:5]
; %bb.1202:                             ;   in Loop: Header=BB378_530 Depth=1
	v_or_b32_e32 v2, 0x10000, v33
	v_cmp_eq_u32_sdwa s[4:5], v33, v11 src0_sel:WORD_0 src1_sel:DWORD
	v_cndmask_b32_e64 v2, v2, v33, s[4:5]
; %bb.1203:                             ;   in Loop: Header=BB378_530 Depth=1
	s_or_b64 exec, exec, s[24:25]
	v_cmp_lt_u64_e64 s[4:5], s[10:11], v[0:1]
	v_mov_b32_e32 v35, 0
	s_and_saveexec_b64 s[24:25], s[4:5]
	s_cbranch_execz .LBB378_1209
; %bb.1204:                             ;   in Loop: Header=BB378_530 Depth=1
	v_lshrrev_b32_e32 v0, 24, v1
	v_cmp_ne_u32_e64 s[4:5], s31, v0
	v_bfrev_b32_e32 v35, 1
	s_and_saveexec_b64 s[26:27], s[4:5]
	s_cbranch_execz .LBB378_1208
; %bb.1205:                             ;   in Loop: Header=BB378_530 Depth=1
	v_bfe_u32 v1, v1, 24, 7
	v_cmp_ne_u32_e64 s[4:5], s34, v1
	v_mov_b32_e32 v35, 0x7f800001
	s_and_saveexec_b64 s[28:29], s[4:5]
	s_cbranch_execz .LBB378_1207
; %bb.1206:                             ;   in Loop: Header=BB378_530 Depth=1
	v_and_b32_e32 v23, 7, v0
	v_ffbh_u32_e32 v26, v23
	v_min_u32_e32 v33, 32, v26
	v_subrev_u32_e32 v26, 28, v33
	v_lshlrev_b64 v[26:27], v26, v[0:1]
	v_lshrrev_b32_e32 v28, 3, v1
	v_sub_u32_e32 v27, 29, v33
	v_and_b32_e32 v26, 7, v26
	v_cmp_gt_u32_e64 s[4:5], 8, v1
	v_cndmask_b32_e64 v1, v28, v27, s[4:5]
	v_bfrev_b32_e32 v28, 60
	v_cndmask_b32_e64 v23, v23, v26, s[4:5]
	v_lshlrev_b32_e32 v0, 24, v0
	v_lshlrev_b32_e32 v23, 20, v23
	v_and_b32_e32 v0, 0x80000000, v0
	v_lshl_add_u32 v1, v1, 23, v28
	v_or3_b32 v35, v0, v1, v23
.LBB378_1207:                           ;   in Loop: Header=BB378_530 Depth=1
	s_or_b64 exec, exec, s[28:29]
.LBB378_1208:                           ;   in Loop: Header=BB378_530 Depth=1
	s_or_b64 exec, exec, s[26:27]
.LBB378_1209:                           ;   in Loop: Header=BB378_530 Depth=1
	s_or_b64 exec, exec, s[24:25]
	v_mul_f32_e32 v0, v7, v35
	v_and_b32_e32 v1, 0x7f800000, v0
	v_cmp_ne_u32_e64 s[4:5], s15, v1
                                        ; implicit-def: $vgpr33
	s_and_saveexec_b64 s[24:25], s[4:5]
	s_xor_b64 s[4:5], exec, s[24:25]
; %bb.1210:                             ;   in Loop: Header=BB378_530 Depth=1
	v_bfe_u32 v1, v0, 16, 1
	v_add3_u32 v33, v0, v1, s30
                                        ; implicit-def: $vgpr0
; %bb.1211:                             ;   in Loop: Header=BB378_530 Depth=1
	s_andn2_saveexec_b64 s[24:25], s[4:5]
; %bb.1212:                             ;   in Loop: Header=BB378_530 Depth=1
	v_or_b32_e32 v1, 0x10000, v0
	v_cmp_eq_u32_sdwa s[4:5], v0, v11 src0_sel:WORD_0 src1_sel:DWORD
	v_cndmask_b32_e64 v33, v1, v0, s[4:5]
; %bb.1213:                             ;   in Loop: Header=BB378_530 Depth=1
	s_or_b64 exec, exec, s[24:25]
	v_lshrrev_b32_e32 v35, 16, v10
	v_lshrrev_b32_e32 v37, 16, v5
	;; [unrolled: 1-line block ×8, first 2 shown]
	s_and_saveexec_b64 s[4:5], vcc
	s_cbranch_execz .LBB378_1215
; %bb.1214:                             ;   in Loop: Header=BB378_530 Depth=1
	v_accvgpr_read_b32 v2, a3
	v_cmp_lt_i32_e32 vcc, v51, v2
	v_accvgpr_read_b32 v23, a37
	v_cndmask_b32_e32 v0, 0, v0, vcc
	v_cmp_lt_i32_e32 vcc, v23, v2
	v_accvgpr_read_b32 v23, a36
	v_cndmask_b32_e32 v1, 0, v1, vcc
	;; [unrolled: 3-line block ×7, first 2 shown]
	v_cmp_lt_i32_e32 vcc, v23, v2
	v_cndmask_b32_e32 v5, 0, v5, vcc
.LBB378_1215:                           ;   in Loop: Header=BB378_530 Depth=1
	s_or_b64 exec, exec, s[4:5]
	v_lshlrev_b32_e32 v0, 16, v0
	v_mul_f32_e32 v2, v46, v0
	v_and_b32_e32 v0, 0x7f800000, v2
	v_cmp_ne_u32_e32 vcc, s15, v0
                                        ; implicit-def: $vgpr0
	s_and_saveexec_b64 s[4:5], vcc
	s_xor_b64 s[4:5], exec, s[4:5]
; %bb.1216:                             ;   in Loop: Header=BB378_530 Depth=1
	v_bfe_u32 v0, v2, 16, 1
	v_add3_u32 v0, v2, v0, s30
                                        ; implicit-def: $vgpr2
; %bb.1217:                             ;   in Loop: Header=BB378_530 Depth=1
	s_andn2_saveexec_b64 s[4:5], s[4:5]
; %bb.1218:                             ;   in Loop: Header=BB378_530 Depth=1
	v_or_b32_e32 v0, 0x10000, v2
	v_cmp_eq_u32_sdwa vcc, v2, v11 src0_sel:WORD_0 src1_sel:DWORD
	v_cndmask_b32_e32 v0, v0, v2, vcc
; %bb.1219:                             ;   in Loop: Header=BB378_530 Depth=1
	s_or_b64 exec, exec, s[4:5]
	v_lshlrev_b32_e32 v1, 16, v1
	v_mul_f32_e32 v2, v47, v1
	v_and_b32_e32 v1, 0x7f800000, v2
	v_cmp_ne_u32_e32 vcc, s15, v1
                                        ; implicit-def: $vgpr1
	s_and_saveexec_b64 s[4:5], vcc
	s_xor_b64 s[4:5], exec, s[4:5]
; %bb.1220:                             ;   in Loop: Header=BB378_530 Depth=1
	v_bfe_u32 v1, v2, 16, 1
	v_add3_u32 v1, v2, v1, s30
                                        ; implicit-def: $vgpr2
; %bb.1221:                             ;   in Loop: Header=BB378_530 Depth=1
	s_andn2_saveexec_b64 s[4:5], s[4:5]
; %bb.1222:                             ;   in Loop: Header=BB378_530 Depth=1
	v_or_b32_e32 v1, 0x10000, v2
	v_cmp_eq_u32_sdwa vcc, v2, v11 src0_sel:WORD_0 src1_sel:DWORD
	v_cndmask_b32_e32 v1, v1, v2, vcc
; %bb.1223:                             ;   in Loop: Header=BB378_530 Depth=1
	s_or_b64 exec, exec, s[4:5]
	v_lshlrev_b32_e32 v2, 16, v32
	v_mul_f32_e32 v32, v56, v2
	v_and_b32_e32 v2, 0x7f800000, v32
	v_cmp_ne_u32_e32 vcc, s15, v2
                                        ; implicit-def: $vgpr2
	s_and_saveexec_b64 s[4:5], vcc
	s_xor_b64 s[4:5], exec, s[4:5]
; %bb.1224:                             ;   in Loop: Header=BB378_530 Depth=1
	v_bfe_u32 v2, v32, 16, 1
	v_add3_u32 v2, v32, v2, s30
                                        ; implicit-def: $vgpr32
; %bb.1225:                             ;   in Loop: Header=BB378_530 Depth=1
	s_andn2_saveexec_b64 s[4:5], s[4:5]
; %bb.1226:                             ;   in Loop: Header=BB378_530 Depth=1
	v_or_b32_e32 v2, 0x10000, v32
	v_cmp_eq_u32_sdwa vcc, v32, v11 src0_sel:WORD_0 src1_sel:DWORD
	v_cndmask_b32_e32 v2, v2, v32, vcc
; %bb.1227:                             ;   in Loop: Header=BB378_530 Depth=1
	s_or_b64 exec, exec, s[4:5]
	v_lshlrev_b32_e32 v7, 16, v7
	v_mul_f32_e32 v32, v57, v7
	v_and_b32_e32 v7, 0x7f800000, v32
	v_cmp_ne_u32_e32 vcc, s15, v7
                                        ; implicit-def: $vgpr7
	s_and_saveexec_b64 s[4:5], vcc
	s_xor_b64 s[4:5], exec, s[4:5]
; %bb.1228:                             ;   in Loop: Header=BB378_530 Depth=1
	v_bfe_u32 v7, v32, 16, 1
	v_add3_u32 v7, v32, v7, s30
                                        ; implicit-def: $vgpr32
; %bb.1229:                             ;   in Loop: Header=BB378_530 Depth=1
	s_andn2_saveexec_b64 s[4:5], s[4:5]
; %bb.1230:                             ;   in Loop: Header=BB378_530 Depth=1
	v_or_b32_e32 v7, 0x10000, v32
	v_cmp_eq_u32_sdwa vcc, v32, v11 src0_sel:WORD_0 src1_sel:DWORD
	v_cndmask_b32_e32 v7, v7, v32, vcc
; %bb.1231:                             ;   in Loop: Header=BB378_530 Depth=1
	s_or_b64 exec, exec, s[4:5]
	v_lshlrev_b32_e32 v23, 16, v37
	v_mul_f32_e32 v33, v58, v23
	v_and_b32_e32 v23, 0x7f800000, v33
	v_cmp_ne_u32_e32 vcc, s15, v23
                                        ; implicit-def: $vgpr32
	s_and_saveexec_b64 s[4:5], vcc
	s_xor_b64 s[4:5], exec, s[4:5]
; %bb.1232:                             ;   in Loop: Header=BB378_530 Depth=1
	v_bfe_u32 v23, v33, 16, 1
	v_add3_u32 v32, v33, v23, s30
                                        ; implicit-def: $vgpr33
; %bb.1233:                             ;   in Loop: Header=BB378_530 Depth=1
	s_andn2_saveexec_b64 s[4:5], s[4:5]
; %bb.1234:                             ;   in Loop: Header=BB378_530 Depth=1
	v_or_b32_e32 v23, 0x10000, v33
	v_cmp_eq_u32_sdwa vcc, v33, v11 src0_sel:WORD_0 src1_sel:DWORD
	v_cndmask_b32_e32 v32, v23, v33, vcc
; %bb.1235:                             ;   in Loop: Header=BB378_530 Depth=1
	s_or_b64 exec, exec, s[4:5]
	v_lshlrev_b32_e32 v23, 16, v35
	v_mul_f32_e32 v33, v60, v23
	v_and_b32_e32 v23, 0x7f800000, v33
	v_cmp_ne_u32_e32 vcc, s15, v23
                                        ; implicit-def: $vgpr35
	s_and_saveexec_b64 s[4:5], vcc
	s_xor_b64 s[4:5], exec, s[4:5]
; %bb.1236:                             ;   in Loop: Header=BB378_530 Depth=1
	v_bfe_u32 v23, v33, 16, 1
	v_add3_u32 v35, v33, v23, s30
                                        ; implicit-def: $vgpr33
; %bb.1237:                             ;   in Loop: Header=BB378_530 Depth=1
	s_andn2_saveexec_b64 s[4:5], s[4:5]
; %bb.1238:                             ;   in Loop: Header=BB378_530 Depth=1
	v_or_b32_e32 v23, 0x10000, v33
	v_cmp_eq_u32_sdwa vcc, v33, v11 src0_sel:WORD_0 src1_sel:DWORD
	v_cndmask_b32_e32 v35, v23, v33, vcc
; %bb.1239:                             ;   in Loop: Header=BB378_530 Depth=1
	s_or_b64 exec, exec, s[4:5]
	v_lshlrev_b32_e32 v10, 16, v10
	v_mul_f32_e32 v33, v34, v10
	v_and_b32_e32 v10, 0x7f800000, v33
	v_cmp_ne_u32_e32 vcc, s15, v10
                                        ; implicit-def: $vgpr10
	s_and_saveexec_b64 s[4:5], vcc
	s_xor_b64 s[4:5], exec, s[4:5]
; %bb.1240:                             ;   in Loop: Header=BB378_530 Depth=1
	v_bfe_u32 v10, v33, 16, 1
	v_add3_u32 v10, v33, v10, s30
                                        ; implicit-def: $vgpr33
; %bb.1241:                             ;   in Loop: Header=BB378_530 Depth=1
	s_andn2_saveexec_b64 s[4:5], s[4:5]
; %bb.1242:                             ;   in Loop: Header=BB378_530 Depth=1
	v_or_b32_e32 v10, 0x10000, v33
	v_cmp_eq_u32_sdwa vcc, v33, v11 src0_sel:WORD_0 src1_sel:DWORD
	v_cndmask_b32_e32 v10, v10, v33, vcc
; %bb.1243:                             ;   in Loop: Header=BB378_530 Depth=1
	s_or_b64 exec, exec, s[4:5]
	v_lshlrev_b32_e32 v5, 16, v5
	v_mul_f32_e32 v25, v25, v5
	v_and_b32_e32 v5, 0x7f800000, v25
	v_cmp_ne_u32_e32 vcc, s15, v5
                                        ; implicit-def: $vgpr5
	s_and_saveexec_b64 s[4:5], vcc
	s_xor_b64 s[4:5], exec, s[4:5]
; %bb.1244:                             ;   in Loop: Header=BB378_530 Depth=1
	v_bfe_u32 v5, v25, 16, 1
	v_add3_u32 v5, v25, v5, s30
                                        ; implicit-def: $vgpr25
; %bb.1245:                             ;   in Loop: Header=BB378_530 Depth=1
	s_andn2_saveexec_b64 s[4:5], s[4:5]
	s_cbranch_execz .LBB378_528
; %bb.1246:                             ;   in Loop: Header=BB378_530 Depth=1
	v_or_b32_e32 v5, 0x10000, v25
	v_cmp_eq_u32_sdwa vcc, v25, v11 src0_sel:WORD_0 src1_sel:DWORD
	v_cndmask_b32_e32 v5, v5, v25, vcc
	s_branch .LBB378_528
.LBB378_1247:
	s_or_b64 exec, exec, s[12:13]
	v_accvgpr_read_b32 v20, a16
	v_accvgpr_read_b32 v21, a17
	;; [unrolled: 1-line block ×3, first 2 shown]
.LBB378_1248:
	s_or_b64 exec, exec, s[8:9]
	ds_bpermute_b32 v0, v20, v18
	ds_bpermute_b32 v1, v20, v19
	;; [unrolled: 1-line block ×6, first 2 shown]
	s_waitcnt lgkmcnt(0)
	v_pk_add_f32 v[0:1], v[18:19], v[0:1]
	ds_bpermute_b32 v6, v21, v0
	v_pk_add_f32 v[4:5], v[12:13], v[4:5]
	ds_bpermute_b32 v7, v21, v1
	ds_bpermute_b32 v12, v21, v4
	ds_bpermute_b32 v13, v21, v5
	v_pk_add_f32 v[8:9], v[16:17], v[2:3]
	s_waitcnt lgkmcnt(0)
	v_pk_add_f32 v[2:3], v[0:1], v[6:7]
	s_barrier
	v_pk_add_f32 v[6:7], v[4:5], v[12:13]
	buffer_load_dword v4, off, s[0:3], s32 offset:192 ; 4-byte Folded Reload
	ds_bpermute_b32 v10, v21, v8
	ds_bpermute_b32 v11, v21, v9
	s_waitcnt lgkmcnt(0)
	v_pk_add_f32 v[0:1], v[8:9], v[10:11]
	s_waitcnt vmcnt(0)
	v_and_b32_e32 v4, 0x3c3, v4
	v_cmp_eq_u32_e32 vcc, 64, v4
	s_and_saveexec_b64 s[4:5], vcc
	s_cbranch_execz .LBB378_1250
; %bb.1249:
	s_load_dword s8, s[6:7], 0x0
	s_waitcnt lgkmcnt(0)
	v_add_u32_e32 v4, s8, v59
	ds_write2_b32 v4, v2, v3 offset1:16
	ds_write2_b32 v4, v0, v1 offset0:32 offset1:48
	ds_write2_b32 v4, v6, v7 offset0:64 offset1:80
.LBB378_1250:
	s_or_b64 exec, exec, s[4:5]
	s_waitcnt lgkmcnt(0)
	s_barrier
	buffer_load_dword v4, off, s[0:3], s32 offset:192 ; 4-byte Folded Reload
	s_waitcnt vmcnt(0)
	v_cmp_gt_u32_e32 vcc, 64, v4
	s_mov_b64 s[8:9], exec
	buffer_load_dword v8, off, s[0:3], s32 offset:224 ; 4-byte Folded Reload
	buffer_load_dword v9, off, s[0:3], s32 offset:220 ; 4-byte Folded Reload
	s_and_b64 s[4:5], s[8:9], vcc
	s_mov_b64 exec, s[4:5]
	s_cbranch_execz .LBB378_1259
; %bb.1251:
	buffer_load_dword v4, off, s[0:3], s32 offset:192 ; 4-byte Folded Reload
	v_cmp_eq_u32_e64 s[4:5], 0, v22
	s_waitcnt vmcnt(0)
	v_lshrrev_b32_e32 v4, 2, v4
	s_and_saveexec_b64 s[10:11], s[4:5]
	s_cbranch_execnz .LBB378_1287
; %bb.1252:
	s_or_b64 exec, exec, s[10:11]
	s_and_saveexec_b64 s[10:11], s[4:5]
	s_cbranch_execnz .LBB378_1288
.LBB378_1253:
	s_or_b64 exec, exec, s[10:11]
	s_and_saveexec_b64 s[10:11], s[4:5]
	s_cbranch_execnz .LBB378_1289
.LBB378_1254:
	s_or_b64 exec, exec, s[10:11]
	s_and_saveexec_b64 s[10:11], s[4:5]
	s_cbranch_execnz .LBB378_1290
.LBB378_1255:
	s_or_b64 exec, exec, s[10:11]
	s_and_saveexec_b64 s[10:11], s[4:5]
	s_cbranch_execnz .LBB378_1291
.LBB378_1256:
	s_or_b64 exec, exec, s[10:11]
	s_and_saveexec_b64 s[10:11], s[4:5]
	s_cbranch_execz .LBB378_1258
.LBB378_1257:
	s_load_dword s4, s[6:7], 0x0
	s_waitcnt lgkmcnt(0)
	v_lshl_add_u32 v4, v4, 2, s4
	ds_read_b32 v4, v4 offset:320
	s_waitcnt lgkmcnt(0)
	v_add_f32_e32 v7, v7, v4
.LBB378_1258:
	s_or_b64 exec, exec, s[10:11]
.LBB378_1259:
	s_or_b64 exec, exec, s[8:9]
	s_barrier
	s_and_b64 exec, exec, vcc
	s_cbranch_execz .LBB378_1286
; %bb.1260:
	v_cmp_eq_u32_e32 vcc, 0, v22
	s_and_b64 exec, exec, vcc
	s_cbranch_execz .LBB378_1286
; %bb.1261:
	s_mov_b32 s4, 0x7f800000
	v_and_b32_e32 v4, 0x7f800000, v2
	v_cmp_ne_u32_e32 vcc, s4, v4
                                        ; implicit-def: $vgpr4
	s_and_saveexec_b64 s[4:5], vcc
	s_xor_b64 s[4:5], exec, s[4:5]
; %bb.1262:
	v_bfe_u32 v4, v2, 16, 1
	s_movk_i32 s6, 0x7fff
	v_add3_u32 v4, v2, v4, s6
; %bb.1263:
	s_andn2_saveexec_b64 s[4:5], s[4:5]
; %bb.1264:
	v_mov_b32_e32 v4, 0
	v_or_b32_e32 v5, 0x10000, v2
	v_cmp_eq_u32_sdwa vcc, v2, v4 src0_sel:WORD_0 src1_sel:DWORD
	v_cndmask_b32_e32 v4, v5, v2, vcc
; %bb.1265:
	s_or_b64 exec, exec, s[4:5]
	s_mul_i32 s4, s21, s18
	s_mul_i32 s4, s4, s19
	s_mulk_i32 s4, 0x60
	s_mul_i32 s6, s20, s21
	s_mul_i32 s8, s14, 0x60
	s_ashr_i32 s5, s4, 31
	s_ashr_i32 s7, s6, 31
	;; [unrolled: 1-line block ×3, first 2 shown]
	s_lshl_b64 s[4:5], s[4:5], 1
	s_lshl_b64 s[6:7], s[6:7], 1
	;; [unrolled: 1-line block ×3, first 2 shown]
	s_add_u32 s6, s8, s6
	s_addc_u32 s7, s9, s7
	s_add_u32 s4, s6, s4
	s_addc_u32 s5, s7, s5
	v_mov_b32_e32 v2, s5
	s_waitcnt vmcnt(0)
	v_add_co_u32_e32 v5, vcc, s4, v9
	v_addc_co_u32_e32 v2, vcc, v2, v8, vcc
	buffer_load_dword v8, off, s[0:3], s32 offset:192 ; 4-byte Folded Reload
	s_mov_b32 s4, 0x7f800000
	s_waitcnt vmcnt(0)
	v_lshrrev_b32_e32 v8, 1, v8
	v_and_b32_e32 v8, 0x1fe, v8
	v_add_co_u32_e32 v8, vcc, v5, v8
	v_addc_co_u32_e32 v9, vcc, 0, v2, vcc
	v_and_b32_e32 v2, 0x7f800000, v3
	v_cmp_ne_u32_e32 vcc, s4, v2
	flat_store_short_d16_hi v[8:9], v4
                                        ; implicit-def: $vgpr2
	s_and_saveexec_b64 s[4:5], vcc
	s_xor_b64 s[4:5], exec, s[4:5]
; %bb.1266:
	v_bfe_u32 v2, v3, 16, 1
	s_movk_i32 s6, 0x7fff
	v_add3_u32 v2, v3, v2, s6
; %bb.1267:
	s_andn2_saveexec_b64 s[4:5], s[4:5]
; %bb.1268:
	v_mov_b32_e32 v2, 0
	v_or_b32_e32 v4, 0x10000, v3
	v_cmp_eq_u32_sdwa vcc, v3, v2 src0_sel:WORD_0 src1_sel:DWORD
	v_cndmask_b32_e32 v2, v4, v3, vcc
; %bb.1269:
	s_or_b64 exec, exec, s[4:5]
	flat_store_short_d16_hi v[8:9], v2 offset:32
	s_mov_b32 s4, 0x7f800000
	v_and_b32_e32 v2, 0x7f800000, v0
	v_cmp_ne_u32_e32 vcc, s4, v2
                                        ; implicit-def: $vgpr2
	s_and_saveexec_b64 s[4:5], vcc
	s_xor_b64 s[4:5], exec, s[4:5]
; %bb.1270:
	v_bfe_u32 v2, v0, 16, 1
	s_movk_i32 s6, 0x7fff
	v_add3_u32 v2, v0, v2, s6
; %bb.1271:
	s_andn2_saveexec_b64 s[4:5], s[4:5]
; %bb.1272:
	v_mov_b32_e32 v2, 0
	v_or_b32_e32 v3, 0x10000, v0
	v_cmp_eq_u32_sdwa vcc, v0, v2 src0_sel:WORD_0 src1_sel:DWORD
	v_cndmask_b32_e32 v2, v3, v0, vcc
; %bb.1273:
	s_or_b64 exec, exec, s[4:5]
	s_mov_b32 s4, 0x7f800000
	v_and_b32_e32 v0, 0x7f800000, v1
	v_cmp_ne_u32_e32 vcc, s4, v0
	flat_store_short_d16_hi v[8:9], v2 offset:64
                                        ; implicit-def: $vgpr0
	s_and_saveexec_b64 s[4:5], vcc
	s_xor_b64 s[4:5], exec, s[4:5]
; %bb.1274:
	v_bfe_u32 v0, v1, 16, 1
	s_movk_i32 s6, 0x7fff
	v_add3_u32 v0, v1, v0, s6
; %bb.1275:
	s_andn2_saveexec_b64 s[4:5], s[4:5]
; %bb.1276:
	v_mov_b32_e32 v0, 0
	v_or_b32_e32 v2, 0x10000, v1
	v_cmp_eq_u32_sdwa vcc, v1, v0 src0_sel:WORD_0 src1_sel:DWORD
	v_cndmask_b32_e32 v0, v2, v1, vcc
; %bb.1277:
	s_or_b64 exec, exec, s[4:5]
	flat_store_short_d16_hi v[8:9], v0 offset:96
	s_mov_b32 s4, 0x7f800000
	v_and_b32_e32 v0, 0x7f800000, v6
	v_cmp_ne_u32_e32 vcc, s4, v0
                                        ; implicit-def: $vgpr0
	s_and_saveexec_b64 s[4:5], vcc
	s_xor_b64 s[4:5], exec, s[4:5]
; %bb.1278:
	v_bfe_u32 v0, v6, 16, 1
	s_movk_i32 s6, 0x7fff
	v_add3_u32 v0, v6, v0, s6
; %bb.1279:
	s_andn2_saveexec_b64 s[4:5], s[4:5]
; %bb.1280:
	v_mov_b32_e32 v0, 0
	v_or_b32_e32 v1, 0x10000, v6
	v_cmp_eq_u32_sdwa vcc, v6, v0 src0_sel:WORD_0 src1_sel:DWORD
	v_cndmask_b32_e32 v0, v1, v6, vcc
; %bb.1281:
	s_or_b64 exec, exec, s[4:5]
	flat_store_short_d16_hi v[8:9], v0 offset:128
	s_mov_b32 s4, 0x7f800000
	v_and_b32_e32 v0, 0x7f800000, v7
	v_cmp_ne_u32_e32 vcc, s4, v0
                                        ; implicit-def: $vgpr0
	s_and_saveexec_b64 s[4:5], vcc
	s_xor_b64 s[4:5], exec, s[4:5]
; %bb.1282:
	v_bfe_u32 v0, v7, 16, 1
	s_movk_i32 s6, 0x7fff
	v_add3_u32 v0, v7, v0, s6
                                        ; implicit-def: $vgpr2_vgpr3_vgpr4_vgpr5_vgpr6_vgpr7
; %bb.1283:
	s_andn2_saveexec_b64 s[4:5], s[4:5]
; %bb.1284:
	v_mov_b32_e32 v0, 0
	v_or_b32_e32 v1, 0x10000, v7
	v_cmp_eq_u32_sdwa vcc, v7, v0 src0_sel:WORD_0 src1_sel:DWORD
	v_cndmask_b32_e32 v0, v1, v7, vcc
; %bb.1285:
	s_or_b64 exec, exec, s[4:5]
	flat_store_short_d16_hi v[8:9], v0 offset:160
.LBB378_1286:
	s_or_b64 exec, exec, s[16:17]
	buffer_load_dword a63, off, s[0:3], s32 offset:8 ; 4-byte Folded Reload
	buffer_load_dword a62, off, s[0:3], s32 offset:12 ; 4-byte Folded Reload
	;; [unrolled: 1-line block ×46, first 2 shown]
	v_readlane_b32 s30, v63, 10
	v_readlane_b32 s31, v63, 11
	v_readlane_b32 s43, v63, 9
	v_readlane_b32 s42, v63, 8
	v_readlane_b32 s41, v63, 7
	v_readlane_b32 s40, v63, 6
	v_readlane_b32 s39, v63, 5
	v_readlane_b32 s38, v63, 4
	v_readlane_b32 s37, v63, 3
	v_readlane_b32 s36, v63, 2
	v_readlane_b32 s35, v63, 1
	v_readlane_b32 s34, v63, 0
	v_accvgpr_read_b32 v40, a5              ;  Reload Reuse
	s_or_saveexec_b64 s[4:5], -1
	buffer_load_dword v63, off, s[0:3], s32 offset:300 ; 4-byte Folded Reload
	s_mov_b64 exec, s[4:5]
	s_waitcnt vmcnt(0) lgkmcnt(0)
	s_setpc_b64 s[30:31]
.LBB378_1287:
	s_load_dword s12, s[6:7], 0x0
	s_waitcnt lgkmcnt(0)
	v_lshl_add_u32 v5, v4, 2, s12
	ds_read_b32 v5, v5
	s_waitcnt lgkmcnt(0)
	v_add_f32_e32 v2, v2, v5
	s_or_b64 exec, exec, s[10:11]
	s_and_saveexec_b64 s[10:11], s[4:5]
	s_cbranch_execz .LBB378_1253
.LBB378_1288:
	s_load_dword s12, s[6:7], 0x0
	s_waitcnt lgkmcnt(0)
	v_lshl_add_u32 v5, v4, 2, s12
	ds_read_b32 v5, v5 offset:64
	s_waitcnt lgkmcnt(0)
	v_add_f32_e32 v3, v3, v5
	s_or_b64 exec, exec, s[10:11]
	s_and_saveexec_b64 s[10:11], s[4:5]
	s_cbranch_execz .LBB378_1254
.LBB378_1289:
	s_load_dword s12, s[6:7], 0x0
	s_waitcnt lgkmcnt(0)
	v_lshl_add_u32 v5, v4, 2, s12
	ds_read_b32 v5, v5 offset:128
	s_waitcnt lgkmcnt(0)
	v_add_f32_e32 v0, v0, v5
	s_or_b64 exec, exec, s[10:11]
	s_and_saveexec_b64 s[10:11], s[4:5]
	s_cbranch_execz .LBB378_1255
.LBB378_1290:
	s_load_dword s12, s[6:7], 0x0
	s_waitcnt lgkmcnt(0)
	v_lshl_add_u32 v5, v4, 2, s12
	ds_read_b32 v5, v5 offset:192
	s_waitcnt lgkmcnt(0)
	v_add_f32_e32 v1, v1, v5
	s_or_b64 exec, exec, s[10:11]
	s_and_saveexec_b64 s[10:11], s[4:5]
	s_cbranch_execz .LBB378_1256
.LBB378_1291:
	s_load_dword s12, s[6:7], 0x0
	s_waitcnt lgkmcnt(0)
	v_lshl_add_u32 v5, v4, 2, s12
	ds_read_b32 v5, v5 offset:256
	s_waitcnt lgkmcnt(0)
	v_add_f32_e32 v6, v6, v5
	s_or_b64 exec, exec, s[10:11]
	s_and_saveexec_b64 s[10:11], s[4:5]
	s_cbranch_execnz .LBB378_1257
	s_branch .LBB378_1258
.Lfunc_end378:
	.size	_ZN4vllm22paged_attention_kernelI14__hip_bfloat16hLi96ELi32ELi128ELNS_18Fp8KVCacheDataTypeE1ELb1ELi512EEEvPfS3_PT_PKS4_PKT0_SA_ifPKiSC_iPKfiiiSE_SE_iiiii, .Lfunc_end378-_ZN4vllm22paged_attention_kernelI14__hip_bfloat16hLi96ELi32ELi128ELNS_18Fp8KVCacheDataTypeE1ELb1ELi512EEEvPfS3_PT_PKS4_PKT0_SA_ifPKiSC_iPKfiiiSE_SE_iiiii
                                        ; -- End function
	.section	.AMDGPU.csdata,"",@progbits
; Function info:
; codeLenInByte = 41036
; NumSgprs: 48
; NumVgprs: 64
; NumAgprs: 64
; TotalNumVgprs: 128
; ScratchSize: 308
; MemoryBound: 0
	.section	.text._ZN4vllm25paged_attention_v2_kernelI14__hip_bfloat16hLi96ELi32ELi128ELNS_18Fp8KVCacheDataTypeE1ELb1ELi512EEEvPfS3_PT_PKS4_PKT0_SA_ifPKiSC_iPKfiiiSE_SE_iiiii,"axG",@progbits,_ZN4vllm25paged_attention_v2_kernelI14__hip_bfloat16hLi96ELi32ELi128ELNS_18Fp8KVCacheDataTypeE1ELb1ELi512EEEvPfS3_PT_PKS4_PKT0_SA_ifPKiSC_iPKfiiiSE_SE_iiiii,comdat
	.protected	_ZN4vllm25paged_attention_v2_kernelI14__hip_bfloat16hLi96ELi32ELi128ELNS_18Fp8KVCacheDataTypeE1ELb1ELi512EEEvPfS3_PT_PKS4_PKT0_SA_ifPKiSC_iPKfiiiSE_SE_iiiii ; -- Begin function _ZN4vllm25paged_attention_v2_kernelI14__hip_bfloat16hLi96ELi32ELi128ELNS_18Fp8KVCacheDataTypeE1ELb1ELi512EEEvPfS3_PT_PKS4_PKT0_SA_ifPKiSC_iPKfiiiSE_SE_iiiii
	.globl	_ZN4vllm25paged_attention_v2_kernelI14__hip_bfloat16hLi96ELi32ELi128ELNS_18Fp8KVCacheDataTypeE1ELb1ELi512EEEvPfS3_PT_PKS4_PKT0_SA_ifPKiSC_iPKfiiiSE_SE_iiiii
	.p2align	8
	.type	_ZN4vllm25paged_attention_v2_kernelI14__hip_bfloat16hLi96ELi32ELi128ELNS_18Fp8KVCacheDataTypeE1ELb1ELi512EEEvPfS3_PT_PKS4_PKT0_SA_ifPKiSC_iPKfiiiSE_SE_iiiii,@function
_ZN4vllm25paged_attention_v2_kernelI14__hip_bfloat16hLi96ELi32ELi128ELNS_18Fp8KVCacheDataTypeE1ELb1ELi512EEEvPfS3_PT_PKS4_PKT0_SA_ifPKiSC_iPKfiiiSE_SE_iiiii: ; @_ZN4vllm25paged_attention_v2_kernelI14__hip_bfloat16hLi96ELi32ELi128ELNS_18Fp8KVCacheDataTypeE1ELb1ELi512EEEvPfS3_PT_PKS4_PKT0_SA_ifPKiSC_iPKfiiiSE_SE_iiiii
; %bb.0:
	s_add_u32 flat_scratch_lo, s6, s11
	s_addc_u32 flat_scratch_hi, s7, 0
	s_add_u32 s0, s0, s11
	s_mov_b32 s12, s8
	s_load_dwordx8 s[24:31], s[4:5], 0x0
	s_load_dwordx8 s[16:23], s[4:5], 0x20
	s_load_dwordx2 s[6:7], s[4:5], 0x40
	s_load_dwordx4 s[44:47], s[4:5], 0x78
	s_load_dwordx2 s[34:35], s[4:5], 0x50
	s_load_dword s11, s[4:5], 0x48
	s_load_dword s8, s[4:5], 0x88
	s_load_dwordx8 s[36:43], s[4:5], 0x58
	s_mov_b32 s32, 0
	s_addc_u32 s1, s1, 0
	s_waitcnt lgkmcnt(0)
	v_mov_b32_e32 v1, s47
	buffer_store_dword v1, off, s[0:3], s32
	v_mov_b32_e32 v1, s8
	s_add_u32 s8, s4, 0x90
	s_mov_b32 s13, s9
	buffer_store_dword v1, off, s[0:3], s32 offset:4
	s_addc_u32 s9, s5, 0
	s_mov_b32 s14, s10
	s_mov_b32 s15, 27
	v_mov_b32_e32 v31, v0
	v_mov_b32_e32 v0, s24
	;; [unrolled: 1-line block ×32, first 2 shown]
	s_getpc_b64 s[4:5]
	s_add_u32 s4, s4, _ZN4vllm22paged_attention_kernelI14__hip_bfloat16hLi96ELi32ELi128ELNS_18Fp8KVCacheDataTypeE1ELb1ELi512EEEvPfS3_PT_PKS4_PKT0_SA_ifPKiSC_iPKfiiiSE_SE_iiiii@rel32@lo+4
	s_addc_u32 s5, s5, _ZN4vllm22paged_attention_kernelI14__hip_bfloat16hLi96ELi32ELi128ELNS_18Fp8KVCacheDataTypeE1ELb1ELi512EEEvPfS3_PT_PKS4_PKT0_SA_ifPKiSC_iPKfiiiSE_SE_iiiii@rel32@hi+12
	s_swappc_b64 s[30:31], s[4:5]
	s_endpgm
	.section	.rodata,"a",@progbits
	.p2align	6, 0x0
	.amdhsa_kernel _ZN4vllm25paged_attention_v2_kernelI14__hip_bfloat16hLi96ELi32ELi128ELNS_18Fp8KVCacheDataTypeE1ELb1ELi512EEEvPfS3_PT_PKS4_PKT0_SA_ifPKiSC_iPKfiiiSE_SE_iiiii
		.amdhsa_group_segment_fixed_size 208
		.amdhsa_private_segment_fixed_size 308
		.amdhsa_kernarg_size 400
		.amdhsa_user_sgpr_count 8
		.amdhsa_user_sgpr_private_segment_buffer 1
		.amdhsa_user_sgpr_dispatch_ptr 0
		.amdhsa_user_sgpr_queue_ptr 0
		.amdhsa_user_sgpr_kernarg_segment_ptr 1
		.amdhsa_user_sgpr_dispatch_id 0
		.amdhsa_user_sgpr_flat_scratch_init 1
		.amdhsa_user_sgpr_kernarg_preload_length 0
		.amdhsa_user_sgpr_kernarg_preload_offset 0
		.amdhsa_user_sgpr_private_segment_size 0
		.amdhsa_uses_dynamic_stack 0
		.amdhsa_system_sgpr_private_segment_wavefront_offset 1
		.amdhsa_system_sgpr_workgroup_id_x 1
		.amdhsa_system_sgpr_workgroup_id_y 1
		.amdhsa_system_sgpr_workgroup_id_z 1
		.amdhsa_system_sgpr_workgroup_info 0
		.amdhsa_system_vgpr_workitem_id 0
		.amdhsa_next_free_vgpr 128
		.amdhsa_next_free_sgpr 48
		.amdhsa_accum_offset 64
		.amdhsa_reserve_vcc 1
		.amdhsa_reserve_flat_scratch 1
		.amdhsa_float_round_mode_32 0
		.amdhsa_float_round_mode_16_64 0
		.amdhsa_float_denorm_mode_32 3
		.amdhsa_float_denorm_mode_16_64 3
		.amdhsa_dx10_clamp 1
		.amdhsa_ieee_mode 1
		.amdhsa_fp16_overflow 0
		.amdhsa_tg_split 0
		.amdhsa_exception_fp_ieee_invalid_op 0
		.amdhsa_exception_fp_denorm_src 0
		.amdhsa_exception_fp_ieee_div_zero 0
		.amdhsa_exception_fp_ieee_overflow 0
		.amdhsa_exception_fp_ieee_underflow 0
		.amdhsa_exception_fp_ieee_inexact 0
		.amdhsa_exception_int_div_zero 0
	.end_amdhsa_kernel
	.section	.text._ZN4vllm25paged_attention_v2_kernelI14__hip_bfloat16hLi96ELi32ELi128ELNS_18Fp8KVCacheDataTypeE1ELb1ELi512EEEvPfS3_PT_PKS4_PKT0_SA_ifPKiSC_iPKfiiiSE_SE_iiiii,"axG",@progbits,_ZN4vllm25paged_attention_v2_kernelI14__hip_bfloat16hLi96ELi32ELi128ELNS_18Fp8KVCacheDataTypeE1ELb1ELi512EEEvPfS3_PT_PKS4_PKT0_SA_ifPKiSC_iPKfiiiSE_SE_iiiii,comdat
.Lfunc_end379:
	.size	_ZN4vllm25paged_attention_v2_kernelI14__hip_bfloat16hLi96ELi32ELi128ELNS_18Fp8KVCacheDataTypeE1ELb1ELi512EEEvPfS3_PT_PKS4_PKT0_SA_ifPKiSC_iPKfiiiSE_SE_iiiii, .Lfunc_end379-_ZN4vllm25paged_attention_v2_kernelI14__hip_bfloat16hLi96ELi32ELi128ELNS_18Fp8KVCacheDataTypeE1ELb1ELi512EEEvPfS3_PT_PKS4_PKT0_SA_ifPKiSC_iPKfiiiSE_SE_iiiii
                                        ; -- End function
	.section	.AMDGPU.csdata,"",@progbits
; Kernel info:
; codeLenInByte = 296
; NumSgprs: 54
; NumVgprs: 64
; NumAgprs: 64
; TotalNumVgprs: 128
; ScratchSize: 308
; MemoryBound: 0
; FloatMode: 240
; IeeeMode: 1
; LDSByteSize: 208 bytes/workgroup (compile time only)
; SGPRBlocks: 6
; VGPRBlocks: 15
; NumSGPRsForWavesPerEU: 54
; NumVGPRsForWavesPerEU: 128
; AccumOffset: 64
; Occupancy: 4
; WaveLimiterHint : 1
; COMPUTE_PGM_RSRC2:SCRATCH_EN: 1
; COMPUTE_PGM_RSRC2:USER_SGPR: 8
; COMPUTE_PGM_RSRC2:TRAP_HANDLER: 0
; COMPUTE_PGM_RSRC2:TGID_X_EN: 1
; COMPUTE_PGM_RSRC2:TGID_Y_EN: 1
; COMPUTE_PGM_RSRC2:TGID_Z_EN: 1
; COMPUTE_PGM_RSRC2:TIDIG_COMP_CNT: 0
; COMPUTE_PGM_RSRC3_GFX90A:ACCUM_OFFSET: 15
; COMPUTE_PGM_RSRC3_GFX90A:TG_SPLIT: 0
	.text
	.p2align	2                               ; -- Begin function _ZN4vllm22paged_attention_kernelI14__hip_bfloat16hLi112ELi32ELi128ELNS_18Fp8KVCacheDataTypeE1ELb1ELi512EEEvPfS3_PT_PKS4_PKT0_SA_ifPKiSC_iPKfiiiSE_SE_iiiii
	.type	_ZN4vllm22paged_attention_kernelI14__hip_bfloat16hLi112ELi32ELi128ELNS_18Fp8KVCacheDataTypeE1ELb1ELi512EEEvPfS3_PT_PKS4_PKT0_SA_ifPKiSC_iPKfiiiSE_SE_iiiii,@function
_ZN4vllm22paged_attention_kernelI14__hip_bfloat16hLi112ELi32ELi128ELNS_18Fp8KVCacheDataTypeE1ELb1ELi512EEEvPfS3_PT_PKS4_PKT0_SA_ifPKiSC_iPKfiiiSE_SE_iiiii: ; @_ZN4vllm22paged_attention_kernelI14__hip_bfloat16hLi112ELi32ELi128ELNS_18Fp8KVCacheDataTypeE1ELb1ELi512EEEvPfS3_PT_PKS4_PKT0_SA_ifPKiSC_iPKfiiiSE_SE_iiiii
; %bb.0:
	s_waitcnt vmcnt(0) expcnt(0) lgkmcnt(0)
	s_or_saveexec_b64 s[4:5], -1
	buffer_store_dword v63, off, s[0:3], s32 offset:344 ; 4-byte Folded Spill
	s_mov_b64 exec, s[4:5]
	buffer_store_dword v40, off, s[0:3], s32 offset:192 ; 4-byte Folded Spill
	buffer_store_dword v41, off, s[0:3], s32 offset:188 ; 4-byte Folded Spill
	;; [unrolled: 1-line block ×47, first 2 shown]
	v_writelane_b32 v63, s34, 0
	v_writelane_b32 v63, s35, 1
	;; [unrolled: 1-line block ×12, first 2 shown]
	s_mov_b32 s18, s13
	s_ashr_i32 s19, s13, 31
	buffer_store_dword v26, off, s[0:3], s32 offset:228 ; 4-byte Folded Spill
	s_nop 0
	buffer_store_dword v27, off, s[0:3], s32 offset:232 ; 4-byte Folded Spill
	buffer_store_dword v22, off, s[0:3], s32 offset:216 ; 4-byte Folded Spill
	s_nop 0
	buffer_store_dword v23, off, s[0:3], s32 offset:220 ; 4-byte Folded Spill
	s_lshl_b64 s[4:5], s[18:19], 2
	v_mov_b32_e32 v22, v1
	v_mov_b32_e32 v26, v0
	;; [unrolled: 1-line block ×3, first 2 shown]
	v_add_co_u32_e32 v0, vcc, s4, v16
	v_addc_co_u32_e32 v1, vcc, v17, v1, vcc
	buffer_store_dword v13, off, s[0:3], s32 offset:248 ; 4-byte Folded Spill
	buffer_store_dword v4, off, s[0:3], s32 offset:264 ; 4-byte Folded Spill
	v_mov_b32_e32 v34, v2
	flat_load_dword v2, v[0:1]
	s_nop 0
	buffer_load_dword v0, off, s[0:3], s32 offset:4
	buffer_load_dword v1, off, s[0:3], s32
	v_accvgpr_write_b32 a35, v25
	s_mov_b32 s22, s15
	s_lshl_b32 s15, s14, 9
	v_accvgpr_write_b32 a34, v24
	v_mov_b32_e32 v33, v20
	v_mov_b32_e32 v32, v19
	;; [unrolled: 1-line block ×5, first 2 shown]
	s_waitcnt vmcnt(0) lgkmcnt(0)
	v_accvgpr_write_b32 a3, v2
	v_cmp_lt_i32_e32 vcc, s15, v2
	s_and_saveexec_b64 s[16:17], vcc
	s_cbranch_execz .LBB380_1485
; %bb.1:
	v_sub_u32_e32 v2, 0, v12
	v_max_i32_e32 v2, v12, v2
	v_cvt_f32_u32_e32 v3, v2
	buffer_store_dword v5, off, s[0:3], s32 offset:268 ; 4-byte Folded Spill
	s_load_dword s4, s[8:9], 0x10
	s_load_dword s6, s[8:9], 0x0
	v_sub_u32_e32 v5, 0, v2
	v_rcp_iflag_f32_e32 v3, v3
	s_waitcnt lgkmcnt(0)
	s_lshr_b32 s4, s4, 16
	s_cmp_lg_u32 s4, 0
	v_mul_f32_e32 v3, 0x4f7ffffe, v3
	v_cvt_u32_f32_e32 v3, v3
	s_cselect_b64 s[4:5], -1, 0
	s_cmp_lg_u64 s[4:5], 0
	s_addc_u32 s19, s6, 0
	v_mul_lo_u32 v5, v5, v3
	v_mul_hi_u32 v5, v3, v5
	s_abs_i32 s4, s19
	v_add_u32_e32 v3, v3, v5
	v_mul_hi_u32 v3, s4, v3
	v_mul_lo_u32 v5, v3, v2
	v_sub_u32_e32 v5, s4, v5
	v_add_u32_e32 v10, 1, v3
	v_cmp_ge_u32_e32 vcc, v5, v2
	v_cndmask_b32_e32 v3, v3, v10, vcc
	v_sub_u32_e32 v10, v5, v2
	v_cndmask_b32_e32 v5, v5, v10, vcc
	v_xor_b32_e32 v4, s19, v12
	v_add_u32_e32 v10, 1, v3
	v_cmp_ge_u32_e32 vcc, v5, v2
	v_ashrrev_i32_e32 v4, 31, v4
	v_cndmask_b32_e32 v2, v3, v10, vcc
	v_xor_b32_e32 v2, v2, v4
	v_sub_u32_e32 v2, v2, v4
	v_sub_u32_e32 v3, 0, v2
	v_max_i32_e32 v3, v2, v3
	v_cvt_f32_u32_e32 v4, v3
	v_sub_u32_e32 v5, 0, v3
	s_abs_i32 s6, s12
	v_cmp_ne_u64_e32 vcc, 0, v[32:33]
	v_rcp_iflag_f32_e32 v4, v4
	v_mul_f32_e32 v4, 0x4f7ffffe, v4
	v_cvt_u32_f32_e32 v4, v4
	v_mul_lo_u32 v5, v5, v4
	v_mul_hi_u32 v5, v4, v5
	v_add_u32_e32 v4, v4, v5
	v_mad_u64_u32 v[16:17], s[4:5], s6, v4, 0
	v_mov_b32_e32 v4, 0
	buffer_store_dword v4, off, s[0:3], s32 offset:244 ; 4-byte Folded Spill
	s_and_saveexec_b64 s[4:5], vcc
	s_cbranch_execz .LBB380_3
; %bb.2:
	s_ashr_i32 s13, s12, 31
	s_lshl_b64 s[10:11], s[12:13], 2
	v_mov_b32_e32 v5, s11
	v_add_co_u32_e32 v4, vcc, s10, v32
	v_addc_co_u32_e32 v5, vcc, v33, v5, vcc
	flat_load_dword v4, v[4:5]
	s_waitcnt vmcnt(0) lgkmcnt(0)
	buffer_store_dword v4, off, s[0:3], s32 offset:244 ; 4-byte Folded Spill
.LBB380_3:
	s_or_b64 exec, exec, s[4:5]
	v_and_b32_e32 v19, 0x3ff, v31
	s_ashr_i32 s7, s12, 31
	v_ashrrev_i32_e32 v4, 31, v2
	v_and_b32_e32 v2, 1, v19
	s_movk_i32 s10, 0x70
	s_mul_i32 s20, s12, 0x70
	v_cmp_gt_u32_e32 vcc, 28, v19
	v_lshlrev_b32_e32 v31, 3, v19
	s_and_saveexec_b64 s[4:5], vcc
	s_cbranch_execz .LBB380_5
; %bb.4:
	v_mul_lo_u32 v10, s18, v21
	v_ashrrev_i32_e32 v11, 31, v10
	v_lshlrev_b64 v[10:11], 1, v[10:11]
	v_add_co_u32_e32 v5, vcc, v6, v10
	s_ashr_i32 s21, s20, 31
	v_addc_co_u32_e32 v6, vcc, v7, v11, vcc
	s_lshl_b64 s[24:25], s[20:21], 1
	v_mov_b32_e32 v7, s25
	v_add_co_u32_e32 v5, vcc, s24, v5
	v_addc_co_u32_e32 v7, vcc, v6, v7, vcc
	v_add_co_u32_e32 v6, vcc, v5, v31
	v_addc_co_u32_e32 v7, vcc, 0, v7, vcc
	flat_load_dwordx2 v[6:7], v[6:7]
	v_lshlrev_b32_e32 v5, 2, v19
	v_and_b32_e32 v5, 0xff8, v5
	v_mad_u32_u24 v5, v2, s10, v5
	s_waitcnt vmcnt(0) lgkmcnt(0)
	ds_write_b64 v5, v[6:7]
.LBB380_5:
	s_or_b64 exec, exec, s[4:5]
	v_mul_lo_u32 v5, v17, v3
	v_sub_u32_e32 v5, s6, v5
	v_add_u32_e32 v6, 1, v17
	v_cmp_ge_u32_e32 vcc, v5, v3
	v_sub_u32_e32 v7, v5, v3
	v_cndmask_b32_e32 v6, v17, v6, vcc
	v_cndmask_b32_e32 v5, v5, v7, vcc
	v_add_u32_e32 v7, 1, v6
	v_cmp_ge_u32_e32 vcc, v5, v3
	v_sub_u32_e32 v5, 0, v1
	v_cndmask_b32_e32 v3, v6, v7, vcc
	v_max_i32_e32 v7, v1, v5
	v_cvt_f32_u32_e32 v5, v7
	v_xor_b32_e32 v4, s7, v4
	v_xor_b32_e32 v3, v3, v4
	v_sub_u32_e32 v6, v3, v4
	v_rcp_iflag_f32_e32 v3, v5
	s_waitcnt lgkmcnt(0)
	s_barrier
	v_mul_f32_e32 v3, 0x4f7ffffe, v3
	v_cvt_u32_f32_e32 v5, v3
	v_accvgpr_read_b32 v4, a3
	buffer_store_dword v7, off, s[0:3], s32 offset:196 ; 4-byte Folded Spill
	v_sub_u32_e32 v7, 0, v7
	v_add_u32_e32 v4, -1, v4
	v_mul_lo_u32 v7, v7, v5
	v_sub_u32_e32 v3, 0, v4
	v_mul_hi_u32 v7, v5, v7
	v_max_i32_e32 v3, v4, v3
	v_add_u32_e32 v5, v5, v7
	v_mad_u64_u32 v[16:17], s[4:5], v3, v5, 0
	v_cmp_gt_i32_e32 vcc, 0, v0
	buffer_store_dword v5, off, s[0:3], s32 offset:208 ; 4-byte Folded Spill
                                        ; implicit-def: $agpr10
	s_and_saveexec_b64 s[4:5], vcc
	s_xor_b64 s[4:5], exec, s[4:5]
; %bb.6:
	v_mad_u64_u32 v[10:11], s[6:7], v28, v12, v[6:7]
	v_mul_lo_u32 v0, v10, v0
	v_sub_u32_e32 v0, 1, v0
	v_accvgpr_write_b32 a10, v0
                                        ; implicit-def: $vgpr28
                                        ; implicit-def: $vgpr0
; %bb.7:
	s_or_saveexec_b64 s[4:5], s[4:5]
	v_ashrrev_i32_e32 v4, 31, v4
	v_ashrrev_i32_e32 v1, 31, v1
	buffer_store_dword v1, off, s[0:3], s32 offset:200 ; 4-byte Folded Spill
	s_xor_b64 exec, exec, s[4:5]
; %bb.8:
	v_mul_lo_u32 v1, s19, v28
	v_add_u32_e32 v1, s12, v1
	v_mad_u64_u32 v[0:1], s[6:7], v1, v0, 1
	v_accvgpr_write_b32 a10, v0
; %bb.9:
	s_or_b64 exec, exec, s[4:5]
	s_load_dword s38, s[8:9], 0x14
	s_load_dword s13, s[8:9], 0x8
	buffer_load_dword v5, off, s[0:3], s32 offset:200 ; 4-byte Folded Reload
	buffer_load_dword v10, off, s[0:3], s32 offset:196 ; 4-byte Folded Reload
	s_lshl_b32 s21, s14, 4
	v_lshrrev_b32_e32 v28, 6, v19
	v_mul_lo_u32 v0, s18, v18
	s_add_i32 s4, s21, 16
	v_ashrrev_i32_e32 v1, 31, v0
	v_mul_lo_u32 v23, v6, v23
	v_sub_u32_e32 v36, 0, v30
	v_lshlrev_b64 v[32:33], 2, v[0:1]
	v_lshl_add_u32 v0, v28, 5, s15
	v_mbcnt_lo_u32_b32 v1, -1, 0
	buffer_store_dword v0, off, s[0:3], s32 offset:272 ; 4-byte Folded Spill
	s_waitcnt vmcnt(2)
	v_xor_b32_e32 v4, v4, v5
	s_waitcnt vmcnt(1)
	v_mul_lo_u32 v5, v17, v10
	v_sub_u32_e32 v3, v3, v5
	v_add_u32_e32 v5, 1, v17
	v_cmp_ge_u32_e32 vcc, v3, v10
	v_sub_u32_e32 v7, v3, v10
	v_cndmask_b32_e32 v5, v17, v5, vcc
	v_cndmask_b32_e32 v3, v3, v7, vcc
	v_add_u32_e32 v7, 1, v5
	v_cmp_ge_u32_e32 vcc, v3, v10
	v_cndmask_b32_e32 v3, v5, v7, vcc
	v_xor_b32_e32 v3, v3, v4
	v_sub_u32_e32 v3, v3, v4
	v_accvgpr_read_b32 v4, a3
	v_add_u32_e32 v4, 31, v4
	v_ashrrev_i32_e32 v5, 31, v4
	v_lshrrev_b32_e32 v5, 27, v5
	v_add_u32_e32 v4, v4, v5
	v_or_b32_e32 v10, s21, v28
	v_ashrrev_i32_e32 v35, 5, v4
	v_ashrrev_i32_e32 v11, 31, v10
	v_min_i32_e32 v4, s4, v35
	v_accvgpr_write_b32 a13, v11
	buffer_store_dword v4, off, s[0:3], s32 offset:204 ; 4-byte Folded Spill
	v_cmp_lt_i32_e64 s[4:5], v10, v4
	v_mov_b32_e32 v4, 0xff7fffff
	v_sub_u32_e32 v3, v3, v29
	v_accvgpr_write_b32 a12, v10
	v_ashrrev_i32_e32 v29, 31, v23
	buffer_store_dword v3, off, s[0:3], s32 offset:212 ; 4-byte Folded Spill
	s_mov_b64 s[24:25], exec
	s_and_b64 s[6:7], s[24:25], s[4:5]
	buffer_store_dword v19, off, s[0:3], s32 offset:260 ; 4-byte Folded Spill
	s_mov_b64 exec, s[6:7]
	s_cbranch_execz .LBB380_579
; %bb.10:
	v_bfe_u32 v7, v19, 1, 5
	v_add_co_u32_e64 v0, s[6:7], v8, v23
	v_mov_b32_e32 v6, v1
	v_addc_co_u32_e64 v1, s[6:7], v9, v29, s[6:7]
	v_lshlrev_b32_e32 v3, 4, v7
	v_add_co_u32_e64 v0, s[6:7], v0, v3
	v_addc_co_u32_e64 v1, s[6:7], 0, v1, s[6:7]
	buffer_store_dword v35, off, s[0:3], s32 offset:276 ; 4-byte Folded Spill
	buffer_store_dword v31, off, s[0:3], s32 offset:280 ; 4-byte Folded Spill
	;; [unrolled: 1-line block ×10, first 2 shown]
	v_accvgpr_write_b32 a39, v1
	buffer_store_dword v30, off, s[0:3], s32 offset:332 ; 4-byte Folded Spill
	buffer_store_dword v36, off, s[0:3], s32 offset:292 ; 4-byte Folded Spill
	v_accvgpr_write_b32 a38, v0
	buffer_load_dword v1, off, s[0:3], s32 offset:244 ; 4-byte Folded Reload
	v_lshlrev_b32_e32 v0, 2, v2
	v_max_i32_e32 v3, v30, v36
	v_accvgpr_write_b32 a40, v0
	v_cvt_f32_u32_e32 v0, v3
	s_ashr_i32 s23, s22, 31
	s_lshl_b64 s[8:9], s[22:23], 2
	s_getpc_b64 s[10:11]
	s_add_u32 s10, s10, llvm.amdgcn.dynlds.offset.table@rel32@lo+4
	s_addc_u32 s11, s11, llvm.amdgcn.dynlds.offset.table@rel32@hi+12
	v_rcp_iflag_f32_e32 v0, v0
	v_accvgpr_read_b32 v4, a12
	s_add_u32 s26, s8, s10
	v_accvgpr_read_b32 v5, a13
	v_mul_f32_e32 v0, 0x4f7ffffe, v0
	v_cvt_u32_f32_e32 v0, v0
	s_addc_u32 s27, s9, s11
	s_load_dword s23, s[26:27], 0x0
	buffer_store_dword v3, off, s[0:3], s32 offset:224 ; 4-byte Folded Spill
	v_cmp_eq_u32_e32 vcc, 0, v2
	v_mul_u32_u24_e32 v23, 0x70, v2
	v_mov_b32_e32 v45, 0
	s_mov_b64 s[28:29], 0
	s_movk_i32 s39, 0x80
	s_movk_i32 s40, 0x7f
	s_mov_b32 s41, 0x7f800000
	s_movk_i32 s42, 0x7fff
	s_mov_b32 s43, 0xffffff
	s_waitcnt vmcnt(1)
	v_cmp_neq_f32_e64 s[6:7], 0, v1
	v_sub_u32_e32 v1, 0, v3
	v_mul_lo_u32 v1, v1, v0
	v_mul_hi_u32 v1, v0, v1
	v_add_u32_e32 v0, v0, v1
	v_accvgpr_write_b32 a44, v0
	v_lshlrev_b64 v[0:1], 2, v[4:5]
	v_add_co_u32_e64 v0, s[8:9], v32, v0
	buffer_store_dword v32, off, s[0:3], s32 offset:296 ; 4-byte Folded Spill
	s_nop 0
	buffer_store_dword v33, off, s[0:3], s32 offset:300 ; 4-byte Folded Spill
	buffer_store_dword v14, off, s[0:3], s32 offset:336 ; 4-byte Folded Spill
	;; [unrolled: 1-line block ×5, first 2 shown]
	v_addc_co_u32_e64 v1, s[8:9], v33, v1, s[8:9]
	v_add_co_u32_e64 v46, s[8:9], v14, v0
	v_lshlrev_b32_e32 v0, 2, v7
	v_lshl_or_b32 v3, v28, 7, v0
	v_accvgpr_read_b32 v0, a3
	v_sub_u32_e32 v2, v7, v0
	v_add_u32_e32 v0, 1, v2
	buffer_store_dword v0, off, s[0:3], s32 offset:256 ; 4-byte Folded Spill
	v_mbcnt_hi_u32_b32 v0, -1, v6
	v_addc_co_u32_e64 v47, s[8:9], v15, v1, s[8:9]
	v_lshl_add_u32 v1, v28, 5, s15
	buffer_store_dword v0, off, s[0:3], s32 offset:240 ; 4-byte Folded Spill
	v_mov_b32_e32 v0, 0xff7fffff
	v_mov_b32_e32 v2, v4
	;; [unrolled: 1-line block ×3, first 2 shown]
	buffer_store_dword v0, off, s[0:3], s32 offset:236 ; 4-byte Folded Spill
	s_branch .LBB380_13
.LBB380_11:                             ;   in Loop: Header=BB380_13 Depth=1
	s_or_b64 exec, exec, s[30:31]
	v_accvgpr_read_b32 v4, a43
.LBB380_12:                             ;   in Loop: Header=BB380_13 Depth=1
	s_or_b64 exec, exec, s[10:11]
	buffer_load_dword v0, off, s[0:3], s32 offset:204 ; 4-byte Folded Reload
	v_accvgpr_read_b32 v2, a48
	v_add_co_u32_e64 v46, s[8:9], 8, v46
	v_add_u32_e32 v2, 2, v2
	v_addc_co_u32_e64 v47, s[8:9], 0, v47, s[8:9]
	v_add_u32_e32 v1, 64, v1
	v_add_u32_e32 v4, 0x100, v4
	s_waitcnt vmcnt(0)
	v_cmp_ge_i32_e64 s[8:9], v2, v0
	s_or_b64 s[28:29], s[8:9], s[28:29]
	s_andn2_b64 exec, exec, s[28:29]
	s_cbranch_execz .LBB380_578
.LBB380_13:                             ; =>This Inner Loop Header: Depth=1
	buffer_load_dword v0, off, s[0:3], s32 offset:200 ; 4-byte Folded Reload
	v_accvgpr_write_b32 a48, v2
	v_ashrrev_i32_e32 v2, 31, v1
	s_waitcnt lgkmcnt(0)
	v_sub_u32_e32 v3, 0, v1
	v_max_i32_e32 v3, v1, v3
	s_waitcnt vmcnt(0)
	v_xor_b32_e32 v2, v2, v0
	buffer_load_dword v0, off, s[0:3], s32 offset:208 ; 4-byte Folded Reload
	s_waitcnt vmcnt(0)
	v_mul_hi_u32 v5, v3, v0
	buffer_load_dword v0, off, s[0:3], s32 offset:196 ; 4-byte Folded Reload
	s_waitcnt vmcnt(0)
	v_mul_lo_u32 v6, v5, v0
	v_sub_u32_e32 v3, v3, v6
	v_add_u32_e32 v6, 1, v5
	v_cmp_ge_u32_e64 s[8:9], v3, v0
	v_cndmask_b32_e64 v5, v5, v6, s[8:9]
	v_sub_u32_e32 v6, v3, v0
	v_cndmask_b32_e64 v3, v3, v6, s[8:9]
	v_add_u32_e32 v6, 1, v5
	v_cmp_ge_u32_e64 s[8:9], v3, v0
	v_cndmask_b32_e64 v3, v5, v6, s[8:9]
	v_xor_b32_e32 v3, v3, v2
	v_sub_u32_e32 v2, v3, v2
	v_accvgpr_read_b32 v0, a10
	v_add_u32_e32 v3, v2, v0
	v_sub_u32_e32 v6, 0, v3
	v_ashrrev_i32_e32 v5, 31, v3
	v_max_i32_e32 v3, v3, v6
	v_accvgpr_read_b32 v0, a44
	v_mul_hi_u32 v6, v3, v0
	buffer_load_dword v0, off, s[0:3], s32 offset:224 ; 4-byte Folded Reload
	s_waitcnt vmcnt(0)
	v_mul_lo_u32 v6, v6, v0
	v_sub_u32_e32 v3, v3, v6
	v_sub_u32_e32 v6, v3, v0
	v_cmp_ge_u32_e64 s[8:9], v3, v0
	v_cndmask_b32_e64 v3, v3, v6, s[8:9]
	v_sub_u32_e32 v6, v3, v0
	v_cmp_ge_u32_e64 s[8:9], v3, v0
	buffer_load_dword v0, off, s[0:3], s32 offset:212 ; 4-byte Folded Reload
	v_cndmask_b32_e64 v3, v3, v6, s[8:9]
	v_xor_b32_e32 v3, v3, v5
	v_sub_u32_e32 v3, v3, v5
	v_cmp_ne_u32_e64 s[8:9], 0, v3
	s_waitcnt vmcnt(0)
	v_cmp_le_i32_e64 s[10:11], v2, v0
	s_and_b64 s[8:9], s[8:9], s[10:11]
	s_and_b64 s[30:31], vcc, s[8:9]
	s_and_saveexec_b64 s[10:11], s[30:31]
	s_cbranch_execz .LBB380_15
; %bb.14:                               ;   in Loop: Header=BB380_13 Depth=1
	s_waitcnt lgkmcnt(0)
	v_add_u32_e32 v2, s23, v4
	v_mov_b32_e32 v0, 0xff7fffff
	ds_write_b32 v2, v0
.LBB380_15:                             ;   in Loop: Header=BB380_13 Depth=1
	s_or_b64 exec, exec, s[10:11]
	s_xor_b64 s[8:9], s[8:9], -1
	s_and_saveexec_b64 s[10:11], s[8:9]
	s_cbranch_execz .LBB380_12
; %bb.16:                               ;   in Loop: Header=BB380_13 Depth=1
	flat_load_dword v2, v[46:47]
	buffer_load_dword v6, off, s[0:3], s32 offset:216 ; 4-byte Folded Reload
	buffer_load_dword v7, off, s[0:3], s32 offset:220 ; 4-byte Folded Reload
	v_accvgpr_write_b32 a43, v4
	v_accvgpr_read_b32 v4, a38
	v_accvgpr_read_b32 v5, a39
	;; [unrolled: 1-line block ×3, first 2 shown]
	s_waitcnt vmcnt(0) lgkmcnt(0)
	v_mad_i64_i32 v[2:3], s[8:9], v2, v6, v[4:5]
	v_add_co_u32_e64 v56, s[8:9], v2, v0
	v_addc_co_u32_e64 v57, s[8:9], 0, v3, s[8:9]
	v_accvgpr_read_b32 v2, a34
	flat_load_dword v58, v[56:57]
	v_accvgpr_read_b32 v3, a35
	flat_load_dword v12, v[2:3]
	ds_read_b128 v[52:55], v23
	ds_read_b128 v[48:51], v23 offset:16
	ds_read_b128 v[36:39], v23 offset:32
	;; [unrolled: 1-line block ×5, first 2 shown]
	ds_read_b32 a47, v23 offset:96
	ds_read_u16 a49, v23 offset:100
	v_mov_b32_e32 v2, 0
	s_waitcnt vmcnt(0) lgkmcnt(0)
	v_cmp_ne_u16_sdwa s[8:9], v58, v45 src0_sel:BYTE_0 src1_sel:DWORD
	s_and_saveexec_b64 s[30:31], s[8:9]
	s_cbranch_execz .LBB380_22
; %bb.17:                               ;   in Loop: Header=BB380_13 Depth=1
	v_cmp_ne_u16_sdwa s[8:9], v58, s39 src0_sel:BYTE_0 src1_sel:DWORD
	v_bfrev_b32_e32 v2, 1
	s_and_saveexec_b64 s[34:35], s[8:9]
	s_cbranch_execz .LBB380_21
; %bb.18:                               ;   in Loop: Header=BB380_13 Depth=1
	v_and_b32_e32 v3, 0x7f, v58
	v_cmp_ne_u32_e64 s[8:9], s40, v3
	v_mov_b32_e32 v2, 0x7f800001
	s_and_saveexec_b64 s[36:37], s[8:9]
	s_cbranch_execz .LBB380_20
; %bb.19:                               ;   in Loop: Header=BB380_13 Depth=1
	v_and_b32_e32 v2, 7, v58
	v_ffbh_u32_e32 v10, v2
	v_min_u32_e32 v10, 32, v10
	v_subrev_u32_e32 v13, 28, v10
	v_lshlrev_b64 v[20:21], v13, v[58:59]
	v_lshrrev_b32_e32 v5, 3, v3
	v_sub_u32_e32 v10, 29, v10
	v_and_b32_e32 v13, 7, v20
	v_cmp_gt_u32_e64 s[8:9], 8, v3
	v_cndmask_b32_e64 v3, v5, v10, s[8:9]
	v_cndmask_b32_e64 v2, v2, v13, s[8:9]
	v_lshlrev_b32_e32 v5, 24, v58
	v_bfrev_b32_e32 v0, 60
	v_lshlrev_b32_e32 v2, 20, v2
	v_and_b32_e32 v5, 0x80000000, v5
	v_lshl_add_u32 v3, v3, 23, v0
	v_or3_b32 v2, v5, v3, v2
.LBB380_20:                             ;   in Loop: Header=BB380_13 Depth=1
	s_or_b64 exec, exec, s[36:37]
.LBB380_21:                             ;   in Loop: Header=BB380_13 Depth=1
	s_or_b64 exec, exec, s[34:35]
.LBB380_22:                             ;   in Loop: Header=BB380_13 Depth=1
	s_or_b64 exec, exec, s[30:31]
	v_mul_f32_e32 v2, v12, v2
	v_and_b32_e32 v3, 0x7f800000, v2
	v_cmp_ne_u32_e64 s[8:9], s41, v3
                                        ; implicit-def: $vgpr15
	s_and_saveexec_b64 s[30:31], s[8:9]
	s_xor_b64 s[8:9], exec, s[30:31]
; %bb.23:                               ;   in Loop: Header=BB380_13 Depth=1
	v_bfe_u32 v3, v2, 16, 1
	v_add3_u32 v15, v2, v3, s42
                                        ; implicit-def: $vgpr2
; %bb.24:                               ;   in Loop: Header=BB380_13 Depth=1
	s_andn2_saveexec_b64 s[30:31], s[8:9]
; %bb.25:                               ;   in Loop: Header=BB380_13 Depth=1
	v_or_b32_e32 v3, 0x10000, v2
	v_cmp_eq_u32_sdwa s[8:9], v2, v45 src0_sel:WORD_0 src1_sel:DWORD
	v_cndmask_b32_e64 v15, v3, v2, s[8:9]
; %bb.26:                               ;   in Loop: Header=BB380_13 Depth=1
	s_or_b64 exec, exec, s[30:31]
	v_lshrrev_b16_e32 v60, 8, v58
	v_cmp_ne_u16_e64 s[8:9], 0, v60
	v_mov_b32_e32 v2, 0
	s_and_saveexec_b64 s[30:31], s[8:9]
	s_cbranch_execz .LBB380_32
; %bb.27:                               ;   in Loop: Header=BB380_13 Depth=1
	v_cmp_ne_u16_e64 s[8:9], s39, v60
	v_bfrev_b32_e32 v2, 1
	s_and_saveexec_b64 s[34:35], s[8:9]
	s_cbranch_execz .LBB380_31
; %bb.28:                               ;   in Loop: Header=BB380_13 Depth=1
	v_and_b32_e32 v3, 0x7f, v60
	v_cmp_ne_u32_e64 s[8:9], s40, v3
	v_mov_b32_e32 v2, 0x7f800001
	s_and_saveexec_b64 s[36:37], s[8:9]
	s_cbranch_execz .LBB380_30
; %bb.29:                               ;   in Loop: Header=BB380_13 Depth=1
	v_and_b32_e32 v2, 7, v60
	v_ffbh_u32_e32 v10, v2
	v_min_u32_e32 v10, 32, v10
	v_subrev_u32_e32 v13, 28, v10
	v_lshlrev_b64 v[20:21], v13, v[60:61]
	v_lshrrev_b32_e32 v5, 3, v3
	v_sub_u32_e32 v10, 29, v10
	v_and_b32_e32 v13, 7, v20
	v_cmp_gt_u32_e64 s[8:9], 8, v3
	v_cndmask_b32_e64 v3, v5, v10, s[8:9]
	v_cndmask_b32_e64 v2, v2, v13, s[8:9]
	v_lshlrev_b32_e32 v5, 16, v58
	v_bfrev_b32_e32 v0, 60
	v_lshlrev_b32_e32 v2, 20, v2
	v_and_b32_e32 v5, 0x80000000, v5
	v_lshl_add_u32 v3, v3, 23, v0
	v_or3_b32 v2, v5, v3, v2
.LBB380_30:                             ;   in Loop: Header=BB380_13 Depth=1
	s_or_b64 exec, exec, s[36:37]
.LBB380_31:                             ;   in Loop: Header=BB380_13 Depth=1
	s_or_b64 exec, exec, s[34:35]
.LBB380_32:                             ;   in Loop: Header=BB380_13 Depth=1
	s_or_b64 exec, exec, s[30:31]
	v_mul_f32_e32 v2, v12, v2
	v_and_b32_e32 v3, 0x7f800000, v2
	v_cmp_ne_u32_e64 s[8:9], s41, v3
                                        ; implicit-def: $agpr50
	s_and_saveexec_b64 s[30:31], s[8:9]
	s_xor_b64 s[8:9], exec, s[30:31]
; %bb.33:                               ;   in Loop: Header=BB380_13 Depth=1
	v_bfe_u32 v3, v2, 16, 1
	v_add3_u32 v0, v2, v3, s42
	v_accvgpr_write_b32 a50, v0
                                        ; implicit-def: $vgpr2
; %bb.34:                               ;   in Loop: Header=BB380_13 Depth=1
	s_andn2_saveexec_b64 s[30:31], s[8:9]
; %bb.35:                               ;   in Loop: Header=BB380_13 Depth=1
	v_or_b32_e32 v3, 0x10000, v2
	v_cmp_eq_u32_sdwa s[8:9], v2, v45 src0_sel:WORD_0 src1_sel:DWORD
	v_cndmask_b32_e64 v0, v3, v2, s[8:9]
	v_accvgpr_write_b32 a50, v0
; %bb.36:                               ;   in Loop: Header=BB380_13 Depth=1
	s_or_b64 exec, exec, s[30:31]
	v_lshrrev_b32_e32 v60, 16, v58
	v_cmp_ne_u16_sdwa s[8:9], v60, v45 src0_sel:BYTE_0 src1_sel:DWORD
	v_mov_b32_e32 v2, 0
	s_and_saveexec_b64 s[30:31], s[8:9]
	s_cbranch_execz .LBB380_42
; %bb.37:                               ;   in Loop: Header=BB380_13 Depth=1
	v_cmp_ne_u16_sdwa s[8:9], v60, s39 src0_sel:BYTE_0 src1_sel:DWORD
	v_bfrev_b32_e32 v2, 1
	s_and_saveexec_b64 s[34:35], s[8:9]
	s_cbranch_execz .LBB380_41
; %bb.38:                               ;   in Loop: Header=BB380_13 Depth=1
	v_bfe_u32 v3, v58, 16, 7
	v_cmp_ne_u32_e64 s[8:9], s40, v3
	v_mov_b32_e32 v2, 0x7f800001
	s_and_saveexec_b64 s[36:37], s[8:9]
	s_cbranch_execz .LBB380_40
; %bb.39:                               ;   in Loop: Header=BB380_13 Depth=1
	v_and_b32_e32 v2, 7, v60
	v_ffbh_u32_e32 v10, v2
	v_min_u32_e32 v10, 32, v10
	v_subrev_u32_e32 v13, 28, v10
	v_lshlrev_b64 v[20:21], v13, v[60:61]
	v_lshrrev_b32_e32 v5, 3, v3
	v_sub_u32_e32 v10, 29, v10
	v_and_b32_e32 v13, 7, v20
	v_cmp_gt_u32_e64 s[8:9], 8, v3
	v_cndmask_b32_e64 v3, v5, v10, s[8:9]
	v_cndmask_b32_e64 v2, v2, v13, s[8:9]
	v_lshlrev_b32_e32 v5, 24, v60
	v_bfrev_b32_e32 v0, 60
	v_lshlrev_b32_e32 v2, 20, v2
	v_and_b32_e32 v5, 0x80000000, v5
	v_lshl_add_u32 v3, v3, 23, v0
	v_or3_b32 v2, v5, v3, v2
.LBB380_40:                             ;   in Loop: Header=BB380_13 Depth=1
	s_or_b64 exec, exec, s[36:37]
.LBB380_41:                             ;   in Loop: Header=BB380_13 Depth=1
	s_or_b64 exec, exec, s[34:35]
.LBB380_42:                             ;   in Loop: Header=BB380_13 Depth=1
	s_or_b64 exec, exec, s[30:31]
	v_mul_f32_e32 v2, v12, v2
	v_and_b32_e32 v3, 0x7f800000, v2
	v_cmp_ne_u32_e64 s[8:9], s41, v3
                                        ; implicit-def: $agpr51
	s_and_saveexec_b64 s[30:31], s[8:9]
	s_xor_b64 s[8:9], exec, s[30:31]
; %bb.43:                               ;   in Loop: Header=BB380_13 Depth=1
	v_bfe_u32 v3, v2, 16, 1
	v_add3_u32 v0, v2, v3, s42
	v_accvgpr_write_b32 a51, v0
                                        ; implicit-def: $vgpr2
; %bb.44:                               ;   in Loop: Header=BB380_13 Depth=1
	s_andn2_saveexec_b64 s[30:31], s[8:9]
; %bb.45:                               ;   in Loop: Header=BB380_13 Depth=1
	v_or_b32_e32 v3, 0x10000, v2
	v_cmp_eq_u32_sdwa s[8:9], v2, v45 src0_sel:WORD_0 src1_sel:DWORD
	v_cndmask_b32_e64 v0, v3, v2, s[8:9]
	v_accvgpr_write_b32 a51, v0
; %bb.46:                               ;   in Loop: Header=BB380_13 Depth=1
	s_or_b64 exec, exec, s[30:31]
	v_cmp_lt_u32_e64 s[8:9], s43, v58
	v_mov_b32_e32 v2, 0
	s_and_saveexec_b64 s[30:31], s[8:9]
	s_cbranch_execz .LBB380_52
; %bb.47:                               ;   in Loop: Header=BB380_13 Depth=1
	v_lshrrev_b32_e32 v60, 24, v58
	v_cmp_ne_u32_e64 s[8:9], s39, v60
	v_bfrev_b32_e32 v2, 1
	s_and_saveexec_b64 s[34:35], s[8:9]
	s_cbranch_execz .LBB380_51
; %bb.48:                               ;   in Loop: Header=BB380_13 Depth=1
	v_bfe_u32 v3, v58, 24, 7
	v_cmp_ne_u32_e64 s[8:9], s40, v3
	v_mov_b32_e32 v2, 0x7f800001
	s_and_saveexec_b64 s[36:37], s[8:9]
	s_cbranch_execz .LBB380_50
; %bb.49:                               ;   in Loop: Header=BB380_13 Depth=1
	v_and_b32_e32 v2, 7, v60
	v_ffbh_u32_e32 v10, v2
	v_min_u32_e32 v10, 32, v10
	v_subrev_u32_e32 v13, 28, v10
	v_lshlrev_b64 v[20:21], v13, v[60:61]
	v_lshrrev_b32_e32 v5, 3, v3
	v_sub_u32_e32 v10, 29, v10
	v_and_b32_e32 v13, 7, v20
	v_cmp_gt_u32_e64 s[8:9], 8, v3
	v_cndmask_b32_e64 v3, v5, v10, s[8:9]
	v_cndmask_b32_e64 v2, v2, v13, s[8:9]
	v_lshlrev_b32_e32 v5, 24, v60
	v_bfrev_b32_e32 v0, 60
	v_lshlrev_b32_e32 v2, 20, v2
	v_and_b32_e32 v5, 0x80000000, v5
	v_lshl_add_u32 v3, v3, 23, v0
	v_or3_b32 v2, v5, v3, v2
.LBB380_50:                             ;   in Loop: Header=BB380_13 Depth=1
	s_or_b64 exec, exec, s[36:37]
.LBB380_51:                             ;   in Loop: Header=BB380_13 Depth=1
	s_or_b64 exec, exec, s[34:35]
.LBB380_52:                             ;   in Loop: Header=BB380_13 Depth=1
	s_or_b64 exec, exec, s[30:31]
	v_mul_f32_e32 v2, v12, v2
	v_and_b32_e32 v3, 0x7f800000, v2
	v_cmp_ne_u32_e64 s[8:9], s41, v3
                                        ; implicit-def: $agpr52
	s_and_saveexec_b64 s[30:31], s[8:9]
	s_xor_b64 s[8:9], exec, s[30:31]
; %bb.53:                               ;   in Loop: Header=BB380_13 Depth=1
	v_bfe_u32 v3, v2, 16, 1
	v_add3_u32 v0, v2, v3, s42
	v_accvgpr_write_b32 a52, v0
                                        ; implicit-def: $vgpr2
; %bb.54:                               ;   in Loop: Header=BB380_13 Depth=1
	s_andn2_saveexec_b64 s[30:31], s[8:9]
; %bb.55:                               ;   in Loop: Header=BB380_13 Depth=1
	v_or_b32_e32 v3, 0x10000, v2
	v_cmp_eq_u32_sdwa s[8:9], v2, v45 src0_sel:WORD_0 src1_sel:DWORD
	v_cndmask_b32_e64 v0, v3, v2, s[8:9]
	v_accvgpr_write_b32 a52, v0
; %bb.56:                               ;   in Loop: Header=BB380_13 Depth=1
	s_or_b64 exec, exec, s[30:31]
	flat_load_dword v58, v[56:57] offset:8
	v_mov_b32_e32 v2, 0
	s_waitcnt vmcnt(0) lgkmcnt(0)
	v_cmp_ne_u16_sdwa s[8:9], v58, v45 src0_sel:BYTE_0 src1_sel:DWORD
	s_and_saveexec_b64 s[30:31], s[8:9]
	s_cbranch_execz .LBB380_62
; %bb.57:                               ;   in Loop: Header=BB380_13 Depth=1
	v_cmp_ne_u16_sdwa s[8:9], v58, s39 src0_sel:BYTE_0 src1_sel:DWORD
	v_bfrev_b32_e32 v2, 1
	s_and_saveexec_b64 s[34:35], s[8:9]
	s_cbranch_execz .LBB380_61
; %bb.58:                               ;   in Loop: Header=BB380_13 Depth=1
	v_and_b32_e32 v3, 0x7f, v58
	v_cmp_ne_u32_e64 s[8:9], s40, v3
	v_mov_b32_e32 v2, 0x7f800001
	s_and_saveexec_b64 s[36:37], s[8:9]
	s_cbranch_execz .LBB380_60
; %bb.59:                               ;   in Loop: Header=BB380_13 Depth=1
	v_and_b32_e32 v5, 7, v58
	v_ffbh_u32_e32 v2, v5
	v_min_u32_e32 v13, 32, v2
	v_subrev_u32_e32 v2, 28, v13
	v_lshrrev_b32_e32 v10, 3, v3
	v_cmp_gt_u32_e64 s[8:9], 8, v3
	v_lshlrev_b64 v[2:3], v2, v[58:59]
	v_sub_u32_e32 v3, 29, v13
	v_and_b32_e32 v2, 7, v2
	v_cndmask_b32_e64 v3, v10, v3, s[8:9]
	v_cndmask_b32_e64 v2, v5, v2, s[8:9]
	v_lshlrev_b32_e32 v5, 24, v58
	v_bfrev_b32_e32 v0, 60
	v_lshlrev_b32_e32 v2, 20, v2
	v_and_b32_e32 v5, 0x80000000, v5
	v_lshl_add_u32 v3, v3, 23, v0
	v_or3_b32 v2, v5, v3, v2
.LBB380_60:                             ;   in Loop: Header=BB380_13 Depth=1
	s_or_b64 exec, exec, s[36:37]
.LBB380_61:                             ;   in Loop: Header=BB380_13 Depth=1
	s_or_b64 exec, exec, s[34:35]
.LBB380_62:                             ;   in Loop: Header=BB380_13 Depth=1
	s_or_b64 exec, exec, s[30:31]
	v_mul_f32_e32 v2, v12, v2
	v_and_b32_e32 v3, 0x7f800000, v2
	v_cmp_ne_u32_e64 s[8:9], s41, v3
                                        ; implicit-def: $agpr53
	s_and_saveexec_b64 s[30:31], s[8:9]
	s_xor_b64 s[8:9], exec, s[30:31]
; %bb.63:                               ;   in Loop: Header=BB380_13 Depth=1
	v_bfe_u32 v3, v2, 16, 1
	v_add3_u32 v0, v2, v3, s42
	v_accvgpr_write_b32 a53, v0
                                        ; implicit-def: $vgpr2
; %bb.64:                               ;   in Loop: Header=BB380_13 Depth=1
	s_andn2_saveexec_b64 s[30:31], s[8:9]
; %bb.65:                               ;   in Loop: Header=BB380_13 Depth=1
	v_or_b32_e32 v3, 0x10000, v2
	v_cmp_eq_u32_sdwa s[8:9], v2, v45 src0_sel:WORD_0 src1_sel:DWORD
	v_cndmask_b32_e64 v0, v3, v2, s[8:9]
	v_accvgpr_write_b32 a53, v0
; %bb.66:                               ;   in Loop: Header=BB380_13 Depth=1
	s_or_b64 exec, exec, s[30:31]
	v_lshrrev_b16_e32 v60, 8, v58
	v_cmp_ne_u16_e64 s[8:9], 0, v60
	v_mov_b32_e32 v2, 0
	s_and_saveexec_b64 s[30:31], s[8:9]
	s_cbranch_execz .LBB380_72
; %bb.67:                               ;   in Loop: Header=BB380_13 Depth=1
	v_cmp_ne_u16_e64 s[8:9], s39, v60
	v_bfrev_b32_e32 v2, 1
	s_and_saveexec_b64 s[34:35], s[8:9]
	s_cbranch_execz .LBB380_71
; %bb.68:                               ;   in Loop: Header=BB380_13 Depth=1
	v_and_b32_e32 v3, 0x7f, v60
	v_cmp_ne_u32_e64 s[8:9], s40, v3
	v_mov_b32_e32 v2, 0x7f800001
	s_and_saveexec_b64 s[36:37], s[8:9]
	s_cbranch_execz .LBB380_70
; %bb.69:                               ;   in Loop: Header=BB380_13 Depth=1
	v_and_b32_e32 v2, 7, v60
	v_ffbh_u32_e32 v10, v2
	v_min_u32_e32 v10, 32, v10
	v_subrev_u32_e32 v13, 28, v10
	v_lshlrev_b64 v[20:21], v13, v[60:61]
	v_lshrrev_b32_e32 v5, 3, v3
	v_sub_u32_e32 v10, 29, v10
	v_and_b32_e32 v13, 7, v20
	v_cmp_gt_u32_e64 s[8:9], 8, v3
	v_cndmask_b32_e64 v3, v5, v10, s[8:9]
	v_cndmask_b32_e64 v2, v2, v13, s[8:9]
	v_lshlrev_b32_e32 v5, 16, v58
	v_bfrev_b32_e32 v0, 60
	v_lshlrev_b32_e32 v2, 20, v2
	v_and_b32_e32 v5, 0x80000000, v5
	v_lshl_add_u32 v3, v3, 23, v0
	v_or3_b32 v2, v5, v3, v2
.LBB380_70:                             ;   in Loop: Header=BB380_13 Depth=1
	s_or_b64 exec, exec, s[36:37]
.LBB380_71:                             ;   in Loop: Header=BB380_13 Depth=1
	s_or_b64 exec, exec, s[34:35]
.LBB380_72:                             ;   in Loop: Header=BB380_13 Depth=1
	s_or_b64 exec, exec, s[30:31]
	v_mul_f32_e32 v2, v12, v2
	v_and_b32_e32 v3, 0x7f800000, v2
	v_cmp_ne_u32_e64 s[8:9], s41, v3
                                        ; implicit-def: $agpr54
	s_and_saveexec_b64 s[30:31], s[8:9]
	s_xor_b64 s[8:9], exec, s[30:31]
; %bb.73:                               ;   in Loop: Header=BB380_13 Depth=1
	v_bfe_u32 v3, v2, 16, 1
	v_add3_u32 v0, v2, v3, s42
	v_accvgpr_write_b32 a54, v0
                                        ; implicit-def: $vgpr2
; %bb.74:                               ;   in Loop: Header=BB380_13 Depth=1
	s_andn2_saveexec_b64 s[30:31], s[8:9]
; %bb.75:                               ;   in Loop: Header=BB380_13 Depth=1
	v_or_b32_e32 v3, 0x10000, v2
	v_cmp_eq_u32_sdwa s[8:9], v2, v45 src0_sel:WORD_0 src1_sel:DWORD
	v_cndmask_b32_e64 v0, v3, v2, s[8:9]
	v_accvgpr_write_b32 a54, v0
; %bb.76:                               ;   in Loop: Header=BB380_13 Depth=1
	s_or_b64 exec, exec, s[30:31]
	v_lshrrev_b32_e32 v60, 16, v58
	v_cmp_ne_u16_sdwa s[8:9], v60, v45 src0_sel:BYTE_0 src1_sel:DWORD
	v_mov_b32_e32 v2, 0
	s_and_saveexec_b64 s[30:31], s[8:9]
	s_cbranch_execz .LBB380_82
; %bb.77:                               ;   in Loop: Header=BB380_13 Depth=1
	v_cmp_ne_u16_sdwa s[8:9], v60, s39 src0_sel:BYTE_0 src1_sel:DWORD
	v_bfrev_b32_e32 v2, 1
	s_and_saveexec_b64 s[34:35], s[8:9]
	s_cbranch_execz .LBB380_81
; %bb.78:                               ;   in Loop: Header=BB380_13 Depth=1
	v_bfe_u32 v3, v58, 16, 7
	v_cmp_ne_u32_e64 s[8:9], s40, v3
	v_mov_b32_e32 v2, 0x7f800001
	s_and_saveexec_b64 s[36:37], s[8:9]
	s_cbranch_execz .LBB380_80
; %bb.79:                               ;   in Loop: Header=BB380_13 Depth=1
	v_and_b32_e32 v2, 7, v60
	v_ffbh_u32_e32 v10, v2
	v_min_u32_e32 v10, 32, v10
	v_subrev_u32_e32 v13, 28, v10
	v_lshlrev_b64 v[20:21], v13, v[60:61]
	v_lshrrev_b32_e32 v5, 3, v3
	v_sub_u32_e32 v10, 29, v10
	v_and_b32_e32 v13, 7, v20
	v_cmp_gt_u32_e64 s[8:9], 8, v3
	v_cndmask_b32_e64 v3, v5, v10, s[8:9]
	v_cndmask_b32_e64 v2, v2, v13, s[8:9]
	v_lshlrev_b32_e32 v5, 24, v60
	v_bfrev_b32_e32 v0, 60
	v_lshlrev_b32_e32 v2, 20, v2
	v_and_b32_e32 v5, 0x80000000, v5
	v_lshl_add_u32 v3, v3, 23, v0
	v_or3_b32 v2, v5, v3, v2
.LBB380_80:                             ;   in Loop: Header=BB380_13 Depth=1
	s_or_b64 exec, exec, s[36:37]
.LBB380_81:                             ;   in Loop: Header=BB380_13 Depth=1
	s_or_b64 exec, exec, s[34:35]
.LBB380_82:                             ;   in Loop: Header=BB380_13 Depth=1
	s_or_b64 exec, exec, s[30:31]
	v_mul_f32_e32 v2, v12, v2
	v_and_b32_e32 v3, 0x7f800000, v2
	v_cmp_ne_u32_e64 s[8:9], s41, v3
                                        ; implicit-def: $agpr55
	s_and_saveexec_b64 s[30:31], s[8:9]
	s_xor_b64 s[8:9], exec, s[30:31]
; %bb.83:                               ;   in Loop: Header=BB380_13 Depth=1
	v_bfe_u32 v3, v2, 16, 1
	v_add3_u32 v0, v2, v3, s42
	v_accvgpr_write_b32 a55, v0
                                        ; implicit-def: $vgpr2
; %bb.84:                               ;   in Loop: Header=BB380_13 Depth=1
	s_andn2_saveexec_b64 s[30:31], s[8:9]
; %bb.85:                               ;   in Loop: Header=BB380_13 Depth=1
	v_or_b32_e32 v3, 0x10000, v2
	v_cmp_eq_u32_sdwa s[8:9], v2, v45 src0_sel:WORD_0 src1_sel:DWORD
	v_cndmask_b32_e64 v0, v3, v2, s[8:9]
	v_accvgpr_write_b32 a55, v0
; %bb.86:                               ;   in Loop: Header=BB380_13 Depth=1
	s_or_b64 exec, exec, s[30:31]
	v_cmp_lt_u32_e64 s[8:9], s43, v58
	v_mov_b32_e32 v2, 0
	s_and_saveexec_b64 s[30:31], s[8:9]
	s_cbranch_execz .LBB380_92
; %bb.87:                               ;   in Loop: Header=BB380_13 Depth=1
	v_lshrrev_b32_e32 v60, 24, v58
	v_cmp_ne_u32_e64 s[8:9], s39, v60
	v_bfrev_b32_e32 v2, 1
	s_and_saveexec_b64 s[34:35], s[8:9]
	s_cbranch_execz .LBB380_91
; %bb.88:                               ;   in Loop: Header=BB380_13 Depth=1
	v_bfe_u32 v3, v58, 24, 7
	v_cmp_ne_u32_e64 s[8:9], s40, v3
	v_mov_b32_e32 v2, 0x7f800001
	s_and_saveexec_b64 s[36:37], s[8:9]
	s_cbranch_execz .LBB380_90
; %bb.89:                               ;   in Loop: Header=BB380_13 Depth=1
	v_and_b32_e32 v2, 7, v60
	v_ffbh_u32_e32 v10, v2
	v_min_u32_e32 v10, 32, v10
	v_subrev_u32_e32 v13, 28, v10
	v_lshlrev_b64 v[20:21], v13, v[60:61]
	v_lshrrev_b32_e32 v5, 3, v3
	v_sub_u32_e32 v10, 29, v10
	v_and_b32_e32 v13, 7, v20
	v_cmp_gt_u32_e64 s[8:9], 8, v3
	v_cndmask_b32_e64 v3, v5, v10, s[8:9]
	v_cndmask_b32_e64 v2, v2, v13, s[8:9]
	v_lshlrev_b32_e32 v5, 24, v60
	v_bfrev_b32_e32 v0, 60
	v_lshlrev_b32_e32 v2, 20, v2
	v_and_b32_e32 v5, 0x80000000, v5
	v_lshl_add_u32 v3, v3, 23, v0
	v_or3_b32 v2, v5, v3, v2
.LBB380_90:                             ;   in Loop: Header=BB380_13 Depth=1
	s_or_b64 exec, exec, s[36:37]
.LBB380_91:                             ;   in Loop: Header=BB380_13 Depth=1
	s_or_b64 exec, exec, s[34:35]
.LBB380_92:                             ;   in Loop: Header=BB380_13 Depth=1
	s_or_b64 exec, exec, s[30:31]
	v_mul_f32_e32 v2, v12, v2
	v_and_b32_e32 v3, 0x7f800000, v2
	v_cmp_ne_u32_e64 s[8:9], s41, v3
                                        ; implicit-def: $agpr56
	s_and_saveexec_b64 s[30:31], s[8:9]
	s_xor_b64 s[8:9], exec, s[30:31]
; %bb.93:                               ;   in Loop: Header=BB380_13 Depth=1
	v_bfe_u32 v3, v2, 16, 1
	v_add3_u32 v0, v2, v3, s42
	v_accvgpr_write_b32 a56, v0
                                        ; implicit-def: $vgpr2
; %bb.94:                               ;   in Loop: Header=BB380_13 Depth=1
	s_andn2_saveexec_b64 s[30:31], s[8:9]
; %bb.95:                               ;   in Loop: Header=BB380_13 Depth=1
	v_or_b32_e32 v3, 0x10000, v2
	v_cmp_eq_u32_sdwa s[8:9], v2, v45 src0_sel:WORD_0 src1_sel:DWORD
	v_cndmask_b32_e64 v0, v3, v2, s[8:9]
	v_accvgpr_write_b32 a56, v0
; %bb.96:                               ;   in Loop: Header=BB380_13 Depth=1
	s_or_b64 exec, exec, s[30:31]
	flat_load_dword v58, v[56:57] offset:512
	v_mov_b32_e32 v2, 0
	s_waitcnt vmcnt(0) lgkmcnt(0)
	v_cmp_ne_u16_sdwa s[8:9], v58, v45 src0_sel:BYTE_0 src1_sel:DWORD
	s_and_saveexec_b64 s[30:31], s[8:9]
	s_cbranch_execz .LBB380_102
; %bb.97:                               ;   in Loop: Header=BB380_13 Depth=1
	v_cmp_ne_u16_sdwa s[8:9], v58, s39 src0_sel:BYTE_0 src1_sel:DWORD
	v_bfrev_b32_e32 v2, 1
	s_and_saveexec_b64 s[34:35], s[8:9]
	s_cbranch_execz .LBB380_101
; %bb.98:                               ;   in Loop: Header=BB380_13 Depth=1
	v_and_b32_e32 v3, 0x7f, v58
	v_cmp_ne_u32_e64 s[8:9], s40, v3
	v_mov_b32_e32 v2, 0x7f800001
	s_and_saveexec_b64 s[36:37], s[8:9]
	s_cbranch_execz .LBB380_100
; %bb.99:                               ;   in Loop: Header=BB380_13 Depth=1
	v_and_b32_e32 v2, 7, v58
	v_ffbh_u32_e32 v10, v2
	v_min_u32_e32 v10, 32, v10
	v_subrev_u32_e32 v13, 28, v10
	v_lshlrev_b64 v[20:21], v13, v[58:59]
	v_lshrrev_b32_e32 v5, 3, v3
	v_sub_u32_e32 v10, 29, v10
	v_and_b32_e32 v13, 7, v20
	v_cmp_gt_u32_e64 s[8:9], 8, v3
	v_cndmask_b32_e64 v3, v5, v10, s[8:9]
	v_cndmask_b32_e64 v2, v2, v13, s[8:9]
	v_lshlrev_b32_e32 v5, 24, v58
	v_bfrev_b32_e32 v0, 60
	v_lshlrev_b32_e32 v2, 20, v2
	v_and_b32_e32 v5, 0x80000000, v5
	v_lshl_add_u32 v3, v3, 23, v0
	v_or3_b32 v2, v5, v3, v2
.LBB380_100:                            ;   in Loop: Header=BB380_13 Depth=1
	s_or_b64 exec, exec, s[36:37]
.LBB380_101:                            ;   in Loop: Header=BB380_13 Depth=1
	s_or_b64 exec, exec, s[34:35]
.LBB380_102:                            ;   in Loop: Header=BB380_13 Depth=1
	s_or_b64 exec, exec, s[30:31]
	v_mul_f32_e32 v2, v12, v2
	v_and_b32_e32 v3, 0x7f800000, v2
	v_cmp_ne_u32_e64 s[8:9], s41, v3
                                        ; implicit-def: $agpr57
	s_and_saveexec_b64 s[30:31], s[8:9]
	s_xor_b64 s[8:9], exec, s[30:31]
; %bb.103:                              ;   in Loop: Header=BB380_13 Depth=1
	v_bfe_u32 v3, v2, 16, 1
	v_add3_u32 v0, v2, v3, s42
	v_accvgpr_write_b32 a57, v0
                                        ; implicit-def: $vgpr2
; %bb.104:                              ;   in Loop: Header=BB380_13 Depth=1
	s_andn2_saveexec_b64 s[30:31], s[8:9]
; %bb.105:                              ;   in Loop: Header=BB380_13 Depth=1
	v_or_b32_e32 v3, 0x10000, v2
	v_cmp_eq_u32_sdwa s[8:9], v2, v45 src0_sel:WORD_0 src1_sel:DWORD
	v_cndmask_b32_e64 v0, v3, v2, s[8:9]
	v_accvgpr_write_b32 a57, v0
; %bb.106:                              ;   in Loop: Header=BB380_13 Depth=1
	s_or_b64 exec, exec, s[30:31]
	v_lshrrev_b16_e32 v60, 8, v58
	v_cmp_ne_u16_e64 s[8:9], 0, v60
	v_mov_b32_e32 v2, 0
	s_and_saveexec_b64 s[30:31], s[8:9]
	s_cbranch_execz .LBB380_112
; %bb.107:                              ;   in Loop: Header=BB380_13 Depth=1
	v_cmp_ne_u16_e64 s[8:9], s39, v60
	v_bfrev_b32_e32 v2, 1
	s_and_saveexec_b64 s[34:35], s[8:9]
	s_cbranch_execz .LBB380_111
; %bb.108:                              ;   in Loop: Header=BB380_13 Depth=1
	v_and_b32_e32 v3, 0x7f, v60
	v_cmp_ne_u32_e64 s[8:9], s40, v3
	v_mov_b32_e32 v2, 0x7f800001
	s_and_saveexec_b64 s[36:37], s[8:9]
	s_cbranch_execz .LBB380_110
; %bb.109:                              ;   in Loop: Header=BB380_13 Depth=1
	v_and_b32_e32 v2, 7, v60
	v_ffbh_u32_e32 v10, v2
	v_min_u32_e32 v10, 32, v10
	v_subrev_u32_e32 v13, 28, v10
	v_lshlrev_b64 v[20:21], v13, v[60:61]
	v_lshrrev_b32_e32 v5, 3, v3
	v_sub_u32_e32 v10, 29, v10
	v_and_b32_e32 v13, 7, v20
	v_cmp_gt_u32_e64 s[8:9], 8, v3
	v_cndmask_b32_e64 v3, v5, v10, s[8:9]
	v_cndmask_b32_e64 v2, v2, v13, s[8:9]
	v_lshlrev_b32_e32 v5, 16, v58
	v_bfrev_b32_e32 v0, 60
	v_lshlrev_b32_e32 v2, 20, v2
	v_and_b32_e32 v5, 0x80000000, v5
	v_lshl_add_u32 v3, v3, 23, v0
	v_or3_b32 v2, v5, v3, v2
.LBB380_110:                            ;   in Loop: Header=BB380_13 Depth=1
	s_or_b64 exec, exec, s[36:37]
.LBB380_111:                            ;   in Loop: Header=BB380_13 Depth=1
	s_or_b64 exec, exec, s[34:35]
.LBB380_112:                            ;   in Loop: Header=BB380_13 Depth=1
	s_or_b64 exec, exec, s[30:31]
	v_mul_f32_e32 v2, v12, v2
	v_and_b32_e32 v3, 0x7f800000, v2
	v_cmp_ne_u32_e64 s[8:9], s41, v3
                                        ; implicit-def: $agpr58
	s_and_saveexec_b64 s[30:31], s[8:9]
	s_xor_b64 s[8:9], exec, s[30:31]
; %bb.113:                              ;   in Loop: Header=BB380_13 Depth=1
	v_bfe_u32 v3, v2, 16, 1
	v_add3_u32 v0, v2, v3, s42
	v_accvgpr_write_b32 a58, v0
                                        ; implicit-def: $vgpr2
; %bb.114:                              ;   in Loop: Header=BB380_13 Depth=1
	s_andn2_saveexec_b64 s[30:31], s[8:9]
; %bb.115:                              ;   in Loop: Header=BB380_13 Depth=1
	v_or_b32_e32 v3, 0x10000, v2
	v_cmp_eq_u32_sdwa s[8:9], v2, v45 src0_sel:WORD_0 src1_sel:DWORD
	v_cndmask_b32_e64 v0, v3, v2, s[8:9]
	v_accvgpr_write_b32 a58, v0
; %bb.116:                              ;   in Loop: Header=BB380_13 Depth=1
	s_or_b64 exec, exec, s[30:31]
	v_lshrrev_b32_e32 v60, 16, v58
	v_cmp_ne_u16_sdwa s[8:9], v60, v45 src0_sel:BYTE_0 src1_sel:DWORD
	v_mov_b32_e32 v2, 0
	s_and_saveexec_b64 s[30:31], s[8:9]
	s_cbranch_execz .LBB380_122
; %bb.117:                              ;   in Loop: Header=BB380_13 Depth=1
	v_cmp_ne_u16_sdwa s[8:9], v60, s39 src0_sel:BYTE_0 src1_sel:DWORD
	v_bfrev_b32_e32 v2, 1
	s_and_saveexec_b64 s[34:35], s[8:9]
	s_cbranch_execz .LBB380_121
; %bb.118:                              ;   in Loop: Header=BB380_13 Depth=1
	v_bfe_u32 v3, v58, 16, 7
	v_cmp_ne_u32_e64 s[8:9], s40, v3
	v_mov_b32_e32 v2, 0x7f800001
	s_and_saveexec_b64 s[36:37], s[8:9]
	s_cbranch_execz .LBB380_120
; %bb.119:                              ;   in Loop: Header=BB380_13 Depth=1
	v_and_b32_e32 v2, 7, v60
	v_ffbh_u32_e32 v10, v2
	v_min_u32_e32 v10, 32, v10
	v_subrev_u32_e32 v13, 28, v10
	v_lshlrev_b64 v[20:21], v13, v[60:61]
	v_lshrrev_b32_e32 v5, 3, v3
	v_sub_u32_e32 v10, 29, v10
	v_and_b32_e32 v13, 7, v20
	v_cmp_gt_u32_e64 s[8:9], 8, v3
	v_cndmask_b32_e64 v3, v5, v10, s[8:9]
	v_cndmask_b32_e64 v2, v2, v13, s[8:9]
	v_lshlrev_b32_e32 v5, 24, v60
	v_bfrev_b32_e32 v0, 60
	v_lshlrev_b32_e32 v2, 20, v2
	v_and_b32_e32 v5, 0x80000000, v5
	v_lshl_add_u32 v3, v3, 23, v0
	v_or3_b32 v2, v5, v3, v2
.LBB380_120:                            ;   in Loop: Header=BB380_13 Depth=1
	s_or_b64 exec, exec, s[36:37]
.LBB380_121:                            ;   in Loop: Header=BB380_13 Depth=1
	s_or_b64 exec, exec, s[34:35]
.LBB380_122:                            ;   in Loop: Header=BB380_13 Depth=1
	s_or_b64 exec, exec, s[30:31]
	v_mul_f32_e32 v2, v12, v2
	v_and_b32_e32 v3, 0x7f800000, v2
	v_cmp_ne_u32_e64 s[8:9], s41, v3
                                        ; implicit-def: $agpr59
	s_and_saveexec_b64 s[30:31], s[8:9]
	s_xor_b64 s[8:9], exec, s[30:31]
; %bb.123:                              ;   in Loop: Header=BB380_13 Depth=1
	v_bfe_u32 v3, v2, 16, 1
	v_add3_u32 v0, v2, v3, s42
	v_accvgpr_write_b32 a59, v0
                                        ; implicit-def: $vgpr2
; %bb.124:                              ;   in Loop: Header=BB380_13 Depth=1
	s_andn2_saveexec_b64 s[30:31], s[8:9]
; %bb.125:                              ;   in Loop: Header=BB380_13 Depth=1
	v_or_b32_e32 v3, 0x10000, v2
	v_cmp_eq_u32_sdwa s[8:9], v2, v45 src0_sel:WORD_0 src1_sel:DWORD
	v_cndmask_b32_e64 v0, v3, v2, s[8:9]
	v_accvgpr_write_b32 a59, v0
; %bb.126:                              ;   in Loop: Header=BB380_13 Depth=1
	s_or_b64 exec, exec, s[30:31]
	v_cmp_lt_u32_e64 s[8:9], s43, v58
	v_mov_b32_e32 v2, 0
	s_and_saveexec_b64 s[30:31], s[8:9]
	s_cbranch_execz .LBB380_132
; %bb.127:                              ;   in Loop: Header=BB380_13 Depth=1
	v_lshrrev_b32_e32 v60, 24, v58
	v_cmp_ne_u32_e64 s[8:9], s39, v60
	v_bfrev_b32_e32 v2, 1
	s_and_saveexec_b64 s[34:35], s[8:9]
	s_cbranch_execz .LBB380_131
; %bb.128:                              ;   in Loop: Header=BB380_13 Depth=1
	v_bfe_u32 v3, v58, 24, 7
	v_cmp_ne_u32_e64 s[8:9], s40, v3
	v_mov_b32_e32 v2, 0x7f800001
	s_and_saveexec_b64 s[36:37], s[8:9]
	s_cbranch_execz .LBB380_130
; %bb.129:                              ;   in Loop: Header=BB380_13 Depth=1
	v_and_b32_e32 v2, 7, v60
	v_ffbh_u32_e32 v10, v2
	v_min_u32_e32 v10, 32, v10
	v_subrev_u32_e32 v13, 28, v10
	v_lshlrev_b64 v[20:21], v13, v[60:61]
	v_lshrrev_b32_e32 v5, 3, v3
	v_sub_u32_e32 v10, 29, v10
	v_and_b32_e32 v13, 7, v20
	v_cmp_gt_u32_e64 s[8:9], 8, v3
	v_cndmask_b32_e64 v3, v5, v10, s[8:9]
	v_cndmask_b32_e64 v2, v2, v13, s[8:9]
	v_lshlrev_b32_e32 v5, 24, v60
	v_bfrev_b32_e32 v0, 60
	v_lshlrev_b32_e32 v2, 20, v2
	v_and_b32_e32 v5, 0x80000000, v5
	v_lshl_add_u32 v3, v3, 23, v0
	v_or3_b32 v2, v5, v3, v2
.LBB380_130:                            ;   in Loop: Header=BB380_13 Depth=1
	s_or_b64 exec, exec, s[36:37]
.LBB380_131:                            ;   in Loop: Header=BB380_13 Depth=1
	s_or_b64 exec, exec, s[34:35]
.LBB380_132:                            ;   in Loop: Header=BB380_13 Depth=1
	s_or_b64 exec, exec, s[30:31]
	v_mul_f32_e32 v2, v12, v2
	v_and_b32_e32 v3, 0x7f800000, v2
	v_cmp_ne_u32_e64 s[8:9], s41, v3
                                        ; implicit-def: $agpr60
	s_and_saveexec_b64 s[30:31], s[8:9]
	s_xor_b64 s[8:9], exec, s[30:31]
; %bb.133:                              ;   in Loop: Header=BB380_13 Depth=1
	v_bfe_u32 v3, v2, 16, 1
	v_add3_u32 v0, v2, v3, s42
	v_accvgpr_write_b32 a60, v0
                                        ; implicit-def: $vgpr2
; %bb.134:                              ;   in Loop: Header=BB380_13 Depth=1
	s_andn2_saveexec_b64 s[30:31], s[8:9]
; %bb.135:                              ;   in Loop: Header=BB380_13 Depth=1
	v_or_b32_e32 v3, 0x10000, v2
	v_cmp_eq_u32_sdwa s[8:9], v2, v45 src0_sel:WORD_0 src1_sel:DWORD
	v_cndmask_b32_e64 v0, v3, v2, s[8:9]
	v_accvgpr_write_b32 a60, v0
; %bb.136:                              ;   in Loop: Header=BB380_13 Depth=1
	s_or_b64 exec, exec, s[30:31]
	flat_load_dword v58, v[56:57] offset:520
	v_mov_b32_e32 v2, 0
	s_waitcnt vmcnt(0) lgkmcnt(0)
	v_cmp_ne_u16_sdwa s[8:9], v58, v45 src0_sel:BYTE_0 src1_sel:DWORD
	s_and_saveexec_b64 s[30:31], s[8:9]
	s_cbranch_execz .LBB380_142
; %bb.137:                              ;   in Loop: Header=BB380_13 Depth=1
	v_cmp_ne_u16_sdwa s[8:9], v58, s39 src0_sel:BYTE_0 src1_sel:DWORD
	v_bfrev_b32_e32 v2, 1
	s_and_saveexec_b64 s[34:35], s[8:9]
	s_cbranch_execz .LBB380_141
; %bb.138:                              ;   in Loop: Header=BB380_13 Depth=1
	v_and_b32_e32 v3, 0x7f, v58
	v_cmp_ne_u32_e64 s[8:9], s40, v3
	v_mov_b32_e32 v2, 0x7f800001
	s_and_saveexec_b64 s[36:37], s[8:9]
	s_cbranch_execz .LBB380_140
; %bb.139:                              ;   in Loop: Header=BB380_13 Depth=1
	v_and_b32_e32 v2, 7, v58
	v_ffbh_u32_e32 v10, v2
	v_min_u32_e32 v10, 32, v10
	v_subrev_u32_e32 v13, 28, v10
	v_lshlrev_b64 v[20:21], v13, v[58:59]
	v_lshrrev_b32_e32 v5, 3, v3
	v_sub_u32_e32 v10, 29, v10
	v_and_b32_e32 v13, 7, v20
	v_cmp_gt_u32_e64 s[8:9], 8, v3
	v_cndmask_b32_e64 v3, v5, v10, s[8:9]
	v_cndmask_b32_e64 v2, v2, v13, s[8:9]
	v_lshlrev_b32_e32 v5, 24, v58
	v_bfrev_b32_e32 v0, 60
	v_lshlrev_b32_e32 v2, 20, v2
	v_and_b32_e32 v5, 0x80000000, v5
	v_lshl_add_u32 v3, v3, 23, v0
	v_or3_b32 v2, v5, v3, v2
.LBB380_140:                            ;   in Loop: Header=BB380_13 Depth=1
	s_or_b64 exec, exec, s[36:37]
.LBB380_141:                            ;   in Loop: Header=BB380_13 Depth=1
	s_or_b64 exec, exec, s[34:35]
.LBB380_142:                            ;   in Loop: Header=BB380_13 Depth=1
	s_or_b64 exec, exec, s[30:31]
	v_mul_f32_e32 v2, v12, v2
	v_and_b32_e32 v3, 0x7f800000, v2
	v_cmp_ne_u32_e64 s[8:9], s41, v3
                                        ; implicit-def: $agpr61
	s_and_saveexec_b64 s[30:31], s[8:9]
	s_xor_b64 s[8:9], exec, s[30:31]
; %bb.143:                              ;   in Loop: Header=BB380_13 Depth=1
	v_bfe_u32 v3, v2, 16, 1
	v_add3_u32 v0, v2, v3, s42
	v_accvgpr_write_b32 a61, v0
                                        ; implicit-def: $vgpr2
; %bb.144:                              ;   in Loop: Header=BB380_13 Depth=1
	s_andn2_saveexec_b64 s[30:31], s[8:9]
; %bb.145:                              ;   in Loop: Header=BB380_13 Depth=1
	v_or_b32_e32 v3, 0x10000, v2
	v_cmp_eq_u32_sdwa s[8:9], v2, v45 src0_sel:WORD_0 src1_sel:DWORD
	v_cndmask_b32_e64 v0, v3, v2, s[8:9]
	v_accvgpr_write_b32 a61, v0
; %bb.146:                              ;   in Loop: Header=BB380_13 Depth=1
	s_or_b64 exec, exec, s[30:31]
	v_lshrrev_b16_e32 v60, 8, v58
	v_cmp_ne_u16_e64 s[8:9], 0, v60
	v_mov_b32_e32 v2, 0
	s_and_saveexec_b64 s[30:31], s[8:9]
	s_cbranch_execz .LBB380_152
; %bb.147:                              ;   in Loop: Header=BB380_13 Depth=1
	v_cmp_ne_u16_e64 s[8:9], s39, v60
	v_bfrev_b32_e32 v2, 1
	s_and_saveexec_b64 s[34:35], s[8:9]
	s_cbranch_execz .LBB380_151
; %bb.148:                              ;   in Loop: Header=BB380_13 Depth=1
	v_and_b32_e32 v3, 0x7f, v60
	v_cmp_ne_u32_e64 s[8:9], s40, v3
	v_mov_b32_e32 v2, 0x7f800001
	s_and_saveexec_b64 s[36:37], s[8:9]
	s_cbranch_execz .LBB380_150
; %bb.149:                              ;   in Loop: Header=BB380_13 Depth=1
	v_and_b32_e32 v2, 7, v60
	v_ffbh_u32_e32 v10, v2
	v_min_u32_e32 v10, 32, v10
	v_subrev_u32_e32 v13, 28, v10
	v_lshlrev_b64 v[20:21], v13, v[60:61]
	v_lshrrev_b32_e32 v5, 3, v3
	v_sub_u32_e32 v10, 29, v10
	v_and_b32_e32 v13, 7, v20
	v_cmp_gt_u32_e64 s[8:9], 8, v3
	v_cndmask_b32_e64 v3, v5, v10, s[8:9]
	v_cndmask_b32_e64 v2, v2, v13, s[8:9]
	v_lshlrev_b32_e32 v5, 16, v58
	v_bfrev_b32_e32 v0, 60
	v_lshlrev_b32_e32 v2, 20, v2
	v_and_b32_e32 v5, 0x80000000, v5
	v_lshl_add_u32 v3, v3, 23, v0
	v_or3_b32 v2, v5, v3, v2
.LBB380_150:                            ;   in Loop: Header=BB380_13 Depth=1
	s_or_b64 exec, exec, s[36:37]
.LBB380_151:                            ;   in Loop: Header=BB380_13 Depth=1
	s_or_b64 exec, exec, s[34:35]
.LBB380_152:                            ;   in Loop: Header=BB380_13 Depth=1
	s_or_b64 exec, exec, s[30:31]
	v_mul_f32_e32 v2, v12, v2
	v_and_b32_e32 v3, 0x7f800000, v2
	v_cmp_ne_u32_e64 s[8:9], s41, v3
                                        ; implicit-def: $agpr62
	s_and_saveexec_b64 s[30:31], s[8:9]
	s_xor_b64 s[8:9], exec, s[30:31]
; %bb.153:                              ;   in Loop: Header=BB380_13 Depth=1
	v_bfe_u32 v3, v2, 16, 1
	v_add3_u32 v0, v2, v3, s42
	v_accvgpr_write_b32 a62, v0
                                        ; implicit-def: $vgpr2
; %bb.154:                              ;   in Loop: Header=BB380_13 Depth=1
	s_andn2_saveexec_b64 s[30:31], s[8:9]
; %bb.155:                              ;   in Loop: Header=BB380_13 Depth=1
	v_or_b32_e32 v3, 0x10000, v2
	v_cmp_eq_u32_sdwa s[8:9], v2, v45 src0_sel:WORD_0 src1_sel:DWORD
	v_cndmask_b32_e64 v0, v3, v2, s[8:9]
	v_accvgpr_write_b32 a62, v0
; %bb.156:                              ;   in Loop: Header=BB380_13 Depth=1
	s_or_b64 exec, exec, s[30:31]
	v_lshrrev_b32_e32 v60, 16, v58
	v_cmp_ne_u16_sdwa s[8:9], v60, v45 src0_sel:BYTE_0 src1_sel:DWORD
	v_mov_b32_e32 v2, 0
	s_and_saveexec_b64 s[30:31], s[8:9]
	s_cbranch_execz .LBB380_162
; %bb.157:                              ;   in Loop: Header=BB380_13 Depth=1
	v_cmp_ne_u16_sdwa s[8:9], v60, s39 src0_sel:BYTE_0 src1_sel:DWORD
	v_bfrev_b32_e32 v2, 1
	s_and_saveexec_b64 s[34:35], s[8:9]
	s_cbranch_execz .LBB380_161
; %bb.158:                              ;   in Loop: Header=BB380_13 Depth=1
	v_bfe_u32 v3, v58, 16, 7
	v_cmp_ne_u32_e64 s[8:9], s40, v3
	v_mov_b32_e32 v2, 0x7f800001
	s_and_saveexec_b64 s[36:37], s[8:9]
	s_cbranch_execz .LBB380_160
; %bb.159:                              ;   in Loop: Header=BB380_13 Depth=1
	v_and_b32_e32 v2, 7, v60
	v_ffbh_u32_e32 v10, v2
	v_min_u32_e32 v10, 32, v10
	v_subrev_u32_e32 v13, 28, v10
	v_lshlrev_b64 v[20:21], v13, v[60:61]
	v_lshrrev_b32_e32 v5, 3, v3
	v_sub_u32_e32 v10, 29, v10
	v_and_b32_e32 v13, 7, v20
	v_cmp_gt_u32_e64 s[8:9], 8, v3
	v_cndmask_b32_e64 v3, v5, v10, s[8:9]
	v_cndmask_b32_e64 v2, v2, v13, s[8:9]
	v_lshlrev_b32_e32 v5, 24, v60
	v_bfrev_b32_e32 v0, 60
	v_lshlrev_b32_e32 v2, 20, v2
	v_and_b32_e32 v5, 0x80000000, v5
	v_lshl_add_u32 v3, v3, 23, v0
	v_or3_b32 v2, v5, v3, v2
.LBB380_160:                            ;   in Loop: Header=BB380_13 Depth=1
	s_or_b64 exec, exec, s[36:37]
.LBB380_161:                            ;   in Loop: Header=BB380_13 Depth=1
	s_or_b64 exec, exec, s[34:35]
.LBB380_162:                            ;   in Loop: Header=BB380_13 Depth=1
	s_or_b64 exec, exec, s[30:31]
	v_mul_f32_e32 v2, v12, v2
	v_and_b32_e32 v3, 0x7f800000, v2
	v_cmp_ne_u32_e64 s[8:9], s41, v3
                                        ; implicit-def: $agpr63
	s_and_saveexec_b64 s[30:31], s[8:9]
	s_xor_b64 s[8:9], exec, s[30:31]
; %bb.163:                              ;   in Loop: Header=BB380_13 Depth=1
	v_bfe_u32 v3, v2, 16, 1
	v_add3_u32 v0, v2, v3, s42
	v_accvgpr_write_b32 a63, v0
                                        ; implicit-def: $vgpr2
; %bb.164:                              ;   in Loop: Header=BB380_13 Depth=1
	s_andn2_saveexec_b64 s[30:31], s[8:9]
; %bb.165:                              ;   in Loop: Header=BB380_13 Depth=1
	v_or_b32_e32 v3, 0x10000, v2
	v_cmp_eq_u32_sdwa s[8:9], v2, v45 src0_sel:WORD_0 src1_sel:DWORD
	v_cndmask_b32_e64 v0, v3, v2, s[8:9]
	v_accvgpr_write_b32 a63, v0
; %bb.166:                              ;   in Loop: Header=BB380_13 Depth=1
	s_or_b64 exec, exec, s[30:31]
	v_cmp_lt_u32_e64 s[8:9], s43, v58
	v_mov_b32_e32 v2, 0
	s_and_saveexec_b64 s[30:31], s[8:9]
	s_cbranch_execz .LBB380_172
; %bb.167:                              ;   in Loop: Header=BB380_13 Depth=1
	v_lshrrev_b32_e32 v60, 24, v58
	v_cmp_ne_u32_e64 s[8:9], s39, v60
	v_bfrev_b32_e32 v2, 1
	s_and_saveexec_b64 s[34:35], s[8:9]
	s_cbranch_execz .LBB380_171
; %bb.168:                              ;   in Loop: Header=BB380_13 Depth=1
	v_bfe_u32 v3, v58, 24, 7
	v_cmp_ne_u32_e64 s[8:9], s40, v3
	v_mov_b32_e32 v2, 0x7f800001
	s_and_saveexec_b64 s[36:37], s[8:9]
	s_cbranch_execz .LBB380_170
; %bb.169:                              ;   in Loop: Header=BB380_13 Depth=1
	v_and_b32_e32 v2, 7, v60
	v_ffbh_u32_e32 v10, v2
	v_min_u32_e32 v10, 32, v10
	v_subrev_u32_e32 v13, 28, v10
	v_lshlrev_b64 v[20:21], v13, v[60:61]
	v_lshrrev_b32_e32 v5, 3, v3
	v_sub_u32_e32 v10, 29, v10
	v_and_b32_e32 v13, 7, v20
	v_cmp_gt_u32_e64 s[8:9], 8, v3
	v_cndmask_b32_e64 v3, v5, v10, s[8:9]
	v_cndmask_b32_e64 v2, v2, v13, s[8:9]
	v_lshlrev_b32_e32 v5, 24, v60
	v_bfrev_b32_e32 v0, 60
	v_lshlrev_b32_e32 v2, 20, v2
	v_and_b32_e32 v5, 0x80000000, v5
	v_lshl_add_u32 v3, v3, 23, v0
	v_or3_b32 v2, v5, v3, v2
.LBB380_170:                            ;   in Loop: Header=BB380_13 Depth=1
	s_or_b64 exec, exec, s[36:37]
.LBB380_171:                            ;   in Loop: Header=BB380_13 Depth=1
	s_or_b64 exec, exec, s[34:35]
.LBB380_172:                            ;   in Loop: Header=BB380_13 Depth=1
	s_or_b64 exec, exec, s[30:31]
	v_mul_f32_e32 v2, v12, v2
	v_and_b32_e32 v3, 0x7f800000, v2
	v_cmp_ne_u32_e64 s[8:9], s41, v3
                                        ; implicit-def: $agpr27
	s_and_saveexec_b64 s[30:31], s[8:9]
	s_xor_b64 s[8:9], exec, s[30:31]
; %bb.173:                              ;   in Loop: Header=BB380_13 Depth=1
	v_bfe_u32 v3, v2, 16, 1
	v_add3_u32 v0, v2, v3, s42
	v_accvgpr_write_b32 a27, v0
                                        ; implicit-def: $vgpr2
; %bb.174:                              ;   in Loop: Header=BB380_13 Depth=1
	s_andn2_saveexec_b64 s[30:31], s[8:9]
; %bb.175:                              ;   in Loop: Header=BB380_13 Depth=1
	v_or_b32_e32 v3, 0x10000, v2
	v_cmp_eq_u32_sdwa s[8:9], v2, v45 src0_sel:WORD_0 src1_sel:DWORD
	v_cndmask_b32_e64 v0, v3, v2, s[8:9]
	v_accvgpr_write_b32 a27, v0
; %bb.176:                              ;   in Loop: Header=BB380_13 Depth=1
	s_or_b64 exec, exec, s[30:31]
	flat_load_dword v58, v[56:57] offset:1024
	v_mov_b32_e32 v2, 0
	s_waitcnt vmcnt(0) lgkmcnt(0)
	v_cmp_ne_u16_sdwa s[8:9], v58, v45 src0_sel:BYTE_0 src1_sel:DWORD
	s_and_saveexec_b64 s[30:31], s[8:9]
	s_cbranch_execz .LBB380_182
; %bb.177:                              ;   in Loop: Header=BB380_13 Depth=1
	v_cmp_ne_u16_sdwa s[8:9], v58, s39 src0_sel:BYTE_0 src1_sel:DWORD
	v_bfrev_b32_e32 v2, 1
	s_and_saveexec_b64 s[34:35], s[8:9]
	s_cbranch_execz .LBB380_181
; %bb.178:                              ;   in Loop: Header=BB380_13 Depth=1
	v_and_b32_e32 v3, 0x7f, v58
	v_cmp_ne_u32_e64 s[8:9], s40, v3
	v_mov_b32_e32 v2, 0x7f800001
	s_and_saveexec_b64 s[36:37], s[8:9]
	s_cbranch_execz .LBB380_180
; %bb.179:                              ;   in Loop: Header=BB380_13 Depth=1
	v_and_b32_e32 v2, 7, v58
	v_ffbh_u32_e32 v10, v2
	v_min_u32_e32 v10, 32, v10
	v_subrev_u32_e32 v13, 28, v10
	v_lshlrev_b64 v[20:21], v13, v[58:59]
	v_lshrrev_b32_e32 v5, 3, v3
	v_sub_u32_e32 v10, 29, v10
	v_and_b32_e32 v13, 7, v20
	v_cmp_gt_u32_e64 s[8:9], 8, v3
	v_cndmask_b32_e64 v3, v5, v10, s[8:9]
	v_cndmask_b32_e64 v2, v2, v13, s[8:9]
	v_lshlrev_b32_e32 v5, 24, v58
	v_bfrev_b32_e32 v0, 60
	v_lshlrev_b32_e32 v2, 20, v2
	v_and_b32_e32 v5, 0x80000000, v5
	v_lshl_add_u32 v3, v3, 23, v0
	v_or3_b32 v2, v5, v3, v2
.LBB380_180:                            ;   in Loop: Header=BB380_13 Depth=1
	s_or_b64 exec, exec, s[36:37]
.LBB380_181:                            ;   in Loop: Header=BB380_13 Depth=1
	s_or_b64 exec, exec, s[34:35]
.LBB380_182:                            ;   in Loop: Header=BB380_13 Depth=1
	s_or_b64 exec, exec, s[30:31]
	v_mul_f32_e32 v2, v12, v2
	v_and_b32_e32 v3, 0x7f800000, v2
	v_cmp_ne_u32_e64 s[8:9], s41, v3
                                        ; implicit-def: $agpr25
	s_and_saveexec_b64 s[30:31], s[8:9]
	s_xor_b64 s[8:9], exec, s[30:31]
; %bb.183:                              ;   in Loop: Header=BB380_13 Depth=1
	v_bfe_u32 v3, v2, 16, 1
	v_add3_u32 v0, v2, v3, s42
	v_accvgpr_write_b32 a25, v0
                                        ; implicit-def: $vgpr2
; %bb.184:                              ;   in Loop: Header=BB380_13 Depth=1
	s_andn2_saveexec_b64 s[30:31], s[8:9]
; %bb.185:                              ;   in Loop: Header=BB380_13 Depth=1
	v_or_b32_e32 v3, 0x10000, v2
	v_cmp_eq_u32_sdwa s[8:9], v2, v45 src0_sel:WORD_0 src1_sel:DWORD
	v_cndmask_b32_e64 v0, v3, v2, s[8:9]
	v_accvgpr_write_b32 a25, v0
; %bb.186:                              ;   in Loop: Header=BB380_13 Depth=1
	s_or_b64 exec, exec, s[30:31]
	v_lshrrev_b16_e32 v60, 8, v58
	v_cmp_ne_u16_e64 s[8:9], 0, v60
	v_mov_b32_e32 v2, 0
	s_and_saveexec_b64 s[30:31], s[8:9]
	s_cbranch_execz .LBB380_192
; %bb.187:                              ;   in Loop: Header=BB380_13 Depth=1
	v_cmp_ne_u16_e64 s[8:9], s39, v60
	v_bfrev_b32_e32 v2, 1
	s_and_saveexec_b64 s[34:35], s[8:9]
	s_cbranch_execz .LBB380_191
; %bb.188:                              ;   in Loop: Header=BB380_13 Depth=1
	v_and_b32_e32 v3, 0x7f, v60
	v_cmp_ne_u32_e64 s[8:9], s40, v3
	v_mov_b32_e32 v2, 0x7f800001
	s_and_saveexec_b64 s[36:37], s[8:9]
	s_cbranch_execz .LBB380_190
; %bb.189:                              ;   in Loop: Header=BB380_13 Depth=1
	v_and_b32_e32 v2, 7, v60
	v_ffbh_u32_e32 v10, v2
	v_min_u32_e32 v10, 32, v10
	v_subrev_u32_e32 v13, 28, v10
	v_lshlrev_b64 v[20:21], v13, v[60:61]
	v_lshrrev_b32_e32 v5, 3, v3
	v_sub_u32_e32 v10, 29, v10
	v_and_b32_e32 v13, 7, v20
	v_cmp_gt_u32_e64 s[8:9], 8, v3
	v_cndmask_b32_e64 v3, v5, v10, s[8:9]
	v_cndmask_b32_e64 v2, v2, v13, s[8:9]
	v_lshlrev_b32_e32 v5, 16, v58
	v_bfrev_b32_e32 v0, 60
	v_lshlrev_b32_e32 v2, 20, v2
	v_and_b32_e32 v5, 0x80000000, v5
	v_lshl_add_u32 v3, v3, 23, v0
	v_or3_b32 v2, v5, v3, v2
.LBB380_190:                            ;   in Loop: Header=BB380_13 Depth=1
	s_or_b64 exec, exec, s[36:37]
.LBB380_191:                            ;   in Loop: Header=BB380_13 Depth=1
	s_or_b64 exec, exec, s[34:35]
.LBB380_192:                            ;   in Loop: Header=BB380_13 Depth=1
	s_or_b64 exec, exec, s[30:31]
	v_mul_f32_e32 v2, v12, v2
	v_and_b32_e32 v3, 0x7f800000, v2
	v_cmp_ne_u32_e64 s[8:9], s41, v3
                                        ; implicit-def: $agpr30
	s_and_saveexec_b64 s[30:31], s[8:9]
	s_xor_b64 s[8:9], exec, s[30:31]
; %bb.193:                              ;   in Loop: Header=BB380_13 Depth=1
	v_bfe_u32 v3, v2, 16, 1
	v_add3_u32 v0, v2, v3, s42
	v_accvgpr_write_b32 a30, v0
                                        ; implicit-def: $vgpr2
; %bb.194:                              ;   in Loop: Header=BB380_13 Depth=1
	s_andn2_saveexec_b64 s[30:31], s[8:9]
; %bb.195:                              ;   in Loop: Header=BB380_13 Depth=1
	v_or_b32_e32 v3, 0x10000, v2
	v_cmp_eq_u32_sdwa s[8:9], v2, v45 src0_sel:WORD_0 src1_sel:DWORD
	v_cndmask_b32_e64 v0, v3, v2, s[8:9]
	v_accvgpr_write_b32 a30, v0
; %bb.196:                              ;   in Loop: Header=BB380_13 Depth=1
	s_or_b64 exec, exec, s[30:31]
	v_lshrrev_b32_e32 v60, 16, v58
	v_cmp_ne_u16_sdwa s[8:9], v60, v45 src0_sel:BYTE_0 src1_sel:DWORD
	v_mov_b32_e32 v2, 0
	s_and_saveexec_b64 s[30:31], s[8:9]
	s_cbranch_execz .LBB380_202
; %bb.197:                              ;   in Loop: Header=BB380_13 Depth=1
	v_cmp_ne_u16_sdwa s[8:9], v60, s39 src0_sel:BYTE_0 src1_sel:DWORD
	v_bfrev_b32_e32 v2, 1
	s_and_saveexec_b64 s[34:35], s[8:9]
	s_cbranch_execz .LBB380_201
; %bb.198:                              ;   in Loop: Header=BB380_13 Depth=1
	v_bfe_u32 v3, v58, 16, 7
	v_cmp_ne_u32_e64 s[8:9], s40, v3
	v_mov_b32_e32 v2, 0x7f800001
	s_and_saveexec_b64 s[36:37], s[8:9]
	s_cbranch_execz .LBB380_200
; %bb.199:                              ;   in Loop: Header=BB380_13 Depth=1
	v_and_b32_e32 v2, 7, v60
	v_ffbh_u32_e32 v10, v2
	v_min_u32_e32 v10, 32, v10
	v_subrev_u32_e32 v13, 28, v10
	v_lshlrev_b64 v[20:21], v13, v[60:61]
	v_lshrrev_b32_e32 v5, 3, v3
	v_sub_u32_e32 v10, 29, v10
	v_and_b32_e32 v13, 7, v20
	v_cmp_gt_u32_e64 s[8:9], 8, v3
	v_cndmask_b32_e64 v3, v5, v10, s[8:9]
	v_cndmask_b32_e64 v2, v2, v13, s[8:9]
	v_lshlrev_b32_e32 v5, 24, v60
	v_bfrev_b32_e32 v0, 60
	v_lshlrev_b32_e32 v2, 20, v2
	v_and_b32_e32 v5, 0x80000000, v5
	v_lshl_add_u32 v3, v3, 23, v0
	v_or3_b32 v2, v5, v3, v2
.LBB380_200:                            ;   in Loop: Header=BB380_13 Depth=1
	s_or_b64 exec, exec, s[36:37]
.LBB380_201:                            ;   in Loop: Header=BB380_13 Depth=1
	s_or_b64 exec, exec, s[34:35]
.LBB380_202:                            ;   in Loop: Header=BB380_13 Depth=1
	s_or_b64 exec, exec, s[30:31]
	v_mul_f32_e32 v2, v12, v2
	v_and_b32_e32 v3, 0x7f800000, v2
	v_cmp_ne_u32_e64 s[8:9], s41, v3
                                        ; implicit-def: $agpr31
	s_and_saveexec_b64 s[30:31], s[8:9]
	s_xor_b64 s[8:9], exec, s[30:31]
; %bb.203:                              ;   in Loop: Header=BB380_13 Depth=1
	v_bfe_u32 v3, v2, 16, 1
	v_add3_u32 v0, v2, v3, s42
	v_accvgpr_write_b32 a31, v0
                                        ; implicit-def: $vgpr2
; %bb.204:                              ;   in Loop: Header=BB380_13 Depth=1
	s_andn2_saveexec_b64 s[30:31], s[8:9]
; %bb.205:                              ;   in Loop: Header=BB380_13 Depth=1
	v_or_b32_e32 v3, 0x10000, v2
	v_cmp_eq_u32_sdwa s[8:9], v2, v45 src0_sel:WORD_0 src1_sel:DWORD
	v_cndmask_b32_e64 v0, v3, v2, s[8:9]
	v_accvgpr_write_b32 a31, v0
; %bb.206:                              ;   in Loop: Header=BB380_13 Depth=1
	s_or_b64 exec, exec, s[30:31]
	v_cmp_lt_u32_e64 s[8:9], s43, v58
	v_mov_b32_e32 v2, 0
	s_and_saveexec_b64 s[30:31], s[8:9]
	s_cbranch_execz .LBB380_212
; %bb.207:                              ;   in Loop: Header=BB380_13 Depth=1
	v_lshrrev_b32_e32 v60, 24, v58
	v_cmp_ne_u32_e64 s[8:9], s39, v60
	v_bfrev_b32_e32 v2, 1
	s_and_saveexec_b64 s[34:35], s[8:9]
	s_cbranch_execz .LBB380_211
; %bb.208:                              ;   in Loop: Header=BB380_13 Depth=1
	v_bfe_u32 v3, v58, 24, 7
	v_cmp_ne_u32_e64 s[8:9], s40, v3
	v_mov_b32_e32 v2, 0x7f800001
	s_and_saveexec_b64 s[36:37], s[8:9]
	s_cbranch_execz .LBB380_210
; %bb.209:                              ;   in Loop: Header=BB380_13 Depth=1
	v_and_b32_e32 v2, 7, v60
	v_ffbh_u32_e32 v10, v2
	v_min_u32_e32 v10, 32, v10
	v_subrev_u32_e32 v13, 28, v10
	v_lshlrev_b64 v[20:21], v13, v[60:61]
	v_lshrrev_b32_e32 v5, 3, v3
	v_sub_u32_e32 v10, 29, v10
	v_and_b32_e32 v13, 7, v20
	v_cmp_gt_u32_e64 s[8:9], 8, v3
	v_cndmask_b32_e64 v3, v5, v10, s[8:9]
	v_cndmask_b32_e64 v2, v2, v13, s[8:9]
	v_lshlrev_b32_e32 v5, 24, v60
	v_bfrev_b32_e32 v0, 60
	v_lshlrev_b32_e32 v2, 20, v2
	v_and_b32_e32 v5, 0x80000000, v5
	v_lshl_add_u32 v3, v3, 23, v0
	v_or3_b32 v2, v5, v3, v2
.LBB380_210:                            ;   in Loop: Header=BB380_13 Depth=1
	s_or_b64 exec, exec, s[36:37]
.LBB380_211:                            ;   in Loop: Header=BB380_13 Depth=1
	s_or_b64 exec, exec, s[34:35]
.LBB380_212:                            ;   in Loop: Header=BB380_13 Depth=1
	s_or_b64 exec, exec, s[30:31]
	v_mul_f32_e32 v2, v12, v2
	v_and_b32_e32 v3, 0x7f800000, v2
	v_cmp_ne_u32_e64 s[8:9], s41, v3
                                        ; implicit-def: $agpr32
	s_and_saveexec_b64 s[30:31], s[8:9]
	s_xor_b64 s[8:9], exec, s[30:31]
; %bb.213:                              ;   in Loop: Header=BB380_13 Depth=1
	v_bfe_u32 v3, v2, 16, 1
	v_add3_u32 v0, v2, v3, s42
	v_accvgpr_write_b32 a32, v0
                                        ; implicit-def: $vgpr2
; %bb.214:                              ;   in Loop: Header=BB380_13 Depth=1
	s_andn2_saveexec_b64 s[30:31], s[8:9]
; %bb.215:                              ;   in Loop: Header=BB380_13 Depth=1
	v_or_b32_e32 v3, 0x10000, v2
	v_cmp_eq_u32_sdwa s[8:9], v2, v45 src0_sel:WORD_0 src1_sel:DWORD
	v_cndmask_b32_e64 v0, v3, v2, s[8:9]
	v_accvgpr_write_b32 a32, v0
; %bb.216:                              ;   in Loop: Header=BB380_13 Depth=1
	s_or_b64 exec, exec, s[30:31]
	flat_load_dword v58, v[56:57] offset:1032
	v_mov_b32_e32 v2, 0
	s_waitcnt vmcnt(0) lgkmcnt(0)
	v_cmp_ne_u16_sdwa s[8:9], v58, v45 src0_sel:BYTE_0 src1_sel:DWORD
	s_and_saveexec_b64 s[30:31], s[8:9]
	s_cbranch_execz .LBB380_222
; %bb.217:                              ;   in Loop: Header=BB380_13 Depth=1
	v_cmp_ne_u16_sdwa s[8:9], v58, s39 src0_sel:BYTE_0 src1_sel:DWORD
	v_bfrev_b32_e32 v2, 1
	s_and_saveexec_b64 s[34:35], s[8:9]
	s_cbranch_execz .LBB380_221
; %bb.218:                              ;   in Loop: Header=BB380_13 Depth=1
	v_and_b32_e32 v3, 0x7f, v58
	v_cmp_ne_u32_e64 s[8:9], s40, v3
	v_mov_b32_e32 v2, 0x7f800001
	s_and_saveexec_b64 s[36:37], s[8:9]
	s_cbranch_execz .LBB380_220
; %bb.219:                              ;   in Loop: Header=BB380_13 Depth=1
	v_and_b32_e32 v2, 7, v58
	v_ffbh_u32_e32 v10, v2
	v_min_u32_e32 v10, 32, v10
	v_subrev_u32_e32 v13, 28, v10
	v_lshlrev_b64 v[20:21], v13, v[58:59]
	v_lshrrev_b32_e32 v5, 3, v3
	v_sub_u32_e32 v10, 29, v10
	v_and_b32_e32 v13, 7, v20
	v_cmp_gt_u32_e64 s[8:9], 8, v3
	v_cndmask_b32_e64 v3, v5, v10, s[8:9]
	v_cndmask_b32_e64 v2, v2, v13, s[8:9]
	v_lshlrev_b32_e32 v5, 24, v58
	v_bfrev_b32_e32 v0, 60
	v_lshlrev_b32_e32 v2, 20, v2
	v_and_b32_e32 v5, 0x80000000, v5
	v_lshl_add_u32 v3, v3, 23, v0
	v_or3_b32 v2, v5, v3, v2
.LBB380_220:                            ;   in Loop: Header=BB380_13 Depth=1
	s_or_b64 exec, exec, s[36:37]
.LBB380_221:                            ;   in Loop: Header=BB380_13 Depth=1
	s_or_b64 exec, exec, s[34:35]
.LBB380_222:                            ;   in Loop: Header=BB380_13 Depth=1
	s_or_b64 exec, exec, s[30:31]
	v_mul_f32_e32 v2, v12, v2
	v_and_b32_e32 v3, 0x7f800000, v2
	v_cmp_ne_u32_e64 s[8:9], s41, v3
                                        ; implicit-def: $agpr28
	s_and_saveexec_b64 s[30:31], s[8:9]
	s_xor_b64 s[8:9], exec, s[30:31]
; %bb.223:                              ;   in Loop: Header=BB380_13 Depth=1
	v_bfe_u32 v3, v2, 16, 1
	v_add3_u32 v0, v2, v3, s42
	v_accvgpr_write_b32 a28, v0
                                        ; implicit-def: $vgpr2
; %bb.224:                              ;   in Loop: Header=BB380_13 Depth=1
	s_andn2_saveexec_b64 s[30:31], s[8:9]
; %bb.225:                              ;   in Loop: Header=BB380_13 Depth=1
	v_or_b32_e32 v3, 0x10000, v2
	v_cmp_eq_u32_sdwa s[8:9], v2, v45 src0_sel:WORD_0 src1_sel:DWORD
	v_cndmask_b32_e64 v0, v3, v2, s[8:9]
	v_accvgpr_write_b32 a28, v0
; %bb.226:                              ;   in Loop: Header=BB380_13 Depth=1
	s_or_b64 exec, exec, s[30:31]
	v_lshrrev_b16_e32 v60, 8, v58
	v_cmp_ne_u16_e64 s[8:9], 0, v60
	v_mov_b32_e32 v2, 0
	s_and_saveexec_b64 s[30:31], s[8:9]
	s_cbranch_execz .LBB380_232
; %bb.227:                              ;   in Loop: Header=BB380_13 Depth=1
	v_cmp_ne_u16_e64 s[8:9], s39, v60
	v_bfrev_b32_e32 v2, 1
	s_and_saveexec_b64 s[34:35], s[8:9]
	s_cbranch_execz .LBB380_231
; %bb.228:                              ;   in Loop: Header=BB380_13 Depth=1
	v_and_b32_e32 v3, 0x7f, v60
	v_cmp_ne_u32_e64 s[8:9], s40, v3
	v_mov_b32_e32 v2, 0x7f800001
	s_and_saveexec_b64 s[36:37], s[8:9]
	s_cbranch_execz .LBB380_230
; %bb.229:                              ;   in Loop: Header=BB380_13 Depth=1
	v_and_b32_e32 v2, 7, v60
	v_ffbh_u32_e32 v10, v2
	v_min_u32_e32 v10, 32, v10
	v_subrev_u32_e32 v13, 28, v10
	v_lshlrev_b64 v[20:21], v13, v[60:61]
	v_lshrrev_b32_e32 v5, 3, v3
	v_sub_u32_e32 v10, 29, v10
	v_and_b32_e32 v13, 7, v20
	v_cmp_gt_u32_e64 s[8:9], 8, v3
	v_cndmask_b32_e64 v3, v5, v10, s[8:9]
	v_cndmask_b32_e64 v2, v2, v13, s[8:9]
	v_lshlrev_b32_e32 v5, 16, v58
	v_bfrev_b32_e32 v0, 60
	v_lshlrev_b32_e32 v2, 20, v2
	v_and_b32_e32 v5, 0x80000000, v5
	v_lshl_add_u32 v3, v3, 23, v0
	v_or3_b32 v2, v5, v3, v2
.LBB380_230:                            ;   in Loop: Header=BB380_13 Depth=1
	s_or_b64 exec, exec, s[36:37]
.LBB380_231:                            ;   in Loop: Header=BB380_13 Depth=1
	s_or_b64 exec, exec, s[34:35]
.LBB380_232:                            ;   in Loop: Header=BB380_13 Depth=1
	s_or_b64 exec, exec, s[30:31]
	v_mul_f32_e32 v2, v12, v2
	v_and_b32_e32 v3, 0x7f800000, v2
	v_cmp_ne_u32_e64 s[8:9], s41, v3
                                        ; implicit-def: $agpr29
	s_and_saveexec_b64 s[30:31], s[8:9]
	s_xor_b64 s[8:9], exec, s[30:31]
; %bb.233:                              ;   in Loop: Header=BB380_13 Depth=1
	v_bfe_u32 v3, v2, 16, 1
	v_add3_u32 v0, v2, v3, s42
	v_accvgpr_write_b32 a29, v0
                                        ; implicit-def: $vgpr2
; %bb.234:                              ;   in Loop: Header=BB380_13 Depth=1
	s_andn2_saveexec_b64 s[30:31], s[8:9]
; %bb.235:                              ;   in Loop: Header=BB380_13 Depth=1
	v_or_b32_e32 v3, 0x10000, v2
	v_cmp_eq_u32_sdwa s[8:9], v2, v45 src0_sel:WORD_0 src1_sel:DWORD
	v_cndmask_b32_e64 v0, v3, v2, s[8:9]
	v_accvgpr_write_b32 a29, v0
; %bb.236:                              ;   in Loop: Header=BB380_13 Depth=1
	s_or_b64 exec, exec, s[30:31]
	v_lshrrev_b32_e32 v60, 16, v58
	v_cmp_ne_u16_sdwa s[8:9], v60, v45 src0_sel:BYTE_0 src1_sel:DWORD
	v_mov_b32_e32 v2, 0
	s_and_saveexec_b64 s[30:31], s[8:9]
	s_cbranch_execz .LBB380_242
; %bb.237:                              ;   in Loop: Header=BB380_13 Depth=1
	v_cmp_ne_u16_sdwa s[8:9], v60, s39 src0_sel:BYTE_0 src1_sel:DWORD
	v_bfrev_b32_e32 v2, 1
	s_and_saveexec_b64 s[34:35], s[8:9]
	s_cbranch_execz .LBB380_241
; %bb.238:                              ;   in Loop: Header=BB380_13 Depth=1
	v_bfe_u32 v3, v58, 16, 7
	v_cmp_ne_u32_e64 s[8:9], s40, v3
	v_mov_b32_e32 v2, 0x7f800001
	s_and_saveexec_b64 s[36:37], s[8:9]
	s_cbranch_execz .LBB380_240
; %bb.239:                              ;   in Loop: Header=BB380_13 Depth=1
	v_and_b32_e32 v2, 7, v60
	v_ffbh_u32_e32 v10, v2
	v_min_u32_e32 v10, 32, v10
	v_subrev_u32_e32 v13, 28, v10
	v_lshlrev_b64 v[20:21], v13, v[60:61]
	v_lshrrev_b32_e32 v5, 3, v3
	v_sub_u32_e32 v10, 29, v10
	v_and_b32_e32 v13, 7, v20
	v_cmp_gt_u32_e64 s[8:9], 8, v3
	v_cndmask_b32_e64 v3, v5, v10, s[8:9]
	v_cndmask_b32_e64 v2, v2, v13, s[8:9]
	v_lshlrev_b32_e32 v5, 24, v60
	v_bfrev_b32_e32 v0, 60
	v_lshlrev_b32_e32 v2, 20, v2
	v_and_b32_e32 v5, 0x80000000, v5
	v_lshl_add_u32 v3, v3, 23, v0
	v_or3_b32 v2, v5, v3, v2
.LBB380_240:                            ;   in Loop: Header=BB380_13 Depth=1
	s_or_b64 exec, exec, s[36:37]
.LBB380_241:                            ;   in Loop: Header=BB380_13 Depth=1
	s_or_b64 exec, exec, s[34:35]
.LBB380_242:                            ;   in Loop: Header=BB380_13 Depth=1
	s_or_b64 exec, exec, s[30:31]
	v_mul_f32_e32 v2, v12, v2
	v_and_b32_e32 v3, 0x7f800000, v2
	v_cmp_ne_u32_e64 s[8:9], s41, v3
                                        ; implicit-def: $agpr26
	s_and_saveexec_b64 s[30:31], s[8:9]
	s_xor_b64 s[8:9], exec, s[30:31]
; %bb.243:                              ;   in Loop: Header=BB380_13 Depth=1
	v_bfe_u32 v3, v2, 16, 1
	v_add3_u32 v0, v2, v3, s42
	v_accvgpr_write_b32 a26, v0
                                        ; implicit-def: $vgpr2
; %bb.244:                              ;   in Loop: Header=BB380_13 Depth=1
	s_andn2_saveexec_b64 s[30:31], s[8:9]
; %bb.245:                              ;   in Loop: Header=BB380_13 Depth=1
	v_or_b32_e32 v3, 0x10000, v2
	v_cmp_eq_u32_sdwa s[8:9], v2, v45 src0_sel:WORD_0 src1_sel:DWORD
	v_cndmask_b32_e64 v0, v3, v2, s[8:9]
	v_accvgpr_write_b32 a26, v0
; %bb.246:                              ;   in Loop: Header=BB380_13 Depth=1
	s_or_b64 exec, exec, s[30:31]
	v_cmp_lt_u32_e64 s[8:9], s43, v58
	v_mov_b32_e32 v2, 0
	s_and_saveexec_b64 s[30:31], s[8:9]
	s_cbranch_execz .LBB380_252
; %bb.247:                              ;   in Loop: Header=BB380_13 Depth=1
	v_lshrrev_b32_e32 v60, 24, v58
	v_cmp_ne_u32_e64 s[8:9], s39, v60
	v_bfrev_b32_e32 v2, 1
	s_and_saveexec_b64 s[34:35], s[8:9]
	s_cbranch_execz .LBB380_251
; %bb.248:                              ;   in Loop: Header=BB380_13 Depth=1
	v_bfe_u32 v3, v58, 24, 7
	v_cmp_ne_u32_e64 s[8:9], s40, v3
	v_mov_b32_e32 v2, 0x7f800001
	s_and_saveexec_b64 s[36:37], s[8:9]
	s_cbranch_execz .LBB380_250
; %bb.249:                              ;   in Loop: Header=BB380_13 Depth=1
	v_and_b32_e32 v2, 7, v60
	v_ffbh_u32_e32 v10, v2
	v_min_u32_e32 v10, 32, v10
	v_subrev_u32_e32 v13, 28, v10
	v_lshlrev_b64 v[20:21], v13, v[60:61]
	v_lshrrev_b32_e32 v5, 3, v3
	v_sub_u32_e32 v10, 29, v10
	v_and_b32_e32 v13, 7, v20
	v_cmp_gt_u32_e64 s[8:9], 8, v3
	v_cndmask_b32_e64 v3, v5, v10, s[8:9]
	v_cndmask_b32_e64 v2, v2, v13, s[8:9]
	v_lshlrev_b32_e32 v5, 24, v60
	v_bfrev_b32_e32 v0, 60
	v_lshlrev_b32_e32 v2, 20, v2
	v_and_b32_e32 v5, 0x80000000, v5
	v_lshl_add_u32 v3, v3, 23, v0
	v_or3_b32 v2, v5, v3, v2
.LBB380_250:                            ;   in Loop: Header=BB380_13 Depth=1
	s_or_b64 exec, exec, s[36:37]
.LBB380_251:                            ;   in Loop: Header=BB380_13 Depth=1
	s_or_b64 exec, exec, s[34:35]
.LBB380_252:                            ;   in Loop: Header=BB380_13 Depth=1
	s_or_b64 exec, exec, s[30:31]
	v_mul_f32_e32 v2, v12, v2
	v_and_b32_e32 v3, 0x7f800000, v2
	v_cmp_ne_u32_e64 s[8:9], s41, v3
                                        ; implicit-def: $agpr36
	s_and_saveexec_b64 s[30:31], s[8:9]
	s_xor_b64 s[8:9], exec, s[30:31]
; %bb.253:                              ;   in Loop: Header=BB380_13 Depth=1
	v_bfe_u32 v3, v2, 16, 1
	v_add3_u32 v0, v2, v3, s42
	v_accvgpr_write_b32 a36, v0
                                        ; implicit-def: $vgpr2
; %bb.254:                              ;   in Loop: Header=BB380_13 Depth=1
	s_andn2_saveexec_b64 s[30:31], s[8:9]
; %bb.255:                              ;   in Loop: Header=BB380_13 Depth=1
	v_or_b32_e32 v3, 0x10000, v2
	v_cmp_eq_u32_sdwa s[8:9], v2, v45 src0_sel:WORD_0 src1_sel:DWORD
	v_cndmask_b32_e64 v0, v3, v2, s[8:9]
	v_accvgpr_write_b32 a36, v0
; %bb.256:                              ;   in Loop: Header=BB380_13 Depth=1
	s_or_b64 exec, exec, s[30:31]
	flat_load_dword v58, v[56:57] offset:1536
	v_mov_b32_e32 v2, 0
	s_waitcnt vmcnt(0) lgkmcnt(0)
	v_cmp_ne_u16_sdwa s[8:9], v58, v45 src0_sel:BYTE_0 src1_sel:DWORD
	s_and_saveexec_b64 s[30:31], s[8:9]
	s_cbranch_execz .LBB380_262
; %bb.257:                              ;   in Loop: Header=BB380_13 Depth=1
	v_cmp_ne_u16_sdwa s[8:9], v58, s39 src0_sel:BYTE_0 src1_sel:DWORD
	v_bfrev_b32_e32 v2, 1
	s_and_saveexec_b64 s[34:35], s[8:9]
	s_cbranch_execz .LBB380_261
; %bb.258:                              ;   in Loop: Header=BB380_13 Depth=1
	v_and_b32_e32 v3, 0x7f, v58
	v_cmp_ne_u32_e64 s[8:9], s40, v3
	v_mov_b32_e32 v2, 0x7f800001
	s_and_saveexec_b64 s[36:37], s[8:9]
	s_cbranch_execz .LBB380_260
; %bb.259:                              ;   in Loop: Header=BB380_13 Depth=1
	v_and_b32_e32 v2, 7, v58
	v_ffbh_u32_e32 v10, v2
	v_min_u32_e32 v10, 32, v10
	v_subrev_u32_e32 v13, 28, v10
	v_lshlrev_b64 v[20:21], v13, v[58:59]
	v_lshrrev_b32_e32 v5, 3, v3
	v_sub_u32_e32 v10, 29, v10
	v_and_b32_e32 v13, 7, v20
	v_cmp_gt_u32_e64 s[8:9], 8, v3
	v_cndmask_b32_e64 v3, v5, v10, s[8:9]
	v_cndmask_b32_e64 v2, v2, v13, s[8:9]
	v_lshlrev_b32_e32 v5, 24, v58
	v_bfrev_b32_e32 v0, 60
	v_lshlrev_b32_e32 v2, 20, v2
	v_and_b32_e32 v5, 0x80000000, v5
	v_lshl_add_u32 v3, v3, 23, v0
	v_or3_b32 v2, v5, v3, v2
.LBB380_260:                            ;   in Loop: Header=BB380_13 Depth=1
	s_or_b64 exec, exec, s[36:37]
.LBB380_261:                            ;   in Loop: Header=BB380_13 Depth=1
	s_or_b64 exec, exec, s[34:35]
.LBB380_262:                            ;   in Loop: Header=BB380_13 Depth=1
	s_or_b64 exec, exec, s[30:31]
	v_mul_f32_e32 v2, v12, v2
	v_and_b32_e32 v3, 0x7f800000, v2
	v_cmp_ne_u32_e64 s[8:9], s41, v3
                                        ; implicit-def: $agpr2
	s_and_saveexec_b64 s[30:31], s[8:9]
	s_xor_b64 s[8:9], exec, s[30:31]
; %bb.263:                              ;   in Loop: Header=BB380_13 Depth=1
	v_bfe_u32 v3, v2, 16, 1
	v_add3_u32 v0, v2, v3, s42
	v_accvgpr_write_b32 a2, v0
                                        ; implicit-def: $vgpr2
; %bb.264:                              ;   in Loop: Header=BB380_13 Depth=1
	s_andn2_saveexec_b64 s[30:31], s[8:9]
; %bb.265:                              ;   in Loop: Header=BB380_13 Depth=1
	v_or_b32_e32 v3, 0x10000, v2
	v_cmp_eq_u32_sdwa s[8:9], v2, v45 src0_sel:WORD_0 src1_sel:DWORD
	v_cndmask_b32_e64 v0, v3, v2, s[8:9]
	v_accvgpr_write_b32 a2, v0
; %bb.266:                              ;   in Loop: Header=BB380_13 Depth=1
	s_or_b64 exec, exec, s[30:31]
	v_lshrrev_b16_e32 v60, 8, v58
	v_cmp_ne_u16_e64 s[8:9], 0, v60
	v_mov_b32_e32 v2, 0
	s_and_saveexec_b64 s[30:31], s[8:9]
	s_cbranch_execz .LBB380_272
; %bb.267:                              ;   in Loop: Header=BB380_13 Depth=1
	v_cmp_ne_u16_e64 s[8:9], s39, v60
	v_bfrev_b32_e32 v2, 1
	s_and_saveexec_b64 s[34:35], s[8:9]
	s_cbranch_execz .LBB380_271
; %bb.268:                              ;   in Loop: Header=BB380_13 Depth=1
	v_and_b32_e32 v3, 0x7f, v60
	v_cmp_ne_u32_e64 s[8:9], s40, v3
	v_mov_b32_e32 v2, 0x7f800001
	s_and_saveexec_b64 s[36:37], s[8:9]
	s_cbranch_execz .LBB380_270
; %bb.269:                              ;   in Loop: Header=BB380_13 Depth=1
	v_and_b32_e32 v2, 7, v60
	v_ffbh_u32_e32 v10, v2
	v_min_u32_e32 v10, 32, v10
	v_subrev_u32_e32 v13, 28, v10
	v_lshlrev_b64 v[20:21], v13, v[60:61]
	v_lshrrev_b32_e32 v5, 3, v3
	v_sub_u32_e32 v10, 29, v10
	v_and_b32_e32 v13, 7, v20
	v_cmp_gt_u32_e64 s[8:9], 8, v3
	v_cndmask_b32_e64 v3, v5, v10, s[8:9]
	v_cndmask_b32_e64 v2, v2, v13, s[8:9]
	v_lshlrev_b32_e32 v5, 16, v58
	v_bfrev_b32_e32 v0, 60
	v_lshlrev_b32_e32 v2, 20, v2
	v_and_b32_e32 v5, 0x80000000, v5
	v_lshl_add_u32 v3, v3, 23, v0
	v_or3_b32 v2, v5, v3, v2
.LBB380_270:                            ;   in Loop: Header=BB380_13 Depth=1
	s_or_b64 exec, exec, s[36:37]
.LBB380_271:                            ;   in Loop: Header=BB380_13 Depth=1
	s_or_b64 exec, exec, s[34:35]
.LBB380_272:                            ;   in Loop: Header=BB380_13 Depth=1
	s_or_b64 exec, exec, s[30:31]
	v_mul_f32_e32 v2, v12, v2
	v_and_b32_e32 v3, 0x7f800000, v2
	v_cmp_ne_u32_e64 s[8:9], s41, v3
                                        ; implicit-def: $agpr15
	s_and_saveexec_b64 s[30:31], s[8:9]
	s_xor_b64 s[8:9], exec, s[30:31]
; %bb.273:                              ;   in Loop: Header=BB380_13 Depth=1
	v_bfe_u32 v3, v2, 16, 1
	v_add3_u32 v0, v2, v3, s42
	v_accvgpr_write_b32 a15, v0
                                        ; implicit-def: $vgpr2
; %bb.274:                              ;   in Loop: Header=BB380_13 Depth=1
	s_andn2_saveexec_b64 s[30:31], s[8:9]
; %bb.275:                              ;   in Loop: Header=BB380_13 Depth=1
	v_or_b32_e32 v3, 0x10000, v2
	v_cmp_eq_u32_sdwa s[8:9], v2, v45 src0_sel:WORD_0 src1_sel:DWORD
	v_cndmask_b32_e64 v0, v3, v2, s[8:9]
	v_accvgpr_write_b32 a15, v0
; %bb.276:                              ;   in Loop: Header=BB380_13 Depth=1
	s_or_b64 exec, exec, s[30:31]
	v_lshrrev_b32_e32 v60, 16, v58
	v_cmp_ne_u16_sdwa s[8:9], v60, v45 src0_sel:BYTE_0 src1_sel:DWORD
	v_mov_b32_e32 v2, 0
	s_and_saveexec_b64 s[30:31], s[8:9]
	s_cbranch_execz .LBB380_282
; %bb.277:                              ;   in Loop: Header=BB380_13 Depth=1
	v_cmp_ne_u16_sdwa s[8:9], v60, s39 src0_sel:BYTE_0 src1_sel:DWORD
	v_bfrev_b32_e32 v2, 1
	s_and_saveexec_b64 s[34:35], s[8:9]
	s_cbranch_execz .LBB380_281
; %bb.278:                              ;   in Loop: Header=BB380_13 Depth=1
	v_bfe_u32 v3, v58, 16, 7
	v_cmp_ne_u32_e64 s[8:9], s40, v3
	v_mov_b32_e32 v2, 0x7f800001
	s_and_saveexec_b64 s[36:37], s[8:9]
	s_cbranch_execz .LBB380_280
; %bb.279:                              ;   in Loop: Header=BB380_13 Depth=1
	v_and_b32_e32 v2, 7, v60
	v_ffbh_u32_e32 v10, v2
	v_min_u32_e32 v10, 32, v10
	v_subrev_u32_e32 v13, 28, v10
	v_lshlrev_b64 v[20:21], v13, v[60:61]
	v_lshrrev_b32_e32 v5, 3, v3
	v_sub_u32_e32 v10, 29, v10
	v_and_b32_e32 v13, 7, v20
	v_cmp_gt_u32_e64 s[8:9], 8, v3
	v_cndmask_b32_e64 v3, v5, v10, s[8:9]
	v_cndmask_b32_e64 v2, v2, v13, s[8:9]
	v_lshlrev_b32_e32 v5, 24, v60
	v_bfrev_b32_e32 v0, 60
	v_lshlrev_b32_e32 v2, 20, v2
	v_and_b32_e32 v5, 0x80000000, v5
	v_lshl_add_u32 v3, v3, 23, v0
	v_or3_b32 v2, v5, v3, v2
.LBB380_280:                            ;   in Loop: Header=BB380_13 Depth=1
	s_or_b64 exec, exec, s[36:37]
.LBB380_281:                            ;   in Loop: Header=BB380_13 Depth=1
	s_or_b64 exec, exec, s[34:35]
.LBB380_282:                            ;   in Loop: Header=BB380_13 Depth=1
	s_or_b64 exec, exec, s[30:31]
	v_mul_f32_e32 v2, v12, v2
	v_and_b32_e32 v3, 0x7f800000, v2
	v_cmp_ne_u32_e64 s[8:9], s41, v3
                                        ; implicit-def: $agpr0
	s_and_saveexec_b64 s[30:31], s[8:9]
	s_xor_b64 s[8:9], exec, s[30:31]
; %bb.283:                              ;   in Loop: Header=BB380_13 Depth=1
	v_bfe_u32 v3, v2, 16, 1
	v_add3_u32 v0, v2, v3, s42
	v_accvgpr_write_b32 a0, v0
                                        ; implicit-def: $vgpr2
; %bb.284:                              ;   in Loop: Header=BB380_13 Depth=1
	s_andn2_saveexec_b64 s[30:31], s[8:9]
; %bb.285:                              ;   in Loop: Header=BB380_13 Depth=1
	v_or_b32_e32 v3, 0x10000, v2
	v_cmp_eq_u32_sdwa s[8:9], v2, v45 src0_sel:WORD_0 src1_sel:DWORD
	v_cndmask_b32_e64 v0, v3, v2, s[8:9]
	v_accvgpr_write_b32 a0, v0
; %bb.286:                              ;   in Loop: Header=BB380_13 Depth=1
	s_or_b64 exec, exec, s[30:31]
	v_cmp_lt_u32_e64 s[8:9], s43, v58
	v_mov_b32_e32 v2, 0
	s_and_saveexec_b64 s[30:31], s[8:9]
	s_cbranch_execz .LBB380_292
; %bb.287:                              ;   in Loop: Header=BB380_13 Depth=1
	v_lshrrev_b32_e32 v60, 24, v58
	v_cmp_ne_u32_e64 s[8:9], s39, v60
	v_bfrev_b32_e32 v2, 1
	s_and_saveexec_b64 s[34:35], s[8:9]
	s_cbranch_execz .LBB380_291
; %bb.288:                              ;   in Loop: Header=BB380_13 Depth=1
	v_bfe_u32 v3, v58, 24, 7
	v_cmp_ne_u32_e64 s[8:9], s40, v3
	v_mov_b32_e32 v2, 0x7f800001
	s_and_saveexec_b64 s[36:37], s[8:9]
	s_cbranch_execz .LBB380_290
; %bb.289:                              ;   in Loop: Header=BB380_13 Depth=1
	v_and_b32_e32 v2, 7, v60
	v_ffbh_u32_e32 v10, v2
	v_min_u32_e32 v10, 32, v10
	v_subrev_u32_e32 v13, 28, v10
	v_lshlrev_b64 v[20:21], v13, v[60:61]
	v_lshrrev_b32_e32 v5, 3, v3
	v_sub_u32_e32 v10, 29, v10
	v_and_b32_e32 v13, 7, v20
	v_cmp_gt_u32_e64 s[8:9], 8, v3
	v_cndmask_b32_e64 v3, v5, v10, s[8:9]
	v_cndmask_b32_e64 v2, v2, v13, s[8:9]
	v_lshlrev_b32_e32 v5, 24, v60
	v_bfrev_b32_e32 v0, 60
	v_lshlrev_b32_e32 v2, 20, v2
	v_and_b32_e32 v5, 0x80000000, v5
	v_lshl_add_u32 v3, v3, 23, v0
	v_or3_b32 v2, v5, v3, v2
.LBB380_290:                            ;   in Loop: Header=BB380_13 Depth=1
	s_or_b64 exec, exec, s[36:37]
.LBB380_291:                            ;   in Loop: Header=BB380_13 Depth=1
	s_or_b64 exec, exec, s[34:35]
.LBB380_292:                            ;   in Loop: Header=BB380_13 Depth=1
	s_or_b64 exec, exec, s[30:31]
	v_mul_f32_e32 v2, v12, v2
	v_and_b32_e32 v3, 0x7f800000, v2
	v_cmp_ne_u32_e64 s[8:9], s41, v3
                                        ; implicit-def: $agpr1
	s_and_saveexec_b64 s[30:31], s[8:9]
	s_xor_b64 s[8:9], exec, s[30:31]
; %bb.293:                              ;   in Loop: Header=BB380_13 Depth=1
	v_bfe_u32 v3, v2, 16, 1
	v_add3_u32 v0, v2, v3, s42
	v_accvgpr_write_b32 a1, v0
                                        ; implicit-def: $vgpr2
; %bb.294:                              ;   in Loop: Header=BB380_13 Depth=1
	s_andn2_saveexec_b64 s[30:31], s[8:9]
; %bb.295:                              ;   in Loop: Header=BB380_13 Depth=1
	v_or_b32_e32 v3, 0x10000, v2
	v_cmp_eq_u32_sdwa s[8:9], v2, v45 src0_sel:WORD_0 src1_sel:DWORD
	v_cndmask_b32_e64 v0, v3, v2, s[8:9]
	v_accvgpr_write_b32 a1, v0
; %bb.296:                              ;   in Loop: Header=BB380_13 Depth=1
	s_or_b64 exec, exec, s[30:31]
	flat_load_dword v58, v[56:57] offset:1544
	v_mov_b32_e32 v2, 0
	s_waitcnt vmcnt(0) lgkmcnt(0)
	v_cmp_ne_u16_sdwa s[8:9], v58, v45 src0_sel:BYTE_0 src1_sel:DWORD
	s_and_saveexec_b64 s[30:31], s[8:9]
	s_cbranch_execz .LBB380_302
; %bb.297:                              ;   in Loop: Header=BB380_13 Depth=1
	v_cmp_ne_u16_sdwa s[8:9], v58, s39 src0_sel:BYTE_0 src1_sel:DWORD
	v_bfrev_b32_e32 v2, 1
	s_and_saveexec_b64 s[34:35], s[8:9]
	s_cbranch_execz .LBB380_301
; %bb.298:                              ;   in Loop: Header=BB380_13 Depth=1
	v_and_b32_e32 v3, 0x7f, v58
	v_cmp_ne_u32_e64 s[8:9], s40, v3
	v_mov_b32_e32 v2, 0x7f800001
	s_and_saveexec_b64 s[36:37], s[8:9]
	s_cbranch_execz .LBB380_300
; %bb.299:                              ;   in Loop: Header=BB380_13 Depth=1
	v_and_b32_e32 v2, 7, v58
	v_ffbh_u32_e32 v10, v2
	v_min_u32_e32 v10, 32, v10
	v_subrev_u32_e32 v13, 28, v10
	v_lshlrev_b64 v[20:21], v13, v[58:59]
	v_lshrrev_b32_e32 v5, 3, v3
	v_sub_u32_e32 v10, 29, v10
	v_and_b32_e32 v13, 7, v20
	v_cmp_gt_u32_e64 s[8:9], 8, v3
	v_cndmask_b32_e64 v3, v5, v10, s[8:9]
	v_cndmask_b32_e64 v2, v2, v13, s[8:9]
	v_lshlrev_b32_e32 v5, 24, v58
	v_bfrev_b32_e32 v0, 60
	v_lshlrev_b32_e32 v2, 20, v2
	v_and_b32_e32 v5, 0x80000000, v5
	v_lshl_add_u32 v3, v3, 23, v0
	v_or3_b32 v2, v5, v3, v2
.LBB380_300:                            ;   in Loop: Header=BB380_13 Depth=1
	s_or_b64 exec, exec, s[36:37]
.LBB380_301:                            ;   in Loop: Header=BB380_13 Depth=1
	s_or_b64 exec, exec, s[34:35]
.LBB380_302:                            ;   in Loop: Header=BB380_13 Depth=1
	s_or_b64 exec, exec, s[30:31]
	v_mul_f32_e32 v2, v12, v2
	v_and_b32_e32 v3, 0x7f800000, v2
	v_cmp_ne_u32_e64 s[8:9], s41, v3
                                        ; implicit-def: $agpr24
	s_and_saveexec_b64 s[30:31], s[8:9]
	s_xor_b64 s[8:9], exec, s[30:31]
; %bb.303:                              ;   in Loop: Header=BB380_13 Depth=1
	v_bfe_u32 v3, v2, 16, 1
	v_add3_u32 v0, v2, v3, s42
	v_accvgpr_write_b32 a24, v0
                                        ; implicit-def: $vgpr2
; %bb.304:                              ;   in Loop: Header=BB380_13 Depth=1
	s_andn2_saveexec_b64 s[30:31], s[8:9]
; %bb.305:                              ;   in Loop: Header=BB380_13 Depth=1
	v_or_b32_e32 v3, 0x10000, v2
	v_cmp_eq_u32_sdwa s[8:9], v2, v45 src0_sel:WORD_0 src1_sel:DWORD
	v_cndmask_b32_e64 v0, v3, v2, s[8:9]
	v_accvgpr_write_b32 a24, v0
; %bb.306:                              ;   in Loop: Header=BB380_13 Depth=1
	s_or_b64 exec, exec, s[30:31]
	v_lshrrev_b16_e32 v60, 8, v58
	v_cmp_ne_u16_e64 s[8:9], 0, v60
	v_mov_b32_e32 v2, 0
	s_and_saveexec_b64 s[30:31], s[8:9]
	s_cbranch_execz .LBB380_312
; %bb.307:                              ;   in Loop: Header=BB380_13 Depth=1
	v_cmp_ne_u16_e64 s[8:9], s39, v60
	v_bfrev_b32_e32 v2, 1
	s_and_saveexec_b64 s[34:35], s[8:9]
	s_cbranch_execz .LBB380_311
; %bb.308:                              ;   in Loop: Header=BB380_13 Depth=1
	v_and_b32_e32 v3, 0x7f, v60
	v_cmp_ne_u32_e64 s[8:9], s40, v3
	v_mov_b32_e32 v2, 0x7f800001
	s_and_saveexec_b64 s[36:37], s[8:9]
	s_cbranch_execz .LBB380_310
; %bb.309:                              ;   in Loop: Header=BB380_13 Depth=1
	v_and_b32_e32 v2, 7, v60
	v_ffbh_u32_e32 v10, v2
	v_min_u32_e32 v10, 32, v10
	v_subrev_u32_e32 v13, 28, v10
	v_lshlrev_b64 v[20:21], v13, v[60:61]
	v_lshrrev_b32_e32 v5, 3, v3
	v_sub_u32_e32 v10, 29, v10
	v_and_b32_e32 v13, 7, v20
	v_cmp_gt_u32_e64 s[8:9], 8, v3
	v_cndmask_b32_e64 v3, v5, v10, s[8:9]
	v_cndmask_b32_e64 v2, v2, v13, s[8:9]
	v_lshlrev_b32_e32 v5, 16, v58
	v_bfrev_b32_e32 v0, 60
	v_lshlrev_b32_e32 v2, 20, v2
	v_and_b32_e32 v5, 0x80000000, v5
	v_lshl_add_u32 v3, v3, 23, v0
	v_or3_b32 v2, v5, v3, v2
.LBB380_310:                            ;   in Loop: Header=BB380_13 Depth=1
	s_or_b64 exec, exec, s[36:37]
.LBB380_311:                            ;   in Loop: Header=BB380_13 Depth=1
	s_or_b64 exec, exec, s[34:35]
.LBB380_312:                            ;   in Loop: Header=BB380_13 Depth=1
	s_or_b64 exec, exec, s[30:31]
	v_mul_f32_e32 v2, v12, v2
	v_and_b32_e32 v3, 0x7f800000, v2
	v_cmp_ne_u32_e64 s[8:9], s41, v3
                                        ; implicit-def: $agpr23
	s_and_saveexec_b64 s[30:31], s[8:9]
	s_xor_b64 s[8:9], exec, s[30:31]
; %bb.313:                              ;   in Loop: Header=BB380_13 Depth=1
	v_bfe_u32 v3, v2, 16, 1
	v_add3_u32 v0, v2, v3, s42
	v_accvgpr_write_b32 a23, v0
                                        ; implicit-def: $vgpr2
; %bb.314:                              ;   in Loop: Header=BB380_13 Depth=1
	s_andn2_saveexec_b64 s[30:31], s[8:9]
; %bb.315:                              ;   in Loop: Header=BB380_13 Depth=1
	v_or_b32_e32 v3, 0x10000, v2
	v_cmp_eq_u32_sdwa s[8:9], v2, v45 src0_sel:WORD_0 src1_sel:DWORD
	v_cndmask_b32_e64 v0, v3, v2, s[8:9]
	v_accvgpr_write_b32 a23, v0
; %bb.316:                              ;   in Loop: Header=BB380_13 Depth=1
	s_or_b64 exec, exec, s[30:31]
	v_lshrrev_b32_e32 v60, 16, v58
	v_cmp_ne_u16_sdwa s[8:9], v60, v45 src0_sel:BYTE_0 src1_sel:DWORD
	v_mov_b32_e32 v2, 0
	s_and_saveexec_b64 s[30:31], s[8:9]
	s_cbranch_execz .LBB380_322
; %bb.317:                              ;   in Loop: Header=BB380_13 Depth=1
	v_cmp_ne_u16_sdwa s[8:9], v60, s39 src0_sel:BYTE_0 src1_sel:DWORD
	v_bfrev_b32_e32 v2, 1
	s_and_saveexec_b64 s[34:35], s[8:9]
	s_cbranch_execz .LBB380_321
; %bb.318:                              ;   in Loop: Header=BB380_13 Depth=1
	v_bfe_u32 v3, v58, 16, 7
	v_cmp_ne_u32_e64 s[8:9], s40, v3
	v_mov_b32_e32 v2, 0x7f800001
	s_and_saveexec_b64 s[36:37], s[8:9]
	s_cbranch_execz .LBB380_320
; %bb.319:                              ;   in Loop: Header=BB380_13 Depth=1
	v_and_b32_e32 v2, 7, v60
	v_ffbh_u32_e32 v10, v2
	v_min_u32_e32 v10, 32, v10
	v_subrev_u32_e32 v13, 28, v10
	v_lshlrev_b64 v[20:21], v13, v[60:61]
	v_lshrrev_b32_e32 v5, 3, v3
	v_sub_u32_e32 v10, 29, v10
	v_and_b32_e32 v13, 7, v20
	v_cmp_gt_u32_e64 s[8:9], 8, v3
	v_cndmask_b32_e64 v3, v5, v10, s[8:9]
	v_cndmask_b32_e64 v2, v2, v13, s[8:9]
	v_lshlrev_b32_e32 v5, 24, v60
	v_bfrev_b32_e32 v0, 60
	v_lshlrev_b32_e32 v2, 20, v2
	v_and_b32_e32 v5, 0x80000000, v5
	v_lshl_add_u32 v3, v3, 23, v0
	v_or3_b32 v2, v5, v3, v2
.LBB380_320:                            ;   in Loop: Header=BB380_13 Depth=1
	s_or_b64 exec, exec, s[36:37]
.LBB380_321:                            ;   in Loop: Header=BB380_13 Depth=1
	s_or_b64 exec, exec, s[34:35]
.LBB380_322:                            ;   in Loop: Header=BB380_13 Depth=1
	s_or_b64 exec, exec, s[30:31]
	v_mul_f32_e32 v2, v12, v2
	v_and_b32_e32 v3, 0x7f800000, v2
	v_cmp_ne_u32_e64 s[8:9], s41, v3
                                        ; implicit-def: $agpr22
	s_and_saveexec_b64 s[30:31], s[8:9]
	s_xor_b64 s[8:9], exec, s[30:31]
; %bb.323:                              ;   in Loop: Header=BB380_13 Depth=1
	v_bfe_u32 v3, v2, 16, 1
	v_add3_u32 v0, v2, v3, s42
	v_accvgpr_write_b32 a22, v0
                                        ; implicit-def: $vgpr2
; %bb.324:                              ;   in Loop: Header=BB380_13 Depth=1
	s_andn2_saveexec_b64 s[30:31], s[8:9]
; %bb.325:                              ;   in Loop: Header=BB380_13 Depth=1
	v_or_b32_e32 v3, 0x10000, v2
	v_cmp_eq_u32_sdwa s[8:9], v2, v45 src0_sel:WORD_0 src1_sel:DWORD
	v_cndmask_b32_e64 v0, v3, v2, s[8:9]
	v_accvgpr_write_b32 a22, v0
; %bb.326:                              ;   in Loop: Header=BB380_13 Depth=1
	s_or_b64 exec, exec, s[30:31]
	v_cmp_lt_u32_e64 s[8:9], s43, v58
	v_mov_b32_e32 v2, 0
	s_and_saveexec_b64 s[30:31], s[8:9]
	s_cbranch_execz .LBB380_332
; %bb.327:                              ;   in Loop: Header=BB380_13 Depth=1
	v_lshrrev_b32_e32 v60, 24, v58
	v_cmp_ne_u32_e64 s[8:9], s39, v60
	v_bfrev_b32_e32 v2, 1
	s_and_saveexec_b64 s[34:35], s[8:9]
	s_cbranch_execz .LBB380_331
; %bb.328:                              ;   in Loop: Header=BB380_13 Depth=1
	v_bfe_u32 v3, v58, 24, 7
	v_cmp_ne_u32_e64 s[8:9], s40, v3
	v_mov_b32_e32 v2, 0x7f800001
	s_and_saveexec_b64 s[36:37], s[8:9]
	s_cbranch_execz .LBB380_330
; %bb.329:                              ;   in Loop: Header=BB380_13 Depth=1
	v_and_b32_e32 v2, 7, v60
	v_ffbh_u32_e32 v10, v2
	v_min_u32_e32 v10, 32, v10
	v_subrev_u32_e32 v13, 28, v10
	v_lshlrev_b64 v[20:21], v13, v[60:61]
	v_lshrrev_b32_e32 v5, 3, v3
	v_sub_u32_e32 v10, 29, v10
	v_and_b32_e32 v13, 7, v20
	v_cmp_gt_u32_e64 s[8:9], 8, v3
	v_cndmask_b32_e64 v3, v5, v10, s[8:9]
	v_cndmask_b32_e64 v2, v2, v13, s[8:9]
	v_lshlrev_b32_e32 v5, 24, v60
	v_bfrev_b32_e32 v0, 60
	v_lshlrev_b32_e32 v2, 20, v2
	v_and_b32_e32 v5, 0x80000000, v5
	v_lshl_add_u32 v3, v3, 23, v0
	v_or3_b32 v2, v5, v3, v2
.LBB380_330:                            ;   in Loop: Header=BB380_13 Depth=1
	s_or_b64 exec, exec, s[36:37]
.LBB380_331:                            ;   in Loop: Header=BB380_13 Depth=1
	s_or_b64 exec, exec, s[34:35]
.LBB380_332:                            ;   in Loop: Header=BB380_13 Depth=1
	s_or_b64 exec, exec, s[30:31]
	v_mul_f32_e32 v2, v12, v2
	v_and_b32_e32 v3, 0x7f800000, v2
	v_cmp_ne_u32_e64 s[8:9], s41, v3
                                        ; implicit-def: $agpr21
	s_and_saveexec_b64 s[30:31], s[8:9]
	s_xor_b64 s[8:9], exec, s[30:31]
; %bb.333:                              ;   in Loop: Header=BB380_13 Depth=1
	v_bfe_u32 v3, v2, 16, 1
	v_add3_u32 v0, v2, v3, s42
	v_accvgpr_write_b32 a21, v0
                                        ; implicit-def: $vgpr2
; %bb.334:                              ;   in Loop: Header=BB380_13 Depth=1
	s_andn2_saveexec_b64 s[30:31], s[8:9]
; %bb.335:                              ;   in Loop: Header=BB380_13 Depth=1
	v_or_b32_e32 v3, 0x10000, v2
	v_cmp_eq_u32_sdwa s[8:9], v2, v45 src0_sel:WORD_0 src1_sel:DWORD
	v_cndmask_b32_e64 v0, v3, v2, s[8:9]
	v_accvgpr_write_b32 a21, v0
; %bb.336:                              ;   in Loop: Header=BB380_13 Depth=1
	s_or_b64 exec, exec, s[30:31]
	flat_load_dword v58, v[56:57] offset:2048
	v_mov_b32_e32 v2, 0
	s_waitcnt vmcnt(0) lgkmcnt(0)
	v_cmp_ne_u16_sdwa s[8:9], v58, v45 src0_sel:BYTE_0 src1_sel:DWORD
	s_and_saveexec_b64 s[30:31], s[8:9]
	s_cbranch_execz .LBB380_342
; %bb.337:                              ;   in Loop: Header=BB380_13 Depth=1
	v_cmp_ne_u16_sdwa s[8:9], v58, s39 src0_sel:BYTE_0 src1_sel:DWORD
	v_bfrev_b32_e32 v2, 1
	s_and_saveexec_b64 s[34:35], s[8:9]
	s_cbranch_execz .LBB380_341
; %bb.338:                              ;   in Loop: Header=BB380_13 Depth=1
	v_and_b32_e32 v3, 0x7f, v58
	v_cmp_ne_u32_e64 s[8:9], s40, v3
	v_mov_b32_e32 v2, 0x7f800001
	s_and_saveexec_b64 s[36:37], s[8:9]
	s_cbranch_execz .LBB380_340
; %bb.339:                              ;   in Loop: Header=BB380_13 Depth=1
	v_and_b32_e32 v2, 7, v58
	v_ffbh_u32_e32 v10, v2
	v_min_u32_e32 v10, 32, v10
	v_subrev_u32_e32 v13, 28, v10
	v_lshlrev_b64 v[20:21], v13, v[58:59]
	v_lshrrev_b32_e32 v5, 3, v3
	v_sub_u32_e32 v10, 29, v10
	v_and_b32_e32 v13, 7, v20
	v_cmp_gt_u32_e64 s[8:9], 8, v3
	v_cndmask_b32_e64 v3, v5, v10, s[8:9]
	v_cndmask_b32_e64 v2, v2, v13, s[8:9]
	v_lshlrev_b32_e32 v5, 24, v58
	v_bfrev_b32_e32 v0, 60
	v_lshlrev_b32_e32 v2, 20, v2
	v_and_b32_e32 v5, 0x80000000, v5
	v_lshl_add_u32 v3, v3, 23, v0
	v_or3_b32 v2, v5, v3, v2
.LBB380_340:                            ;   in Loop: Header=BB380_13 Depth=1
	s_or_b64 exec, exec, s[36:37]
.LBB380_341:                            ;   in Loop: Header=BB380_13 Depth=1
	s_or_b64 exec, exec, s[34:35]
.LBB380_342:                            ;   in Loop: Header=BB380_13 Depth=1
	s_or_b64 exec, exec, s[30:31]
	v_mul_f32_e32 v2, v12, v2
	v_and_b32_e32 v3, 0x7f800000, v2
	v_cmp_ne_u32_e64 s[8:9], s41, v3
                                        ; implicit-def: $agpr20
	s_and_saveexec_b64 s[30:31], s[8:9]
	s_xor_b64 s[8:9], exec, s[30:31]
; %bb.343:                              ;   in Loop: Header=BB380_13 Depth=1
	v_bfe_u32 v3, v2, 16, 1
	v_add3_u32 v0, v2, v3, s42
	v_accvgpr_write_b32 a20, v0
                                        ; implicit-def: $vgpr2
; %bb.344:                              ;   in Loop: Header=BB380_13 Depth=1
	s_andn2_saveexec_b64 s[30:31], s[8:9]
; %bb.345:                              ;   in Loop: Header=BB380_13 Depth=1
	v_or_b32_e32 v3, 0x10000, v2
	v_cmp_eq_u32_sdwa s[8:9], v2, v45 src0_sel:WORD_0 src1_sel:DWORD
	v_cndmask_b32_e64 v0, v3, v2, s[8:9]
	v_accvgpr_write_b32 a20, v0
; %bb.346:                              ;   in Loop: Header=BB380_13 Depth=1
	s_or_b64 exec, exec, s[30:31]
	v_lshrrev_b16_e32 v60, 8, v58
	v_cmp_ne_u16_e64 s[8:9], 0, v60
	v_mov_b32_e32 v2, 0
	s_and_saveexec_b64 s[30:31], s[8:9]
	s_cbranch_execz .LBB380_352
; %bb.347:                              ;   in Loop: Header=BB380_13 Depth=1
	v_cmp_ne_u16_e64 s[8:9], s39, v60
	v_bfrev_b32_e32 v2, 1
	s_and_saveexec_b64 s[34:35], s[8:9]
	s_cbranch_execz .LBB380_351
; %bb.348:                              ;   in Loop: Header=BB380_13 Depth=1
	v_and_b32_e32 v3, 0x7f, v60
	v_cmp_ne_u32_e64 s[8:9], s40, v3
	v_mov_b32_e32 v2, 0x7f800001
	s_and_saveexec_b64 s[36:37], s[8:9]
	s_cbranch_execz .LBB380_350
; %bb.349:                              ;   in Loop: Header=BB380_13 Depth=1
	v_and_b32_e32 v2, 7, v60
	v_ffbh_u32_e32 v10, v2
	v_min_u32_e32 v10, 32, v10
	v_subrev_u32_e32 v13, 28, v10
	v_lshlrev_b64 v[20:21], v13, v[60:61]
	v_lshrrev_b32_e32 v5, 3, v3
	v_sub_u32_e32 v10, 29, v10
	v_and_b32_e32 v13, 7, v20
	v_cmp_gt_u32_e64 s[8:9], 8, v3
	v_cndmask_b32_e64 v3, v5, v10, s[8:9]
	v_cndmask_b32_e64 v2, v2, v13, s[8:9]
	v_lshlrev_b32_e32 v5, 16, v58
	v_bfrev_b32_e32 v0, 60
	v_lshlrev_b32_e32 v2, 20, v2
	v_and_b32_e32 v5, 0x80000000, v5
	v_lshl_add_u32 v3, v3, 23, v0
	v_or3_b32 v2, v5, v3, v2
.LBB380_350:                            ;   in Loop: Header=BB380_13 Depth=1
	s_or_b64 exec, exec, s[36:37]
.LBB380_351:                            ;   in Loop: Header=BB380_13 Depth=1
	s_or_b64 exec, exec, s[34:35]
.LBB380_352:                            ;   in Loop: Header=BB380_13 Depth=1
	s_or_b64 exec, exec, s[30:31]
	v_mul_f32_e32 v2, v12, v2
	v_and_b32_e32 v3, 0x7f800000, v2
	v_cmp_ne_u32_e64 s[8:9], s41, v3
                                        ; implicit-def: $agpr19
	s_and_saveexec_b64 s[30:31], s[8:9]
	s_xor_b64 s[8:9], exec, s[30:31]
; %bb.353:                              ;   in Loop: Header=BB380_13 Depth=1
	v_bfe_u32 v3, v2, 16, 1
	v_add3_u32 v0, v2, v3, s42
	v_accvgpr_write_b32 a19, v0
                                        ; implicit-def: $vgpr2
; %bb.354:                              ;   in Loop: Header=BB380_13 Depth=1
	s_andn2_saveexec_b64 s[30:31], s[8:9]
; %bb.355:                              ;   in Loop: Header=BB380_13 Depth=1
	v_or_b32_e32 v3, 0x10000, v2
	v_cmp_eq_u32_sdwa s[8:9], v2, v45 src0_sel:WORD_0 src1_sel:DWORD
	v_cndmask_b32_e64 v0, v3, v2, s[8:9]
	v_accvgpr_write_b32 a19, v0
; %bb.356:                              ;   in Loop: Header=BB380_13 Depth=1
	s_or_b64 exec, exec, s[30:31]
	v_lshrrev_b32_e32 v60, 16, v58
	v_cmp_ne_u16_sdwa s[8:9], v60, v45 src0_sel:BYTE_0 src1_sel:DWORD
	v_mov_b32_e32 v2, 0
	s_and_saveexec_b64 s[30:31], s[8:9]
	s_cbranch_execz .LBB380_362
; %bb.357:                              ;   in Loop: Header=BB380_13 Depth=1
	v_cmp_ne_u16_sdwa s[8:9], v60, s39 src0_sel:BYTE_0 src1_sel:DWORD
	v_bfrev_b32_e32 v2, 1
	s_and_saveexec_b64 s[34:35], s[8:9]
	s_cbranch_execz .LBB380_361
; %bb.358:                              ;   in Loop: Header=BB380_13 Depth=1
	v_bfe_u32 v3, v58, 16, 7
	v_cmp_ne_u32_e64 s[8:9], s40, v3
	v_mov_b32_e32 v2, 0x7f800001
	s_and_saveexec_b64 s[36:37], s[8:9]
	s_cbranch_execz .LBB380_360
; %bb.359:                              ;   in Loop: Header=BB380_13 Depth=1
	v_and_b32_e32 v2, 7, v60
	v_ffbh_u32_e32 v10, v2
	v_min_u32_e32 v10, 32, v10
	v_subrev_u32_e32 v13, 28, v10
	v_lshlrev_b64 v[20:21], v13, v[60:61]
	v_lshrrev_b32_e32 v5, 3, v3
	v_sub_u32_e32 v10, 29, v10
	v_and_b32_e32 v13, 7, v20
	v_cmp_gt_u32_e64 s[8:9], 8, v3
	v_cndmask_b32_e64 v3, v5, v10, s[8:9]
	v_cndmask_b32_e64 v2, v2, v13, s[8:9]
	v_lshlrev_b32_e32 v5, 24, v60
	v_bfrev_b32_e32 v0, 60
	v_lshlrev_b32_e32 v2, 20, v2
	v_and_b32_e32 v5, 0x80000000, v5
	v_lshl_add_u32 v3, v3, 23, v0
	v_or3_b32 v2, v5, v3, v2
.LBB380_360:                            ;   in Loop: Header=BB380_13 Depth=1
	s_or_b64 exec, exec, s[36:37]
.LBB380_361:                            ;   in Loop: Header=BB380_13 Depth=1
	s_or_b64 exec, exec, s[34:35]
.LBB380_362:                            ;   in Loop: Header=BB380_13 Depth=1
	s_or_b64 exec, exec, s[30:31]
	v_mul_f32_e32 v2, v12, v2
	v_and_b32_e32 v3, 0x7f800000, v2
	v_cmp_ne_u32_e64 s[8:9], s41, v3
                                        ; implicit-def: $agpr18
	s_and_saveexec_b64 s[30:31], s[8:9]
	s_xor_b64 s[8:9], exec, s[30:31]
; %bb.363:                              ;   in Loop: Header=BB380_13 Depth=1
	v_bfe_u32 v3, v2, 16, 1
	v_add3_u32 v0, v2, v3, s42
	v_accvgpr_write_b32 a18, v0
                                        ; implicit-def: $vgpr2
; %bb.364:                              ;   in Loop: Header=BB380_13 Depth=1
	s_andn2_saveexec_b64 s[30:31], s[8:9]
; %bb.365:                              ;   in Loop: Header=BB380_13 Depth=1
	v_or_b32_e32 v3, 0x10000, v2
	v_cmp_eq_u32_sdwa s[8:9], v2, v45 src0_sel:WORD_0 src1_sel:DWORD
	v_cndmask_b32_e64 v0, v3, v2, s[8:9]
	v_accvgpr_write_b32 a18, v0
; %bb.366:                              ;   in Loop: Header=BB380_13 Depth=1
	s_or_b64 exec, exec, s[30:31]
	v_cmp_lt_u32_e64 s[8:9], s43, v58
	v_mov_b32_e32 v2, 0
	s_and_saveexec_b64 s[30:31], s[8:9]
	s_cbranch_execz .LBB380_372
; %bb.367:                              ;   in Loop: Header=BB380_13 Depth=1
	v_lshrrev_b32_e32 v60, 24, v58
	v_cmp_ne_u32_e64 s[8:9], s39, v60
	v_bfrev_b32_e32 v2, 1
	s_and_saveexec_b64 s[34:35], s[8:9]
	s_cbranch_execz .LBB380_371
; %bb.368:                              ;   in Loop: Header=BB380_13 Depth=1
	v_bfe_u32 v3, v58, 24, 7
	v_cmp_ne_u32_e64 s[8:9], s40, v3
	v_mov_b32_e32 v2, 0x7f800001
	s_and_saveexec_b64 s[36:37], s[8:9]
	s_cbranch_execz .LBB380_370
; %bb.369:                              ;   in Loop: Header=BB380_13 Depth=1
	v_and_b32_e32 v2, 7, v60
	v_ffbh_u32_e32 v13, v2
	v_min_u32_e32 v13, 32, v13
	v_subrev_u32_e32 v14, 28, v13
	v_lshlrev_b64 v[20:21], v14, v[60:61]
	v_lshrrev_b32_e32 v5, 3, v3
	v_sub_u32_e32 v13, 29, v13
	v_and_b32_e32 v14, 7, v20
	v_cmp_gt_u32_e64 s[8:9], 8, v3
	v_cndmask_b32_e64 v3, v5, v13, s[8:9]
	v_cndmask_b32_e64 v2, v2, v14, s[8:9]
	v_lshlrev_b32_e32 v5, 24, v60
	v_bfrev_b32_e32 v0, 60
	v_lshlrev_b32_e32 v2, 20, v2
	v_and_b32_e32 v5, 0x80000000, v5
	v_lshl_add_u32 v3, v3, 23, v0
	v_or3_b32 v2, v5, v3, v2
.LBB380_370:                            ;   in Loop: Header=BB380_13 Depth=1
	s_or_b64 exec, exec, s[36:37]
.LBB380_371:                            ;   in Loop: Header=BB380_13 Depth=1
	s_or_b64 exec, exec, s[34:35]
.LBB380_372:                            ;   in Loop: Header=BB380_13 Depth=1
	s_or_b64 exec, exec, s[30:31]
	v_mul_f32_e32 v2, v12, v2
	v_and_b32_e32 v3, 0x7f800000, v2
	v_cmp_ne_u32_e64 s[8:9], s41, v3
                                        ; implicit-def: $agpr17
	s_and_saveexec_b64 s[30:31], s[8:9]
	s_xor_b64 s[8:9], exec, s[30:31]
; %bb.373:                              ;   in Loop: Header=BB380_13 Depth=1
	v_bfe_u32 v3, v2, 16, 1
	v_add3_u32 v0, v2, v3, s42
	v_accvgpr_write_b32 a17, v0
                                        ; implicit-def: $vgpr2
; %bb.374:                              ;   in Loop: Header=BB380_13 Depth=1
	s_andn2_saveexec_b64 s[30:31], s[8:9]
; %bb.375:                              ;   in Loop: Header=BB380_13 Depth=1
	v_or_b32_e32 v3, 0x10000, v2
	v_cmp_eq_u32_sdwa s[8:9], v2, v45 src0_sel:WORD_0 src1_sel:DWORD
	v_cndmask_b32_e64 v0, v3, v2, s[8:9]
	v_accvgpr_write_b32 a17, v0
; %bb.376:                              ;   in Loop: Header=BB380_13 Depth=1
	s_or_b64 exec, exec, s[30:31]
	flat_load_dword v58, v[56:57] offset:2056
	v_mov_b32_e32 v2, 0
	s_waitcnt vmcnt(0) lgkmcnt(0)
	v_cmp_ne_u16_sdwa s[8:9], v58, v45 src0_sel:BYTE_0 src1_sel:DWORD
	s_and_saveexec_b64 s[30:31], s[8:9]
	s_cbranch_execz .LBB380_382
; %bb.377:                              ;   in Loop: Header=BB380_13 Depth=1
	v_cmp_ne_u16_sdwa s[8:9], v58, s39 src0_sel:BYTE_0 src1_sel:DWORD
	v_bfrev_b32_e32 v2, 1
	s_and_saveexec_b64 s[34:35], s[8:9]
	s_cbranch_execz .LBB380_381
; %bb.378:                              ;   in Loop: Header=BB380_13 Depth=1
	v_and_b32_e32 v3, 0x7f, v58
	v_cmp_ne_u32_e64 s[8:9], s40, v3
	v_mov_b32_e32 v2, 0x7f800001
	s_and_saveexec_b64 s[36:37], s[8:9]
	s_cbranch_execz .LBB380_380
; %bb.379:                              ;   in Loop: Header=BB380_13 Depth=1
	v_and_b32_e32 v5, 7, v58
	v_ffbh_u32_e32 v2, v5
	v_min_u32_e32 v14, 32, v2
	v_subrev_u32_e32 v2, 28, v14
	v_lshrrev_b32_e32 v13, 3, v3
	v_cmp_gt_u32_e64 s[8:9], 8, v3
	v_lshlrev_b64 v[2:3], v2, v[58:59]
	v_sub_u32_e32 v3, 29, v14
	v_and_b32_e32 v2, 7, v2
	v_cndmask_b32_e64 v3, v13, v3, s[8:9]
	v_cndmask_b32_e64 v2, v5, v2, s[8:9]
	v_lshlrev_b32_e32 v5, 24, v58
	v_bfrev_b32_e32 v0, 60
	v_lshlrev_b32_e32 v2, 20, v2
	v_and_b32_e32 v5, 0x80000000, v5
	v_lshl_add_u32 v3, v3, 23, v0
	v_or3_b32 v2, v5, v3, v2
.LBB380_380:                            ;   in Loop: Header=BB380_13 Depth=1
	s_or_b64 exec, exec, s[36:37]
.LBB380_381:                            ;   in Loop: Header=BB380_13 Depth=1
	s_or_b64 exec, exec, s[34:35]
.LBB380_382:                            ;   in Loop: Header=BB380_13 Depth=1
	s_or_b64 exec, exec, s[30:31]
	v_mul_f32_e32 v2, v12, v2
	v_and_b32_e32 v3, 0x7f800000, v2
	v_cmp_ne_u32_e64 s[8:9], s41, v3
                                        ; implicit-def: $agpr16
	s_and_saveexec_b64 s[30:31], s[8:9]
	s_xor_b64 s[8:9], exec, s[30:31]
; %bb.383:                              ;   in Loop: Header=BB380_13 Depth=1
	v_bfe_u32 v3, v2, 16, 1
	v_add3_u32 v0, v2, v3, s42
	v_accvgpr_write_b32 a16, v0
                                        ; implicit-def: $vgpr2
; %bb.384:                              ;   in Loop: Header=BB380_13 Depth=1
	s_andn2_saveexec_b64 s[30:31], s[8:9]
; %bb.385:                              ;   in Loop: Header=BB380_13 Depth=1
	v_or_b32_e32 v3, 0x10000, v2
	v_cmp_eq_u32_sdwa s[8:9], v2, v45 src0_sel:WORD_0 src1_sel:DWORD
	v_cndmask_b32_e64 v0, v3, v2, s[8:9]
	v_accvgpr_write_b32 a16, v0
; %bb.386:                              ;   in Loop: Header=BB380_13 Depth=1
	s_or_b64 exec, exec, s[30:31]
	v_lshrrev_b16_e32 v60, 8, v58
	v_cmp_ne_u16_e64 s[8:9], 0, v60
	v_mov_b32_e32 v2, 0
	s_and_saveexec_b64 s[30:31], s[8:9]
	s_cbranch_execz .LBB380_392
; %bb.387:                              ;   in Loop: Header=BB380_13 Depth=1
	v_cmp_ne_u16_e64 s[8:9], s39, v60
	v_bfrev_b32_e32 v2, 1
	s_and_saveexec_b64 s[34:35], s[8:9]
	s_cbranch_execz .LBB380_391
; %bb.388:                              ;   in Loop: Header=BB380_13 Depth=1
	v_and_b32_e32 v3, 0x7f, v60
	v_cmp_ne_u32_e64 s[8:9], s40, v3
	v_mov_b32_e32 v2, 0x7f800001
	s_and_saveexec_b64 s[36:37], s[8:9]
	s_cbranch_execz .LBB380_390
; %bb.389:                              ;   in Loop: Header=BB380_13 Depth=1
	v_and_b32_e32 v5, 7, v60
	v_ffbh_u32_e32 v2, v5
	v_min_u32_e32 v14, 32, v2
	v_subrev_u32_e32 v2, 28, v14
	v_lshrrev_b32_e32 v13, 3, v3
	v_cmp_gt_u32_e64 s[8:9], 8, v3
	v_lshlrev_b64 v[2:3], v2, v[60:61]
	v_sub_u32_e32 v3, 29, v14
	v_and_b32_e32 v2, 7, v2
	v_cndmask_b32_e64 v3, v13, v3, s[8:9]
	v_cndmask_b32_e64 v2, v5, v2, s[8:9]
	v_lshlrev_b32_e32 v5, 16, v58
	v_bfrev_b32_e32 v0, 60
	v_lshlrev_b32_e32 v2, 20, v2
	v_and_b32_e32 v5, 0x80000000, v5
	v_lshl_add_u32 v3, v3, 23, v0
	v_or3_b32 v2, v5, v3, v2
.LBB380_390:                            ;   in Loop: Header=BB380_13 Depth=1
	s_or_b64 exec, exec, s[36:37]
.LBB380_391:                            ;   in Loop: Header=BB380_13 Depth=1
	s_or_b64 exec, exec, s[34:35]
.LBB380_392:                            ;   in Loop: Header=BB380_13 Depth=1
	s_or_b64 exec, exec, s[30:31]
	v_mul_f32_e32 v2, v12, v2
	v_and_b32_e32 v3, 0x7f800000, v2
	v_cmp_ne_u32_e64 s[8:9], s41, v3
                                        ; implicit-def: $agpr37
	s_and_saveexec_b64 s[30:31], s[8:9]
	s_xor_b64 s[8:9], exec, s[30:31]
; %bb.393:                              ;   in Loop: Header=BB380_13 Depth=1
	v_bfe_u32 v3, v2, 16, 1
	v_add3_u32 v0, v2, v3, s42
	v_accvgpr_write_b32 a37, v0
                                        ; implicit-def: $vgpr2
; %bb.394:                              ;   in Loop: Header=BB380_13 Depth=1
	s_andn2_saveexec_b64 s[30:31], s[8:9]
; %bb.395:                              ;   in Loop: Header=BB380_13 Depth=1
	v_or_b32_e32 v3, 0x10000, v2
	v_cmp_eq_u32_sdwa s[8:9], v2, v45 src0_sel:WORD_0 src1_sel:DWORD
	v_cndmask_b32_e64 v0, v3, v2, s[8:9]
	v_accvgpr_write_b32 a37, v0
; %bb.396:                              ;   in Loop: Header=BB380_13 Depth=1
	s_or_b64 exec, exec, s[30:31]
	v_lshrrev_b32_e32 v60, 16, v58
	v_cmp_ne_u16_sdwa s[8:9], v60, v45 src0_sel:BYTE_0 src1_sel:DWORD
	v_mov_b32_e32 v2, 0
	s_and_saveexec_b64 s[30:31], s[8:9]
	s_cbranch_execz .LBB380_402
; %bb.397:                              ;   in Loop: Header=BB380_13 Depth=1
	v_cmp_ne_u16_sdwa s[8:9], v60, s39 src0_sel:BYTE_0 src1_sel:DWORD
	v_bfrev_b32_e32 v2, 1
	s_and_saveexec_b64 s[34:35], s[8:9]
	s_cbranch_execz .LBB380_401
; %bb.398:                              ;   in Loop: Header=BB380_13 Depth=1
	v_bfe_u32 v3, v58, 16, 7
	v_cmp_ne_u32_e64 s[8:9], s40, v3
	v_mov_b32_e32 v2, 0x7f800001
	s_and_saveexec_b64 s[36:37], s[8:9]
	s_cbranch_execz .LBB380_400
; %bb.399:                              ;   in Loop: Header=BB380_13 Depth=1
	v_and_b32_e32 v5, 7, v60
	v_ffbh_u32_e32 v2, v5
	v_min_u32_e32 v14, 32, v2
	v_subrev_u32_e32 v2, 28, v14
	v_lshrrev_b32_e32 v13, 3, v3
	v_cmp_gt_u32_e64 s[8:9], 8, v3
	v_lshlrev_b64 v[2:3], v2, v[60:61]
	v_sub_u32_e32 v3, 29, v14
	v_and_b32_e32 v2, 7, v2
	v_cndmask_b32_e64 v3, v13, v3, s[8:9]
	v_cndmask_b32_e64 v2, v5, v2, s[8:9]
	v_lshlrev_b32_e32 v5, 24, v60
	v_bfrev_b32_e32 v0, 60
	v_lshlrev_b32_e32 v2, 20, v2
	v_and_b32_e32 v5, 0x80000000, v5
	v_lshl_add_u32 v3, v3, 23, v0
	v_or3_b32 v2, v5, v3, v2
.LBB380_400:                            ;   in Loop: Header=BB380_13 Depth=1
	s_or_b64 exec, exec, s[36:37]
.LBB380_401:                            ;   in Loop: Header=BB380_13 Depth=1
	s_or_b64 exec, exec, s[34:35]
.LBB380_402:                            ;   in Loop: Header=BB380_13 Depth=1
	s_or_b64 exec, exec, s[30:31]
	v_mul_f32_e32 v2, v12, v2
	v_and_b32_e32 v3, 0x7f800000, v2
	v_cmp_ne_u32_e64 s[8:9], s41, v3
                                        ; implicit-def: $agpr45
	s_and_saveexec_b64 s[30:31], s[8:9]
	s_xor_b64 s[8:9], exec, s[30:31]
; %bb.403:                              ;   in Loop: Header=BB380_13 Depth=1
	v_bfe_u32 v3, v2, 16, 1
	v_add3_u32 v0, v2, v3, s42
	v_accvgpr_write_b32 a45, v0
                                        ; implicit-def: $vgpr2
; %bb.404:                              ;   in Loop: Header=BB380_13 Depth=1
	s_andn2_saveexec_b64 s[30:31], s[8:9]
; %bb.405:                              ;   in Loop: Header=BB380_13 Depth=1
	v_or_b32_e32 v3, 0x10000, v2
	v_cmp_eq_u32_sdwa s[8:9], v2, v45 src0_sel:WORD_0 src1_sel:DWORD
	v_cndmask_b32_e64 v0, v3, v2, s[8:9]
	v_accvgpr_write_b32 a45, v0
; %bb.406:                              ;   in Loop: Header=BB380_13 Depth=1
	s_or_b64 exec, exec, s[30:31]
	v_cmp_lt_u32_e64 s[8:9], s43, v58
	v_mov_b32_e32 v2, 0
	s_and_saveexec_b64 s[30:31], s[8:9]
	s_cbranch_execz .LBB380_412
; %bb.407:                              ;   in Loop: Header=BB380_13 Depth=1
	v_lshrrev_b32_e32 v60, 24, v58
	v_cmp_ne_u32_e64 s[8:9], s39, v60
	v_bfrev_b32_e32 v2, 1
	s_and_saveexec_b64 s[34:35], s[8:9]
	s_cbranch_execz .LBB380_411
; %bb.408:                              ;   in Loop: Header=BB380_13 Depth=1
	v_bfe_u32 v3, v58, 24, 7
	v_cmp_ne_u32_e64 s[8:9], s40, v3
	v_mov_b32_e32 v2, 0x7f800001
	s_and_saveexec_b64 s[36:37], s[8:9]
	s_cbranch_execz .LBB380_410
; %bb.409:                              ;   in Loop: Header=BB380_13 Depth=1
	v_and_b32_e32 v5, 7, v60
	v_ffbh_u32_e32 v2, v5
	v_min_u32_e32 v14, 32, v2
	v_subrev_u32_e32 v2, 28, v14
	v_lshrrev_b32_e32 v13, 3, v3
	v_cmp_gt_u32_e64 s[8:9], 8, v3
	v_lshlrev_b64 v[2:3], v2, v[60:61]
	v_sub_u32_e32 v3, 29, v14
	v_and_b32_e32 v2, 7, v2
	v_cndmask_b32_e64 v3, v13, v3, s[8:9]
	v_cndmask_b32_e64 v2, v5, v2, s[8:9]
	v_lshlrev_b32_e32 v5, 24, v60
	v_bfrev_b32_e32 v0, 60
	v_lshlrev_b32_e32 v2, 20, v2
	v_and_b32_e32 v5, 0x80000000, v5
	v_lshl_add_u32 v3, v3, 23, v0
	v_or3_b32 v2, v5, v3, v2
.LBB380_410:                            ;   in Loop: Header=BB380_13 Depth=1
	s_or_b64 exec, exec, s[36:37]
.LBB380_411:                            ;   in Loop: Header=BB380_13 Depth=1
	s_or_b64 exec, exec, s[34:35]
.LBB380_412:                            ;   in Loop: Header=BB380_13 Depth=1
	s_or_b64 exec, exec, s[30:31]
	v_mul_f32_e32 v2, v12, v2
	v_and_b32_e32 v3, 0x7f800000, v2
	v_cmp_ne_u32_e64 s[8:9], s41, v3
                                        ; implicit-def: $agpr4
	s_and_saveexec_b64 s[30:31], s[8:9]
	s_xor_b64 s[8:9], exec, s[30:31]
; %bb.413:                              ;   in Loop: Header=BB380_13 Depth=1
	v_bfe_u32 v3, v2, 16, 1
	v_add3_u32 v0, v2, v3, s42
	v_accvgpr_write_b32 a4, v0
                                        ; implicit-def: $vgpr2
; %bb.414:                              ;   in Loop: Header=BB380_13 Depth=1
	s_andn2_saveexec_b64 s[30:31], s[8:9]
; %bb.415:                              ;   in Loop: Header=BB380_13 Depth=1
	v_or_b32_e32 v3, 0x10000, v2
	v_cmp_eq_u32_sdwa s[8:9], v2, v45 src0_sel:WORD_0 src1_sel:DWORD
	v_cndmask_b32_e64 v0, v3, v2, s[8:9]
	v_accvgpr_write_b32 a4, v0
; %bb.416:                              ;   in Loop: Header=BB380_13 Depth=1
	s_or_b64 exec, exec, s[30:31]
	flat_load_dword v58, v[56:57] offset:2560
	v_mov_b32_e32 v2, 0
	s_waitcnt vmcnt(0) lgkmcnt(0)
	v_cmp_ne_u16_sdwa s[8:9], v58, v45 src0_sel:BYTE_0 src1_sel:DWORD
	s_and_saveexec_b64 s[30:31], s[8:9]
	s_cbranch_execz .LBB380_422
; %bb.417:                              ;   in Loop: Header=BB380_13 Depth=1
	v_cmp_ne_u16_sdwa s[8:9], v58, s39 src0_sel:BYTE_0 src1_sel:DWORD
	v_bfrev_b32_e32 v2, 1
	s_and_saveexec_b64 s[34:35], s[8:9]
	s_cbranch_execz .LBB380_421
; %bb.418:                              ;   in Loop: Header=BB380_13 Depth=1
	v_and_b32_e32 v3, 0x7f, v58
	v_cmp_ne_u32_e64 s[8:9], s40, v3
	v_mov_b32_e32 v2, 0x7f800001
	s_and_saveexec_b64 s[36:37], s[8:9]
	s_cbranch_execz .LBB380_420
; %bb.419:                              ;   in Loop: Header=BB380_13 Depth=1
	v_and_b32_e32 v5, 7, v58
	v_ffbh_u32_e32 v2, v5
	v_min_u32_e32 v14, 32, v2
	v_subrev_u32_e32 v2, 28, v14
	v_lshrrev_b32_e32 v13, 3, v3
	v_cmp_gt_u32_e64 s[8:9], 8, v3
	v_lshlrev_b64 v[2:3], v2, v[58:59]
	v_sub_u32_e32 v3, 29, v14
	v_and_b32_e32 v2, 7, v2
	v_cndmask_b32_e64 v3, v13, v3, s[8:9]
	v_cndmask_b32_e64 v2, v5, v2, s[8:9]
	v_lshlrev_b32_e32 v5, 24, v58
	v_bfrev_b32_e32 v0, 60
	v_lshlrev_b32_e32 v2, 20, v2
	v_and_b32_e32 v5, 0x80000000, v5
	v_lshl_add_u32 v3, v3, 23, v0
	v_or3_b32 v2, v5, v3, v2
.LBB380_420:                            ;   in Loop: Header=BB380_13 Depth=1
	s_or_b64 exec, exec, s[36:37]
.LBB380_421:                            ;   in Loop: Header=BB380_13 Depth=1
	s_or_b64 exec, exec, s[34:35]
.LBB380_422:                            ;   in Loop: Header=BB380_13 Depth=1
	s_or_b64 exec, exec, s[30:31]
	v_mul_f32_e32 v2, v12, v2
	v_and_b32_e32 v3, 0x7f800000, v2
	v_cmp_ne_u32_e64 s[8:9], s41, v3
                                        ; implicit-def: $agpr5
	s_and_saveexec_b64 s[30:31], s[8:9]
	s_xor_b64 s[8:9], exec, s[30:31]
; %bb.423:                              ;   in Loop: Header=BB380_13 Depth=1
	v_bfe_u32 v3, v2, 16, 1
	v_add3_u32 v0, v2, v3, s42
	v_accvgpr_write_b32 a5, v0
                                        ; implicit-def: $vgpr2
; %bb.424:                              ;   in Loop: Header=BB380_13 Depth=1
	s_andn2_saveexec_b64 s[30:31], s[8:9]
; %bb.425:                              ;   in Loop: Header=BB380_13 Depth=1
	v_or_b32_e32 v3, 0x10000, v2
	v_cmp_eq_u32_sdwa s[8:9], v2, v45 src0_sel:WORD_0 src1_sel:DWORD
	v_cndmask_b32_e64 v0, v3, v2, s[8:9]
	v_accvgpr_write_b32 a5, v0
; %bb.426:                              ;   in Loop: Header=BB380_13 Depth=1
	s_or_b64 exec, exec, s[30:31]
	v_lshrrev_b16_e32 v60, 8, v58
	v_cmp_ne_u16_e64 s[8:9], 0, v60
	v_mov_b32_e32 v2, 0
	s_and_saveexec_b64 s[30:31], s[8:9]
	s_cbranch_execz .LBB380_432
; %bb.427:                              ;   in Loop: Header=BB380_13 Depth=1
	v_cmp_ne_u16_e64 s[8:9], s39, v60
	v_bfrev_b32_e32 v2, 1
	s_and_saveexec_b64 s[34:35], s[8:9]
	s_cbranch_execz .LBB380_431
; %bb.428:                              ;   in Loop: Header=BB380_13 Depth=1
	v_and_b32_e32 v3, 0x7f, v60
	v_cmp_ne_u32_e64 s[8:9], s40, v3
	v_mov_b32_e32 v2, 0x7f800001
	s_and_saveexec_b64 s[36:37], s[8:9]
	s_cbranch_execz .LBB380_430
; %bb.429:                              ;   in Loop: Header=BB380_13 Depth=1
	v_and_b32_e32 v5, 7, v60
	v_ffbh_u32_e32 v2, v5
	v_min_u32_e32 v20, 32, v2
	v_subrev_u32_e32 v2, 28, v20
	v_lshrrev_b32_e32 v13, 3, v3
	v_cmp_gt_u32_e64 s[8:9], 8, v3
	v_lshlrev_b64 v[2:3], v2, v[60:61]
	v_sub_u32_e32 v3, 29, v20
	v_and_b32_e32 v2, 7, v2
	v_cndmask_b32_e64 v3, v13, v3, s[8:9]
	v_cndmask_b32_e64 v2, v5, v2, s[8:9]
	v_lshlrev_b32_e32 v5, 16, v58
	v_bfrev_b32_e32 v0, 60
	v_lshlrev_b32_e32 v2, 20, v2
	v_and_b32_e32 v5, 0x80000000, v5
	v_lshl_add_u32 v3, v3, 23, v0
	v_or3_b32 v2, v5, v3, v2
.LBB380_430:                            ;   in Loop: Header=BB380_13 Depth=1
	s_or_b64 exec, exec, s[36:37]
.LBB380_431:                            ;   in Loop: Header=BB380_13 Depth=1
	s_or_b64 exec, exec, s[34:35]
.LBB380_432:                            ;   in Loop: Header=BB380_13 Depth=1
	s_or_b64 exec, exec, s[30:31]
	v_mul_f32_e32 v2, v12, v2
	v_and_b32_e32 v3, 0x7f800000, v2
	v_cmp_ne_u32_e64 s[8:9], s41, v3
                                        ; implicit-def: $agpr46
	s_and_saveexec_b64 s[30:31], s[8:9]
	s_xor_b64 s[8:9], exec, s[30:31]
; %bb.433:                              ;   in Loop: Header=BB380_13 Depth=1
	v_bfe_u32 v3, v2, 16, 1
	v_add3_u32 v0, v2, v3, s42
	v_accvgpr_write_b32 a46, v0
                                        ; implicit-def: $vgpr2
; %bb.434:                              ;   in Loop: Header=BB380_13 Depth=1
	s_andn2_saveexec_b64 s[30:31], s[8:9]
; %bb.435:                              ;   in Loop: Header=BB380_13 Depth=1
	v_or_b32_e32 v3, 0x10000, v2
	v_cmp_eq_u32_sdwa s[8:9], v2, v45 src0_sel:WORD_0 src1_sel:DWORD
	v_cndmask_b32_e64 v0, v3, v2, s[8:9]
	v_accvgpr_write_b32 a46, v0
; %bb.436:                              ;   in Loop: Header=BB380_13 Depth=1
	s_or_b64 exec, exec, s[30:31]
	v_lshrrev_b32_e32 v60, 16, v58
	v_cmp_ne_u16_sdwa s[8:9], v60, v45 src0_sel:BYTE_0 src1_sel:DWORD
	v_mov_b32_e32 v2, 0
	s_and_saveexec_b64 s[30:31], s[8:9]
	s_cbranch_execz .LBB380_442
; %bb.437:                              ;   in Loop: Header=BB380_13 Depth=1
	v_cmp_ne_u16_sdwa s[8:9], v60, s39 src0_sel:BYTE_0 src1_sel:DWORD
	v_bfrev_b32_e32 v2, 1
	s_and_saveexec_b64 s[34:35], s[8:9]
	s_cbranch_execz .LBB380_441
; %bb.438:                              ;   in Loop: Header=BB380_13 Depth=1
	v_bfe_u32 v3, v58, 16, 7
	v_cmp_ne_u32_e64 s[8:9], s40, v3
	v_mov_b32_e32 v2, 0x7f800001
	s_and_saveexec_b64 s[36:37], s[8:9]
	s_cbranch_execz .LBB380_440
; %bb.439:                              ;   in Loop: Header=BB380_13 Depth=1
	v_and_b32_e32 v5, 7, v60
	v_ffbh_u32_e32 v2, v5
	v_min_u32_e32 v20, 32, v2
	v_subrev_u32_e32 v2, 28, v20
	v_lshrrev_b32_e32 v13, 3, v3
	v_cmp_gt_u32_e64 s[8:9], 8, v3
	v_lshlrev_b64 v[2:3], v2, v[60:61]
	v_sub_u32_e32 v3, 29, v20
	v_and_b32_e32 v2, 7, v2
	v_cndmask_b32_e64 v3, v13, v3, s[8:9]
	v_cndmask_b32_e64 v2, v5, v2, s[8:9]
	v_lshlrev_b32_e32 v5, 24, v60
	v_bfrev_b32_e32 v0, 60
	v_lshlrev_b32_e32 v2, 20, v2
	v_and_b32_e32 v5, 0x80000000, v5
	v_lshl_add_u32 v3, v3, 23, v0
	v_or3_b32 v2, v5, v3, v2
.LBB380_440:                            ;   in Loop: Header=BB380_13 Depth=1
	s_or_b64 exec, exec, s[36:37]
.LBB380_441:                            ;   in Loop: Header=BB380_13 Depth=1
	s_or_b64 exec, exec, s[34:35]
.LBB380_442:                            ;   in Loop: Header=BB380_13 Depth=1
	s_or_b64 exec, exec, s[30:31]
	v_mul_f32_e32 v3, v12, v2
	v_and_b32_e32 v2, 0x7f800000, v3
	v_cmp_ne_u32_e64 s[8:9], s41, v2
                                        ; implicit-def: $agpr33
	s_and_saveexec_b64 s[30:31], s[8:9]
	s_xor_b64 s[8:9], exec, s[30:31]
; %bb.443:                              ;   in Loop: Header=BB380_13 Depth=1
	v_bfe_u32 v2, v3, 16, 1
	v_add3_u32 v0, v3, v2, s42
	v_accvgpr_write_b32 a33, v0
                                        ; implicit-def: $vgpr3
; %bb.444:                              ;   in Loop: Header=BB380_13 Depth=1
	s_andn2_saveexec_b64 s[30:31], s[8:9]
; %bb.445:                              ;   in Loop: Header=BB380_13 Depth=1
	v_or_b32_e32 v2, 0x10000, v3
	v_cmp_eq_u32_sdwa s[8:9], v3, v45 src0_sel:WORD_0 src1_sel:DWORD
	v_cndmask_b32_e64 v0, v2, v3, s[8:9]
	v_accvgpr_write_b32 a33, v0
; %bb.446:                              ;   in Loop: Header=BB380_13 Depth=1
	s_or_b64 exec, exec, s[30:31]
	v_cmp_lt_u32_e64 s[8:9], s43, v58
	v_mov_b32_e32 v3, 0
	s_and_saveexec_b64 s[30:31], s[8:9]
	s_cbranch_execz .LBB380_452
; %bb.447:                              ;   in Loop: Header=BB380_13 Depth=1
	v_lshrrev_b32_e32 v60, 24, v58
	v_cmp_ne_u32_e64 s[8:9], s39, v60
	v_bfrev_b32_e32 v3, 1
	s_and_saveexec_b64 s[34:35], s[8:9]
	s_cbranch_execz .LBB380_451
; %bb.448:                              ;   in Loop: Header=BB380_13 Depth=1
	v_bfe_u32 v5, v58, 24, 7
	v_cmp_ne_u32_e64 s[8:9], s40, v5
	v_mov_b32_e32 v3, 0x7f800001
	s_and_saveexec_b64 s[36:37], s[8:9]
	s_cbranch_execz .LBB380_450
; %bb.449:                              ;   in Loop: Header=BB380_13 Depth=1
	v_and_b32_e32 v3, 7, v60
	v_lshrrev_b32_e32 v13, 3, v5
	v_cmp_gt_u32_e64 s[8:9], 8, v5
	v_ffbh_u32_e32 v5, v3
	v_min_u32_e32 v5, 32, v5
	v_subrev_u32_e32 v20, 28, v5
	v_lshlrev_b64 v[20:21], v20, v[60:61]
	v_sub_u32_e32 v5, 29, v5
	v_and_b32_e32 v20, 7, v20
	v_cndmask_b32_e64 v5, v13, v5, s[8:9]
	v_cndmask_b32_e64 v3, v3, v20, s[8:9]
	v_lshlrev_b32_e32 v13, 24, v60
	v_bfrev_b32_e32 v0, 60
	v_lshlrev_b32_e32 v3, 20, v3
	v_and_b32_e32 v13, 0x80000000, v13
	v_lshl_add_u32 v5, v5, 23, v0
	v_or3_b32 v3, v13, v5, v3
.LBB380_450:                            ;   in Loop: Header=BB380_13 Depth=1
	s_or_b64 exec, exec, s[36:37]
.LBB380_451:                            ;   in Loop: Header=BB380_13 Depth=1
	s_or_b64 exec, exec, s[34:35]
.LBB380_452:                            ;   in Loop: Header=BB380_13 Depth=1
	s_or_b64 exec, exec, s[30:31]
	v_mul_f32_e32 v3, v12, v3
	v_and_b32_e32 v5, 0x7f800000, v3
	v_cmp_ne_u32_e64 s[8:9], s41, v5
                                        ; implicit-def: $agpr8
	s_and_saveexec_b64 s[30:31], s[8:9]
	s_xor_b64 s[8:9], exec, s[30:31]
; %bb.453:                              ;   in Loop: Header=BB380_13 Depth=1
	v_bfe_u32 v5, v3, 16, 1
	v_add3_u32 v0, v3, v5, s42
	v_accvgpr_write_b32 a8, v0
                                        ; implicit-def: $vgpr3
; %bb.454:                              ;   in Loop: Header=BB380_13 Depth=1
	s_andn2_saveexec_b64 s[30:31], s[8:9]
; %bb.455:                              ;   in Loop: Header=BB380_13 Depth=1
	v_or_b32_e32 v5, 0x10000, v3
	v_cmp_eq_u32_sdwa s[8:9], v3, v45 src0_sel:WORD_0 src1_sel:DWORD
	v_cndmask_b32_e64 v0, v5, v3, s[8:9]
	v_accvgpr_write_b32 a8, v0
; %bb.456:                              ;   in Loop: Header=BB380_13 Depth=1
	s_or_b64 exec, exec, s[30:31]
	flat_load_dword v58, v[56:57] offset:2568
	v_mov_b32_e32 v3, 0
	s_waitcnt vmcnt(0) lgkmcnt(0)
	v_cmp_ne_u16_sdwa s[8:9], v58, v45 src0_sel:BYTE_0 src1_sel:DWORD
	s_and_saveexec_b64 s[30:31], s[8:9]
	s_cbranch_execz .LBB380_462
; %bb.457:                              ;   in Loop: Header=BB380_13 Depth=1
	v_cmp_ne_u16_sdwa s[8:9], v58, s39 src0_sel:BYTE_0 src1_sel:DWORD
	v_bfrev_b32_e32 v3, 1
	s_and_saveexec_b64 s[34:35], s[8:9]
	s_cbranch_execz .LBB380_461
; %bb.458:                              ;   in Loop: Header=BB380_13 Depth=1
	v_and_b32_e32 v5, 0x7f, v58
	v_cmp_ne_u32_e64 s[8:9], s40, v5
	v_mov_b32_e32 v3, 0x7f800001
	s_and_saveexec_b64 s[36:37], s[8:9]
	s_cbranch_execz .LBB380_460
; %bb.459:                              ;   in Loop: Header=BB380_13 Depth=1
	v_and_b32_e32 v3, 7, v58
	v_lshrrev_b32_e32 v13, 3, v5
	v_cmp_gt_u32_e64 s[8:9], 8, v5
	v_ffbh_u32_e32 v5, v3
	v_min_u32_e32 v5, 32, v5
	v_subrev_u32_e32 v20, 28, v5
	v_lshlrev_b64 v[20:21], v20, v[58:59]
	v_sub_u32_e32 v5, 29, v5
	v_and_b32_e32 v20, 7, v20
	v_cndmask_b32_e64 v5, v13, v5, s[8:9]
	v_cndmask_b32_e64 v3, v3, v20, s[8:9]
	v_lshlrev_b32_e32 v13, 24, v58
	v_bfrev_b32_e32 v0, 60
	v_lshlrev_b32_e32 v3, 20, v3
	v_and_b32_e32 v13, 0x80000000, v13
	v_lshl_add_u32 v5, v5, 23, v0
	v_or3_b32 v3, v13, v5, v3
.LBB380_460:                            ;   in Loop: Header=BB380_13 Depth=1
	s_or_b64 exec, exec, s[36:37]
.LBB380_461:                            ;   in Loop: Header=BB380_13 Depth=1
	s_or_b64 exec, exec, s[34:35]
.LBB380_462:                            ;   in Loop: Header=BB380_13 Depth=1
	s_or_b64 exec, exec, s[30:31]
	v_mul_f32_e32 v5, v12, v3
	v_and_b32_e32 v3, 0x7f800000, v5
	v_cmp_ne_u32_e64 s[8:9], s41, v3
                                        ; implicit-def: $agpr14
	s_and_saveexec_b64 s[30:31], s[8:9]
	s_xor_b64 s[8:9], exec, s[30:31]
; %bb.463:                              ;   in Loop: Header=BB380_13 Depth=1
	v_bfe_u32 v3, v5, 16, 1
	v_add3_u32 v0, v5, v3, s42
	v_accvgpr_write_b32 a14, v0
                                        ; implicit-def: $vgpr5
; %bb.464:                              ;   in Loop: Header=BB380_13 Depth=1
	s_andn2_saveexec_b64 s[30:31], s[8:9]
; %bb.465:                              ;   in Loop: Header=BB380_13 Depth=1
	v_or_b32_e32 v3, 0x10000, v5
	v_cmp_eq_u32_sdwa s[8:9], v5, v45 src0_sel:WORD_0 src1_sel:DWORD
	v_cndmask_b32_e64 v0, v3, v5, s[8:9]
	v_accvgpr_write_b32 a14, v0
; %bb.466:                              ;   in Loop: Header=BB380_13 Depth=1
	s_or_b64 exec, exec, s[30:31]
	v_lshrrev_b16_e32 v60, 8, v58
	v_cmp_ne_u16_e64 s[8:9], 0, v60
	v_mov_b32_e32 v5, 0
	s_and_saveexec_b64 s[30:31], s[8:9]
	s_cbranch_execz .LBB380_472
; %bb.467:                              ;   in Loop: Header=BB380_13 Depth=1
	v_cmp_ne_u16_e64 s[8:9], s39, v60
	v_bfrev_b32_e32 v5, 1
	s_and_saveexec_b64 s[34:35], s[8:9]
	s_cbranch_execz .LBB380_471
; %bb.468:                              ;   in Loop: Header=BB380_13 Depth=1
	v_and_b32_e32 v13, 0x7f, v60
	v_cmp_ne_u32_e64 s[8:9], s40, v13
	v_mov_b32_e32 v5, 0x7f800001
	s_and_saveexec_b64 s[36:37], s[8:9]
	s_cbranch_execz .LBB380_470
; %bb.469:                              ;   in Loop: Header=BB380_13 Depth=1
	v_and_b32_e32 v5, 7, v60
	v_lshrrev_b32_e32 v22, 3, v13
	v_cmp_gt_u32_e64 s[8:9], 8, v13
	v_ffbh_u32_e32 v13, v5
	v_min_u32_e32 v13, 32, v13
	v_subrev_u32_e32 v20, 28, v13
	v_lshlrev_b64 v[20:21], v20, v[60:61]
	v_sub_u32_e32 v13, 29, v13
	v_and_b32_e32 v20, 7, v20
	v_cndmask_b32_e64 v13, v22, v13, s[8:9]
	v_cndmask_b32_e64 v5, v5, v20, s[8:9]
	v_lshlrev_b32_e32 v20, 16, v58
	v_bfrev_b32_e32 v0, 60
	v_lshlrev_b32_e32 v5, 20, v5
	v_and_b32_e32 v20, 0x80000000, v20
	v_lshl_add_u32 v13, v13, 23, v0
	v_or3_b32 v5, v20, v13, v5
.LBB380_470:                            ;   in Loop: Header=BB380_13 Depth=1
	s_or_b64 exec, exec, s[36:37]
.LBB380_471:                            ;   in Loop: Header=BB380_13 Depth=1
	s_or_b64 exec, exec, s[34:35]
.LBB380_472:                            ;   in Loop: Header=BB380_13 Depth=1
	s_or_b64 exec, exec, s[30:31]
	v_mul_f32_e32 v13, v12, v5
	v_and_b32_e32 v5, 0x7f800000, v13
	v_cmp_ne_u32_e64 s[8:9], s41, v5
                                        ; implicit-def: $agpr7
	s_and_saveexec_b64 s[30:31], s[8:9]
	s_xor_b64 s[8:9], exec, s[30:31]
; %bb.473:                              ;   in Loop: Header=BB380_13 Depth=1
	v_bfe_u32 v5, v13, 16, 1
	v_add3_u32 v0, v13, v5, s42
	v_accvgpr_write_b32 a7, v0
                                        ; implicit-def: $vgpr13
; %bb.474:                              ;   in Loop: Header=BB380_13 Depth=1
	s_andn2_saveexec_b64 s[30:31], s[8:9]
; %bb.475:                              ;   in Loop: Header=BB380_13 Depth=1
	v_or_b32_e32 v5, 0x10000, v13
	v_cmp_eq_u32_sdwa s[8:9], v13, v45 src0_sel:WORD_0 src1_sel:DWORD
	v_cndmask_b32_e64 v0, v5, v13, s[8:9]
	v_accvgpr_write_b32 a7, v0
; %bb.476:                              ;   in Loop: Header=BB380_13 Depth=1
	s_or_b64 exec, exec, s[30:31]
	v_lshrrev_b32_e32 v60, 16, v58
	v_cmp_ne_u16_sdwa s[8:9], v60, v45 src0_sel:BYTE_0 src1_sel:DWORD
	v_mov_b32_e32 v13, 0
	s_and_saveexec_b64 s[30:31], s[8:9]
	s_cbranch_execz .LBB380_482
; %bb.477:                              ;   in Loop: Header=BB380_13 Depth=1
	v_cmp_ne_u16_sdwa s[8:9], v60, s39 src0_sel:BYTE_0 src1_sel:DWORD
	v_bfrev_b32_e32 v13, 1
	s_and_saveexec_b64 s[34:35], s[8:9]
	s_cbranch_execz .LBB380_481
; %bb.478:                              ;   in Loop: Header=BB380_13 Depth=1
	v_bfe_u32 v20, v58, 16, 7
	v_cmp_ne_u32_e64 s[8:9], s40, v20
	v_mov_b32_e32 v13, 0x7f800001
	s_and_saveexec_b64 s[36:37], s[8:9]
	s_cbranch_execz .LBB380_480
; %bb.479:                              ;   in Loop: Header=BB380_13 Depth=1
	v_and_b32_e32 v13, 7, v60
	v_lshrrev_b32_e32 v22, 3, v20
	v_cmp_gt_u32_e64 s[8:9], 8, v20
	v_ffbh_u32_e32 v20, v13
	v_min_u32_e32 v40, 32, v20
	v_subrev_u32_e32 v20, 28, v40
	v_lshlrev_b64 v[20:21], v20, v[60:61]
	v_sub_u32_e32 v21, 29, v40
	v_and_b32_e32 v20, 7, v20
	v_cndmask_b32_e64 v21, v22, v21, s[8:9]
	v_cndmask_b32_e64 v13, v13, v20, s[8:9]
	v_lshlrev_b32_e32 v20, 24, v60
	v_bfrev_b32_e32 v0, 60
	v_lshlrev_b32_e32 v13, 20, v13
	v_and_b32_e32 v20, 0x80000000, v20
	v_lshl_add_u32 v21, v21, 23, v0
	v_or3_b32 v13, v20, v21, v13
.LBB380_480:                            ;   in Loop: Header=BB380_13 Depth=1
	s_or_b64 exec, exec, s[36:37]
.LBB380_481:                            ;   in Loop: Header=BB380_13 Depth=1
	s_or_b64 exec, exec, s[34:35]
.LBB380_482:                            ;   in Loop: Header=BB380_13 Depth=1
	s_or_b64 exec, exec, s[30:31]
	v_mul_f32_e32 v20, v12, v13
	v_and_b32_e32 v13, 0x7f800000, v20
	v_cmp_ne_u32_e64 s[8:9], s41, v13
                                        ; implicit-def: $agpr9
	s_and_saveexec_b64 s[30:31], s[8:9]
	s_xor_b64 s[8:9], exec, s[30:31]
; %bb.483:                              ;   in Loop: Header=BB380_13 Depth=1
	v_bfe_u32 v13, v20, 16, 1
	v_add3_u32 v0, v20, v13, s42
	v_accvgpr_write_b32 a9, v0
                                        ; implicit-def: $vgpr20
; %bb.484:                              ;   in Loop: Header=BB380_13 Depth=1
	s_andn2_saveexec_b64 s[30:31], s[8:9]
; %bb.485:                              ;   in Loop: Header=BB380_13 Depth=1
	v_or_b32_e32 v13, 0x10000, v20
	v_cmp_eq_u32_sdwa s[8:9], v20, v45 src0_sel:WORD_0 src1_sel:DWORD
	v_cndmask_b32_e64 v0, v13, v20, s[8:9]
	v_accvgpr_write_b32 a9, v0
; %bb.486:                              ;   in Loop: Header=BB380_13 Depth=1
	s_or_b64 exec, exec, s[30:31]
	v_cmp_lt_u32_e64 s[8:9], s43, v58
	v_mov_b32_e32 v20, 0
	s_and_saveexec_b64 s[30:31], s[8:9]
	s_cbranch_execz .LBB380_492
; %bb.487:                              ;   in Loop: Header=BB380_13 Depth=1
	v_lshrrev_b32_e32 v60, 24, v58
	v_cmp_ne_u32_e64 s[8:9], s39, v60
	v_bfrev_b32_e32 v20, 1
	s_and_saveexec_b64 s[34:35], s[8:9]
	s_cbranch_execz .LBB380_491
; %bb.488:                              ;   in Loop: Header=BB380_13 Depth=1
	v_bfe_u32 v21, v58, 24, 7
	v_cmp_ne_u32_e64 s[8:9], s40, v21
	v_mov_b32_e32 v20, 0x7f800001
	s_and_saveexec_b64 s[36:37], s[8:9]
	s_cbranch_execz .LBB380_490
; %bb.489:                              ;   in Loop: Header=BB380_13 Depth=1
	v_and_b32_e32 v22, 7, v60
	v_ffbh_u32_e32 v20, v22
	v_min_u32_e32 v42, 32, v20
	v_subrev_u32_e32 v20, 28, v42
	v_lshrrev_b32_e32 v40, 3, v21
	v_cmp_gt_u32_e64 s[8:9], 8, v21
	v_lshlrev_b64 v[20:21], v20, v[60:61]
	v_sub_u32_e32 v21, 29, v42
	v_and_b32_e32 v20, 7, v20
	v_cndmask_b32_e64 v21, v40, v21, s[8:9]
	v_cndmask_b32_e64 v20, v22, v20, s[8:9]
	v_lshlrev_b32_e32 v22, 24, v60
	v_bfrev_b32_e32 v0, 60
	v_lshlrev_b32_e32 v20, 20, v20
	v_and_b32_e32 v22, 0x80000000, v22
	v_lshl_add_u32 v21, v21, 23, v0
	v_or3_b32 v20, v22, v21, v20
.LBB380_490:                            ;   in Loop: Header=BB380_13 Depth=1
	s_or_b64 exec, exec, s[36:37]
.LBB380_491:                            ;   in Loop: Header=BB380_13 Depth=1
	s_or_b64 exec, exec, s[34:35]
.LBB380_492:                            ;   in Loop: Header=BB380_13 Depth=1
	s_or_b64 exec, exec, s[30:31]
	v_mul_f32_e32 v20, v12, v20
	v_and_b32_e32 v21, 0x7f800000, v20
	v_cmp_ne_u32_e64 s[8:9], s41, v21
                                        ; implicit-def: $agpr11
	s_and_saveexec_b64 s[30:31], s[8:9]
	s_xor_b64 s[8:9], exec, s[30:31]
; %bb.493:                              ;   in Loop: Header=BB380_13 Depth=1
	v_bfe_u32 v21, v20, 16, 1
	v_add3_u32 v0, v20, v21, s42
	v_accvgpr_write_b32 a11, v0
                                        ; implicit-def: $vgpr20
; %bb.494:                              ;   in Loop: Header=BB380_13 Depth=1
	s_andn2_saveexec_b64 s[30:31], s[8:9]
; %bb.495:                              ;   in Loop: Header=BB380_13 Depth=1
	v_or_b32_e32 v21, 0x10000, v20
	v_cmp_eq_u32_sdwa s[8:9], v20, v45 src0_sel:WORD_0 src1_sel:DWORD
	v_cndmask_b32_e64 v0, v21, v20, s[8:9]
	v_accvgpr_write_b32 a11, v0
; %bb.496:                              ;   in Loop: Header=BB380_13 Depth=1
	s_or_b64 exec, exec, s[30:31]
	flat_load_dword v58, v[56:57] offset:3072
	v_mov_b32_e32 v20, 0
	s_waitcnt vmcnt(0) lgkmcnt(0)
	v_cmp_ne_u16_sdwa s[8:9], v58, v45 src0_sel:BYTE_0 src1_sel:DWORD
	s_and_saveexec_b64 s[30:31], s[8:9]
	s_cbranch_execz .LBB380_502
; %bb.497:                              ;   in Loop: Header=BB380_13 Depth=1
	v_cmp_ne_u16_sdwa s[8:9], v58, s39 src0_sel:BYTE_0 src1_sel:DWORD
	v_bfrev_b32_e32 v20, 1
	s_and_saveexec_b64 s[34:35], s[8:9]
	s_cbranch_execz .LBB380_501
; %bb.498:                              ;   in Loop: Header=BB380_13 Depth=1
	v_and_b32_e32 v21, 0x7f, v58
	v_cmp_ne_u32_e64 s[8:9], s40, v21
	v_mov_b32_e32 v20, 0x7f800001
	s_and_saveexec_b64 s[36:37], s[8:9]
	s_cbranch_execz .LBB380_500
; %bb.499:                              ;   in Loop: Header=BB380_13 Depth=1
	v_and_b32_e32 v22, 7, v58
	v_ffbh_u32_e32 v20, v22
	v_min_u32_e32 v42, 32, v20
	v_subrev_u32_e32 v20, 28, v42
	v_lshrrev_b32_e32 v40, 3, v21
	v_cmp_gt_u32_e64 s[8:9], 8, v21
	v_lshlrev_b64 v[20:21], v20, v[58:59]
	v_sub_u32_e32 v21, 29, v42
	v_and_b32_e32 v20, 7, v20
	v_cndmask_b32_e64 v21, v40, v21, s[8:9]
	v_cndmask_b32_e64 v20, v22, v20, s[8:9]
	v_lshlrev_b32_e32 v22, 24, v58
	v_bfrev_b32_e32 v0, 60
	v_lshlrev_b32_e32 v20, 20, v20
	v_and_b32_e32 v22, 0x80000000, v22
	v_lshl_add_u32 v21, v21, 23, v0
	v_or3_b32 v20, v22, v21, v20
.LBB380_500:                            ;   in Loop: Header=BB380_13 Depth=1
	s_or_b64 exec, exec, s[36:37]
.LBB380_501:                            ;   in Loop: Header=BB380_13 Depth=1
	s_or_b64 exec, exec, s[34:35]
.LBB380_502:                            ;   in Loop: Header=BB380_13 Depth=1
	s_or_b64 exec, exec, s[30:31]
	v_mul_f32_e32 v20, v12, v20
	v_and_b32_e32 v21, 0x7f800000, v20
	v_cmp_ne_u32_e64 s[8:9], s41, v21
                                        ; implicit-def: $agpr6
	s_and_saveexec_b64 s[30:31], s[8:9]
	s_xor_b64 s[8:9], exec, s[30:31]
; %bb.503:                              ;   in Loop: Header=BB380_13 Depth=1
	v_bfe_u32 v21, v20, 16, 1
	v_add3_u32 v0, v20, v21, s42
	v_accvgpr_write_b32 a6, v0
                                        ; implicit-def: $vgpr20
; %bb.504:                              ;   in Loop: Header=BB380_13 Depth=1
	s_andn2_saveexec_b64 s[30:31], s[8:9]
; %bb.505:                              ;   in Loop: Header=BB380_13 Depth=1
	v_or_b32_e32 v21, 0x10000, v20
	v_cmp_eq_u32_sdwa s[8:9], v20, v45 src0_sel:WORD_0 src1_sel:DWORD
	v_cndmask_b32_e64 v0, v21, v20, s[8:9]
	v_accvgpr_write_b32 a6, v0
; %bb.506:                              ;   in Loop: Header=BB380_13 Depth=1
	s_or_b64 exec, exec, s[30:31]
	v_lshrrev_b16_e32 v60, 8, v58
	v_cmp_ne_u16_e64 s[8:9], 0, v60
	v_mov_b32_e32 v20, 0
	s_and_saveexec_b64 s[30:31], s[8:9]
	s_cbranch_execz .LBB380_512
; %bb.507:                              ;   in Loop: Header=BB380_13 Depth=1
	v_cmp_ne_u16_e64 s[8:9], s39, v60
	v_bfrev_b32_e32 v20, 1
	s_and_saveexec_b64 s[34:35], s[8:9]
	s_cbranch_execz .LBB380_511
; %bb.508:                              ;   in Loop: Header=BB380_13 Depth=1
	v_and_b32_e32 v21, 0x7f, v60
	v_cmp_ne_u32_e64 s[8:9], s40, v21
	v_mov_b32_e32 v20, 0x7f800001
	s_and_saveexec_b64 s[36:37], s[8:9]
	s_cbranch_execz .LBB380_510
; %bb.509:                              ;   in Loop: Header=BB380_13 Depth=1
	v_and_b32_e32 v22, 7, v60
	v_ffbh_u32_e32 v20, v22
	v_min_u32_e32 v43, 32, v20
	v_subrev_u32_e32 v20, 28, v43
	v_lshrrev_b32_e32 v42, 3, v21
	v_cmp_gt_u32_e64 s[8:9], 8, v21
	v_lshlrev_b64 v[20:21], v20, v[60:61]
	v_sub_u32_e32 v21, 29, v43
	v_and_b32_e32 v20, 7, v20
	v_cndmask_b32_e64 v21, v42, v21, s[8:9]
	v_cndmask_b32_e64 v20, v22, v20, s[8:9]
	v_lshlrev_b32_e32 v22, 16, v58
	v_bfrev_b32_e32 v0, 60
	v_lshlrev_b32_e32 v20, 20, v20
	v_and_b32_e32 v22, 0x80000000, v22
	v_lshl_add_u32 v21, v21, 23, v0
	v_or3_b32 v20, v22, v21, v20
.LBB380_510:                            ;   in Loop: Header=BB380_13 Depth=1
	s_or_b64 exec, exec, s[36:37]
.LBB380_511:                            ;   in Loop: Header=BB380_13 Depth=1
	s_or_b64 exec, exec, s[34:35]
.LBB380_512:                            ;   in Loop: Header=BB380_13 Depth=1
	s_or_b64 exec, exec, s[30:31]
	v_mul_f32_e32 v20, v12, v20
	v_and_b32_e32 v21, 0x7f800000, v20
	v_cmp_ne_u32_e64 s[8:9], s41, v21
                                        ; implicit-def: $agpr41
	s_and_saveexec_b64 s[30:31], s[8:9]
	s_xor_b64 s[8:9], exec, s[30:31]
; %bb.513:                              ;   in Loop: Header=BB380_13 Depth=1
	v_bfe_u32 v21, v20, 16, 1
	v_add3_u32 v0, v20, v21, s42
	v_accvgpr_write_b32 a41, v0
                                        ; implicit-def: $vgpr20
; %bb.514:                              ;   in Loop: Header=BB380_13 Depth=1
	s_andn2_saveexec_b64 s[30:31], s[8:9]
; %bb.515:                              ;   in Loop: Header=BB380_13 Depth=1
	v_or_b32_e32 v21, 0x10000, v20
	v_cmp_eq_u32_sdwa s[8:9], v20, v45 src0_sel:WORD_0 src1_sel:DWORD
	v_cndmask_b32_e64 v0, v21, v20, s[8:9]
	v_accvgpr_write_b32 a41, v0
; %bb.516:                              ;   in Loop: Header=BB380_13 Depth=1
	s_or_b64 exec, exec, s[30:31]
	v_lshrrev_b32_e32 v60, 16, v58
	v_cmp_ne_u16_sdwa s[8:9], v60, v45 src0_sel:BYTE_0 src1_sel:DWORD
	v_mov_b32_e32 v20, 0
	s_and_saveexec_b64 s[30:31], s[8:9]
	s_cbranch_execz .LBB380_522
; %bb.517:                              ;   in Loop: Header=BB380_13 Depth=1
	v_cmp_ne_u16_sdwa s[8:9], v60, s39 src0_sel:BYTE_0 src1_sel:DWORD
	v_bfrev_b32_e32 v20, 1
	s_and_saveexec_b64 s[34:35], s[8:9]
	s_cbranch_execz .LBB380_521
; %bb.518:                              ;   in Loop: Header=BB380_13 Depth=1
	v_bfe_u32 v22, v58, 16, 7
	v_cmp_ne_u32_e64 s[8:9], s40, v22
	v_mov_b32_e32 v20, 0x7f800001
	s_and_saveexec_b64 s[36:37], s[8:9]
	s_cbranch_execz .LBB380_520
; %bb.519:                              ;   in Loop: Header=BB380_13 Depth=1
	v_and_b32_e32 v20, 7, v60
	v_lshrrev_b32_e32 v44, 3, v22
	v_cmp_gt_u32_e64 s[8:9], 8, v22
	v_ffbh_u32_e32 v22, v20
	v_min_u32_e32 v22, 32, v22
	v_subrev_u32_e32 v42, 28, v22
	v_lshlrev_b64 v[42:43], v42, v[60:61]
	v_sub_u32_e32 v22, 29, v22
	v_and_b32_e32 v42, 7, v42
	v_cndmask_b32_e64 v22, v44, v22, s[8:9]
	v_cndmask_b32_e64 v20, v20, v42, s[8:9]
	v_lshlrev_b32_e32 v42, 24, v60
	v_bfrev_b32_e32 v0, 60
	v_lshlrev_b32_e32 v20, 20, v20
	v_and_b32_e32 v42, 0x80000000, v42
	v_lshl_add_u32 v22, v22, 23, v0
	v_or3_b32 v20, v42, v22, v20
.LBB380_520:                            ;   in Loop: Header=BB380_13 Depth=1
	s_or_b64 exec, exec, s[36:37]
.LBB380_521:                            ;   in Loop: Header=BB380_13 Depth=1
	s_or_b64 exec, exec, s[34:35]
.LBB380_522:                            ;   in Loop: Header=BB380_13 Depth=1
	s_or_b64 exec, exec, s[30:31]
	v_mul_f32_e32 v20, v12, v20
	v_and_b32_e32 v22, 0x7f800000, v20
	v_cmp_ne_u32_e64 s[8:9], s41, v22
                                        ; implicit-def: $vgpr44
	s_and_saveexec_b64 s[30:31], s[8:9]
	s_xor_b64 s[8:9], exec, s[30:31]
; %bb.523:                              ;   in Loop: Header=BB380_13 Depth=1
	v_bfe_u32 v22, v20, 16, 1
	v_add3_u32 v44, v20, v22, s42
                                        ; implicit-def: $vgpr20
; %bb.524:                              ;   in Loop: Header=BB380_13 Depth=1
	s_andn2_saveexec_b64 s[30:31], s[8:9]
; %bb.525:                              ;   in Loop: Header=BB380_13 Depth=1
	v_or_b32_e32 v22, 0x10000, v20
	v_cmp_eq_u32_sdwa s[8:9], v20, v45 src0_sel:WORD_0 src1_sel:DWORD
	v_cndmask_b32_e64 v44, v22, v20, s[8:9]
; %bb.526:                              ;   in Loop: Header=BB380_13 Depth=1
	s_or_b64 exec, exec, s[30:31]
	v_cmp_lt_u32_e64 s[8:9], s43, v58
	v_mov_b32_e32 v20, 0
	s_and_saveexec_b64 s[30:31], s[8:9]
	s_cbranch_execz .LBB380_532
; %bb.527:                              ;   in Loop: Header=BB380_13 Depth=1
	v_lshrrev_b32_e32 v60, 24, v58
	v_cmp_ne_u32_e64 s[8:9], s39, v60
	v_bfrev_b32_e32 v20, 1
	s_and_saveexec_b64 s[34:35], s[8:9]
	s_cbranch_execz .LBB380_531
; %bb.528:                              ;   in Loop: Header=BB380_13 Depth=1
	v_bfe_u32 v22, v58, 24, 7
	v_cmp_ne_u32_e64 s[8:9], s40, v22
	v_mov_b32_e32 v20, 0x7f800001
	s_and_saveexec_b64 s[36:37], s[8:9]
	s_cbranch_execz .LBB380_530
; %bb.529:                              ;   in Loop: Header=BB380_13 Depth=1
	v_and_b32_e32 v20, 7, v60
	v_lshrrev_b32_e32 v58, 3, v22
	v_cmp_gt_u32_e64 s[8:9], 8, v22
	v_ffbh_u32_e32 v22, v20
	v_min_u32_e32 v22, 32, v22
	v_subrev_u32_e32 v42, 28, v22
	v_lshlrev_b64 v[42:43], v42, v[60:61]
	v_sub_u32_e32 v22, 29, v22
	v_and_b32_e32 v42, 7, v42
	v_cndmask_b32_e64 v22, v58, v22, s[8:9]
	v_cndmask_b32_e64 v20, v20, v42, s[8:9]
	v_lshlrev_b32_e32 v42, 24, v60
	v_bfrev_b32_e32 v0, 60
	v_lshlrev_b32_e32 v20, 20, v20
	v_and_b32_e32 v42, 0x80000000, v42
	v_lshl_add_u32 v22, v22, 23, v0
	v_or3_b32 v20, v42, v22, v20
.LBB380_530:                            ;   in Loop: Header=BB380_13 Depth=1
	s_or_b64 exec, exec, s[36:37]
.LBB380_531:                            ;   in Loop: Header=BB380_13 Depth=1
	s_or_b64 exec, exec, s[34:35]
.LBB380_532:                            ;   in Loop: Header=BB380_13 Depth=1
	s_or_b64 exec, exec, s[30:31]
	v_mul_f32_e32 v20, v12, v20
	v_and_b32_e32 v22, 0x7f800000, v20
	v_cmp_ne_u32_e64 s[8:9], s41, v22
                                        ; implicit-def: $vgpr60
	s_and_saveexec_b64 s[30:31], s[8:9]
	s_xor_b64 s[8:9], exec, s[30:31]
; %bb.533:                              ;   in Loop: Header=BB380_13 Depth=1
	v_bfe_u32 v22, v20, 16, 1
	v_add3_u32 v60, v20, v22, s42
                                        ; implicit-def: $vgpr20
; %bb.534:                              ;   in Loop: Header=BB380_13 Depth=1
	s_andn2_saveexec_b64 s[30:31], s[8:9]
; %bb.535:                              ;   in Loop: Header=BB380_13 Depth=1
	v_or_b32_e32 v22, 0x10000, v20
	v_cmp_eq_u32_sdwa s[8:9], v20, v45 src0_sel:WORD_0 src1_sel:DWORD
	v_cndmask_b32_e64 v60, v22, v20, s[8:9]
; %bb.536:                              ;   in Loop: Header=BB380_13 Depth=1
	s_or_b64 exec, exec, s[30:31]
	flat_load_dword v56, v[56:57] offset:3080
	v_mov_b32_e32 v20, 0
	s_waitcnt vmcnt(0) lgkmcnt(0)
	v_cmp_ne_u16_sdwa s[8:9], v56, v45 src0_sel:BYTE_0 src1_sel:DWORD
	s_and_saveexec_b64 s[30:31], s[8:9]
	s_cbranch_execz .LBB380_542
; %bb.537:                              ;   in Loop: Header=BB380_13 Depth=1
	v_cmp_ne_u16_sdwa s[8:9], v56, s39 src0_sel:BYTE_0 src1_sel:DWORD
	v_bfrev_b32_e32 v20, 1
	s_and_saveexec_b64 s[34:35], s[8:9]
	s_cbranch_execz .LBB380_541
; %bb.538:                              ;   in Loop: Header=BB380_13 Depth=1
	v_and_b32_e32 v22, 0x7f, v56
	v_cmp_ne_u32_e64 s[8:9], s40, v22
	v_mov_b32_e32 v20, 0x7f800001
	s_and_saveexec_b64 s[36:37], s[8:9]
	s_cbranch_execz .LBB380_540
; %bb.539:                              ;   in Loop: Header=BB380_13 Depth=1
	v_and_b32_e32 v20, 7, v56
	v_lshrrev_b32_e32 v57, 3, v22
	v_cmp_gt_u32_e64 s[8:9], 8, v22
	v_ffbh_u32_e32 v22, v20
	v_min_u32_e32 v22, 32, v22
	v_subrev_u32_e32 v42, 28, v22
	v_lshlrev_b64 v[42:43], v42, v[56:57]
	v_sub_u32_e32 v22, 29, v22
	v_and_b32_e32 v42, 7, v42
	v_cndmask_b32_e64 v22, v57, v22, s[8:9]
	v_cndmask_b32_e64 v20, v20, v42, s[8:9]
	v_lshlrev_b32_e32 v42, 24, v56
	v_bfrev_b32_e32 v0, 60
	v_lshlrev_b32_e32 v20, 20, v20
	v_and_b32_e32 v42, 0x80000000, v42
	v_lshl_add_u32 v22, v22, 23, v0
	v_or3_b32 v20, v42, v22, v20
.LBB380_540:                            ;   in Loop: Header=BB380_13 Depth=1
	s_or_b64 exec, exec, s[36:37]
.LBB380_541:                            ;   in Loop: Header=BB380_13 Depth=1
	s_or_b64 exec, exec, s[34:35]
.LBB380_542:                            ;   in Loop: Header=BB380_13 Depth=1
	s_or_b64 exec, exec, s[30:31]
	v_mul_f32_e32 v20, v12, v20
	v_and_b32_e32 v22, 0x7f800000, v20
	v_cmp_ne_u32_e64 s[8:9], s41, v22
                                        ; implicit-def: $vgpr57
	s_and_saveexec_b64 s[30:31], s[8:9]
	s_xor_b64 s[8:9], exec, s[30:31]
; %bb.543:                              ;   in Loop: Header=BB380_13 Depth=1
	v_bfe_u32 v22, v20, 16, 1
	v_add3_u32 v57, v20, v22, s42
                                        ; implicit-def: $vgpr20
; %bb.544:                              ;   in Loop: Header=BB380_13 Depth=1
	s_andn2_saveexec_b64 s[30:31], s[8:9]
; %bb.545:                              ;   in Loop: Header=BB380_13 Depth=1
	v_or_b32_e32 v22, 0x10000, v20
	v_cmp_eq_u32_sdwa s[8:9], v20, v45 src0_sel:WORD_0 src1_sel:DWORD
	v_cndmask_b32_e64 v57, v22, v20, s[8:9]
; %bb.546:                              ;   in Loop: Header=BB380_13 Depth=1
	s_or_b64 exec, exec, s[30:31]
	v_lshrrev_b16_e32 v58, 8, v56
	v_cmp_ne_u16_e64 s[8:9], 0, v58
	v_mov_b32_e32 v20, 0
	s_and_saveexec_b64 s[30:31], s[8:9]
	s_cbranch_execz .LBB380_552
; %bb.547:                              ;   in Loop: Header=BB380_13 Depth=1
	v_cmp_ne_u16_e64 s[8:9], s39, v58
	v_bfrev_b32_e32 v20, 1
	s_and_saveexec_b64 s[34:35], s[8:9]
	s_cbranch_execz .LBB380_551
; %bb.548:                              ;   in Loop: Header=BB380_13 Depth=1
	v_and_b32_e32 v22, 0x7f, v58
	v_cmp_ne_u32_e64 s[8:9], s40, v22
	v_mov_b32_e32 v20, 0x7f800001
	s_and_saveexec_b64 s[36:37], s[8:9]
	s_cbranch_execz .LBB380_550
; %bb.549:                              ;   in Loop: Header=BB380_13 Depth=1
	v_and_b32_e32 v20, 7, v58
	v_lshrrev_b32_e32 v31, 3, v22
	v_cmp_gt_u32_e64 s[8:9], 8, v22
	v_ffbh_u32_e32 v22, v20
	v_min_u32_e32 v22, 32, v22
	v_subrev_u32_e32 v42, 28, v22
	v_lshlrev_b64 v[42:43], v42, v[58:59]
	v_sub_u32_e32 v22, 29, v22
	v_and_b32_e32 v42, 7, v42
	v_cndmask_b32_e64 v22, v31, v22, s[8:9]
	v_cndmask_b32_e64 v20, v20, v42, s[8:9]
	v_lshlrev_b32_e32 v31, 16, v56
	v_bfrev_b32_e32 v0, 60
	v_lshlrev_b32_e32 v20, 20, v20
	v_and_b32_e32 v31, 0x80000000, v31
	v_lshl_add_u32 v22, v22, 23, v0
	v_or3_b32 v20, v31, v22, v20
.LBB380_550:                            ;   in Loop: Header=BB380_13 Depth=1
	s_or_b64 exec, exec, s[36:37]
.LBB380_551:                            ;   in Loop: Header=BB380_13 Depth=1
	s_or_b64 exec, exec, s[34:35]
.LBB380_552:                            ;   in Loop: Header=BB380_13 Depth=1
	s_or_b64 exec, exec, s[30:31]
	v_mul_f32_e32 v22, v12, v20
	v_and_b32_e32 v20, 0x7f800000, v22
	v_cmp_ne_u32_e64 s[8:9], s41, v20
                                        ; implicit-def: $vgpr20
	s_and_saveexec_b64 s[30:31], s[8:9]
	s_xor_b64 s[8:9], exec, s[30:31]
; %bb.553:                              ;   in Loop: Header=BB380_13 Depth=1
	v_bfe_u32 v20, v22, 16, 1
	v_add3_u32 v20, v22, v20, s42
                                        ; implicit-def: $vgpr22
; %bb.554:                              ;   in Loop: Header=BB380_13 Depth=1
	s_andn2_saveexec_b64 s[30:31], s[8:9]
; %bb.555:                              ;   in Loop: Header=BB380_13 Depth=1
	v_or_b32_e32 v20, 0x10000, v22
	v_cmp_eq_u32_sdwa s[8:9], v22, v45 src0_sel:WORD_0 src1_sel:DWORD
	v_cndmask_b32_e64 v20, v20, v22, s[8:9]
; %bb.556:                              ;   in Loop: Header=BB380_13 Depth=1
	s_or_b64 exec, exec, s[30:31]
	v_lshrrev_b32_e32 v58, 16, v56
	v_cmp_ne_u16_sdwa s[8:9], v58, v45 src0_sel:BYTE_0 src1_sel:DWORD
	v_mov_b32_e32 v22, 0
	s_and_saveexec_b64 s[30:31], s[8:9]
	s_cbranch_execz .LBB380_562
; %bb.557:                              ;   in Loop: Header=BB380_13 Depth=1
	v_cmp_ne_u16_sdwa s[8:9], v58, s39 src0_sel:BYTE_0 src1_sel:DWORD
	v_bfrev_b32_e32 v22, 1
	s_and_saveexec_b64 s[34:35], s[8:9]
	s_cbranch_execz .LBB380_561
; %bb.558:                              ;   in Loop: Header=BB380_13 Depth=1
	v_bfe_u32 v42, v56, 16, 7
	v_cmp_ne_u32_e64 s[8:9], s40, v42
	v_mov_b32_e32 v22, 0x7f800001
	s_and_saveexec_b64 s[36:37], s[8:9]
	s_cbranch_execz .LBB380_560
; %bb.559:                              ;   in Loop: Header=BB380_13 Depth=1
	v_and_b32_e32 v22, 7, v58
	v_lshrrev_b32_e32 v31, 3, v42
	v_cmp_gt_u32_e64 s[8:9], 8, v42
	v_ffbh_u32_e32 v42, v22
	v_min_u32_e32 v11, 32, v42
	v_subrev_u32_e32 v42, 28, v11
	v_lshlrev_b64 v[42:43], v42, v[58:59]
	v_sub_u32_e32 v11, 29, v11
	v_and_b32_e32 v42, 7, v42
	v_cndmask_b32_e64 v11, v31, v11, s[8:9]
	v_cndmask_b32_e64 v22, v22, v42, s[8:9]
	v_lshlrev_b32_e32 v31, 24, v58
	v_bfrev_b32_e32 v0, 60
	v_lshlrev_b32_e32 v22, 20, v22
	v_and_b32_e32 v31, 0x80000000, v31
	v_lshl_add_u32 v11, v11, 23, v0
	v_or3_b32 v22, v31, v11, v22
.LBB380_560:                            ;   in Loop: Header=BB380_13 Depth=1
	s_or_b64 exec, exec, s[36:37]
.LBB380_561:                            ;   in Loop: Header=BB380_13 Depth=1
	s_or_b64 exec, exec, s[34:35]
.LBB380_562:                            ;   in Loop: Header=BB380_13 Depth=1
	s_or_b64 exec, exec, s[30:31]
	v_mul_f32_e32 v42, v12, v22
	v_and_b32_e32 v11, 0x7f800000, v42
	v_cmp_ne_u32_e64 s[8:9], s41, v11
                                        ; implicit-def: $vgpr22
	s_and_saveexec_b64 s[30:31], s[8:9]
	s_xor_b64 s[8:9], exec, s[30:31]
; %bb.563:                              ;   in Loop: Header=BB380_13 Depth=1
	v_bfe_u32 v11, v42, 16, 1
	v_add3_u32 v22, v42, v11, s42
                                        ; implicit-def: $vgpr42
; %bb.564:                              ;   in Loop: Header=BB380_13 Depth=1
	s_andn2_saveexec_b64 s[30:31], s[8:9]
; %bb.565:                              ;   in Loop: Header=BB380_13 Depth=1
	v_or_b32_e32 v11, 0x10000, v42
	v_cmp_eq_u32_sdwa s[8:9], v42, v45 src0_sel:WORD_0 src1_sel:DWORD
	v_cndmask_b32_e64 v22, v11, v42, s[8:9]
; %bb.566:                              ;   in Loop: Header=BB380_13 Depth=1
	s_or_b64 exec, exec, s[30:31]
	v_cmp_lt_u32_e64 s[8:9], s43, v56
	v_mov_b32_e32 v42, 0
	s_and_saveexec_b64 s[30:31], s[8:9]
	s_cbranch_execz .LBB380_572
; %bb.567:                              ;   in Loop: Header=BB380_13 Depth=1
	v_lshrrev_b32_e32 v58, 24, v56
	v_cmp_ne_u32_e64 s[8:9], s39, v58
	v_bfrev_b32_e32 v42, 1
	s_and_saveexec_b64 s[34:35], s[8:9]
	s_cbranch_execz .LBB380_571
; %bb.568:                              ;   in Loop: Header=BB380_13 Depth=1
	v_bfe_u32 v56, v56, 24, 7
	v_cmp_ne_u32_e64 s[8:9], s40, v56
	v_mov_b32_e32 v42, 0x7f800001
	s_and_saveexec_b64 s[36:37], s[8:9]
	s_cbranch_execz .LBB380_570
; %bb.569:                              ;   in Loop: Header=BB380_13 Depth=1
	v_and_b32_e32 v11, 7, v58
	v_ffbh_u32_e32 v42, v11
	v_lshrrev_b32_e32 v31, 3, v56
	v_cmp_gt_u32_e64 s[8:9], 8, v56
	v_min_u32_e32 v56, 32, v42
	v_subrev_u32_e32 v42, 28, v56
	v_lshlrev_b64 v[42:43], v42, v[58:59]
	v_sub_u32_e32 v43, 29, v56
	v_and_b32_e32 v42, 7, v42
	v_cndmask_b32_e64 v31, v31, v43, s[8:9]
	v_cndmask_b32_e64 v11, v11, v42, s[8:9]
	v_lshlrev_b32_e32 v42, 24, v58
	v_bfrev_b32_e32 v0, 60
	v_lshlrev_b32_e32 v11, 20, v11
	v_and_b32_e32 v42, 0x80000000, v42
	v_lshl_add_u32 v31, v31, 23, v0
	v_or3_b32 v42, v42, v31, v11
.LBB380_570:                            ;   in Loop: Header=BB380_13 Depth=1
	s_or_b64 exec, exec, s[36:37]
.LBB380_571:                            ;   in Loop: Header=BB380_13 Depth=1
	s_or_b64 exec, exec, s[34:35]
.LBB380_572:                            ;   in Loop: Header=BB380_13 Depth=1
	s_or_b64 exec, exec, s[30:31]
	v_mul_f32_e32 v42, v12, v42
	v_and_b32_e32 v11, 0x7f800000, v42
	v_cmp_ne_u32_e64 s[8:9], s41, v11
                                        ; implicit-def: $vgpr12
	s_and_saveexec_b64 s[30:31], s[8:9]
	s_xor_b64 s[8:9], exec, s[30:31]
; %bb.573:                              ;   in Loop: Header=BB380_13 Depth=1
	v_bfe_u32 v11, v42, 16, 1
	v_add3_u32 v12, v42, v11, s42
                                        ; implicit-def: $vgpr42
; %bb.574:                              ;   in Loop: Header=BB380_13 Depth=1
	s_or_saveexec_b64 s[30:31], s[8:9]
	v_accvgpr_write_b32 a42, v23
	s_xor_b64 exec, exec, s[30:31]
; %bb.575:                              ;   in Loop: Header=BB380_13 Depth=1
	v_or_b32_e32 v11, 0x10000, v42
	v_cmp_eq_u32_sdwa s[8:9], v42, v45 src0_sel:WORD_0 src1_sel:DWORD
	v_cndmask_b32_e64 v12, v11, v42, s[8:9]
; %bb.576:                              ;   in Loop: Header=BB380_13 Depth=1
	s_or_b64 exec, exec, s[30:31]
	v_lshlrev_b32_e32 v31, 16, v53
	v_and_b32_e32 v10, 0xffff0000, v53
	v_lshlrev_b32_e32 v29, 16, v51
	v_and_b32_e32 v23, 0xffff0000, v51
	;; [unrolled: 2-line block ×5, first 2 shown]
	v_accvgpr_read_b32 v6, a53
	v_lshlrev_b32_e32 v43, 16, v54
	v_and_b32_e32 v6, 0xffff0000, v6
	v_lshlrev_b32_e32 v11, 16, v52
	v_lshlrev_b32_e32 v58, 16, v55
	v_and_b32_e32 v25, 0xffff0000, v54
	v_and_b32_e32 v24, 0xffff0000, v55
	v_lshlrev_b32_e32 v0, 16, v32
	v_lshlrev_b32_e32 v54, 16, v34
	v_and_b32_e32 v21, 0xffff0000, v32
	v_and_b32_e32 v55, 0xffff0000, v34
	v_lshlrev_b32_e32 v32, 16, v7
	v_and_b32_e32 v34, 0xffff0000, v7
	v_mul_f32_e32 v6, v43, v6
	v_and_b32_e32 v7, 0xffff0000, v15
	v_fmac_f32_e32 v6, v11, v7
	v_accvgpr_read_b32 v7, a54
	v_lshlrev_b32_e32 v2, 16, v36
	v_lshlrev_b32_e32 v30, 16, v37
	;; [unrolled: 1-line block ×3, first 2 shown]
	v_and_b32_e32 v13, 0xffff0000, v36
	v_and_b32_e32 v62, 0xffff0000, v37
	;; [unrolled: 1-line block ×3, first 2 shown]
	v_lshlrev_b32_e32 v42, 16, v33
	v_and_b32_e32 v56, 0xffff0000, v33
	v_lshlrev_b32_e32 v37, 16, v18
	v_lshlrev_b32_e32 v33, 16, v19
	v_and_b32_e32 v39, 0xffff0000, v18
	v_and_b32_e32 v36, 0xffff0000, v19
	v_lshlrev_b32_e32 v18, 16, v8
	v_and_b32_e32 v19, 0xffff0000, v8
	v_and_b32_e32 v7, 0xffff0000, v7
	v_accvgpr_read_b32 v8, a50
	v_and_b32_e32 v4, 0xffff0000, v52
	v_mul_f32_e32 v7, v25, v7
	v_and_b32_e32 v8, 0xffff0000, v8
	v_fmac_f32_e32 v7, v4, v8
	v_accvgpr_read_b32 v4, a55
	v_and_b32_e32 v4, 0xffff0000, v4
	v_mul_f32_e32 v8, v58, v4
	v_accvgpr_read_b32 v4, a51
	v_and_b32_e32 v4, 0xffff0000, v4
	v_fmac_f32_e32 v8, v31, v4
	v_accvgpr_read_b32 v4, a56
	v_and_b32_e32 v4, 0xffff0000, v4
	v_lshlrev_b32_e32 v27, 16, v48
	v_lshlrev_b32_e32 v26, 16, v49
	;; [unrolled: 1-line block ×3, first 2 shown]
	v_and_b32_e32 v41, 0xffff0000, v48
	v_and_b32_e32 v14, 0xffff0000, v49
	;; [unrolled: 1-line block ×3, first 2 shown]
	v_lshlrev_b32_e32 v50, 16, v16
	v_lshlrev_b32_e32 v48, 16, v17
	v_and_b32_e32 v52, 0xffff0000, v16
	v_and_b32_e32 v49, 0xffff0000, v17
	v_lshlrev_b32_e32 v16, 16, v9
	v_and_b32_e32 v17, 0xffff0000, v9
	v_mul_f32_e32 v9, v24, v4
	v_accvgpr_read_b32 v4, a52
	v_and_b32_e32 v4, 0xffff0000, v4
	v_fmac_f32_e32 v9, v10, v4
	v_accvgpr_read_b32 v4, a57
	v_and_b32_e32 v4, 0xffff0000, v4
	v_fmac_f32_e32 v6, v27, v4
	;; [unrolled: 3-line block ×7, first 2 shown]
	buffer_load_dword v61, off, s[0:3], s32 offset:240 ; 4-byte Folded Reload
	v_accvgpr_read_b32 v4, a63
	v_and_b32_e32 v4, 0xffff0000, v4
	v_fmac_f32_e32 v8, v29, v4
	v_accvgpr_read_b32 v4, a27
	v_and_b32_e32 v4, 0xffff0000, v4
	v_fmac_f32_e32 v9, v23, v4
	;; [unrolled: 3-line block ×11, first 2 shown]
	v_accvgpr_read_b32 v0, a15
	v_accvgpr_read_b32 v15, a17
	v_and_b32_e32 v0, 0xffff0000, v0
	v_and_b32_e32 v23, 0xffff0000, v15
	v_accvgpr_read_b32 v15, a19
	v_fmac_f32_e32 v7, v21, v0
	v_accvgpr_read_b32 v0, a41
	v_and_b32_e32 v24, 0xffff0000, v15
	v_accvgpr_read_b32 v15, a20
	v_and_b32_e32 v21, 0xffff0000, v0
	;; [unrolled: 2-line block ×6, first 2 shown]
	v_and_b32_e32 v44, 0xffff0000, v60
	v_and_b32_e32 v60, 0xffff0000, v0
	v_accvgpr_read_b32 v0, a11
	v_and_b32_e32 v28, 0xffff0000, v15
	v_accvgpr_read_b32 v15, a23
	;; [unrolled: 2-line block ×9, first 2 shown]
	v_and_b32_e32 v43, 0xffff0000, v15
	v_and_b32_e32 v2, 0xffff0000, v0
	v_accvgpr_read_b32 v0, a46
	v_accvgpr_read_b32 v10, a16
	v_fmac_f32_e32 v9, v56, v43
	v_fmac_f32_e32 v6, v54, v31
	v_and_b32_e32 v30, 0xffff0000, v0
	v_accvgpr_read_b32 v0, a5
	v_accvgpr_read_b32 v4, a4
	v_and_b32_e32 v10, 0xffff0000, v10
	v_fmac_f32_e32 v9, v51, v28
	v_fmac_f32_e32 v6, v50, v25
	v_and_b32_e32 v14, 0xffff0000, v0
	v_and_b32_e32 v26, 0xffff0000, v4
	v_fmac_f32_e32 v9, v49, v23
	v_fmac_f32_e32 v6, v37, v10
	v_accvgpr_read_b32 v11, a18
	v_fmac_f32_e32 v8, v42, v41
	v_fmac_f32_e32 v9, v36, v26
	;; [unrolled: 1-line block ×3, first 2 shown]
	v_accvgpr_read_b32 v23, a42
	v_accvgpr_read_b32 v0, a45
	v_and_b32_e32 v11, 0xffff0000, v11
	v_fmac_f32_e32 v8, v53, v27
	v_fmac_f32_e32 v9, v34, v2
	;; [unrolled: 1-line block ×3, first 2 shown]
	ds_read_b64 v[2:3], v23 offset:102
	v_and_b32_e32 v0, 0xffff0000, v0
	v_accvgpr_read_b32 v4, a37
	v_fmac_f32_e32 v7, v55, v29
	v_fmac_f32_e32 v8, v48, v11
	v_and_b32_e32 v4, 0xffff0000, v4
	s_waitcnt vmcnt(0)
	v_and_b32_e32 v42, 64, v61
	v_fmac_f32_e32 v7, v52, v24
	v_fmac_f32_e32 v8, v33, v0
	ds_read_u16 v0, v23 offset:110
	v_xor_b32_e32 v41, 1, v61
	v_add_u32_e32 v42, 64, v42
	v_fmac_f32_e32 v7, v39, v4
	v_cmp_lt_i32_e64 s[8:9], v41, v42
	v_accvgpr_read_b32 v15, a47
	v_fmac_f32_e32 v7, v38, v30
	v_lshlrev_b32_e32 v42, 16, v15
	v_accvgpr_read_b32 v59, a49
	v_cndmask_b32_e64 v41, v61, v41, s[8:9]
	v_and_b32_e32 v61, 0xffff0000, v15
	v_fmac_f32_e32 v8, v32, v62
	v_fmac_f32_e32 v7, v19, v5
	;; [unrolled: 1-line block ×3, first 2 shown]
	s_waitcnt lgkmcnt(1)
	v_lshlrev_b32_e32 v4, 16, v2
	v_and_b32_e32 v20, 0xffff0000, v20
	v_and_b32_e32 v57, 0xffff0000, v57
	v_lshlrev_b32_e32 v59, 16, v59
	v_fmac_f32_e32 v8, v16, v60
	v_fmac_f32_e32 v6, v42, v40
	v_fmac_f32_e32 v7, v61, v21
	v_fmac_f32_e32 v9, v4, v44
	v_and_b32_e32 v2, 0xffff0000, v2
	v_lshlrev_b32_e32 v4, 16, v3
	v_and_b32_e32 v22, 0xffff0000, v22
	v_and_b32_e32 v12, 0xffff0000, v12
	v_fmac_f32_e32 v8, v59, v58
	v_fmac_f32_e32 v6, v2, v57
	;; [unrolled: 1-line block ×3, first 2 shown]
	v_and_b32_e32 v2, 0xffff0000, v3
	s_waitcnt lgkmcnt(0)
	v_lshlrev_b32_e32 v0, 16, v0
	v_fmac_f32_e32 v8, v2, v22
	v_fmac_f32_e32 v9, v0, v12
	v_add_f32_e32 v0, v6, v7
	v_add_f32_e32 v0, v0, v8
	v_lshlrev_b32_e32 v41, 2, v41
	v_add_f32_e32 v2, v9, v0
	ds_bpermute_b32 v3, v41, v2
	s_and_saveexec_b64 s[30:31], vcc
	s_cbranch_execz .LBB380_11
; %bb.577:                              ;   in Loop: Header=BB380_13 Depth=1
	buffer_load_dword v0, off, s[0:3], s32 offset:256 ; 4-byte Folded Reload
	buffer_load_dword v5, off, s[0:3], s32 offset:244 ; 4-byte Folded Reload
	s_waitcnt lgkmcnt(0)
	v_add_f32_e32 v2, v2, v3
	buffer_load_dword v3, off, s[0:3], s32 offset:248 ; 4-byte Folded Reload
	buffer_load_dword v4, off, s[0:3], s32 offset:252 ; 4-byte Folded Reload
	s_load_dword s8, s[26:27], 0x0
	s_waitcnt vmcnt(3)
	v_add_u32_e32 v0, v0, v1
	v_cvt_f32_i32_e32 v0, v0
	s_waitcnt vmcnt(2)
	v_mul_f32_e32 v0, v5, v0
	v_cndmask_b32_e64 v0, 0, v0, s[6:7]
	s_waitcnt vmcnt(1)
	v_fmac_f32_e32 v0, v2, v3
	buffer_load_dword v3, off, s[0:3], s32 offset:236 ; 4-byte Folded Reload
	s_waitcnt vmcnt(1)
	v_add_u32_e32 v4, v4, v1
	v_accvgpr_read_b32 v5, a43
	v_accvgpr_read_b32 v2, a3
	s_waitcnt lgkmcnt(0)
	v_add_u32_e32 v5, s8, v5
	v_cmp_lt_i32_e64 s[8:9], v4, v2
	v_cndmask_b32_e64 v2, 0, v0, s[8:9]
	ds_write_b32 v5, v2
	s_waitcnt vmcnt(0)
	v_max_f32_e32 v2, v3, v3
	v_max_f32_e32 v0, v2, v0
	v_cndmask_b32_e64 v3, v3, v0, s[8:9]
	buffer_store_dword v3, off, s[0:3], s32 offset:236 ; 4-byte Folded Spill
	s_branch .LBB380_11
.LBB380_578:
	s_or_b64 exec, exec, s[28:29]
	buffer_load_dword v19, off, s[0:3], s32 offset:260 ; 4-byte Folded Reload
	buffer_load_dword v15, off, s[0:3], s32 offset:340 ; 4-byte Folded Reload
	buffer_load_dword v14, off, s[0:3], s32 offset:336 ; 4-byte Folded Reload
	buffer_load_dword v30, off, s[0:3], s32 offset:332 ; 4-byte Folded Reload
	buffer_load_dword v24, off, s[0:3], s32 offset:328 ; 4-byte Folded Reload
	buffer_load_dword v25, off, s[0:3], s32 offset:324 ; 4-byte Folded Reload
	buffer_load_dword v22, off, s[0:3], s32 offset:320 ; 4-byte Folded Reload
	buffer_load_dword v26, off, s[0:3], s32 offset:316 ; 4-byte Folded Reload
	buffer_load_dword v27, off, s[0:3], s32 offset:312 ; 4-byte Folded Reload
	buffer_load_dword v34, off, s[0:3], s32 offset:308 ; 4-byte Folded Reload
	buffer_load_dword v31, off, s[0:3], s32 offset:280 ; 4-byte Folded Reload
	buffer_load_dword v28, off, s[0:3], s32 offset:304 ; 4-byte Folded Reload
	buffer_load_dword v32, off, s[0:3], s32 offset:296 ; 4-byte Folded Reload
	buffer_load_dword v33, off, s[0:3], s32 offset:300 ; 4-byte Folded Reload
	buffer_load_dword v35, off, s[0:3], s32 offset:276 ; 4-byte Folded Reload
	buffer_load_dword v23, off, s[0:3], s32 offset:284 ; 4-byte Folded Reload
	buffer_load_dword v29, off, s[0:3], s32 offset:288 ; 4-byte Folded Reload
	buffer_load_dword v36, off, s[0:3], s32 offset:292 ; 4-byte Folded Reload
	buffer_load_dword v4, off, s[0:3], s32 offset:236 ; 4-byte Folded Reload
	v_mbcnt_lo_u32_b32 v1, -1, 0
.LBB380_579:
	s_or_b64 exec, exec, s[24:25]
	v_mbcnt_hi_u32_b32 v0, -1, v1
	v_and_b32_e32 v1, 64, v0
	v_add_u32_e32 v1, 64, v1
	v_xor_b32_e32 v2, 32, v0
	v_cmp_lt_i32_e32 vcc, v2, v1
	v_cndmask_b32_e32 v2, v0, v2, vcc
	v_lshlrev_b32_e32 v2, 2, v2
	s_waitcnt vmcnt(0) lgkmcnt(0)
	ds_bpermute_b32 v3, v2, v4
	v_xor_b32_e32 v5, 16, v0
	v_max_f32_e32 v4, v4, v4
	v_cmp_lt_i32_e32 vcc, v5, v1
	v_xor_b32_e32 v6, 8, v0
	s_waitcnt lgkmcnt(0)
	v_max_f32_e32 v3, v3, v3
	v_max_f32_e32 v4, v4, v3
	v_cndmask_b32_e32 v3, v0, v5, vcc
	v_lshlrev_b32_e32 v3, 2, v3
	ds_bpermute_b32 v5, v3, v4
	v_cmp_lt_i32_e32 vcc, v6, v1
	v_xor_b32_e32 v7, 4, v0
	v_xor_b32_e32 v8, 2, v0
	v_and_b32_e32 v59, 63, v19
	s_waitcnt lgkmcnt(0)
	v_max_f32_e32 v5, v5, v5
	v_max_f32_e32 v5, v4, v5
	v_cndmask_b32_e32 v4, v0, v6, vcc
	v_lshlrev_b32_e32 v4, 2, v4
	ds_bpermute_b32 v6, v4, v5
	v_cmp_lt_i32_e32 vcc, v7, v1
	s_lshr_b32 s28, s38, 16
	s_waitcnt lgkmcnt(0)
	v_max_f32_e32 v6, v6, v6
	v_max_f32_e32 v6, v5, v6
	v_cndmask_b32_e32 v5, v0, v7, vcc
	v_lshlrev_b32_e32 v5, 2, v5
	ds_bpermute_b32 v7, v5, v6
	v_cmp_lt_i32_e32 vcc, v8, v1
	s_waitcnt lgkmcnt(0)
	v_max_f32_e32 v7, v7, v7
	v_max_f32_e32 v7, v6, v7
	v_cndmask_b32_e32 v6, v0, v8, vcc
	v_lshlrev_b32_e32 v20, 2, v6
	ds_bpermute_b32 v8, v20, v7
	v_cmp_eq_u32_e32 vcc, 0, v59
	v_lshlrev_b32_e32 v6, 2, v28
	s_and_saveexec_b64 s[6:7], vcc
	s_cbranch_execz .LBB380_581
; %bb.580:
	s_waitcnt lgkmcnt(0)
	v_max_f32_e32 v8, v8, v8
	v_max_f32_e32 v7, v7, v7
	;; [unrolled: 1-line block ×3, first 2 shown]
	ds_write_b32 v6, v7 offset:224
.LBB380_581:
	s_or_b64 exec, exec, s[6:7]
	v_cmp_gt_u32_e64 s[6:7], 2, v59
	s_waitcnt lgkmcnt(0)
	v_mov_b32_e32 v8, 0xff7fffff
	v_lshlrev_b32_e32 v7, 2, v59
	s_barrier
	s_and_saveexec_b64 s[8:9], s[6:7]
	s_cbranch_execz .LBB380_583
; %bb.582:
	ds_read_b32 v8, v7 offset:224
.LBB380_583:
	s_or_b64 exec, exec, s[8:9]
	v_xor_b32_e32 v9, 1, v0
	v_cmp_lt_i32_e64 s[8:9], v9, v1
	v_cndmask_b32_e64 v1, v0, v9, s[8:9]
	buffer_load_dword v9, off, s[0:3], s32 offset:204 ; 4-byte Folded Reload
	v_lshlrev_b32_e32 v21, 2, v1
	s_waitcnt lgkmcnt(0)
	ds_bpermute_b32 v1, v21, v8
	v_max_f32_e32 v8, v8, v8
	v_lshlrev_b32_e32 v0, 2, v0
	s_waitcnt lgkmcnt(0)
	v_max_f32_e32 v1, v1, v1
	v_max_f32_e32 v1, v8, v1
	s_waitcnt vmcnt(0)
	v_subrev_u32_e32 v9, s21, v9
	v_lshl_add_u32 v10, v9, 5, s15
	v_and_b32_e32 v9, 0x100, v0
	ds_bpermute_b32 v0, v9, v1
	v_accvgpr_read_b32 v1, a3
	v_min_i32_e32 v8, v10, v1
	v_subrev_u32_e32 v1, s15, v8
	v_cmp_lt_i32_e64 s[8:9], v19, v1
	v_mov_b32_e32 v10, 0
	s_and_saveexec_b64 s[24:25], s[8:9]
	s_cbranch_execz .LBB380_587
; %bb.584:
	s_ashr_i32 s23, s22, 31
	s_lshl_b64 s[10:11], s[22:23], 2
	s_getpc_b64 s[26:27]
	s_add_u32 s26, s26, llvm.amdgcn.dynlds.offset.table@rel32@lo+4
	s_addc_u32 s27, s27, llvm.amdgcn.dynlds.offset.table@rel32@hi+12
	s_add_u32 s10, s10, s26
	s_addc_u32 s11, s11, s27
	s_load_dword s10, s[10:11], 0x0
	s_mov_b64 s[26:27], 0
	v_mov_b32_e32 v10, 0
	v_mov_b32_e32 v12, v19
	s_waitcnt lgkmcnt(0)
	v_lshl_add_u32 v11, v19, 2, s10
.LBB380_585:                            ; =>This Inner Loop Header: Depth=1
	ds_read_b32 v13, v11
	v_add_u32_e32 v12, 0x80, v12
	v_cmp_ge_i32_e64 s[10:11], v12, v1
	s_or_b64 s[26:27], s[10:11], s[26:27]
	s_waitcnt lgkmcnt(0)
	v_sub_f32_e32 v13, v13, v0
	v_mul_f32_e32 v13, 0x3fb8aa3b, v13
	v_exp_f32_e32 v13, v13
	ds_write_b32 v11, v13
	v_add_f32_e32 v10, v10, v13
	v_add_u32_e32 v11, 0x200, v11
	s_andn2_b64 exec, exec, s[26:27]
	s_cbranch_execnz .LBB380_585
; %bb.586:
	s_or_b64 exec, exec, s[26:27]
.LBB380_587:
	s_or_b64 exec, exec, s[24:25]
	ds_bpermute_b32 v2, v2, v10
	s_waitcnt lgkmcnt(0)
	v_add_f32_e32 v2, v10, v2
	ds_bpermute_b32 v3, v3, v2
	s_waitcnt lgkmcnt(0)
	v_add_f32_e32 v2, v2, v3
	;; [unrolled: 3-line block ×6, first 2 shown]
	s_and_saveexec_b64 s[10:11], vcc
	s_cbranch_execz .LBB380_589
; %bb.588:
	ds_write_b32 v6, v2 offset:232
.LBB380_589:
	s_or_b64 exec, exec, s[10:11]
	s_waitcnt lgkmcnt(0)
	s_barrier
	s_and_saveexec_b64 s[10:11], s[6:7]
	s_cbranch_execz .LBB380_591
; %bb.590:
	ds_read_b32 v2, v7 offset:232
.LBB380_591:
	s_or_b64 exec, exec, s[10:11]
	s_waitcnt lgkmcnt(0)
	ds_bpermute_b32 v3, v21, v2
	s_waitcnt lgkmcnt(0)
	v_add_f32_e32 v2, v2, v3
	ds_bpermute_b32 v2, v9, v2
	s_and_saveexec_b64 s[6:7], s[8:9]
	s_cbranch_execz .LBB380_604
; %bb.592:
	s_waitcnt lgkmcnt(0)
	v_add_f32_e32 v3, 0x358637bd, v2
	v_div_scale_f32 v4, s[8:9], v3, v3, 1.0
	v_rcp_f32_e32 v5, v4
	v_div_scale_f32 v6, vcc, 1.0, v3, 1.0
	s_movk_i32 s8, 0x7f
	v_fma_f32 v7, -v4, v5, 1.0
	v_fmac_f32_e32 v5, v7, v5
	v_mul_f32_e32 v7, v6, v5
	v_fma_f32 v9, -v4, v7, v6
	v_fmac_f32_e32 v7, v9, v5
	v_fma_f32 v4, -v4, v7, v6
	v_div_fmas_f32 v4, v4, v5, v7
	v_div_fixup_f32 v6, v4, v3, 1.0
	v_xad_u32 v3, v19, -1, v8
	v_subrev_u32_e32 v4, s15, v3
	v_cmp_lt_u32_e32 vcc, s8, v4
	s_mov_b64 s[10:11], -1
	v_mov_b32_e32 v3, v19
	s_and_saveexec_b64 s[8:9], vcc
	s_cbranch_execz .LBB380_601
; %bb.593:
	v_lshrrev_b32_e32 v3, 7, v4
	v_add_u32_e32 v5, -1, v3
	v_lshrrev_b32_e32 v4, 1, v5
	v_mov_b32_e32 v7, v6
	v_add_u32_e32 v4, 1, v4
	v_cmp_lt_u32_e32 vcc, 13, v5
	v_mov_b32_e32 v9, 0
	s_and_saveexec_b64 s[10:11], vcc
	s_cbranch_execz .LBB380_597
; %bb.594:
	s_ashr_i32 s23, s22, 31
	s_lshl_b64 s[24:25], s[22:23], 2
	s_getpc_b64 s[26:27]
	s_add_u32 s26, s26, llvm.amdgcn.dynlds.offset.table@rel32@lo+4
	s_addc_u32 s27, s27, llvm.amdgcn.dynlds.offset.table@rel32@hi+12
	s_add_u32 s24, s24, s26
	s_addc_u32 s25, s25, s27
	s_load_dword s21, s[24:25], 0x0
	v_and_b32_e32 v5, -8, v4
	s_mov_b32 s15, 0
	s_mov_b64 s[24:25], 0
	s_waitcnt lgkmcnt(0)
	v_lshl_add_u32 v8, v19, 2, s21
.LBB380_595:                            ; =>This Inner Loop Header: Depth=1
	ds_read2st64_b32 v[10:11], v8 offset1:2
	ds_read2st64_b32 v[12:13], v8 offset0:4 offset1:6
	ds_read2st64_b32 v[18:19], v8 offset0:8 offset1:10
	;; [unrolled: 1-line block ×3, first 2 shown]
	v_add_u32_e32 v5, -8, v5
	s_waitcnt lgkmcnt(3)
	v_pk_mul_f32 v[10:11], v[6:7], v[10:11]
	s_waitcnt lgkmcnt(2)
	v_pk_mul_f32 v[12:13], v[6:7], v[12:13]
	ds_write2st64_b32 v8, v10, v11 offset1:2
	ds_write2st64_b32 v8, v12, v13 offset0:4 offset1:6
	ds_read2st64_b32 v[12:13], v8 offset0:16 offset1:18
	s_waitcnt lgkmcnt(4)
	v_pk_mul_f32 v[10:11], v[6:7], v[18:19]
	ds_write2st64_b32 v8, v10, v11 offset0:8 offset1:10
	s_waitcnt lgkmcnt(4)
	v_pk_mul_f32 v[10:11], v[6:7], v[16:17]
	ds_write2st64_b32 v8, v10, v11 offset0:12 offset1:14
	ds_read2st64_b32 v[10:11], v8 offset0:20 offset1:22
	s_waitcnt lgkmcnt(3)
	v_pk_mul_f32 v[12:13], v[6:7], v[12:13]
	ds_read2st64_b32 v[16:17], v8 offset0:24 offset1:26
	ds_write2st64_b32 v8, v12, v13 offset0:16 offset1:18
	ds_read2st64_b32 v[12:13], v8 offset0:28 offset1:30
	s_waitcnt lgkmcnt(3)
	v_pk_mul_f32 v[10:11], v[6:7], v[10:11]
	ds_write2st64_b32 v8, v10, v11 offset0:20 offset1:22
	s_waitcnt lgkmcnt(3)
	v_pk_mul_f32 v[10:11], v[6:7], v[16:17]
	ds_write2st64_b32 v8, v10, v11 offset0:24 offset1:26
	s_waitcnt lgkmcnt(2)
	v_pk_mul_f32 v[10:11], v[6:7], v[12:13]
	s_add_i32 s15, s15, 16
	v_cmp_eq_u32_e32 vcc, 0, v5
	ds_write2st64_b32 v8, v10, v11 offset0:28 offset1:30
	v_add_u32_e32 v8, 0x2000, v8
	s_or_b64 s[24:25], vcc, s[24:25]
	v_mov_b32_e32 v9, s15
	s_andn2_b64 exec, exec, s[24:25]
	s_cbranch_execnz .LBB380_595
; %bb.596:
	s_or_b64 exec, exec, s[24:25]
	buffer_load_dword v19, off, s[0:3], s32 offset:260 ; 4-byte Folded Reload
.LBB380_597:
	s_or_b64 exec, exec, s[10:11]
	v_and_b32_e32 v4, 7, v4
	v_cmp_ne_u32_e32 vcc, 0, v4
	s_and_saveexec_b64 s[10:11], vcc
	s_cbranch_execz .LBB380_600
; %bb.598:
	s_ashr_i32 s23, s22, 31
	s_lshl_b64 s[24:25], s[22:23], 2
	s_getpc_b64 s[26:27]
	s_add_u32 s26, s26, llvm.amdgcn.dynlds.offset.table@rel32@lo+4
	s_addc_u32 s27, s27, llvm.amdgcn.dynlds.offset.table@rel32@hi+12
	s_add_u32 s24, s24, s26
	s_addc_u32 s25, s25, s27
	s_load_dword s15, s[24:25], 0x0
	v_lshlrev_b32_e32 v5, 9, v9
	s_waitcnt vmcnt(0)
	v_lshlrev_b32_e32 v8, 2, v19
	s_mov_b64 s[24:25], 0
	s_waitcnt lgkmcnt(0)
	v_add3_u32 v5, v5, v8, s15
.LBB380_599:                            ; =>This Inner Loop Header: Depth=1
	ds_read2st64_b32 v[8:9], v5 offset1:2
	v_add_u32_e32 v4, -1, v4
	v_cmp_eq_u32_e32 vcc, 0, v4
	s_or_b64 s[24:25], vcc, s[24:25]
	s_waitcnt lgkmcnt(0)
	v_pk_mul_f32 v[8:9], v[6:7], v[8:9]
	ds_write2st64_b32 v5, v8, v9 offset1:2
	v_add_u32_e32 v5, 0x400, v5
	s_andn2_b64 exec, exec, s[24:25]
	s_cbranch_execnz .LBB380_599
.LBB380_600:
	s_or_b64 exec, exec, s[10:11]
	v_add_u32_e32 v4, 1, v3
	v_and_b32_e32 v5, 0x3fffffe, v4
	v_cmp_ne_u32_e32 vcc, v4, v5
	s_waitcnt vmcnt(0)
	v_lshl_add_u32 v3, v5, 7, v19
	s_orn2_b64 s[10:11], vcc, exec
.LBB380_601:
	s_or_b64 exec, exec, s[8:9]
	s_and_b64 exec, exec, s[10:11]
	s_cbranch_execz .LBB380_604
; %bb.602:
	s_ashr_i32 s23, s22, 31
	s_lshl_b64 s[8:9], s[22:23], 2
	s_getpc_b64 s[10:11]
	s_add_u32 s10, s10, llvm.amdgcn.dynlds.offset.table@rel32@lo+4
	s_addc_u32 s11, s11, llvm.amdgcn.dynlds.offset.table@rel32@hi+12
	s_add_u32 s8, s8, s10
	s_addc_u32 s9, s9, s11
	s_load_dword s8, s[8:9], 0x0
	s_waitcnt lgkmcnt(0)
	v_lshl_add_u32 v4, v3, 2, s8
	s_mov_b64 s[8:9], 0
.LBB380_603:                            ; =>This Inner Loop Header: Depth=1
	ds_read_b32 v5, v4
	v_add_u32_e32 v3, 0x80, v3
	v_cmp_ge_i32_e32 vcc, v3, v1
	s_or_b64 s[8:9], vcc, s[8:9]
	s_waitcnt lgkmcnt(0)
	v_mul_f32_e32 v5, v6, v5
	ds_write_b32 v4, v5
	v_add_u32_e32 v4, 0x200, v4
	s_andn2_b64 exec, exec, s[8:9]
	s_cbranch_execnz .LBB380_603
.LBB380_604:
	s_or_b64 exec, exec, s[6:7]
	v_cmp_ne_u16_e64 s[6:7], s28, 0
	s_cmp_lg_u64 s[6:7], 0
	s_addc_u32 s21, s13, 0
	v_cmp_eq_u32_e32 vcc, 0, v19
	s_waitcnt lgkmcnt(0)
	s_barrier
	s_and_saveexec_b64 s[6:7], vcc
	s_cbranch_execz .LBB380_606
; %bb.605:
	s_mul_i32 s8, s21, s18
	s_mul_i32 s8, s8, s19
	;; [unrolled: 1-line block ×3, first 2 shown]
	s_ashr_i32 s9, s8, 31
	s_ashr_i32 s11, s10, 31
	s_ashr_i32 s15, s14, 31
	s_lshl_b64 s[8:9], s[8:9], 2
	s_lshl_b64 s[10:11], s[10:11], 2
	;; [unrolled: 1-line block ×3, first 2 shown]
	s_add_u32 s10, s12, s10
	s_addc_u32 s11, s13, s11
	s_add_u32 s8, s10, s8
	s_addc_u32 s9, s11, s9
	v_mov_b32_e32 v1, s9
	v_add_co_u32_e32 v4, vcc, s8, v34
	v_addc_co_u32_e32 v5, vcc, v1, v27, vcc
	flat_store_dword v[4:5], v0
	v_add_co_u32_e32 v0, vcc, s8, v26
	v_addc_co_u32_e32 v1, vcc, v1, v22, vcc
	flat_store_dword v[0:1], v2
.LBB380_606:
	s_or_b64 exec, exec, s[6:7]
	s_ashr_i32 s23, s22, 31
	s_lshl_b64 s[6:7], s[22:23], 2
	s_getpc_b64 s[8:9]
	s_add_u32 s8, s8, llvm.amdgcn.dynlds.offset.table@rel32@lo+4
	s_addc_u32 s9, s9, llvm.amdgcn.dynlds.offset.table@rel32@hi+12
	s_add_u32 s6, s6, s8
	s_addc_u32 s7, s7, s9
	v_mov_b32_e32 v9, 0
	v_and_b32_e32 v22, 3, v19
	v_mov_b32_e32 v13, 0
	v_mov_b32_e32 v12, 0
	;; [unrolled: 1-line block ×6, first 2 shown]
	s_and_saveexec_b64 s[8:9], s[4:5]
	s_cbranch_execz .LBB380_1442
; %bb.607:
	v_and_b32_e32 v0, 24, v31
	v_max_i32_e32 v37, v30, v36
	v_accvgpr_write_b32 a19, v0
	v_cvt_f32_u32_e32 v0, v37
	v_sub_u32_e32 v4, 0, v37
	v_add_co_u32_e32 v1, vcc, v25, v23
	v_rcp_iflag_f32_e32 v0, v0
	v_add_u32_e32 v3, -1, v35
	v_addc_co_u32_e32 v2, vcc, v24, v29, vcc
	v_mul_f32_e32 v0, 0x4f7ffffe, v0
	v_cvt_u32_f32_e32 v0, v0
	v_accvgpr_write_b32 a20, v3
	v_and_b32_e32 v3, 0x1f8, v31
	s_load_dword s4, s[6:7], 0x0
	v_mul_lo_u32 v4, v4, v0
	v_mul_hi_u32 v4, v0, v4
	v_add_u32_e32 v0, v0, v4
	v_accvgpr_write_b32 a22, v0
	v_add_co_u32_e32 v0, vcc, v1, v3
	buffer_load_dword v3, off, s[0:3], s32 offset:272 ; 4-byte Folded Reload
	v_addc_co_u32_e32 v1, vcc, 0, v2, vcc
	v_accvgpr_write_b32 a25, v1
	v_accvgpr_write_b32 a24, v0
	v_accvgpr_read_b32 v0, a12
	v_accvgpr_read_b32 v1, a13
	v_lshlrev_b64 v[0:1], 2, v[0:1]
	v_add_co_u32_e32 v0, vcc, v32, v0
	v_addc_co_u32_e32 v1, vcc, v33, v1, vcc
	v_add_co_u32_e32 v14, vcc, v14, v0
	v_lshlrev_b32_e32 v0, 5, v22
	s_mov_b32 s10, -1
	v_lshl_or_b32 v0, v28, 7, v0
	v_accvgpr_write_b32 a17, v21
	v_accvgpr_write_b32 a16, v20
	s_mov_b32 s11, 0xffffff
	v_mov_b32_e32 v11, 0
	v_addc_co_u32_e32 v15, vcc, v15, v1, vcc
	v_accvgpr_write_b32 a18, v22
	s_waitcnt lgkmcnt(0)
	v_add_u32_e32 v4, s4, v0
	s_mov_b64 s[12:13], 0
	s_mov_b32 s15, 0x7f800000
	s_movk_i32 s30, 0x7fff
	s_movk_i32 s31, 0x80
	;; [unrolled: 1-line block ×3, first 2 shown]
	v_bfrev_b32_e32 v28, 60
	v_mov_b32_e32 v18, 0
	v_mov_b32_e32 v19, 0
	;; [unrolled: 1-line block ×7, first 2 shown]
	s_branch .LBB380_610
.LBB380_608:                            ;   in Loop: Header=BB380_610 Depth=1
	s_or_b64 exec, exec, s[4:5]
	v_and_b32_e32 v9, 0xffff0000, v38
	v_and_b32_e32 v8, 0xffff0000, v6
	;; [unrolled: 1-line block ×4, first 2 shown]
	v_pk_add_f32 v[8:9], v[30:31], v[8:9]
	v_and_b32_e32 v27, 0xffff0000, v27
	v_and_b32_e32 v26, 0xffff0000, v33
	;; [unrolled: 1-line block ×4, first 2 shown]
	v_pk_add_f32 v[24:25], v[24:25], v[26:27]
	v_add_f32_e32 v3, v8, v9
	v_add_f32_e32 v3, v3, v24
	v_and_b32_e32 v27, 0xffff0000, v42
	v_and_b32_e32 v26, 0xffff0000, v54
	;; [unrolled: 1-line block ×4, first 2 shown]
	v_add_f32_e32 v3, v3, v25
	v_and_b32_e32 v9, 0xffff0000, v36
	v_and_b32_e32 v8, 0xffff0000, v44
	;; [unrolled: 1-line block ×4, first 2 shown]
	v_pk_add_f32 v[26:27], v[30:31], v[26:27]
	v_add_f32_e32 v13, v13, v3
	v_pk_add_f32 v[8:9], v[24:25], v[8:9]
	v_add_f32_e32 v3, v26, v27
	v_add_f32_e32 v3, v3, v8
	v_and_b32_e32 v27, 0xffff0000, v48
	v_and_b32_e32 v26, 0xffff0000, v29
	v_and_b32_e32 v31, 0xffff0000, v39
	v_and_b32_e32 v30, 0xffff0000, v22
	v_add_f32_e32 v3, v3, v9
	v_and_b32_e32 v9, 0xffff0000, v51
	v_and_b32_e32 v8, 0xffff0000, v49
	v_and_b32_e32 v25, 0xffff0000, v50
	v_and_b32_e32 v24, 0xffff0000, v35
	v_pk_add_f32 v[26:27], v[30:31], v[26:27]
	v_add_f32_e32 v12, v12, v3
	v_pk_add_f32 v[8:9], v[24:25], v[8:9]
	v_add_f32_e32 v3, v26, v27
	v_add_f32_e32 v3, v3, v8
	;; [unrolled: 1-line block ×4, first 2 shown]
	v_accvgpr_read_b32 v3, a52
	v_and_b32_e32 v9, 0xffff0000, v3
	v_accvgpr_read_b32 v3, a51
	v_and_b32_e32 v8, 0xffff0000, v3
	;; [unrolled: 2-line block ×7, first 2 shown]
	v_and_b32_e32 v25, 0xffff0000, v20
	v_pk_add_f32 v[26:27], v[30:31], v[26:27]
	v_pk_add_f32 v[8:9], v[24:25], v[8:9]
	v_add_f32_e32 v3, v26, v27
	v_add_f32_e32 v3, v3, v8
	;; [unrolled: 1-line block ×4, first 2 shown]
	v_accvgpr_read_b32 v3, a45
	v_and_b32_e32 v9, 0xffff0000, v3
	v_accvgpr_read_b32 v3, a43
	v_and_b32_e32 v8, 0xffff0000, v3
	;; [unrolled: 2-line block ×8, first 2 shown]
	v_pk_add_f32 v[26:27], v[30:31], v[26:27]
	v_pk_add_f32 v[8:9], v[24:25], v[8:9]
	v_add_f32_e32 v3, v26, v27
	v_add_f32_e32 v3, v3, v8
	;; [unrolled: 1-line block ×4, first 2 shown]
	v_accvgpr_read_b32 v3, a31
	v_and_b32_e32 v9, 0xffff0000, v3
	v_accvgpr_read_b32 v3, a29
	v_and_b32_e32 v8, 0xffff0000, v3
	;; [unrolled: 2-line block ×8, first 2 shown]
	v_pk_add_f32 v[26:27], v[30:31], v[26:27]
	v_pk_add_f32 v[8:9], v[24:25], v[8:9]
	v_add_f32_e32 v3, v26, v27
	v_add_f32_e32 v3, v3, v8
	v_and_b32_e32 v7, 0xffff0000, v7
	v_and_b32_e32 v6, 0xffff0000, v1
	;; [unrolled: 1-line block ×4, first 2 shown]
	v_add_f32_e32 v3, v3, v9
	v_and_b32_e32 v9, 0xffff0000, v10
	v_and_b32_e32 v8, 0xffff0000, v34
	;; [unrolled: 1-line block ×4, first 2 shown]
	v_pk_add_f32 v[0:1], v[0:1], v[6:7]
	v_add_f32_e32 v18, v18, v3
	v_pk_add_f32 v[2:3], v[24:25], v[8:9]
	v_add_f32_e32 v0, v0, v1
	v_add_f32_e32 v0, v0, v2
	;; [unrolled: 1-line block ×3, first 2 shown]
	v_accvgpr_read_b32 v9, a15
	v_add_f32_e32 v9, v9, v0
.LBB380_609:                            ;   in Loop: Header=BB380_610 Depth=1
	s_or_b64 exec, exec, s[22:23]
	buffer_load_dword v0, off, s[0:3], s32 offset:204 ; 4-byte Folded Reload
	v_accvgpr_read_b32 v2, a12
	v_add_co_u32_e32 v14, vcc, 8, v14
	v_add_u32_e32 v2, 2, v2
	v_addc_co_u32_e32 v15, vcc, 0, v15, vcc
	v_accvgpr_read_b32 v3, a13
	v_add_u32_e32 v3, 64, v3
	v_accvgpr_write_b32 a12, v2
	v_add_u32_e32 v4, 0x100, v4
	s_waitcnt vmcnt(0)
	v_cmp_ge_i32_e32 vcc, v2, v0
	s_or_b64 s[12:13], vcc, s[12:13]
	s_andn2_b64 exec, exec, s[12:13]
	s_cbranch_execz .LBB380_1441
.LBB380_610:                            ; =>This Inner Loop Header: Depth=1
	buffer_load_dword v1, off, s[0:3], s32 offset:200 ; 4-byte Folded Reload
	buffer_load_dword v2, off, s[0:3], s32 offset:208 ; 4-byte Folded Reload
	;; [unrolled: 1-line block ×3, first 2 shown]
	s_waitcnt vmcnt(0)
	v_ashrrev_i32_e32 v0, 31, v3
	v_accvgpr_write_b32 a13, v3
	v_accvgpr_read_b32 v6, a22
	v_xor_b32_e32 v0, v0, v1
	v_sub_u32_e32 v1, 0, v3
	v_max_i32_e32 v1, v3, v1
	v_mul_hi_u32 v2, v1, v2
	v_mul_lo_u32 v3, v2, v5
	v_sub_u32_e32 v1, v1, v3
	v_add_u32_e32 v3, 1, v2
	v_cmp_ge_u32_e32 vcc, v1, v5
	v_cndmask_b32_e32 v2, v2, v3, vcc
	v_sub_u32_e32 v3, v1, v5
	v_cndmask_b32_e32 v1, v1, v3, vcc
	v_add_u32_e32 v3, 1, v2
	v_cmp_ge_u32_e32 vcc, v1, v5
	v_cndmask_b32_e32 v1, v2, v3, vcc
	v_xor_b32_e32 v1, v1, v0
	v_sub_u32_e32 v0, v1, v0
	v_accvgpr_read_b32 v2, a10
	v_add_u32_e32 v1, v0, v2
	v_sub_u32_e32 v3, 0, v1
	v_ashrrev_i32_e32 v2, 31, v1
	v_max_i32_e32 v1, v1, v3
	v_mul_hi_u32 v3, v1, v6
	v_mul_lo_u32 v3, v3, v37
	v_sub_u32_e32 v1, v1, v3
	v_sub_u32_e32 v3, v1, v37
	v_cmp_ge_u32_e32 vcc, v1, v37
	v_cndmask_b32_e32 v1, v1, v3, vcc
	v_sub_u32_e32 v3, v1, v37
	v_cmp_ge_u32_e32 vcc, v1, v37
	v_cndmask_b32_e32 v1, v1, v3, vcc
	v_xor_b32_e32 v1, v1, v2
	v_sub_u32_e32 v1, v1, v2
	v_cmp_eq_u32_e32 vcc, 0, v1
	buffer_load_dword v1, off, s[0:3], s32 offset:212 ; 4-byte Folded Reload
	s_waitcnt vmcnt(0)
	v_cmp_gt_i32_e64 s[4:5], v0, v1
	s_or_b64 s[4:5], vcc, s[4:5]
	s_and_saveexec_b64 s[22:23], s[4:5]
	s_cbranch_execz .LBB380_609
; %bb.611:                              ;   in Loop: Header=BB380_610 Depth=1
	flat_load_dword v10, v[14:15]
	v_accvgpr_write_b32 a15, v9
	ds_read2_b64 v[6:9], v4 offset1:1
	ds_read2_b64 v[0:3], v4 offset0:2 offset1:3
                                        ; implicit-def: $vgpr26
	s_waitcnt lgkmcnt(0)
	v_and_b32_e32 v5, 0x7f800000, v6
	v_cmp_ne_u32_e32 vcc, s15, v5
	s_and_saveexec_b64 s[4:5], vcc
	s_xor_b64 s[4:5], exec, s[4:5]
; %bb.612:                              ;   in Loop: Header=BB380_610 Depth=1
	v_bfe_u32 v5, v6, 16, 1
	v_add3_u32 v26, v6, v5, s30
; %bb.613:                              ;   in Loop: Header=BB380_610 Depth=1
	s_andn2_saveexec_b64 s[4:5], s[4:5]
; %bb.614:                              ;   in Loop: Header=BB380_610 Depth=1
	v_or_b32_e32 v5, 0x10000, v6
	v_cmp_eq_u32_sdwa vcc, v6, v11 src0_sel:WORD_0 src1_sel:DWORD
	v_cndmask_b32_e32 v26, v5, v6, vcc
; %bb.615:                              ;   in Loop: Header=BB380_610 Depth=1
	s_or_b64 exec, exec, s[4:5]
	v_and_b32_e32 v5, 0x7f800000, v7
	v_cmp_ne_u32_e32 vcc, s15, v5
                                        ; implicit-def: $vgpr25
	s_and_saveexec_b64 s[4:5], vcc
	s_xor_b64 s[4:5], exec, s[4:5]
; %bb.616:                              ;   in Loop: Header=BB380_610 Depth=1
	v_bfe_u32 v5, v7, 16, 1
	v_add3_u32 v25, v7, v5, s30
; %bb.617:                              ;   in Loop: Header=BB380_610 Depth=1
	s_andn2_saveexec_b64 s[4:5], s[4:5]
; %bb.618:                              ;   in Loop: Header=BB380_610 Depth=1
	v_or_b32_e32 v5, 0x10000, v7
	v_cmp_eq_u32_sdwa vcc, v7, v11 src0_sel:WORD_0 src1_sel:DWORD
	v_cndmask_b32_e32 v25, v5, v7, vcc
; %bb.619:                              ;   in Loop: Header=BB380_610 Depth=1
	s_or_b64 exec, exec, s[4:5]
	v_and_b32_e32 v5, 0x7f800000, v8
	v_cmp_ne_u32_e32 vcc, s15, v5
                                        ; implicit-def: $vgpr24
	s_and_saveexec_b64 s[4:5], vcc
	s_xor_b64 s[4:5], exec, s[4:5]
; %bb.620:                              ;   in Loop: Header=BB380_610 Depth=1
	v_bfe_u32 v5, v8, 16, 1
	v_add3_u32 v24, v8, v5, s30
; %bb.621:                              ;   in Loop: Header=BB380_610 Depth=1
	s_andn2_saveexec_b64 s[4:5], s[4:5]
; %bb.622:                              ;   in Loop: Header=BB380_610 Depth=1
	v_or_b32_e32 v5, 0x10000, v8
	v_cmp_eq_u32_sdwa vcc, v8, v11 src0_sel:WORD_0 src1_sel:DWORD
	v_cndmask_b32_e32 v24, v5, v8, vcc
; %bb.623:                              ;   in Loop: Header=BB380_610 Depth=1
	s_or_b64 exec, exec, s[4:5]
	v_and_b32_e32 v5, 0x7f800000, v9
	v_cmp_ne_u32_e32 vcc, s15, v5
                                        ; implicit-def: $vgpr22
	s_and_saveexec_b64 s[4:5], vcc
	s_xor_b64 s[4:5], exec, s[4:5]
; %bb.624:                              ;   in Loop: Header=BB380_610 Depth=1
	v_bfe_u32 v5, v9, 16, 1
	v_add3_u32 v22, v9, v5, s30
                                        ; implicit-def: $vgpr6_vgpr7_vgpr8_vgpr9
; %bb.625:                              ;   in Loop: Header=BB380_610 Depth=1
	s_andn2_saveexec_b64 s[4:5], s[4:5]
; %bb.626:                              ;   in Loop: Header=BB380_610 Depth=1
	v_or_b32_e32 v5, 0x10000, v9
	v_cmp_eq_u32_sdwa vcc, v9, v11 src0_sel:WORD_0 src1_sel:DWORD
	v_cndmask_b32_e32 v22, v5, v9, vcc
; %bb.627:                              ;   in Loop: Header=BB380_610 Depth=1
	s_or_b64 exec, exec, s[4:5]
	v_and_b32_e32 v5, 0x7f800000, v0
	v_cmp_ne_u32_e32 vcc, s15, v5
                                        ; implicit-def: $vgpr21
	s_and_saveexec_b64 s[4:5], vcc
	s_xor_b64 s[4:5], exec, s[4:5]
; %bb.628:                              ;   in Loop: Header=BB380_610 Depth=1
	v_bfe_u32 v5, v0, 16, 1
	v_add3_u32 v21, v0, v5, s30
; %bb.629:                              ;   in Loop: Header=BB380_610 Depth=1
	s_andn2_saveexec_b64 s[4:5], s[4:5]
; %bb.630:                              ;   in Loop: Header=BB380_610 Depth=1
	v_or_b32_e32 v5, 0x10000, v0
	v_cmp_eq_u32_sdwa vcc, v0, v11 src0_sel:WORD_0 src1_sel:DWORD
	v_cndmask_b32_e32 v21, v5, v0, vcc
; %bb.631:                              ;   in Loop: Header=BB380_610 Depth=1
	s_or_b64 exec, exec, s[4:5]
	v_and_b32_e32 v0, 0x7f800000, v1
	v_cmp_ne_u32_e32 vcc, s15, v0
                                        ; implicit-def: $vgpr20
	s_and_saveexec_b64 s[4:5], vcc
	s_xor_b64 s[4:5], exec, s[4:5]
; %bb.632:                              ;   in Loop: Header=BB380_610 Depth=1
	v_bfe_u32 v0, v1, 16, 1
	v_add3_u32 v20, v1, v0, s30
; %bb.633:                              ;   in Loop: Header=BB380_610 Depth=1
	s_andn2_saveexec_b64 s[4:5], s[4:5]
; %bb.634:                              ;   in Loop: Header=BB380_610 Depth=1
	v_or_b32_e32 v0, 0x10000, v1
	v_cmp_eq_u32_sdwa vcc, v1, v11 src0_sel:WORD_0 src1_sel:DWORD
	v_cndmask_b32_e32 v20, v0, v1, vcc
; %bb.635:                              ;   in Loop: Header=BB380_610 Depth=1
	s_or_b64 exec, exec, s[4:5]
	v_and_b32_e32 v0, 0x7f800000, v2
	v_cmp_ne_u32_e32 vcc, s15, v0
                                        ; implicit-def: $vgpr9
	s_and_saveexec_b64 s[4:5], vcc
	s_xor_b64 s[4:5], exec, s[4:5]
; %bb.636:                              ;   in Loop: Header=BB380_610 Depth=1
	v_bfe_u32 v0, v2, 16, 1
	v_add3_u32 v9, v2, v0, s30
; %bb.637:                              ;   in Loop: Header=BB380_610 Depth=1
	s_andn2_saveexec_b64 s[4:5], s[4:5]
; %bb.638:                              ;   in Loop: Header=BB380_610 Depth=1
	v_or_b32_e32 v0, 0x10000, v2
	v_cmp_eq_u32_sdwa vcc, v2, v11 src0_sel:WORD_0 src1_sel:DWORD
	v_cndmask_b32_e32 v9, v0, v2, vcc
; %bb.639:                              ;   in Loop: Header=BB380_610 Depth=1
	s_or_b64 exec, exec, s[4:5]
	v_and_b32_e32 v0, 0x7f800000, v3
	v_cmp_ne_u32_e32 vcc, s15, v0
                                        ; implicit-def: $vgpr8
	s_and_saveexec_b64 s[4:5], vcc
	s_xor_b64 s[4:5], exec, s[4:5]
; %bb.640:                              ;   in Loop: Header=BB380_610 Depth=1
	v_bfe_u32 v0, v3, 16, 1
	v_add3_u32 v8, v3, v0, s30
                                        ; implicit-def: $vgpr0_vgpr1_vgpr2_vgpr3
; %bb.641:                              ;   in Loop: Header=BB380_610 Depth=1
	s_andn2_saveexec_b64 s[4:5], s[4:5]
; %bb.642:                              ;   in Loop: Header=BB380_610 Depth=1
	v_or_b32_e32 v0, 0x10000, v3
	v_cmp_eq_u32_sdwa vcc, v3, v11 src0_sel:WORD_0 src1_sel:DWORD
	v_cndmask_b32_e32 v8, v0, v3, vcc
; %bb.643:                              ;   in Loop: Header=BB380_610 Depth=1
	s_or_b64 exec, exec, s[4:5]
	buffer_load_dword v0, off, s[0:3], s32 offset:216 ; 4-byte Folded Reload
	buffer_load_dword v1, off, s[0:3], s32 offset:220 ; 4-byte Folded Reload
	v_accvgpr_read_b32 v2, a24
	v_accvgpr_read_b32 v3, a25
	v_mov_b32_e32 v5, 0
	s_waitcnt vmcnt(0)
	v_mad_i64_i32 v[0:1], s[4:5], v10, v0, v[2:3]
	flat_load_dwordx2 v[2:3], v[0:1]
	buffer_load_dword v6, off, s[0:3], s32 offset:228 ; 4-byte Folded Reload
	buffer_load_dword v7, off, s[0:3], s32 offset:232 ; 4-byte Folded Reload
	s_waitcnt vmcnt(0) lgkmcnt(0)
	v_cmp_ne_u16_sdwa s[24:25], v2, v11 src0_sel:BYTE_0 src1_sel:DWORD
	flat_load_dword v7, v[6:7]
	s_and_saveexec_b64 s[4:5], s[24:25]
	s_cbranch_execz .LBB380_649
; %bb.644:                              ;   in Loop: Header=BB380_610 Depth=1
	v_cmp_ne_u16_sdwa s[26:27], v2, s31 src0_sel:BYTE_0 src1_sel:DWORD
	v_bfrev_b32_e32 v5, 1
	s_and_saveexec_b64 s[24:25], s[26:27]
	s_cbranch_execz .LBB380_648
; %bb.645:                              ;   in Loop: Header=BB380_610 Depth=1
	v_and_b32_e32 v6, 0x7f, v2
	v_cmp_ne_u32_e32 vcc, s34, v6
	v_mov_b32_e32 v5, 0x7f800001
	s_and_saveexec_b64 s[26:27], vcc
	s_cbranch_execz .LBB380_647
; %bb.646:                              ;   in Loop: Header=BB380_610 Depth=1
	v_and_b32_e32 v5, 7, v2
	v_ffbh_u32_e32 v5, v5
	v_min_u32_e32 v5, 32, v5
	v_subrev_u32_e32 v23, 28, v5
	v_cmp_gt_u32_e32 vcc, 8, v6
	v_lshrrev_b32_e32 v10, 3, v6
	v_cndmask_b32_e32 v6, 0, v23, vcc
	v_sub_u32_e32 v5, 29, v5
	v_lshlrev_b64 v[30:31], v6, v[2:3]
	v_cndmask_b32_e32 v5, v10, v5, vcc
	v_lshlrev_b32_e32 v6, 20, v30
	v_lshlrev_b32_e32 v10, 24, v2
	v_and_b32_e32 v6, 0x700000, v6
	v_and_b32_e32 v10, 0x80000000, v10
	v_lshl_add_u32 v5, v5, 23, v28
	v_or3_b32 v5, v10, v5, v6
.LBB380_647:                            ;   in Loop: Header=BB380_610 Depth=1
	s_or_b64 exec, exec, s[26:27]
.LBB380_648:                            ;   in Loop: Header=BB380_610 Depth=1
	s_or_b64 exec, exec, s[24:25]
.LBB380_649:                            ;   in Loop: Header=BB380_610 Depth=1
	s_or_b64 exec, exec, s[4:5]
	s_waitcnt vmcnt(0) lgkmcnt(0)
	v_mul_f32_e32 v5, v7, v5
	v_and_b32_e32 v6, 0x7f800000, v5
	v_cmp_ne_u32_e32 vcc, s15, v6
                                        ; implicit-def: $vgpr27
	s_and_saveexec_b64 s[4:5], vcc
	s_xor_b64 s[4:5], exec, s[4:5]
; %bb.650:                              ;   in Loop: Header=BB380_610 Depth=1
	v_bfe_u32 v6, v5, 16, 1
	v_add3_u32 v27, v5, v6, s30
                                        ; implicit-def: $vgpr5
; %bb.651:                              ;   in Loop: Header=BB380_610 Depth=1
	s_andn2_saveexec_b64 s[4:5], s[4:5]
; %bb.652:                              ;   in Loop: Header=BB380_610 Depth=1
	v_or_b32_e32 v6, 0x10000, v5
	v_cmp_eq_u32_sdwa vcc, v5, v11 src0_sel:WORD_0 src1_sel:DWORD
	v_cndmask_b32_e32 v27, v6, v5, vcc
; %bb.653:                              ;   in Loop: Header=BB380_610 Depth=1
	s_or_b64 exec, exec, s[4:5]
	v_lshrrev_b16_e32 v6, 8, v2
	v_cmp_ne_u16_e32 vcc, 0, v6
	v_mov_b32_e32 v5, 0
	s_and_saveexec_b64 s[4:5], vcc
	s_cbranch_execz .LBB380_659
; %bb.654:                              ;   in Loop: Header=BB380_610 Depth=1
	v_cmp_ne_u16_e32 vcc, s31, v6
	v_bfrev_b32_e32 v5, 1
	s_and_saveexec_b64 s[24:25], vcc
	s_cbranch_execz .LBB380_658
; %bb.655:                              ;   in Loop: Header=BB380_610 Depth=1
	v_and_b32_e32 v10, 0x7f, v6
	v_cmp_ne_u32_e32 vcc, s34, v10
	v_mov_b32_e32 v5, 0x7f800001
	s_and_saveexec_b64 s[26:27], vcc
	s_cbranch_execz .LBB380_657
; %bb.656:                              ;   in Loop: Header=BB380_610 Depth=1
	v_and_b32_e32 v5, 7, v6
	v_ffbh_u32_e32 v28, v5
	v_min_u32_e32 v28, 32, v28
	v_subrev_u32_e32 v29, 28, v28
	v_lshlrev_b64 v[30:31], v29, v[6:7]
	v_lshrrev_b32_e32 v23, 3, v10
	v_sub_u32_e32 v6, 29, v28
	v_and_b32_e32 v28, 7, v30
	v_cmp_gt_u32_e32 vcc, 8, v10
	v_cndmask_b32_e32 v6, v23, v6, vcc
	v_cndmask_b32_e32 v5, v5, v28, vcc
	v_bfrev_b32_e32 v28, 60
	v_lshlrev_b32_e32 v10, 16, v2
	v_lshlrev_b32_e32 v5, 20, v5
	v_and_b32_e32 v10, 0x80000000, v10
	v_lshl_add_u32 v6, v6, 23, v28
	v_or3_b32 v5, v10, v6, v5
.LBB380_657:                            ;   in Loop: Header=BB380_610 Depth=1
	s_or_b64 exec, exec, s[26:27]
.LBB380_658:                            ;   in Loop: Header=BB380_610 Depth=1
	s_or_b64 exec, exec, s[24:25]
.LBB380_659:                            ;   in Loop: Header=BB380_610 Depth=1
	s_or_b64 exec, exec, s[4:5]
	v_mul_f32_e32 v5, v7, v5
	v_and_b32_e32 v6, 0x7f800000, v5
	v_cmp_ne_u32_e32 vcc, s15, v6
                                        ; implicit-def: $vgpr29
	s_and_saveexec_b64 s[4:5], vcc
	s_xor_b64 s[4:5], exec, s[4:5]
; %bb.660:                              ;   in Loop: Header=BB380_610 Depth=1
	v_bfe_u32 v6, v5, 16, 1
	v_add3_u32 v29, v5, v6, s30
                                        ; implicit-def: $vgpr5
; %bb.661:                              ;   in Loop: Header=BB380_610 Depth=1
	s_andn2_saveexec_b64 s[4:5], s[4:5]
; %bb.662:                              ;   in Loop: Header=BB380_610 Depth=1
	v_or_b32_e32 v6, 0x10000, v5
	v_cmp_eq_u32_sdwa vcc, v5, v11 src0_sel:WORD_0 src1_sel:DWORD
	v_cndmask_b32_e32 v29, v6, v5, vcc
; %bb.663:                              ;   in Loop: Header=BB380_610 Depth=1
	s_or_b64 exec, exec, s[4:5]
	v_lshrrev_b32_e32 v6, 16, v2
	v_cmp_ne_u16_sdwa s[24:25], v6, v11 src0_sel:BYTE_0 src1_sel:DWORD
	v_mov_b32_e32 v5, 0
	s_and_saveexec_b64 s[4:5], s[24:25]
	s_cbranch_execz .LBB380_669
; %bb.664:                              ;   in Loop: Header=BB380_610 Depth=1
	v_cmp_ne_u16_sdwa s[26:27], v6, s31 src0_sel:BYTE_0 src1_sel:DWORD
	v_bfrev_b32_e32 v5, 1
	s_and_saveexec_b64 s[24:25], s[26:27]
	s_cbranch_execz .LBB380_668
; %bb.665:                              ;   in Loop: Header=BB380_610 Depth=1
	v_bfe_u32 v10, v2, 16, 7
	v_cmp_ne_u32_e32 vcc, s34, v10
	v_mov_b32_e32 v5, 0x7f800001
	s_and_saveexec_b64 s[26:27], vcc
	s_cbranch_execz .LBB380_667
; %bb.666:                              ;   in Loop: Header=BB380_610 Depth=1
	v_and_b32_e32 v5, 7, v6
	v_ffbh_u32_e32 v28, v5
	v_min_u32_e32 v28, 32, v28
	v_subrev_u32_e32 v30, 28, v28
	v_lshlrev_b64 v[30:31], v30, v[6:7]
	v_lshrrev_b32_e32 v23, 3, v10
	v_sub_u32_e32 v28, 29, v28
	v_and_b32_e32 v30, 7, v30
	v_cmp_gt_u32_e32 vcc, 8, v10
	v_cndmask_b32_e32 v10, v23, v28, vcc
	v_bfrev_b32_e32 v28, 60
	v_cndmask_b32_e32 v5, v5, v30, vcc
	v_lshlrev_b32_e32 v6, 24, v6
	v_lshlrev_b32_e32 v5, 20, v5
	v_and_b32_e32 v6, 0x80000000, v6
	v_lshl_add_u32 v10, v10, 23, v28
	v_or3_b32 v5, v6, v10, v5
.LBB380_667:                            ;   in Loop: Header=BB380_610 Depth=1
	s_or_b64 exec, exec, s[26:27]
.LBB380_668:                            ;   in Loop: Header=BB380_610 Depth=1
	s_or_b64 exec, exec, s[24:25]
.LBB380_669:                            ;   in Loop: Header=BB380_610 Depth=1
	s_or_b64 exec, exec, s[4:5]
	v_mul_f32_e32 v5, v7, v5
	v_and_b32_e32 v6, 0x7f800000, v5
	v_cmp_ne_u32_e32 vcc, s15, v6
                                        ; implicit-def: $vgpr30
	s_and_saveexec_b64 s[4:5], vcc
	s_xor_b64 s[4:5], exec, s[4:5]
; %bb.670:                              ;   in Loop: Header=BB380_610 Depth=1
	v_bfe_u32 v6, v5, 16, 1
	v_add3_u32 v30, v5, v6, s30
                                        ; implicit-def: $vgpr5
; %bb.671:                              ;   in Loop: Header=BB380_610 Depth=1
	s_andn2_saveexec_b64 s[4:5], s[4:5]
; %bb.672:                              ;   in Loop: Header=BB380_610 Depth=1
	v_or_b32_e32 v6, 0x10000, v5
	v_cmp_eq_u32_sdwa vcc, v5, v11 src0_sel:WORD_0 src1_sel:DWORD
	v_cndmask_b32_e32 v30, v6, v5, vcc
; %bb.673:                              ;   in Loop: Header=BB380_610 Depth=1
	s_or_b64 exec, exec, s[4:5]
	v_cmp_lt_u32_e32 vcc, s11, v2
	v_mov_b32_e32 v5, 0
	s_and_saveexec_b64 s[4:5], vcc
	s_cbranch_execz .LBB380_679
; %bb.674:                              ;   in Loop: Header=BB380_610 Depth=1
	v_lshrrev_b32_e32 v6, 24, v2
	v_cmp_ne_u32_e32 vcc, s31, v6
	v_bfrev_b32_e32 v5, 1
	s_and_saveexec_b64 s[24:25], vcc
	s_cbranch_execz .LBB380_678
; %bb.675:                              ;   in Loop: Header=BB380_610 Depth=1
	v_bfe_u32 v10, v2, 24, 7
	v_cmp_ne_u32_e32 vcc, s34, v10
	v_mov_b32_e32 v5, 0x7f800001
	s_and_saveexec_b64 s[26:27], vcc
	s_cbranch_execz .LBB380_677
; %bb.676:                              ;   in Loop: Header=BB380_610 Depth=1
	v_and_b32_e32 v5, 7, v6
	v_ffbh_u32_e32 v28, v5
	v_min_u32_e32 v28, 32, v28
	v_subrev_u32_e32 v31, 28, v28
	v_lshlrev_b64 v[32:33], v31, v[6:7]
	v_lshrrev_b32_e32 v23, 3, v10
	v_sub_u32_e32 v28, 29, v28
	v_and_b32_e32 v31, 7, v32
	v_cmp_gt_u32_e32 vcc, 8, v10
	v_cndmask_b32_e32 v10, v23, v28, vcc
	v_bfrev_b32_e32 v28, 60
	v_cndmask_b32_e32 v5, v5, v31, vcc
	v_lshlrev_b32_e32 v6, 24, v6
	v_lshlrev_b32_e32 v5, 20, v5
	v_and_b32_e32 v6, 0x80000000, v6
	v_lshl_add_u32 v10, v10, 23, v28
	v_or3_b32 v5, v6, v10, v5
.LBB380_677:                            ;   in Loop: Header=BB380_610 Depth=1
	s_or_b64 exec, exec, s[26:27]
.LBB380_678:                            ;   in Loop: Header=BB380_610 Depth=1
	s_or_b64 exec, exec, s[24:25]
.LBB380_679:                            ;   in Loop: Header=BB380_610 Depth=1
	s_or_b64 exec, exec, s[4:5]
	v_mul_f32_e32 v5, v7, v5
	v_and_b32_e32 v6, 0x7f800000, v5
	v_cmp_ne_u32_e32 vcc, s15, v6
                                        ; implicit-def: $vgpr31
	s_and_saveexec_b64 s[4:5], vcc
	s_xor_b64 s[4:5], exec, s[4:5]
; %bb.680:                              ;   in Loop: Header=BB380_610 Depth=1
	v_bfe_u32 v6, v5, 16, 1
	v_add3_u32 v31, v5, v6, s30
                                        ; implicit-def: $vgpr5
; %bb.681:                              ;   in Loop: Header=BB380_610 Depth=1
	s_andn2_saveexec_b64 s[4:5], s[4:5]
; %bb.682:                              ;   in Loop: Header=BB380_610 Depth=1
	v_or_b32_e32 v6, 0x10000, v5
	v_cmp_eq_u32_sdwa vcc, v5, v11 src0_sel:WORD_0 src1_sel:DWORD
	v_cndmask_b32_e32 v31, v6, v5, vcc
; %bb.683:                              ;   in Loop: Header=BB380_610 Depth=1
	s_or_b64 exec, exec, s[4:5]
	v_mov_b32_e32 v10, v3
	v_cmp_ne_u16_sdwa s[24:25], v3, v11 src0_sel:BYTE_0 src1_sel:DWORD
	v_mov_b32_e32 v5, 0
	s_and_saveexec_b64 s[4:5], s[24:25]
	s_cbranch_execz .LBB380_689
; %bb.684:                              ;   in Loop: Header=BB380_610 Depth=1
	v_cmp_ne_u16_sdwa s[26:27], v3, s31 src0_sel:BYTE_0 src1_sel:DWORD
	v_bfrev_b32_e32 v5, 1
	s_and_saveexec_b64 s[24:25], s[26:27]
	s_cbranch_execz .LBB380_688
; %bb.685:                              ;   in Loop: Header=BB380_610 Depth=1
	v_and_b32_e32 v6, 0x7f, v3
	v_cmp_ne_u32_e32 vcc, s34, v6
	v_mov_b32_e32 v5, 0x7f800001
	s_and_saveexec_b64 s[26:27], vcc
	s_cbranch_execz .LBB380_687
; %bb.686:                              ;   in Loop: Header=BB380_610 Depth=1
	v_and_b32_e32 v5, 7, v3
	v_ffbh_u32_e32 v5, v5
	v_min_u32_e32 v5, 32, v5
	v_subrev_u32_e32 v28, 28, v5
	v_cmp_gt_u32_e32 vcc, 8, v6
	v_lshrrev_b32_e32 v23, 3, v6
	v_cndmask_b32_e32 v6, 0, v28, vcc
	v_sub_u32_e32 v5, 29, v5
	v_lshlrev_b64 v[32:33], v6, v[10:11]
	v_cndmask_b32_e32 v5, v23, v5, vcc
	v_bfrev_b32_e32 v28, 60
	v_lshlrev_b32_e32 v6, 20, v32
	v_lshlrev_b32_e32 v23, 24, v10
	v_and_b32_e32 v6, 0x700000, v6
	v_and_b32_e32 v23, 0x80000000, v23
	v_lshl_add_u32 v5, v5, 23, v28
	v_or3_b32 v5, v23, v5, v6
.LBB380_687:                            ;   in Loop: Header=BB380_610 Depth=1
	s_or_b64 exec, exec, s[26:27]
.LBB380_688:                            ;   in Loop: Header=BB380_610 Depth=1
	s_or_b64 exec, exec, s[24:25]
.LBB380_689:                            ;   in Loop: Header=BB380_610 Depth=1
	s_or_b64 exec, exec, s[4:5]
	v_mul_f32_e32 v5, v7, v5
	v_and_b32_e32 v6, 0x7f800000, v5
	v_cmp_ne_u32_e32 vcc, s15, v6
                                        ; implicit-def: $vgpr32
	s_and_saveexec_b64 s[4:5], vcc
	s_xor_b64 s[4:5], exec, s[4:5]
; %bb.690:                              ;   in Loop: Header=BB380_610 Depth=1
	v_bfe_u32 v6, v5, 16, 1
	v_add3_u32 v32, v5, v6, s30
                                        ; implicit-def: $vgpr5
; %bb.691:                              ;   in Loop: Header=BB380_610 Depth=1
	s_andn2_saveexec_b64 s[4:5], s[4:5]
; %bb.692:                              ;   in Loop: Header=BB380_610 Depth=1
	v_or_b32_e32 v6, 0x10000, v5
	v_cmp_eq_u32_sdwa vcc, v5, v11 src0_sel:WORD_0 src1_sel:DWORD
	v_cndmask_b32_e32 v32, v6, v5, vcc
; %bb.693:                              ;   in Loop: Header=BB380_610 Depth=1
	s_or_b64 exec, exec, s[4:5]
	v_lshrrev_b16_e32 v6, 8, v10
	v_cmp_ne_u16_e32 vcc, 0, v6
	v_mov_b32_e32 v5, 0
	s_and_saveexec_b64 s[4:5], vcc
	s_cbranch_execz .LBB380_699
; %bb.694:                              ;   in Loop: Header=BB380_610 Depth=1
	v_cmp_ne_u16_e32 vcc, s31, v6
	v_bfrev_b32_e32 v5, 1
	s_and_saveexec_b64 s[24:25], vcc
	s_cbranch_execz .LBB380_698
; %bb.695:                              ;   in Loop: Header=BB380_610 Depth=1
	v_and_b32_e32 v33, 0x7f, v6
	v_cmp_ne_u32_e32 vcc, s34, v33
	v_mov_b32_e32 v5, 0x7f800001
	s_and_saveexec_b64 s[26:27], vcc
	s_cbranch_execz .LBB380_697
; %bb.696:                              ;   in Loop: Header=BB380_610 Depth=1
	v_and_b32_e32 v5, 7, v6
	v_ffbh_u32_e32 v28, v5
	v_min_u32_e32 v28, 32, v28
	v_subrev_u32_e32 v34, 28, v28
	v_lshlrev_b64 v[34:35], v34, v[6:7]
	v_lshrrev_b32_e32 v23, 3, v33
	v_sub_u32_e32 v6, 29, v28
	v_and_b32_e32 v28, 7, v34
	v_cmp_gt_u32_e32 vcc, 8, v33
	v_cndmask_b32_e32 v6, v23, v6, vcc
	v_cndmask_b32_e32 v5, v5, v28, vcc
	v_bfrev_b32_e32 v28, 60
	v_lshlrev_b32_e32 v10, 16, v10
	v_lshlrev_b32_e32 v5, 20, v5
	v_and_b32_e32 v10, 0x80000000, v10
	v_lshl_add_u32 v6, v6, 23, v28
	v_or3_b32 v5, v10, v6, v5
.LBB380_697:                            ;   in Loop: Header=BB380_610 Depth=1
	s_or_b64 exec, exec, s[26:27]
.LBB380_698:                            ;   in Loop: Header=BB380_610 Depth=1
	s_or_b64 exec, exec, s[24:25]
.LBB380_699:                            ;   in Loop: Header=BB380_610 Depth=1
	s_or_b64 exec, exec, s[4:5]
	v_mul_f32_e32 v6, v7, v5
	v_and_b32_e32 v5, 0x7f800000, v6
	v_cmp_ne_u32_e32 vcc, s15, v5
                                        ; implicit-def: $vgpr5
	s_and_saveexec_b64 s[4:5], vcc
	s_xor_b64 s[4:5], exec, s[4:5]
; %bb.700:                              ;   in Loop: Header=BB380_610 Depth=1
	v_bfe_u32 v5, v6, 16, 1
	v_add3_u32 v5, v6, v5, s30
                                        ; implicit-def: $vgpr6
; %bb.701:                              ;   in Loop: Header=BB380_610 Depth=1
	s_andn2_saveexec_b64 s[4:5], s[4:5]
; %bb.702:                              ;   in Loop: Header=BB380_610 Depth=1
	v_or_b32_e32 v5, 0x10000, v6
	v_cmp_eq_u32_sdwa vcc, v6, v11 src0_sel:WORD_0 src1_sel:DWORD
	v_cndmask_b32_e32 v5, v5, v6, vcc
; %bb.703:                              ;   in Loop: Header=BB380_610 Depth=1
	s_or_b64 exec, exec, s[4:5]
	v_lshrrev_b32_e32 v6, 16, v3
	v_cmp_ne_u16_sdwa s[24:25], v6, v11 src0_sel:BYTE_0 src1_sel:DWORD
	v_mov_b32_e32 v10, 0
	s_and_saveexec_b64 s[4:5], s[24:25]
	s_cbranch_execz .LBB380_709
; %bb.704:                              ;   in Loop: Header=BB380_610 Depth=1
	v_cmp_ne_u16_sdwa s[26:27], v6, s31 src0_sel:BYTE_0 src1_sel:DWORD
	v_bfrev_b32_e32 v10, 1
	s_and_saveexec_b64 s[24:25], s[26:27]
	s_cbranch_execz .LBB380_708
; %bb.705:                              ;   in Loop: Header=BB380_610 Depth=1
	v_bfe_u32 v33, v3, 16, 7
	v_cmp_ne_u32_e32 vcc, s34, v33
	v_mov_b32_e32 v10, 0x7f800001
	s_and_saveexec_b64 s[26:27], vcc
	s_cbranch_execz .LBB380_707
; %bb.706:                              ;   in Loop: Header=BB380_610 Depth=1
	v_and_b32_e32 v10, 7, v6
	v_ffbh_u32_e32 v28, v10
	v_min_u32_e32 v28, 32, v28
	v_subrev_u32_e32 v34, 28, v28
	v_lshlrev_b64 v[34:35], v34, v[6:7]
	v_lshrrev_b32_e32 v23, 3, v33
	v_sub_u32_e32 v28, 29, v28
	v_and_b32_e32 v34, 7, v34
	v_cmp_gt_u32_e32 vcc, 8, v33
	v_cndmask_b32_e32 v23, v23, v28, vcc
	v_bfrev_b32_e32 v28, 60
	v_cndmask_b32_e32 v10, v10, v34, vcc
	v_lshlrev_b32_e32 v6, 24, v6
	v_lshlrev_b32_e32 v10, 20, v10
	v_and_b32_e32 v6, 0x80000000, v6
	v_lshl_add_u32 v23, v23, 23, v28
	v_or3_b32 v10, v6, v23, v10
.LBB380_707:                            ;   in Loop: Header=BB380_610 Depth=1
	s_or_b64 exec, exec, s[26:27]
.LBB380_708:                            ;   in Loop: Header=BB380_610 Depth=1
	s_or_b64 exec, exec, s[24:25]
.LBB380_709:                            ;   in Loop: Header=BB380_610 Depth=1
	s_or_b64 exec, exec, s[4:5]
	v_mul_f32_e32 v6, v7, v10
	v_and_b32_e32 v10, 0x7f800000, v6
	v_cmp_ne_u32_e32 vcc, s15, v10
                                        ; implicit-def: $vgpr33
	s_and_saveexec_b64 s[4:5], vcc
	s_xor_b64 s[4:5], exec, s[4:5]
; %bb.710:                              ;   in Loop: Header=BB380_610 Depth=1
	v_bfe_u32 v10, v6, 16, 1
	v_add3_u32 v33, v6, v10, s30
                                        ; implicit-def: $vgpr6
; %bb.711:                              ;   in Loop: Header=BB380_610 Depth=1
	s_andn2_saveexec_b64 s[4:5], s[4:5]
; %bb.712:                              ;   in Loop: Header=BB380_610 Depth=1
	v_or_b32_e32 v10, 0x10000, v6
	v_cmp_eq_u32_sdwa vcc, v6, v11 src0_sel:WORD_0 src1_sel:DWORD
	v_cndmask_b32_e32 v33, v10, v6, vcc
; %bb.713:                              ;   in Loop: Header=BB380_610 Depth=1
	s_or_b64 exec, exec, s[4:5]
	v_cmp_lt_u64_e32 vcc, s[10:11], v[2:3]
	v_mov_b32_e32 v6, 0
	s_and_saveexec_b64 s[4:5], vcc
	s_cbranch_execz .LBB380_719
; %bb.714:                              ;   in Loop: Header=BB380_610 Depth=1
	v_lshrrev_b32_e32 v2, 24, v3
	v_cmp_ne_u32_e32 vcc, s31, v2
	v_bfrev_b32_e32 v6, 1
	s_and_saveexec_b64 s[24:25], vcc
	s_cbranch_execz .LBB380_718
; %bb.715:                              ;   in Loop: Header=BB380_610 Depth=1
	v_bfe_u32 v3, v3, 24, 7
	v_cmp_ne_u32_e32 vcc, s34, v3
	v_mov_b32_e32 v6, 0x7f800001
	s_and_saveexec_b64 s[26:27], vcc
	s_cbranch_execz .LBB380_717
; %bb.716:                              ;   in Loop: Header=BB380_610 Depth=1
	v_and_b32_e32 v6, 7, v2
	v_ffbh_u32_e32 v23, v6
	v_min_u32_e32 v23, 32, v23
	v_subrev_u32_e32 v28, 28, v23
	v_lshlrev_b64 v[34:35], v28, v[2:3]
	v_lshrrev_b32_e32 v10, 3, v3
	v_sub_u32_e32 v23, 29, v23
	v_and_b32_e32 v28, 7, v34
	v_cmp_gt_u32_e32 vcc, 8, v3
	v_cndmask_b32_e32 v3, v10, v23, vcc
	v_cndmask_b32_e32 v6, v6, v28, vcc
	v_bfrev_b32_e32 v28, 60
	v_lshlrev_b32_e32 v2, 24, v2
	v_lshlrev_b32_e32 v6, 20, v6
	v_and_b32_e32 v2, 0x80000000, v2
	v_lshl_add_u32 v3, v3, 23, v28
	v_or3_b32 v6, v2, v3, v6
.LBB380_717:                            ;   in Loop: Header=BB380_610 Depth=1
	s_or_b64 exec, exec, s[26:27]
.LBB380_718:                            ;   in Loop: Header=BB380_610 Depth=1
	s_or_b64 exec, exec, s[24:25]
.LBB380_719:                            ;   in Loop: Header=BB380_610 Depth=1
	s_or_b64 exec, exec, s[4:5]
	v_mul_f32_e32 v3, v7, v6
	v_and_b32_e32 v2, 0x7f800000, v3
	v_cmp_ne_u32_e32 vcc, s15, v2
                                        ; implicit-def: $vgpr2
	s_and_saveexec_b64 s[4:5], vcc
	s_xor_b64 s[4:5], exec, s[4:5]
; %bb.720:                              ;   in Loop: Header=BB380_610 Depth=1
	v_bfe_u32 v2, v3, 16, 1
	v_add3_u32 v2, v3, v2, s30
                                        ; implicit-def: $vgpr3
; %bb.721:                              ;   in Loop: Header=BB380_610 Depth=1
	s_andn2_saveexec_b64 s[4:5], s[4:5]
; %bb.722:                              ;   in Loop: Header=BB380_610 Depth=1
	v_or_b32_e32 v2, 0x10000, v3
	v_cmp_eq_u32_sdwa vcc, v3, v11 src0_sel:WORD_0 src1_sel:DWORD
	v_cndmask_b32_e32 v2, v2, v3, vcc
; %bb.723:                              ;   in Loop: Header=BB380_610 Depth=1
	s_or_b64 exec, exec, s[4:5]
	v_accvgpr_read_b32 v6, a12
	v_accvgpr_read_b32 v3, a20
	v_cmp_eq_u32_e32 vcc, v3, v6
	v_accvgpr_read_b32 v3, a13
	v_accvgpr_read_b32 v6, a19
	v_add_u32_e32 v52, v6, v3
	v_add_u32_e32 v23, 1, v52
	v_accvgpr_write_b32 a37, v23
	v_add_u32_e32 v23, 2, v52
	v_accvgpr_write_b32 a36, v23
	;; [unrolled: 2-line block ×5, first 2 shown]
	v_add_u32_e32 v23, 6, v52
	v_lshrrev_b32_e32 v6, 16, v5
	v_lshrrev_b32_e32 v5, 16, v32
	;; [unrolled: 1-line block ×8, first 2 shown]
	v_accvgpr_write_b32 a32, v23
	v_add_u32_e32 v31, 7, v52
	s_and_saveexec_b64 s[24:25], vcc
	s_cbranch_execz .LBB380_725
; %bb.724:                              ;   in Loop: Header=BB380_610 Depth=1
	v_accvgpr_read_b32 v23, a3
	v_cmp_lt_i32_e64 s[4:5], v52, v23
	v_accvgpr_read_b32 v32, a37
	v_cndmask_b32_e64 v27, 0, v27, s[4:5]
	v_cmp_lt_i32_e64 s[4:5], v32, v23
	v_accvgpr_read_b32 v32, a36
	v_cndmask_b32_e64 v29, 0, v29, s[4:5]
	;; [unrolled: 3-line block ×6, first 2 shown]
	v_cmp_lt_i32_e64 s[4:5], v32, v23
	v_cndmask_b32_e64 v3, 0, v3, s[4:5]
	v_cmp_lt_i32_e64 s[4:5], v31, v23
	v_cndmask_b32_e64 v2, 0, v2, s[4:5]
.LBB380_725:                            ;   in Loop: Header=BB380_610 Depth=1
	s_or_b64 exec, exec, s[24:25]
	v_and_b32_e32 v47, 0xffff0000, v26
	v_lshlrev_b32_e32 v23, 16, v27
	v_mul_f32_e32 v26, v47, v23
	v_and_b32_e32 v23, 0x7f800000, v26
	v_cmp_ne_u32_e64 s[4:5], s15, v23
                                        ; implicit-def: $agpr21
	s_and_saveexec_b64 s[24:25], s[4:5]
	s_xor_b64 s[4:5], exec, s[24:25]
; %bb.726:                              ;   in Loop: Header=BB380_610 Depth=1
	v_bfe_u32 v23, v26, 16, 1
	v_add3_u32 v23, v26, v23, s30
	v_accvgpr_write_b32 a21, v23
                                        ; implicit-def: $vgpr26
; %bb.727:                              ;   in Loop: Header=BB380_610 Depth=1
	s_andn2_saveexec_b64 s[24:25], s[4:5]
; %bb.728:                              ;   in Loop: Header=BB380_610 Depth=1
	v_or_b32_e32 v23, 0x10000, v26
	v_cmp_eq_u32_sdwa s[4:5], v26, v11 src0_sel:WORD_0 src1_sel:DWORD
	v_cndmask_b32_e64 v23, v23, v26, s[4:5]
	v_accvgpr_write_b32 a21, v23
; %bb.729:                              ;   in Loop: Header=BB380_610 Depth=1
	s_or_b64 exec, exec, s[24:25]
	v_and_b32_e32 v56, 0xffff0000, v25
	v_lshlrev_b32_e32 v23, 16, v29
	v_mul_f32_e32 v25, v56, v23
	v_and_b32_e32 v23, 0x7f800000, v25
	v_cmp_ne_u32_e64 s[4:5], s15, v23
                                        ; implicit-def: $agpr23
	s_and_saveexec_b64 s[24:25], s[4:5]
	s_xor_b64 s[4:5], exec, s[24:25]
; %bb.730:                              ;   in Loop: Header=BB380_610 Depth=1
	v_bfe_u32 v23, v25, 16, 1
	v_add3_u32 v23, v25, v23, s30
	v_accvgpr_write_b32 a23, v23
                                        ; implicit-def: $vgpr25
; %bb.731:                              ;   in Loop: Header=BB380_610 Depth=1
	s_andn2_saveexec_b64 s[24:25], s[4:5]
; %bb.732:                              ;   in Loop: Header=BB380_610 Depth=1
	v_or_b32_e32 v23, 0x10000, v25
	v_cmp_eq_u32_sdwa s[4:5], v25, v11 src0_sel:WORD_0 src1_sel:DWORD
	v_cndmask_b32_e64 v23, v23, v25, s[4:5]
	v_accvgpr_write_b32 a23, v23
; %bb.733:                              ;   in Loop: Header=BB380_610 Depth=1
	s_or_b64 exec, exec, s[24:25]
	v_and_b32_e32 v57, 0xffff0000, v24
	v_lshlrev_b32_e32 v23, 16, v30
	v_mul_f32_e32 v24, v57, v23
	v_and_b32_e32 v23, 0x7f800000, v24
	v_cmp_ne_u32_e64 s[4:5], s15, v23
                                        ; implicit-def: $agpr26
	s_and_saveexec_b64 s[24:25], s[4:5]
	s_xor_b64 s[4:5], exec, s[24:25]
; %bb.734:                              ;   in Loop: Header=BB380_610 Depth=1
	v_bfe_u32 v23, v24, 16, 1
	v_add3_u32 v23, v24, v23, s30
	v_accvgpr_write_b32 a26, v23
                                        ; implicit-def: $vgpr24
; %bb.735:                              ;   in Loop: Header=BB380_610 Depth=1
	s_andn2_saveexec_b64 s[24:25], s[4:5]
; %bb.736:                              ;   in Loop: Header=BB380_610 Depth=1
	v_or_b32_e32 v23, 0x10000, v24
	v_cmp_eq_u32_sdwa s[4:5], v24, v11 src0_sel:WORD_0 src1_sel:DWORD
	v_cndmask_b32_e64 v23, v23, v24, s[4:5]
	v_accvgpr_write_b32 a26, v23
; %bb.737:                              ;   in Loop: Header=BB380_610 Depth=1
	s_or_b64 exec, exec, s[24:25]
	v_and_b32_e32 v58, 0xffff0000, v22
	v_lshlrev_b32_e32 v10, 16, v10
	v_mul_f32_e32 v10, v58, v10
	v_and_b32_e32 v22, 0x7f800000, v10
	v_cmp_ne_u32_e64 s[4:5], s15, v22
                                        ; implicit-def: $agpr27
	s_and_saveexec_b64 s[24:25], s[4:5]
	s_xor_b64 s[4:5], exec, s[24:25]
; %bb.738:                              ;   in Loop: Header=BB380_610 Depth=1
	v_bfe_u32 v22, v10, 16, 1
	v_add3_u32 v10, v10, v22, s30
	v_accvgpr_write_b32 a27, v10
                                        ; implicit-def: $vgpr10
; %bb.739:                              ;   in Loop: Header=BB380_610 Depth=1
	s_andn2_saveexec_b64 s[24:25], s[4:5]
; %bb.740:                              ;   in Loop: Header=BB380_610 Depth=1
	v_or_b32_e32 v22, 0x10000, v10
	v_cmp_eq_u32_sdwa s[4:5], v10, v11 src0_sel:WORD_0 src1_sel:DWORD
	v_cndmask_b32_e64 v10, v22, v10, s[4:5]
	v_accvgpr_write_b32 a27, v10
; %bb.741:                              ;   in Loop: Header=BB380_610 Depth=1
	s_or_b64 exec, exec, s[24:25]
	v_and_b32_e32 v60, 0xffff0000, v21
	v_lshlrev_b32_e32 v5, 16, v5
	v_mul_f32_e32 v5, v60, v5
	v_and_b32_e32 v10, 0x7f800000, v5
	v_cmp_ne_u32_e64 s[4:5], s15, v10
                                        ; implicit-def: $agpr28
	s_and_saveexec_b64 s[24:25], s[4:5]
	s_xor_b64 s[4:5], exec, s[24:25]
; %bb.742:                              ;   in Loop: Header=BB380_610 Depth=1
	v_bfe_u32 v10, v5, 16, 1
	v_add3_u32 v5, v5, v10, s30
	v_accvgpr_write_b32 a28, v5
                                        ; implicit-def: $vgpr5
; %bb.743:                              ;   in Loop: Header=BB380_610 Depth=1
	s_andn2_saveexec_b64 s[24:25], s[4:5]
; %bb.744:                              ;   in Loop: Header=BB380_610 Depth=1
	v_or_b32_e32 v10, 0x10000, v5
	v_cmp_eq_u32_sdwa s[4:5], v5, v11 src0_sel:WORD_0 src1_sel:DWORD
	v_cndmask_b32_e64 v5, v10, v5, s[4:5]
	v_accvgpr_write_b32 a28, v5
; %bb.745:                              ;   in Loop: Header=BB380_610 Depth=1
	s_or_b64 exec, exec, s[24:25]
	v_and_b32_e32 v34, 0xffff0000, v20
	v_lshlrev_b32_e32 v5, 16, v6
	v_mul_f32_e32 v5, v34, v5
	v_and_b32_e32 v6, 0x7f800000, v5
	v_cmp_ne_u32_e64 s[4:5], s15, v6
                                        ; implicit-def: $agpr29
	s_and_saveexec_b64 s[24:25], s[4:5]
	s_xor_b64 s[4:5], exec, s[24:25]
; %bb.746:                              ;   in Loop: Header=BB380_610 Depth=1
	v_bfe_u32 v6, v5, 16, 1
	v_add3_u32 v5, v5, v6, s30
	v_accvgpr_write_b32 a29, v5
                                        ; implicit-def: $vgpr5
; %bb.747:                              ;   in Loop: Header=BB380_610 Depth=1
	s_andn2_saveexec_b64 s[24:25], s[4:5]
; %bb.748:                              ;   in Loop: Header=BB380_610 Depth=1
	v_or_b32_e32 v6, 0x10000, v5
	v_cmp_eq_u32_sdwa s[4:5], v5, v11 src0_sel:WORD_0 src1_sel:DWORD
	v_cndmask_b32_e64 v5, v6, v5, s[4:5]
	v_accvgpr_write_b32 a29, v5
; %bb.749:                              ;   in Loop: Header=BB380_610 Depth=1
	s_or_b64 exec, exec, s[24:25]
	v_and_b32_e32 v25, 0xffff0000, v9
	v_lshlrev_b32_e32 v3, 16, v3
	v_mul_f32_e32 v3, v25, v3
	v_and_b32_e32 v5, 0x7f800000, v3
	v_cmp_ne_u32_e64 s[4:5], s15, v5
                                        ; implicit-def: $agpr30
	s_and_saveexec_b64 s[24:25], s[4:5]
	s_xor_b64 s[4:5], exec, s[24:25]
; %bb.750:                              ;   in Loop: Header=BB380_610 Depth=1
	v_bfe_u32 v5, v3, 16, 1
	v_add3_u32 v3, v3, v5, s30
	v_accvgpr_write_b32 a30, v3
                                        ; implicit-def: $vgpr3
; %bb.751:                              ;   in Loop: Header=BB380_610 Depth=1
	s_andn2_saveexec_b64 s[24:25], s[4:5]
; %bb.752:                              ;   in Loop: Header=BB380_610 Depth=1
	v_or_b32_e32 v5, 0x10000, v3
	v_cmp_eq_u32_sdwa s[4:5], v3, v11 src0_sel:WORD_0 src1_sel:DWORD
	v_cndmask_b32_e64 v3, v5, v3, s[4:5]
	v_accvgpr_write_b32 a30, v3
; %bb.753:                              ;   in Loop: Header=BB380_610 Depth=1
	s_or_b64 exec, exec, s[24:25]
	v_and_b32_e32 v45, 0xffff0000, v8
	v_lshlrev_b32_e32 v2, 16, v2
	v_mul_f32_e32 v2, v45, v2
	v_and_b32_e32 v3, 0x7f800000, v2
	v_cmp_ne_u32_e64 s[4:5], s15, v3
                                        ; implicit-def: $agpr31
	s_and_saveexec_b64 s[24:25], s[4:5]
	s_xor_b64 s[4:5], exec, s[24:25]
; %bb.754:                              ;   in Loop: Header=BB380_610 Depth=1
	v_bfe_u32 v3, v2, 16, 1
	v_add3_u32 v2, v2, v3, s30
	v_accvgpr_write_b32 a31, v2
                                        ; implicit-def: $vgpr2
; %bb.755:                              ;   in Loop: Header=BB380_610 Depth=1
	s_andn2_saveexec_b64 s[24:25], s[4:5]
; %bb.756:                              ;   in Loop: Header=BB380_610 Depth=1
	v_or_b32_e32 v3, 0x10000, v2
	v_cmp_eq_u32_sdwa s[4:5], v2, v11 src0_sel:WORD_0 src1_sel:DWORD
	v_cndmask_b32_e64 v2, v3, v2, s[4:5]
	v_accvgpr_write_b32 a31, v2
; %bb.757:                              ;   in Loop: Header=BB380_610 Depth=1
	s_or_b64 exec, exec, s[24:25]
	flat_load_dwordx2 v[2:3], v[0:1] offset:512
	v_mov_b32_e32 v5, 0
	s_waitcnt vmcnt(0) lgkmcnt(0)
	v_cmp_ne_u16_sdwa s[4:5], v2, v11 src0_sel:BYTE_0 src1_sel:DWORD
	s_and_saveexec_b64 s[24:25], s[4:5]
	s_cbranch_execz .LBB380_763
; %bb.758:                              ;   in Loop: Header=BB380_610 Depth=1
	v_cmp_ne_u16_sdwa s[4:5], v2, s31 src0_sel:BYTE_0 src1_sel:DWORD
	v_bfrev_b32_e32 v5, 1
	s_and_saveexec_b64 s[26:27], s[4:5]
	s_cbranch_execz .LBB380_762
; %bb.759:                              ;   in Loop: Header=BB380_610 Depth=1
	v_and_b32_e32 v6, 0x7f, v2
	v_cmp_ne_u32_e64 s[4:5], s34, v6
	v_mov_b32_e32 v5, 0x7f800001
	s_and_saveexec_b64 s[28:29], s[4:5]
	s_cbranch_execz .LBB380_761
; %bb.760:                              ;   in Loop: Header=BB380_610 Depth=1
	v_and_b32_e32 v5, 7, v2
	v_ffbh_u32_e32 v5, v5
	v_min_u32_e32 v5, 32, v5
	v_subrev_u32_e32 v9, 28, v5
	v_cmp_gt_u32_e64 s[4:5], 8, v6
	v_lshrrev_b32_e32 v8, 3, v6
	v_sub_u32_e32 v5, 29, v5
	v_cndmask_b32_e64 v6, 0, v9, s[4:5]
	v_cndmask_b32_e64 v5, v8, v5, s[4:5]
	v_lshlrev_b64 v[8:9], v6, v[2:3]
	v_lshlrev_b32_e32 v6, 20, v8
	v_lshlrev_b32_e32 v8, 24, v2
	v_and_b32_e32 v6, 0x700000, v6
	v_and_b32_e32 v8, 0x80000000, v8
	v_lshl_add_u32 v5, v5, 23, v28
	v_or3_b32 v5, v8, v5, v6
.LBB380_761:                            ;   in Loop: Header=BB380_610 Depth=1
	s_or_b64 exec, exec, s[28:29]
.LBB380_762:                            ;   in Loop: Header=BB380_610 Depth=1
	s_or_b64 exec, exec, s[26:27]
.LBB380_763:                            ;   in Loop: Header=BB380_610 Depth=1
	s_or_b64 exec, exec, s[24:25]
	v_mul_f32_e32 v5, v7, v5
	v_and_b32_e32 v6, 0x7f800000, v5
	v_cmp_ne_u32_e64 s[4:5], s15, v6
                                        ; implicit-def: $vgpr8
	s_and_saveexec_b64 s[24:25], s[4:5]
	s_xor_b64 s[4:5], exec, s[24:25]
; %bb.764:                              ;   in Loop: Header=BB380_610 Depth=1
	v_bfe_u32 v6, v5, 16, 1
	v_add3_u32 v8, v5, v6, s30
                                        ; implicit-def: $vgpr5
; %bb.765:                              ;   in Loop: Header=BB380_610 Depth=1
	s_andn2_saveexec_b64 s[24:25], s[4:5]
; %bb.766:                              ;   in Loop: Header=BB380_610 Depth=1
	v_or_b32_e32 v6, 0x10000, v5
	v_cmp_eq_u32_sdwa s[4:5], v5, v11 src0_sel:WORD_0 src1_sel:DWORD
	v_cndmask_b32_e64 v8, v6, v5, s[4:5]
; %bb.767:                              ;   in Loop: Header=BB380_610 Depth=1
	s_or_b64 exec, exec, s[24:25]
	v_lshrrev_b16_e32 v6, 8, v2
	v_cmp_ne_u16_e64 s[4:5], 0, v6
	v_mov_b32_e32 v5, 0
	s_and_saveexec_b64 s[24:25], s[4:5]
	s_cbranch_execz .LBB380_773
; %bb.768:                              ;   in Loop: Header=BB380_610 Depth=1
	v_cmp_ne_u16_e64 s[4:5], s31, v6
	v_bfrev_b32_e32 v5, 1
	s_and_saveexec_b64 s[26:27], s[4:5]
	s_cbranch_execz .LBB380_772
; %bb.769:                              ;   in Loop: Header=BB380_610 Depth=1
	v_and_b32_e32 v9, 0x7f, v6
	v_cmp_ne_u32_e64 s[4:5], s34, v9
	v_mov_b32_e32 v5, 0x7f800001
	s_and_saveexec_b64 s[28:29], s[4:5]
	s_cbranch_execz .LBB380_771
; %bb.770:                              ;   in Loop: Header=BB380_610 Depth=1
	v_and_b32_e32 v5, 7, v6
	v_ffbh_u32_e32 v20, v5
	v_min_u32_e32 v22, 32, v20
	v_subrev_u32_e32 v20, 28, v22
	v_lshlrev_b64 v[20:21], v20, v[6:7]
	v_lshrrev_b32_e32 v10, 3, v9
	v_sub_u32_e32 v6, 29, v22
	v_and_b32_e32 v20, 7, v20
	v_cmp_gt_u32_e64 s[4:5], 8, v9
	v_cndmask_b32_e64 v6, v10, v6, s[4:5]
	v_cndmask_b32_e64 v5, v5, v20, s[4:5]
	v_lshlrev_b32_e32 v9, 16, v2
	v_lshlrev_b32_e32 v5, 20, v5
	v_and_b32_e32 v9, 0x80000000, v9
	v_lshl_add_u32 v6, v6, 23, v28
	v_or3_b32 v5, v9, v6, v5
.LBB380_771:                            ;   in Loop: Header=BB380_610 Depth=1
	s_or_b64 exec, exec, s[28:29]
.LBB380_772:                            ;   in Loop: Header=BB380_610 Depth=1
	s_or_b64 exec, exec, s[26:27]
.LBB380_773:                            ;   in Loop: Header=BB380_610 Depth=1
	s_or_b64 exec, exec, s[24:25]
	v_mul_f32_e32 v5, v7, v5
	v_and_b32_e32 v6, 0x7f800000, v5
	v_cmp_ne_u32_e64 s[4:5], s15, v6
                                        ; implicit-def: $vgpr9
	s_and_saveexec_b64 s[24:25], s[4:5]
	s_xor_b64 s[4:5], exec, s[24:25]
; %bb.774:                              ;   in Loop: Header=BB380_610 Depth=1
	v_bfe_u32 v6, v5, 16, 1
	v_add3_u32 v9, v5, v6, s30
                                        ; implicit-def: $vgpr5
; %bb.775:                              ;   in Loop: Header=BB380_610 Depth=1
	s_andn2_saveexec_b64 s[24:25], s[4:5]
; %bb.776:                              ;   in Loop: Header=BB380_610 Depth=1
	v_or_b32_e32 v6, 0x10000, v5
	v_cmp_eq_u32_sdwa s[4:5], v5, v11 src0_sel:WORD_0 src1_sel:DWORD
	v_cndmask_b32_e64 v9, v6, v5, s[4:5]
; %bb.777:                              ;   in Loop: Header=BB380_610 Depth=1
	s_or_b64 exec, exec, s[24:25]
	v_lshrrev_b32_e32 v6, 16, v2
	v_cmp_ne_u16_sdwa s[4:5], v6, v11 src0_sel:BYTE_0 src1_sel:DWORD
	v_mov_b32_e32 v5, 0
	s_and_saveexec_b64 s[24:25], s[4:5]
	s_cbranch_execz .LBB380_783
; %bb.778:                              ;   in Loop: Header=BB380_610 Depth=1
	v_cmp_ne_u16_sdwa s[4:5], v6, s31 src0_sel:BYTE_0 src1_sel:DWORD
	v_bfrev_b32_e32 v5, 1
	s_and_saveexec_b64 s[26:27], s[4:5]
	s_cbranch_execz .LBB380_782
; %bb.779:                              ;   in Loop: Header=BB380_610 Depth=1
	v_bfe_u32 v10, v2, 16, 7
	v_cmp_ne_u32_e64 s[4:5], s34, v10
	v_mov_b32_e32 v5, 0x7f800001
	s_and_saveexec_b64 s[28:29], s[4:5]
	s_cbranch_execz .LBB380_781
; %bb.780:                              ;   in Loop: Header=BB380_610 Depth=1
	v_and_b32_e32 v5, 7, v6
	v_ffbh_u32_e32 v20, v5
	v_min_u32_e32 v23, 32, v20
	v_subrev_u32_e32 v20, 28, v23
	v_lshlrev_b64 v[20:21], v20, v[6:7]
	v_lshrrev_b32_e32 v22, 3, v10
	v_sub_u32_e32 v21, 29, v23
	v_and_b32_e32 v20, 7, v20
	v_cmp_gt_u32_e64 s[4:5], 8, v10
	v_cndmask_b32_e64 v10, v22, v21, s[4:5]
	v_cndmask_b32_e64 v5, v5, v20, s[4:5]
	v_lshlrev_b32_e32 v6, 24, v6
	v_lshlrev_b32_e32 v5, 20, v5
	v_and_b32_e32 v6, 0x80000000, v6
	v_lshl_add_u32 v10, v10, 23, v28
	v_or3_b32 v5, v6, v10, v5
.LBB380_781:                            ;   in Loop: Header=BB380_610 Depth=1
	s_or_b64 exec, exec, s[28:29]
.LBB380_782:                            ;   in Loop: Header=BB380_610 Depth=1
	s_or_b64 exec, exec, s[26:27]
.LBB380_783:                            ;   in Loop: Header=BB380_610 Depth=1
	s_or_b64 exec, exec, s[24:25]
	v_mul_f32_e32 v5, v7, v5
	v_and_b32_e32 v6, 0x7f800000, v5
	v_cmp_ne_u32_e64 s[4:5], s15, v6
                                        ; implicit-def: $vgpr20
	s_and_saveexec_b64 s[24:25], s[4:5]
	s_xor_b64 s[4:5], exec, s[24:25]
; %bb.784:                              ;   in Loop: Header=BB380_610 Depth=1
	v_bfe_u32 v6, v5, 16, 1
	v_add3_u32 v20, v5, v6, s30
                                        ; implicit-def: $vgpr5
; %bb.785:                              ;   in Loop: Header=BB380_610 Depth=1
	s_andn2_saveexec_b64 s[24:25], s[4:5]
; %bb.786:                              ;   in Loop: Header=BB380_610 Depth=1
	v_or_b32_e32 v6, 0x10000, v5
	v_cmp_eq_u32_sdwa s[4:5], v5, v11 src0_sel:WORD_0 src1_sel:DWORD
	v_cndmask_b32_e64 v20, v6, v5, s[4:5]
; %bb.787:                              ;   in Loop: Header=BB380_610 Depth=1
	s_or_b64 exec, exec, s[24:25]
	v_cmp_lt_u32_e64 s[4:5], s11, v2
	v_mov_b32_e32 v5, 0
	s_and_saveexec_b64 s[24:25], s[4:5]
	s_cbranch_execz .LBB380_793
; %bb.788:                              ;   in Loop: Header=BB380_610 Depth=1
	v_lshrrev_b32_e32 v6, 24, v2
	v_cmp_ne_u32_e64 s[4:5], s31, v6
	v_bfrev_b32_e32 v5, 1
	s_and_saveexec_b64 s[26:27], s[4:5]
	s_cbranch_execz .LBB380_792
; %bb.789:                              ;   in Loop: Header=BB380_610 Depth=1
	v_bfe_u32 v10, v2, 24, 7
	v_cmp_ne_u32_e64 s[4:5], s34, v10
	v_mov_b32_e32 v5, 0x7f800001
	s_and_saveexec_b64 s[28:29], s[4:5]
	s_cbranch_execz .LBB380_791
; %bb.790:                              ;   in Loop: Header=BB380_610 Depth=1
	v_and_b32_e32 v5, 7, v6
	v_ffbh_u32_e32 v22, v5
	v_min_u32_e32 v22, 32, v22
	v_subrev_u32_e32 v23, 28, v22
	v_lshlrev_b64 v[26:27], v23, v[6:7]
	v_lshrrev_b32_e32 v21, 3, v10
	v_sub_u32_e32 v22, 29, v22
	v_and_b32_e32 v23, 7, v26
	v_cmp_gt_u32_e64 s[4:5], 8, v10
	v_cndmask_b32_e64 v10, v21, v22, s[4:5]
	v_cndmask_b32_e64 v5, v5, v23, s[4:5]
	v_lshlrev_b32_e32 v6, 24, v6
	v_lshlrev_b32_e32 v5, 20, v5
	v_and_b32_e32 v6, 0x80000000, v6
	v_lshl_add_u32 v10, v10, 23, v28
	v_or3_b32 v5, v6, v10, v5
.LBB380_791:                            ;   in Loop: Header=BB380_610 Depth=1
	s_or_b64 exec, exec, s[28:29]
.LBB380_792:                            ;   in Loop: Header=BB380_610 Depth=1
	s_or_b64 exec, exec, s[26:27]
.LBB380_793:                            ;   in Loop: Header=BB380_610 Depth=1
	s_or_b64 exec, exec, s[24:25]
	v_mul_f32_e32 v5, v7, v5
	v_and_b32_e32 v6, 0x7f800000, v5
	v_cmp_ne_u32_e64 s[4:5], s15, v6
                                        ; implicit-def: $vgpr21
	s_and_saveexec_b64 s[24:25], s[4:5]
	s_xor_b64 s[4:5], exec, s[24:25]
; %bb.794:                              ;   in Loop: Header=BB380_610 Depth=1
	v_bfe_u32 v6, v5, 16, 1
	v_add3_u32 v21, v5, v6, s30
                                        ; implicit-def: $vgpr5
; %bb.795:                              ;   in Loop: Header=BB380_610 Depth=1
	s_andn2_saveexec_b64 s[24:25], s[4:5]
; %bb.796:                              ;   in Loop: Header=BB380_610 Depth=1
	v_or_b32_e32 v6, 0x10000, v5
	v_cmp_eq_u32_sdwa s[4:5], v5, v11 src0_sel:WORD_0 src1_sel:DWORD
	v_cndmask_b32_e64 v21, v6, v5, s[4:5]
; %bb.797:                              ;   in Loop: Header=BB380_610 Depth=1
	s_or_b64 exec, exec, s[24:25]
	v_mov_b32_e32 v10, v3
	v_cmp_ne_u16_sdwa s[4:5], v3, v11 src0_sel:BYTE_0 src1_sel:DWORD
	v_mov_b32_e32 v5, 0
	s_and_saveexec_b64 s[24:25], s[4:5]
	s_cbranch_execz .LBB380_803
; %bb.798:                              ;   in Loop: Header=BB380_610 Depth=1
	v_cmp_ne_u16_sdwa s[4:5], v3, s31 src0_sel:BYTE_0 src1_sel:DWORD
	v_bfrev_b32_e32 v5, 1
	s_and_saveexec_b64 s[26:27], s[4:5]
	s_cbranch_execz .LBB380_802
; %bb.799:                              ;   in Loop: Header=BB380_610 Depth=1
	v_and_b32_e32 v6, 0x7f, v3
	v_cmp_ne_u32_e64 s[4:5], s34, v6
	v_mov_b32_e32 v5, 0x7f800001
	s_and_saveexec_b64 s[28:29], s[4:5]
	s_cbranch_execz .LBB380_801
; %bb.800:                              ;   in Loop: Header=BB380_610 Depth=1
	v_and_b32_e32 v5, 7, v3
	v_ffbh_u32_e32 v5, v5
	v_min_u32_e32 v5, 32, v5
	v_subrev_u32_e32 v23, 28, v5
	v_cmp_gt_u32_e64 s[4:5], 8, v6
	v_lshrrev_b32_e32 v22, 3, v6
	v_cndmask_b32_e64 v6, 0, v23, s[4:5]
	v_sub_u32_e32 v5, 29, v5
	v_lshlrev_b64 v[26:27], v6, v[10:11]
	v_cndmask_b32_e64 v5, v22, v5, s[4:5]
	v_lshlrev_b32_e32 v6, 20, v26
	v_lshlrev_b32_e32 v22, 24, v10
	v_and_b32_e32 v6, 0x700000, v6
	v_and_b32_e32 v22, 0x80000000, v22
	v_lshl_add_u32 v5, v5, 23, v28
	v_or3_b32 v5, v22, v5, v6
.LBB380_801:                            ;   in Loop: Header=BB380_610 Depth=1
	s_or_b64 exec, exec, s[28:29]
.LBB380_802:                            ;   in Loop: Header=BB380_610 Depth=1
	s_or_b64 exec, exec, s[26:27]
.LBB380_803:                            ;   in Loop: Header=BB380_610 Depth=1
	s_or_b64 exec, exec, s[24:25]
	v_mul_f32_e32 v5, v7, v5
	v_and_b32_e32 v6, 0x7f800000, v5
	v_cmp_ne_u32_e64 s[4:5], s15, v6
                                        ; implicit-def: $vgpr22
	s_and_saveexec_b64 s[24:25], s[4:5]
	s_xor_b64 s[4:5], exec, s[24:25]
; %bb.804:                              ;   in Loop: Header=BB380_610 Depth=1
	v_bfe_u32 v6, v5, 16, 1
	v_add3_u32 v22, v5, v6, s30
                                        ; implicit-def: $vgpr5
; %bb.805:                              ;   in Loop: Header=BB380_610 Depth=1
	s_andn2_saveexec_b64 s[24:25], s[4:5]
; %bb.806:                              ;   in Loop: Header=BB380_610 Depth=1
	v_or_b32_e32 v6, 0x10000, v5
	v_cmp_eq_u32_sdwa s[4:5], v5, v11 src0_sel:WORD_0 src1_sel:DWORD
	v_cndmask_b32_e64 v22, v6, v5, s[4:5]
; %bb.807:                              ;   in Loop: Header=BB380_610 Depth=1
	s_or_b64 exec, exec, s[24:25]
	v_lshrrev_b16_e32 v6, 8, v10
	v_cmp_ne_u16_e64 s[4:5], 0, v6
	v_mov_b32_e32 v5, 0
	s_and_saveexec_b64 s[24:25], s[4:5]
	s_cbranch_execz .LBB380_813
; %bb.808:                              ;   in Loop: Header=BB380_610 Depth=1
	v_cmp_ne_u16_e64 s[4:5], s31, v6
	v_bfrev_b32_e32 v5, 1
	s_and_saveexec_b64 s[26:27], s[4:5]
	s_cbranch_execz .LBB380_812
; %bb.809:                              ;   in Loop: Header=BB380_610 Depth=1
	v_and_b32_e32 v24, 0x7f, v6
	v_cmp_ne_u32_e64 s[4:5], s34, v24
	v_mov_b32_e32 v5, 0x7f800001
	s_and_saveexec_b64 s[28:29], s[4:5]
	s_cbranch_execz .LBB380_811
; %bb.810:                              ;   in Loop: Header=BB380_610 Depth=1
	v_and_b32_e32 v5, 7, v6
	v_ffbh_u32_e32 v26, v5
	v_min_u32_e32 v28, 32, v26
	v_subrev_u32_e32 v26, 28, v28
	v_lshlrev_b64 v[26:27], v26, v[6:7]
	v_lshrrev_b32_e32 v23, 3, v24
	v_sub_u32_e32 v6, 29, v28
	v_and_b32_e32 v26, 7, v26
	v_cmp_gt_u32_e64 s[4:5], 8, v24
	v_bfrev_b32_e32 v28, 60
	v_cndmask_b32_e64 v6, v23, v6, s[4:5]
	v_cndmask_b32_e64 v5, v5, v26, s[4:5]
	v_lshlrev_b32_e32 v10, 16, v10
	v_lshlrev_b32_e32 v5, 20, v5
	v_and_b32_e32 v10, 0x80000000, v10
	v_lshl_add_u32 v6, v6, 23, v28
	v_or3_b32 v5, v10, v6, v5
.LBB380_811:                            ;   in Loop: Header=BB380_610 Depth=1
	s_or_b64 exec, exec, s[28:29]
.LBB380_812:                            ;   in Loop: Header=BB380_610 Depth=1
	s_or_b64 exec, exec, s[26:27]
.LBB380_813:                            ;   in Loop: Header=BB380_610 Depth=1
	s_or_b64 exec, exec, s[24:25]
	v_mul_f32_e32 v6, v7, v5
	v_and_b32_e32 v5, 0x7f800000, v6
	v_cmp_ne_u32_e64 s[4:5], s15, v5
                                        ; implicit-def: $vgpr5
	s_and_saveexec_b64 s[24:25], s[4:5]
	s_xor_b64 s[4:5], exec, s[24:25]
; %bb.814:                              ;   in Loop: Header=BB380_610 Depth=1
	v_bfe_u32 v5, v6, 16, 1
	v_add3_u32 v5, v6, v5, s30
                                        ; implicit-def: $vgpr6
; %bb.815:                              ;   in Loop: Header=BB380_610 Depth=1
	s_andn2_saveexec_b64 s[24:25], s[4:5]
; %bb.816:                              ;   in Loop: Header=BB380_610 Depth=1
	v_or_b32_e32 v5, 0x10000, v6
	v_cmp_eq_u32_sdwa s[4:5], v6, v11 src0_sel:WORD_0 src1_sel:DWORD
	v_cndmask_b32_e64 v5, v5, v6, s[4:5]
; %bb.817:                              ;   in Loop: Header=BB380_610 Depth=1
	s_or_b64 exec, exec, s[24:25]
	v_lshrrev_b32_e32 v6, 16, v3
	v_cmp_ne_u16_sdwa s[4:5], v6, v11 src0_sel:BYTE_0 src1_sel:DWORD
	v_mov_b32_e32 v10, 0
	s_and_saveexec_b64 s[24:25], s[4:5]
	s_cbranch_execz .LBB380_823
; %bb.818:                              ;   in Loop: Header=BB380_610 Depth=1
	v_cmp_ne_u16_sdwa s[4:5], v6, s31 src0_sel:BYTE_0 src1_sel:DWORD
	v_bfrev_b32_e32 v10, 1
	s_and_saveexec_b64 s[26:27], s[4:5]
	s_cbranch_execz .LBB380_822
; %bb.819:                              ;   in Loop: Header=BB380_610 Depth=1
	v_bfe_u32 v24, v3, 16, 7
	v_cmp_ne_u32_e64 s[4:5], s34, v24
	v_mov_b32_e32 v10, 0x7f800001
	s_and_saveexec_b64 s[28:29], s[4:5]
	s_cbranch_execz .LBB380_821
; %bb.820:                              ;   in Loop: Header=BB380_610 Depth=1
	v_and_b32_e32 v10, 7, v6
	v_ffbh_u32_e32 v26, v10
	v_min_u32_e32 v28, 32, v26
	v_subrev_u32_e32 v26, 28, v28
	v_lshlrev_b64 v[26:27], v26, v[6:7]
	v_lshrrev_b32_e32 v23, 3, v24
	v_sub_u32_e32 v27, 29, v28
	v_and_b32_e32 v26, 7, v26
	v_cmp_gt_u32_e64 s[4:5], 8, v24
	v_bfrev_b32_e32 v28, 60
	v_cndmask_b32_e64 v23, v23, v27, s[4:5]
	v_cndmask_b32_e64 v10, v10, v26, s[4:5]
	v_lshlrev_b32_e32 v6, 24, v6
	v_lshlrev_b32_e32 v10, 20, v10
	v_and_b32_e32 v6, 0x80000000, v6
	v_lshl_add_u32 v23, v23, 23, v28
	v_or3_b32 v10, v6, v23, v10
.LBB380_821:                            ;   in Loop: Header=BB380_610 Depth=1
	s_or_b64 exec, exec, s[28:29]
.LBB380_822:                            ;   in Loop: Header=BB380_610 Depth=1
	s_or_b64 exec, exec, s[26:27]
.LBB380_823:                            ;   in Loop: Header=BB380_610 Depth=1
	s_or_b64 exec, exec, s[24:25]
	v_mul_f32_e32 v6, v7, v10
	v_and_b32_e32 v10, 0x7f800000, v6
	v_cmp_ne_u32_e64 s[4:5], s15, v10
                                        ; implicit-def: $vgpr24
	s_and_saveexec_b64 s[24:25], s[4:5]
	s_xor_b64 s[4:5], exec, s[24:25]
; %bb.824:                              ;   in Loop: Header=BB380_610 Depth=1
	v_bfe_u32 v10, v6, 16, 1
	v_add3_u32 v24, v6, v10, s30
                                        ; implicit-def: $vgpr6
; %bb.825:                              ;   in Loop: Header=BB380_610 Depth=1
	s_andn2_saveexec_b64 s[24:25], s[4:5]
; %bb.826:                              ;   in Loop: Header=BB380_610 Depth=1
	v_or_b32_e32 v10, 0x10000, v6
	v_cmp_eq_u32_sdwa s[4:5], v6, v11 src0_sel:WORD_0 src1_sel:DWORD
	v_cndmask_b32_e64 v24, v10, v6, s[4:5]
; %bb.827:                              ;   in Loop: Header=BB380_610 Depth=1
	s_or_b64 exec, exec, s[24:25]
	v_cmp_lt_u64_e64 s[4:5], s[10:11], v[2:3]
	v_mov_b32_e32 v6, 0
	s_and_saveexec_b64 s[24:25], s[4:5]
	s_cbranch_execz .LBB380_833
; %bb.828:                              ;   in Loop: Header=BB380_610 Depth=1
	v_lshrrev_b32_e32 v2, 24, v3
	v_cmp_ne_u32_e64 s[4:5], s31, v2
	v_bfrev_b32_e32 v6, 1
	s_and_saveexec_b64 s[26:27], s[4:5]
	s_cbranch_execz .LBB380_832
; %bb.829:                              ;   in Loop: Header=BB380_610 Depth=1
	v_bfe_u32 v3, v3, 24, 7
	v_cmp_ne_u32_e64 s[4:5], s34, v3
	v_mov_b32_e32 v6, 0x7f800001
	s_and_saveexec_b64 s[28:29], s[4:5]
	s_cbranch_execz .LBB380_831
; %bb.830:                              ;   in Loop: Header=BB380_610 Depth=1
	v_and_b32_e32 v6, 7, v2
	v_ffbh_u32_e32 v23, v6
	v_min_u32_e32 v23, 32, v23
	v_subrev_u32_e32 v26, 28, v23
	v_lshlrev_b64 v[26:27], v26, v[2:3]
	v_lshrrev_b32_e32 v10, 3, v3
	v_sub_u32_e32 v23, 29, v23
	v_and_b32_e32 v26, 7, v26
	v_cmp_gt_u32_e64 s[4:5], 8, v3
	v_cndmask_b32_e64 v3, v10, v23, s[4:5]
	v_cndmask_b32_e64 v6, v6, v26, s[4:5]
	v_lshlrev_b32_e32 v2, 24, v2
	v_lshlrev_b32_e32 v6, 20, v6
	v_and_b32_e32 v2, 0x80000000, v2
	v_lshl_add_u32 v3, v3, 23, v28
	v_or3_b32 v6, v2, v3, v6
.LBB380_831:                            ;   in Loop: Header=BB380_610 Depth=1
	s_or_b64 exec, exec, s[28:29]
.LBB380_832:                            ;   in Loop: Header=BB380_610 Depth=1
	s_or_b64 exec, exec, s[26:27]
.LBB380_833:                            ;   in Loop: Header=BB380_610 Depth=1
	s_or_b64 exec, exec, s[24:25]
	v_mul_f32_e32 v3, v7, v6
	v_and_b32_e32 v2, 0x7f800000, v3
	v_cmp_ne_u32_e64 s[4:5], s15, v2
                                        ; implicit-def: $vgpr2
	s_and_saveexec_b64 s[24:25], s[4:5]
	s_xor_b64 s[4:5], exec, s[24:25]
; %bb.834:                              ;   in Loop: Header=BB380_610 Depth=1
	v_bfe_u32 v2, v3, 16, 1
	v_add3_u32 v2, v3, v2, s30
                                        ; implicit-def: $vgpr3
; %bb.835:                              ;   in Loop: Header=BB380_610 Depth=1
	s_andn2_saveexec_b64 s[24:25], s[4:5]
; %bb.836:                              ;   in Loop: Header=BB380_610 Depth=1
	v_or_b32_e32 v2, 0x10000, v3
	v_cmp_eq_u32_sdwa s[4:5], v3, v11 src0_sel:WORD_0 src1_sel:DWORD
	v_cndmask_b32_e64 v2, v2, v3, s[4:5]
; %bb.837:                              ;   in Loop: Header=BB380_610 Depth=1
	s_or_b64 exec, exec, s[24:25]
	v_lshrrev_b32_e32 v6, 16, v5
	v_lshrrev_b32_e32 v5, 16, v22
	v_lshrrev_b32_e32 v10, 16, v21
	v_lshrrev_b32_e32 v20, 16, v20
	v_lshrrev_b32_e32 v9, 16, v9
	v_lshrrev_b32_e32 v8, 16, v8
	v_lshrrev_b32_e32 v3, 16, v24
	v_lshrrev_b32_e32 v2, 16, v2
	s_and_saveexec_b64 s[24:25], vcc
	s_cbranch_execz .LBB380_839
; %bb.838:                              ;   in Loop: Header=BB380_610 Depth=1
	v_accvgpr_read_b32 v21, a3
	v_cmp_lt_i32_e64 s[4:5], v52, v21
	v_accvgpr_read_b32 v22, a37
	v_cndmask_b32_e64 v8, 0, v8, s[4:5]
	v_cmp_lt_i32_e64 s[4:5], v22, v21
	v_accvgpr_read_b32 v22, a36
	v_cndmask_b32_e64 v9, 0, v9, s[4:5]
	v_cmp_lt_i32_e64 s[4:5], v22, v21
	v_accvgpr_read_b32 v22, a35
	v_cndmask_b32_e64 v20, 0, v20, s[4:5]
	v_cmp_lt_i32_e64 s[4:5], v22, v21
	v_accvgpr_read_b32 v22, a34
	v_cndmask_b32_e64 v10, 0, v10, s[4:5]
	v_cmp_lt_i32_e64 s[4:5], v22, v21
	v_accvgpr_read_b32 v22, a33
	v_cndmask_b32_e64 v5, 0, v5, s[4:5]
	v_cmp_lt_i32_e64 s[4:5], v22, v21
	v_accvgpr_read_b32 v22, a32
	v_cndmask_b32_e64 v6, 0, v6, s[4:5]
	v_cmp_lt_i32_e64 s[4:5], v22, v21
	v_cndmask_b32_e64 v3, 0, v3, s[4:5]
	v_cmp_lt_i32_e64 s[4:5], v31, v21
	v_cndmask_b32_e64 v2, 0, v2, s[4:5]
.LBB380_839:                            ;   in Loop: Header=BB380_610 Depth=1
	s_or_b64 exec, exec, s[24:25]
	v_lshlrev_b32_e32 v8, 16, v8
	v_mul_f32_e32 v8, v47, v8
	v_and_b32_e32 v21, 0x7f800000, v8
	v_cmp_ne_u32_e64 s[4:5], s15, v21
                                        ; implicit-def: $agpr38
	s_and_saveexec_b64 s[24:25], s[4:5]
	s_xor_b64 s[4:5], exec, s[24:25]
; %bb.840:                              ;   in Loop: Header=BB380_610 Depth=1
	v_bfe_u32 v21, v8, 16, 1
	v_add3_u32 v8, v8, v21, s30
	v_accvgpr_write_b32 a38, v8
                                        ; implicit-def: $vgpr8
; %bb.841:                              ;   in Loop: Header=BB380_610 Depth=1
	s_andn2_saveexec_b64 s[24:25], s[4:5]
; %bb.842:                              ;   in Loop: Header=BB380_610 Depth=1
	v_or_b32_e32 v21, 0x10000, v8
	v_cmp_eq_u32_sdwa s[4:5], v8, v11 src0_sel:WORD_0 src1_sel:DWORD
	v_cndmask_b32_e64 v8, v21, v8, s[4:5]
	v_accvgpr_write_b32 a38, v8
; %bb.843:                              ;   in Loop: Header=BB380_610 Depth=1
	s_or_b64 exec, exec, s[24:25]
	v_lshlrev_b32_e32 v8, 16, v9
	v_mul_f32_e32 v8, v56, v8
	v_and_b32_e32 v9, 0x7f800000, v8
	v_cmp_ne_u32_e64 s[4:5], s15, v9
                                        ; implicit-def: $agpr39
	s_and_saveexec_b64 s[24:25], s[4:5]
	s_xor_b64 s[4:5], exec, s[24:25]
; %bb.844:                              ;   in Loop: Header=BB380_610 Depth=1
	v_bfe_u32 v9, v8, 16, 1
	v_add3_u32 v8, v8, v9, s30
	v_accvgpr_write_b32 a39, v8
                                        ; implicit-def: $vgpr8
; %bb.845:                              ;   in Loop: Header=BB380_610 Depth=1
	s_andn2_saveexec_b64 s[24:25], s[4:5]
; %bb.846:                              ;   in Loop: Header=BB380_610 Depth=1
	v_or_b32_e32 v9, 0x10000, v8
	v_cmp_eq_u32_sdwa s[4:5], v8, v11 src0_sel:WORD_0 src1_sel:DWORD
	v_cndmask_b32_e64 v8, v9, v8, s[4:5]
	v_accvgpr_write_b32 a39, v8
; %bb.847:                              ;   in Loop: Header=BB380_610 Depth=1
	s_or_b64 exec, exec, s[24:25]
	v_lshlrev_b32_e32 v8, 16, v20
	v_mul_f32_e32 v8, v57, v8
	v_and_b32_e32 v9, 0x7f800000, v8
	v_cmp_ne_u32_e64 s[4:5], s15, v9
                                        ; implicit-def: $agpr40
	s_and_saveexec_b64 s[24:25], s[4:5]
	s_xor_b64 s[4:5], exec, s[24:25]
; %bb.848:                              ;   in Loop: Header=BB380_610 Depth=1
	v_bfe_u32 v9, v8, 16, 1
	v_add3_u32 v8, v8, v9, s30
	v_accvgpr_write_b32 a40, v8
                                        ; implicit-def: $vgpr8
; %bb.849:                              ;   in Loop: Header=BB380_610 Depth=1
	s_andn2_saveexec_b64 s[24:25], s[4:5]
; %bb.850:                              ;   in Loop: Header=BB380_610 Depth=1
	v_or_b32_e32 v9, 0x10000, v8
	v_cmp_eq_u32_sdwa s[4:5], v8, v11 src0_sel:WORD_0 src1_sel:DWORD
	v_cndmask_b32_e64 v8, v9, v8, s[4:5]
	v_accvgpr_write_b32 a40, v8
; %bb.851:                              ;   in Loop: Header=BB380_610 Depth=1
	s_or_b64 exec, exec, s[24:25]
	v_lshlrev_b32_e32 v8, 16, v10
	v_mul_f32_e32 v8, v58, v8
	v_and_b32_e32 v9, 0x7f800000, v8
	v_cmp_ne_u32_e64 s[4:5], s15, v9
                                        ; implicit-def: $agpr41
	s_and_saveexec_b64 s[24:25], s[4:5]
	s_xor_b64 s[4:5], exec, s[24:25]
; %bb.852:                              ;   in Loop: Header=BB380_610 Depth=1
	v_bfe_u32 v9, v8, 16, 1
	v_add3_u32 v8, v8, v9, s30
	v_accvgpr_write_b32 a41, v8
                                        ; implicit-def: $vgpr8
; %bb.853:                              ;   in Loop: Header=BB380_610 Depth=1
	s_andn2_saveexec_b64 s[24:25], s[4:5]
; %bb.854:                              ;   in Loop: Header=BB380_610 Depth=1
	v_or_b32_e32 v9, 0x10000, v8
	v_cmp_eq_u32_sdwa s[4:5], v8, v11 src0_sel:WORD_0 src1_sel:DWORD
	v_cndmask_b32_e64 v8, v9, v8, s[4:5]
	v_accvgpr_write_b32 a41, v8
; %bb.855:                              ;   in Loop: Header=BB380_610 Depth=1
	s_or_b64 exec, exec, s[24:25]
	v_lshlrev_b32_e32 v5, 16, v5
	v_mul_f32_e32 v5, v60, v5
	v_and_b32_e32 v8, 0x7f800000, v5
	v_cmp_ne_u32_e64 s[4:5], s15, v8
                                        ; implicit-def: $agpr42
	s_and_saveexec_b64 s[24:25], s[4:5]
	s_xor_b64 s[4:5], exec, s[24:25]
; %bb.856:                              ;   in Loop: Header=BB380_610 Depth=1
	v_bfe_u32 v8, v5, 16, 1
	v_add3_u32 v5, v5, v8, s30
	v_accvgpr_write_b32 a42, v5
                                        ; implicit-def: $vgpr5
; %bb.857:                              ;   in Loop: Header=BB380_610 Depth=1
	s_andn2_saveexec_b64 s[24:25], s[4:5]
; %bb.858:                              ;   in Loop: Header=BB380_610 Depth=1
	v_or_b32_e32 v8, 0x10000, v5
	v_cmp_eq_u32_sdwa s[4:5], v5, v11 src0_sel:WORD_0 src1_sel:DWORD
	v_cndmask_b32_e64 v5, v8, v5, s[4:5]
	v_accvgpr_write_b32 a42, v5
; %bb.859:                              ;   in Loop: Header=BB380_610 Depth=1
	s_or_b64 exec, exec, s[24:25]
	v_lshlrev_b32_e32 v5, 16, v6
	v_mul_f32_e32 v5, v34, v5
	v_and_b32_e32 v6, 0x7f800000, v5
	v_cmp_ne_u32_e64 s[4:5], s15, v6
                                        ; implicit-def: $agpr43
	s_and_saveexec_b64 s[24:25], s[4:5]
	s_xor_b64 s[4:5], exec, s[24:25]
; %bb.860:                              ;   in Loop: Header=BB380_610 Depth=1
	v_bfe_u32 v6, v5, 16, 1
	v_add3_u32 v5, v5, v6, s30
	v_accvgpr_write_b32 a43, v5
                                        ; implicit-def: $vgpr5
; %bb.861:                              ;   in Loop: Header=BB380_610 Depth=1
	s_andn2_saveexec_b64 s[24:25], s[4:5]
; %bb.862:                              ;   in Loop: Header=BB380_610 Depth=1
	v_or_b32_e32 v6, 0x10000, v5
	v_cmp_eq_u32_sdwa s[4:5], v5, v11 src0_sel:WORD_0 src1_sel:DWORD
	v_cndmask_b32_e64 v5, v6, v5, s[4:5]
	v_accvgpr_write_b32 a43, v5
; %bb.863:                              ;   in Loop: Header=BB380_610 Depth=1
	s_or_b64 exec, exec, s[24:25]
	v_lshlrev_b32_e32 v3, 16, v3
	v_mul_f32_e32 v3, v25, v3
	v_and_b32_e32 v5, 0x7f800000, v3
	v_cmp_ne_u32_e64 s[4:5], s15, v5
                                        ; implicit-def: $agpr44
	s_and_saveexec_b64 s[24:25], s[4:5]
	s_xor_b64 s[4:5], exec, s[24:25]
; %bb.864:                              ;   in Loop: Header=BB380_610 Depth=1
	v_bfe_u32 v5, v3, 16, 1
	v_add3_u32 v3, v3, v5, s30
	v_accvgpr_write_b32 a44, v3
                                        ; implicit-def: $vgpr3
; %bb.865:                              ;   in Loop: Header=BB380_610 Depth=1
	s_andn2_saveexec_b64 s[24:25], s[4:5]
; %bb.866:                              ;   in Loop: Header=BB380_610 Depth=1
	v_or_b32_e32 v5, 0x10000, v3
	v_cmp_eq_u32_sdwa s[4:5], v3, v11 src0_sel:WORD_0 src1_sel:DWORD
	v_cndmask_b32_e64 v3, v5, v3, s[4:5]
	v_accvgpr_write_b32 a44, v3
; %bb.867:                              ;   in Loop: Header=BB380_610 Depth=1
	s_or_b64 exec, exec, s[24:25]
	v_lshlrev_b32_e32 v2, 16, v2
	v_mul_f32_e32 v2, v45, v2
	v_and_b32_e32 v3, 0x7f800000, v2
	v_cmp_ne_u32_e64 s[4:5], s15, v3
                                        ; implicit-def: $agpr45
	s_and_saveexec_b64 s[24:25], s[4:5]
	s_xor_b64 s[4:5], exec, s[24:25]
; %bb.868:                              ;   in Loop: Header=BB380_610 Depth=1
	v_bfe_u32 v3, v2, 16, 1
	v_add3_u32 v2, v2, v3, s30
	v_accvgpr_write_b32 a45, v2
                                        ; implicit-def: $vgpr2
; %bb.869:                              ;   in Loop: Header=BB380_610 Depth=1
	s_andn2_saveexec_b64 s[24:25], s[4:5]
; %bb.870:                              ;   in Loop: Header=BB380_610 Depth=1
	v_or_b32_e32 v3, 0x10000, v2
	v_cmp_eq_u32_sdwa s[4:5], v2, v11 src0_sel:WORD_0 src1_sel:DWORD
	v_cndmask_b32_e64 v2, v3, v2, s[4:5]
	v_accvgpr_write_b32 a45, v2
; %bb.871:                              ;   in Loop: Header=BB380_610 Depth=1
	s_or_b64 exec, exec, s[24:25]
	flat_load_dwordx2 v[2:3], v[0:1] offset:1024
	v_mov_b32_e32 v5, 0
	s_waitcnt vmcnt(0) lgkmcnt(0)
	v_cmp_ne_u16_sdwa s[4:5], v2, v11 src0_sel:BYTE_0 src1_sel:DWORD
	s_and_saveexec_b64 s[24:25], s[4:5]
	s_cbranch_execz .LBB380_877
; %bb.872:                              ;   in Loop: Header=BB380_610 Depth=1
	v_cmp_ne_u16_sdwa s[4:5], v2, s31 src0_sel:BYTE_0 src1_sel:DWORD
	v_bfrev_b32_e32 v5, 1
	s_and_saveexec_b64 s[26:27], s[4:5]
	s_cbranch_execz .LBB380_876
; %bb.873:                              ;   in Loop: Header=BB380_610 Depth=1
	v_and_b32_e32 v6, 0x7f, v2
	v_cmp_ne_u32_e64 s[4:5], s34, v6
	v_mov_b32_e32 v5, 0x7f800001
	s_and_saveexec_b64 s[28:29], s[4:5]
	s_cbranch_execz .LBB380_875
; %bb.874:                              ;   in Loop: Header=BB380_610 Depth=1
	v_and_b32_e32 v5, 7, v2
	v_ffbh_u32_e32 v5, v5
	v_min_u32_e32 v5, 32, v5
	v_subrev_u32_e32 v9, 28, v5
	v_cmp_gt_u32_e64 s[4:5], 8, v6
	v_lshrrev_b32_e32 v8, 3, v6
	v_sub_u32_e32 v5, 29, v5
	v_cndmask_b32_e64 v6, 0, v9, s[4:5]
	v_cndmask_b32_e64 v5, v8, v5, s[4:5]
	v_lshlrev_b64 v[8:9], v6, v[2:3]
	v_lshlrev_b32_e32 v6, 20, v8
	v_lshlrev_b32_e32 v8, 24, v2
	v_and_b32_e32 v6, 0x700000, v6
	v_and_b32_e32 v8, 0x80000000, v8
	v_lshl_add_u32 v5, v5, 23, v28
	v_or3_b32 v5, v8, v5, v6
.LBB380_875:                            ;   in Loop: Header=BB380_610 Depth=1
	s_or_b64 exec, exec, s[28:29]
.LBB380_876:                            ;   in Loop: Header=BB380_610 Depth=1
	s_or_b64 exec, exec, s[26:27]
.LBB380_877:                            ;   in Loop: Header=BB380_610 Depth=1
	s_or_b64 exec, exec, s[24:25]
	v_mul_f32_e32 v5, v7, v5
	v_and_b32_e32 v6, 0x7f800000, v5
	v_cmp_ne_u32_e64 s[4:5], s15, v6
                                        ; implicit-def: $vgpr8
	s_and_saveexec_b64 s[24:25], s[4:5]
	s_xor_b64 s[4:5], exec, s[24:25]
; %bb.878:                              ;   in Loop: Header=BB380_610 Depth=1
	v_bfe_u32 v6, v5, 16, 1
	v_add3_u32 v8, v5, v6, s30
                                        ; implicit-def: $vgpr5
; %bb.879:                              ;   in Loop: Header=BB380_610 Depth=1
	s_andn2_saveexec_b64 s[24:25], s[4:5]
; %bb.880:                              ;   in Loop: Header=BB380_610 Depth=1
	v_or_b32_e32 v6, 0x10000, v5
	v_cmp_eq_u32_sdwa s[4:5], v5, v11 src0_sel:WORD_0 src1_sel:DWORD
	v_cndmask_b32_e64 v8, v6, v5, s[4:5]
; %bb.881:                              ;   in Loop: Header=BB380_610 Depth=1
	s_or_b64 exec, exec, s[24:25]
	v_lshrrev_b16_e32 v6, 8, v2
	v_cmp_ne_u16_e64 s[4:5], 0, v6
	v_mov_b32_e32 v5, 0
	s_and_saveexec_b64 s[24:25], s[4:5]
	s_cbranch_execz .LBB380_887
; %bb.882:                              ;   in Loop: Header=BB380_610 Depth=1
	v_cmp_ne_u16_e64 s[4:5], s31, v6
	v_bfrev_b32_e32 v5, 1
	s_and_saveexec_b64 s[26:27], s[4:5]
	s_cbranch_execz .LBB380_886
; %bb.883:                              ;   in Loop: Header=BB380_610 Depth=1
	v_and_b32_e32 v9, 0x7f, v6
	v_cmp_ne_u32_e64 s[4:5], s34, v9
	v_mov_b32_e32 v5, 0x7f800001
	s_and_saveexec_b64 s[28:29], s[4:5]
	s_cbranch_execz .LBB380_885
; %bb.884:                              ;   in Loop: Header=BB380_610 Depth=1
	v_and_b32_e32 v5, 7, v6
	v_ffbh_u32_e32 v20, v5
	v_min_u32_e32 v22, 32, v20
	v_subrev_u32_e32 v20, 28, v22
	v_lshlrev_b64 v[20:21], v20, v[6:7]
	v_lshrrev_b32_e32 v10, 3, v9
	v_sub_u32_e32 v6, 29, v22
	v_and_b32_e32 v20, 7, v20
	v_cmp_gt_u32_e64 s[4:5], 8, v9
	v_cndmask_b32_e64 v6, v10, v6, s[4:5]
	v_cndmask_b32_e64 v5, v5, v20, s[4:5]
	v_lshlrev_b32_e32 v9, 16, v2
	v_lshlrev_b32_e32 v5, 20, v5
	v_and_b32_e32 v9, 0x80000000, v9
	v_lshl_add_u32 v6, v6, 23, v28
	v_or3_b32 v5, v9, v6, v5
.LBB380_885:                            ;   in Loop: Header=BB380_610 Depth=1
	s_or_b64 exec, exec, s[28:29]
.LBB380_886:                            ;   in Loop: Header=BB380_610 Depth=1
	s_or_b64 exec, exec, s[26:27]
.LBB380_887:                            ;   in Loop: Header=BB380_610 Depth=1
	s_or_b64 exec, exec, s[24:25]
	v_mul_f32_e32 v5, v7, v5
	v_and_b32_e32 v6, 0x7f800000, v5
	v_cmp_ne_u32_e64 s[4:5], s15, v6
                                        ; implicit-def: $vgpr9
	s_and_saveexec_b64 s[24:25], s[4:5]
	s_xor_b64 s[4:5], exec, s[24:25]
; %bb.888:                              ;   in Loop: Header=BB380_610 Depth=1
	v_bfe_u32 v6, v5, 16, 1
	v_add3_u32 v9, v5, v6, s30
                                        ; implicit-def: $vgpr5
; %bb.889:                              ;   in Loop: Header=BB380_610 Depth=1
	s_andn2_saveexec_b64 s[24:25], s[4:5]
; %bb.890:                              ;   in Loop: Header=BB380_610 Depth=1
	v_or_b32_e32 v6, 0x10000, v5
	v_cmp_eq_u32_sdwa s[4:5], v5, v11 src0_sel:WORD_0 src1_sel:DWORD
	v_cndmask_b32_e64 v9, v6, v5, s[4:5]
; %bb.891:                              ;   in Loop: Header=BB380_610 Depth=1
	s_or_b64 exec, exec, s[24:25]
	v_lshrrev_b32_e32 v6, 16, v2
	v_cmp_ne_u16_sdwa s[4:5], v6, v11 src0_sel:BYTE_0 src1_sel:DWORD
	v_mov_b32_e32 v5, 0
	s_and_saveexec_b64 s[24:25], s[4:5]
	s_cbranch_execz .LBB380_897
; %bb.892:                              ;   in Loop: Header=BB380_610 Depth=1
	v_cmp_ne_u16_sdwa s[4:5], v6, s31 src0_sel:BYTE_0 src1_sel:DWORD
	v_bfrev_b32_e32 v5, 1
	s_and_saveexec_b64 s[26:27], s[4:5]
	s_cbranch_execz .LBB380_896
; %bb.893:                              ;   in Loop: Header=BB380_610 Depth=1
	v_bfe_u32 v10, v2, 16, 7
	v_cmp_ne_u32_e64 s[4:5], s34, v10
	v_mov_b32_e32 v5, 0x7f800001
	s_and_saveexec_b64 s[28:29], s[4:5]
	s_cbranch_execz .LBB380_895
; %bb.894:                              ;   in Loop: Header=BB380_610 Depth=1
	v_and_b32_e32 v5, 7, v6
	v_ffbh_u32_e32 v20, v5
	v_min_u32_e32 v23, 32, v20
	v_subrev_u32_e32 v20, 28, v23
	v_lshlrev_b64 v[20:21], v20, v[6:7]
	v_lshrrev_b32_e32 v22, 3, v10
	v_sub_u32_e32 v21, 29, v23
	v_and_b32_e32 v20, 7, v20
	v_cmp_gt_u32_e64 s[4:5], 8, v10
	v_cndmask_b32_e64 v10, v22, v21, s[4:5]
	v_cndmask_b32_e64 v5, v5, v20, s[4:5]
	v_lshlrev_b32_e32 v6, 24, v6
	v_lshlrev_b32_e32 v5, 20, v5
	v_and_b32_e32 v6, 0x80000000, v6
	v_lshl_add_u32 v10, v10, 23, v28
	v_or3_b32 v5, v6, v10, v5
.LBB380_895:                            ;   in Loop: Header=BB380_610 Depth=1
	s_or_b64 exec, exec, s[28:29]
.LBB380_896:                            ;   in Loop: Header=BB380_610 Depth=1
	s_or_b64 exec, exec, s[26:27]
.LBB380_897:                            ;   in Loop: Header=BB380_610 Depth=1
	s_or_b64 exec, exec, s[24:25]
	v_mul_f32_e32 v5, v7, v5
	v_and_b32_e32 v6, 0x7f800000, v5
	v_cmp_ne_u32_e64 s[4:5], s15, v6
                                        ; implicit-def: $vgpr20
	s_and_saveexec_b64 s[24:25], s[4:5]
	s_xor_b64 s[4:5], exec, s[24:25]
; %bb.898:                              ;   in Loop: Header=BB380_610 Depth=1
	v_bfe_u32 v6, v5, 16, 1
	v_add3_u32 v20, v5, v6, s30
                                        ; implicit-def: $vgpr5
; %bb.899:                              ;   in Loop: Header=BB380_610 Depth=1
	s_andn2_saveexec_b64 s[24:25], s[4:5]
; %bb.900:                              ;   in Loop: Header=BB380_610 Depth=1
	v_or_b32_e32 v6, 0x10000, v5
	v_cmp_eq_u32_sdwa s[4:5], v5, v11 src0_sel:WORD_0 src1_sel:DWORD
	v_cndmask_b32_e64 v20, v6, v5, s[4:5]
; %bb.901:                              ;   in Loop: Header=BB380_610 Depth=1
	s_or_b64 exec, exec, s[24:25]
	v_cmp_lt_u32_e64 s[4:5], s11, v2
	v_mov_b32_e32 v5, 0
	s_and_saveexec_b64 s[24:25], s[4:5]
	s_cbranch_execz .LBB380_907
; %bb.902:                              ;   in Loop: Header=BB380_610 Depth=1
	v_lshrrev_b32_e32 v6, 24, v2
	v_cmp_ne_u32_e64 s[4:5], s31, v6
	v_bfrev_b32_e32 v5, 1
	s_and_saveexec_b64 s[26:27], s[4:5]
	s_cbranch_execz .LBB380_906
; %bb.903:                              ;   in Loop: Header=BB380_610 Depth=1
	v_bfe_u32 v10, v2, 24, 7
	v_cmp_ne_u32_e64 s[4:5], s34, v10
	v_mov_b32_e32 v5, 0x7f800001
	s_and_saveexec_b64 s[28:29], s[4:5]
	s_cbranch_execz .LBB380_905
; %bb.904:                              ;   in Loop: Header=BB380_610 Depth=1
	v_and_b32_e32 v5, 7, v6
	v_ffbh_u32_e32 v22, v5
	v_min_u32_e32 v22, 32, v22
	v_subrev_u32_e32 v23, 28, v22
	v_lshlrev_b64 v[26:27], v23, v[6:7]
	v_lshrrev_b32_e32 v21, 3, v10
	v_sub_u32_e32 v22, 29, v22
	v_and_b32_e32 v23, 7, v26
	v_cmp_gt_u32_e64 s[4:5], 8, v10
	v_cndmask_b32_e64 v10, v21, v22, s[4:5]
	v_cndmask_b32_e64 v5, v5, v23, s[4:5]
	v_lshlrev_b32_e32 v6, 24, v6
	v_lshlrev_b32_e32 v5, 20, v5
	v_and_b32_e32 v6, 0x80000000, v6
	v_lshl_add_u32 v10, v10, 23, v28
	v_or3_b32 v5, v6, v10, v5
.LBB380_905:                            ;   in Loop: Header=BB380_610 Depth=1
	s_or_b64 exec, exec, s[28:29]
.LBB380_906:                            ;   in Loop: Header=BB380_610 Depth=1
	s_or_b64 exec, exec, s[26:27]
.LBB380_907:                            ;   in Loop: Header=BB380_610 Depth=1
	s_or_b64 exec, exec, s[24:25]
	v_mul_f32_e32 v5, v7, v5
	v_and_b32_e32 v6, 0x7f800000, v5
	v_cmp_ne_u32_e64 s[4:5], s15, v6
                                        ; implicit-def: $vgpr21
	s_and_saveexec_b64 s[24:25], s[4:5]
	s_xor_b64 s[4:5], exec, s[24:25]
; %bb.908:                              ;   in Loop: Header=BB380_610 Depth=1
	v_bfe_u32 v6, v5, 16, 1
	v_add3_u32 v21, v5, v6, s30
                                        ; implicit-def: $vgpr5
; %bb.909:                              ;   in Loop: Header=BB380_610 Depth=1
	s_andn2_saveexec_b64 s[24:25], s[4:5]
; %bb.910:                              ;   in Loop: Header=BB380_610 Depth=1
	v_or_b32_e32 v6, 0x10000, v5
	v_cmp_eq_u32_sdwa s[4:5], v5, v11 src0_sel:WORD_0 src1_sel:DWORD
	v_cndmask_b32_e64 v21, v6, v5, s[4:5]
; %bb.911:                              ;   in Loop: Header=BB380_610 Depth=1
	s_or_b64 exec, exec, s[24:25]
	v_mov_b32_e32 v10, v3
	v_cmp_ne_u16_sdwa s[4:5], v3, v11 src0_sel:BYTE_0 src1_sel:DWORD
	v_mov_b32_e32 v5, 0
	s_and_saveexec_b64 s[24:25], s[4:5]
	s_cbranch_execz .LBB380_917
; %bb.912:                              ;   in Loop: Header=BB380_610 Depth=1
	v_cmp_ne_u16_sdwa s[4:5], v3, s31 src0_sel:BYTE_0 src1_sel:DWORD
	v_bfrev_b32_e32 v5, 1
	s_and_saveexec_b64 s[26:27], s[4:5]
	s_cbranch_execz .LBB380_916
; %bb.913:                              ;   in Loop: Header=BB380_610 Depth=1
	v_and_b32_e32 v6, 0x7f, v3
	v_cmp_ne_u32_e64 s[4:5], s34, v6
	v_mov_b32_e32 v5, 0x7f800001
	s_and_saveexec_b64 s[28:29], s[4:5]
	s_cbranch_execz .LBB380_915
; %bb.914:                              ;   in Loop: Header=BB380_610 Depth=1
	v_and_b32_e32 v5, 7, v3
	v_ffbh_u32_e32 v5, v5
	v_min_u32_e32 v5, 32, v5
	v_subrev_u32_e32 v23, 28, v5
	v_cmp_gt_u32_e64 s[4:5], 8, v6
	v_lshrrev_b32_e32 v22, 3, v6
	v_cndmask_b32_e64 v6, 0, v23, s[4:5]
	v_sub_u32_e32 v5, 29, v5
	v_lshlrev_b64 v[26:27], v6, v[10:11]
	v_cndmask_b32_e64 v5, v22, v5, s[4:5]
	v_lshlrev_b32_e32 v6, 20, v26
	v_lshlrev_b32_e32 v22, 24, v10
	v_and_b32_e32 v6, 0x700000, v6
	v_and_b32_e32 v22, 0x80000000, v22
	v_lshl_add_u32 v5, v5, 23, v28
	v_or3_b32 v5, v22, v5, v6
.LBB380_915:                            ;   in Loop: Header=BB380_610 Depth=1
	s_or_b64 exec, exec, s[28:29]
.LBB380_916:                            ;   in Loop: Header=BB380_610 Depth=1
	s_or_b64 exec, exec, s[26:27]
.LBB380_917:                            ;   in Loop: Header=BB380_610 Depth=1
	s_or_b64 exec, exec, s[24:25]
	v_mul_f32_e32 v5, v7, v5
	v_and_b32_e32 v6, 0x7f800000, v5
	v_cmp_ne_u32_e64 s[4:5], s15, v6
                                        ; implicit-def: $vgpr22
	s_and_saveexec_b64 s[24:25], s[4:5]
	s_xor_b64 s[4:5], exec, s[24:25]
; %bb.918:                              ;   in Loop: Header=BB380_610 Depth=1
	v_bfe_u32 v6, v5, 16, 1
	v_add3_u32 v22, v5, v6, s30
                                        ; implicit-def: $vgpr5
; %bb.919:                              ;   in Loop: Header=BB380_610 Depth=1
	s_andn2_saveexec_b64 s[24:25], s[4:5]
; %bb.920:                              ;   in Loop: Header=BB380_610 Depth=1
	v_or_b32_e32 v6, 0x10000, v5
	v_cmp_eq_u32_sdwa s[4:5], v5, v11 src0_sel:WORD_0 src1_sel:DWORD
	v_cndmask_b32_e64 v22, v6, v5, s[4:5]
; %bb.921:                              ;   in Loop: Header=BB380_610 Depth=1
	s_or_b64 exec, exec, s[24:25]
	v_lshrrev_b16_e32 v6, 8, v10
	v_cmp_ne_u16_e64 s[4:5], 0, v6
	v_mov_b32_e32 v5, 0
	s_and_saveexec_b64 s[24:25], s[4:5]
	s_cbranch_execz .LBB380_927
; %bb.922:                              ;   in Loop: Header=BB380_610 Depth=1
	v_cmp_ne_u16_e64 s[4:5], s31, v6
	v_bfrev_b32_e32 v5, 1
	s_and_saveexec_b64 s[26:27], s[4:5]
	s_cbranch_execz .LBB380_926
; %bb.923:                              ;   in Loop: Header=BB380_610 Depth=1
	v_and_b32_e32 v24, 0x7f, v6
	v_cmp_ne_u32_e64 s[4:5], s34, v24
	v_mov_b32_e32 v5, 0x7f800001
	s_and_saveexec_b64 s[28:29], s[4:5]
	s_cbranch_execz .LBB380_925
; %bb.924:                              ;   in Loop: Header=BB380_610 Depth=1
	v_and_b32_e32 v5, 7, v6
	v_ffbh_u32_e32 v26, v5
	v_min_u32_e32 v28, 32, v26
	v_subrev_u32_e32 v26, 28, v28
	v_lshlrev_b64 v[26:27], v26, v[6:7]
	v_lshrrev_b32_e32 v23, 3, v24
	v_sub_u32_e32 v6, 29, v28
	v_and_b32_e32 v26, 7, v26
	v_cmp_gt_u32_e64 s[4:5], 8, v24
	v_bfrev_b32_e32 v28, 60
	v_cndmask_b32_e64 v6, v23, v6, s[4:5]
	v_cndmask_b32_e64 v5, v5, v26, s[4:5]
	v_lshlrev_b32_e32 v10, 16, v10
	v_lshlrev_b32_e32 v5, 20, v5
	v_and_b32_e32 v10, 0x80000000, v10
	v_lshl_add_u32 v6, v6, 23, v28
	v_or3_b32 v5, v10, v6, v5
.LBB380_925:                            ;   in Loop: Header=BB380_610 Depth=1
	s_or_b64 exec, exec, s[28:29]
.LBB380_926:                            ;   in Loop: Header=BB380_610 Depth=1
	s_or_b64 exec, exec, s[26:27]
.LBB380_927:                            ;   in Loop: Header=BB380_610 Depth=1
	s_or_b64 exec, exec, s[24:25]
	v_mul_f32_e32 v6, v7, v5
	v_and_b32_e32 v5, 0x7f800000, v6
	v_cmp_ne_u32_e64 s[4:5], s15, v5
                                        ; implicit-def: $vgpr5
	s_and_saveexec_b64 s[24:25], s[4:5]
	s_xor_b64 s[4:5], exec, s[24:25]
; %bb.928:                              ;   in Loop: Header=BB380_610 Depth=1
	v_bfe_u32 v5, v6, 16, 1
	v_add3_u32 v5, v6, v5, s30
                                        ; implicit-def: $vgpr6
; %bb.929:                              ;   in Loop: Header=BB380_610 Depth=1
	s_andn2_saveexec_b64 s[24:25], s[4:5]
; %bb.930:                              ;   in Loop: Header=BB380_610 Depth=1
	v_or_b32_e32 v5, 0x10000, v6
	v_cmp_eq_u32_sdwa s[4:5], v6, v11 src0_sel:WORD_0 src1_sel:DWORD
	v_cndmask_b32_e64 v5, v5, v6, s[4:5]
; %bb.931:                              ;   in Loop: Header=BB380_610 Depth=1
	s_or_b64 exec, exec, s[24:25]
	v_lshrrev_b32_e32 v6, 16, v3
	v_cmp_ne_u16_sdwa s[4:5], v6, v11 src0_sel:BYTE_0 src1_sel:DWORD
	v_mov_b32_e32 v10, 0
	s_and_saveexec_b64 s[24:25], s[4:5]
	s_cbranch_execz .LBB380_937
; %bb.932:                              ;   in Loop: Header=BB380_610 Depth=1
	v_cmp_ne_u16_sdwa s[4:5], v6, s31 src0_sel:BYTE_0 src1_sel:DWORD
	v_bfrev_b32_e32 v10, 1
	s_and_saveexec_b64 s[26:27], s[4:5]
	s_cbranch_execz .LBB380_936
; %bb.933:                              ;   in Loop: Header=BB380_610 Depth=1
	v_bfe_u32 v24, v3, 16, 7
	v_cmp_ne_u32_e64 s[4:5], s34, v24
	v_mov_b32_e32 v10, 0x7f800001
	s_and_saveexec_b64 s[28:29], s[4:5]
	s_cbranch_execz .LBB380_935
; %bb.934:                              ;   in Loop: Header=BB380_610 Depth=1
	v_and_b32_e32 v10, 7, v6
	v_ffbh_u32_e32 v26, v10
	v_min_u32_e32 v28, 32, v26
	v_subrev_u32_e32 v26, 28, v28
	v_lshlrev_b64 v[26:27], v26, v[6:7]
	v_lshrrev_b32_e32 v23, 3, v24
	v_sub_u32_e32 v27, 29, v28
	v_and_b32_e32 v26, 7, v26
	v_cmp_gt_u32_e64 s[4:5], 8, v24
	v_bfrev_b32_e32 v28, 60
	v_cndmask_b32_e64 v23, v23, v27, s[4:5]
	v_cndmask_b32_e64 v10, v10, v26, s[4:5]
	v_lshlrev_b32_e32 v6, 24, v6
	v_lshlrev_b32_e32 v10, 20, v10
	v_and_b32_e32 v6, 0x80000000, v6
	v_lshl_add_u32 v23, v23, 23, v28
	v_or3_b32 v10, v6, v23, v10
.LBB380_935:                            ;   in Loop: Header=BB380_610 Depth=1
	s_or_b64 exec, exec, s[28:29]
.LBB380_936:                            ;   in Loop: Header=BB380_610 Depth=1
	s_or_b64 exec, exec, s[26:27]
.LBB380_937:                            ;   in Loop: Header=BB380_610 Depth=1
	s_or_b64 exec, exec, s[24:25]
	v_mul_f32_e32 v6, v7, v10
	v_and_b32_e32 v10, 0x7f800000, v6
	v_cmp_ne_u32_e64 s[4:5], s15, v10
                                        ; implicit-def: $vgpr24
	s_and_saveexec_b64 s[24:25], s[4:5]
	s_xor_b64 s[4:5], exec, s[24:25]
; %bb.938:                              ;   in Loop: Header=BB380_610 Depth=1
	v_bfe_u32 v10, v6, 16, 1
	v_add3_u32 v24, v6, v10, s30
                                        ; implicit-def: $vgpr6
; %bb.939:                              ;   in Loop: Header=BB380_610 Depth=1
	s_andn2_saveexec_b64 s[24:25], s[4:5]
; %bb.940:                              ;   in Loop: Header=BB380_610 Depth=1
	v_or_b32_e32 v10, 0x10000, v6
	v_cmp_eq_u32_sdwa s[4:5], v6, v11 src0_sel:WORD_0 src1_sel:DWORD
	v_cndmask_b32_e64 v24, v10, v6, s[4:5]
; %bb.941:                              ;   in Loop: Header=BB380_610 Depth=1
	s_or_b64 exec, exec, s[24:25]
	v_cmp_lt_u64_e64 s[4:5], s[10:11], v[2:3]
	v_mov_b32_e32 v6, 0
	s_and_saveexec_b64 s[24:25], s[4:5]
	s_cbranch_execz .LBB380_947
; %bb.942:                              ;   in Loop: Header=BB380_610 Depth=1
	v_lshrrev_b32_e32 v2, 24, v3
	v_cmp_ne_u32_e64 s[4:5], s31, v2
	v_bfrev_b32_e32 v6, 1
	s_and_saveexec_b64 s[26:27], s[4:5]
	s_cbranch_execz .LBB380_946
; %bb.943:                              ;   in Loop: Header=BB380_610 Depth=1
	v_bfe_u32 v3, v3, 24, 7
	v_cmp_ne_u32_e64 s[4:5], s34, v3
	v_mov_b32_e32 v6, 0x7f800001
	s_and_saveexec_b64 s[28:29], s[4:5]
	s_cbranch_execz .LBB380_945
; %bb.944:                              ;   in Loop: Header=BB380_610 Depth=1
	v_and_b32_e32 v6, 7, v2
	v_ffbh_u32_e32 v23, v6
	v_min_u32_e32 v23, 32, v23
	v_subrev_u32_e32 v26, 28, v23
	v_lshlrev_b64 v[26:27], v26, v[2:3]
	v_lshrrev_b32_e32 v10, 3, v3
	v_sub_u32_e32 v23, 29, v23
	v_and_b32_e32 v26, 7, v26
	v_cmp_gt_u32_e64 s[4:5], 8, v3
	v_cndmask_b32_e64 v3, v10, v23, s[4:5]
	v_cndmask_b32_e64 v6, v6, v26, s[4:5]
	v_lshlrev_b32_e32 v2, 24, v2
	v_lshlrev_b32_e32 v6, 20, v6
	v_and_b32_e32 v2, 0x80000000, v2
	v_lshl_add_u32 v3, v3, 23, v28
	v_or3_b32 v6, v2, v3, v6
.LBB380_945:                            ;   in Loop: Header=BB380_610 Depth=1
	s_or_b64 exec, exec, s[28:29]
.LBB380_946:                            ;   in Loop: Header=BB380_610 Depth=1
	s_or_b64 exec, exec, s[26:27]
.LBB380_947:                            ;   in Loop: Header=BB380_610 Depth=1
	s_or_b64 exec, exec, s[24:25]
	v_mul_f32_e32 v3, v7, v6
	v_and_b32_e32 v2, 0x7f800000, v3
	v_cmp_ne_u32_e64 s[4:5], s15, v2
                                        ; implicit-def: $vgpr2
	s_and_saveexec_b64 s[24:25], s[4:5]
	s_xor_b64 s[4:5], exec, s[24:25]
; %bb.948:                              ;   in Loop: Header=BB380_610 Depth=1
	v_bfe_u32 v2, v3, 16, 1
	v_add3_u32 v2, v3, v2, s30
                                        ; implicit-def: $vgpr3
; %bb.949:                              ;   in Loop: Header=BB380_610 Depth=1
	s_andn2_saveexec_b64 s[24:25], s[4:5]
; %bb.950:                              ;   in Loop: Header=BB380_610 Depth=1
	v_or_b32_e32 v2, 0x10000, v3
	v_cmp_eq_u32_sdwa s[4:5], v3, v11 src0_sel:WORD_0 src1_sel:DWORD
	v_cndmask_b32_e64 v2, v2, v3, s[4:5]
; %bb.951:                              ;   in Loop: Header=BB380_610 Depth=1
	s_or_b64 exec, exec, s[24:25]
	v_lshrrev_b32_e32 v6, 16, v5
	v_lshrrev_b32_e32 v5, 16, v22
	;; [unrolled: 1-line block ×8, first 2 shown]
	s_and_saveexec_b64 s[24:25], vcc
	s_cbranch_execz .LBB380_953
; %bb.952:                              ;   in Loop: Header=BB380_610 Depth=1
	v_accvgpr_read_b32 v21, a3
	v_cmp_lt_i32_e64 s[4:5], v52, v21
	v_accvgpr_read_b32 v22, a37
	v_cndmask_b32_e64 v8, 0, v8, s[4:5]
	v_cmp_lt_i32_e64 s[4:5], v22, v21
	v_accvgpr_read_b32 v22, a36
	v_cndmask_b32_e64 v9, 0, v9, s[4:5]
	;; [unrolled: 3-line block ×6, first 2 shown]
	v_cmp_lt_i32_e64 s[4:5], v22, v21
	v_cndmask_b32_e64 v3, 0, v3, s[4:5]
	v_cmp_lt_i32_e64 s[4:5], v31, v21
	v_cndmask_b32_e64 v2, 0, v2, s[4:5]
.LBB380_953:                            ;   in Loop: Header=BB380_610 Depth=1
	s_or_b64 exec, exec, s[24:25]
	v_lshlrev_b32_e32 v8, 16, v8
	v_mul_f32_e32 v8, v47, v8
	v_and_b32_e32 v21, 0x7f800000, v8
	v_cmp_ne_u32_e64 s[4:5], s15, v21
                                        ; implicit-def: $agpr46
	s_and_saveexec_b64 s[24:25], s[4:5]
	s_xor_b64 s[4:5], exec, s[24:25]
; %bb.954:                              ;   in Loop: Header=BB380_610 Depth=1
	v_bfe_u32 v21, v8, 16, 1
	v_add3_u32 v8, v8, v21, s30
	v_accvgpr_write_b32 a46, v8
                                        ; implicit-def: $vgpr8
; %bb.955:                              ;   in Loop: Header=BB380_610 Depth=1
	s_andn2_saveexec_b64 s[24:25], s[4:5]
; %bb.956:                              ;   in Loop: Header=BB380_610 Depth=1
	v_or_b32_e32 v21, 0x10000, v8
	v_cmp_eq_u32_sdwa s[4:5], v8, v11 src0_sel:WORD_0 src1_sel:DWORD
	v_cndmask_b32_e64 v8, v21, v8, s[4:5]
	v_accvgpr_write_b32 a46, v8
; %bb.957:                              ;   in Loop: Header=BB380_610 Depth=1
	s_or_b64 exec, exec, s[24:25]
	v_lshlrev_b32_e32 v8, 16, v9
	v_mul_f32_e32 v8, v56, v8
	v_and_b32_e32 v9, 0x7f800000, v8
	v_cmp_ne_u32_e64 s[4:5], s15, v9
                                        ; implicit-def: $agpr47
	s_and_saveexec_b64 s[24:25], s[4:5]
	s_xor_b64 s[4:5], exec, s[24:25]
; %bb.958:                              ;   in Loop: Header=BB380_610 Depth=1
	v_bfe_u32 v9, v8, 16, 1
	v_add3_u32 v8, v8, v9, s30
	v_accvgpr_write_b32 a47, v8
                                        ; implicit-def: $vgpr8
; %bb.959:                              ;   in Loop: Header=BB380_610 Depth=1
	s_andn2_saveexec_b64 s[24:25], s[4:5]
; %bb.960:                              ;   in Loop: Header=BB380_610 Depth=1
	v_or_b32_e32 v9, 0x10000, v8
	v_cmp_eq_u32_sdwa s[4:5], v8, v11 src0_sel:WORD_0 src1_sel:DWORD
	v_cndmask_b32_e64 v8, v9, v8, s[4:5]
	v_accvgpr_write_b32 a47, v8
; %bb.961:                              ;   in Loop: Header=BB380_610 Depth=1
	s_or_b64 exec, exec, s[24:25]
	v_lshlrev_b32_e32 v8, 16, v20
	v_mul_f32_e32 v8, v57, v8
	v_and_b32_e32 v9, 0x7f800000, v8
	v_cmp_ne_u32_e64 s[4:5], s15, v9
                                        ; implicit-def: $agpr48
	s_and_saveexec_b64 s[24:25], s[4:5]
	s_xor_b64 s[4:5], exec, s[24:25]
; %bb.962:                              ;   in Loop: Header=BB380_610 Depth=1
	v_bfe_u32 v9, v8, 16, 1
	v_add3_u32 v8, v8, v9, s30
	v_accvgpr_write_b32 a48, v8
                                        ; implicit-def: $vgpr8
; %bb.963:                              ;   in Loop: Header=BB380_610 Depth=1
	s_andn2_saveexec_b64 s[24:25], s[4:5]
; %bb.964:                              ;   in Loop: Header=BB380_610 Depth=1
	v_or_b32_e32 v9, 0x10000, v8
	v_cmp_eq_u32_sdwa s[4:5], v8, v11 src0_sel:WORD_0 src1_sel:DWORD
	v_cndmask_b32_e64 v8, v9, v8, s[4:5]
	v_accvgpr_write_b32 a48, v8
; %bb.965:                              ;   in Loop: Header=BB380_610 Depth=1
	s_or_b64 exec, exec, s[24:25]
	v_lshlrev_b32_e32 v8, 16, v10
	v_mul_f32_e32 v8, v58, v8
	v_and_b32_e32 v9, 0x7f800000, v8
	v_cmp_ne_u32_e64 s[4:5], s15, v9
                                        ; implicit-def: $agpr49
	s_and_saveexec_b64 s[24:25], s[4:5]
	s_xor_b64 s[4:5], exec, s[24:25]
; %bb.966:                              ;   in Loop: Header=BB380_610 Depth=1
	v_bfe_u32 v9, v8, 16, 1
	v_add3_u32 v8, v8, v9, s30
	v_accvgpr_write_b32 a49, v8
                                        ; implicit-def: $vgpr8
; %bb.967:                              ;   in Loop: Header=BB380_610 Depth=1
	s_andn2_saveexec_b64 s[24:25], s[4:5]
; %bb.968:                              ;   in Loop: Header=BB380_610 Depth=1
	v_or_b32_e32 v9, 0x10000, v8
	v_cmp_eq_u32_sdwa s[4:5], v8, v11 src0_sel:WORD_0 src1_sel:DWORD
	v_cndmask_b32_e64 v8, v9, v8, s[4:5]
	v_accvgpr_write_b32 a49, v8
; %bb.969:                              ;   in Loop: Header=BB380_610 Depth=1
	s_or_b64 exec, exec, s[24:25]
	v_lshlrev_b32_e32 v5, 16, v5
	v_mul_f32_e32 v5, v60, v5
	v_and_b32_e32 v8, 0x7f800000, v5
	v_cmp_ne_u32_e64 s[4:5], s15, v8
                                        ; implicit-def: $agpr50
	s_and_saveexec_b64 s[24:25], s[4:5]
	s_xor_b64 s[4:5], exec, s[24:25]
; %bb.970:                              ;   in Loop: Header=BB380_610 Depth=1
	v_bfe_u32 v8, v5, 16, 1
	v_add3_u32 v5, v5, v8, s30
	v_accvgpr_write_b32 a50, v5
                                        ; implicit-def: $vgpr5
; %bb.971:                              ;   in Loop: Header=BB380_610 Depth=1
	s_andn2_saveexec_b64 s[24:25], s[4:5]
; %bb.972:                              ;   in Loop: Header=BB380_610 Depth=1
	v_or_b32_e32 v8, 0x10000, v5
	v_cmp_eq_u32_sdwa s[4:5], v5, v11 src0_sel:WORD_0 src1_sel:DWORD
	v_cndmask_b32_e64 v5, v8, v5, s[4:5]
	v_accvgpr_write_b32 a50, v5
; %bb.973:                              ;   in Loop: Header=BB380_610 Depth=1
	s_or_b64 exec, exec, s[24:25]
	v_lshlrev_b32_e32 v5, 16, v6
	v_mul_f32_e32 v5, v34, v5
	v_and_b32_e32 v6, 0x7f800000, v5
	v_cmp_ne_u32_e64 s[4:5], s15, v6
                                        ; implicit-def: $agpr51
	s_and_saveexec_b64 s[24:25], s[4:5]
	s_xor_b64 s[4:5], exec, s[24:25]
; %bb.974:                              ;   in Loop: Header=BB380_610 Depth=1
	v_bfe_u32 v6, v5, 16, 1
	v_add3_u32 v5, v5, v6, s30
	v_accvgpr_write_b32 a51, v5
                                        ; implicit-def: $vgpr5
; %bb.975:                              ;   in Loop: Header=BB380_610 Depth=1
	s_andn2_saveexec_b64 s[24:25], s[4:5]
; %bb.976:                              ;   in Loop: Header=BB380_610 Depth=1
	v_or_b32_e32 v6, 0x10000, v5
	v_cmp_eq_u32_sdwa s[4:5], v5, v11 src0_sel:WORD_0 src1_sel:DWORD
	v_cndmask_b32_e64 v5, v6, v5, s[4:5]
	v_accvgpr_write_b32 a51, v5
; %bb.977:                              ;   in Loop: Header=BB380_610 Depth=1
	s_or_b64 exec, exec, s[24:25]
	v_lshlrev_b32_e32 v3, 16, v3
	v_mul_f32_e32 v3, v25, v3
	v_and_b32_e32 v5, 0x7f800000, v3
	v_cmp_ne_u32_e64 s[4:5], s15, v5
                                        ; implicit-def: $vgpr20
	s_and_saveexec_b64 s[24:25], s[4:5]
	s_xor_b64 s[4:5], exec, s[24:25]
; %bb.978:                              ;   in Loop: Header=BB380_610 Depth=1
	v_bfe_u32 v5, v3, 16, 1
	v_add3_u32 v20, v3, v5, s30
                                        ; implicit-def: $vgpr3
; %bb.979:                              ;   in Loop: Header=BB380_610 Depth=1
	s_andn2_saveexec_b64 s[24:25], s[4:5]
; %bb.980:                              ;   in Loop: Header=BB380_610 Depth=1
	v_or_b32_e32 v5, 0x10000, v3
	v_cmp_eq_u32_sdwa s[4:5], v3, v11 src0_sel:WORD_0 src1_sel:DWORD
	v_cndmask_b32_e64 v20, v5, v3, s[4:5]
; %bb.981:                              ;   in Loop: Header=BB380_610 Depth=1
	s_or_b64 exec, exec, s[24:25]
	v_lshlrev_b32_e32 v2, 16, v2
	v_mul_f32_e32 v2, v45, v2
	v_and_b32_e32 v3, 0x7f800000, v2
	v_cmp_ne_u32_e64 s[4:5], s15, v3
                                        ; implicit-def: $agpr52
	s_and_saveexec_b64 s[24:25], s[4:5]
	s_xor_b64 s[4:5], exec, s[24:25]
; %bb.982:                              ;   in Loop: Header=BB380_610 Depth=1
	v_bfe_u32 v3, v2, 16, 1
	v_add3_u32 v2, v2, v3, s30
	v_accvgpr_write_b32 a52, v2
                                        ; implicit-def: $vgpr2
; %bb.983:                              ;   in Loop: Header=BB380_610 Depth=1
	s_andn2_saveexec_b64 s[24:25], s[4:5]
; %bb.984:                              ;   in Loop: Header=BB380_610 Depth=1
	v_or_b32_e32 v3, 0x10000, v2
	v_cmp_eq_u32_sdwa s[4:5], v2, v11 src0_sel:WORD_0 src1_sel:DWORD
	v_cndmask_b32_e64 v2, v3, v2, s[4:5]
	v_accvgpr_write_b32 a52, v2
; %bb.985:                              ;   in Loop: Header=BB380_610 Depth=1
	s_or_b64 exec, exec, s[24:25]
	flat_load_dwordx2 v[2:3], v[0:1] offset:1536
	v_mov_b32_e32 v5, 0
	s_waitcnt vmcnt(0) lgkmcnt(0)
	v_cmp_ne_u16_sdwa s[4:5], v2, v11 src0_sel:BYTE_0 src1_sel:DWORD
	s_and_saveexec_b64 s[24:25], s[4:5]
	s_cbranch_execz .LBB380_991
; %bb.986:                              ;   in Loop: Header=BB380_610 Depth=1
	v_cmp_ne_u16_sdwa s[4:5], v2, s31 src0_sel:BYTE_0 src1_sel:DWORD
	v_bfrev_b32_e32 v5, 1
	s_and_saveexec_b64 s[26:27], s[4:5]
	s_cbranch_execz .LBB380_990
; %bb.987:                              ;   in Loop: Header=BB380_610 Depth=1
	v_and_b32_e32 v6, 0x7f, v2
	v_cmp_ne_u32_e64 s[4:5], s34, v6
	v_mov_b32_e32 v5, 0x7f800001
	s_and_saveexec_b64 s[28:29], s[4:5]
	s_cbranch_execz .LBB380_989
; %bb.988:                              ;   in Loop: Header=BB380_610 Depth=1
	v_and_b32_e32 v5, 7, v2
	v_ffbh_u32_e32 v5, v5
	v_min_u32_e32 v5, 32, v5
	v_subrev_u32_e32 v9, 28, v5
	v_cmp_gt_u32_e64 s[4:5], 8, v6
	v_lshrrev_b32_e32 v8, 3, v6
	v_cndmask_b32_e64 v6, 0, v9, s[4:5]
	v_sub_u32_e32 v5, 29, v5
	v_lshlrev_b64 v[26:27], v6, v[2:3]
	v_cndmask_b32_e64 v5, v8, v5, s[4:5]
	v_lshlrev_b32_e32 v6, 20, v26
	v_lshlrev_b32_e32 v8, 24, v2
	v_and_b32_e32 v6, 0x700000, v6
	v_and_b32_e32 v8, 0x80000000, v8
	v_lshl_add_u32 v5, v5, 23, v28
	v_or3_b32 v5, v8, v5, v6
.LBB380_989:                            ;   in Loop: Header=BB380_610 Depth=1
	s_or_b64 exec, exec, s[28:29]
.LBB380_990:                            ;   in Loop: Header=BB380_610 Depth=1
	s_or_b64 exec, exec, s[26:27]
.LBB380_991:                            ;   in Loop: Header=BB380_610 Depth=1
	s_or_b64 exec, exec, s[24:25]
	v_mul_f32_e32 v5, v7, v5
	v_and_b32_e32 v6, 0x7f800000, v5
	v_cmp_ne_u32_e64 s[4:5], s15, v6
                                        ; implicit-def: $vgpr9
	s_and_saveexec_b64 s[24:25], s[4:5]
	s_xor_b64 s[4:5], exec, s[24:25]
; %bb.992:                              ;   in Loop: Header=BB380_610 Depth=1
	v_bfe_u32 v6, v5, 16, 1
	v_add3_u32 v9, v5, v6, s30
                                        ; implicit-def: $vgpr5
; %bb.993:                              ;   in Loop: Header=BB380_610 Depth=1
	s_andn2_saveexec_b64 s[24:25], s[4:5]
; %bb.994:                              ;   in Loop: Header=BB380_610 Depth=1
	v_or_b32_e32 v6, 0x10000, v5
	v_cmp_eq_u32_sdwa s[4:5], v5, v11 src0_sel:WORD_0 src1_sel:DWORD
	v_cndmask_b32_e64 v9, v6, v5, s[4:5]
; %bb.995:                              ;   in Loop: Header=BB380_610 Depth=1
	s_or_b64 exec, exec, s[24:25]
	v_lshrrev_b16_e32 v6, 8, v2
	v_cmp_ne_u16_e64 s[4:5], 0, v6
	v_mov_b32_e32 v5, 0
	s_and_saveexec_b64 s[24:25], s[4:5]
	s_cbranch_execz .LBB380_1001
; %bb.996:                              ;   in Loop: Header=BB380_610 Depth=1
	v_cmp_ne_u16_e64 s[4:5], s31, v6
	v_bfrev_b32_e32 v5, 1
	s_and_saveexec_b64 s[26:27], s[4:5]
	s_cbranch_execz .LBB380_1000
; %bb.997:                              ;   in Loop: Header=BB380_610 Depth=1
	v_and_b32_e32 v10, 0x7f, v6
	v_cmp_ne_u32_e64 s[4:5], s34, v10
	v_mov_b32_e32 v5, 0x7f800001
	s_and_saveexec_b64 s[28:29], s[4:5]
	s_cbranch_execz .LBB380_999
; %bb.998:                              ;   in Loop: Header=BB380_610 Depth=1
	v_and_b32_e32 v5, 7, v6
	v_ffbh_u32_e32 v21, v5
	v_min_u32_e32 v21, 32, v21
	v_subrev_u32_e32 v22, 28, v21
	v_lshlrev_b64 v[26:27], v22, v[6:7]
	v_lshrrev_b32_e32 v8, 3, v10
	v_sub_u32_e32 v6, 29, v21
	v_and_b32_e32 v21, 7, v26
	v_cmp_gt_u32_e64 s[4:5], 8, v10
	v_cndmask_b32_e64 v6, v8, v6, s[4:5]
	v_cndmask_b32_e64 v5, v5, v21, s[4:5]
	v_lshlrev_b32_e32 v8, 16, v2
	v_lshlrev_b32_e32 v5, 20, v5
	v_and_b32_e32 v8, 0x80000000, v8
	v_lshl_add_u32 v6, v6, 23, v28
	v_or3_b32 v5, v8, v6, v5
.LBB380_999:                            ;   in Loop: Header=BB380_610 Depth=1
	s_or_b64 exec, exec, s[28:29]
.LBB380_1000:                           ;   in Loop: Header=BB380_610 Depth=1
	s_or_b64 exec, exec, s[26:27]
.LBB380_1001:                           ;   in Loop: Header=BB380_610 Depth=1
	s_or_b64 exec, exec, s[24:25]
	v_mul_f32_e32 v5, v7, v5
	v_and_b32_e32 v6, 0x7f800000, v5
	v_cmp_ne_u32_e64 s[4:5], s15, v6
                                        ; implicit-def: $vgpr24
	s_and_saveexec_b64 s[24:25], s[4:5]
	s_xor_b64 s[4:5], exec, s[24:25]
; %bb.1002:                             ;   in Loop: Header=BB380_610 Depth=1
	v_bfe_u32 v6, v5, 16, 1
	v_add3_u32 v24, v5, v6, s30
                                        ; implicit-def: $vgpr5
; %bb.1003:                             ;   in Loop: Header=BB380_610 Depth=1
	s_andn2_saveexec_b64 s[24:25], s[4:5]
; %bb.1004:                             ;   in Loop: Header=BB380_610 Depth=1
	v_or_b32_e32 v6, 0x10000, v5
	v_cmp_eq_u32_sdwa s[4:5], v5, v11 src0_sel:WORD_0 src1_sel:DWORD
	v_cndmask_b32_e64 v24, v6, v5, s[4:5]
; %bb.1005:                             ;   in Loop: Header=BB380_610 Depth=1
	s_or_b64 exec, exec, s[24:25]
	v_lshrrev_b32_e32 v6, 16, v2
	v_cmp_ne_u16_sdwa s[4:5], v6, v11 src0_sel:BYTE_0 src1_sel:DWORD
	v_mov_b32_e32 v5, 0
	s_and_saveexec_b64 s[24:25], s[4:5]
	s_cbranch_execz .LBB380_1011
; %bb.1006:                             ;   in Loop: Header=BB380_610 Depth=1
	v_cmp_ne_u16_sdwa s[4:5], v6, s31 src0_sel:BYTE_0 src1_sel:DWORD
	v_bfrev_b32_e32 v5, 1
	s_and_saveexec_b64 s[26:27], s[4:5]
	s_cbranch_execz .LBB380_1010
; %bb.1007:                             ;   in Loop: Header=BB380_610 Depth=1
	v_bfe_u32 v10, v2, 16, 7
	v_cmp_ne_u32_e64 s[4:5], s34, v10
	v_mov_b32_e32 v5, 0x7f800001
	s_and_saveexec_b64 s[28:29], s[4:5]
	s_cbranch_execz .LBB380_1009
; %bb.1008:                             ;   in Loop: Header=BB380_610 Depth=1
	v_and_b32_e32 v5, 7, v6
	v_ffbh_u32_e32 v21, v5
	v_min_u32_e32 v21, 32, v21
	v_subrev_u32_e32 v22, 28, v21
	v_lshlrev_b64 v[26:27], v22, v[6:7]
	v_lshrrev_b32_e32 v8, 3, v10
	v_sub_u32_e32 v21, 29, v21
	v_and_b32_e32 v22, 7, v26
	v_cmp_gt_u32_e64 s[4:5], 8, v10
	v_cndmask_b32_e64 v8, v8, v21, s[4:5]
	v_cndmask_b32_e64 v5, v5, v22, s[4:5]
	v_lshlrev_b32_e32 v6, 24, v6
	v_lshlrev_b32_e32 v5, 20, v5
	v_and_b32_e32 v6, 0x80000000, v6
	v_lshl_add_u32 v8, v8, 23, v28
	v_or3_b32 v5, v6, v8, v5
.LBB380_1009:                           ;   in Loop: Header=BB380_610 Depth=1
	s_or_b64 exec, exec, s[28:29]
.LBB380_1010:                           ;   in Loop: Header=BB380_610 Depth=1
	s_or_b64 exec, exec, s[26:27]
.LBB380_1011:                           ;   in Loop: Header=BB380_610 Depth=1
	s_or_b64 exec, exec, s[24:25]
	v_mul_f32_e32 v5, v7, v5
	v_and_b32_e32 v6, 0x7f800000, v5
	v_cmp_ne_u32_e64 s[4:5], s15, v6
                                        ; implicit-def: $vgpr26
	s_and_saveexec_b64 s[24:25], s[4:5]
	s_xor_b64 s[4:5], exec, s[24:25]
; %bb.1012:                             ;   in Loop: Header=BB380_610 Depth=1
	v_bfe_u32 v6, v5, 16, 1
	v_add3_u32 v26, v5, v6, s30
                                        ; implicit-def: $vgpr5
; %bb.1013:                             ;   in Loop: Header=BB380_610 Depth=1
	s_andn2_saveexec_b64 s[24:25], s[4:5]
; %bb.1014:                             ;   in Loop: Header=BB380_610 Depth=1
	v_or_b32_e32 v6, 0x10000, v5
	v_cmp_eq_u32_sdwa s[4:5], v5, v11 src0_sel:WORD_0 src1_sel:DWORD
	v_cndmask_b32_e64 v26, v6, v5, s[4:5]
; %bb.1015:                             ;   in Loop: Header=BB380_610 Depth=1
	s_or_b64 exec, exec, s[24:25]
	v_cmp_lt_u32_e64 s[4:5], s11, v2
	v_mov_b32_e32 v5, 0
	s_and_saveexec_b64 s[24:25], s[4:5]
	s_cbranch_execz .LBB380_1021
; %bb.1016:                             ;   in Loop: Header=BB380_610 Depth=1
	v_lshrrev_b32_e32 v6, 24, v2
	v_cmp_ne_u32_e64 s[4:5], s31, v6
	v_bfrev_b32_e32 v5, 1
	s_and_saveexec_b64 s[26:27], s[4:5]
	s_cbranch_execz .LBB380_1020
; %bb.1017:                             ;   in Loop: Header=BB380_610 Depth=1
	v_bfe_u32 v10, v2, 24, 7
	v_cmp_ne_u32_e64 s[4:5], s34, v10
	v_mov_b32_e32 v5, 0x7f800001
	s_and_saveexec_b64 s[28:29], s[4:5]
	s_cbranch_execz .LBB380_1019
; %bb.1018:                             ;   in Loop: Header=BB380_610 Depth=1
	v_and_b32_e32 v5, 7, v6
	v_ffbh_u32_e32 v21, v5
	v_min_u32_e32 v21, 32, v21
	v_subrev_u32_e32 v22, 28, v21
	v_lshlrev_b64 v[32:33], v22, v[6:7]
	v_lshrrev_b32_e32 v8, 3, v10
	v_sub_u32_e32 v21, 29, v21
	v_and_b32_e32 v22, 7, v32
	v_cmp_gt_u32_e64 s[4:5], 8, v10
	v_cndmask_b32_e64 v8, v8, v21, s[4:5]
	v_cndmask_b32_e64 v5, v5, v22, s[4:5]
	v_lshlrev_b32_e32 v6, 24, v6
	v_lshlrev_b32_e32 v5, 20, v5
	v_and_b32_e32 v6, 0x80000000, v6
	v_lshl_add_u32 v8, v8, 23, v28
	v_or3_b32 v5, v6, v8, v5
.LBB380_1019:                           ;   in Loop: Header=BB380_610 Depth=1
	s_or_b64 exec, exec, s[28:29]
.LBB380_1020:                           ;   in Loop: Header=BB380_610 Depth=1
	s_or_b64 exec, exec, s[26:27]
.LBB380_1021:                           ;   in Loop: Header=BB380_610 Depth=1
	s_or_b64 exec, exec, s[24:25]
	v_mul_f32_e32 v5, v7, v5
	v_and_b32_e32 v6, 0x7f800000, v5
	v_cmp_ne_u32_e64 s[4:5], s15, v6
                                        ; implicit-def: $vgpr27
	s_and_saveexec_b64 s[24:25], s[4:5]
	s_xor_b64 s[4:5], exec, s[24:25]
; %bb.1022:                             ;   in Loop: Header=BB380_610 Depth=1
	v_bfe_u32 v6, v5, 16, 1
	v_add3_u32 v27, v5, v6, s30
                                        ; implicit-def: $vgpr5
; %bb.1023:                             ;   in Loop: Header=BB380_610 Depth=1
	s_andn2_saveexec_b64 s[24:25], s[4:5]
; %bb.1024:                             ;   in Loop: Header=BB380_610 Depth=1
	v_or_b32_e32 v6, 0x10000, v5
	v_cmp_eq_u32_sdwa s[4:5], v5, v11 src0_sel:WORD_0 src1_sel:DWORD
	v_cndmask_b32_e64 v27, v6, v5, s[4:5]
; %bb.1025:                             ;   in Loop: Header=BB380_610 Depth=1
	s_or_b64 exec, exec, s[24:25]
	v_mov_b32_e32 v10, v3
	v_cmp_ne_u16_sdwa s[4:5], v3, v11 src0_sel:BYTE_0 src1_sel:DWORD
	v_mov_b32_e32 v5, 0
	s_and_saveexec_b64 s[24:25], s[4:5]
	s_cbranch_execz .LBB380_1031
; %bb.1026:                             ;   in Loop: Header=BB380_610 Depth=1
	v_cmp_ne_u16_sdwa s[4:5], v3, s31 src0_sel:BYTE_0 src1_sel:DWORD
	v_bfrev_b32_e32 v5, 1
	s_and_saveexec_b64 s[26:27], s[4:5]
	s_cbranch_execz .LBB380_1030
; %bb.1027:                             ;   in Loop: Header=BB380_610 Depth=1
	v_and_b32_e32 v6, 0x7f, v3
	v_cmp_ne_u32_e64 s[4:5], s34, v6
	v_mov_b32_e32 v5, 0x7f800001
	s_and_saveexec_b64 s[28:29], s[4:5]
	s_cbranch_execz .LBB380_1029
; %bb.1028:                             ;   in Loop: Header=BB380_610 Depth=1
	v_and_b32_e32 v5, 7, v3
	v_ffbh_u32_e32 v5, v5
	v_min_u32_e32 v5, 32, v5
	v_subrev_u32_e32 v21, 28, v5
	v_cmp_gt_u32_e64 s[4:5], 8, v6
	v_lshrrev_b32_e32 v8, 3, v6
	v_cndmask_b32_e64 v6, 0, v21, s[4:5]
	v_sub_u32_e32 v5, 29, v5
	v_lshlrev_b64 v[32:33], v6, v[10:11]
	v_cndmask_b32_e64 v5, v8, v5, s[4:5]
	v_lshlrev_b32_e32 v6, 20, v32
	v_lshlrev_b32_e32 v8, 24, v10
	v_and_b32_e32 v6, 0x700000, v6
	v_and_b32_e32 v8, 0x80000000, v8
	v_lshl_add_u32 v5, v5, 23, v28
	v_or3_b32 v5, v8, v5, v6
.LBB380_1029:                           ;   in Loop: Header=BB380_610 Depth=1
	s_or_b64 exec, exec, s[28:29]
.LBB380_1030:                           ;   in Loop: Header=BB380_610 Depth=1
	s_or_b64 exec, exec, s[26:27]
.LBB380_1031:                           ;   in Loop: Header=BB380_610 Depth=1
	s_or_b64 exec, exec, s[24:25]
	v_mul_f32_e32 v5, v7, v5
	v_and_b32_e32 v6, 0x7f800000, v5
	v_cmp_ne_u32_e64 s[4:5], s15, v6
                                        ; implicit-def: $vgpr29
	s_and_saveexec_b64 s[24:25], s[4:5]
	s_xor_b64 s[4:5], exec, s[24:25]
; %bb.1032:                             ;   in Loop: Header=BB380_610 Depth=1
	v_bfe_u32 v6, v5, 16, 1
	v_add3_u32 v29, v5, v6, s30
                                        ; implicit-def: $vgpr5
; %bb.1033:                             ;   in Loop: Header=BB380_610 Depth=1
	s_andn2_saveexec_b64 s[24:25], s[4:5]
; %bb.1034:                             ;   in Loop: Header=BB380_610 Depth=1
	v_or_b32_e32 v6, 0x10000, v5
	v_cmp_eq_u32_sdwa s[4:5], v5, v11 src0_sel:WORD_0 src1_sel:DWORD
	v_cndmask_b32_e64 v29, v6, v5, s[4:5]
; %bb.1035:                             ;   in Loop: Header=BB380_610 Depth=1
	s_or_b64 exec, exec, s[24:25]
	v_lshrrev_b16_e32 v6, 8, v10
	v_cmp_ne_u16_e64 s[4:5], 0, v6
	v_mov_b32_e32 v5, 0
	s_and_saveexec_b64 s[24:25], s[4:5]
	s_cbranch_execz .LBB380_1041
; %bb.1036:                             ;   in Loop: Header=BB380_610 Depth=1
	v_cmp_ne_u16_e64 s[4:5], s31, v6
	v_bfrev_b32_e32 v5, 1
	s_and_saveexec_b64 s[26:27], s[4:5]
	s_cbranch_execz .LBB380_1040
; %bb.1037:                             ;   in Loop: Header=BB380_610 Depth=1
	v_and_b32_e32 v21, 0x7f, v6
	v_cmp_ne_u32_e64 s[4:5], s34, v21
	v_mov_b32_e32 v5, 0x7f800001
	s_and_saveexec_b64 s[28:29], s[4:5]
	s_cbranch_execz .LBB380_1039
; %bb.1038:                             ;   in Loop: Header=BB380_610 Depth=1
	v_and_b32_e32 v5, 7, v6
	v_ffbh_u32_e32 v22, v5
	v_min_u32_e32 v22, 32, v22
	v_subrev_u32_e32 v23, 28, v22
	v_lshlrev_b64 v[32:33], v23, v[6:7]
	v_lshrrev_b32_e32 v8, 3, v21
	v_sub_u32_e32 v6, 29, v22
	v_and_b32_e32 v22, 7, v32
	v_cmp_gt_u32_e64 s[4:5], 8, v21
	v_cndmask_b32_e64 v6, v8, v6, s[4:5]
	v_cndmask_b32_e64 v5, v5, v22, s[4:5]
	v_lshlrev_b32_e32 v8, 16, v10
	v_lshlrev_b32_e32 v5, 20, v5
	v_and_b32_e32 v8, 0x80000000, v8
	v_lshl_add_u32 v6, v6, 23, v28
	v_or3_b32 v5, v8, v6, v5
.LBB380_1039:                           ;   in Loop: Header=BB380_610 Depth=1
	s_or_b64 exec, exec, s[28:29]
.LBB380_1040:                           ;   in Loop: Header=BB380_610 Depth=1
	s_or_b64 exec, exec, s[26:27]
.LBB380_1041:                           ;   in Loop: Header=BB380_610 Depth=1
	s_or_b64 exec, exec, s[24:25]
	v_mul_f32_e32 v6, v7, v5
	v_and_b32_e32 v5, 0x7f800000, v6
	v_cmp_ne_u32_e64 s[4:5], s15, v5
                                        ; implicit-def: $vgpr5
	s_and_saveexec_b64 s[24:25], s[4:5]
	s_xor_b64 s[4:5], exec, s[24:25]
; %bb.1042:                             ;   in Loop: Header=BB380_610 Depth=1
	v_bfe_u32 v5, v6, 16, 1
	v_add3_u32 v5, v6, v5, s30
                                        ; implicit-def: $vgpr6
; %bb.1043:                             ;   in Loop: Header=BB380_610 Depth=1
	s_andn2_saveexec_b64 s[24:25], s[4:5]
; %bb.1044:                             ;   in Loop: Header=BB380_610 Depth=1
	v_or_b32_e32 v5, 0x10000, v6
	v_cmp_eq_u32_sdwa s[4:5], v6, v11 src0_sel:WORD_0 src1_sel:DWORD
	v_cndmask_b32_e64 v5, v5, v6, s[4:5]
; %bb.1045:                             ;   in Loop: Header=BB380_610 Depth=1
	s_or_b64 exec, exec, s[24:25]
	v_lshrrev_b32_e32 v6, 16, v3
	v_cmp_ne_u16_sdwa s[4:5], v6, v11 src0_sel:BYTE_0 src1_sel:DWORD
	v_mov_b32_e32 v10, 0
	s_and_saveexec_b64 s[24:25], s[4:5]
	s_cbranch_execz .LBB380_1051
; %bb.1046:                             ;   in Loop: Header=BB380_610 Depth=1
	v_cmp_ne_u16_sdwa s[4:5], v6, s31 src0_sel:BYTE_0 src1_sel:DWORD
	v_bfrev_b32_e32 v10, 1
	s_and_saveexec_b64 s[26:27], s[4:5]
	s_cbranch_execz .LBB380_1050
; %bb.1047:                             ;   in Loop: Header=BB380_610 Depth=1
	v_bfe_u32 v21, v3, 16, 7
	v_cmp_ne_u32_e64 s[4:5], s34, v21
	v_mov_b32_e32 v10, 0x7f800001
	s_and_saveexec_b64 s[28:29], s[4:5]
	s_cbranch_execz .LBB380_1049
; %bb.1048:                             ;   in Loop: Header=BB380_610 Depth=1
	v_and_b32_e32 v8, 7, v6
	v_ffbh_u32_e32 v22, v8
	v_min_u32_e32 v22, 32, v22
	v_subrev_u32_e32 v23, 28, v22
	v_lshlrev_b64 v[32:33], v23, v[6:7]
	v_lshrrev_b32_e32 v10, 3, v21
	v_sub_u32_e32 v22, 29, v22
	v_and_b32_e32 v23, 7, v32
	v_cmp_gt_u32_e64 s[4:5], 8, v21
	v_cndmask_b32_e64 v10, v10, v22, s[4:5]
	v_cndmask_b32_e64 v8, v8, v23, s[4:5]
	v_lshlrev_b32_e32 v6, 24, v6
	v_lshlrev_b32_e32 v8, 20, v8
	v_and_b32_e32 v6, 0x80000000, v6
	v_lshl_add_u32 v10, v10, 23, v28
	v_or3_b32 v10, v6, v10, v8
.LBB380_1049:                           ;   in Loop: Header=BB380_610 Depth=1
	s_or_b64 exec, exec, s[28:29]
.LBB380_1050:                           ;   in Loop: Header=BB380_610 Depth=1
	s_or_b64 exec, exec, s[26:27]
.LBB380_1051:                           ;   in Loop: Header=BB380_610 Depth=1
	s_or_b64 exec, exec, s[24:25]
	v_mul_f32_e32 v6, v7, v10
	v_and_b32_e32 v8, 0x7f800000, v6
	v_cmp_ne_u32_e64 s[4:5], s15, v8
                                        ; implicit-def: $vgpr21
	s_and_saveexec_b64 s[24:25], s[4:5]
	s_xor_b64 s[4:5], exec, s[24:25]
; %bb.1052:                             ;   in Loop: Header=BB380_610 Depth=1
	v_bfe_u32 v8, v6, 16, 1
	v_add3_u32 v21, v6, v8, s30
                                        ; implicit-def: $vgpr6
; %bb.1053:                             ;   in Loop: Header=BB380_610 Depth=1
	s_andn2_saveexec_b64 s[24:25], s[4:5]
; %bb.1054:                             ;   in Loop: Header=BB380_610 Depth=1
	v_or_b32_e32 v8, 0x10000, v6
	v_cmp_eq_u32_sdwa s[4:5], v6, v11 src0_sel:WORD_0 src1_sel:DWORD
	v_cndmask_b32_e64 v21, v8, v6, s[4:5]
; %bb.1055:                             ;   in Loop: Header=BB380_610 Depth=1
	s_or_b64 exec, exec, s[24:25]
	v_cmp_lt_u64_e64 s[4:5], s[10:11], v[2:3]
	v_mov_b32_e32 v6, 0
	s_and_saveexec_b64 s[24:25], s[4:5]
	s_cbranch_execz .LBB380_1061
; %bb.1056:                             ;   in Loop: Header=BB380_610 Depth=1
	v_lshrrev_b32_e32 v2, 24, v3
	v_cmp_ne_u32_e64 s[4:5], s31, v2
	v_bfrev_b32_e32 v6, 1
	s_and_saveexec_b64 s[26:27], s[4:5]
	s_cbranch_execz .LBB380_1060
; %bb.1057:                             ;   in Loop: Header=BB380_610 Depth=1
	v_bfe_u32 v3, v3, 24, 7
	v_cmp_ne_u32_e64 s[4:5], s34, v3
	v_mov_b32_e32 v6, 0x7f800001
	s_and_saveexec_b64 s[28:29], s[4:5]
	s_cbranch_execz .LBB380_1059
; %bb.1058:                             ;   in Loop: Header=BB380_610 Depth=1
	v_and_b32_e32 v6, 7, v2
	v_ffbh_u32_e32 v10, v6
	v_min_u32_e32 v10, 32, v10
	v_subrev_u32_e32 v22, 28, v10
	v_lshlrev_b64 v[32:33], v22, v[2:3]
	v_lshrrev_b32_e32 v8, 3, v3
	v_sub_u32_e32 v10, 29, v10
	v_and_b32_e32 v22, 7, v32
	v_cmp_gt_u32_e64 s[4:5], 8, v3
	v_cndmask_b32_e64 v3, v8, v10, s[4:5]
	v_cndmask_b32_e64 v6, v6, v22, s[4:5]
	v_lshlrev_b32_e32 v2, 24, v2
	v_lshlrev_b32_e32 v6, 20, v6
	v_and_b32_e32 v2, 0x80000000, v2
	v_lshl_add_u32 v3, v3, 23, v28
	v_or3_b32 v6, v2, v3, v6
.LBB380_1059:                           ;   in Loop: Header=BB380_610 Depth=1
	s_or_b64 exec, exec, s[28:29]
.LBB380_1060:                           ;   in Loop: Header=BB380_610 Depth=1
	s_or_b64 exec, exec, s[26:27]
.LBB380_1061:                           ;   in Loop: Header=BB380_610 Depth=1
	s_or_b64 exec, exec, s[24:25]
	v_mul_f32_e32 v3, v7, v6
	v_and_b32_e32 v2, 0x7f800000, v3
	v_cmp_ne_u32_e64 s[4:5], s15, v2
                                        ; implicit-def: $vgpr2
	s_and_saveexec_b64 s[24:25], s[4:5]
	s_xor_b64 s[4:5], exec, s[24:25]
; %bb.1062:                             ;   in Loop: Header=BB380_610 Depth=1
	v_bfe_u32 v2, v3, 16, 1
	v_add3_u32 v2, v3, v2, s30
                                        ; implicit-def: $vgpr3
; %bb.1063:                             ;   in Loop: Header=BB380_610 Depth=1
	s_andn2_saveexec_b64 s[24:25], s[4:5]
; %bb.1064:                             ;   in Loop: Header=BB380_610 Depth=1
	v_or_b32_e32 v2, 0x10000, v3
	v_cmp_eq_u32_sdwa s[4:5], v3, v11 src0_sel:WORD_0 src1_sel:DWORD
	v_cndmask_b32_e64 v2, v2, v3, s[4:5]
; %bb.1065:                             ;   in Loop: Header=BB380_610 Depth=1
	s_or_b64 exec, exec, s[24:25]
	v_lshrrev_b32_e32 v6, 16, v5
	v_lshrrev_b32_e32 v5, 16, v29
	;; [unrolled: 1-line block ×8, first 2 shown]
	s_and_saveexec_b64 s[24:25], vcc
	s_cbranch_execz .LBB380_1067
; %bb.1066:                             ;   in Loop: Header=BB380_610 Depth=1
	v_accvgpr_read_b32 v8, a3
	v_cmp_lt_i32_e64 s[4:5], v52, v8
	v_accvgpr_read_b32 v21, a37
	v_cndmask_b32_e64 v9, 0, v9, s[4:5]
	v_cmp_lt_i32_e64 s[4:5], v21, v8
	v_accvgpr_read_b32 v21, a36
	v_cndmask_b32_e64 v24, 0, v24, s[4:5]
	;; [unrolled: 3-line block ×6, first 2 shown]
	v_cmp_lt_i32_e64 s[4:5], v21, v8
	v_cndmask_b32_e64 v3, 0, v3, s[4:5]
	v_cmp_lt_i32_e64 s[4:5], v31, v8
	v_cndmask_b32_e64 v2, 0, v2, s[4:5]
.LBB380_1067:                           ;   in Loop: Header=BB380_610 Depth=1
	s_or_b64 exec, exec, s[24:25]
	v_lshlrev_b32_e32 v8, 16, v9
	v_mul_f32_e32 v21, v47, v8
	v_and_b32_e32 v8, 0x7f800000, v21
	v_cmp_ne_u32_e64 s[4:5], s15, v8
                                        ; implicit-def: $vgpr22
	s_and_saveexec_b64 s[24:25], s[4:5]
	s_xor_b64 s[4:5], exec, s[24:25]
; %bb.1068:                             ;   in Loop: Header=BB380_610 Depth=1
	v_bfe_u32 v8, v21, 16, 1
	v_add3_u32 v22, v21, v8, s30
                                        ; implicit-def: $vgpr21
; %bb.1069:                             ;   in Loop: Header=BB380_610 Depth=1
	s_andn2_saveexec_b64 s[24:25], s[4:5]
; %bb.1070:                             ;   in Loop: Header=BB380_610 Depth=1
	v_or_b32_e32 v8, 0x10000, v21
	v_cmp_eq_u32_sdwa s[4:5], v21, v11 src0_sel:WORD_0 src1_sel:DWORD
	v_cndmask_b32_e64 v22, v8, v21, s[4:5]
; %bb.1071:                             ;   in Loop: Header=BB380_610 Depth=1
	s_or_b64 exec, exec, s[24:25]
	v_lshlrev_b32_e32 v8, 16, v24
	v_mul_f32_e32 v21, v56, v8
	v_and_b32_e32 v8, 0x7f800000, v21
	v_cmp_ne_u32_e64 s[4:5], s15, v8
                                        ; implicit-def: $vgpr29
	s_and_saveexec_b64 s[24:25], s[4:5]
	s_xor_b64 s[4:5], exec, s[24:25]
; %bb.1072:                             ;   in Loop: Header=BB380_610 Depth=1
	v_bfe_u32 v8, v21, 16, 1
	v_add3_u32 v29, v21, v8, s30
                                        ; implicit-def: $vgpr21
; %bb.1073:                             ;   in Loop: Header=BB380_610 Depth=1
	s_andn2_saveexec_b64 s[24:25], s[4:5]
; %bb.1074:                             ;   in Loop: Header=BB380_610 Depth=1
	v_or_b32_e32 v8, 0x10000, v21
	v_cmp_eq_u32_sdwa s[4:5], v21, v11 src0_sel:WORD_0 src1_sel:DWORD
	v_cndmask_b32_e64 v29, v8, v21, s[4:5]
; %bb.1075:                             ;   in Loop: Header=BB380_610 Depth=1
	s_or_b64 exec, exec, s[24:25]
	v_lshlrev_b32_e32 v8, 16, v26
	v_mul_f32_e32 v21, v57, v8
	v_and_b32_e32 v8, 0x7f800000, v21
	v_cmp_ne_u32_e64 s[4:5], s15, v8
                                        ; implicit-def: $vgpr39
	s_and_saveexec_b64 s[24:25], s[4:5]
	s_xor_b64 s[4:5], exec, s[24:25]
; %bb.1076:                             ;   in Loop: Header=BB380_610 Depth=1
	v_bfe_u32 v8, v21, 16, 1
	v_add3_u32 v39, v21, v8, s30
                                        ; implicit-def: $vgpr21
; %bb.1077:                             ;   in Loop: Header=BB380_610 Depth=1
	s_andn2_saveexec_b64 s[24:25], s[4:5]
; %bb.1078:                             ;   in Loop: Header=BB380_610 Depth=1
	v_or_b32_e32 v8, 0x10000, v21
	v_cmp_eq_u32_sdwa s[4:5], v21, v11 src0_sel:WORD_0 src1_sel:DWORD
	v_cndmask_b32_e64 v39, v8, v21, s[4:5]
; %bb.1079:                             ;   in Loop: Header=BB380_610 Depth=1
	s_or_b64 exec, exec, s[24:25]
	v_lshlrev_b32_e32 v8, 16, v10
	v_mul_f32_e32 v10, v58, v8
	v_and_b32_e32 v8, 0x7f800000, v10
	v_cmp_ne_u32_e64 s[4:5], s15, v8
                                        ; implicit-def: $vgpr48
	s_and_saveexec_b64 s[24:25], s[4:5]
	s_xor_b64 s[4:5], exec, s[24:25]
; %bb.1080:                             ;   in Loop: Header=BB380_610 Depth=1
	v_bfe_u32 v8, v10, 16, 1
	v_add3_u32 v48, v10, v8, s30
                                        ; implicit-def: $vgpr10
; %bb.1081:                             ;   in Loop: Header=BB380_610 Depth=1
	s_andn2_saveexec_b64 s[24:25], s[4:5]
; %bb.1082:                             ;   in Loop: Header=BB380_610 Depth=1
	v_or_b32_e32 v8, 0x10000, v10
	v_cmp_eq_u32_sdwa s[4:5], v10, v11 src0_sel:WORD_0 src1_sel:DWORD
	v_cndmask_b32_e64 v48, v8, v10, s[4:5]
; %bb.1083:                             ;   in Loop: Header=BB380_610 Depth=1
	s_or_b64 exec, exec, s[24:25]
	v_lshlrev_b32_e32 v5, 16, v5
	v_mul_f32_e32 v5, v60, v5
	v_and_b32_e32 v8, 0x7f800000, v5
	v_cmp_ne_u32_e64 s[4:5], s15, v8
                                        ; implicit-def: $vgpr35
	s_and_saveexec_b64 s[24:25], s[4:5]
	s_xor_b64 s[4:5], exec, s[24:25]
; %bb.1084:                             ;   in Loop: Header=BB380_610 Depth=1
	v_bfe_u32 v8, v5, 16, 1
	v_add3_u32 v35, v5, v8, s30
                                        ; implicit-def: $vgpr5
; %bb.1085:                             ;   in Loop: Header=BB380_610 Depth=1
	s_andn2_saveexec_b64 s[24:25], s[4:5]
; %bb.1086:                             ;   in Loop: Header=BB380_610 Depth=1
	v_or_b32_e32 v8, 0x10000, v5
	v_cmp_eq_u32_sdwa s[4:5], v5, v11 src0_sel:WORD_0 src1_sel:DWORD
	v_cndmask_b32_e64 v35, v8, v5, s[4:5]
; %bb.1087:                             ;   in Loop: Header=BB380_610 Depth=1
	s_or_b64 exec, exec, s[24:25]
	v_lshlrev_b32_e32 v5, 16, v6
	v_mul_f32_e32 v5, v34, v5
	v_and_b32_e32 v6, 0x7f800000, v5
	v_cmp_ne_u32_e64 s[4:5], s15, v6
                                        ; implicit-def: $vgpr49
	s_and_saveexec_b64 s[24:25], s[4:5]
	s_xor_b64 s[4:5], exec, s[24:25]
; %bb.1088:                             ;   in Loop: Header=BB380_610 Depth=1
	v_bfe_u32 v6, v5, 16, 1
	v_add3_u32 v49, v5, v6, s30
                                        ; implicit-def: $vgpr5
; %bb.1089:                             ;   in Loop: Header=BB380_610 Depth=1
	s_andn2_saveexec_b64 s[24:25], s[4:5]
; %bb.1090:                             ;   in Loop: Header=BB380_610 Depth=1
	v_or_b32_e32 v6, 0x10000, v5
	v_cmp_eq_u32_sdwa s[4:5], v5, v11 src0_sel:WORD_0 src1_sel:DWORD
	v_cndmask_b32_e64 v49, v6, v5, s[4:5]
; %bb.1091:                             ;   in Loop: Header=BB380_610 Depth=1
	s_or_b64 exec, exec, s[24:25]
	v_lshlrev_b32_e32 v3, 16, v3
	v_mul_f32_e32 v3, v25, v3
	v_and_b32_e32 v5, 0x7f800000, v3
	v_cmp_ne_u32_e64 s[4:5], s15, v5
                                        ; implicit-def: $vgpr50
	s_and_saveexec_b64 s[24:25], s[4:5]
	s_xor_b64 s[4:5], exec, s[24:25]
; %bb.1092:                             ;   in Loop: Header=BB380_610 Depth=1
	v_bfe_u32 v5, v3, 16, 1
	v_add3_u32 v50, v3, v5, s30
                                        ; implicit-def: $vgpr3
; %bb.1093:                             ;   in Loop: Header=BB380_610 Depth=1
	s_andn2_saveexec_b64 s[24:25], s[4:5]
; %bb.1094:                             ;   in Loop: Header=BB380_610 Depth=1
	v_or_b32_e32 v5, 0x10000, v3
	v_cmp_eq_u32_sdwa s[4:5], v3, v11 src0_sel:WORD_0 src1_sel:DWORD
	v_cndmask_b32_e64 v50, v5, v3, s[4:5]
; %bb.1095:                             ;   in Loop: Header=BB380_610 Depth=1
	s_or_b64 exec, exec, s[24:25]
	v_lshlrev_b32_e32 v2, 16, v2
	v_mul_f32_e32 v2, v45, v2
	v_and_b32_e32 v3, 0x7f800000, v2
	v_cmp_ne_u32_e64 s[4:5], s15, v3
                                        ; implicit-def: $vgpr51
	s_and_saveexec_b64 s[24:25], s[4:5]
	s_xor_b64 s[4:5], exec, s[24:25]
; %bb.1096:                             ;   in Loop: Header=BB380_610 Depth=1
	v_bfe_u32 v3, v2, 16, 1
	v_add3_u32 v51, v2, v3, s30
                                        ; implicit-def: $vgpr2
; %bb.1097:                             ;   in Loop: Header=BB380_610 Depth=1
	s_andn2_saveexec_b64 s[24:25], s[4:5]
; %bb.1098:                             ;   in Loop: Header=BB380_610 Depth=1
	v_or_b32_e32 v3, 0x10000, v2
	v_cmp_eq_u32_sdwa s[4:5], v2, v11 src0_sel:WORD_0 src1_sel:DWORD
	v_cndmask_b32_e64 v51, v3, v2, s[4:5]
; %bb.1099:                             ;   in Loop: Header=BB380_610 Depth=1
	s_or_b64 exec, exec, s[24:25]
	flat_load_dwordx2 v[2:3], v[0:1] offset:2048
	v_mov_b32_e32 v5, 0
	s_waitcnt vmcnt(0) lgkmcnt(0)
	v_cmp_ne_u16_sdwa s[4:5], v2, v11 src0_sel:BYTE_0 src1_sel:DWORD
	s_and_saveexec_b64 s[24:25], s[4:5]
	s_cbranch_execz .LBB380_1105
; %bb.1100:                             ;   in Loop: Header=BB380_610 Depth=1
	v_cmp_ne_u16_sdwa s[4:5], v2, s31 src0_sel:BYTE_0 src1_sel:DWORD
	v_bfrev_b32_e32 v5, 1
	s_and_saveexec_b64 s[26:27], s[4:5]
	s_cbranch_execz .LBB380_1104
; %bb.1101:                             ;   in Loop: Header=BB380_610 Depth=1
	v_and_b32_e32 v6, 0x7f, v2
	v_cmp_ne_u32_e64 s[4:5], s34, v6
	v_mov_b32_e32 v5, 0x7f800001
	s_and_saveexec_b64 s[28:29], s[4:5]
	s_cbranch_execz .LBB380_1103
; %bb.1102:                             ;   in Loop: Header=BB380_610 Depth=1
	v_and_b32_e32 v5, 7, v2
	v_ffbh_u32_e32 v5, v5
	v_min_u32_e32 v5, 32, v5
	v_subrev_u32_e32 v9, 28, v5
	v_cmp_gt_u32_e64 s[4:5], 8, v6
	v_lshrrev_b32_e32 v8, 3, v6
	v_cndmask_b32_e64 v6, 0, v9, s[4:5]
	v_sub_u32_e32 v5, 29, v5
	v_lshlrev_b64 v[26:27], v6, v[2:3]
	v_cndmask_b32_e64 v5, v8, v5, s[4:5]
	v_lshlrev_b32_e32 v6, 20, v26
	v_lshlrev_b32_e32 v8, 24, v2
	v_and_b32_e32 v6, 0x700000, v6
	v_and_b32_e32 v8, 0x80000000, v8
	v_lshl_add_u32 v5, v5, 23, v28
	v_or3_b32 v5, v8, v5, v6
.LBB380_1103:                           ;   in Loop: Header=BB380_610 Depth=1
	s_or_b64 exec, exec, s[28:29]
.LBB380_1104:                           ;   in Loop: Header=BB380_610 Depth=1
	s_or_b64 exec, exec, s[26:27]
.LBB380_1105:                           ;   in Loop: Header=BB380_610 Depth=1
	s_or_b64 exec, exec, s[24:25]
	v_mul_f32_e32 v5, v7, v5
	v_and_b32_e32 v6, 0x7f800000, v5
	v_cmp_ne_u32_e64 s[4:5], s15, v6
                                        ; implicit-def: $vgpr24
	s_and_saveexec_b64 s[24:25], s[4:5]
	s_xor_b64 s[4:5], exec, s[24:25]
; %bb.1106:                             ;   in Loop: Header=BB380_610 Depth=1
	v_bfe_u32 v6, v5, 16, 1
	v_add3_u32 v24, v5, v6, s30
                                        ; implicit-def: $vgpr5
; %bb.1107:                             ;   in Loop: Header=BB380_610 Depth=1
	s_andn2_saveexec_b64 s[24:25], s[4:5]
; %bb.1108:                             ;   in Loop: Header=BB380_610 Depth=1
	v_or_b32_e32 v6, 0x10000, v5
	v_cmp_eq_u32_sdwa s[4:5], v5, v11 src0_sel:WORD_0 src1_sel:DWORD
	v_cndmask_b32_e64 v24, v6, v5, s[4:5]
; %bb.1109:                             ;   in Loop: Header=BB380_610 Depth=1
	s_or_b64 exec, exec, s[24:25]
	v_lshrrev_b16_e32 v6, 8, v2
	v_cmp_ne_u16_e64 s[4:5], 0, v6
	v_mov_b32_e32 v5, 0
	s_and_saveexec_b64 s[24:25], s[4:5]
	s_cbranch_execz .LBB380_1115
; %bb.1110:                             ;   in Loop: Header=BB380_610 Depth=1
	v_cmp_ne_u16_e64 s[4:5], s31, v6
	v_bfrev_b32_e32 v5, 1
	s_and_saveexec_b64 s[26:27], s[4:5]
	s_cbranch_execz .LBB380_1114
; %bb.1111:                             ;   in Loop: Header=BB380_610 Depth=1
	v_and_b32_e32 v10, 0x7f, v6
	v_cmp_ne_u32_e64 s[4:5], s34, v10
	v_mov_b32_e32 v5, 0x7f800001
	s_and_saveexec_b64 s[28:29], s[4:5]
	s_cbranch_execz .LBB380_1113
; %bb.1112:                             ;   in Loop: Header=BB380_610 Depth=1
	v_and_b32_e32 v5, 7, v6
	v_ffbh_u32_e32 v9, v5
	v_min_u32_e32 v9, 32, v9
	v_subrev_u32_e32 v21, 28, v9
	v_lshlrev_b64 v[26:27], v21, v[6:7]
	v_lshrrev_b32_e32 v8, 3, v10
	v_sub_u32_e32 v6, 29, v9
	v_and_b32_e32 v9, 7, v26
	v_cmp_gt_u32_e64 s[4:5], 8, v10
	v_cndmask_b32_e64 v6, v8, v6, s[4:5]
	v_cndmask_b32_e64 v5, v5, v9, s[4:5]
	v_lshlrev_b32_e32 v8, 16, v2
	v_lshlrev_b32_e32 v5, 20, v5
	v_and_b32_e32 v8, 0x80000000, v8
	v_lshl_add_u32 v6, v6, 23, v28
	v_or3_b32 v5, v8, v6, v5
.LBB380_1113:                           ;   in Loop: Header=BB380_610 Depth=1
	s_or_b64 exec, exec, s[28:29]
.LBB380_1114:                           ;   in Loop: Header=BB380_610 Depth=1
	s_or_b64 exec, exec, s[26:27]
.LBB380_1115:                           ;   in Loop: Header=BB380_610 Depth=1
	s_or_b64 exec, exec, s[24:25]
	v_mul_f32_e32 v5, v7, v5
	v_and_b32_e32 v6, 0x7f800000, v5
	v_cmp_ne_u32_e64 s[4:5], s15, v6
                                        ; implicit-def: $vgpr26
	s_and_saveexec_b64 s[24:25], s[4:5]
	s_xor_b64 s[4:5], exec, s[24:25]
; %bb.1116:                             ;   in Loop: Header=BB380_610 Depth=1
	v_bfe_u32 v6, v5, 16, 1
	v_add3_u32 v26, v5, v6, s30
                                        ; implicit-def: $vgpr5
; %bb.1117:                             ;   in Loop: Header=BB380_610 Depth=1
	s_andn2_saveexec_b64 s[24:25], s[4:5]
; %bb.1118:                             ;   in Loop: Header=BB380_610 Depth=1
	v_or_b32_e32 v6, 0x10000, v5
	v_cmp_eq_u32_sdwa s[4:5], v5, v11 src0_sel:WORD_0 src1_sel:DWORD
	v_cndmask_b32_e64 v26, v6, v5, s[4:5]
; %bb.1119:                             ;   in Loop: Header=BB380_610 Depth=1
	s_or_b64 exec, exec, s[24:25]
	v_lshrrev_b32_e32 v6, 16, v2
	v_cmp_ne_u16_sdwa s[4:5], v6, v11 src0_sel:BYTE_0 src1_sel:DWORD
	v_mov_b32_e32 v5, 0
	s_and_saveexec_b64 s[24:25], s[4:5]
	s_cbranch_execz .LBB380_1125
; %bb.1120:                             ;   in Loop: Header=BB380_610 Depth=1
	v_cmp_ne_u16_sdwa s[4:5], v6, s31 src0_sel:BYTE_0 src1_sel:DWORD
	v_bfrev_b32_e32 v5, 1
	s_and_saveexec_b64 s[26:27], s[4:5]
	s_cbranch_execz .LBB380_1124
; %bb.1121:                             ;   in Loop: Header=BB380_610 Depth=1
	v_bfe_u32 v10, v2, 16, 7
	v_cmp_ne_u32_e64 s[4:5], s34, v10
	v_mov_b32_e32 v5, 0x7f800001
	s_and_saveexec_b64 s[28:29], s[4:5]
	s_cbranch_execz .LBB380_1123
; %bb.1122:                             ;   in Loop: Header=BB380_610 Depth=1
	v_and_b32_e32 v5, 7, v6
	v_ffbh_u32_e32 v9, v5
	v_min_u32_e32 v9, 32, v9
	v_subrev_u32_e32 v21, 28, v9
	v_lshlrev_b64 v[32:33], v21, v[6:7]
	v_lshrrev_b32_e32 v8, 3, v10
	v_sub_u32_e32 v9, 29, v9
	v_and_b32_e32 v21, 7, v32
	v_cmp_gt_u32_e64 s[4:5], 8, v10
	v_cndmask_b32_e64 v8, v8, v9, s[4:5]
	v_cndmask_b32_e64 v5, v5, v21, s[4:5]
	v_lshlrev_b32_e32 v6, 24, v6
	v_lshlrev_b32_e32 v5, 20, v5
	v_and_b32_e32 v6, 0x80000000, v6
	v_lshl_add_u32 v8, v8, 23, v28
	v_or3_b32 v5, v6, v8, v5
.LBB380_1123:                           ;   in Loop: Header=BB380_610 Depth=1
	s_or_b64 exec, exec, s[28:29]
.LBB380_1124:                           ;   in Loop: Header=BB380_610 Depth=1
	s_or_b64 exec, exec, s[26:27]
.LBB380_1125:                           ;   in Loop: Header=BB380_610 Depth=1
	s_or_b64 exec, exec, s[24:25]
	v_mul_f32_e32 v5, v7, v5
	v_and_b32_e32 v6, 0x7f800000, v5
	v_cmp_ne_u32_e64 s[4:5], s15, v6
                                        ; implicit-def: $vgpr27
	s_and_saveexec_b64 s[24:25], s[4:5]
	s_xor_b64 s[4:5], exec, s[24:25]
; %bb.1126:                             ;   in Loop: Header=BB380_610 Depth=1
	v_bfe_u32 v6, v5, 16, 1
	v_add3_u32 v27, v5, v6, s30
                                        ; implicit-def: $vgpr5
; %bb.1127:                             ;   in Loop: Header=BB380_610 Depth=1
	s_andn2_saveexec_b64 s[24:25], s[4:5]
; %bb.1128:                             ;   in Loop: Header=BB380_610 Depth=1
	v_or_b32_e32 v6, 0x10000, v5
	v_cmp_eq_u32_sdwa s[4:5], v5, v11 src0_sel:WORD_0 src1_sel:DWORD
	v_cndmask_b32_e64 v27, v6, v5, s[4:5]
; %bb.1129:                             ;   in Loop: Header=BB380_610 Depth=1
	s_or_b64 exec, exec, s[24:25]
	v_cmp_lt_u32_e64 s[4:5], s11, v2
	v_mov_b32_e32 v5, 0
	s_and_saveexec_b64 s[24:25], s[4:5]
	s_cbranch_execz .LBB380_1135
; %bb.1130:                             ;   in Loop: Header=BB380_610 Depth=1
	v_lshrrev_b32_e32 v6, 24, v2
	v_cmp_ne_u32_e64 s[4:5], s31, v6
	v_bfrev_b32_e32 v5, 1
	s_and_saveexec_b64 s[26:27], s[4:5]
	s_cbranch_execz .LBB380_1134
; %bb.1131:                             ;   in Loop: Header=BB380_610 Depth=1
	v_bfe_u32 v10, v2, 24, 7
	v_cmp_ne_u32_e64 s[4:5], s34, v10
	v_mov_b32_e32 v5, 0x7f800001
	s_and_saveexec_b64 s[28:29], s[4:5]
	s_cbranch_execz .LBB380_1133
; %bb.1132:                             ;   in Loop: Header=BB380_610 Depth=1
	v_and_b32_e32 v5, 7, v6
	v_ffbh_u32_e32 v9, v5
	v_min_u32_e32 v9, 32, v9
	v_subrev_u32_e32 v21, 28, v9
	v_lshlrev_b64 v[32:33], v21, v[6:7]
	v_lshrrev_b32_e32 v8, 3, v10
	v_sub_u32_e32 v9, 29, v9
	v_and_b32_e32 v21, 7, v32
	v_cmp_gt_u32_e64 s[4:5], 8, v10
	v_cndmask_b32_e64 v8, v8, v9, s[4:5]
	v_cndmask_b32_e64 v5, v5, v21, s[4:5]
	v_lshlrev_b32_e32 v6, 24, v6
	v_lshlrev_b32_e32 v5, 20, v5
	v_and_b32_e32 v6, 0x80000000, v6
	v_lshl_add_u32 v8, v8, 23, v28
	v_or3_b32 v5, v6, v8, v5
.LBB380_1133:                           ;   in Loop: Header=BB380_610 Depth=1
	s_or_b64 exec, exec, s[28:29]
.LBB380_1134:                           ;   in Loop: Header=BB380_610 Depth=1
	s_or_b64 exec, exec, s[26:27]
.LBB380_1135:                           ;   in Loop: Header=BB380_610 Depth=1
	s_or_b64 exec, exec, s[24:25]
	v_mul_f32_e32 v5, v7, v5
	v_and_b32_e32 v6, 0x7f800000, v5
	v_cmp_ne_u32_e64 s[4:5], s15, v6
                                        ; implicit-def: $vgpr32
	s_and_saveexec_b64 s[24:25], s[4:5]
	s_xor_b64 s[4:5], exec, s[24:25]
; %bb.1136:                             ;   in Loop: Header=BB380_610 Depth=1
	v_bfe_u32 v6, v5, 16, 1
	v_add3_u32 v32, v5, v6, s30
                                        ; implicit-def: $vgpr5
; %bb.1137:                             ;   in Loop: Header=BB380_610 Depth=1
	s_andn2_saveexec_b64 s[24:25], s[4:5]
; %bb.1138:                             ;   in Loop: Header=BB380_610 Depth=1
	v_or_b32_e32 v6, 0x10000, v5
	v_cmp_eq_u32_sdwa s[4:5], v5, v11 src0_sel:WORD_0 src1_sel:DWORD
	v_cndmask_b32_e64 v32, v6, v5, s[4:5]
; %bb.1139:                             ;   in Loop: Header=BB380_610 Depth=1
	s_or_b64 exec, exec, s[24:25]
	v_mov_b32_e32 v10, v3
	v_cmp_ne_u16_sdwa s[4:5], v3, v11 src0_sel:BYTE_0 src1_sel:DWORD
	v_mov_b32_e32 v5, 0
	s_and_saveexec_b64 s[24:25], s[4:5]
	s_cbranch_execz .LBB380_1145
; %bb.1140:                             ;   in Loop: Header=BB380_610 Depth=1
	v_cmp_ne_u16_sdwa s[4:5], v3, s31 src0_sel:BYTE_0 src1_sel:DWORD
	v_bfrev_b32_e32 v5, 1
	s_and_saveexec_b64 s[26:27], s[4:5]
	s_cbranch_execz .LBB380_1144
; %bb.1141:                             ;   in Loop: Header=BB380_610 Depth=1
	v_and_b32_e32 v6, 0x7f, v3
	v_cmp_ne_u32_e64 s[4:5], s34, v6
	v_mov_b32_e32 v5, 0x7f800001
	s_and_saveexec_b64 s[28:29], s[4:5]
	s_cbranch_execz .LBB380_1143
; %bb.1142:                             ;   in Loop: Header=BB380_610 Depth=1
	v_and_b32_e32 v5, 7, v3
	v_ffbh_u32_e32 v5, v5
	v_min_u32_e32 v5, 32, v5
	v_subrev_u32_e32 v9, 28, v5
	v_cmp_gt_u32_e64 s[4:5], 8, v6
	v_lshrrev_b32_e32 v8, 3, v6
	v_cndmask_b32_e64 v6, 0, v9, s[4:5]
	v_sub_u32_e32 v5, 29, v5
	v_lshlrev_b64 v[54:55], v6, v[10:11]
	v_cndmask_b32_e64 v5, v8, v5, s[4:5]
	v_lshlrev_b32_e32 v6, 20, v54
	v_lshlrev_b32_e32 v8, 24, v10
	v_and_b32_e32 v6, 0x700000, v6
	v_and_b32_e32 v8, 0x80000000, v8
	v_lshl_add_u32 v5, v5, 23, v28
	v_or3_b32 v5, v8, v5, v6
.LBB380_1143:                           ;   in Loop: Header=BB380_610 Depth=1
	s_or_b64 exec, exec, s[28:29]
.LBB380_1144:                           ;   in Loop: Header=BB380_610 Depth=1
	s_or_b64 exec, exec, s[26:27]
.LBB380_1145:                           ;   in Loop: Header=BB380_610 Depth=1
	s_or_b64 exec, exec, s[24:25]
	v_mul_f32_e32 v5, v7, v5
	v_and_b32_e32 v6, 0x7f800000, v5
	v_cmp_ne_u32_e64 s[4:5], s15, v6
                                        ; implicit-def: $vgpr33
	s_and_saveexec_b64 s[24:25], s[4:5]
	s_xor_b64 s[4:5], exec, s[24:25]
; %bb.1146:                             ;   in Loop: Header=BB380_610 Depth=1
	v_bfe_u32 v6, v5, 16, 1
	v_add3_u32 v33, v5, v6, s30
                                        ; implicit-def: $vgpr5
; %bb.1147:                             ;   in Loop: Header=BB380_610 Depth=1
	s_andn2_saveexec_b64 s[24:25], s[4:5]
; %bb.1148:                             ;   in Loop: Header=BB380_610 Depth=1
	v_or_b32_e32 v6, 0x10000, v5
	v_cmp_eq_u32_sdwa s[4:5], v5, v11 src0_sel:WORD_0 src1_sel:DWORD
	v_cndmask_b32_e64 v33, v6, v5, s[4:5]
; %bb.1149:                             ;   in Loop: Header=BB380_610 Depth=1
	s_or_b64 exec, exec, s[24:25]
	v_lshrrev_b16_e32 v6, 8, v10
	v_cmp_ne_u16_e64 s[4:5], 0, v6
	v_mov_b32_e32 v5, 0
	s_and_saveexec_b64 s[24:25], s[4:5]
	s_cbranch_execz .LBB380_1155
; %bb.1150:                             ;   in Loop: Header=BB380_610 Depth=1
	v_cmp_ne_u16_e64 s[4:5], s31, v6
	v_bfrev_b32_e32 v5, 1
	s_and_saveexec_b64 s[26:27], s[4:5]
	s_cbranch_execz .LBB380_1154
; %bb.1151:                             ;   in Loop: Header=BB380_610 Depth=1
	v_and_b32_e32 v21, 0x7f, v6
	v_cmp_ne_u32_e64 s[4:5], s34, v21
	v_mov_b32_e32 v5, 0x7f800001
	s_and_saveexec_b64 s[28:29], s[4:5]
	s_cbranch_execz .LBB380_1153
; %bb.1152:                             ;   in Loop: Header=BB380_610 Depth=1
	v_and_b32_e32 v5, 7, v6
	v_ffbh_u32_e32 v9, v5
	v_min_u32_e32 v9, 32, v9
	v_subrev_u32_e32 v23, 28, v9
	v_lshlrev_b64 v[54:55], v23, v[6:7]
	v_lshrrev_b32_e32 v8, 3, v21
	v_sub_u32_e32 v6, 29, v9
	v_and_b32_e32 v9, 7, v54
	v_cmp_gt_u32_e64 s[4:5], 8, v21
	v_cndmask_b32_e64 v6, v8, v6, s[4:5]
	v_cndmask_b32_e64 v5, v5, v9, s[4:5]
	v_lshlrev_b32_e32 v8, 16, v10
	v_lshlrev_b32_e32 v5, 20, v5
	v_and_b32_e32 v8, 0x80000000, v8
	v_lshl_add_u32 v6, v6, 23, v28
	v_or3_b32 v5, v8, v6, v5
.LBB380_1153:                           ;   in Loop: Header=BB380_610 Depth=1
	s_or_b64 exec, exec, s[28:29]
.LBB380_1154:                           ;   in Loop: Header=BB380_610 Depth=1
	s_or_b64 exec, exec, s[26:27]
.LBB380_1155:                           ;   in Loop: Header=BB380_610 Depth=1
	s_or_b64 exec, exec, s[24:25]
	v_mul_f32_e32 v6, v7, v5
	v_and_b32_e32 v5, 0x7f800000, v6
	v_cmp_ne_u32_e64 s[4:5], s15, v5
                                        ; implicit-def: $vgpr5
	s_and_saveexec_b64 s[24:25], s[4:5]
	s_xor_b64 s[4:5], exec, s[24:25]
; %bb.1156:                             ;   in Loop: Header=BB380_610 Depth=1
	v_bfe_u32 v5, v6, 16, 1
	v_add3_u32 v5, v6, v5, s30
                                        ; implicit-def: $vgpr6
; %bb.1157:                             ;   in Loop: Header=BB380_610 Depth=1
	s_andn2_saveexec_b64 s[24:25], s[4:5]
; %bb.1158:                             ;   in Loop: Header=BB380_610 Depth=1
	v_or_b32_e32 v5, 0x10000, v6
	v_cmp_eq_u32_sdwa s[4:5], v6, v11 src0_sel:WORD_0 src1_sel:DWORD
	v_cndmask_b32_e64 v5, v5, v6, s[4:5]
; %bb.1159:                             ;   in Loop: Header=BB380_610 Depth=1
	s_or_b64 exec, exec, s[24:25]
	v_lshrrev_b32_e32 v6, 16, v3
	v_cmp_ne_u16_sdwa s[4:5], v6, v11 src0_sel:BYTE_0 src1_sel:DWORD
	v_mov_b32_e32 v10, 0
	s_and_saveexec_b64 s[24:25], s[4:5]
	s_cbranch_execz .LBB380_1165
; %bb.1160:                             ;   in Loop: Header=BB380_610 Depth=1
	v_cmp_ne_u16_sdwa s[4:5], v6, s31 src0_sel:BYTE_0 src1_sel:DWORD
	v_bfrev_b32_e32 v10, 1
	s_and_saveexec_b64 s[26:27], s[4:5]
	s_cbranch_execz .LBB380_1164
; %bb.1161:                             ;   in Loop: Header=BB380_610 Depth=1
	v_bfe_u32 v21, v3, 16, 7
	v_cmp_ne_u32_e64 s[4:5], s34, v21
	v_mov_b32_e32 v10, 0x7f800001
	s_and_saveexec_b64 s[28:29], s[4:5]
	s_cbranch_execz .LBB380_1163
; %bb.1162:                             ;   in Loop: Header=BB380_610 Depth=1
	v_and_b32_e32 v8, 7, v6
	v_ffbh_u32_e32 v10, v8
	v_min_u32_e32 v10, 32, v10
	v_subrev_u32_e32 v23, 28, v10
	v_lshlrev_b64 v[54:55], v23, v[6:7]
	v_lshrrev_b32_e32 v9, 3, v21
	v_sub_u32_e32 v10, 29, v10
	v_and_b32_e32 v23, 7, v54
	v_cmp_gt_u32_e64 s[4:5], 8, v21
	v_cndmask_b32_e64 v9, v9, v10, s[4:5]
	v_cndmask_b32_e64 v8, v8, v23, s[4:5]
	v_lshlrev_b32_e32 v6, 24, v6
	v_lshlrev_b32_e32 v8, 20, v8
	v_and_b32_e32 v6, 0x80000000, v6
	v_lshl_add_u32 v9, v9, 23, v28
	v_or3_b32 v10, v6, v9, v8
.LBB380_1163:                           ;   in Loop: Header=BB380_610 Depth=1
	s_or_b64 exec, exec, s[28:29]
.LBB380_1164:                           ;   in Loop: Header=BB380_610 Depth=1
	s_or_b64 exec, exec, s[26:27]
.LBB380_1165:                           ;   in Loop: Header=BB380_610 Depth=1
	s_or_b64 exec, exec, s[24:25]
	v_mul_f32_e32 v6, v7, v10
	v_and_b32_e32 v8, 0x7f800000, v6
	v_cmp_ne_u32_e64 s[4:5], s15, v8
                                        ; implicit-def: $vgpr21
	s_and_saveexec_b64 s[24:25], s[4:5]
	s_xor_b64 s[4:5], exec, s[24:25]
; %bb.1166:                             ;   in Loop: Header=BB380_610 Depth=1
	v_bfe_u32 v8, v6, 16, 1
	v_add3_u32 v21, v6, v8, s30
                                        ; implicit-def: $vgpr6
; %bb.1167:                             ;   in Loop: Header=BB380_610 Depth=1
	s_andn2_saveexec_b64 s[24:25], s[4:5]
; %bb.1168:                             ;   in Loop: Header=BB380_610 Depth=1
	v_or_b32_e32 v8, 0x10000, v6
	v_cmp_eq_u32_sdwa s[4:5], v6, v11 src0_sel:WORD_0 src1_sel:DWORD
	v_cndmask_b32_e64 v21, v8, v6, s[4:5]
; %bb.1169:                             ;   in Loop: Header=BB380_610 Depth=1
	s_or_b64 exec, exec, s[24:25]
	v_cmp_lt_u64_e64 s[4:5], s[10:11], v[2:3]
	v_mov_b32_e32 v6, 0
	s_and_saveexec_b64 s[24:25], s[4:5]
	s_cbranch_execz .LBB380_1175
; %bb.1170:                             ;   in Loop: Header=BB380_610 Depth=1
	v_lshrrev_b32_e32 v2, 24, v3
	v_cmp_ne_u32_e64 s[4:5], s31, v2
	v_bfrev_b32_e32 v6, 1
	s_and_saveexec_b64 s[26:27], s[4:5]
	s_cbranch_execz .LBB380_1174
; %bb.1171:                             ;   in Loop: Header=BB380_610 Depth=1
	v_bfe_u32 v3, v3, 24, 7
	v_cmp_ne_u32_e64 s[4:5], s34, v3
	v_mov_b32_e32 v6, 0x7f800001
	s_and_saveexec_b64 s[28:29], s[4:5]
	s_cbranch_execz .LBB380_1173
; %bb.1172:                             ;   in Loop: Header=BB380_610 Depth=1
	v_and_b32_e32 v6, 7, v2
	v_ffbh_u32_e32 v9, v6
	v_min_u32_e32 v9, 32, v9
	v_subrev_u32_e32 v10, 28, v9
	v_lshlrev_b64 v[54:55], v10, v[2:3]
	v_lshrrev_b32_e32 v8, 3, v3
	v_sub_u32_e32 v9, 29, v9
	v_and_b32_e32 v10, 7, v54
	v_cmp_gt_u32_e64 s[4:5], 8, v3
	v_cndmask_b32_e64 v3, v8, v9, s[4:5]
	v_cndmask_b32_e64 v6, v6, v10, s[4:5]
	v_lshlrev_b32_e32 v2, 24, v2
	v_lshlrev_b32_e32 v6, 20, v6
	v_and_b32_e32 v2, 0x80000000, v2
	v_lshl_add_u32 v3, v3, 23, v28
	v_or3_b32 v6, v2, v3, v6
.LBB380_1173:                           ;   in Loop: Header=BB380_610 Depth=1
	s_or_b64 exec, exec, s[28:29]
.LBB380_1174:                           ;   in Loop: Header=BB380_610 Depth=1
	s_or_b64 exec, exec, s[26:27]
.LBB380_1175:                           ;   in Loop: Header=BB380_610 Depth=1
	s_or_b64 exec, exec, s[24:25]
	v_mul_f32_e32 v3, v7, v6
	v_and_b32_e32 v2, 0x7f800000, v3
	v_cmp_ne_u32_e64 s[4:5], s15, v2
                                        ; implicit-def: $vgpr2
	s_and_saveexec_b64 s[24:25], s[4:5]
	s_xor_b64 s[4:5], exec, s[24:25]
; %bb.1176:                             ;   in Loop: Header=BB380_610 Depth=1
	v_bfe_u32 v2, v3, 16, 1
	v_add3_u32 v2, v3, v2, s30
                                        ; implicit-def: $vgpr3
; %bb.1177:                             ;   in Loop: Header=BB380_610 Depth=1
	s_andn2_saveexec_b64 s[24:25], s[4:5]
; %bb.1178:                             ;   in Loop: Header=BB380_610 Depth=1
	v_or_b32_e32 v2, 0x10000, v3
	v_cmp_eq_u32_sdwa s[4:5], v3, v11 src0_sel:WORD_0 src1_sel:DWORD
	v_cndmask_b32_e64 v2, v2, v3, s[4:5]
; %bb.1179:                             ;   in Loop: Header=BB380_610 Depth=1
	s_or_b64 exec, exec, s[24:25]
	v_lshrrev_b32_e32 v6, 16, v5
	v_lshrrev_b32_e32 v5, 16, v33
	;; [unrolled: 1-line block ×8, first 2 shown]
	s_and_saveexec_b64 s[24:25], vcc
	s_cbranch_execz .LBB380_1181
; %bb.1180:                             ;   in Loop: Header=BB380_610 Depth=1
	v_accvgpr_read_b32 v8, a3
	v_cmp_lt_i32_e64 s[4:5], v52, v8
	v_accvgpr_read_b32 v9, a37
	v_cndmask_b32_e64 v24, 0, v24, s[4:5]
	v_cmp_lt_i32_e64 s[4:5], v9, v8
	v_accvgpr_read_b32 v9, a36
	v_cndmask_b32_e64 v26, 0, v26, s[4:5]
	;; [unrolled: 3-line block ×6, first 2 shown]
	v_cmp_lt_i32_e64 s[4:5], v9, v8
	v_cndmask_b32_e64 v3, 0, v3, s[4:5]
	v_cmp_lt_i32_e64 s[4:5], v31, v8
	v_cndmask_b32_e64 v2, 0, v2, s[4:5]
.LBB380_1181:                           ;   in Loop: Header=BB380_610 Depth=1
	s_or_b64 exec, exec, s[24:25]
	v_lshlrev_b32_e32 v8, 16, v24
	v_mul_f32_e32 v21, v47, v8
	v_and_b32_e32 v8, 0x7f800000, v21
	v_cmp_ne_u32_e64 s[4:5], s15, v8
                                        ; implicit-def: $vgpr53
	s_and_saveexec_b64 s[24:25], s[4:5]
	s_xor_b64 s[4:5], exec, s[24:25]
; %bb.1182:                             ;   in Loop: Header=BB380_610 Depth=1
	v_bfe_u32 v8, v21, 16, 1
	v_add3_u32 v53, v21, v8, s30
                                        ; implicit-def: $vgpr21
; %bb.1183:                             ;   in Loop: Header=BB380_610 Depth=1
	s_andn2_saveexec_b64 s[24:25], s[4:5]
; %bb.1184:                             ;   in Loop: Header=BB380_610 Depth=1
	v_or_b32_e32 v8, 0x10000, v21
	v_cmp_eq_u32_sdwa s[4:5], v21, v11 src0_sel:WORD_0 src1_sel:DWORD
	v_cndmask_b32_e64 v53, v8, v21, s[4:5]
; %bb.1185:                             ;   in Loop: Header=BB380_610 Depth=1
	s_or_b64 exec, exec, s[24:25]
	v_lshlrev_b32_e32 v8, 16, v26
	v_mul_f32_e32 v21, v56, v8
	v_and_b32_e32 v8, 0x7f800000, v21
	v_cmp_ne_u32_e64 s[4:5], s15, v8
                                        ; implicit-def: $vgpr54
	s_and_saveexec_b64 s[24:25], s[4:5]
	s_xor_b64 s[4:5], exec, s[24:25]
; %bb.1186:                             ;   in Loop: Header=BB380_610 Depth=1
	v_bfe_u32 v8, v21, 16, 1
	v_add3_u32 v54, v21, v8, s30
                                        ; implicit-def: $vgpr21
; %bb.1187:                             ;   in Loop: Header=BB380_610 Depth=1
	s_andn2_saveexec_b64 s[24:25], s[4:5]
; %bb.1188:                             ;   in Loop: Header=BB380_610 Depth=1
	v_or_b32_e32 v8, 0x10000, v21
	v_cmp_eq_u32_sdwa s[4:5], v21, v11 src0_sel:WORD_0 src1_sel:DWORD
	v_cndmask_b32_e64 v54, v8, v21, s[4:5]
; %bb.1189:                             ;   in Loop: Header=BB380_610 Depth=1
	s_or_b64 exec, exec, s[24:25]
	v_lshlrev_b32_e32 v8, 16, v27
	v_mul_f32_e32 v21, v57, v8
	v_and_b32_e32 v8, 0x7f800000, v21
	v_cmp_ne_u32_e64 s[4:5], s15, v8
                                        ; implicit-def: $vgpr55
	s_and_saveexec_b64 s[24:25], s[4:5]
	s_xor_b64 s[4:5], exec, s[24:25]
; %bb.1190:                             ;   in Loop: Header=BB380_610 Depth=1
	v_bfe_u32 v8, v21, 16, 1
	v_add3_u32 v55, v21, v8, s30
                                        ; implicit-def: $vgpr21
; %bb.1191:                             ;   in Loop: Header=BB380_610 Depth=1
	s_andn2_saveexec_b64 s[24:25], s[4:5]
; %bb.1192:                             ;   in Loop: Header=BB380_610 Depth=1
	v_or_b32_e32 v8, 0x10000, v21
	v_cmp_eq_u32_sdwa s[4:5], v21, v11 src0_sel:WORD_0 src1_sel:DWORD
	v_cndmask_b32_e64 v55, v8, v21, s[4:5]
; %bb.1193:                             ;   in Loop: Header=BB380_610 Depth=1
	s_or_b64 exec, exec, s[24:25]
	v_lshlrev_b32_e32 v8, 16, v10
	v_mul_f32_e32 v10, v58, v8
	v_and_b32_e32 v8, 0x7f800000, v10
	v_cmp_ne_u32_e64 s[4:5], s15, v8
                                        ; implicit-def: $vgpr42
	s_and_saveexec_b64 s[24:25], s[4:5]
	s_xor_b64 s[4:5], exec, s[24:25]
; %bb.1194:                             ;   in Loop: Header=BB380_610 Depth=1
	v_bfe_u32 v8, v10, 16, 1
	v_add3_u32 v42, v10, v8, s30
                                        ; implicit-def: $vgpr10
; %bb.1195:                             ;   in Loop: Header=BB380_610 Depth=1
	s_andn2_saveexec_b64 s[24:25], s[4:5]
; %bb.1196:                             ;   in Loop: Header=BB380_610 Depth=1
	v_or_b32_e32 v8, 0x10000, v10
	v_cmp_eq_u32_sdwa s[4:5], v10, v11 src0_sel:WORD_0 src1_sel:DWORD
	v_cndmask_b32_e64 v42, v8, v10, s[4:5]
; %bb.1197:                             ;   in Loop: Header=BB380_610 Depth=1
	s_or_b64 exec, exec, s[24:25]
	v_lshlrev_b32_e32 v5, 16, v5
	v_mul_f32_e32 v5, v60, v5
	v_and_b32_e32 v8, 0x7f800000, v5
	v_cmp_ne_u32_e64 s[4:5], s15, v8
                                        ; implicit-def: $vgpr43
	s_and_saveexec_b64 s[24:25], s[4:5]
	s_xor_b64 s[4:5], exec, s[24:25]
; %bb.1198:                             ;   in Loop: Header=BB380_610 Depth=1
	v_bfe_u32 v8, v5, 16, 1
	v_add3_u32 v43, v5, v8, s30
                                        ; implicit-def: $vgpr5
; %bb.1199:                             ;   in Loop: Header=BB380_610 Depth=1
	s_andn2_saveexec_b64 s[24:25], s[4:5]
; %bb.1200:                             ;   in Loop: Header=BB380_610 Depth=1
	v_or_b32_e32 v8, 0x10000, v5
	v_cmp_eq_u32_sdwa s[4:5], v5, v11 src0_sel:WORD_0 src1_sel:DWORD
	v_cndmask_b32_e64 v43, v8, v5, s[4:5]
; %bb.1201:                             ;   in Loop: Header=BB380_610 Depth=1
	s_or_b64 exec, exec, s[24:25]
	v_lshlrev_b32_e32 v5, 16, v6
	v_mul_f32_e32 v5, v34, v5
	v_and_b32_e32 v6, 0x7f800000, v5
	v_cmp_ne_u32_e64 s[4:5], s15, v6
                                        ; implicit-def: $vgpr44
	s_and_saveexec_b64 s[24:25], s[4:5]
	s_xor_b64 s[4:5], exec, s[24:25]
; %bb.1202:                             ;   in Loop: Header=BB380_610 Depth=1
	v_bfe_u32 v6, v5, 16, 1
	v_add3_u32 v44, v5, v6, s30
                                        ; implicit-def: $vgpr5
; %bb.1203:                             ;   in Loop: Header=BB380_610 Depth=1
	s_andn2_saveexec_b64 s[24:25], s[4:5]
; %bb.1204:                             ;   in Loop: Header=BB380_610 Depth=1
	v_or_b32_e32 v6, 0x10000, v5
	v_cmp_eq_u32_sdwa s[4:5], v5, v11 src0_sel:WORD_0 src1_sel:DWORD
	v_cndmask_b32_e64 v44, v6, v5, s[4:5]
; %bb.1205:                             ;   in Loop: Header=BB380_610 Depth=1
	s_or_b64 exec, exec, s[24:25]
	v_lshlrev_b32_e32 v3, 16, v3
	v_mul_f32_e32 v3, v25, v3
	v_and_b32_e32 v5, 0x7f800000, v3
	v_cmp_ne_u32_e64 s[4:5], s15, v5
                                        ; implicit-def: $vgpr46
	s_and_saveexec_b64 s[24:25], s[4:5]
	s_xor_b64 s[4:5], exec, s[24:25]
; %bb.1206:                             ;   in Loop: Header=BB380_610 Depth=1
	v_bfe_u32 v5, v3, 16, 1
	v_add3_u32 v46, v3, v5, s30
                                        ; implicit-def: $vgpr3
; %bb.1207:                             ;   in Loop: Header=BB380_610 Depth=1
	s_andn2_saveexec_b64 s[24:25], s[4:5]
; %bb.1208:                             ;   in Loop: Header=BB380_610 Depth=1
	v_or_b32_e32 v5, 0x10000, v3
	v_cmp_eq_u32_sdwa s[4:5], v3, v11 src0_sel:WORD_0 src1_sel:DWORD
	v_cndmask_b32_e64 v46, v5, v3, s[4:5]
; %bb.1209:                             ;   in Loop: Header=BB380_610 Depth=1
	s_or_b64 exec, exec, s[24:25]
	v_lshlrev_b32_e32 v2, 16, v2
	v_mul_f32_e32 v2, v45, v2
	v_and_b32_e32 v3, 0x7f800000, v2
	v_cmp_ne_u32_e64 s[4:5], s15, v3
                                        ; implicit-def: $vgpr36
	s_and_saveexec_b64 s[24:25], s[4:5]
	s_xor_b64 s[4:5], exec, s[24:25]
; %bb.1210:                             ;   in Loop: Header=BB380_610 Depth=1
	v_bfe_u32 v3, v2, 16, 1
	v_add3_u32 v36, v2, v3, s30
                                        ; implicit-def: $vgpr2
; %bb.1211:                             ;   in Loop: Header=BB380_610 Depth=1
	s_andn2_saveexec_b64 s[24:25], s[4:5]
; %bb.1212:                             ;   in Loop: Header=BB380_610 Depth=1
	v_or_b32_e32 v3, 0x10000, v2
	v_cmp_eq_u32_sdwa s[4:5], v2, v11 src0_sel:WORD_0 src1_sel:DWORD
	v_cndmask_b32_e64 v36, v3, v2, s[4:5]
; %bb.1213:                             ;   in Loop: Header=BB380_610 Depth=1
	s_or_b64 exec, exec, s[24:25]
	flat_load_dwordx2 v[2:3], v[0:1] offset:2560
	v_mov_b32_e32 v5, 0
	s_waitcnt vmcnt(0) lgkmcnt(0)
	v_cmp_ne_u16_sdwa s[4:5], v2, v11 src0_sel:BYTE_0 src1_sel:DWORD
	s_and_saveexec_b64 s[24:25], s[4:5]
	s_cbranch_execz .LBB380_1219
; %bb.1214:                             ;   in Loop: Header=BB380_610 Depth=1
	v_cmp_ne_u16_sdwa s[4:5], v2, s31 src0_sel:BYTE_0 src1_sel:DWORD
	v_bfrev_b32_e32 v5, 1
	s_and_saveexec_b64 s[26:27], s[4:5]
	s_cbranch_execz .LBB380_1218
; %bb.1215:                             ;   in Loop: Header=BB380_610 Depth=1
	v_and_b32_e32 v6, 0x7f, v2
	v_cmp_ne_u32_e64 s[4:5], s34, v6
	v_mov_b32_e32 v5, 0x7f800001
	s_and_saveexec_b64 s[28:29], s[4:5]
	s_cbranch_execz .LBB380_1217
; %bb.1216:                             ;   in Loop: Header=BB380_610 Depth=1
	v_and_b32_e32 v5, 7, v2
	v_ffbh_u32_e32 v5, v5
	v_min_u32_e32 v5, 32, v5
	v_subrev_u32_e32 v9, 28, v5
	v_cmp_gt_u32_e64 s[4:5], 8, v6
	v_lshrrev_b32_e32 v8, 3, v6
	v_cndmask_b32_e64 v6, 0, v9, s[4:5]
	v_sub_u32_e32 v5, 29, v5
	v_lshlrev_b64 v[26:27], v6, v[2:3]
	v_cndmask_b32_e64 v5, v8, v5, s[4:5]
	v_lshlrev_b32_e32 v6, 20, v26
	v_lshlrev_b32_e32 v8, 24, v2
	v_and_b32_e32 v6, 0x700000, v6
	v_and_b32_e32 v8, 0x80000000, v8
	v_lshl_add_u32 v5, v5, 23, v28
	v_or3_b32 v5, v8, v5, v6
.LBB380_1217:                           ;   in Loop: Header=BB380_610 Depth=1
	s_or_b64 exec, exec, s[28:29]
.LBB380_1218:                           ;   in Loop: Header=BB380_610 Depth=1
	s_or_b64 exec, exec, s[26:27]
.LBB380_1219:                           ;   in Loop: Header=BB380_610 Depth=1
	s_or_b64 exec, exec, s[24:25]
	v_mul_f32_e32 v5, v7, v5
	v_and_b32_e32 v6, 0x7f800000, v5
	v_cmp_ne_u32_e64 s[4:5], s15, v6
                                        ; implicit-def: $vgpr24
	s_and_saveexec_b64 s[24:25], s[4:5]
	s_xor_b64 s[4:5], exec, s[24:25]
; %bb.1220:                             ;   in Loop: Header=BB380_610 Depth=1
	v_bfe_u32 v6, v5, 16, 1
	v_add3_u32 v24, v5, v6, s30
                                        ; implicit-def: $vgpr5
; %bb.1221:                             ;   in Loop: Header=BB380_610 Depth=1
	s_andn2_saveexec_b64 s[24:25], s[4:5]
; %bb.1222:                             ;   in Loop: Header=BB380_610 Depth=1
	v_or_b32_e32 v6, 0x10000, v5
	v_cmp_eq_u32_sdwa s[4:5], v5, v11 src0_sel:WORD_0 src1_sel:DWORD
	v_cndmask_b32_e64 v24, v6, v5, s[4:5]
; %bb.1223:                             ;   in Loop: Header=BB380_610 Depth=1
	s_or_b64 exec, exec, s[24:25]
	v_lshrrev_b16_e32 v6, 8, v2
	v_cmp_ne_u16_e64 s[4:5], 0, v6
	v_mov_b32_e32 v5, 0
	s_and_saveexec_b64 s[24:25], s[4:5]
	s_cbranch_execz .LBB380_1229
; %bb.1224:                             ;   in Loop: Header=BB380_610 Depth=1
	v_cmp_ne_u16_e64 s[4:5], s31, v6
	v_bfrev_b32_e32 v5, 1
	s_and_saveexec_b64 s[26:27], s[4:5]
	s_cbranch_execz .LBB380_1228
; %bb.1225:                             ;   in Loop: Header=BB380_610 Depth=1
	v_and_b32_e32 v10, 0x7f, v6
	v_cmp_ne_u32_e64 s[4:5], s34, v10
	v_mov_b32_e32 v5, 0x7f800001
	s_and_saveexec_b64 s[28:29], s[4:5]
	s_cbranch_execz .LBB380_1227
; %bb.1226:                             ;   in Loop: Header=BB380_610 Depth=1
	v_and_b32_e32 v5, 7, v6
	v_ffbh_u32_e32 v9, v5
	v_min_u32_e32 v9, 32, v9
	v_subrev_u32_e32 v21, 28, v9
	v_lshlrev_b64 v[26:27], v21, v[6:7]
	v_lshrrev_b32_e32 v8, 3, v10
	v_sub_u32_e32 v6, 29, v9
	v_and_b32_e32 v9, 7, v26
	v_cmp_gt_u32_e64 s[4:5], 8, v10
	v_cndmask_b32_e64 v6, v8, v6, s[4:5]
	v_cndmask_b32_e64 v5, v5, v9, s[4:5]
	v_lshlrev_b32_e32 v8, 16, v2
	v_lshlrev_b32_e32 v5, 20, v5
	v_and_b32_e32 v8, 0x80000000, v8
	v_lshl_add_u32 v6, v6, 23, v28
	v_or3_b32 v5, v8, v6, v5
.LBB380_1227:                           ;   in Loop: Header=BB380_610 Depth=1
	s_or_b64 exec, exec, s[28:29]
.LBB380_1228:                           ;   in Loop: Header=BB380_610 Depth=1
	s_or_b64 exec, exec, s[26:27]
.LBB380_1229:                           ;   in Loop: Header=BB380_610 Depth=1
	s_or_b64 exec, exec, s[24:25]
	v_mul_f32_e32 v5, v7, v5
	v_and_b32_e32 v6, 0x7f800000, v5
	v_cmp_ne_u32_e64 s[4:5], s15, v6
                                        ; implicit-def: $vgpr26
	s_and_saveexec_b64 s[24:25], s[4:5]
	s_xor_b64 s[4:5], exec, s[24:25]
; %bb.1230:                             ;   in Loop: Header=BB380_610 Depth=1
	v_bfe_u32 v6, v5, 16, 1
	v_add3_u32 v26, v5, v6, s30
                                        ; implicit-def: $vgpr5
; %bb.1231:                             ;   in Loop: Header=BB380_610 Depth=1
	s_andn2_saveexec_b64 s[24:25], s[4:5]
; %bb.1232:                             ;   in Loop: Header=BB380_610 Depth=1
	v_or_b32_e32 v6, 0x10000, v5
	v_cmp_eq_u32_sdwa s[4:5], v5, v11 src0_sel:WORD_0 src1_sel:DWORD
	v_cndmask_b32_e64 v26, v6, v5, s[4:5]
; %bb.1233:                             ;   in Loop: Header=BB380_610 Depth=1
	s_or_b64 exec, exec, s[24:25]
	v_lshrrev_b32_e32 v6, 16, v2
	v_cmp_ne_u16_sdwa s[4:5], v6, v11 src0_sel:BYTE_0 src1_sel:DWORD
	v_mov_b32_e32 v5, 0
	s_and_saveexec_b64 s[24:25], s[4:5]
	s_cbranch_execz .LBB380_1239
; %bb.1234:                             ;   in Loop: Header=BB380_610 Depth=1
	v_cmp_ne_u16_sdwa s[4:5], v6, s31 src0_sel:BYTE_0 src1_sel:DWORD
	v_bfrev_b32_e32 v5, 1
	s_and_saveexec_b64 s[26:27], s[4:5]
	s_cbranch_execz .LBB380_1238
; %bb.1235:                             ;   in Loop: Header=BB380_610 Depth=1
	v_bfe_u32 v10, v2, 16, 7
	v_cmp_ne_u32_e64 s[4:5], s34, v10
	v_mov_b32_e32 v5, 0x7f800001
	s_and_saveexec_b64 s[28:29], s[4:5]
	s_cbranch_execz .LBB380_1237
; %bb.1236:                             ;   in Loop: Header=BB380_610 Depth=1
	v_and_b32_e32 v5, 7, v6
	v_ffbh_u32_e32 v9, v5
	v_min_u32_e32 v9, 32, v9
	v_subrev_u32_e32 v21, 28, v9
	v_lshlrev_b64 v[32:33], v21, v[6:7]
	v_lshrrev_b32_e32 v8, 3, v10
	v_sub_u32_e32 v9, 29, v9
	v_and_b32_e32 v21, 7, v32
	v_cmp_gt_u32_e64 s[4:5], 8, v10
	v_cndmask_b32_e64 v8, v8, v9, s[4:5]
	v_cndmask_b32_e64 v5, v5, v21, s[4:5]
	v_lshlrev_b32_e32 v6, 24, v6
	v_lshlrev_b32_e32 v5, 20, v5
	v_and_b32_e32 v6, 0x80000000, v6
	v_lshl_add_u32 v8, v8, 23, v28
	v_or3_b32 v5, v6, v8, v5
.LBB380_1237:                           ;   in Loop: Header=BB380_610 Depth=1
	s_or_b64 exec, exec, s[28:29]
.LBB380_1238:                           ;   in Loop: Header=BB380_610 Depth=1
	s_or_b64 exec, exec, s[26:27]
.LBB380_1239:                           ;   in Loop: Header=BB380_610 Depth=1
	s_or_b64 exec, exec, s[24:25]
	v_mul_f32_e32 v5, v7, v5
	v_and_b32_e32 v6, 0x7f800000, v5
	v_cmp_ne_u32_e64 s[4:5], s15, v6
                                        ; implicit-def: $vgpr27
	s_and_saveexec_b64 s[24:25], s[4:5]
	s_xor_b64 s[4:5], exec, s[24:25]
; %bb.1240:                             ;   in Loop: Header=BB380_610 Depth=1
	v_bfe_u32 v6, v5, 16, 1
	v_add3_u32 v27, v5, v6, s30
                                        ; implicit-def: $vgpr5
; %bb.1241:                             ;   in Loop: Header=BB380_610 Depth=1
	s_andn2_saveexec_b64 s[24:25], s[4:5]
; %bb.1242:                             ;   in Loop: Header=BB380_610 Depth=1
	v_or_b32_e32 v6, 0x10000, v5
	v_cmp_eq_u32_sdwa s[4:5], v5, v11 src0_sel:WORD_0 src1_sel:DWORD
	v_cndmask_b32_e64 v27, v6, v5, s[4:5]
; %bb.1243:                             ;   in Loop: Header=BB380_610 Depth=1
	s_or_b64 exec, exec, s[24:25]
	v_cmp_lt_u32_e64 s[4:5], s11, v2
	v_mov_b32_e32 v5, 0
	s_and_saveexec_b64 s[24:25], s[4:5]
	s_cbranch_execz .LBB380_1249
; %bb.1244:                             ;   in Loop: Header=BB380_610 Depth=1
	v_lshrrev_b32_e32 v6, 24, v2
	v_cmp_ne_u32_e64 s[4:5], s31, v6
	v_bfrev_b32_e32 v5, 1
	s_and_saveexec_b64 s[26:27], s[4:5]
	s_cbranch_execz .LBB380_1248
; %bb.1245:                             ;   in Loop: Header=BB380_610 Depth=1
	v_bfe_u32 v10, v2, 24, 7
	v_cmp_ne_u32_e64 s[4:5], s34, v10
	v_mov_b32_e32 v5, 0x7f800001
	s_and_saveexec_b64 s[28:29], s[4:5]
	s_cbranch_execz .LBB380_1247
; %bb.1246:                             ;   in Loop: Header=BB380_610 Depth=1
	v_and_b32_e32 v5, 7, v6
	v_ffbh_u32_e32 v9, v5
	v_min_u32_e32 v9, 32, v9
	v_subrev_u32_e32 v21, 28, v9
	v_lshlrev_b64 v[32:33], v21, v[6:7]
	v_lshrrev_b32_e32 v8, 3, v10
	v_sub_u32_e32 v9, 29, v9
	v_and_b32_e32 v21, 7, v32
	v_cmp_gt_u32_e64 s[4:5], 8, v10
	v_cndmask_b32_e64 v8, v8, v9, s[4:5]
	v_cndmask_b32_e64 v5, v5, v21, s[4:5]
	v_lshlrev_b32_e32 v6, 24, v6
	v_lshlrev_b32_e32 v5, 20, v5
	v_and_b32_e32 v6, 0x80000000, v6
	v_lshl_add_u32 v8, v8, 23, v28
	v_or3_b32 v5, v6, v8, v5
.LBB380_1247:                           ;   in Loop: Header=BB380_610 Depth=1
	s_or_b64 exec, exec, s[28:29]
.LBB380_1248:                           ;   in Loop: Header=BB380_610 Depth=1
	s_or_b64 exec, exec, s[26:27]
.LBB380_1249:                           ;   in Loop: Header=BB380_610 Depth=1
	s_or_b64 exec, exec, s[24:25]
	v_mul_f32_e32 v5, v7, v5
	v_and_b32_e32 v6, 0x7f800000, v5
	v_cmp_ne_u32_e64 s[4:5], s15, v6
                                        ; implicit-def: $vgpr32
	s_and_saveexec_b64 s[24:25], s[4:5]
	s_xor_b64 s[4:5], exec, s[24:25]
; %bb.1250:                             ;   in Loop: Header=BB380_610 Depth=1
	v_bfe_u32 v6, v5, 16, 1
	v_add3_u32 v32, v5, v6, s30
                                        ; implicit-def: $vgpr5
; %bb.1251:                             ;   in Loop: Header=BB380_610 Depth=1
	s_andn2_saveexec_b64 s[24:25], s[4:5]
; %bb.1252:                             ;   in Loop: Header=BB380_610 Depth=1
	v_or_b32_e32 v6, 0x10000, v5
	v_cmp_eq_u32_sdwa s[4:5], v5, v11 src0_sel:WORD_0 src1_sel:DWORD
	v_cndmask_b32_e64 v32, v6, v5, s[4:5]
; %bb.1253:                             ;   in Loop: Header=BB380_610 Depth=1
	s_or_b64 exec, exec, s[24:25]
	v_mov_b32_e32 v10, v3
	v_cmp_ne_u16_sdwa s[4:5], v3, v11 src0_sel:BYTE_0 src1_sel:DWORD
	v_mov_b32_e32 v5, 0
	s_and_saveexec_b64 s[24:25], s[4:5]
	s_cbranch_execz .LBB380_1259
; %bb.1254:                             ;   in Loop: Header=BB380_610 Depth=1
	v_cmp_ne_u16_sdwa s[4:5], v3, s31 src0_sel:BYTE_0 src1_sel:DWORD
	v_bfrev_b32_e32 v5, 1
	s_and_saveexec_b64 s[26:27], s[4:5]
	s_cbranch_execz .LBB380_1258
; %bb.1255:                             ;   in Loop: Header=BB380_610 Depth=1
	v_and_b32_e32 v6, 0x7f, v3
	v_cmp_ne_u32_e64 s[4:5], s34, v6
	v_mov_b32_e32 v5, 0x7f800001
	s_and_saveexec_b64 s[28:29], s[4:5]
	s_cbranch_execz .LBB380_1257
; %bb.1256:                             ;   in Loop: Header=BB380_610 Depth=1
	v_and_b32_e32 v5, 7, v3
	v_ffbh_u32_e32 v5, v5
	v_min_u32_e32 v5, 32, v5
	v_subrev_u32_e32 v9, 28, v5
	v_cmp_gt_u32_e64 s[4:5], 8, v6
	v_lshrrev_b32_e32 v8, 3, v6
	v_cndmask_b32_e64 v6, 0, v9, s[4:5]
	v_sub_u32_e32 v5, 29, v5
	v_lshlrev_b64 v[40:41], v6, v[10:11]
	v_cndmask_b32_e64 v5, v8, v5, s[4:5]
	v_lshlrev_b32_e32 v6, 20, v40
	v_lshlrev_b32_e32 v8, 24, v10
	v_and_b32_e32 v6, 0x700000, v6
	v_and_b32_e32 v8, 0x80000000, v8
	v_lshl_add_u32 v5, v5, 23, v28
	v_or3_b32 v5, v8, v5, v6
.LBB380_1257:                           ;   in Loop: Header=BB380_610 Depth=1
	s_or_b64 exec, exec, s[28:29]
.LBB380_1258:                           ;   in Loop: Header=BB380_610 Depth=1
	s_or_b64 exec, exec, s[26:27]
.LBB380_1259:                           ;   in Loop: Header=BB380_610 Depth=1
	s_or_b64 exec, exec, s[24:25]
	v_mul_f32_e32 v5, v7, v5
	v_and_b32_e32 v6, 0x7f800000, v5
	v_cmp_ne_u32_e64 s[4:5], s15, v6
                                        ; implicit-def: $vgpr33
	s_and_saveexec_b64 s[24:25], s[4:5]
	s_xor_b64 s[4:5], exec, s[24:25]
; %bb.1260:                             ;   in Loop: Header=BB380_610 Depth=1
	v_bfe_u32 v6, v5, 16, 1
	v_add3_u32 v33, v5, v6, s30
                                        ; implicit-def: $vgpr5
; %bb.1261:                             ;   in Loop: Header=BB380_610 Depth=1
	s_andn2_saveexec_b64 s[24:25], s[4:5]
; %bb.1262:                             ;   in Loop: Header=BB380_610 Depth=1
	v_or_b32_e32 v6, 0x10000, v5
	v_cmp_eq_u32_sdwa s[4:5], v5, v11 src0_sel:WORD_0 src1_sel:DWORD
	v_cndmask_b32_e64 v33, v6, v5, s[4:5]
; %bb.1263:                             ;   in Loop: Header=BB380_610 Depth=1
	s_or_b64 exec, exec, s[24:25]
	v_lshrrev_b16_e32 v6, 8, v10
	v_cmp_ne_u16_e64 s[4:5], 0, v6
	v_mov_b32_e32 v5, 0
	s_and_saveexec_b64 s[24:25], s[4:5]
	s_cbranch_execz .LBB380_1269
; %bb.1264:                             ;   in Loop: Header=BB380_610 Depth=1
	v_cmp_ne_u16_e64 s[4:5], s31, v6
	v_bfrev_b32_e32 v5, 1
	s_and_saveexec_b64 s[26:27], s[4:5]
	s_cbranch_execz .LBB380_1268
; %bb.1265:                             ;   in Loop: Header=BB380_610 Depth=1
	v_and_b32_e32 v21, 0x7f, v6
	v_cmp_ne_u32_e64 s[4:5], s34, v21
	v_mov_b32_e32 v5, 0x7f800001
	s_and_saveexec_b64 s[28:29], s[4:5]
	s_cbranch_execz .LBB380_1267
; %bb.1266:                             ;   in Loop: Header=BB380_610 Depth=1
	v_and_b32_e32 v5, 7, v6
	v_ffbh_u32_e32 v9, v5
	v_min_u32_e32 v9, 32, v9
	v_subrev_u32_e32 v23, 28, v9
	v_lshlrev_b64 v[40:41], v23, v[6:7]
	v_lshrrev_b32_e32 v8, 3, v21
	v_sub_u32_e32 v6, 29, v9
	v_and_b32_e32 v9, 7, v40
	v_cmp_gt_u32_e64 s[4:5], 8, v21
	v_cndmask_b32_e64 v6, v8, v6, s[4:5]
	v_cndmask_b32_e64 v5, v5, v9, s[4:5]
	v_lshlrev_b32_e32 v8, 16, v10
	v_lshlrev_b32_e32 v5, 20, v5
	v_and_b32_e32 v8, 0x80000000, v8
	v_lshl_add_u32 v6, v6, 23, v28
	v_or3_b32 v5, v8, v6, v5
.LBB380_1267:                           ;   in Loop: Header=BB380_610 Depth=1
	s_or_b64 exec, exec, s[28:29]
.LBB380_1268:                           ;   in Loop: Header=BB380_610 Depth=1
	s_or_b64 exec, exec, s[26:27]
.LBB380_1269:                           ;   in Loop: Header=BB380_610 Depth=1
	s_or_b64 exec, exec, s[24:25]
	v_mul_f32_e32 v6, v7, v5
	v_and_b32_e32 v5, 0x7f800000, v6
	v_cmp_ne_u32_e64 s[4:5], s15, v5
                                        ; implicit-def: $vgpr5
	s_and_saveexec_b64 s[24:25], s[4:5]
	s_xor_b64 s[4:5], exec, s[24:25]
; %bb.1270:                             ;   in Loop: Header=BB380_610 Depth=1
	v_bfe_u32 v5, v6, 16, 1
	v_add3_u32 v5, v6, v5, s30
                                        ; implicit-def: $vgpr6
; %bb.1271:                             ;   in Loop: Header=BB380_610 Depth=1
	s_andn2_saveexec_b64 s[24:25], s[4:5]
; %bb.1272:                             ;   in Loop: Header=BB380_610 Depth=1
	v_or_b32_e32 v5, 0x10000, v6
	v_cmp_eq_u32_sdwa s[4:5], v6, v11 src0_sel:WORD_0 src1_sel:DWORD
	v_cndmask_b32_e64 v5, v5, v6, s[4:5]
; %bb.1273:                             ;   in Loop: Header=BB380_610 Depth=1
	s_or_b64 exec, exec, s[24:25]
	v_lshrrev_b32_e32 v6, 16, v3
	v_cmp_ne_u16_sdwa s[4:5], v6, v11 src0_sel:BYTE_0 src1_sel:DWORD
	v_mov_b32_e32 v10, 0
	s_and_saveexec_b64 s[24:25], s[4:5]
	s_cbranch_execz .LBB380_1279
; %bb.1274:                             ;   in Loop: Header=BB380_610 Depth=1
	v_cmp_ne_u16_sdwa s[4:5], v6, s31 src0_sel:BYTE_0 src1_sel:DWORD
	v_bfrev_b32_e32 v10, 1
	s_and_saveexec_b64 s[26:27], s[4:5]
	s_cbranch_execz .LBB380_1278
; %bb.1275:                             ;   in Loop: Header=BB380_610 Depth=1
	v_bfe_u32 v21, v3, 16, 7
	v_cmp_ne_u32_e64 s[4:5], s34, v21
	v_mov_b32_e32 v10, 0x7f800001
	s_and_saveexec_b64 s[28:29], s[4:5]
	s_cbranch_execz .LBB380_1277
; %bb.1276:                             ;   in Loop: Header=BB380_610 Depth=1
	v_and_b32_e32 v8, 7, v6
	v_ffbh_u32_e32 v10, v8
	v_min_u32_e32 v10, 32, v10
	v_subrev_u32_e32 v23, 28, v10
	v_lshlrev_b64 v[40:41], v23, v[6:7]
	v_lshrrev_b32_e32 v9, 3, v21
	v_sub_u32_e32 v10, 29, v10
	v_and_b32_e32 v23, 7, v40
	v_cmp_gt_u32_e64 s[4:5], 8, v21
	v_cndmask_b32_e64 v9, v9, v10, s[4:5]
	v_cndmask_b32_e64 v8, v8, v23, s[4:5]
	v_lshlrev_b32_e32 v6, 24, v6
	v_lshlrev_b32_e32 v8, 20, v8
	v_and_b32_e32 v6, 0x80000000, v6
	v_lshl_add_u32 v9, v9, 23, v28
	v_or3_b32 v10, v6, v9, v8
.LBB380_1277:                           ;   in Loop: Header=BB380_610 Depth=1
	s_or_b64 exec, exec, s[28:29]
.LBB380_1278:                           ;   in Loop: Header=BB380_610 Depth=1
	s_or_b64 exec, exec, s[26:27]
.LBB380_1279:                           ;   in Loop: Header=BB380_610 Depth=1
	s_or_b64 exec, exec, s[24:25]
	v_mul_f32_e32 v10, v7, v10
	v_and_b32_e32 v6, 0x7f800000, v10
	v_cmp_ne_u32_e64 s[4:5], s15, v6
                                        ; implicit-def: $vgpr6
	s_and_saveexec_b64 s[24:25], s[4:5]
	s_xor_b64 s[4:5], exec, s[24:25]
; %bb.1280:                             ;   in Loop: Header=BB380_610 Depth=1
	v_bfe_u32 v6, v10, 16, 1
	v_add3_u32 v6, v10, v6, s30
                                        ; implicit-def: $vgpr10
; %bb.1281:                             ;   in Loop: Header=BB380_610 Depth=1
	s_andn2_saveexec_b64 s[24:25], s[4:5]
; %bb.1282:                             ;   in Loop: Header=BB380_610 Depth=1
	v_or_b32_e32 v6, 0x10000, v10
	v_cmp_eq_u32_sdwa s[4:5], v10, v11 src0_sel:WORD_0 src1_sel:DWORD
	v_cndmask_b32_e64 v6, v6, v10, s[4:5]
; %bb.1283:                             ;   in Loop: Header=BB380_610 Depth=1
	s_or_b64 exec, exec, s[24:25]
	v_cmp_lt_u64_e64 s[4:5], s[10:11], v[2:3]
	v_mov_b32_e32 v10, 0
	s_and_saveexec_b64 s[24:25], s[4:5]
	s_cbranch_execz .LBB380_1289
; %bb.1284:                             ;   in Loop: Header=BB380_610 Depth=1
	v_lshrrev_b32_e32 v2, 24, v3
	v_cmp_ne_u32_e64 s[4:5], s31, v2
	v_bfrev_b32_e32 v10, 1
	s_and_saveexec_b64 s[26:27], s[4:5]
	s_cbranch_execz .LBB380_1288
; %bb.1285:                             ;   in Loop: Header=BB380_610 Depth=1
	v_bfe_u32 v3, v3, 24, 7
	v_cmp_ne_u32_e64 s[4:5], s34, v3
	v_mov_b32_e32 v10, 0x7f800001
	s_and_saveexec_b64 s[28:29], s[4:5]
	s_cbranch_execz .LBB380_1287
; %bb.1286:                             ;   in Loop: Header=BB380_610 Depth=1
	v_and_b32_e32 v8, 7, v2
	v_ffbh_u32_e32 v10, v8
	v_min_u32_e32 v10, 32, v10
	v_subrev_u32_e32 v21, 28, v10
	v_lshlrev_b64 v[40:41], v21, v[2:3]
	v_lshrrev_b32_e32 v9, 3, v3
	v_sub_u32_e32 v10, 29, v10
	v_and_b32_e32 v21, 7, v40
	v_cmp_gt_u32_e64 s[4:5], 8, v3
	v_cndmask_b32_e64 v3, v9, v10, s[4:5]
	v_cndmask_b32_e64 v8, v8, v21, s[4:5]
	v_lshlrev_b32_e32 v2, 24, v2
	v_lshlrev_b32_e32 v8, 20, v8
	v_and_b32_e32 v2, 0x80000000, v2
	v_lshl_add_u32 v3, v3, 23, v28
	v_or3_b32 v10, v2, v3, v8
.LBB380_1287:                           ;   in Loop: Header=BB380_610 Depth=1
	s_or_b64 exec, exec, s[28:29]
.LBB380_1288:                           ;   in Loop: Header=BB380_610 Depth=1
	s_or_b64 exec, exec, s[26:27]
.LBB380_1289:                           ;   in Loop: Header=BB380_610 Depth=1
	s_or_b64 exec, exec, s[24:25]
	v_mul_f32_e32 v3, v7, v10
	v_and_b32_e32 v2, 0x7f800000, v3
	v_cmp_ne_u32_e64 s[4:5], s15, v2
                                        ; implicit-def: $vgpr2
	s_and_saveexec_b64 s[24:25], s[4:5]
	s_xor_b64 s[4:5], exec, s[24:25]
; %bb.1290:                             ;   in Loop: Header=BB380_610 Depth=1
	v_bfe_u32 v2, v3, 16, 1
	v_add3_u32 v2, v3, v2, s30
                                        ; implicit-def: $vgpr3
; %bb.1291:                             ;   in Loop: Header=BB380_610 Depth=1
	s_andn2_saveexec_b64 s[24:25], s[4:5]
; %bb.1292:                             ;   in Loop: Header=BB380_610 Depth=1
	v_or_b32_e32 v2, 0x10000, v3
	v_cmp_eq_u32_sdwa s[4:5], v3, v11 src0_sel:WORD_0 src1_sel:DWORD
	v_cndmask_b32_e64 v2, v2, v3, s[4:5]
; %bb.1293:                             ;   in Loop: Header=BB380_610 Depth=1
	s_or_b64 exec, exec, s[24:25]
	v_lshrrev_b32_e32 v21, 16, v5
	v_lshrrev_b32_e32 v5, 16, v33
	;; [unrolled: 1-line block ×8, first 2 shown]
	s_and_saveexec_b64 s[24:25], vcc
	s_cbranch_execz .LBB380_1295
; %bb.1294:                             ;   in Loop: Header=BB380_610 Depth=1
	v_accvgpr_read_b32 v6, a3
	v_cmp_lt_i32_e64 s[4:5], v52, v6
	v_accvgpr_read_b32 v8, a37
	v_cndmask_b32_e64 v3, 0, v3, s[4:5]
	v_cmp_lt_i32_e64 s[4:5], v8, v6
	v_accvgpr_read_b32 v8, a36
	v_cndmask_b32_e64 v26, 0, v26, s[4:5]
	;; [unrolled: 3-line block ×6, first 2 shown]
	v_cmp_lt_i32_e64 s[4:5], v8, v6
	v_cndmask_b32_e64 v10, 0, v10, s[4:5]
	v_cmp_lt_i32_e64 s[4:5], v31, v6
	v_cndmask_b32_e64 v2, 0, v2, s[4:5]
.LBB380_1295:                           ;   in Loop: Header=BB380_610 Depth=1
	s_or_b64 exec, exec, s[24:25]
	v_lshlrev_b32_e32 v3, 16, v3
	v_mul_f32_e32 v6, v47, v3
	v_and_b32_e32 v3, 0x7f800000, v6
	v_cmp_ne_u32_e64 s[4:5], s15, v3
                                        ; implicit-def: $vgpr3
	s_and_saveexec_b64 s[24:25], s[4:5]
	s_xor_b64 s[4:5], exec, s[24:25]
; %bb.1296:                             ;   in Loop: Header=BB380_610 Depth=1
	v_bfe_u32 v3, v6, 16, 1
	v_add3_u32 v3, v6, v3, s30
                                        ; implicit-def: $vgpr6
; %bb.1297:                             ;   in Loop: Header=BB380_610 Depth=1
	s_andn2_saveexec_b64 s[24:25], s[4:5]
; %bb.1298:                             ;   in Loop: Header=BB380_610 Depth=1
	v_or_b32_e32 v3, 0x10000, v6
	v_cmp_eq_u32_sdwa s[4:5], v6, v11 src0_sel:WORD_0 src1_sel:DWORD
	v_cndmask_b32_e64 v3, v3, v6, s[4:5]
; %bb.1299:                             ;   in Loop: Header=BB380_610 Depth=1
	s_or_b64 exec, exec, s[24:25]
	v_lshlrev_b32_e32 v6, 16, v26
	v_mul_f32_e32 v24, v56, v6
	v_and_b32_e32 v6, 0x7f800000, v24
	v_cmp_ne_u32_e64 s[4:5], s15, v6
                                        ; implicit-def: $vgpr6
	s_and_saveexec_b64 s[24:25], s[4:5]
	s_xor_b64 s[4:5], exec, s[24:25]
; %bb.1300:                             ;   in Loop: Header=BB380_610 Depth=1
	v_bfe_u32 v6, v24, 16, 1
	v_add3_u32 v6, v24, v6, s30
                                        ; implicit-def: $vgpr24
; %bb.1301:                             ;   in Loop: Header=BB380_610 Depth=1
	s_andn2_saveexec_b64 s[24:25], s[4:5]
; %bb.1302:                             ;   in Loop: Header=BB380_610 Depth=1
	v_or_b32_e32 v6, 0x10000, v24
	v_cmp_eq_u32_sdwa s[4:5], v24, v11 src0_sel:WORD_0 src1_sel:DWORD
	v_cndmask_b32_e64 v6, v6, v24, s[4:5]
; %bb.1303:                             ;   in Loop: Header=BB380_610 Depth=1
	s_or_b64 exec, exec, s[24:25]
	v_lshlrev_b32_e32 v8, 16, v27
	v_mul_f32_e32 v24, v57, v8
	v_and_b32_e32 v8, 0x7f800000, v24
	v_cmp_ne_u32_e64 s[4:5], s15, v8
                                        ; implicit-def: $vgpr61
	s_and_saveexec_b64 s[24:25], s[4:5]
	s_xor_b64 s[4:5], exec, s[24:25]
; %bb.1304:                             ;   in Loop: Header=BB380_610 Depth=1
	v_bfe_u32 v8, v24, 16, 1
	v_add3_u32 v61, v24, v8, s30
                                        ; implicit-def: $vgpr24
; %bb.1305:                             ;   in Loop: Header=BB380_610 Depth=1
	s_andn2_saveexec_b64 s[24:25], s[4:5]
; %bb.1306:                             ;   in Loop: Header=BB380_610 Depth=1
	v_or_b32_e32 v8, 0x10000, v24
	v_cmp_eq_u32_sdwa s[4:5], v24, v11 src0_sel:WORD_0 src1_sel:DWORD
	v_cndmask_b32_e64 v61, v8, v24, s[4:5]
; %bb.1307:                             ;   in Loop: Header=BB380_610 Depth=1
	s_or_b64 exec, exec, s[24:25]
	v_lshlrev_b32_e32 v8, 16, v32
	v_mul_f32_e32 v24, v58, v8
	v_and_b32_e32 v8, 0x7f800000, v24
	v_cmp_ne_u32_e64 s[4:5], s15, v8
                                        ; implicit-def: $vgpr38
	s_and_saveexec_b64 s[24:25], s[4:5]
	s_xor_b64 s[4:5], exec, s[24:25]
; %bb.1308:                             ;   in Loop: Header=BB380_610 Depth=1
	v_bfe_u32 v8, v24, 16, 1
	v_add3_u32 v38, v24, v8, s30
                                        ; implicit-def: $vgpr24
; %bb.1309:                             ;   in Loop: Header=BB380_610 Depth=1
	s_andn2_saveexec_b64 s[24:25], s[4:5]
; %bb.1310:                             ;   in Loop: Header=BB380_610 Depth=1
	v_or_b32_e32 v8, 0x10000, v24
	v_cmp_eq_u32_sdwa s[4:5], v24, v11 src0_sel:WORD_0 src1_sel:DWORD
	v_cndmask_b32_e64 v38, v8, v24, s[4:5]
; %bb.1311:                             ;   in Loop: Header=BB380_610 Depth=1
	s_or_b64 exec, exec, s[24:25]
	v_lshlrev_b32_e32 v5, 16, v5
	v_mul_f32_e32 v5, v60, v5
	v_and_b32_e32 v8, 0x7f800000, v5
	v_cmp_ne_u32_e64 s[4:5], s15, v8
                                        ; implicit-def: $vgpr32
	s_and_saveexec_b64 s[24:25], s[4:5]
	s_xor_b64 s[4:5], exec, s[24:25]
; %bb.1312:                             ;   in Loop: Header=BB380_610 Depth=1
	v_bfe_u32 v8, v5, 16, 1
	v_add3_u32 v32, v5, v8, s30
                                        ; implicit-def: $vgpr5
; %bb.1313:                             ;   in Loop: Header=BB380_610 Depth=1
	s_andn2_saveexec_b64 s[24:25], s[4:5]
; %bb.1314:                             ;   in Loop: Header=BB380_610 Depth=1
	v_or_b32_e32 v8, 0x10000, v5
	v_cmp_eq_u32_sdwa s[4:5], v5, v11 src0_sel:WORD_0 src1_sel:DWORD
	v_cndmask_b32_e64 v32, v8, v5, s[4:5]
; %bb.1315:                             ;   in Loop: Header=BB380_610 Depth=1
	s_or_b64 exec, exec, s[24:25]
	v_lshlrev_b32_e32 v5, 16, v21
	v_mul_f32_e32 v5, v34, v5
	v_and_b32_e32 v8, 0x7f800000, v5
	v_cmp_ne_u32_e64 s[4:5], s15, v8
                                        ; implicit-def: $vgpr33
	s_and_saveexec_b64 s[24:25], s[4:5]
	s_xor_b64 s[4:5], exec, s[24:25]
; %bb.1316:                             ;   in Loop: Header=BB380_610 Depth=1
	v_bfe_u32 v8, v5, 16, 1
	v_add3_u32 v33, v5, v8, s30
                                        ; implicit-def: $vgpr5
; %bb.1317:                             ;   in Loop: Header=BB380_610 Depth=1
	s_andn2_saveexec_b64 s[24:25], s[4:5]
; %bb.1318:                             ;   in Loop: Header=BB380_610 Depth=1
	v_or_b32_e32 v8, 0x10000, v5
	v_cmp_eq_u32_sdwa s[4:5], v5, v11 src0_sel:WORD_0 src1_sel:DWORD
	v_cndmask_b32_e64 v33, v8, v5, s[4:5]
; %bb.1319:                             ;   in Loop: Header=BB380_610 Depth=1
	s_or_b64 exec, exec, s[24:25]
	v_lshlrev_b32_e32 v5, 16, v10
	v_mul_f32_e32 v5, v25, v5
	v_and_b32_e32 v8, 0x7f800000, v5
	v_cmp_ne_u32_e64 s[4:5], s15, v8
                                        ; implicit-def: $vgpr24
	s_and_saveexec_b64 s[24:25], s[4:5]
	s_xor_b64 s[4:5], exec, s[24:25]
; %bb.1320:                             ;   in Loop: Header=BB380_610 Depth=1
	v_bfe_u32 v8, v5, 16, 1
	v_add3_u32 v24, v5, v8, s30
                                        ; implicit-def: $vgpr5
; %bb.1321:                             ;   in Loop: Header=BB380_610 Depth=1
	s_andn2_saveexec_b64 s[24:25], s[4:5]
; %bb.1322:                             ;   in Loop: Header=BB380_610 Depth=1
	v_or_b32_e32 v8, 0x10000, v5
	v_cmp_eq_u32_sdwa s[4:5], v5, v11 src0_sel:WORD_0 src1_sel:DWORD
	v_cndmask_b32_e64 v24, v8, v5, s[4:5]
; %bb.1323:                             ;   in Loop: Header=BB380_610 Depth=1
	s_or_b64 exec, exec, s[24:25]
	v_lshlrev_b32_e32 v2, 16, v2
	v_mul_f32_e32 v2, v45, v2
	v_and_b32_e32 v5, 0x7f800000, v2
	v_cmp_ne_u32_e64 s[4:5], s15, v5
                                        ; implicit-def: $vgpr27
	s_and_saveexec_b64 s[24:25], s[4:5]
	s_xor_b64 s[4:5], exec, s[24:25]
; %bb.1324:                             ;   in Loop: Header=BB380_610 Depth=1
	v_bfe_u32 v5, v2, 16, 1
	v_add3_u32 v27, v2, v5, s30
                                        ; implicit-def: $vgpr2
; %bb.1325:                             ;   in Loop: Header=BB380_610 Depth=1
	s_andn2_saveexec_b64 s[24:25], s[4:5]
; %bb.1326:                             ;   in Loop: Header=BB380_610 Depth=1
	v_or_b32_e32 v5, 0x10000, v2
	v_cmp_eq_u32_sdwa s[4:5], v2, v11 src0_sel:WORD_0 src1_sel:DWORD
	v_cndmask_b32_e64 v27, v5, v2, s[4:5]
; %bb.1327:                             ;   in Loop: Header=BB380_610 Depth=1
	s_or_b64 exec, exec, s[24:25]
	flat_load_dwordx2 v[0:1], v[0:1] offset:3072
	v_mov_b32_e32 v2, 0
	s_waitcnt vmcnt(0) lgkmcnt(0)
	v_cmp_ne_u16_sdwa s[4:5], v0, v11 src0_sel:BYTE_0 src1_sel:DWORD
	s_and_saveexec_b64 s[24:25], s[4:5]
	s_cbranch_execz .LBB380_1333
; %bb.1328:                             ;   in Loop: Header=BB380_610 Depth=1
	v_cmp_ne_u16_sdwa s[4:5], v0, s31 src0_sel:BYTE_0 src1_sel:DWORD
	v_bfrev_b32_e32 v2, 1
	s_and_saveexec_b64 s[26:27], s[4:5]
	s_cbranch_execz .LBB380_1332
; %bb.1329:                             ;   in Loop: Header=BB380_610 Depth=1
	v_and_b32_e32 v5, 0x7f, v0
	v_cmp_ne_u32_e64 s[4:5], s34, v5
	v_mov_b32_e32 v2, 0x7f800001
	s_and_saveexec_b64 s[28:29], s[4:5]
	s_cbranch_execz .LBB380_1331
; %bb.1330:                             ;   in Loop: Header=BB380_610 Depth=1
	v_and_b32_e32 v2, 7, v0
	v_ffbh_u32_e32 v2, v2
	v_min_u32_e32 v2, 32, v2
	v_subrev_u32_e32 v9, 28, v2
	v_cmp_gt_u32_e64 s[4:5], 8, v5
	v_lshrrev_b32_e32 v8, 3, v5
	v_cndmask_b32_e64 v5, 0, v9, s[4:5]
	v_sub_u32_e32 v2, 29, v2
	v_lshlrev_b64 v[40:41], v5, v[0:1]
	v_cndmask_b32_e64 v2, v8, v2, s[4:5]
	v_lshlrev_b32_e32 v5, 20, v40
	v_lshlrev_b32_e32 v8, 24, v0
	v_and_b32_e32 v5, 0x700000, v5
	v_and_b32_e32 v8, 0x80000000, v8
	v_lshl_add_u32 v2, v2, 23, v28
	v_or3_b32 v2, v8, v2, v5
.LBB380_1331:                           ;   in Loop: Header=BB380_610 Depth=1
	s_or_b64 exec, exec, s[28:29]
.LBB380_1332:                           ;   in Loop: Header=BB380_610 Depth=1
	s_or_b64 exec, exec, s[26:27]
.LBB380_1333:                           ;   in Loop: Header=BB380_610 Depth=1
	s_or_b64 exec, exec, s[24:25]
	v_mul_f32_e32 v2, v7, v2
	v_and_b32_e32 v5, 0x7f800000, v2
	v_cmp_ne_u32_e64 s[4:5], s15, v5
                                        ; implicit-def: $vgpr26
	s_and_saveexec_b64 s[24:25], s[4:5]
	s_xor_b64 s[4:5], exec, s[24:25]
; %bb.1334:                             ;   in Loop: Header=BB380_610 Depth=1
	v_bfe_u32 v5, v2, 16, 1
	v_add3_u32 v26, v2, v5, s30
                                        ; implicit-def: $vgpr2
; %bb.1335:                             ;   in Loop: Header=BB380_610 Depth=1
	s_andn2_saveexec_b64 s[24:25], s[4:5]
; %bb.1336:                             ;   in Loop: Header=BB380_610 Depth=1
	v_or_b32_e32 v5, 0x10000, v2
	v_cmp_eq_u32_sdwa s[4:5], v2, v11 src0_sel:WORD_0 src1_sel:DWORD
	v_cndmask_b32_e64 v26, v5, v2, s[4:5]
; %bb.1337:                             ;   in Loop: Header=BB380_610 Depth=1
	s_or_b64 exec, exec, s[24:25]
	v_lshrrev_b16_e32 v2, 8, v0
	v_cmp_ne_u16_e64 s[4:5], 0, v2
	v_mov_b32_e32 v5, 0
	s_and_saveexec_b64 s[24:25], s[4:5]
	s_cbranch_execz .LBB380_1343
; %bb.1338:                             ;   in Loop: Header=BB380_610 Depth=1
	v_cmp_ne_u16_e64 s[4:5], s31, v2
	v_bfrev_b32_e32 v5, 1
	s_and_saveexec_b64 s[26:27], s[4:5]
	s_cbranch_execz .LBB380_1342
; %bb.1339:                             ;   in Loop: Header=BB380_610 Depth=1
	v_and_b32_e32 v10, 0x7f, v2
	v_cmp_ne_u32_e64 s[4:5], s34, v10
	v_mov_b32_e32 v5, 0x7f800001
	s_and_saveexec_b64 s[28:29], s[4:5]
	s_cbranch_execz .LBB380_1341
; %bb.1340:                             ;   in Loop: Header=BB380_610 Depth=1
	v_and_b32_e32 v5, 7, v2
	v_ffbh_u32_e32 v9, v5
	v_min_u32_e32 v9, 32, v9
	v_subrev_u32_e32 v21, 28, v9
	v_lshlrev_b64 v[40:41], v21, v[2:3]
	v_lshrrev_b32_e32 v8, 3, v10
	v_sub_u32_e32 v2, 29, v9
	v_and_b32_e32 v9, 7, v40
	v_cmp_gt_u32_e64 s[4:5], 8, v10
	v_cndmask_b32_e64 v2, v8, v2, s[4:5]
	v_cndmask_b32_e64 v5, v5, v9, s[4:5]
	v_lshlrev_b32_e32 v8, 16, v0
	v_lshlrev_b32_e32 v5, 20, v5
	v_and_b32_e32 v8, 0x80000000, v8
	v_lshl_add_u32 v2, v2, 23, v28
	v_or3_b32 v5, v8, v2, v5
.LBB380_1341:                           ;   in Loop: Header=BB380_610 Depth=1
	s_or_b64 exec, exec, s[28:29]
.LBB380_1342:                           ;   in Loop: Header=BB380_610 Depth=1
	s_or_b64 exec, exec, s[26:27]
.LBB380_1343:                           ;   in Loop: Header=BB380_610 Depth=1
	s_or_b64 exec, exec, s[24:25]
	v_mul_f32_e32 v2, v7, v5
	v_and_b32_e32 v5, 0x7f800000, v2
	v_cmp_ne_u32_e64 s[4:5], s15, v5
                                        ; implicit-def: $vgpr41
	s_and_saveexec_b64 s[24:25], s[4:5]
	s_xor_b64 s[4:5], exec, s[24:25]
; %bb.1344:                             ;   in Loop: Header=BB380_610 Depth=1
	v_bfe_u32 v5, v2, 16, 1
	v_add3_u32 v41, v2, v5, s30
                                        ; implicit-def: $vgpr2
; %bb.1345:                             ;   in Loop: Header=BB380_610 Depth=1
	s_andn2_saveexec_b64 s[24:25], s[4:5]
; %bb.1346:                             ;   in Loop: Header=BB380_610 Depth=1
	v_or_b32_e32 v5, 0x10000, v2
	v_cmp_eq_u32_sdwa s[4:5], v2, v11 src0_sel:WORD_0 src1_sel:DWORD
	v_cndmask_b32_e64 v41, v5, v2, s[4:5]
; %bb.1347:                             ;   in Loop: Header=BB380_610 Depth=1
	s_or_b64 exec, exec, s[24:25]
	v_lshrrev_b32_e32 v2, 16, v0
	v_cmp_ne_u16_sdwa s[4:5], v2, v11 src0_sel:BYTE_0 src1_sel:DWORD
	v_mov_b32_e32 v5, 0
	s_and_saveexec_b64 s[24:25], s[4:5]
	s_cbranch_execz .LBB380_1353
; %bb.1348:                             ;   in Loop: Header=BB380_610 Depth=1
	v_cmp_ne_u16_sdwa s[4:5], v2, s31 src0_sel:BYTE_0 src1_sel:DWORD
	v_bfrev_b32_e32 v5, 1
	s_and_saveexec_b64 s[26:27], s[4:5]
	s_cbranch_execz .LBB380_1352
; %bb.1349:                             ;   in Loop: Header=BB380_610 Depth=1
	v_bfe_u32 v10, v0, 16, 7
	v_cmp_ne_u32_e64 s[4:5], s34, v10
	v_mov_b32_e32 v5, 0x7f800001
	s_and_saveexec_b64 s[28:29], s[4:5]
	s_cbranch_execz .LBB380_1351
; %bb.1350:                             ;   in Loop: Header=BB380_610 Depth=1
	v_and_b32_e32 v5, 7, v2
	v_ffbh_u32_e32 v9, v5
	v_min_u32_e32 v9, 32, v9
	v_subrev_u32_e32 v21, 28, v9
	v_mov_b32_e32 v23, v31
	v_lshlrev_b64 v[30:31], v21, v[2:3]
	v_lshrrev_b32_e32 v8, 3, v10
	v_sub_u32_e32 v9, 29, v9
	v_and_b32_e32 v21, 7, v30
	v_cmp_gt_u32_e64 s[4:5], 8, v10
	v_cndmask_b32_e64 v8, v8, v9, s[4:5]
	v_cndmask_b32_e64 v5, v5, v21, s[4:5]
	v_lshlrev_b32_e32 v2, 24, v2
	v_lshlrev_b32_e32 v5, 20, v5
	v_and_b32_e32 v2, 0x80000000, v2
	v_lshl_add_u32 v8, v8, 23, v28
	v_mov_b32_e32 v31, v23
	v_or3_b32 v5, v2, v8, v5
.LBB380_1351:                           ;   in Loop: Header=BB380_610 Depth=1
	s_or_b64 exec, exec, s[28:29]
.LBB380_1352:                           ;   in Loop: Header=BB380_610 Depth=1
	s_or_b64 exec, exec, s[26:27]
.LBB380_1353:                           ;   in Loop: Header=BB380_610 Depth=1
	s_or_b64 exec, exec, s[24:25]
	v_mul_f32_e32 v2, v7, v5
	v_and_b32_e32 v5, 0x7f800000, v2
	v_cmp_ne_u32_e64 s[4:5], s15, v5
                                        ; implicit-def: $vgpr40
	s_and_saveexec_b64 s[24:25], s[4:5]
	s_xor_b64 s[4:5], exec, s[24:25]
; %bb.1354:                             ;   in Loop: Header=BB380_610 Depth=1
	v_bfe_u32 v5, v2, 16, 1
	v_add3_u32 v40, v2, v5, s30
                                        ; implicit-def: $vgpr2
; %bb.1355:                             ;   in Loop: Header=BB380_610 Depth=1
	s_andn2_saveexec_b64 s[24:25], s[4:5]
; %bb.1356:                             ;   in Loop: Header=BB380_610 Depth=1
	v_or_b32_e32 v5, 0x10000, v2
	v_cmp_eq_u32_sdwa s[4:5], v2, v11 src0_sel:WORD_0 src1_sel:DWORD
	v_cndmask_b32_e64 v40, v5, v2, s[4:5]
; %bb.1357:                             ;   in Loop: Header=BB380_610 Depth=1
	s_or_b64 exec, exec, s[24:25]
	v_cmp_lt_u32_e64 s[4:5], s11, v0
	v_mov_b32_e32 v5, 0
	s_and_saveexec_b64 s[24:25], s[4:5]
	s_cbranch_execz .LBB380_1363
; %bb.1358:                             ;   in Loop: Header=BB380_610 Depth=1
	v_lshrrev_b32_e32 v2, 24, v0
	v_cmp_ne_u32_e64 s[4:5], s31, v2
	v_bfrev_b32_e32 v5, 1
	s_and_saveexec_b64 s[26:27], s[4:5]
	s_cbranch_execz .LBB380_1362
; %bb.1359:                             ;   in Loop: Header=BB380_610 Depth=1
	v_bfe_u32 v10, v0, 24, 7
	v_cmp_ne_u32_e64 s[4:5], s34, v10
	v_mov_b32_e32 v5, 0x7f800001
	s_and_saveexec_b64 s[28:29], s[4:5]
	s_cbranch_execz .LBB380_1361
; %bb.1360:                             ;   in Loop: Header=BB380_610 Depth=1
	v_and_b32_e32 v5, 7, v2
	v_ffbh_u32_e32 v9, v5
	v_min_u32_e32 v9, 32, v9
	v_subrev_u32_e32 v21, 28, v9
	v_mov_b32_e32 v23, v31
	v_lshlrev_b64 v[30:31], v21, v[2:3]
	v_lshrrev_b32_e32 v8, 3, v10
	v_sub_u32_e32 v9, 29, v9
	v_and_b32_e32 v21, 7, v30
	v_cmp_gt_u32_e64 s[4:5], 8, v10
	v_cndmask_b32_e64 v8, v8, v9, s[4:5]
	v_cndmask_b32_e64 v5, v5, v21, s[4:5]
	v_lshlrev_b32_e32 v2, 24, v2
	v_lshlrev_b32_e32 v5, 20, v5
	v_and_b32_e32 v2, 0x80000000, v2
	v_lshl_add_u32 v8, v8, 23, v28
	v_mov_b32_e32 v31, v23
	v_or3_b32 v5, v2, v8, v5
.LBB380_1361:                           ;   in Loop: Header=BB380_610 Depth=1
	s_or_b64 exec, exec, s[28:29]
.LBB380_1362:                           ;   in Loop: Header=BB380_610 Depth=1
	s_or_b64 exec, exec, s[26:27]
.LBB380_1363:                           ;   in Loop: Header=BB380_610 Depth=1
	s_or_b64 exec, exec, s[24:25]
	v_mul_f32_e32 v2, v7, v5
	v_and_b32_e32 v5, 0x7f800000, v2
	v_cmp_ne_u32_e64 s[4:5], s15, v5
                                        ; implicit-def: $vgpr62
	s_and_saveexec_b64 s[24:25], s[4:5]
	s_xor_b64 s[4:5], exec, s[24:25]
; %bb.1364:                             ;   in Loop: Header=BB380_610 Depth=1
	v_bfe_u32 v5, v2, 16, 1
	v_add3_u32 v62, v2, v5, s30
                                        ; implicit-def: $vgpr2
; %bb.1365:                             ;   in Loop: Header=BB380_610 Depth=1
	s_andn2_saveexec_b64 s[24:25], s[4:5]
; %bb.1366:                             ;   in Loop: Header=BB380_610 Depth=1
	v_or_b32_e32 v5, 0x10000, v2
	v_cmp_eq_u32_sdwa s[4:5], v2, v11 src0_sel:WORD_0 src1_sel:DWORD
	v_cndmask_b32_e64 v62, v5, v2, s[4:5]
; %bb.1367:                             ;   in Loop: Header=BB380_610 Depth=1
	s_or_b64 exec, exec, s[24:25]
	v_mov_b32_e32 v10, v1
	v_cmp_ne_u16_sdwa s[4:5], v1, v11 src0_sel:BYTE_0 src1_sel:DWORD
	v_mov_b32_e32 v2, 0
	s_and_saveexec_b64 s[24:25], s[4:5]
	s_cbranch_execz .LBB380_1373
; %bb.1368:                             ;   in Loop: Header=BB380_610 Depth=1
	v_cmp_ne_u16_sdwa s[4:5], v1, s31 src0_sel:BYTE_0 src1_sel:DWORD
	v_bfrev_b32_e32 v2, 1
	s_and_saveexec_b64 s[26:27], s[4:5]
	s_cbranch_execz .LBB380_1372
; %bb.1369:                             ;   in Loop: Header=BB380_610 Depth=1
	v_and_b32_e32 v5, 0x7f, v1
	v_cmp_ne_u32_e64 s[4:5], s34, v5
	v_mov_b32_e32 v2, 0x7f800001
	s_and_saveexec_b64 s[28:29], s[4:5]
	s_cbranch_execz .LBB380_1371
; %bb.1370:                             ;   in Loop: Header=BB380_610 Depth=1
	v_and_b32_e32 v2, 7, v1
	v_ffbh_u32_e32 v2, v2
	v_min_u32_e32 v2, 32, v2
	v_subrev_u32_e32 v9, 28, v2
	v_cmp_gt_u32_e64 s[4:5], 8, v5
	v_lshrrev_b32_e32 v8, 3, v5
	v_sub_u32_e32 v2, 29, v2
	v_cndmask_b32_e64 v5, 0, v9, s[4:5]
	v_cndmask_b32_e64 v2, v8, v2, s[4:5]
	v_mov_b32_e32 v8, v31
	v_lshlrev_b64 v[30:31], v5, v[10:11]
	v_mov_b32_e32 v31, v8
	v_lshlrev_b32_e32 v5, 20, v30
	v_lshlrev_b32_e32 v8, 24, v10
	v_and_b32_e32 v5, 0x700000, v5
	v_and_b32_e32 v8, 0x80000000, v8
	v_lshl_add_u32 v2, v2, 23, v28
	v_or3_b32 v2, v8, v2, v5
.LBB380_1371:                           ;   in Loop: Header=BB380_610 Depth=1
	s_or_b64 exec, exec, s[28:29]
.LBB380_1372:                           ;   in Loop: Header=BB380_610 Depth=1
	s_or_b64 exec, exec, s[26:27]
.LBB380_1373:                           ;   in Loop: Header=BB380_610 Depth=1
	s_or_b64 exec, exec, s[24:25]
	v_mul_f32_e32 v2, v7, v2
	v_and_b32_e32 v5, 0x7f800000, v2
	v_cmp_ne_u32_e64 s[4:5], s15, v5
                                        ; implicit-def: $vgpr21
	s_and_saveexec_b64 s[24:25], s[4:5]
	s_xor_b64 s[4:5], exec, s[24:25]
; %bb.1374:                             ;   in Loop: Header=BB380_610 Depth=1
	v_bfe_u32 v5, v2, 16, 1
	v_add3_u32 v21, v2, v5, s30
                                        ; implicit-def: $vgpr2
; %bb.1375:                             ;   in Loop: Header=BB380_610 Depth=1
	s_andn2_saveexec_b64 s[24:25], s[4:5]
; %bb.1376:                             ;   in Loop: Header=BB380_610 Depth=1
	v_or_b32_e32 v5, 0x10000, v2
	v_cmp_eq_u32_sdwa s[4:5], v2, v11 src0_sel:WORD_0 src1_sel:DWORD
	v_cndmask_b32_e64 v21, v5, v2, s[4:5]
; %bb.1377:                             ;   in Loop: Header=BB380_610 Depth=1
	s_or_b64 exec, exec, s[24:25]
	v_lshrrev_b16_e32 v2, 8, v10
	v_cmp_ne_u16_e64 s[4:5], 0, v2
	v_mov_b32_e32 v5, 0
	s_and_saveexec_b64 s[24:25], s[4:5]
	s_cbranch_execz .LBB380_1383
; %bb.1378:                             ;   in Loop: Header=BB380_610 Depth=1
	v_cmp_ne_u16_e64 s[4:5], s31, v2
	v_bfrev_b32_e32 v5, 1
	s_and_saveexec_b64 s[26:27], s[4:5]
	s_cbranch_execz .LBB380_1382
; %bb.1379:                             ;   in Loop: Header=BB380_610 Depth=1
	v_and_b32_e32 v30, 0x7f, v2
	v_cmp_ne_u32_e64 s[4:5], s34, v30
	v_mov_b32_e32 v5, 0x7f800001
	s_and_saveexec_b64 s[28:29], s[4:5]
	s_cbranch_execz .LBB380_1381
; %bb.1380:                             ;   in Loop: Header=BB380_610 Depth=1
	v_and_b32_e32 v5, 7, v2
	v_ffbh_u32_e32 v8, v5
	v_min_u32_e32 v28, 32, v8
	v_subrev_u32_e32 v8, 28, v28
	v_lshlrev_b64 v[8:9], v8, v[2:3]
	v_lshrrev_b32_e32 v23, 3, v30
	v_sub_u32_e32 v2, 29, v28
	v_and_b32_e32 v8, 7, v8
	v_cmp_gt_u32_e64 s[4:5], 8, v30
	v_bfrev_b32_e32 v28, 60
	v_cndmask_b32_e64 v2, v23, v2, s[4:5]
	v_cndmask_b32_e64 v5, v5, v8, s[4:5]
	v_lshlrev_b32_e32 v8, 16, v10
	v_lshlrev_b32_e32 v5, 20, v5
	v_and_b32_e32 v8, 0x80000000, v8
	v_lshl_add_u32 v2, v2, 23, v28
	v_or3_b32 v5, v8, v2, v5
.LBB380_1381:                           ;   in Loop: Header=BB380_610 Depth=1
	s_or_b64 exec, exec, s[28:29]
.LBB380_1382:                           ;   in Loop: Header=BB380_610 Depth=1
	s_or_b64 exec, exec, s[26:27]
.LBB380_1383:                           ;   in Loop: Header=BB380_610 Depth=1
	s_or_b64 exec, exec, s[24:25]
	v_mul_f32_e32 v2, v7, v5
	v_and_b32_e32 v5, 0x7f800000, v2
	v_cmp_ne_u32_e64 s[4:5], s15, v5
                                        ; implicit-def: $vgpr5
	s_and_saveexec_b64 s[24:25], s[4:5]
	s_xor_b64 s[4:5], exec, s[24:25]
; %bb.1384:                             ;   in Loop: Header=BB380_610 Depth=1
	v_bfe_u32 v5, v2, 16, 1
	v_add3_u32 v5, v2, v5, s30
                                        ; implicit-def: $vgpr2
; %bb.1385:                             ;   in Loop: Header=BB380_610 Depth=1
	s_andn2_saveexec_b64 s[24:25], s[4:5]
; %bb.1386:                             ;   in Loop: Header=BB380_610 Depth=1
	v_or_b32_e32 v5, 0x10000, v2
	v_cmp_eq_u32_sdwa s[4:5], v2, v11 src0_sel:WORD_0 src1_sel:DWORD
	v_cndmask_b32_e64 v5, v5, v2, s[4:5]
; %bb.1387:                             ;   in Loop: Header=BB380_610 Depth=1
	s_or_b64 exec, exec, s[24:25]
	v_lshrrev_b32_e32 v2, 16, v1
	v_cmp_ne_u16_sdwa s[4:5], v2, v11 src0_sel:BYTE_0 src1_sel:DWORD
	v_mov_b32_e32 v10, 0
	s_and_saveexec_b64 s[24:25], s[4:5]
	s_cbranch_execz .LBB380_1393
; %bb.1388:                             ;   in Loop: Header=BB380_610 Depth=1
	v_cmp_ne_u16_sdwa s[4:5], v2, s31 src0_sel:BYTE_0 src1_sel:DWORD
	v_bfrev_b32_e32 v10, 1
	s_and_saveexec_b64 s[26:27], s[4:5]
	s_cbranch_execz .LBB380_1392
; %bb.1389:                             ;   in Loop: Header=BB380_610 Depth=1
	v_bfe_u32 v30, v1, 16, 7
	v_cmp_ne_u32_e64 s[4:5], s34, v30
	v_mov_b32_e32 v10, 0x7f800001
	s_and_saveexec_b64 s[28:29], s[4:5]
	s_cbranch_execz .LBB380_1391
; %bb.1390:                             ;   in Loop: Header=BB380_610 Depth=1
	v_and_b32_e32 v10, 7, v2
	v_ffbh_u32_e32 v8, v10
	v_min_u32_e32 v28, 32, v8
	v_subrev_u32_e32 v8, 28, v28
	v_lshlrev_b64 v[8:9], v8, v[2:3]
	v_lshrrev_b32_e32 v23, 3, v30
	v_sub_u32_e32 v9, 29, v28
	v_and_b32_e32 v8, 7, v8
	v_cmp_gt_u32_e64 s[4:5], 8, v30
	v_bfrev_b32_e32 v28, 60
	v_cndmask_b32_e64 v9, v23, v9, s[4:5]
	v_cndmask_b32_e64 v8, v10, v8, s[4:5]
	v_lshlrev_b32_e32 v2, 24, v2
	v_lshlrev_b32_e32 v8, 20, v8
	v_and_b32_e32 v2, 0x80000000, v2
	v_lshl_add_u32 v9, v9, 23, v28
	v_or3_b32 v10, v2, v9, v8
.LBB380_1391:                           ;   in Loop: Header=BB380_610 Depth=1
	s_or_b64 exec, exec, s[28:29]
.LBB380_1392:                           ;   in Loop: Header=BB380_610 Depth=1
	s_or_b64 exec, exec, s[26:27]
.LBB380_1393:                           ;   in Loop: Header=BB380_610 Depth=1
	s_or_b64 exec, exec, s[24:25]
	v_mul_f32_e32 v10, v7, v10
	v_and_b32_e32 v2, 0x7f800000, v10
	v_cmp_ne_u32_e64 s[4:5], s15, v2
                                        ; implicit-def: $vgpr2
	s_and_saveexec_b64 s[24:25], s[4:5]
	s_xor_b64 s[4:5], exec, s[24:25]
; %bb.1394:                             ;   in Loop: Header=BB380_610 Depth=1
	v_bfe_u32 v2, v10, 16, 1
	v_add3_u32 v2, v10, v2, s30
                                        ; implicit-def: $vgpr10
; %bb.1395:                             ;   in Loop: Header=BB380_610 Depth=1
	s_andn2_saveexec_b64 s[24:25], s[4:5]
; %bb.1396:                             ;   in Loop: Header=BB380_610 Depth=1
	v_or_b32_e32 v2, 0x10000, v10
	v_cmp_eq_u32_sdwa s[4:5], v10, v11 src0_sel:WORD_0 src1_sel:DWORD
	v_cndmask_b32_e64 v2, v2, v10, s[4:5]
; %bb.1397:                             ;   in Loop: Header=BB380_610 Depth=1
	s_or_b64 exec, exec, s[24:25]
	v_cmp_lt_u64_e64 s[4:5], s[10:11], v[0:1]
	v_mov_b32_e32 v10, 0
	s_and_saveexec_b64 s[24:25], s[4:5]
	s_cbranch_execz .LBB380_1403
; %bb.1398:                             ;   in Loop: Header=BB380_610 Depth=1
	v_lshrrev_b32_e32 v0, 24, v1
	v_cmp_ne_u32_e64 s[4:5], s31, v0
	v_bfrev_b32_e32 v10, 1
	s_and_saveexec_b64 s[26:27], s[4:5]
	s_cbranch_execz .LBB380_1402
; %bb.1399:                             ;   in Loop: Header=BB380_610 Depth=1
	v_bfe_u32 v1, v1, 24, 7
	v_cmp_ne_u32_e64 s[4:5], s34, v1
	v_mov_b32_e32 v10, 0x7f800001
	s_and_saveexec_b64 s[28:29], s[4:5]
	s_cbranch_execz .LBB380_1401
; %bb.1400:                             ;   in Loop: Header=BB380_610 Depth=1
	v_and_b32_e32 v10, 7, v0
	v_ffbh_u32_e32 v8, v10
	v_min_u32_e32 v28, 32, v8
	v_subrev_u32_e32 v8, 28, v28
	v_lshlrev_b64 v[8:9], v8, v[0:1]
	v_lshrrev_b32_e32 v23, 3, v1
	v_sub_u32_e32 v9, 29, v28
	v_and_b32_e32 v8, 7, v8
	v_cmp_gt_u32_e64 s[4:5], 8, v1
	v_bfrev_b32_e32 v28, 60
	v_cndmask_b32_e64 v1, v23, v9, s[4:5]
	v_cndmask_b32_e64 v8, v10, v8, s[4:5]
	v_lshlrev_b32_e32 v0, 24, v0
	v_lshlrev_b32_e32 v8, 20, v8
	v_and_b32_e32 v0, 0x80000000, v0
	v_lshl_add_u32 v1, v1, 23, v28
	v_or3_b32 v10, v0, v1, v8
.LBB380_1401:                           ;   in Loop: Header=BB380_610 Depth=1
	s_or_b64 exec, exec, s[28:29]
.LBB380_1402:                           ;   in Loop: Header=BB380_610 Depth=1
	s_or_b64 exec, exec, s[26:27]
.LBB380_1403:                           ;   in Loop: Header=BB380_610 Depth=1
	s_or_b64 exec, exec, s[24:25]
	v_mul_f32_e32 v0, v7, v10
	v_and_b32_e32 v1, 0x7f800000, v0
	v_cmp_ne_u32_e64 s[4:5], s15, v1
                                        ; implicit-def: $vgpr10
	s_and_saveexec_b64 s[24:25], s[4:5]
	s_xor_b64 s[4:5], exec, s[24:25]
; %bb.1404:                             ;   in Loop: Header=BB380_610 Depth=1
	v_bfe_u32 v1, v0, 16, 1
	v_add3_u32 v10, v0, v1, s30
                                        ; implicit-def: $vgpr0
; %bb.1405:                             ;   in Loop: Header=BB380_610 Depth=1
	s_andn2_saveexec_b64 s[24:25], s[4:5]
; %bb.1406:                             ;   in Loop: Header=BB380_610 Depth=1
	v_or_b32_e32 v1, 0x10000, v0
	v_cmp_eq_u32_sdwa s[4:5], v0, v11 src0_sel:WORD_0 src1_sel:DWORD
	v_cndmask_b32_e64 v10, v1, v0, s[4:5]
; %bb.1407:                             ;   in Loop: Header=BB380_610 Depth=1
	s_or_b64 exec, exec, s[24:25]
	v_lshrrev_b32_e32 v5, 16, v5
	v_lshrrev_b32_e32 v21, 16, v21
	;; [unrolled: 1-line block ×8, first 2 shown]
	s_and_saveexec_b64 s[4:5], vcc
	s_cbranch_execz .LBB380_1409
; %bb.1408:                             ;   in Loop: Header=BB380_610 Depth=1
	v_accvgpr_read_b32 v2, a3
	v_cmp_lt_i32_e32 vcc, v52, v2
	v_accvgpr_read_b32 v8, a37
	v_cndmask_b32_e32 v0, 0, v0, vcc
	v_cmp_lt_i32_e32 vcc, v8, v2
	v_accvgpr_read_b32 v8, a36
	v_cndmask_b32_e32 v1, 0, v1, vcc
	;; [unrolled: 3-line block ×6, first 2 shown]
	v_cmp_lt_i32_e32 vcc, v8, v2
	v_cndmask_b32_e32 v26, 0, v26, vcc
	v_cmp_lt_i32_e32 vcc, v31, v2
	v_cndmask_b32_e32 v10, 0, v10, vcc
.LBB380_1409:                           ;   in Loop: Header=BB380_610 Depth=1
	s_or_b64 exec, exec, s[4:5]
	v_lshlrev_b32_e32 v0, 16, v0
	v_mul_f32_e32 v2, v47, v0
	v_and_b32_e32 v0, 0x7f800000, v2
	v_cmp_ne_u32_e32 vcc, s15, v0
                                        ; implicit-def: $vgpr0
	s_and_saveexec_b64 s[4:5], vcc
	s_xor_b64 s[4:5], exec, s[4:5]
; %bb.1410:                             ;   in Loop: Header=BB380_610 Depth=1
	v_bfe_u32 v0, v2, 16, 1
	v_add3_u32 v0, v2, v0, s30
                                        ; implicit-def: $vgpr2
; %bb.1411:                             ;   in Loop: Header=BB380_610 Depth=1
	s_andn2_saveexec_b64 s[4:5], s[4:5]
; %bb.1412:                             ;   in Loop: Header=BB380_610 Depth=1
	v_or_b32_e32 v0, 0x10000, v2
	v_cmp_eq_u32_sdwa vcc, v2, v11 src0_sel:WORD_0 src1_sel:DWORD
	v_cndmask_b32_e32 v0, v0, v2, vcc
; %bb.1413:                             ;   in Loop: Header=BB380_610 Depth=1
	s_or_b64 exec, exec, s[4:5]
	v_lshlrev_b32_e32 v1, 16, v1
	v_mul_f32_e32 v2, v56, v1
	v_and_b32_e32 v1, 0x7f800000, v2
	v_cmp_ne_u32_e32 vcc, s15, v1
                                        ; implicit-def: $vgpr1
	s_and_saveexec_b64 s[4:5], vcc
	s_xor_b64 s[4:5], exec, s[4:5]
; %bb.1414:                             ;   in Loop: Header=BB380_610 Depth=1
	v_bfe_u32 v1, v2, 16, 1
	v_add3_u32 v1, v2, v1, s30
                                        ; implicit-def: $vgpr2
; %bb.1415:                             ;   in Loop: Header=BB380_610 Depth=1
	s_andn2_saveexec_b64 s[4:5], s[4:5]
; %bb.1416:                             ;   in Loop: Header=BB380_610 Depth=1
	v_or_b32_e32 v1, 0x10000, v2
	v_cmp_eq_u32_sdwa vcc, v2, v11 src0_sel:WORD_0 src1_sel:DWORD
	v_cndmask_b32_e32 v1, v1, v2, vcc
; %bb.1417:                             ;   in Loop: Header=BB380_610 Depth=1
	s_or_b64 exec, exec, s[4:5]
	v_lshlrev_b32_e32 v2, 16, v40
	v_mul_f32_e32 v52, v57, v2
	v_and_b32_e32 v2, 0x7f800000, v52
	v_cmp_ne_u32_e32 vcc, s15, v2
                                        ; implicit-def: $vgpr2
	s_and_saveexec_b64 s[4:5], vcc
	s_xor_b64 s[4:5], exec, s[4:5]
; %bb.1418:                             ;   in Loop: Header=BB380_610 Depth=1
	v_bfe_u32 v2, v52, 16, 1
	v_add3_u32 v2, v52, v2, s30
                                        ; implicit-def: $vgpr52
; %bb.1419:                             ;   in Loop: Header=BB380_610 Depth=1
	s_andn2_saveexec_b64 s[4:5], s[4:5]
; %bb.1420:                             ;   in Loop: Header=BB380_610 Depth=1
	v_or_b32_e32 v2, 0x10000, v52
	v_cmp_eq_u32_sdwa vcc, v52, v11 src0_sel:WORD_0 src1_sel:DWORD
	v_cndmask_b32_e32 v2, v2, v52, vcc
; %bb.1421:                             ;   in Loop: Header=BB380_610 Depth=1
	s_or_b64 exec, exec, s[4:5]
	v_lshlrev_b32_e32 v7, 16, v7
	v_mul_f32_e32 v52, v58, v7
	v_and_b32_e32 v7, 0x7f800000, v52
	v_cmp_ne_u32_e32 vcc, s15, v7
                                        ; implicit-def: $vgpr7
	s_and_saveexec_b64 s[4:5], vcc
	s_xor_b64 s[4:5], exec, s[4:5]
; %bb.1422:                             ;   in Loop: Header=BB380_610 Depth=1
	v_bfe_u32 v7, v52, 16, 1
	v_add3_u32 v7, v52, v7, s30
                                        ; implicit-def: $vgpr52
; %bb.1423:                             ;   in Loop: Header=BB380_610 Depth=1
	s_andn2_saveexec_b64 s[4:5], s[4:5]
; %bb.1424:                             ;   in Loop: Header=BB380_610 Depth=1
	v_or_b32_e32 v7, 0x10000, v52
	v_cmp_eq_u32_sdwa vcc, v52, v11 src0_sel:WORD_0 src1_sel:DWORD
	v_cndmask_b32_e32 v7, v7, v52, vcc
; %bb.1425:                             ;   in Loop: Header=BB380_610 Depth=1
	s_or_b64 exec, exec, s[4:5]
	v_lshlrev_b32_e32 v8, 16, v21
	v_mul_f32_e32 v52, v60, v8
	v_and_b32_e32 v8, 0x7f800000, v52
	v_cmp_ne_u32_e32 vcc, s15, v8
                                        ; implicit-def: $vgpr21
	s_and_saveexec_b64 s[4:5], vcc
	s_xor_b64 s[4:5], exec, s[4:5]
; %bb.1426:                             ;   in Loop: Header=BB380_610 Depth=1
	v_bfe_u32 v8, v52, 16, 1
	v_add3_u32 v21, v52, v8, s30
                                        ; implicit-def: $vgpr52
; %bb.1427:                             ;   in Loop: Header=BB380_610 Depth=1
	s_andn2_saveexec_b64 s[4:5], s[4:5]
; %bb.1428:                             ;   in Loop: Header=BB380_610 Depth=1
	v_or_b32_e32 v8, 0x10000, v52
	v_cmp_eq_u32_sdwa vcc, v52, v11 src0_sel:WORD_0 src1_sel:DWORD
	v_cndmask_b32_e32 v21, v8, v52, vcc
; %bb.1429:                             ;   in Loop: Header=BB380_610 Depth=1
	s_or_b64 exec, exec, s[4:5]
	v_lshlrev_b32_e32 v5, 16, v5
	v_mul_f32_e32 v5, v34, v5
	v_and_b32_e32 v8, 0x7f800000, v5
	v_cmp_ne_u32_e32 vcc, s15, v8
                                        ; implicit-def: $vgpr34
	s_and_saveexec_b64 s[4:5], vcc
	s_xor_b64 s[4:5], exec, s[4:5]
; %bb.1430:                             ;   in Loop: Header=BB380_610 Depth=1
	v_bfe_u32 v8, v5, 16, 1
	v_add3_u32 v34, v5, v8, s30
                                        ; implicit-def: $vgpr5
; %bb.1431:                             ;   in Loop: Header=BB380_610 Depth=1
	s_andn2_saveexec_b64 s[4:5], s[4:5]
; %bb.1432:                             ;   in Loop: Header=BB380_610 Depth=1
	v_or_b32_e32 v8, 0x10000, v5
	v_cmp_eq_u32_sdwa vcc, v5, v11 src0_sel:WORD_0 src1_sel:DWORD
	v_cndmask_b32_e32 v34, v8, v5, vcc
; %bb.1433:                             ;   in Loop: Header=BB380_610 Depth=1
	s_or_b64 exec, exec, s[4:5]
	v_lshlrev_b32_e32 v5, 16, v26
	v_mul_f32_e32 v25, v25, v5
	v_and_b32_e32 v5, 0x7f800000, v25
	v_cmp_ne_u32_e32 vcc, s15, v5
                                        ; implicit-def: $vgpr5
	s_and_saveexec_b64 s[4:5], vcc
	s_xor_b64 s[4:5], exec, s[4:5]
; %bb.1434:                             ;   in Loop: Header=BB380_610 Depth=1
	v_bfe_u32 v5, v25, 16, 1
	v_add3_u32 v5, v25, v5, s30
                                        ; implicit-def: $vgpr25
; %bb.1435:                             ;   in Loop: Header=BB380_610 Depth=1
	s_andn2_saveexec_b64 s[4:5], s[4:5]
; %bb.1436:                             ;   in Loop: Header=BB380_610 Depth=1
	v_or_b32_e32 v5, 0x10000, v25
	v_cmp_eq_u32_sdwa vcc, v25, v11 src0_sel:WORD_0 src1_sel:DWORD
	v_cndmask_b32_e32 v5, v5, v25, vcc
; %bb.1437:                             ;   in Loop: Header=BB380_610 Depth=1
	s_or_b64 exec, exec, s[4:5]
	v_lshlrev_b32_e32 v8, 16, v10
	v_mul_f32_e32 v25, v45, v8
	v_and_b32_e32 v8, 0x7f800000, v25
	v_cmp_ne_u32_e32 vcc, s15, v8
                                        ; implicit-def: $vgpr10
	s_and_saveexec_b64 s[4:5], vcc
	s_xor_b64 s[4:5], exec, s[4:5]
; %bb.1438:                             ;   in Loop: Header=BB380_610 Depth=1
	v_bfe_u32 v8, v25, 16, 1
	v_add3_u32 v10, v25, v8, s30
                                        ; implicit-def: $vgpr25
; %bb.1439:                             ;   in Loop: Header=BB380_610 Depth=1
	s_andn2_saveexec_b64 s[4:5], s[4:5]
	s_cbranch_execz .LBB380_608
; %bb.1440:                             ;   in Loop: Header=BB380_610 Depth=1
	v_or_b32_e32 v8, 0x10000, v25
	v_cmp_eq_u32_sdwa vcc, v25, v11 src0_sel:WORD_0 src1_sel:DWORD
	v_cndmask_b32_e32 v10, v8, v25, vcc
	s_branch .LBB380_608
.LBB380_1441:
	s_or_b64 exec, exec, s[12:13]
	v_accvgpr_read_b32 v20, a16
	v_accvgpr_read_b32 v21, a17
	;; [unrolled: 1-line block ×3, first 2 shown]
.LBB380_1442:
	s_or_b64 exec, exec, s[8:9]
	ds_bpermute_b32 v2, v20, v16
	ds_bpermute_b32 v3, v20, v17
	s_waitcnt lgkmcnt(0)
	s_barrier
	ds_bpermute_b32 v0, v20, v18
	v_pk_add_f32 v[2:3], v[16:17], v[2:3]
	ds_bpermute_b32 v10, v21, v2
	ds_bpermute_b32 v11, v21, v3
	;; [unrolled: 1-line block ×6, first 2 shown]
	s_waitcnt lgkmcnt(0)
	v_pk_add_f32 v[2:3], v[2:3], v[10:11]
	buffer_load_dword v11, off, s[0:3], s32 offset:260 ; 4-byte Folded Reload
	v_pk_add_f32 v[0:1], v[18:19], v[0:1]
	ds_bpermute_b32 v4, v21, v0
	ds_bpermute_b32 v5, v21, v1
	v_pk_add_f32 v[6:7], v[12:13], v[6:7]
	v_add_f32_e32 v14, v9, v8
	ds_bpermute_b32 v12, v21, v6
	ds_bpermute_b32 v13, v21, v7
	;; [unrolled: 1-line block ×3, first 2 shown]
	s_waitcnt lgkmcnt(0)
	v_pk_add_f32 v[8:9], v[0:1], v[4:5]
	v_pk_add_f32 v[0:1], v[6:7], v[12:13]
	v_add_f32_e32 v6, v14, v15
	s_waitcnt vmcnt(0)
	v_and_b32_e32 v4, 0x3c3, v11
	v_cmp_eq_u32_e32 vcc, 64, v4
	s_and_saveexec_b64 s[4:5], vcc
	s_cbranch_execz .LBB380_1444
; %bb.1443:
	s_load_dword s8, s[6:7], 0x0
	s_waitcnt lgkmcnt(0)
	v_add_u32_e32 v4, s8, v59
	ds_write2_b32 v4, v8, v9 offset1:16
	ds_write2_b32 v4, v2, v3 offset0:32 offset1:48
	ds_write2_b32 v4, v0, v1 offset0:64 offset1:80
	ds_write_b32 v4, v6 offset:384
.LBB380_1444:
	s_or_b64 exec, exec, s[4:5]
	v_cmp_gt_u32_e32 vcc, 64, v11
	s_waitcnt lgkmcnt(0)
	s_barrier
	s_mov_b64 s[8:9], exec
	buffer_load_dword v10, off, s[0:3], s32 offset:268 ; 4-byte Folded Reload
	s_and_b64 s[4:5], s[8:9], vcc
	s_mov_b64 exec, s[4:5]
	s_cbranch_execz .LBB380_1454
; %bb.1445:
	v_cmp_eq_u32_e64 s[4:5], 0, v22
	v_lshrrev_b32_e32 v4, 2, v11
	s_and_saveexec_b64 s[10:11], s[4:5]
	s_cbranch_execnz .LBB380_1486
; %bb.1446:
	s_or_b64 exec, exec, s[10:11]
	s_and_saveexec_b64 s[10:11], s[4:5]
	s_cbranch_execnz .LBB380_1487
.LBB380_1447:
	s_or_b64 exec, exec, s[10:11]
	s_and_saveexec_b64 s[10:11], s[4:5]
	s_cbranch_execnz .LBB380_1488
.LBB380_1448:
	s_or_b64 exec, exec, s[10:11]
	s_and_saveexec_b64 s[10:11], s[4:5]
	s_cbranch_execnz .LBB380_1489
.LBB380_1449:
	s_or_b64 exec, exec, s[10:11]
	s_and_saveexec_b64 s[10:11], s[4:5]
	s_cbranch_execnz .LBB380_1490
.LBB380_1450:
	s_or_b64 exec, exec, s[10:11]
	s_and_saveexec_b64 s[10:11], s[4:5]
	s_cbranch_execnz .LBB380_1491
.LBB380_1451:
	s_or_b64 exec, exec, s[10:11]
	s_and_saveexec_b64 s[10:11], s[4:5]
	s_cbranch_execz .LBB380_1453
.LBB380_1452:
	s_load_dword s4, s[6:7], 0x0
	s_waitcnt lgkmcnt(0)
	v_lshl_add_u32 v4, v4, 2, s4
	ds_read_b32 v4, v4 offset:384
	s_waitcnt lgkmcnt(0)
	v_add_f32_e32 v6, v6, v4
.LBB380_1453:
	s_or_b64 exec, exec, s[10:11]
.LBB380_1454:
	s_or_b64 exec, exec, s[8:9]
	s_barrier
	s_and_b64 exec, exec, vcc
	s_cbranch_execz .LBB380_1485
; %bb.1455:
	v_cmp_eq_u32_e32 vcc, 0, v22
	s_and_b64 exec, exec, vcc
	s_cbranch_execz .LBB380_1485
; %bb.1456:
	s_mov_b32 s4, 0x7f800000
	v_and_b32_e32 v4, 0x7f800000, v8
	v_cmp_ne_u32_e32 vcc, s4, v4
                                        ; implicit-def: $vgpr4
	s_and_saveexec_b64 s[4:5], vcc
	s_xor_b64 s[4:5], exec, s[4:5]
; %bb.1457:
	v_bfe_u32 v4, v8, 16, 1
	s_movk_i32 s6, 0x7fff
	v_add3_u32 v4, v8, v4, s6
; %bb.1458:
	s_andn2_saveexec_b64 s[4:5], s[4:5]
; %bb.1459:
	v_mov_b32_e32 v4, 0
	v_or_b32_e32 v5, 0x10000, v8
	v_cmp_eq_u32_sdwa vcc, v8, v4 src0_sel:WORD_0 src1_sel:DWORD
	v_cndmask_b32_e32 v4, v5, v8, vcc
; %bb.1460:
	s_or_b64 exec, exec, s[4:5]
	buffer_load_dword v7, off, s[0:3], s32 offset:264 ; 4-byte Folded Reload
	s_mul_i32 s4, s21, s18
	s_mul_i32 s4, s4, s19
	s_mulk_i32 s4, 0x70
	s_mul_i32 s6, s20, s21
	s_mul_i32 s8, s14, 0x70
	s_ashr_i32 s5, s4, 31
	s_ashr_i32 s7, s6, 31
	;; [unrolled: 1-line block ×3, first 2 shown]
	s_lshl_b64 s[4:5], s[4:5], 1
	s_lshl_b64 s[6:7], s[6:7], 1
	;; [unrolled: 1-line block ×3, first 2 shown]
	s_add_u32 s6, s8, s6
	s_addc_u32 s7, s9, s7
	s_add_u32 s4, s6, s4
	s_addc_u32 s5, s7, s5
	v_mov_b32_e32 v5, s5
	v_lshrrev_b32_e32 v8, 1, v11
	v_and_b32_e32 v8, 0x1fe, v8
	s_waitcnt vmcnt(0)
	v_add_co_u32_e32 v7, vcc, s4, v7
	v_addc_co_u32_e32 v5, vcc, v5, v10, vcc
	v_add_co_u32_e32 v10, vcc, v7, v8
	v_addc_co_u32_e32 v11, vcc, 0, v5, vcc
	flat_store_short_d16_hi v[10:11], v4
	s_mov_b32 s4, 0x7f800000
	v_and_b32_e32 v4, 0x7f800000, v9
	v_cmp_ne_u32_e32 vcc, s4, v4
                                        ; implicit-def: $vgpr4
	s_and_saveexec_b64 s[4:5], vcc
	s_xor_b64 s[4:5], exec, s[4:5]
; %bb.1461:
	v_bfe_u32 v4, v9, 16, 1
	s_movk_i32 s6, 0x7fff
	v_add3_u32 v4, v9, v4, s6
; %bb.1462:
	s_andn2_saveexec_b64 s[4:5], s[4:5]
; %bb.1463:
	v_mov_b32_e32 v4, 0
	v_or_b32_e32 v5, 0x10000, v9
	v_cmp_eq_u32_sdwa vcc, v9, v4 src0_sel:WORD_0 src1_sel:DWORD
	v_cndmask_b32_e32 v4, v5, v9, vcc
; %bb.1464:
	s_or_b64 exec, exec, s[4:5]
	flat_store_short_d16_hi v[10:11], v4 offset:32
	s_mov_b32 s4, 0x7f800000
	v_and_b32_e32 v4, 0x7f800000, v2
	v_cmp_ne_u32_e32 vcc, s4, v4
                                        ; implicit-def: $vgpr4
	s_and_saveexec_b64 s[4:5], vcc
	s_xor_b64 s[4:5], exec, s[4:5]
; %bb.1465:
	v_bfe_u32 v4, v2, 16, 1
	s_movk_i32 s6, 0x7fff
	v_add3_u32 v4, v2, v4, s6
; %bb.1466:
	s_andn2_saveexec_b64 s[4:5], s[4:5]
; %bb.1467:
	v_mov_b32_e32 v4, 0
	v_or_b32_e32 v5, 0x10000, v2
	v_cmp_eq_u32_sdwa vcc, v2, v4 src0_sel:WORD_0 src1_sel:DWORD
	v_cndmask_b32_e32 v4, v5, v2, vcc
; %bb.1468:
	s_or_b64 exec, exec, s[4:5]
	s_mov_b32 s4, 0x7f800000
	v_and_b32_e32 v2, 0x7f800000, v3
	v_cmp_ne_u32_e32 vcc, s4, v2
	flat_store_short_d16_hi v[10:11], v4 offset:64
                                        ; implicit-def: $vgpr2
	s_and_saveexec_b64 s[4:5], vcc
	s_xor_b64 s[4:5], exec, s[4:5]
; %bb.1469:
	v_bfe_u32 v2, v3, 16, 1
	s_movk_i32 s6, 0x7fff
	v_add3_u32 v2, v3, v2, s6
; %bb.1470:
	s_andn2_saveexec_b64 s[4:5], s[4:5]
; %bb.1471:
	v_mov_b32_e32 v2, 0
	v_or_b32_e32 v4, 0x10000, v3
	v_cmp_eq_u32_sdwa vcc, v3, v2 src0_sel:WORD_0 src1_sel:DWORD
	v_cndmask_b32_e32 v2, v4, v3, vcc
; %bb.1472:
	s_or_b64 exec, exec, s[4:5]
	flat_store_short_d16_hi v[10:11], v2 offset:96
	s_mov_b32 s4, 0x7f800000
	v_and_b32_e32 v2, 0x7f800000, v0
	v_cmp_ne_u32_e32 vcc, s4, v2
                                        ; implicit-def: $vgpr2
	s_and_saveexec_b64 s[4:5], vcc
	s_xor_b64 s[4:5], exec, s[4:5]
; %bb.1473:
	v_bfe_u32 v2, v0, 16, 1
	s_movk_i32 s6, 0x7fff
	v_add3_u32 v2, v0, v2, s6
; %bb.1474:
	s_andn2_saveexec_b64 s[4:5], s[4:5]
; %bb.1475:
	v_mov_b32_e32 v2, 0
	v_or_b32_e32 v3, 0x10000, v0
	v_cmp_eq_u32_sdwa vcc, v0, v2 src0_sel:WORD_0 src1_sel:DWORD
	v_cndmask_b32_e32 v2, v3, v0, vcc
; %bb.1476:
	s_or_b64 exec, exec, s[4:5]
	s_mov_b32 s4, 0x7f800000
	v_and_b32_e32 v0, 0x7f800000, v1
	v_cmp_ne_u32_e32 vcc, s4, v0
	flat_store_short_d16_hi v[10:11], v2 offset:128
                                        ; implicit-def: $vgpr0
	s_and_saveexec_b64 s[4:5], vcc
	s_xor_b64 s[4:5], exec, s[4:5]
; %bb.1477:
	v_bfe_u32 v0, v1, 16, 1
	s_movk_i32 s6, 0x7fff
	v_add3_u32 v0, v1, v0, s6
; %bb.1478:
	s_andn2_saveexec_b64 s[4:5], s[4:5]
; %bb.1479:
	v_mov_b32_e32 v0, 0
	v_or_b32_e32 v2, 0x10000, v1
	v_cmp_eq_u32_sdwa vcc, v1, v0 src0_sel:WORD_0 src1_sel:DWORD
	v_cndmask_b32_e32 v0, v2, v1, vcc
; %bb.1480:
	s_or_b64 exec, exec, s[4:5]
	flat_store_short_d16_hi v[10:11], v0 offset:160
	s_mov_b32 s4, 0x7f800000
	v_and_b32_e32 v0, 0x7f800000, v6
	v_cmp_ne_u32_e32 vcc, s4, v0
                                        ; implicit-def: $vgpr7
	s_and_saveexec_b64 s[4:5], vcc
	s_xor_b64 s[4:5], exec, s[4:5]
; %bb.1481:
	v_bfe_u32 v0, v6, 16, 1
	s_movk_i32 s6, 0x7fff
	v_add3_u32 v7, v6, v0, s6
                                        ; implicit-def: $vgpr0_vgpr1_vgpr2_vgpr3_vgpr4_vgpr5_vgpr6
; %bb.1482:
	s_andn2_saveexec_b64 s[4:5], s[4:5]
; %bb.1483:
	v_mov_b32_e32 v0, 0
	v_or_b32_e32 v1, 0x10000, v6
	v_cmp_eq_u32_sdwa vcc, v6, v0 src0_sel:WORD_0 src1_sel:DWORD
	v_cndmask_b32_e32 v7, v1, v6, vcc
; %bb.1484:
	s_or_b64 exec, exec, s[4:5]
	flat_store_short_d16_hi v[10:11], v7 offset:192
.LBB380_1485:
	s_or_b64 exec, exec, s[16:17]
	buffer_load_dword a63, off, s[0:3], s32 offset:8 ; 4-byte Folded Reload
	buffer_load_dword a62, off, s[0:3], s32 offset:12 ; 4-byte Folded Reload
	;; [unrolled: 1-line block ×47, first 2 shown]
	v_readlane_b32 s30, v63, 10
	v_readlane_b32 s31, v63, 11
	;; [unrolled: 1-line block ×12, first 2 shown]
	s_or_saveexec_b64 s[4:5], -1
	buffer_load_dword v63, off, s[0:3], s32 offset:344 ; 4-byte Folded Reload
	s_mov_b64 exec, s[4:5]
	s_waitcnt vmcnt(0) lgkmcnt(0)
	s_setpc_b64 s[30:31]
.LBB380_1486:
	s_load_dword s12, s[6:7], 0x0
	s_waitcnt lgkmcnt(0)
	v_lshl_add_u32 v5, v4, 2, s12
	ds_read_b32 v5, v5
	s_waitcnt lgkmcnt(0)
	v_add_f32_e32 v8, v8, v5
	s_or_b64 exec, exec, s[10:11]
	s_and_saveexec_b64 s[10:11], s[4:5]
	s_cbranch_execz .LBB380_1447
.LBB380_1487:
	s_load_dword s12, s[6:7], 0x0
	s_waitcnt lgkmcnt(0)
	v_lshl_add_u32 v5, v4, 2, s12
	ds_read_b32 v5, v5 offset:64
	s_waitcnt lgkmcnt(0)
	v_add_f32_e32 v9, v9, v5
	s_or_b64 exec, exec, s[10:11]
	s_and_saveexec_b64 s[10:11], s[4:5]
	s_cbranch_execz .LBB380_1448
.LBB380_1488:
	s_load_dword s12, s[6:7], 0x0
	s_waitcnt lgkmcnt(0)
	v_lshl_add_u32 v5, v4, 2, s12
	ds_read_b32 v5, v5 offset:128
	s_waitcnt lgkmcnt(0)
	v_add_f32_e32 v2, v2, v5
	s_or_b64 exec, exec, s[10:11]
	s_and_saveexec_b64 s[10:11], s[4:5]
	s_cbranch_execz .LBB380_1449
.LBB380_1489:
	s_load_dword s12, s[6:7], 0x0
	s_waitcnt lgkmcnt(0)
	v_lshl_add_u32 v5, v4, 2, s12
	ds_read_b32 v5, v5 offset:192
	s_waitcnt lgkmcnt(0)
	v_add_f32_e32 v3, v3, v5
	s_or_b64 exec, exec, s[10:11]
	s_and_saveexec_b64 s[10:11], s[4:5]
	s_cbranch_execz .LBB380_1450
.LBB380_1490:
	s_load_dword s12, s[6:7], 0x0
	s_waitcnt lgkmcnt(0)
	v_lshl_add_u32 v5, v4, 2, s12
	ds_read_b32 v5, v5 offset:256
	s_waitcnt lgkmcnt(0)
	v_add_f32_e32 v0, v0, v5
	s_or_b64 exec, exec, s[10:11]
	s_and_saveexec_b64 s[10:11], s[4:5]
	s_cbranch_execz .LBB380_1451
.LBB380_1491:
	s_load_dword s12, s[6:7], 0x0
	s_waitcnt lgkmcnt(0)
	v_lshl_add_u32 v5, v4, 2, s12
	ds_read_b32 v5, v5 offset:320
	s_waitcnt lgkmcnt(0)
	v_add_f32_e32 v1, v1, v5
	s_or_b64 exec, exec, s[10:11]
	s_and_saveexec_b64 s[10:11], s[4:5]
	s_cbranch_execnz .LBB380_1452
	s_branch .LBB380_1453
.Lfunc_end380:
	.size	_ZN4vllm22paged_attention_kernelI14__hip_bfloat16hLi112ELi32ELi128ELNS_18Fp8KVCacheDataTypeE1ELb1ELi512EEEvPfS3_PT_PKS4_PKT0_SA_ifPKiSC_iPKfiiiSE_SE_iiiii, .Lfunc_end380-_ZN4vllm22paged_attention_kernelI14__hip_bfloat16hLi112ELi32ELi128ELNS_18Fp8KVCacheDataTypeE1ELb1ELi512EEEvPfS3_PT_PKS4_PKT0_SA_ifPKiSC_iPKfiiiSE_SE_iiiii
                                        ; -- End function
	.section	.AMDGPU.csdata,"",@progbits
; Function info:
; codeLenInByte = 46832
; NumSgprs: 48
; NumVgprs: 64
; NumAgprs: 64
; TotalNumVgprs: 128
; ScratchSize: 352
; MemoryBound: 0
	.section	.text._ZN4vllm25paged_attention_v2_kernelI14__hip_bfloat16hLi112ELi32ELi128ELNS_18Fp8KVCacheDataTypeE1ELb1ELi512EEEvPfS3_PT_PKS4_PKT0_SA_ifPKiSC_iPKfiiiSE_SE_iiiii,"axG",@progbits,_ZN4vllm25paged_attention_v2_kernelI14__hip_bfloat16hLi112ELi32ELi128ELNS_18Fp8KVCacheDataTypeE1ELb1ELi512EEEvPfS3_PT_PKS4_PKT0_SA_ifPKiSC_iPKfiiiSE_SE_iiiii,comdat
	.protected	_ZN4vllm25paged_attention_v2_kernelI14__hip_bfloat16hLi112ELi32ELi128ELNS_18Fp8KVCacheDataTypeE1ELb1ELi512EEEvPfS3_PT_PKS4_PKT0_SA_ifPKiSC_iPKfiiiSE_SE_iiiii ; -- Begin function _ZN4vllm25paged_attention_v2_kernelI14__hip_bfloat16hLi112ELi32ELi128ELNS_18Fp8KVCacheDataTypeE1ELb1ELi512EEEvPfS3_PT_PKS4_PKT0_SA_ifPKiSC_iPKfiiiSE_SE_iiiii
	.globl	_ZN4vllm25paged_attention_v2_kernelI14__hip_bfloat16hLi112ELi32ELi128ELNS_18Fp8KVCacheDataTypeE1ELb1ELi512EEEvPfS3_PT_PKS4_PKT0_SA_ifPKiSC_iPKfiiiSE_SE_iiiii
	.p2align	8
	.type	_ZN4vllm25paged_attention_v2_kernelI14__hip_bfloat16hLi112ELi32ELi128ELNS_18Fp8KVCacheDataTypeE1ELb1ELi512EEEvPfS3_PT_PKS4_PKT0_SA_ifPKiSC_iPKfiiiSE_SE_iiiii,@function
_ZN4vllm25paged_attention_v2_kernelI14__hip_bfloat16hLi112ELi32ELi128ELNS_18Fp8KVCacheDataTypeE1ELb1ELi512EEEvPfS3_PT_PKS4_PKT0_SA_ifPKiSC_iPKfiiiSE_SE_iiiii: ; @_ZN4vllm25paged_attention_v2_kernelI14__hip_bfloat16hLi112ELi32ELi128ELNS_18Fp8KVCacheDataTypeE1ELb1ELi512EEEvPfS3_PT_PKS4_PKT0_SA_ifPKiSC_iPKfiiiSE_SE_iiiii
; %bb.0:
	s_add_u32 flat_scratch_lo, s6, s11
	s_addc_u32 flat_scratch_hi, s7, 0
	s_add_u32 s0, s0, s11
	s_mov_b32 s12, s8
	s_load_dwordx8 s[24:31], s[4:5], 0x0
	s_load_dwordx8 s[16:23], s[4:5], 0x20
	s_load_dwordx2 s[6:7], s[4:5], 0x40
	s_load_dwordx4 s[44:47], s[4:5], 0x78
	s_load_dwordx2 s[34:35], s[4:5], 0x50
	s_load_dword s11, s[4:5], 0x48
	s_load_dword s8, s[4:5], 0x88
	s_load_dwordx8 s[36:43], s[4:5], 0x58
	s_mov_b32 s32, 0
	s_addc_u32 s1, s1, 0
	s_waitcnt lgkmcnt(0)
	v_mov_b32_e32 v1, s47
	buffer_store_dword v1, off, s[0:3], s32
	v_mov_b32_e32 v1, s8
	s_add_u32 s8, s4, 0x90
	s_mov_b32 s13, s9
	buffer_store_dword v1, off, s[0:3], s32 offset:4
	s_addc_u32 s9, s5, 0
	s_mov_b32 s14, s10
	s_mov_b32 s15, 3
	v_mov_b32_e32 v31, v0
	v_mov_b32_e32 v0, s24
	;; [unrolled: 1-line block ×32, first 2 shown]
	s_getpc_b64 s[4:5]
	s_add_u32 s4, s4, _ZN4vllm22paged_attention_kernelI14__hip_bfloat16hLi112ELi32ELi128ELNS_18Fp8KVCacheDataTypeE1ELb1ELi512EEEvPfS3_PT_PKS4_PKT0_SA_ifPKiSC_iPKfiiiSE_SE_iiiii@rel32@lo+4
	s_addc_u32 s5, s5, _ZN4vllm22paged_attention_kernelI14__hip_bfloat16hLi112ELi32ELi128ELNS_18Fp8KVCacheDataTypeE1ELb1ELi512EEEvPfS3_PT_PKS4_PKT0_SA_ifPKiSC_iPKfiiiSE_SE_iiiii@rel32@hi+12
	s_swappc_b64 s[30:31], s[4:5]
	s_endpgm
	.section	.rodata,"a",@progbits
	.p2align	6, 0x0
	.amdhsa_kernel _ZN4vllm25paged_attention_v2_kernelI14__hip_bfloat16hLi112ELi32ELi128ELNS_18Fp8KVCacheDataTypeE1ELb1ELi512EEEvPfS3_PT_PKS4_PKT0_SA_ifPKiSC_iPKfiiiSE_SE_iiiii
		.amdhsa_group_segment_fixed_size 240
		.amdhsa_private_segment_fixed_size 352
		.amdhsa_kernarg_size 400
		.amdhsa_user_sgpr_count 8
		.amdhsa_user_sgpr_private_segment_buffer 1
		.amdhsa_user_sgpr_dispatch_ptr 0
		.amdhsa_user_sgpr_queue_ptr 0
		.amdhsa_user_sgpr_kernarg_segment_ptr 1
		.amdhsa_user_sgpr_dispatch_id 0
		.amdhsa_user_sgpr_flat_scratch_init 1
		.amdhsa_user_sgpr_kernarg_preload_length 0
		.amdhsa_user_sgpr_kernarg_preload_offset 0
		.amdhsa_user_sgpr_private_segment_size 0
		.amdhsa_uses_dynamic_stack 0
		.amdhsa_system_sgpr_private_segment_wavefront_offset 1
		.amdhsa_system_sgpr_workgroup_id_x 1
		.amdhsa_system_sgpr_workgroup_id_y 1
		.amdhsa_system_sgpr_workgroup_id_z 1
		.amdhsa_system_sgpr_workgroup_info 0
		.amdhsa_system_vgpr_workitem_id 0
		.amdhsa_next_free_vgpr 128
		.amdhsa_next_free_sgpr 48
		.amdhsa_accum_offset 64
		.amdhsa_reserve_vcc 1
		.amdhsa_reserve_flat_scratch 1
		.amdhsa_float_round_mode_32 0
		.amdhsa_float_round_mode_16_64 0
		.amdhsa_float_denorm_mode_32 3
		.amdhsa_float_denorm_mode_16_64 3
		.amdhsa_dx10_clamp 1
		.amdhsa_ieee_mode 1
		.amdhsa_fp16_overflow 0
		.amdhsa_tg_split 0
		.amdhsa_exception_fp_ieee_invalid_op 0
		.amdhsa_exception_fp_denorm_src 0
		.amdhsa_exception_fp_ieee_div_zero 0
		.amdhsa_exception_fp_ieee_overflow 0
		.amdhsa_exception_fp_ieee_underflow 0
		.amdhsa_exception_fp_ieee_inexact 0
		.amdhsa_exception_int_div_zero 0
	.end_amdhsa_kernel
	.section	.text._ZN4vllm25paged_attention_v2_kernelI14__hip_bfloat16hLi112ELi32ELi128ELNS_18Fp8KVCacheDataTypeE1ELb1ELi512EEEvPfS3_PT_PKS4_PKT0_SA_ifPKiSC_iPKfiiiSE_SE_iiiii,"axG",@progbits,_ZN4vllm25paged_attention_v2_kernelI14__hip_bfloat16hLi112ELi32ELi128ELNS_18Fp8KVCacheDataTypeE1ELb1ELi512EEEvPfS3_PT_PKS4_PKT0_SA_ifPKiSC_iPKfiiiSE_SE_iiiii,comdat
.Lfunc_end381:
	.size	_ZN4vllm25paged_attention_v2_kernelI14__hip_bfloat16hLi112ELi32ELi128ELNS_18Fp8KVCacheDataTypeE1ELb1ELi512EEEvPfS3_PT_PKS4_PKT0_SA_ifPKiSC_iPKfiiiSE_SE_iiiii, .Lfunc_end381-_ZN4vllm25paged_attention_v2_kernelI14__hip_bfloat16hLi112ELi32ELi128ELNS_18Fp8KVCacheDataTypeE1ELb1ELi512EEEvPfS3_PT_PKS4_PKT0_SA_ifPKiSC_iPKfiiiSE_SE_iiiii
                                        ; -- End function
	.section	.AMDGPU.csdata,"",@progbits
; Kernel info:
; codeLenInByte = 296
; NumSgprs: 54
; NumVgprs: 64
; NumAgprs: 64
; TotalNumVgprs: 128
; ScratchSize: 352
; MemoryBound: 0
; FloatMode: 240
; IeeeMode: 1
; LDSByteSize: 240 bytes/workgroup (compile time only)
; SGPRBlocks: 6
; VGPRBlocks: 15
; NumSGPRsForWavesPerEU: 54
; NumVGPRsForWavesPerEU: 128
; AccumOffset: 64
; Occupancy: 4
; WaveLimiterHint : 1
; COMPUTE_PGM_RSRC2:SCRATCH_EN: 1
; COMPUTE_PGM_RSRC2:USER_SGPR: 8
; COMPUTE_PGM_RSRC2:TRAP_HANDLER: 0
; COMPUTE_PGM_RSRC2:TGID_X_EN: 1
; COMPUTE_PGM_RSRC2:TGID_Y_EN: 1
; COMPUTE_PGM_RSRC2:TGID_Z_EN: 1
; COMPUTE_PGM_RSRC2:TIDIG_COMP_CNT: 0
; COMPUTE_PGM_RSRC3_GFX90A:ACCUM_OFFSET: 15
; COMPUTE_PGM_RSRC3_GFX90A:TG_SPLIT: 0
	.text
	.p2align	2                               ; -- Begin function _ZN4vllm22paged_attention_kernelI14__hip_bfloat16hLi120ELi32ELi128ELNS_18Fp8KVCacheDataTypeE1ELb1ELi512EEEvPfS3_PT_PKS4_PKT0_SA_ifPKiSC_iPKfiiiSE_SE_iiiii
	.type	_ZN4vllm22paged_attention_kernelI14__hip_bfloat16hLi120ELi32ELi128ELNS_18Fp8KVCacheDataTypeE1ELb1ELi512EEEvPfS3_PT_PKS4_PKT0_SA_ifPKiSC_iPKfiiiSE_SE_iiiii,@function
_ZN4vllm22paged_attention_kernelI14__hip_bfloat16hLi120ELi32ELi128ELNS_18Fp8KVCacheDataTypeE1ELb1ELi512EEEvPfS3_PT_PKS4_PKT0_SA_ifPKiSC_iPKfiiiSE_SE_iiiii: ; @_ZN4vllm22paged_attention_kernelI14__hip_bfloat16hLi120ELi32ELi128ELNS_18Fp8KVCacheDataTypeE1ELb1ELi512EEEvPfS3_PT_PKS4_PKT0_SA_ifPKiSC_iPKfiiiSE_SE_iiiii
; %bb.0:
	s_waitcnt vmcnt(0) expcnt(0) lgkmcnt(0)
	s_or_saveexec_b64 s[4:5], -1
	buffer_store_dword v63, off, s[0:3], s32 offset:364 ; 4-byte Folded Spill
	s_mov_b64 exec, s[4:5]
	v_accvgpr_write_b32 a5, v40             ;  Reload Reuse
	buffer_store_dword v41, off, s[0:3], s32 offset:188 ; 4-byte Folded Spill
	buffer_store_dword v42, off, s[0:3], s32 offset:184 ; 4-byte Folded Spill
	;; [unrolled: 1-line block ×46, first 2 shown]
	v_writelane_b32 v63, s34, 0
	v_writelane_b32 v63, s35, 1
	;; [unrolled: 1-line block ×12, first 2 shown]
	s_mov_b32 s22, s13
	s_ashr_i32 s23, s13, 31
	buffer_store_dword v26, off, s[0:3], s32 offset:212 ; 4-byte Folded Spill
	s_nop 0
	buffer_store_dword v27, off, s[0:3], s32 offset:216 ; 4-byte Folded Spill
	buffer_store_dword v24, off, s[0:3], s32 offset:236 ; 4-byte Folded Spill
	s_nop 0
	buffer_store_dword v25, off, s[0:3], s32 offset:240 ; 4-byte Folded Spill
	;; [unrolled: 3-line block ×3, first 2 shown]
	s_lshl_b64 s[4:5], s[22:23], 2
	v_mov_b32_e32 v24, v1
	v_mov_b32_e32 v25, v0
	;; [unrolled: 1-line block ×3, first 2 shown]
	v_add_co_u32_e32 v0, vcc, s4, v16
	v_addc_co_u32_e32 v1, vcc, v17, v1, vcc
	buffer_store_dword v13, off, s[0:3], s32 offset:272 ; 4-byte Folded Spill
	buffer_store_dword v4, off, s[0:3], s32 offset:284 ; 4-byte Folded Spill
	v_mov_b32_e32 v34, v2
	flat_load_dword v2, v[0:1]
	s_nop 0
	buffer_load_dword v0, off, s[0:3], s32 offset:4
	buffer_load_dword v1, off, s[0:3], s32
	s_lshl_b32 s23, s14, 9
	v_mov_b32_e32 v33, v20
	v_mov_b32_e32 v32, v19
	;; [unrolled: 1-line block ×5, first 2 shown]
	s_waitcnt vmcnt(0) lgkmcnt(0)
	v_accvgpr_write_b32 a3, v2
	v_cmp_lt_i32_e32 vcc, s23, v2
	s_and_saveexec_b64 s[16:17], vcc
	s_cbranch_execz .LBB382_1652
; %bb.1:
	v_sub_u32_e32 v2, 0, v12
	v_max_i32_e32 v2, v12, v2
	v_cvt_f32_u32_e32 v3, v2
	buffer_store_dword v5, off, s[0:3], s32 offset:288 ; 4-byte Folded Spill
	s_load_dword s4, s[8:9], 0x10
	s_load_dword s6, s[8:9], 0x0
	v_sub_u32_e32 v5, 0, v2
	v_rcp_iflag_f32_e32 v3, v3
	s_mov_b32 s20, s15
	s_waitcnt lgkmcnt(0)
	s_lshr_b32 s4, s4, 16
	s_cmp_lg_u32 s4, 0
	v_mul_f32_e32 v3, 0x4f7ffffe, v3
	v_cvt_u32_f32_e32 v3, v3
	s_cselect_b64 s[4:5], -1, 0
	s_cmp_lg_u64 s[4:5], 0
	s_addc_u32 s15, s6, 0
	v_mul_lo_u32 v5, v5, v3
	v_mul_hi_u32 v5, v3, v5
	s_abs_i32 s4, s15
	v_add_u32_e32 v3, v3, v5
	v_mul_hi_u32 v3, s4, v3
	v_mul_lo_u32 v5, v3, v2
	v_sub_u32_e32 v5, s4, v5
	v_add_u32_e32 v10, 1, v3
	v_cmp_ge_u32_e32 vcc, v5, v2
	v_cndmask_b32_e32 v3, v3, v10, vcc
	v_sub_u32_e32 v10, v5, v2
	v_cndmask_b32_e32 v5, v5, v10, vcc
	v_xor_b32_e32 v4, s15, v12
	v_add_u32_e32 v10, 1, v3
	v_cmp_ge_u32_e32 vcc, v5, v2
	v_ashrrev_i32_e32 v4, 31, v4
	v_cndmask_b32_e32 v2, v3, v10, vcc
	v_xor_b32_e32 v2, v2, v4
	v_sub_u32_e32 v2, v2, v4
	v_sub_u32_e32 v3, 0, v2
	v_max_i32_e32 v3, v2, v3
	v_cvt_f32_u32_e32 v4, v3
	v_sub_u32_e32 v5, 0, v3
	s_abs_i32 s6, s12
	v_cmp_ne_u64_e32 vcc, 0, v[32:33]
	v_rcp_iflag_f32_e32 v4, v4
	v_mul_f32_e32 v4, 0x4f7ffffe, v4
	v_cvt_u32_f32_e32 v4, v4
	v_mul_lo_u32 v5, v5, v4
	v_mul_hi_u32 v5, v4, v5
	v_add_u32_e32 v4, v4, v5
	v_mad_u64_u32 v[16:17], s[4:5], s6, v4, 0
	v_mov_b32_e32 v4, 0
	buffer_store_dword v4, off, s[0:3], s32 offset:268 ; 4-byte Folded Spill
	s_and_saveexec_b64 s[4:5], vcc
	s_cbranch_execz .LBB382_3
; %bb.2:
	s_ashr_i32 s13, s12, 31
	s_lshl_b64 s[10:11], s[12:13], 2
	v_mov_b32_e32 v5, s11
	v_add_co_u32_e32 v4, vcc, s10, v32
	v_addc_co_u32_e32 v5, vcc, v33, v5, vcc
	flat_load_dword v4, v[4:5]
	s_waitcnt vmcnt(0) lgkmcnt(0)
	buffer_store_dword v4, off, s[0:3], s32 offset:268 ; 4-byte Folded Spill
.LBB382_3:
	s_or_b64 exec, exec, s[4:5]
	v_and_b32_e32 v5, 0x3ff, v31
	s_ashr_i32 s7, s12, 31
	v_ashrrev_i32_e32 v4, 31, v2
	v_and_b32_e32 v2, 1, v5
	s_movk_i32 s10, 0x78
	s_mul_i32 s18, s12, 0x78
	v_cmp_gt_u32_e32 vcc, 30, v5
	v_lshlrev_b32_e32 v31, 3, v5
	buffer_store_dword v5, off, s[0:3], s32 offset:232 ; 4-byte Folded Spill
	s_and_saveexec_b64 s[4:5], vcc
	s_cbranch_execz .LBB382_5
; %bb.4:
	v_mul_lo_u32 v10, s22, v21
	v_ashrrev_i32_e32 v11, 31, v10
	v_lshlrev_b64 v[10:11], 1, v[10:11]
	v_add_co_u32_e32 v5, vcc, v6, v10
	s_ashr_i32 s19, s18, 31
	v_addc_co_u32_e32 v6, vcc, v7, v11, vcc
	s_lshl_b64 s[24:25], s[18:19], 1
	v_mov_b32_e32 v7, s25
	v_add_co_u32_e32 v5, vcc, s24, v5
	v_addc_co_u32_e32 v7, vcc, v6, v7, vcc
	v_add_co_u32_e32 v6, vcc, v5, v31
	buffer_load_dword v5, off, s[0:3], s32 offset:232 ; 4-byte Folded Reload
	v_addc_co_u32_e32 v7, vcc, 0, v7, vcc
	flat_load_dwordx2 v[6:7], v[6:7]
	s_waitcnt vmcnt(0)
	v_lshlrev_b32_e32 v5, 2, v5
	v_and_b32_e32 v5, 0xff8, v5
	v_mad_u32_u24 v5, v2, s10, v5
	s_waitcnt lgkmcnt(0)
	ds_write_b64 v5, v[6:7]
.LBB382_5:
	s_or_b64 exec, exec, s[4:5]
	v_mul_lo_u32 v5, v17, v3
	v_sub_u32_e32 v5, s6, v5
	v_add_u32_e32 v6, 1, v17
	v_cmp_ge_u32_e32 vcc, v5, v3
	v_sub_u32_e32 v7, v5, v3
	v_cndmask_b32_e32 v6, v17, v6, vcc
	v_cndmask_b32_e32 v5, v5, v7, vcc
	v_add_u32_e32 v7, 1, v6
	v_cmp_ge_u32_e32 vcc, v5, v3
	v_sub_u32_e32 v5, 0, v1
	v_cndmask_b32_e32 v3, v6, v7, vcc
	v_max_i32_e32 v7, v1, v5
	v_cvt_f32_u32_e32 v5, v7
	v_xor_b32_e32 v4, s7, v4
	v_xor_b32_e32 v3, v3, v4
	v_sub_u32_e32 v6, v3, v4
	v_rcp_iflag_f32_e32 v3, v5
	s_waitcnt lgkmcnt(0)
	s_barrier
	v_mul_f32_e32 v3, 0x4f7ffffe, v3
	v_cvt_u32_f32_e32 v5, v3
	v_accvgpr_read_b32 v4, a3
	buffer_store_dword v7, off, s[0:3], s32 offset:192 ; 4-byte Folded Spill
	v_sub_u32_e32 v7, 0, v7
	v_add_u32_e32 v4, -1, v4
	v_mul_lo_u32 v7, v7, v5
	v_sub_u32_e32 v3, 0, v4
	v_mul_hi_u32 v7, v5, v7
	v_max_i32_e32 v3, v4, v3
	v_add_u32_e32 v5, v5, v7
	v_mad_u64_u32 v[16:17], s[4:5], v3, v5, 0
	v_cmp_gt_i32_e32 vcc, 0, v0
	buffer_store_dword v5, off, s[0:3], s32 offset:204 ; 4-byte Folded Spill
                                        ; implicit-def: $agpr10
	s_and_saveexec_b64 s[4:5], vcc
	s_xor_b64 s[4:5], exec, s[4:5]
; %bb.6:
	v_mad_u64_u32 v[10:11], s[6:7], v28, v12, v[6:7]
	v_mul_lo_u32 v0, v10, v0
	v_sub_u32_e32 v0, 1, v0
	v_accvgpr_write_b32 a10, v0
                                        ; implicit-def: $vgpr28
                                        ; implicit-def: $vgpr0
; %bb.7:
	s_or_saveexec_b64 s[4:5], s[4:5]
	v_ashrrev_i32_e32 v4, 31, v4
	v_ashrrev_i32_e32 v1, 31, v1
	buffer_store_dword v1, off, s[0:3], s32 offset:196 ; 4-byte Folded Spill
	s_xor_b64 exec, exec, s[4:5]
; %bb.8:
	v_mul_lo_u32 v1, s15, v28
	v_add_u32_e32 v1, s12, v1
	v_mad_u64_u32 v[0:1], s[6:7], v1, v0, 1
	v_accvgpr_write_b32 a10, v0
; %bb.9:
	s_or_b64 exec, exec, s[4:5]
	s_load_dword s38, s[8:9], 0x14
	s_load_dword s13, s[8:9], 0x8
	buffer_load_dword v5, off, s[0:3], s32 offset:196 ; 4-byte Folded Reload
	buffer_load_dword v10, off, s[0:3], s32 offset:192 ; 4-byte Folded Reload
	s_lshl_b32 s19, s14, 4
	s_add_i32 s4, s19, 16
	v_mul_lo_u32 v0, s22, v18
	v_ashrrev_i32_e32 v1, 31, v0
	v_mul_lo_u32 v35, v6, v23
	v_lshlrev_b64 v[36:37], 2, v[0:1]
	v_ashrrev_i32_e32 v38, 31, v35
	s_waitcnt vmcnt(1)
	v_xor_b32_e32 v4, v4, v5
	s_waitcnt vmcnt(0)
	v_mul_lo_u32 v5, v17, v10
	v_sub_u32_e32 v3, v3, v5
	v_add_u32_e32 v5, 1, v17
	v_cmp_ge_u32_e32 vcc, v3, v10
	v_sub_u32_e32 v7, v3, v10
	v_cndmask_b32_e32 v5, v17, v5, vcc
	v_cndmask_b32_e32 v3, v3, v7, vcc
	v_add_u32_e32 v7, 1, v5
	v_cmp_ge_u32_e32 vcc, v3, v10
	v_cndmask_b32_e32 v3, v5, v7, vcc
	v_xor_b32_e32 v3, v3, v4
	v_sub_u32_e32 v3, v3, v4
	v_accvgpr_read_b32 v4, a3
	v_add_u32_e32 v4, 31, v4
	v_ashrrev_i32_e32 v5, 31, v4
	v_lshrrev_b32_e32 v5, 27, v5
	v_add_u32_e32 v4, v4, v5
	v_ashrrev_i32_e32 v33, 5, v4
	buffer_load_dword v4, off, s[0:3], s32 offset:232 ; 4-byte Folded Reload
	v_min_i32_e32 v5, s4, v33
	buffer_store_dword v5, off, s[0:3], s32 offset:200 ; 4-byte Folded Spill
	v_mov_b32_e32 v7, 0xff7fffff
	v_sub_u32_e32 v3, v3, v29
	v_sub_u32_e32 v29, 0, v30
	buffer_store_dword v3, off, s[0:3], s32 offset:208 ; 4-byte Folded Spill
	s_waitcnt vmcnt(2)
	v_lshrrev_b32_e32 v32, 6, v4
	v_or_b32_e32 v4, s19, v32
	v_cmp_lt_i32_e64 s[4:5], v4, v5
	v_ashrrev_i32_e32 v5, 31, v4
	v_accvgpr_write_b32 a13, v5
	v_lshl_add_u32 v0, v32, 5, s23
	v_accvgpr_write_b32 a12, v4
	buffer_store_dword v0, off, s[0:3], s32 offset:292 ; 4-byte Folded Spill
	v_mbcnt_lo_u32_b32 v0, -1, 0
	s_and_saveexec_b64 s[24:25], s[4:5]
	s_cbranch_execz .LBB382_619
; %bb.10:
	buffer_store_dword v33, off, s[0:3], s32 offset:296 ; 4-byte Folded Spill
	buffer_store_dword v31, off, s[0:3], s32 offset:300 ; 4-byte Folded Spill
	;; [unrolled: 1-line block ×8, first 2 shown]
	v_mov_b32_e32 v5, v0
	buffer_load_dword v0, off, s[0:3], s32 offset:232 ; 4-byte Folded Reload
	s_ashr_i32 s21, s20, 31
	buffer_store_dword v35, off, s[0:3], s32 offset:304 ; 4-byte Folded Spill
	buffer_store_dword v38, off, s[0:3], s32 offset:308 ; 4-byte Folded Spill
	s_lshl_b64 s[8:9], s[20:21], 2
	s_getpc_b64 s[10:11]
	s_add_u32 s10, s10, llvm.amdgcn.dynlds.offset.table@rel32@lo+4
	s_addc_u32 s11, s11, llvm.amdgcn.dynlds.offset.table@rel32@hi+12
	v_accvgpr_read_b32 v6, a12
	s_add_u32 s26, s8, s10
	v_accvgpr_read_b32 v7, a13
	s_addc_u32 s27, s9, s11
	v_cmp_eq_u32_e32 vcc, 0, v2
	v_mul_u32_u24_e32 v23, 0x78, v2
	v_mov_b32_e32 v4, 0
	s_mov_b64 s[28:29], 0
	s_movk_i32 s39, 0x80
	s_movk_i32 s40, 0x7f
	s_mov_b32 s41, 0x7f800000
	s_movk_i32 s42, 0x7fff
	s_mov_b32 s43, 0xffffff
	s_waitcnt vmcnt(2)
	v_bfe_u32 v10, v0, 1, 5
	v_add_co_u32_e64 v0, s[6:7], v8, v35
	v_addc_co_u32_e64 v1, s[6:7], v9, v38, s[6:7]
	v_lshlrev_b32_e32 v3, 4, v10
	v_add_co_u32_e64 v0, s[6:7], v0, v3
	v_addc_co_u32_e64 v1, s[6:7], 0, v1, s[6:7]
	buffer_store_dword v0, off, s[0:3], s32 offset:252 ; 4-byte Folded Spill
	s_nop 0
	buffer_store_dword v1, off, s[0:3], s32 offset:256 ; 4-byte Folded Spill
	v_lshlrev_b32_e32 v0, 2, v2
	v_max_i32_e32 v3, v30, v29
	buffer_store_dword v0, off, s[0:3], s32 offset:260 ; 4-byte Folded Spill
	s_nop 0
	buffer_store_dword v1, off, s[0:3], s32 offset:264 ; 4-byte Folded Spill
	buffer_store_dword v30, off, s[0:3], s32 offset:352 ; 4-byte Folded Spill
	;; [unrolled: 1-line block ×3, first 2 shown]
	buffer_load_dword v1, off, s[0:3], s32 offset:268 ; 4-byte Folded Reload
	v_cvt_f32_u32_e32 v0, v3
	s_load_dword s21, s[26:27], 0x0
	buffer_store_dword v3, off, s[0:3], s32 offset:228 ; 4-byte Folded Spill
	v_rcp_iflag_f32_e32 v0, v0
	v_mul_f32_e32 v0, 0x4f7ffffe, v0
	v_cvt_u32_f32_e32 v0, v0
	s_waitcnt vmcnt(1)
	v_cmp_neq_f32_e64 s[6:7], 0, v1
	v_sub_u32_e32 v1, 0, v3
	v_mul_lo_u32 v1, v1, v0
	v_mul_hi_u32 v1, v0, v1
	v_add_u32_e32 v0, v0, v1
	v_accvgpr_write_b32 a44, v0
	v_lshlrev_b64 v[0:1], 2, v[6:7]
	v_add_co_u32_e64 v0, s[8:9], v36, v0
	buffer_store_dword v36, off, s[0:3], s32 offset:316 ; 4-byte Folded Spill
	s_nop 0
	buffer_store_dword v37, off, s[0:3], s32 offset:320 ; 4-byte Folded Spill
	buffer_store_dword v14, off, s[0:3], s32 offset:356 ; 4-byte Folded Spill
	;; [unrolled: 1-line block ×5, first 2 shown]
	v_addc_co_u32_e64 v1, s[8:9], v37, v1, s[8:9]
	v_add_co_u32_e64 v46, s[8:9], v14, v0
	v_lshlrev_b32_e32 v0, 2, v10
	v_lshl_or_b32 v0, v32, 7, v0
	v_accvgpr_write_b32 a43, v0
	v_accvgpr_read_b32 v0, a3
	v_sub_u32_e32 v2, v10, v0
	v_add_u32_e32 v0, 1, v2
	buffer_store_dword v0, off, s[0:3], s32 offset:280 ; 4-byte Folded Spill
	v_mbcnt_hi_u32_b32 v0, -1, v5
	v_addc_co_u32_e64 v47, s[8:9], v15, v1, s[8:9]
	v_lshl_add_u32 v1, v32, 5, s23
	buffer_store_dword v0, off, s[0:3], s32 offset:248 ; 4-byte Folded Spill
	v_mov_b32_e32 v0, 0xff7fffff
	v_mov_b32_e32 v2, v6
	buffer_store_dword v0, off, s[0:3], s32 offset:244 ; 4-byte Folded Spill
	s_branch .LBB382_13
.LBB382_11:                             ;   in Loop: Header=BB382_13 Depth=1
	s_or_b64 exec, exec, s[30:31]
.LBB382_12:                             ;   in Loop: Header=BB382_13 Depth=1
	s_or_b64 exec, exec, s[10:11]
	buffer_load_dword v0, off, s[0:3], s32 offset:200 ; 4-byte Folded Reload
	s_waitcnt lgkmcnt(0)
	v_accvgpr_read_b32 v2, a47
	v_add_co_u32_e64 v46, s[8:9], 8, v46
	v_add_u32_e32 v2, 2, v2
	v_addc_co_u32_e64 v47, s[8:9], 0, v47, s[8:9]
	v_add_u32_e32 v1, 64, v1
	s_waitcnt vmcnt(0)
	v_cmp_ge_i32_e64 s[8:9], v2, v0
	v_accvgpr_read_b32 v0, a43
	v_add_u32_e32 v0, 0x100, v0
	s_or_b64 s[28:29], s[8:9], s[28:29]
	v_accvgpr_write_b32 a43, v0
	s_andn2_b64 exec, exec, s[28:29]
	s_cbranch_execz .LBB382_618
.LBB382_13:                             ; =>This Inner Loop Header: Depth=1
	buffer_load_dword v0, off, s[0:3], s32 offset:196 ; 4-byte Folded Reload
	v_accvgpr_write_b32 a47, v2
	v_ashrrev_i32_e32 v2, 31, v1
	v_sub_u32_e32 v3, 0, v1
	v_max_i32_e32 v3, v1, v3
	s_waitcnt vmcnt(0)
	v_xor_b32_e32 v2, v2, v0
	buffer_load_dword v0, off, s[0:3], s32 offset:204 ; 4-byte Folded Reload
	s_waitcnt vmcnt(0)
	v_mul_hi_u32 v5, v3, v0
	buffer_load_dword v0, off, s[0:3], s32 offset:192 ; 4-byte Folded Reload
	s_waitcnt vmcnt(0)
	v_mul_lo_u32 v6, v5, v0
	v_sub_u32_e32 v3, v3, v6
	v_add_u32_e32 v6, 1, v5
	v_cmp_ge_u32_e64 s[8:9], v3, v0
	v_cndmask_b32_e64 v5, v5, v6, s[8:9]
	v_sub_u32_e32 v6, v3, v0
	v_cndmask_b32_e64 v3, v3, v6, s[8:9]
	v_add_u32_e32 v6, 1, v5
	v_cmp_ge_u32_e64 s[8:9], v3, v0
	v_cndmask_b32_e64 v3, v5, v6, s[8:9]
	v_xor_b32_e32 v3, v3, v2
	v_sub_u32_e32 v2, v3, v2
	v_accvgpr_read_b32 v0, a10
	v_add_u32_e32 v3, v2, v0
	v_sub_u32_e32 v6, 0, v3
	v_ashrrev_i32_e32 v5, 31, v3
	v_max_i32_e32 v3, v3, v6
	v_accvgpr_read_b32 v0, a44
	v_mul_hi_u32 v6, v3, v0
	buffer_load_dword v0, off, s[0:3], s32 offset:228 ; 4-byte Folded Reload
	s_waitcnt vmcnt(0)
	v_mul_lo_u32 v6, v6, v0
	v_sub_u32_e32 v3, v3, v6
	v_sub_u32_e32 v6, v3, v0
	v_cmp_ge_u32_e64 s[8:9], v3, v0
	v_cndmask_b32_e64 v3, v3, v6, s[8:9]
	v_sub_u32_e32 v6, v3, v0
	v_cmp_ge_u32_e64 s[8:9], v3, v0
	buffer_load_dword v0, off, s[0:3], s32 offset:208 ; 4-byte Folded Reload
	v_cndmask_b32_e64 v3, v3, v6, s[8:9]
	v_xor_b32_e32 v3, v3, v5
	v_sub_u32_e32 v3, v3, v5
	v_cmp_ne_u32_e64 s[8:9], 0, v3
	s_waitcnt vmcnt(0)
	v_cmp_le_i32_e64 s[10:11], v2, v0
	s_and_b64 s[8:9], s[8:9], s[10:11]
	s_and_b64 s[30:31], vcc, s[8:9]
	s_and_saveexec_b64 s[10:11], s[30:31]
	s_cbranch_execz .LBB382_15
; %bb.14:                               ;   in Loop: Header=BB382_13 Depth=1
	v_accvgpr_read_b32 v0, a43
	s_waitcnt lgkmcnt(0)
	v_add_u32_e32 v2, s21, v0
	v_mov_b32_e32 v0, 0xff7fffff
	ds_write_b32 v2, v0
.LBB382_15:                             ;   in Loop: Header=BB382_13 Depth=1
	s_or_b64 exec, exec, s[10:11]
	s_xor_b64 s[8:9], s[8:9], -1
	s_and_saveexec_b64 s[10:11], s[8:9]
	s_cbranch_execz .LBB382_12
; %bb.16:                               ;   in Loop: Header=BB382_13 Depth=1
	flat_load_dword v2, v[46:47]
	buffer_load_dword v8, off, s[0:3], s32 offset:220 ; 4-byte Folded Reload
	buffer_load_dword v9, off, s[0:3], s32 offset:224 ; 4-byte Folded Reload
	;; [unrolled: 1-line block ×4, first 2 shown]
	s_waitcnt vmcnt(0) lgkmcnt(0)
	v_mad_i64_i32 v[2:3], s[8:9], v2, v8, v[6:7]
	buffer_load_dword v6, off, s[0:3], s32 offset:260 ; 4-byte Folded Reload
	buffer_load_dword v7, off, s[0:3], s32 offset:264 ; 4-byte Folded Reload
	s_waitcnt vmcnt(1)
	v_add_co_u32_e64 v56, s[8:9], v2, v6
	v_addc_co_u32_e64 v57, s[8:9], 0, v3, s[8:9]
	flat_load_dword v58, v[56:57]
	buffer_load_dword v2, off, s[0:3], s32 offset:236 ; 4-byte Folded Reload
	buffer_load_dword v3, off, s[0:3], s32 offset:240 ; 4-byte Folded Reload
	s_waitcnt vmcnt(0) lgkmcnt(0)
	v_cmp_ne_u16_sdwa s[8:9], v58, v4 src0_sel:BYTE_0 src1_sel:DWORD
	flat_load_dword v30, v[2:3]
	ds_read2_b64 v[52:55], v23 offset1:1
	ds_read2_b64 v[48:51], v23 offset0:2 offset1:3
	ds_read2_b64 v[36:39], v23 offset0:4 offset1:5
	;; [unrolled: 1-line block ×5, first 2 shown]
	ds_read_b32 a48, v23 offset:96
	ds_read_u16 a49, v23 offset:100
	v_mov_b32_e32 v2, 0
	s_and_saveexec_b64 s[30:31], s[8:9]
	s_cbranch_execz .LBB382_22
; %bb.17:                               ;   in Loop: Header=BB382_13 Depth=1
	v_cmp_ne_u16_sdwa s[8:9], v58, s39 src0_sel:BYTE_0 src1_sel:DWORD
	v_bfrev_b32_e32 v2, 1
	s_and_saveexec_b64 s[34:35], s[8:9]
	s_cbranch_execz .LBB382_21
; %bb.18:                               ;   in Loop: Header=BB382_13 Depth=1
	v_and_b32_e32 v3, 0x7f, v58
	v_cmp_ne_u32_e64 s[8:9], s40, v3
	v_mov_b32_e32 v2, 0x7f800001
	s_and_saveexec_b64 s[36:37], s[8:9]
	s_cbranch_execz .LBB382_20
; %bb.19:                               ;   in Loop: Header=BB382_13 Depth=1
	v_and_b32_e32 v2, 7, v58
	v_ffbh_u32_e32 v10, v2
	v_min_u32_e32 v10, 32, v10
	v_subrev_u32_e32 v11, 28, v10
	v_lshlrev_b64 v[12:13], v11, v[58:59]
	v_lshrrev_b32_e32 v5, 3, v3
	v_sub_u32_e32 v10, 29, v10
	v_and_b32_e32 v11, 7, v12
	v_cmp_gt_u32_e64 s[8:9], 8, v3
	v_cndmask_b32_e64 v3, v5, v10, s[8:9]
	v_cndmask_b32_e64 v2, v2, v11, s[8:9]
	v_lshlrev_b32_e32 v5, 24, v58
	v_bfrev_b32_e32 v0, 60
	v_lshlrev_b32_e32 v2, 20, v2
	v_and_b32_e32 v5, 0x80000000, v5
	v_lshl_add_u32 v3, v3, 23, v0
	v_or3_b32 v2, v5, v3, v2
.LBB382_20:                             ;   in Loop: Header=BB382_13 Depth=1
	s_or_b64 exec, exec, s[36:37]
.LBB382_21:                             ;   in Loop: Header=BB382_13 Depth=1
	s_or_b64 exec, exec, s[34:35]
.LBB382_22:                             ;   in Loop: Header=BB382_13 Depth=1
	s_or_b64 exec, exec, s[30:31]
	s_waitcnt vmcnt(0) lgkmcnt(0)
	v_mul_f32_e32 v2, v30, v2
	v_and_b32_e32 v3, 0x7f800000, v2
	v_cmp_ne_u32_e64 s[8:9], s41, v3
                                        ; implicit-def: $agpr50
	s_and_saveexec_b64 s[30:31], s[8:9]
	s_xor_b64 s[8:9], exec, s[30:31]
; %bb.23:                               ;   in Loop: Header=BB382_13 Depth=1
	v_bfe_u32 v3, v2, 16, 1
	v_add3_u32 v0, v2, v3, s42
	v_accvgpr_write_b32 a50, v0
                                        ; implicit-def: $vgpr2
; %bb.24:                               ;   in Loop: Header=BB382_13 Depth=1
	s_andn2_saveexec_b64 s[30:31], s[8:9]
; %bb.25:                               ;   in Loop: Header=BB382_13 Depth=1
	v_or_b32_e32 v3, 0x10000, v2
	v_cmp_eq_u32_sdwa s[8:9], v2, v4 src0_sel:WORD_0 src1_sel:DWORD
	v_cndmask_b32_e64 v0, v3, v2, s[8:9]
	v_accvgpr_write_b32 a50, v0
; %bb.26:                               ;   in Loop: Header=BB382_13 Depth=1
	s_or_b64 exec, exec, s[30:31]
	v_lshrrev_b16_e32 v60, 8, v58
	v_cmp_ne_u16_e64 s[8:9], 0, v60
	v_mov_b32_e32 v2, 0
	s_and_saveexec_b64 s[30:31], s[8:9]
	s_cbranch_execz .LBB382_32
; %bb.27:                               ;   in Loop: Header=BB382_13 Depth=1
	v_cmp_ne_u16_e64 s[8:9], s39, v60
	v_bfrev_b32_e32 v2, 1
	s_and_saveexec_b64 s[34:35], s[8:9]
	s_cbranch_execz .LBB382_31
; %bb.28:                               ;   in Loop: Header=BB382_13 Depth=1
	v_and_b32_e32 v3, 0x7f, v60
	v_cmp_ne_u32_e64 s[8:9], s40, v3
	v_mov_b32_e32 v2, 0x7f800001
	s_and_saveexec_b64 s[36:37], s[8:9]
	s_cbranch_execz .LBB382_30
; %bb.29:                               ;   in Loop: Header=BB382_13 Depth=1
	v_and_b32_e32 v2, 7, v60
	v_ffbh_u32_e32 v10, v2
	v_min_u32_e32 v10, 32, v10
	v_subrev_u32_e32 v11, 28, v10
	v_lshlrev_b64 v[12:13], v11, v[60:61]
	v_lshrrev_b32_e32 v5, 3, v3
	v_sub_u32_e32 v10, 29, v10
	v_and_b32_e32 v11, 7, v12
	v_cmp_gt_u32_e64 s[8:9], 8, v3
	v_cndmask_b32_e64 v3, v5, v10, s[8:9]
	v_cndmask_b32_e64 v2, v2, v11, s[8:9]
	v_lshlrev_b32_e32 v5, 16, v58
	v_bfrev_b32_e32 v0, 60
	v_lshlrev_b32_e32 v2, 20, v2
	v_and_b32_e32 v5, 0x80000000, v5
	v_lshl_add_u32 v3, v3, 23, v0
	v_or3_b32 v2, v5, v3, v2
.LBB382_30:                             ;   in Loop: Header=BB382_13 Depth=1
	s_or_b64 exec, exec, s[36:37]
.LBB382_31:                             ;   in Loop: Header=BB382_13 Depth=1
	s_or_b64 exec, exec, s[34:35]
.LBB382_32:                             ;   in Loop: Header=BB382_13 Depth=1
	s_or_b64 exec, exec, s[30:31]
	v_mul_f32_e32 v2, v30, v2
	v_and_b32_e32 v3, 0x7f800000, v2
	v_cmp_ne_u32_e64 s[8:9], s41, v3
                                        ; implicit-def: $agpr51
	s_and_saveexec_b64 s[30:31], s[8:9]
	s_xor_b64 s[8:9], exec, s[30:31]
; %bb.33:                               ;   in Loop: Header=BB382_13 Depth=1
	v_bfe_u32 v3, v2, 16, 1
	v_add3_u32 v0, v2, v3, s42
	v_accvgpr_write_b32 a51, v0
                                        ; implicit-def: $vgpr2
; %bb.34:                               ;   in Loop: Header=BB382_13 Depth=1
	s_andn2_saveexec_b64 s[30:31], s[8:9]
; %bb.35:                               ;   in Loop: Header=BB382_13 Depth=1
	v_or_b32_e32 v3, 0x10000, v2
	v_cmp_eq_u32_sdwa s[8:9], v2, v4 src0_sel:WORD_0 src1_sel:DWORD
	v_cndmask_b32_e64 v0, v3, v2, s[8:9]
	v_accvgpr_write_b32 a51, v0
; %bb.36:                               ;   in Loop: Header=BB382_13 Depth=1
	s_or_b64 exec, exec, s[30:31]
	v_lshrrev_b32_e32 v60, 16, v58
	v_cmp_ne_u16_sdwa s[8:9], v60, v4 src0_sel:BYTE_0 src1_sel:DWORD
	v_mov_b32_e32 v2, 0
	s_and_saveexec_b64 s[30:31], s[8:9]
	s_cbranch_execz .LBB382_42
; %bb.37:                               ;   in Loop: Header=BB382_13 Depth=1
	v_cmp_ne_u16_sdwa s[8:9], v60, s39 src0_sel:BYTE_0 src1_sel:DWORD
	v_bfrev_b32_e32 v2, 1
	s_and_saveexec_b64 s[34:35], s[8:9]
	s_cbranch_execz .LBB382_41
; %bb.38:                               ;   in Loop: Header=BB382_13 Depth=1
	v_bfe_u32 v3, v58, 16, 7
	v_cmp_ne_u32_e64 s[8:9], s40, v3
	v_mov_b32_e32 v2, 0x7f800001
	s_and_saveexec_b64 s[36:37], s[8:9]
	s_cbranch_execz .LBB382_40
; %bb.39:                               ;   in Loop: Header=BB382_13 Depth=1
	v_and_b32_e32 v2, 7, v60
	v_ffbh_u32_e32 v10, v2
	v_min_u32_e32 v10, 32, v10
	v_subrev_u32_e32 v11, 28, v10
	v_lshlrev_b64 v[12:13], v11, v[60:61]
	v_lshrrev_b32_e32 v5, 3, v3
	v_sub_u32_e32 v10, 29, v10
	v_and_b32_e32 v11, 7, v12
	v_cmp_gt_u32_e64 s[8:9], 8, v3
	v_cndmask_b32_e64 v3, v5, v10, s[8:9]
	v_cndmask_b32_e64 v2, v2, v11, s[8:9]
	v_lshlrev_b32_e32 v5, 24, v60
	v_bfrev_b32_e32 v0, 60
	v_lshlrev_b32_e32 v2, 20, v2
	v_and_b32_e32 v5, 0x80000000, v5
	v_lshl_add_u32 v3, v3, 23, v0
	v_or3_b32 v2, v5, v3, v2
.LBB382_40:                             ;   in Loop: Header=BB382_13 Depth=1
	s_or_b64 exec, exec, s[36:37]
.LBB382_41:                             ;   in Loop: Header=BB382_13 Depth=1
	s_or_b64 exec, exec, s[34:35]
.LBB382_42:                             ;   in Loop: Header=BB382_13 Depth=1
	s_or_b64 exec, exec, s[30:31]
	v_mul_f32_e32 v2, v30, v2
	v_and_b32_e32 v3, 0x7f800000, v2
	v_cmp_ne_u32_e64 s[8:9], s41, v3
                                        ; implicit-def: $agpr52
	s_and_saveexec_b64 s[30:31], s[8:9]
	s_xor_b64 s[8:9], exec, s[30:31]
; %bb.43:                               ;   in Loop: Header=BB382_13 Depth=1
	v_bfe_u32 v3, v2, 16, 1
	v_add3_u32 v0, v2, v3, s42
	v_accvgpr_write_b32 a52, v0
                                        ; implicit-def: $vgpr2
; %bb.44:                               ;   in Loop: Header=BB382_13 Depth=1
	s_andn2_saveexec_b64 s[30:31], s[8:9]
; %bb.45:                               ;   in Loop: Header=BB382_13 Depth=1
	v_or_b32_e32 v3, 0x10000, v2
	v_cmp_eq_u32_sdwa s[8:9], v2, v4 src0_sel:WORD_0 src1_sel:DWORD
	v_cndmask_b32_e64 v0, v3, v2, s[8:9]
	v_accvgpr_write_b32 a52, v0
; %bb.46:                               ;   in Loop: Header=BB382_13 Depth=1
	s_or_b64 exec, exec, s[30:31]
	v_cmp_lt_u32_e64 s[8:9], s43, v58
	v_mov_b32_e32 v2, 0
	s_and_saveexec_b64 s[30:31], s[8:9]
	s_cbranch_execz .LBB382_52
; %bb.47:                               ;   in Loop: Header=BB382_13 Depth=1
	v_lshrrev_b32_e32 v60, 24, v58
	v_cmp_ne_u32_e64 s[8:9], s39, v60
	v_bfrev_b32_e32 v2, 1
	s_and_saveexec_b64 s[34:35], s[8:9]
	s_cbranch_execz .LBB382_51
; %bb.48:                               ;   in Loop: Header=BB382_13 Depth=1
	v_bfe_u32 v3, v58, 24, 7
	v_cmp_ne_u32_e64 s[8:9], s40, v3
	v_mov_b32_e32 v2, 0x7f800001
	s_and_saveexec_b64 s[36:37], s[8:9]
	s_cbranch_execz .LBB382_50
; %bb.49:                               ;   in Loop: Header=BB382_13 Depth=1
	v_and_b32_e32 v2, 7, v60
	v_ffbh_u32_e32 v10, v2
	v_min_u32_e32 v10, 32, v10
	v_subrev_u32_e32 v11, 28, v10
	v_lshlrev_b64 v[12:13], v11, v[60:61]
	v_lshrrev_b32_e32 v5, 3, v3
	v_sub_u32_e32 v10, 29, v10
	v_and_b32_e32 v11, 7, v12
	v_cmp_gt_u32_e64 s[8:9], 8, v3
	v_cndmask_b32_e64 v3, v5, v10, s[8:9]
	v_cndmask_b32_e64 v2, v2, v11, s[8:9]
	v_lshlrev_b32_e32 v5, 24, v60
	v_bfrev_b32_e32 v0, 60
	v_lshlrev_b32_e32 v2, 20, v2
	v_and_b32_e32 v5, 0x80000000, v5
	v_lshl_add_u32 v3, v3, 23, v0
	v_or3_b32 v2, v5, v3, v2
.LBB382_50:                             ;   in Loop: Header=BB382_13 Depth=1
	s_or_b64 exec, exec, s[36:37]
.LBB382_51:                             ;   in Loop: Header=BB382_13 Depth=1
	s_or_b64 exec, exec, s[34:35]
.LBB382_52:                             ;   in Loop: Header=BB382_13 Depth=1
	s_or_b64 exec, exec, s[30:31]
	v_mul_f32_e32 v2, v30, v2
	v_and_b32_e32 v3, 0x7f800000, v2
	v_cmp_ne_u32_e64 s[8:9], s41, v3
                                        ; implicit-def: $agpr53
	s_and_saveexec_b64 s[30:31], s[8:9]
	s_xor_b64 s[8:9], exec, s[30:31]
; %bb.53:                               ;   in Loop: Header=BB382_13 Depth=1
	v_bfe_u32 v3, v2, 16, 1
	v_add3_u32 v0, v2, v3, s42
	v_accvgpr_write_b32 a53, v0
                                        ; implicit-def: $vgpr2
; %bb.54:                               ;   in Loop: Header=BB382_13 Depth=1
	s_andn2_saveexec_b64 s[30:31], s[8:9]
; %bb.55:                               ;   in Loop: Header=BB382_13 Depth=1
	v_or_b32_e32 v3, 0x10000, v2
	v_cmp_eq_u32_sdwa s[8:9], v2, v4 src0_sel:WORD_0 src1_sel:DWORD
	v_cndmask_b32_e64 v0, v3, v2, s[8:9]
	v_accvgpr_write_b32 a53, v0
; %bb.56:                               ;   in Loop: Header=BB382_13 Depth=1
	s_or_b64 exec, exec, s[30:31]
	flat_load_dword v58, v[56:57] offset:8
	v_mov_b32_e32 v2, 0
	s_waitcnt vmcnt(0) lgkmcnt(0)
	v_cmp_ne_u16_sdwa s[8:9], v58, v4 src0_sel:BYTE_0 src1_sel:DWORD
	s_and_saveexec_b64 s[30:31], s[8:9]
	s_cbranch_execz .LBB382_62
; %bb.57:                               ;   in Loop: Header=BB382_13 Depth=1
	v_cmp_ne_u16_sdwa s[8:9], v58, s39 src0_sel:BYTE_0 src1_sel:DWORD
	v_bfrev_b32_e32 v2, 1
	s_and_saveexec_b64 s[34:35], s[8:9]
	s_cbranch_execz .LBB382_61
; %bb.58:                               ;   in Loop: Header=BB382_13 Depth=1
	v_and_b32_e32 v3, 0x7f, v58
	v_cmp_ne_u32_e64 s[8:9], s40, v3
	v_mov_b32_e32 v2, 0x7f800001
	s_and_saveexec_b64 s[36:37], s[8:9]
	s_cbranch_execz .LBB382_60
; %bb.59:                               ;   in Loop: Header=BB382_13 Depth=1
	v_and_b32_e32 v5, 7, v58
	v_ffbh_u32_e32 v2, v5
	v_min_u32_e32 v11, 32, v2
	v_subrev_u32_e32 v2, 28, v11
	v_lshrrev_b32_e32 v10, 3, v3
	v_cmp_gt_u32_e64 s[8:9], 8, v3
	v_lshlrev_b64 v[2:3], v2, v[58:59]
	v_sub_u32_e32 v3, 29, v11
	v_and_b32_e32 v2, 7, v2
	v_cndmask_b32_e64 v3, v10, v3, s[8:9]
	v_cndmask_b32_e64 v2, v5, v2, s[8:9]
	v_lshlrev_b32_e32 v5, 24, v58
	v_bfrev_b32_e32 v0, 60
	v_lshlrev_b32_e32 v2, 20, v2
	v_and_b32_e32 v5, 0x80000000, v5
	v_lshl_add_u32 v3, v3, 23, v0
	v_or3_b32 v2, v5, v3, v2
.LBB382_60:                             ;   in Loop: Header=BB382_13 Depth=1
	s_or_b64 exec, exec, s[36:37]
.LBB382_61:                             ;   in Loop: Header=BB382_13 Depth=1
	s_or_b64 exec, exec, s[34:35]
.LBB382_62:                             ;   in Loop: Header=BB382_13 Depth=1
	s_or_b64 exec, exec, s[30:31]
	v_mul_f32_e32 v2, v30, v2
	v_and_b32_e32 v3, 0x7f800000, v2
	v_cmp_ne_u32_e64 s[8:9], s41, v3
                                        ; implicit-def: $agpr54
	s_and_saveexec_b64 s[30:31], s[8:9]
	s_xor_b64 s[8:9], exec, s[30:31]
; %bb.63:                               ;   in Loop: Header=BB382_13 Depth=1
	v_bfe_u32 v3, v2, 16, 1
	v_add3_u32 v0, v2, v3, s42
	v_accvgpr_write_b32 a54, v0
                                        ; implicit-def: $vgpr2
; %bb.64:                               ;   in Loop: Header=BB382_13 Depth=1
	s_andn2_saveexec_b64 s[30:31], s[8:9]
; %bb.65:                               ;   in Loop: Header=BB382_13 Depth=1
	v_or_b32_e32 v3, 0x10000, v2
	v_cmp_eq_u32_sdwa s[8:9], v2, v4 src0_sel:WORD_0 src1_sel:DWORD
	v_cndmask_b32_e64 v0, v3, v2, s[8:9]
	v_accvgpr_write_b32 a54, v0
; %bb.66:                               ;   in Loop: Header=BB382_13 Depth=1
	s_or_b64 exec, exec, s[30:31]
	v_lshrrev_b16_e32 v60, 8, v58
	v_cmp_ne_u16_e64 s[8:9], 0, v60
	v_mov_b32_e32 v2, 0
	s_and_saveexec_b64 s[30:31], s[8:9]
	s_cbranch_execz .LBB382_72
; %bb.67:                               ;   in Loop: Header=BB382_13 Depth=1
	v_cmp_ne_u16_e64 s[8:9], s39, v60
	v_bfrev_b32_e32 v2, 1
	s_and_saveexec_b64 s[34:35], s[8:9]
	s_cbranch_execz .LBB382_71
; %bb.68:                               ;   in Loop: Header=BB382_13 Depth=1
	v_and_b32_e32 v3, 0x7f, v60
	v_cmp_ne_u32_e64 s[8:9], s40, v3
	v_mov_b32_e32 v2, 0x7f800001
	s_and_saveexec_b64 s[36:37], s[8:9]
	s_cbranch_execz .LBB382_70
; %bb.69:                               ;   in Loop: Header=BB382_13 Depth=1
	v_and_b32_e32 v2, 7, v60
	v_ffbh_u32_e32 v10, v2
	v_min_u32_e32 v10, 32, v10
	v_subrev_u32_e32 v11, 28, v10
	v_lshlrev_b64 v[12:13], v11, v[60:61]
	v_lshrrev_b32_e32 v5, 3, v3
	v_sub_u32_e32 v10, 29, v10
	v_and_b32_e32 v11, 7, v12
	v_cmp_gt_u32_e64 s[8:9], 8, v3
	v_cndmask_b32_e64 v3, v5, v10, s[8:9]
	v_cndmask_b32_e64 v2, v2, v11, s[8:9]
	v_lshlrev_b32_e32 v5, 16, v58
	v_bfrev_b32_e32 v0, 60
	v_lshlrev_b32_e32 v2, 20, v2
	v_and_b32_e32 v5, 0x80000000, v5
	v_lshl_add_u32 v3, v3, 23, v0
	v_or3_b32 v2, v5, v3, v2
.LBB382_70:                             ;   in Loop: Header=BB382_13 Depth=1
	s_or_b64 exec, exec, s[36:37]
.LBB382_71:                             ;   in Loop: Header=BB382_13 Depth=1
	s_or_b64 exec, exec, s[34:35]
.LBB382_72:                             ;   in Loop: Header=BB382_13 Depth=1
	s_or_b64 exec, exec, s[30:31]
	v_mul_f32_e32 v2, v30, v2
	v_and_b32_e32 v3, 0x7f800000, v2
	v_cmp_ne_u32_e64 s[8:9], s41, v3
                                        ; implicit-def: $agpr55
	s_and_saveexec_b64 s[30:31], s[8:9]
	s_xor_b64 s[8:9], exec, s[30:31]
; %bb.73:                               ;   in Loop: Header=BB382_13 Depth=1
	v_bfe_u32 v3, v2, 16, 1
	v_add3_u32 v0, v2, v3, s42
	v_accvgpr_write_b32 a55, v0
                                        ; implicit-def: $vgpr2
; %bb.74:                               ;   in Loop: Header=BB382_13 Depth=1
	s_andn2_saveexec_b64 s[30:31], s[8:9]
; %bb.75:                               ;   in Loop: Header=BB382_13 Depth=1
	v_or_b32_e32 v3, 0x10000, v2
	v_cmp_eq_u32_sdwa s[8:9], v2, v4 src0_sel:WORD_0 src1_sel:DWORD
	v_cndmask_b32_e64 v0, v3, v2, s[8:9]
	v_accvgpr_write_b32 a55, v0
; %bb.76:                               ;   in Loop: Header=BB382_13 Depth=1
	s_or_b64 exec, exec, s[30:31]
	v_lshrrev_b32_e32 v60, 16, v58
	v_cmp_ne_u16_sdwa s[8:9], v60, v4 src0_sel:BYTE_0 src1_sel:DWORD
	v_mov_b32_e32 v2, 0
	s_and_saveexec_b64 s[30:31], s[8:9]
	s_cbranch_execz .LBB382_82
; %bb.77:                               ;   in Loop: Header=BB382_13 Depth=1
	v_cmp_ne_u16_sdwa s[8:9], v60, s39 src0_sel:BYTE_0 src1_sel:DWORD
	v_bfrev_b32_e32 v2, 1
	s_and_saveexec_b64 s[34:35], s[8:9]
	s_cbranch_execz .LBB382_81
; %bb.78:                               ;   in Loop: Header=BB382_13 Depth=1
	v_bfe_u32 v3, v58, 16, 7
	v_cmp_ne_u32_e64 s[8:9], s40, v3
	v_mov_b32_e32 v2, 0x7f800001
	s_and_saveexec_b64 s[36:37], s[8:9]
	s_cbranch_execz .LBB382_80
; %bb.79:                               ;   in Loop: Header=BB382_13 Depth=1
	v_and_b32_e32 v2, 7, v60
	v_ffbh_u32_e32 v10, v2
	v_min_u32_e32 v10, 32, v10
	v_subrev_u32_e32 v11, 28, v10
	v_lshlrev_b64 v[12:13], v11, v[60:61]
	v_lshrrev_b32_e32 v5, 3, v3
	v_sub_u32_e32 v10, 29, v10
	v_and_b32_e32 v11, 7, v12
	v_cmp_gt_u32_e64 s[8:9], 8, v3
	v_cndmask_b32_e64 v3, v5, v10, s[8:9]
	v_cndmask_b32_e64 v2, v2, v11, s[8:9]
	v_lshlrev_b32_e32 v5, 24, v60
	v_bfrev_b32_e32 v0, 60
	v_lshlrev_b32_e32 v2, 20, v2
	v_and_b32_e32 v5, 0x80000000, v5
	v_lshl_add_u32 v3, v3, 23, v0
	v_or3_b32 v2, v5, v3, v2
.LBB382_80:                             ;   in Loop: Header=BB382_13 Depth=1
	s_or_b64 exec, exec, s[36:37]
.LBB382_81:                             ;   in Loop: Header=BB382_13 Depth=1
	s_or_b64 exec, exec, s[34:35]
.LBB382_82:                             ;   in Loop: Header=BB382_13 Depth=1
	s_or_b64 exec, exec, s[30:31]
	v_mul_f32_e32 v2, v30, v2
	v_and_b32_e32 v3, 0x7f800000, v2
	v_cmp_ne_u32_e64 s[8:9], s41, v3
                                        ; implicit-def: $agpr56
	s_and_saveexec_b64 s[30:31], s[8:9]
	s_xor_b64 s[8:9], exec, s[30:31]
; %bb.83:                               ;   in Loop: Header=BB382_13 Depth=1
	v_bfe_u32 v3, v2, 16, 1
	v_add3_u32 v0, v2, v3, s42
	v_accvgpr_write_b32 a56, v0
                                        ; implicit-def: $vgpr2
; %bb.84:                               ;   in Loop: Header=BB382_13 Depth=1
	s_andn2_saveexec_b64 s[30:31], s[8:9]
; %bb.85:                               ;   in Loop: Header=BB382_13 Depth=1
	v_or_b32_e32 v3, 0x10000, v2
	v_cmp_eq_u32_sdwa s[8:9], v2, v4 src0_sel:WORD_0 src1_sel:DWORD
	v_cndmask_b32_e64 v0, v3, v2, s[8:9]
	v_accvgpr_write_b32 a56, v0
; %bb.86:                               ;   in Loop: Header=BB382_13 Depth=1
	s_or_b64 exec, exec, s[30:31]
	v_cmp_lt_u32_e64 s[8:9], s43, v58
	v_mov_b32_e32 v2, 0
	s_and_saveexec_b64 s[30:31], s[8:9]
	s_cbranch_execz .LBB382_92
; %bb.87:                               ;   in Loop: Header=BB382_13 Depth=1
	v_lshrrev_b32_e32 v60, 24, v58
	v_cmp_ne_u32_e64 s[8:9], s39, v60
	v_bfrev_b32_e32 v2, 1
	s_and_saveexec_b64 s[34:35], s[8:9]
	s_cbranch_execz .LBB382_91
; %bb.88:                               ;   in Loop: Header=BB382_13 Depth=1
	v_bfe_u32 v3, v58, 24, 7
	v_cmp_ne_u32_e64 s[8:9], s40, v3
	v_mov_b32_e32 v2, 0x7f800001
	s_and_saveexec_b64 s[36:37], s[8:9]
	s_cbranch_execz .LBB382_90
; %bb.89:                               ;   in Loop: Header=BB382_13 Depth=1
	v_and_b32_e32 v2, 7, v60
	v_ffbh_u32_e32 v10, v2
	v_min_u32_e32 v10, 32, v10
	v_subrev_u32_e32 v11, 28, v10
	v_lshlrev_b64 v[12:13], v11, v[60:61]
	v_lshrrev_b32_e32 v5, 3, v3
	v_sub_u32_e32 v10, 29, v10
	v_and_b32_e32 v11, 7, v12
	v_cmp_gt_u32_e64 s[8:9], 8, v3
	v_cndmask_b32_e64 v3, v5, v10, s[8:9]
	v_cndmask_b32_e64 v2, v2, v11, s[8:9]
	v_lshlrev_b32_e32 v5, 24, v60
	v_bfrev_b32_e32 v0, 60
	v_lshlrev_b32_e32 v2, 20, v2
	v_and_b32_e32 v5, 0x80000000, v5
	v_lshl_add_u32 v3, v3, 23, v0
	v_or3_b32 v2, v5, v3, v2
.LBB382_90:                             ;   in Loop: Header=BB382_13 Depth=1
	s_or_b64 exec, exec, s[36:37]
.LBB382_91:                             ;   in Loop: Header=BB382_13 Depth=1
	s_or_b64 exec, exec, s[34:35]
.LBB382_92:                             ;   in Loop: Header=BB382_13 Depth=1
	s_or_b64 exec, exec, s[30:31]
	v_mul_f32_e32 v2, v30, v2
	v_and_b32_e32 v3, 0x7f800000, v2
	v_cmp_ne_u32_e64 s[8:9], s41, v3
                                        ; implicit-def: $agpr57
	s_and_saveexec_b64 s[30:31], s[8:9]
	s_xor_b64 s[8:9], exec, s[30:31]
; %bb.93:                               ;   in Loop: Header=BB382_13 Depth=1
	v_bfe_u32 v3, v2, 16, 1
	v_add3_u32 v0, v2, v3, s42
	v_accvgpr_write_b32 a57, v0
                                        ; implicit-def: $vgpr2
; %bb.94:                               ;   in Loop: Header=BB382_13 Depth=1
	s_andn2_saveexec_b64 s[30:31], s[8:9]
; %bb.95:                               ;   in Loop: Header=BB382_13 Depth=1
	v_or_b32_e32 v3, 0x10000, v2
	v_cmp_eq_u32_sdwa s[8:9], v2, v4 src0_sel:WORD_0 src1_sel:DWORD
	v_cndmask_b32_e64 v0, v3, v2, s[8:9]
	v_accvgpr_write_b32 a57, v0
; %bb.96:                               ;   in Loop: Header=BB382_13 Depth=1
	s_or_b64 exec, exec, s[30:31]
	flat_load_dword v58, v[56:57] offset:512
	v_mov_b32_e32 v2, 0
	s_waitcnt vmcnt(0) lgkmcnt(0)
	v_cmp_ne_u16_sdwa s[8:9], v58, v4 src0_sel:BYTE_0 src1_sel:DWORD
	s_and_saveexec_b64 s[30:31], s[8:9]
	s_cbranch_execz .LBB382_102
; %bb.97:                               ;   in Loop: Header=BB382_13 Depth=1
	v_cmp_ne_u16_sdwa s[8:9], v58, s39 src0_sel:BYTE_0 src1_sel:DWORD
	v_bfrev_b32_e32 v2, 1
	s_and_saveexec_b64 s[34:35], s[8:9]
	s_cbranch_execz .LBB382_101
; %bb.98:                               ;   in Loop: Header=BB382_13 Depth=1
	v_and_b32_e32 v3, 0x7f, v58
	v_cmp_ne_u32_e64 s[8:9], s40, v3
	v_mov_b32_e32 v2, 0x7f800001
	s_and_saveexec_b64 s[36:37], s[8:9]
	s_cbranch_execz .LBB382_100
; %bb.99:                               ;   in Loop: Header=BB382_13 Depth=1
	v_and_b32_e32 v2, 7, v58
	v_ffbh_u32_e32 v10, v2
	v_min_u32_e32 v10, 32, v10
	v_subrev_u32_e32 v11, 28, v10
	v_lshlrev_b64 v[12:13], v11, v[58:59]
	v_lshrrev_b32_e32 v5, 3, v3
	v_sub_u32_e32 v10, 29, v10
	v_and_b32_e32 v11, 7, v12
	v_cmp_gt_u32_e64 s[8:9], 8, v3
	v_cndmask_b32_e64 v3, v5, v10, s[8:9]
	v_cndmask_b32_e64 v2, v2, v11, s[8:9]
	v_lshlrev_b32_e32 v5, 24, v58
	v_bfrev_b32_e32 v0, 60
	v_lshlrev_b32_e32 v2, 20, v2
	v_and_b32_e32 v5, 0x80000000, v5
	v_lshl_add_u32 v3, v3, 23, v0
	v_or3_b32 v2, v5, v3, v2
.LBB382_100:                            ;   in Loop: Header=BB382_13 Depth=1
	s_or_b64 exec, exec, s[36:37]
.LBB382_101:                            ;   in Loop: Header=BB382_13 Depth=1
	s_or_b64 exec, exec, s[34:35]
.LBB382_102:                            ;   in Loop: Header=BB382_13 Depth=1
	s_or_b64 exec, exec, s[30:31]
	v_mul_f32_e32 v2, v30, v2
	v_and_b32_e32 v3, 0x7f800000, v2
	v_cmp_ne_u32_e64 s[8:9], s41, v3
                                        ; implicit-def: $agpr58
	s_and_saveexec_b64 s[30:31], s[8:9]
	s_xor_b64 s[8:9], exec, s[30:31]
; %bb.103:                              ;   in Loop: Header=BB382_13 Depth=1
	v_bfe_u32 v3, v2, 16, 1
	v_add3_u32 v0, v2, v3, s42
	v_accvgpr_write_b32 a58, v0
                                        ; implicit-def: $vgpr2
; %bb.104:                              ;   in Loop: Header=BB382_13 Depth=1
	s_andn2_saveexec_b64 s[30:31], s[8:9]
; %bb.105:                              ;   in Loop: Header=BB382_13 Depth=1
	v_or_b32_e32 v3, 0x10000, v2
	v_cmp_eq_u32_sdwa s[8:9], v2, v4 src0_sel:WORD_0 src1_sel:DWORD
	v_cndmask_b32_e64 v0, v3, v2, s[8:9]
	v_accvgpr_write_b32 a58, v0
; %bb.106:                              ;   in Loop: Header=BB382_13 Depth=1
	s_or_b64 exec, exec, s[30:31]
	v_lshrrev_b16_e32 v60, 8, v58
	v_cmp_ne_u16_e64 s[8:9], 0, v60
	v_mov_b32_e32 v2, 0
	s_and_saveexec_b64 s[30:31], s[8:9]
	s_cbranch_execz .LBB382_112
; %bb.107:                              ;   in Loop: Header=BB382_13 Depth=1
	v_cmp_ne_u16_e64 s[8:9], s39, v60
	v_bfrev_b32_e32 v2, 1
	s_and_saveexec_b64 s[34:35], s[8:9]
	s_cbranch_execz .LBB382_111
; %bb.108:                              ;   in Loop: Header=BB382_13 Depth=1
	v_and_b32_e32 v3, 0x7f, v60
	v_cmp_ne_u32_e64 s[8:9], s40, v3
	v_mov_b32_e32 v2, 0x7f800001
	s_and_saveexec_b64 s[36:37], s[8:9]
	s_cbranch_execz .LBB382_110
; %bb.109:                              ;   in Loop: Header=BB382_13 Depth=1
	v_and_b32_e32 v2, 7, v60
	v_ffbh_u32_e32 v10, v2
	v_min_u32_e32 v10, 32, v10
	v_subrev_u32_e32 v11, 28, v10
	v_lshlrev_b64 v[12:13], v11, v[60:61]
	v_lshrrev_b32_e32 v5, 3, v3
	v_sub_u32_e32 v10, 29, v10
	v_and_b32_e32 v11, 7, v12
	v_cmp_gt_u32_e64 s[8:9], 8, v3
	v_cndmask_b32_e64 v3, v5, v10, s[8:9]
	v_cndmask_b32_e64 v2, v2, v11, s[8:9]
	v_lshlrev_b32_e32 v5, 16, v58
	v_bfrev_b32_e32 v0, 60
	v_lshlrev_b32_e32 v2, 20, v2
	v_and_b32_e32 v5, 0x80000000, v5
	v_lshl_add_u32 v3, v3, 23, v0
	v_or3_b32 v2, v5, v3, v2
.LBB382_110:                            ;   in Loop: Header=BB382_13 Depth=1
	s_or_b64 exec, exec, s[36:37]
.LBB382_111:                            ;   in Loop: Header=BB382_13 Depth=1
	s_or_b64 exec, exec, s[34:35]
.LBB382_112:                            ;   in Loop: Header=BB382_13 Depth=1
	s_or_b64 exec, exec, s[30:31]
	v_mul_f32_e32 v2, v30, v2
	v_and_b32_e32 v3, 0x7f800000, v2
	v_cmp_ne_u32_e64 s[8:9], s41, v3
                                        ; implicit-def: $agpr59
	s_and_saveexec_b64 s[30:31], s[8:9]
	s_xor_b64 s[8:9], exec, s[30:31]
; %bb.113:                              ;   in Loop: Header=BB382_13 Depth=1
	v_bfe_u32 v3, v2, 16, 1
	v_add3_u32 v0, v2, v3, s42
	v_accvgpr_write_b32 a59, v0
                                        ; implicit-def: $vgpr2
; %bb.114:                              ;   in Loop: Header=BB382_13 Depth=1
	s_andn2_saveexec_b64 s[30:31], s[8:9]
; %bb.115:                              ;   in Loop: Header=BB382_13 Depth=1
	v_or_b32_e32 v3, 0x10000, v2
	v_cmp_eq_u32_sdwa s[8:9], v2, v4 src0_sel:WORD_0 src1_sel:DWORD
	v_cndmask_b32_e64 v0, v3, v2, s[8:9]
	v_accvgpr_write_b32 a59, v0
; %bb.116:                              ;   in Loop: Header=BB382_13 Depth=1
	s_or_b64 exec, exec, s[30:31]
	v_lshrrev_b32_e32 v60, 16, v58
	v_cmp_ne_u16_sdwa s[8:9], v60, v4 src0_sel:BYTE_0 src1_sel:DWORD
	v_mov_b32_e32 v2, 0
	s_and_saveexec_b64 s[30:31], s[8:9]
	s_cbranch_execz .LBB382_122
; %bb.117:                              ;   in Loop: Header=BB382_13 Depth=1
	v_cmp_ne_u16_sdwa s[8:9], v60, s39 src0_sel:BYTE_0 src1_sel:DWORD
	v_bfrev_b32_e32 v2, 1
	s_and_saveexec_b64 s[34:35], s[8:9]
	s_cbranch_execz .LBB382_121
; %bb.118:                              ;   in Loop: Header=BB382_13 Depth=1
	v_bfe_u32 v3, v58, 16, 7
	v_cmp_ne_u32_e64 s[8:9], s40, v3
	v_mov_b32_e32 v2, 0x7f800001
	s_and_saveexec_b64 s[36:37], s[8:9]
	s_cbranch_execz .LBB382_120
; %bb.119:                              ;   in Loop: Header=BB382_13 Depth=1
	v_and_b32_e32 v2, 7, v60
	v_ffbh_u32_e32 v10, v2
	v_min_u32_e32 v10, 32, v10
	v_subrev_u32_e32 v11, 28, v10
	v_lshlrev_b64 v[12:13], v11, v[60:61]
	v_lshrrev_b32_e32 v5, 3, v3
	v_sub_u32_e32 v10, 29, v10
	v_and_b32_e32 v11, 7, v12
	v_cmp_gt_u32_e64 s[8:9], 8, v3
	v_cndmask_b32_e64 v3, v5, v10, s[8:9]
	v_cndmask_b32_e64 v2, v2, v11, s[8:9]
	v_lshlrev_b32_e32 v5, 24, v60
	v_bfrev_b32_e32 v0, 60
	v_lshlrev_b32_e32 v2, 20, v2
	v_and_b32_e32 v5, 0x80000000, v5
	v_lshl_add_u32 v3, v3, 23, v0
	v_or3_b32 v2, v5, v3, v2
.LBB382_120:                            ;   in Loop: Header=BB382_13 Depth=1
	s_or_b64 exec, exec, s[36:37]
.LBB382_121:                            ;   in Loop: Header=BB382_13 Depth=1
	s_or_b64 exec, exec, s[34:35]
.LBB382_122:                            ;   in Loop: Header=BB382_13 Depth=1
	s_or_b64 exec, exec, s[30:31]
	v_mul_f32_e32 v2, v30, v2
	v_and_b32_e32 v3, 0x7f800000, v2
	v_cmp_ne_u32_e64 s[8:9], s41, v3
                                        ; implicit-def: $agpr60
	s_and_saveexec_b64 s[30:31], s[8:9]
	s_xor_b64 s[8:9], exec, s[30:31]
; %bb.123:                              ;   in Loop: Header=BB382_13 Depth=1
	v_bfe_u32 v3, v2, 16, 1
	v_add3_u32 v0, v2, v3, s42
	v_accvgpr_write_b32 a60, v0
                                        ; implicit-def: $vgpr2
; %bb.124:                              ;   in Loop: Header=BB382_13 Depth=1
	s_andn2_saveexec_b64 s[30:31], s[8:9]
; %bb.125:                              ;   in Loop: Header=BB382_13 Depth=1
	v_or_b32_e32 v3, 0x10000, v2
	v_cmp_eq_u32_sdwa s[8:9], v2, v4 src0_sel:WORD_0 src1_sel:DWORD
	v_cndmask_b32_e64 v0, v3, v2, s[8:9]
	v_accvgpr_write_b32 a60, v0
; %bb.126:                              ;   in Loop: Header=BB382_13 Depth=1
	s_or_b64 exec, exec, s[30:31]
	v_cmp_lt_u32_e64 s[8:9], s43, v58
	v_mov_b32_e32 v2, 0
	s_and_saveexec_b64 s[30:31], s[8:9]
	s_cbranch_execz .LBB382_132
; %bb.127:                              ;   in Loop: Header=BB382_13 Depth=1
	v_lshrrev_b32_e32 v60, 24, v58
	v_cmp_ne_u32_e64 s[8:9], s39, v60
	v_bfrev_b32_e32 v2, 1
	s_and_saveexec_b64 s[34:35], s[8:9]
	s_cbranch_execz .LBB382_131
; %bb.128:                              ;   in Loop: Header=BB382_13 Depth=1
	v_bfe_u32 v3, v58, 24, 7
	v_cmp_ne_u32_e64 s[8:9], s40, v3
	v_mov_b32_e32 v2, 0x7f800001
	s_and_saveexec_b64 s[36:37], s[8:9]
	s_cbranch_execz .LBB382_130
; %bb.129:                              ;   in Loop: Header=BB382_13 Depth=1
	v_and_b32_e32 v2, 7, v60
	v_ffbh_u32_e32 v10, v2
	v_min_u32_e32 v10, 32, v10
	v_subrev_u32_e32 v11, 28, v10
	v_lshlrev_b64 v[12:13], v11, v[60:61]
	v_lshrrev_b32_e32 v5, 3, v3
	v_sub_u32_e32 v10, 29, v10
	v_and_b32_e32 v11, 7, v12
	v_cmp_gt_u32_e64 s[8:9], 8, v3
	v_cndmask_b32_e64 v3, v5, v10, s[8:9]
	v_cndmask_b32_e64 v2, v2, v11, s[8:9]
	v_lshlrev_b32_e32 v5, 24, v60
	v_bfrev_b32_e32 v0, 60
	v_lshlrev_b32_e32 v2, 20, v2
	v_and_b32_e32 v5, 0x80000000, v5
	v_lshl_add_u32 v3, v3, 23, v0
	v_or3_b32 v2, v5, v3, v2
.LBB382_130:                            ;   in Loop: Header=BB382_13 Depth=1
	s_or_b64 exec, exec, s[36:37]
.LBB382_131:                            ;   in Loop: Header=BB382_13 Depth=1
	s_or_b64 exec, exec, s[34:35]
.LBB382_132:                            ;   in Loop: Header=BB382_13 Depth=1
	s_or_b64 exec, exec, s[30:31]
	v_mul_f32_e32 v2, v30, v2
	v_and_b32_e32 v3, 0x7f800000, v2
	v_cmp_ne_u32_e64 s[8:9], s41, v3
                                        ; implicit-def: $agpr61
	s_and_saveexec_b64 s[30:31], s[8:9]
	s_xor_b64 s[8:9], exec, s[30:31]
; %bb.133:                              ;   in Loop: Header=BB382_13 Depth=1
	v_bfe_u32 v3, v2, 16, 1
	v_add3_u32 v0, v2, v3, s42
	v_accvgpr_write_b32 a61, v0
                                        ; implicit-def: $vgpr2
; %bb.134:                              ;   in Loop: Header=BB382_13 Depth=1
	s_andn2_saveexec_b64 s[30:31], s[8:9]
; %bb.135:                              ;   in Loop: Header=BB382_13 Depth=1
	v_or_b32_e32 v3, 0x10000, v2
	v_cmp_eq_u32_sdwa s[8:9], v2, v4 src0_sel:WORD_0 src1_sel:DWORD
	v_cndmask_b32_e64 v0, v3, v2, s[8:9]
	v_accvgpr_write_b32 a61, v0
; %bb.136:                              ;   in Loop: Header=BB382_13 Depth=1
	s_or_b64 exec, exec, s[30:31]
	flat_load_dword v58, v[56:57] offset:520
	v_mov_b32_e32 v2, 0
	s_waitcnt vmcnt(0) lgkmcnt(0)
	v_cmp_ne_u16_sdwa s[8:9], v58, v4 src0_sel:BYTE_0 src1_sel:DWORD
	s_and_saveexec_b64 s[30:31], s[8:9]
	s_cbranch_execz .LBB382_142
; %bb.137:                              ;   in Loop: Header=BB382_13 Depth=1
	v_cmp_ne_u16_sdwa s[8:9], v58, s39 src0_sel:BYTE_0 src1_sel:DWORD
	v_bfrev_b32_e32 v2, 1
	s_and_saveexec_b64 s[34:35], s[8:9]
	s_cbranch_execz .LBB382_141
; %bb.138:                              ;   in Loop: Header=BB382_13 Depth=1
	v_and_b32_e32 v3, 0x7f, v58
	v_cmp_ne_u32_e64 s[8:9], s40, v3
	v_mov_b32_e32 v2, 0x7f800001
	s_and_saveexec_b64 s[36:37], s[8:9]
	s_cbranch_execz .LBB382_140
; %bb.139:                              ;   in Loop: Header=BB382_13 Depth=1
	v_and_b32_e32 v2, 7, v58
	v_ffbh_u32_e32 v10, v2
	v_min_u32_e32 v10, 32, v10
	v_subrev_u32_e32 v11, 28, v10
	v_lshlrev_b64 v[12:13], v11, v[58:59]
	v_lshrrev_b32_e32 v5, 3, v3
	v_sub_u32_e32 v10, 29, v10
	v_and_b32_e32 v11, 7, v12
	v_cmp_gt_u32_e64 s[8:9], 8, v3
	v_cndmask_b32_e64 v3, v5, v10, s[8:9]
	v_cndmask_b32_e64 v2, v2, v11, s[8:9]
	v_lshlrev_b32_e32 v5, 24, v58
	v_bfrev_b32_e32 v0, 60
	v_lshlrev_b32_e32 v2, 20, v2
	v_and_b32_e32 v5, 0x80000000, v5
	v_lshl_add_u32 v3, v3, 23, v0
	v_or3_b32 v2, v5, v3, v2
.LBB382_140:                            ;   in Loop: Header=BB382_13 Depth=1
	s_or_b64 exec, exec, s[36:37]
.LBB382_141:                            ;   in Loop: Header=BB382_13 Depth=1
	s_or_b64 exec, exec, s[34:35]
.LBB382_142:                            ;   in Loop: Header=BB382_13 Depth=1
	s_or_b64 exec, exec, s[30:31]
	v_mul_f32_e32 v2, v30, v2
	v_and_b32_e32 v3, 0x7f800000, v2
	v_cmp_ne_u32_e64 s[8:9], s41, v3
                                        ; implicit-def: $agpr62
	s_and_saveexec_b64 s[30:31], s[8:9]
	s_xor_b64 s[8:9], exec, s[30:31]
; %bb.143:                              ;   in Loop: Header=BB382_13 Depth=1
	v_bfe_u32 v3, v2, 16, 1
	v_add3_u32 v0, v2, v3, s42
	v_accvgpr_write_b32 a62, v0
                                        ; implicit-def: $vgpr2
; %bb.144:                              ;   in Loop: Header=BB382_13 Depth=1
	s_andn2_saveexec_b64 s[30:31], s[8:9]
; %bb.145:                              ;   in Loop: Header=BB382_13 Depth=1
	v_or_b32_e32 v3, 0x10000, v2
	v_cmp_eq_u32_sdwa s[8:9], v2, v4 src0_sel:WORD_0 src1_sel:DWORD
	v_cndmask_b32_e64 v0, v3, v2, s[8:9]
	v_accvgpr_write_b32 a62, v0
; %bb.146:                              ;   in Loop: Header=BB382_13 Depth=1
	s_or_b64 exec, exec, s[30:31]
	v_lshrrev_b16_e32 v60, 8, v58
	v_cmp_ne_u16_e64 s[8:9], 0, v60
	v_mov_b32_e32 v2, 0
	s_and_saveexec_b64 s[30:31], s[8:9]
	s_cbranch_execz .LBB382_152
; %bb.147:                              ;   in Loop: Header=BB382_13 Depth=1
	v_cmp_ne_u16_e64 s[8:9], s39, v60
	v_bfrev_b32_e32 v2, 1
	s_and_saveexec_b64 s[34:35], s[8:9]
	s_cbranch_execz .LBB382_151
; %bb.148:                              ;   in Loop: Header=BB382_13 Depth=1
	v_and_b32_e32 v3, 0x7f, v60
	v_cmp_ne_u32_e64 s[8:9], s40, v3
	v_mov_b32_e32 v2, 0x7f800001
	s_and_saveexec_b64 s[36:37], s[8:9]
	s_cbranch_execz .LBB382_150
; %bb.149:                              ;   in Loop: Header=BB382_13 Depth=1
	v_and_b32_e32 v2, 7, v60
	v_ffbh_u32_e32 v10, v2
	v_min_u32_e32 v10, 32, v10
	v_subrev_u32_e32 v11, 28, v10
	v_lshlrev_b64 v[12:13], v11, v[60:61]
	v_lshrrev_b32_e32 v5, 3, v3
	v_sub_u32_e32 v10, 29, v10
	v_and_b32_e32 v11, 7, v12
	v_cmp_gt_u32_e64 s[8:9], 8, v3
	v_cndmask_b32_e64 v3, v5, v10, s[8:9]
	v_cndmask_b32_e64 v2, v2, v11, s[8:9]
	v_lshlrev_b32_e32 v5, 16, v58
	v_bfrev_b32_e32 v0, 60
	v_lshlrev_b32_e32 v2, 20, v2
	v_and_b32_e32 v5, 0x80000000, v5
	v_lshl_add_u32 v3, v3, 23, v0
	v_or3_b32 v2, v5, v3, v2
.LBB382_150:                            ;   in Loop: Header=BB382_13 Depth=1
	s_or_b64 exec, exec, s[36:37]
.LBB382_151:                            ;   in Loop: Header=BB382_13 Depth=1
	s_or_b64 exec, exec, s[34:35]
.LBB382_152:                            ;   in Loop: Header=BB382_13 Depth=1
	s_or_b64 exec, exec, s[30:31]
	v_mul_f32_e32 v2, v30, v2
	v_and_b32_e32 v3, 0x7f800000, v2
	v_cmp_ne_u32_e64 s[8:9], s41, v3
                                        ; implicit-def: $agpr63
	s_and_saveexec_b64 s[30:31], s[8:9]
	s_xor_b64 s[8:9], exec, s[30:31]
; %bb.153:                              ;   in Loop: Header=BB382_13 Depth=1
	v_bfe_u32 v3, v2, 16, 1
	v_add3_u32 v0, v2, v3, s42
	v_accvgpr_write_b32 a63, v0
                                        ; implicit-def: $vgpr2
; %bb.154:                              ;   in Loop: Header=BB382_13 Depth=1
	s_andn2_saveexec_b64 s[30:31], s[8:9]
; %bb.155:                              ;   in Loop: Header=BB382_13 Depth=1
	v_or_b32_e32 v3, 0x10000, v2
	v_cmp_eq_u32_sdwa s[8:9], v2, v4 src0_sel:WORD_0 src1_sel:DWORD
	v_cndmask_b32_e64 v0, v3, v2, s[8:9]
	v_accvgpr_write_b32 a63, v0
; %bb.156:                              ;   in Loop: Header=BB382_13 Depth=1
	s_or_b64 exec, exec, s[30:31]
	v_lshrrev_b32_e32 v60, 16, v58
	v_cmp_ne_u16_sdwa s[8:9], v60, v4 src0_sel:BYTE_0 src1_sel:DWORD
	v_mov_b32_e32 v2, 0
	s_and_saveexec_b64 s[30:31], s[8:9]
	s_cbranch_execz .LBB382_162
; %bb.157:                              ;   in Loop: Header=BB382_13 Depth=1
	v_cmp_ne_u16_sdwa s[8:9], v60, s39 src0_sel:BYTE_0 src1_sel:DWORD
	v_bfrev_b32_e32 v2, 1
	s_and_saveexec_b64 s[34:35], s[8:9]
	s_cbranch_execz .LBB382_161
; %bb.158:                              ;   in Loop: Header=BB382_13 Depth=1
	v_bfe_u32 v3, v58, 16, 7
	v_cmp_ne_u32_e64 s[8:9], s40, v3
	v_mov_b32_e32 v2, 0x7f800001
	s_and_saveexec_b64 s[36:37], s[8:9]
	s_cbranch_execz .LBB382_160
; %bb.159:                              ;   in Loop: Header=BB382_13 Depth=1
	v_and_b32_e32 v2, 7, v60
	v_ffbh_u32_e32 v10, v2
	v_min_u32_e32 v10, 32, v10
	v_subrev_u32_e32 v11, 28, v10
	v_lshlrev_b64 v[12:13], v11, v[60:61]
	v_lshrrev_b32_e32 v5, 3, v3
	v_sub_u32_e32 v10, 29, v10
	v_and_b32_e32 v11, 7, v12
	v_cmp_gt_u32_e64 s[8:9], 8, v3
	v_cndmask_b32_e64 v3, v5, v10, s[8:9]
	v_cndmask_b32_e64 v2, v2, v11, s[8:9]
	v_lshlrev_b32_e32 v5, 24, v60
	v_bfrev_b32_e32 v0, 60
	v_lshlrev_b32_e32 v2, 20, v2
	v_and_b32_e32 v5, 0x80000000, v5
	v_lshl_add_u32 v3, v3, 23, v0
	v_or3_b32 v2, v5, v3, v2
.LBB382_160:                            ;   in Loop: Header=BB382_13 Depth=1
	s_or_b64 exec, exec, s[36:37]
.LBB382_161:                            ;   in Loop: Header=BB382_13 Depth=1
	s_or_b64 exec, exec, s[34:35]
.LBB382_162:                            ;   in Loop: Header=BB382_13 Depth=1
	s_or_b64 exec, exec, s[30:31]
	v_mul_f32_e32 v2, v30, v2
	v_and_b32_e32 v3, 0x7f800000, v2
	v_cmp_ne_u32_e64 s[8:9], s41, v3
                                        ; implicit-def: $agpr27
	s_and_saveexec_b64 s[30:31], s[8:9]
	s_xor_b64 s[8:9], exec, s[30:31]
; %bb.163:                              ;   in Loop: Header=BB382_13 Depth=1
	v_bfe_u32 v3, v2, 16, 1
	v_add3_u32 v0, v2, v3, s42
	v_accvgpr_write_b32 a27, v0
                                        ; implicit-def: $vgpr2
; %bb.164:                              ;   in Loop: Header=BB382_13 Depth=1
	s_andn2_saveexec_b64 s[30:31], s[8:9]
; %bb.165:                              ;   in Loop: Header=BB382_13 Depth=1
	v_or_b32_e32 v3, 0x10000, v2
	v_cmp_eq_u32_sdwa s[8:9], v2, v4 src0_sel:WORD_0 src1_sel:DWORD
	v_cndmask_b32_e64 v0, v3, v2, s[8:9]
	v_accvgpr_write_b32 a27, v0
; %bb.166:                              ;   in Loop: Header=BB382_13 Depth=1
	s_or_b64 exec, exec, s[30:31]
	v_cmp_lt_u32_e64 s[8:9], s43, v58
	v_mov_b32_e32 v2, 0
	s_and_saveexec_b64 s[30:31], s[8:9]
	s_cbranch_execz .LBB382_172
; %bb.167:                              ;   in Loop: Header=BB382_13 Depth=1
	v_lshrrev_b32_e32 v60, 24, v58
	v_cmp_ne_u32_e64 s[8:9], s39, v60
	v_bfrev_b32_e32 v2, 1
	s_and_saveexec_b64 s[34:35], s[8:9]
	s_cbranch_execz .LBB382_171
; %bb.168:                              ;   in Loop: Header=BB382_13 Depth=1
	v_bfe_u32 v3, v58, 24, 7
	v_cmp_ne_u32_e64 s[8:9], s40, v3
	v_mov_b32_e32 v2, 0x7f800001
	s_and_saveexec_b64 s[36:37], s[8:9]
	s_cbranch_execz .LBB382_170
; %bb.169:                              ;   in Loop: Header=BB382_13 Depth=1
	v_and_b32_e32 v2, 7, v60
	v_ffbh_u32_e32 v10, v2
	v_min_u32_e32 v10, 32, v10
	v_subrev_u32_e32 v11, 28, v10
	v_lshlrev_b64 v[12:13], v11, v[60:61]
	v_lshrrev_b32_e32 v5, 3, v3
	v_sub_u32_e32 v10, 29, v10
	v_and_b32_e32 v11, 7, v12
	v_cmp_gt_u32_e64 s[8:9], 8, v3
	v_cndmask_b32_e64 v3, v5, v10, s[8:9]
	v_cndmask_b32_e64 v2, v2, v11, s[8:9]
	v_lshlrev_b32_e32 v5, 24, v60
	v_bfrev_b32_e32 v0, 60
	v_lshlrev_b32_e32 v2, 20, v2
	v_and_b32_e32 v5, 0x80000000, v5
	v_lshl_add_u32 v3, v3, 23, v0
	v_or3_b32 v2, v5, v3, v2
.LBB382_170:                            ;   in Loop: Header=BB382_13 Depth=1
	s_or_b64 exec, exec, s[36:37]
.LBB382_171:                            ;   in Loop: Header=BB382_13 Depth=1
	s_or_b64 exec, exec, s[34:35]
.LBB382_172:                            ;   in Loop: Header=BB382_13 Depth=1
	s_or_b64 exec, exec, s[30:31]
	v_mul_f32_e32 v2, v30, v2
	v_and_b32_e32 v3, 0x7f800000, v2
	v_cmp_ne_u32_e64 s[8:9], s41, v3
                                        ; implicit-def: $agpr25
	s_and_saveexec_b64 s[30:31], s[8:9]
	s_xor_b64 s[8:9], exec, s[30:31]
; %bb.173:                              ;   in Loop: Header=BB382_13 Depth=1
	v_bfe_u32 v3, v2, 16, 1
	v_add3_u32 v0, v2, v3, s42
	v_accvgpr_write_b32 a25, v0
                                        ; implicit-def: $vgpr2
; %bb.174:                              ;   in Loop: Header=BB382_13 Depth=1
	s_andn2_saveexec_b64 s[30:31], s[8:9]
; %bb.175:                              ;   in Loop: Header=BB382_13 Depth=1
	v_or_b32_e32 v3, 0x10000, v2
	v_cmp_eq_u32_sdwa s[8:9], v2, v4 src0_sel:WORD_0 src1_sel:DWORD
	v_cndmask_b32_e64 v0, v3, v2, s[8:9]
	v_accvgpr_write_b32 a25, v0
; %bb.176:                              ;   in Loop: Header=BB382_13 Depth=1
	s_or_b64 exec, exec, s[30:31]
	flat_load_dword v58, v[56:57] offset:1024
	v_mov_b32_e32 v2, 0
	s_waitcnt vmcnt(0) lgkmcnt(0)
	v_cmp_ne_u16_sdwa s[8:9], v58, v4 src0_sel:BYTE_0 src1_sel:DWORD
	s_and_saveexec_b64 s[30:31], s[8:9]
	s_cbranch_execz .LBB382_182
; %bb.177:                              ;   in Loop: Header=BB382_13 Depth=1
	v_cmp_ne_u16_sdwa s[8:9], v58, s39 src0_sel:BYTE_0 src1_sel:DWORD
	v_bfrev_b32_e32 v2, 1
	s_and_saveexec_b64 s[34:35], s[8:9]
	s_cbranch_execz .LBB382_181
; %bb.178:                              ;   in Loop: Header=BB382_13 Depth=1
	v_and_b32_e32 v3, 0x7f, v58
	v_cmp_ne_u32_e64 s[8:9], s40, v3
	v_mov_b32_e32 v2, 0x7f800001
	s_and_saveexec_b64 s[36:37], s[8:9]
	s_cbranch_execz .LBB382_180
; %bb.179:                              ;   in Loop: Header=BB382_13 Depth=1
	v_and_b32_e32 v2, 7, v58
	v_ffbh_u32_e32 v10, v2
	v_min_u32_e32 v10, 32, v10
	v_subrev_u32_e32 v11, 28, v10
	v_lshlrev_b64 v[12:13], v11, v[58:59]
	v_lshrrev_b32_e32 v5, 3, v3
	v_sub_u32_e32 v10, 29, v10
	v_and_b32_e32 v11, 7, v12
	v_cmp_gt_u32_e64 s[8:9], 8, v3
	v_cndmask_b32_e64 v3, v5, v10, s[8:9]
	v_cndmask_b32_e64 v2, v2, v11, s[8:9]
	v_lshlrev_b32_e32 v5, 24, v58
	v_bfrev_b32_e32 v0, 60
	v_lshlrev_b32_e32 v2, 20, v2
	v_and_b32_e32 v5, 0x80000000, v5
	v_lshl_add_u32 v3, v3, 23, v0
	v_or3_b32 v2, v5, v3, v2
.LBB382_180:                            ;   in Loop: Header=BB382_13 Depth=1
	s_or_b64 exec, exec, s[36:37]
.LBB382_181:                            ;   in Loop: Header=BB382_13 Depth=1
	s_or_b64 exec, exec, s[34:35]
.LBB382_182:                            ;   in Loop: Header=BB382_13 Depth=1
	s_or_b64 exec, exec, s[30:31]
	v_mul_f32_e32 v2, v30, v2
	v_and_b32_e32 v3, 0x7f800000, v2
	v_cmp_ne_u32_e64 s[8:9], s41, v3
                                        ; implicit-def: $agpr31
	s_and_saveexec_b64 s[30:31], s[8:9]
	s_xor_b64 s[8:9], exec, s[30:31]
; %bb.183:                              ;   in Loop: Header=BB382_13 Depth=1
	v_bfe_u32 v3, v2, 16, 1
	v_add3_u32 v0, v2, v3, s42
	v_accvgpr_write_b32 a31, v0
                                        ; implicit-def: $vgpr2
; %bb.184:                              ;   in Loop: Header=BB382_13 Depth=1
	s_andn2_saveexec_b64 s[30:31], s[8:9]
; %bb.185:                              ;   in Loop: Header=BB382_13 Depth=1
	v_or_b32_e32 v3, 0x10000, v2
	v_cmp_eq_u32_sdwa s[8:9], v2, v4 src0_sel:WORD_0 src1_sel:DWORD
	v_cndmask_b32_e64 v0, v3, v2, s[8:9]
	v_accvgpr_write_b32 a31, v0
; %bb.186:                              ;   in Loop: Header=BB382_13 Depth=1
	s_or_b64 exec, exec, s[30:31]
	v_lshrrev_b16_e32 v60, 8, v58
	v_cmp_ne_u16_e64 s[8:9], 0, v60
	v_mov_b32_e32 v2, 0
	s_and_saveexec_b64 s[30:31], s[8:9]
	s_cbranch_execz .LBB382_192
; %bb.187:                              ;   in Loop: Header=BB382_13 Depth=1
	v_cmp_ne_u16_e64 s[8:9], s39, v60
	v_bfrev_b32_e32 v2, 1
	s_and_saveexec_b64 s[34:35], s[8:9]
	s_cbranch_execz .LBB382_191
; %bb.188:                              ;   in Loop: Header=BB382_13 Depth=1
	v_and_b32_e32 v3, 0x7f, v60
	v_cmp_ne_u32_e64 s[8:9], s40, v3
	v_mov_b32_e32 v2, 0x7f800001
	s_and_saveexec_b64 s[36:37], s[8:9]
	s_cbranch_execz .LBB382_190
; %bb.189:                              ;   in Loop: Header=BB382_13 Depth=1
	v_and_b32_e32 v2, 7, v60
	v_ffbh_u32_e32 v10, v2
	v_min_u32_e32 v10, 32, v10
	v_subrev_u32_e32 v11, 28, v10
	v_lshlrev_b64 v[12:13], v11, v[60:61]
	v_lshrrev_b32_e32 v5, 3, v3
	v_sub_u32_e32 v10, 29, v10
	v_and_b32_e32 v11, 7, v12
	v_cmp_gt_u32_e64 s[8:9], 8, v3
	v_cndmask_b32_e64 v3, v5, v10, s[8:9]
	v_cndmask_b32_e64 v2, v2, v11, s[8:9]
	v_lshlrev_b32_e32 v5, 16, v58
	v_bfrev_b32_e32 v0, 60
	v_lshlrev_b32_e32 v2, 20, v2
	v_and_b32_e32 v5, 0x80000000, v5
	v_lshl_add_u32 v3, v3, 23, v0
	v_or3_b32 v2, v5, v3, v2
.LBB382_190:                            ;   in Loop: Header=BB382_13 Depth=1
	s_or_b64 exec, exec, s[36:37]
.LBB382_191:                            ;   in Loop: Header=BB382_13 Depth=1
	s_or_b64 exec, exec, s[34:35]
.LBB382_192:                            ;   in Loop: Header=BB382_13 Depth=1
	s_or_b64 exec, exec, s[30:31]
	v_mul_f32_e32 v2, v30, v2
	v_and_b32_e32 v3, 0x7f800000, v2
	v_cmp_ne_u32_e64 s[8:9], s41, v3
                                        ; implicit-def: $agpr32
	s_and_saveexec_b64 s[30:31], s[8:9]
	s_xor_b64 s[8:9], exec, s[30:31]
; %bb.193:                              ;   in Loop: Header=BB382_13 Depth=1
	v_bfe_u32 v3, v2, 16, 1
	v_add3_u32 v0, v2, v3, s42
	v_accvgpr_write_b32 a32, v0
                                        ; implicit-def: $vgpr2
; %bb.194:                              ;   in Loop: Header=BB382_13 Depth=1
	s_andn2_saveexec_b64 s[30:31], s[8:9]
; %bb.195:                              ;   in Loop: Header=BB382_13 Depth=1
	v_or_b32_e32 v3, 0x10000, v2
	v_cmp_eq_u32_sdwa s[8:9], v2, v4 src0_sel:WORD_0 src1_sel:DWORD
	v_cndmask_b32_e64 v0, v3, v2, s[8:9]
	v_accvgpr_write_b32 a32, v0
; %bb.196:                              ;   in Loop: Header=BB382_13 Depth=1
	s_or_b64 exec, exec, s[30:31]
	v_lshrrev_b32_e32 v60, 16, v58
	v_cmp_ne_u16_sdwa s[8:9], v60, v4 src0_sel:BYTE_0 src1_sel:DWORD
	v_mov_b32_e32 v2, 0
	s_and_saveexec_b64 s[30:31], s[8:9]
	s_cbranch_execz .LBB382_202
; %bb.197:                              ;   in Loop: Header=BB382_13 Depth=1
	v_cmp_ne_u16_sdwa s[8:9], v60, s39 src0_sel:BYTE_0 src1_sel:DWORD
	v_bfrev_b32_e32 v2, 1
	s_and_saveexec_b64 s[34:35], s[8:9]
	s_cbranch_execz .LBB382_201
; %bb.198:                              ;   in Loop: Header=BB382_13 Depth=1
	v_bfe_u32 v3, v58, 16, 7
	v_cmp_ne_u32_e64 s[8:9], s40, v3
	v_mov_b32_e32 v2, 0x7f800001
	s_and_saveexec_b64 s[36:37], s[8:9]
	s_cbranch_execz .LBB382_200
; %bb.199:                              ;   in Loop: Header=BB382_13 Depth=1
	v_and_b32_e32 v2, 7, v60
	v_ffbh_u32_e32 v10, v2
	v_min_u32_e32 v10, 32, v10
	v_subrev_u32_e32 v11, 28, v10
	v_lshlrev_b64 v[12:13], v11, v[60:61]
	v_lshrrev_b32_e32 v5, 3, v3
	v_sub_u32_e32 v10, 29, v10
	v_and_b32_e32 v11, 7, v12
	v_cmp_gt_u32_e64 s[8:9], 8, v3
	v_cndmask_b32_e64 v3, v5, v10, s[8:9]
	v_cndmask_b32_e64 v2, v2, v11, s[8:9]
	v_lshlrev_b32_e32 v5, 24, v60
	v_bfrev_b32_e32 v0, 60
	v_lshlrev_b32_e32 v2, 20, v2
	v_and_b32_e32 v5, 0x80000000, v5
	v_lshl_add_u32 v3, v3, 23, v0
	v_or3_b32 v2, v5, v3, v2
.LBB382_200:                            ;   in Loop: Header=BB382_13 Depth=1
	s_or_b64 exec, exec, s[36:37]
.LBB382_201:                            ;   in Loop: Header=BB382_13 Depth=1
	s_or_b64 exec, exec, s[34:35]
.LBB382_202:                            ;   in Loop: Header=BB382_13 Depth=1
	s_or_b64 exec, exec, s[30:31]
	v_mul_f32_e32 v2, v30, v2
	v_and_b32_e32 v3, 0x7f800000, v2
	v_cmp_ne_u32_e64 s[8:9], s41, v3
                                        ; implicit-def: $agpr30
	s_and_saveexec_b64 s[30:31], s[8:9]
	s_xor_b64 s[8:9], exec, s[30:31]
; %bb.203:                              ;   in Loop: Header=BB382_13 Depth=1
	v_bfe_u32 v3, v2, 16, 1
	v_add3_u32 v0, v2, v3, s42
	v_accvgpr_write_b32 a30, v0
                                        ; implicit-def: $vgpr2
; %bb.204:                              ;   in Loop: Header=BB382_13 Depth=1
	s_andn2_saveexec_b64 s[30:31], s[8:9]
; %bb.205:                              ;   in Loop: Header=BB382_13 Depth=1
	v_or_b32_e32 v3, 0x10000, v2
	v_cmp_eq_u32_sdwa s[8:9], v2, v4 src0_sel:WORD_0 src1_sel:DWORD
	v_cndmask_b32_e64 v0, v3, v2, s[8:9]
	v_accvgpr_write_b32 a30, v0
; %bb.206:                              ;   in Loop: Header=BB382_13 Depth=1
	s_or_b64 exec, exec, s[30:31]
	v_cmp_lt_u32_e64 s[8:9], s43, v58
	v_mov_b32_e32 v2, 0
	s_and_saveexec_b64 s[30:31], s[8:9]
	s_cbranch_execz .LBB382_212
; %bb.207:                              ;   in Loop: Header=BB382_13 Depth=1
	v_lshrrev_b32_e32 v60, 24, v58
	v_cmp_ne_u32_e64 s[8:9], s39, v60
	v_bfrev_b32_e32 v2, 1
	s_and_saveexec_b64 s[34:35], s[8:9]
	s_cbranch_execz .LBB382_211
; %bb.208:                              ;   in Loop: Header=BB382_13 Depth=1
	v_bfe_u32 v3, v58, 24, 7
	v_cmp_ne_u32_e64 s[8:9], s40, v3
	v_mov_b32_e32 v2, 0x7f800001
	s_and_saveexec_b64 s[36:37], s[8:9]
	s_cbranch_execz .LBB382_210
; %bb.209:                              ;   in Loop: Header=BB382_13 Depth=1
	v_and_b32_e32 v2, 7, v60
	v_ffbh_u32_e32 v10, v2
	v_min_u32_e32 v10, 32, v10
	v_subrev_u32_e32 v11, 28, v10
	v_lshlrev_b64 v[12:13], v11, v[60:61]
	v_lshrrev_b32_e32 v5, 3, v3
	v_sub_u32_e32 v10, 29, v10
	v_and_b32_e32 v11, 7, v12
	v_cmp_gt_u32_e64 s[8:9], 8, v3
	v_cndmask_b32_e64 v3, v5, v10, s[8:9]
	v_cndmask_b32_e64 v2, v2, v11, s[8:9]
	v_lshlrev_b32_e32 v5, 24, v60
	v_bfrev_b32_e32 v0, 60
	v_lshlrev_b32_e32 v2, 20, v2
	v_and_b32_e32 v5, 0x80000000, v5
	v_lshl_add_u32 v3, v3, 23, v0
	v_or3_b32 v2, v5, v3, v2
.LBB382_210:                            ;   in Loop: Header=BB382_13 Depth=1
	s_or_b64 exec, exec, s[36:37]
.LBB382_211:                            ;   in Loop: Header=BB382_13 Depth=1
	s_or_b64 exec, exec, s[34:35]
.LBB382_212:                            ;   in Loop: Header=BB382_13 Depth=1
	s_or_b64 exec, exec, s[30:31]
	v_mul_f32_e32 v2, v30, v2
	v_and_b32_e32 v3, 0x7f800000, v2
	v_cmp_ne_u32_e64 s[8:9], s41, v3
                                        ; implicit-def: $agpr28
	s_and_saveexec_b64 s[30:31], s[8:9]
	s_xor_b64 s[8:9], exec, s[30:31]
; %bb.213:                              ;   in Loop: Header=BB382_13 Depth=1
	v_bfe_u32 v3, v2, 16, 1
	v_add3_u32 v0, v2, v3, s42
	v_accvgpr_write_b32 a28, v0
                                        ; implicit-def: $vgpr2
; %bb.214:                              ;   in Loop: Header=BB382_13 Depth=1
	s_andn2_saveexec_b64 s[30:31], s[8:9]
; %bb.215:                              ;   in Loop: Header=BB382_13 Depth=1
	v_or_b32_e32 v3, 0x10000, v2
	v_cmp_eq_u32_sdwa s[8:9], v2, v4 src0_sel:WORD_0 src1_sel:DWORD
	v_cndmask_b32_e64 v0, v3, v2, s[8:9]
	v_accvgpr_write_b32 a28, v0
; %bb.216:                              ;   in Loop: Header=BB382_13 Depth=1
	s_or_b64 exec, exec, s[30:31]
	flat_load_dword v58, v[56:57] offset:1032
	v_mov_b32_e32 v2, 0
	s_waitcnt vmcnt(0) lgkmcnt(0)
	v_cmp_ne_u16_sdwa s[8:9], v58, v4 src0_sel:BYTE_0 src1_sel:DWORD
	s_and_saveexec_b64 s[30:31], s[8:9]
	s_cbranch_execz .LBB382_222
; %bb.217:                              ;   in Loop: Header=BB382_13 Depth=1
	v_cmp_ne_u16_sdwa s[8:9], v58, s39 src0_sel:BYTE_0 src1_sel:DWORD
	v_bfrev_b32_e32 v2, 1
	s_and_saveexec_b64 s[34:35], s[8:9]
	s_cbranch_execz .LBB382_221
; %bb.218:                              ;   in Loop: Header=BB382_13 Depth=1
	v_and_b32_e32 v3, 0x7f, v58
	v_cmp_ne_u32_e64 s[8:9], s40, v3
	v_mov_b32_e32 v2, 0x7f800001
	s_and_saveexec_b64 s[36:37], s[8:9]
	s_cbranch_execz .LBB382_220
; %bb.219:                              ;   in Loop: Header=BB382_13 Depth=1
	v_and_b32_e32 v2, 7, v58
	v_ffbh_u32_e32 v10, v2
	v_min_u32_e32 v10, 32, v10
	v_subrev_u32_e32 v11, 28, v10
	v_lshlrev_b64 v[12:13], v11, v[58:59]
	v_lshrrev_b32_e32 v5, 3, v3
	v_sub_u32_e32 v10, 29, v10
	v_and_b32_e32 v11, 7, v12
	v_cmp_gt_u32_e64 s[8:9], 8, v3
	v_cndmask_b32_e64 v3, v5, v10, s[8:9]
	v_cndmask_b32_e64 v2, v2, v11, s[8:9]
	v_lshlrev_b32_e32 v5, 24, v58
	v_bfrev_b32_e32 v0, 60
	v_lshlrev_b32_e32 v2, 20, v2
	v_and_b32_e32 v5, 0x80000000, v5
	v_lshl_add_u32 v3, v3, 23, v0
	v_or3_b32 v2, v5, v3, v2
.LBB382_220:                            ;   in Loop: Header=BB382_13 Depth=1
	s_or_b64 exec, exec, s[36:37]
.LBB382_221:                            ;   in Loop: Header=BB382_13 Depth=1
	s_or_b64 exec, exec, s[34:35]
.LBB382_222:                            ;   in Loop: Header=BB382_13 Depth=1
	s_or_b64 exec, exec, s[30:31]
	v_mul_f32_e32 v2, v30, v2
	v_and_b32_e32 v3, 0x7f800000, v2
	v_cmp_ne_u32_e64 s[8:9], s41, v3
                                        ; implicit-def: $agpr29
	s_and_saveexec_b64 s[30:31], s[8:9]
	s_xor_b64 s[8:9], exec, s[30:31]
; %bb.223:                              ;   in Loop: Header=BB382_13 Depth=1
	v_bfe_u32 v3, v2, 16, 1
	v_add3_u32 v0, v2, v3, s42
	v_accvgpr_write_b32 a29, v0
                                        ; implicit-def: $vgpr2
; %bb.224:                              ;   in Loop: Header=BB382_13 Depth=1
	s_andn2_saveexec_b64 s[30:31], s[8:9]
; %bb.225:                              ;   in Loop: Header=BB382_13 Depth=1
	v_or_b32_e32 v3, 0x10000, v2
	v_cmp_eq_u32_sdwa s[8:9], v2, v4 src0_sel:WORD_0 src1_sel:DWORD
	v_cndmask_b32_e64 v0, v3, v2, s[8:9]
	v_accvgpr_write_b32 a29, v0
; %bb.226:                              ;   in Loop: Header=BB382_13 Depth=1
	s_or_b64 exec, exec, s[30:31]
	v_lshrrev_b16_e32 v60, 8, v58
	v_cmp_ne_u16_e64 s[8:9], 0, v60
	v_mov_b32_e32 v2, 0
	s_and_saveexec_b64 s[30:31], s[8:9]
	s_cbranch_execz .LBB382_232
; %bb.227:                              ;   in Loop: Header=BB382_13 Depth=1
	v_cmp_ne_u16_e64 s[8:9], s39, v60
	v_bfrev_b32_e32 v2, 1
	s_and_saveexec_b64 s[34:35], s[8:9]
	s_cbranch_execz .LBB382_231
; %bb.228:                              ;   in Loop: Header=BB382_13 Depth=1
	v_and_b32_e32 v3, 0x7f, v60
	v_cmp_ne_u32_e64 s[8:9], s40, v3
	v_mov_b32_e32 v2, 0x7f800001
	s_and_saveexec_b64 s[36:37], s[8:9]
	s_cbranch_execz .LBB382_230
; %bb.229:                              ;   in Loop: Header=BB382_13 Depth=1
	v_and_b32_e32 v2, 7, v60
	v_ffbh_u32_e32 v10, v2
	v_min_u32_e32 v10, 32, v10
	v_subrev_u32_e32 v11, 28, v10
	v_lshlrev_b64 v[12:13], v11, v[60:61]
	v_lshrrev_b32_e32 v5, 3, v3
	v_sub_u32_e32 v10, 29, v10
	v_and_b32_e32 v11, 7, v12
	v_cmp_gt_u32_e64 s[8:9], 8, v3
	v_cndmask_b32_e64 v3, v5, v10, s[8:9]
	v_cndmask_b32_e64 v2, v2, v11, s[8:9]
	v_lshlrev_b32_e32 v5, 16, v58
	v_bfrev_b32_e32 v0, 60
	v_lshlrev_b32_e32 v2, 20, v2
	v_and_b32_e32 v5, 0x80000000, v5
	v_lshl_add_u32 v3, v3, 23, v0
	v_or3_b32 v2, v5, v3, v2
.LBB382_230:                            ;   in Loop: Header=BB382_13 Depth=1
	s_or_b64 exec, exec, s[36:37]
.LBB382_231:                            ;   in Loop: Header=BB382_13 Depth=1
	s_or_b64 exec, exec, s[34:35]
.LBB382_232:                            ;   in Loop: Header=BB382_13 Depth=1
	s_or_b64 exec, exec, s[30:31]
	v_mul_f32_e32 v2, v30, v2
	v_and_b32_e32 v3, 0x7f800000, v2
	v_cmp_ne_u32_e64 s[8:9], s41, v3
                                        ; implicit-def: $agpr26
	s_and_saveexec_b64 s[30:31], s[8:9]
	s_xor_b64 s[8:9], exec, s[30:31]
; %bb.233:                              ;   in Loop: Header=BB382_13 Depth=1
	v_bfe_u32 v3, v2, 16, 1
	v_add3_u32 v0, v2, v3, s42
	v_accvgpr_write_b32 a26, v0
                                        ; implicit-def: $vgpr2
; %bb.234:                              ;   in Loop: Header=BB382_13 Depth=1
	s_andn2_saveexec_b64 s[30:31], s[8:9]
; %bb.235:                              ;   in Loop: Header=BB382_13 Depth=1
	v_or_b32_e32 v3, 0x10000, v2
	v_cmp_eq_u32_sdwa s[8:9], v2, v4 src0_sel:WORD_0 src1_sel:DWORD
	v_cndmask_b32_e64 v0, v3, v2, s[8:9]
	v_accvgpr_write_b32 a26, v0
; %bb.236:                              ;   in Loop: Header=BB382_13 Depth=1
	s_or_b64 exec, exec, s[30:31]
	v_lshrrev_b32_e32 v60, 16, v58
	v_cmp_ne_u16_sdwa s[8:9], v60, v4 src0_sel:BYTE_0 src1_sel:DWORD
	v_mov_b32_e32 v2, 0
	s_and_saveexec_b64 s[30:31], s[8:9]
	s_cbranch_execz .LBB382_242
; %bb.237:                              ;   in Loop: Header=BB382_13 Depth=1
	v_cmp_ne_u16_sdwa s[8:9], v60, s39 src0_sel:BYTE_0 src1_sel:DWORD
	v_bfrev_b32_e32 v2, 1
	s_and_saveexec_b64 s[34:35], s[8:9]
	s_cbranch_execz .LBB382_241
; %bb.238:                              ;   in Loop: Header=BB382_13 Depth=1
	v_bfe_u32 v3, v58, 16, 7
	v_cmp_ne_u32_e64 s[8:9], s40, v3
	v_mov_b32_e32 v2, 0x7f800001
	s_and_saveexec_b64 s[36:37], s[8:9]
	s_cbranch_execz .LBB382_240
; %bb.239:                              ;   in Loop: Header=BB382_13 Depth=1
	v_and_b32_e32 v2, 7, v60
	v_ffbh_u32_e32 v10, v2
	v_min_u32_e32 v10, 32, v10
	v_subrev_u32_e32 v11, 28, v10
	v_lshlrev_b64 v[12:13], v11, v[60:61]
	v_lshrrev_b32_e32 v5, 3, v3
	v_sub_u32_e32 v10, 29, v10
	v_and_b32_e32 v11, 7, v12
	v_cmp_gt_u32_e64 s[8:9], 8, v3
	v_cndmask_b32_e64 v3, v5, v10, s[8:9]
	v_cndmask_b32_e64 v2, v2, v11, s[8:9]
	v_lshlrev_b32_e32 v5, 24, v60
	v_bfrev_b32_e32 v0, 60
	v_lshlrev_b32_e32 v2, 20, v2
	v_and_b32_e32 v5, 0x80000000, v5
	v_lshl_add_u32 v3, v3, 23, v0
	v_or3_b32 v2, v5, v3, v2
.LBB382_240:                            ;   in Loop: Header=BB382_13 Depth=1
	s_or_b64 exec, exec, s[36:37]
.LBB382_241:                            ;   in Loop: Header=BB382_13 Depth=1
	s_or_b64 exec, exec, s[34:35]
.LBB382_242:                            ;   in Loop: Header=BB382_13 Depth=1
	s_or_b64 exec, exec, s[30:31]
	v_mul_f32_e32 v2, v30, v2
	v_and_b32_e32 v3, 0x7f800000, v2
	v_cmp_ne_u32_e64 s[8:9], s41, v3
                                        ; implicit-def: $agpr36
	s_and_saveexec_b64 s[30:31], s[8:9]
	s_xor_b64 s[8:9], exec, s[30:31]
; %bb.243:                              ;   in Loop: Header=BB382_13 Depth=1
	v_bfe_u32 v3, v2, 16, 1
	v_add3_u32 v0, v2, v3, s42
	v_accvgpr_write_b32 a36, v0
                                        ; implicit-def: $vgpr2
; %bb.244:                              ;   in Loop: Header=BB382_13 Depth=1
	s_andn2_saveexec_b64 s[30:31], s[8:9]
; %bb.245:                              ;   in Loop: Header=BB382_13 Depth=1
	v_or_b32_e32 v3, 0x10000, v2
	v_cmp_eq_u32_sdwa s[8:9], v2, v4 src0_sel:WORD_0 src1_sel:DWORD
	v_cndmask_b32_e64 v0, v3, v2, s[8:9]
	v_accvgpr_write_b32 a36, v0
; %bb.246:                              ;   in Loop: Header=BB382_13 Depth=1
	s_or_b64 exec, exec, s[30:31]
	v_cmp_lt_u32_e64 s[8:9], s43, v58
	v_mov_b32_e32 v2, 0
	s_and_saveexec_b64 s[30:31], s[8:9]
	s_cbranch_execz .LBB382_252
; %bb.247:                              ;   in Loop: Header=BB382_13 Depth=1
	v_lshrrev_b32_e32 v60, 24, v58
	v_cmp_ne_u32_e64 s[8:9], s39, v60
	v_bfrev_b32_e32 v2, 1
	s_and_saveexec_b64 s[34:35], s[8:9]
	s_cbranch_execz .LBB382_251
; %bb.248:                              ;   in Loop: Header=BB382_13 Depth=1
	v_bfe_u32 v3, v58, 24, 7
	v_cmp_ne_u32_e64 s[8:9], s40, v3
	v_mov_b32_e32 v2, 0x7f800001
	s_and_saveexec_b64 s[36:37], s[8:9]
	s_cbranch_execz .LBB382_250
; %bb.249:                              ;   in Loop: Header=BB382_13 Depth=1
	v_and_b32_e32 v2, 7, v60
	v_ffbh_u32_e32 v10, v2
	v_min_u32_e32 v10, 32, v10
	v_subrev_u32_e32 v11, 28, v10
	v_lshlrev_b64 v[12:13], v11, v[60:61]
	v_lshrrev_b32_e32 v5, 3, v3
	v_sub_u32_e32 v10, 29, v10
	v_and_b32_e32 v11, 7, v12
	v_cmp_gt_u32_e64 s[8:9], 8, v3
	v_cndmask_b32_e64 v3, v5, v10, s[8:9]
	v_cndmask_b32_e64 v2, v2, v11, s[8:9]
	v_lshlrev_b32_e32 v5, 24, v60
	v_bfrev_b32_e32 v0, 60
	v_lshlrev_b32_e32 v2, 20, v2
	v_and_b32_e32 v5, 0x80000000, v5
	v_lshl_add_u32 v3, v3, 23, v0
	v_or3_b32 v2, v5, v3, v2
.LBB382_250:                            ;   in Loop: Header=BB382_13 Depth=1
	s_or_b64 exec, exec, s[36:37]
.LBB382_251:                            ;   in Loop: Header=BB382_13 Depth=1
	s_or_b64 exec, exec, s[34:35]
.LBB382_252:                            ;   in Loop: Header=BB382_13 Depth=1
	s_or_b64 exec, exec, s[30:31]
	v_mul_f32_e32 v2, v30, v2
	v_and_b32_e32 v3, 0x7f800000, v2
	v_cmp_ne_u32_e64 s[8:9], s41, v3
                                        ; implicit-def: $agpr15
	s_and_saveexec_b64 s[30:31], s[8:9]
	s_xor_b64 s[8:9], exec, s[30:31]
; %bb.253:                              ;   in Loop: Header=BB382_13 Depth=1
	v_bfe_u32 v3, v2, 16, 1
	v_add3_u32 v0, v2, v3, s42
	v_accvgpr_write_b32 a15, v0
                                        ; implicit-def: $vgpr2
; %bb.254:                              ;   in Loop: Header=BB382_13 Depth=1
	s_andn2_saveexec_b64 s[30:31], s[8:9]
; %bb.255:                              ;   in Loop: Header=BB382_13 Depth=1
	v_or_b32_e32 v3, 0x10000, v2
	v_cmp_eq_u32_sdwa s[8:9], v2, v4 src0_sel:WORD_0 src1_sel:DWORD
	v_cndmask_b32_e64 v0, v3, v2, s[8:9]
	v_accvgpr_write_b32 a15, v0
; %bb.256:                              ;   in Loop: Header=BB382_13 Depth=1
	s_or_b64 exec, exec, s[30:31]
	flat_load_dword v58, v[56:57] offset:1536
	v_mov_b32_e32 v2, 0
	s_waitcnt vmcnt(0) lgkmcnt(0)
	v_cmp_ne_u16_sdwa s[8:9], v58, v4 src0_sel:BYTE_0 src1_sel:DWORD
	s_and_saveexec_b64 s[30:31], s[8:9]
	s_cbranch_execz .LBB382_262
; %bb.257:                              ;   in Loop: Header=BB382_13 Depth=1
	v_cmp_ne_u16_sdwa s[8:9], v58, s39 src0_sel:BYTE_0 src1_sel:DWORD
	v_bfrev_b32_e32 v2, 1
	s_and_saveexec_b64 s[34:35], s[8:9]
	s_cbranch_execz .LBB382_261
; %bb.258:                              ;   in Loop: Header=BB382_13 Depth=1
	v_and_b32_e32 v3, 0x7f, v58
	v_cmp_ne_u32_e64 s[8:9], s40, v3
	v_mov_b32_e32 v2, 0x7f800001
	s_and_saveexec_b64 s[36:37], s[8:9]
	s_cbranch_execz .LBB382_260
; %bb.259:                              ;   in Loop: Header=BB382_13 Depth=1
	v_and_b32_e32 v2, 7, v58
	v_ffbh_u32_e32 v10, v2
	v_min_u32_e32 v10, 32, v10
	v_subrev_u32_e32 v11, 28, v10
	v_lshlrev_b64 v[12:13], v11, v[58:59]
	v_lshrrev_b32_e32 v5, 3, v3
	v_sub_u32_e32 v10, 29, v10
	v_and_b32_e32 v11, 7, v12
	v_cmp_gt_u32_e64 s[8:9], 8, v3
	v_cndmask_b32_e64 v3, v5, v10, s[8:9]
	v_cndmask_b32_e64 v2, v2, v11, s[8:9]
	v_lshlrev_b32_e32 v5, 24, v58
	v_bfrev_b32_e32 v0, 60
	v_lshlrev_b32_e32 v2, 20, v2
	v_and_b32_e32 v5, 0x80000000, v5
	v_lshl_add_u32 v3, v3, 23, v0
	v_or3_b32 v2, v5, v3, v2
.LBB382_260:                            ;   in Loop: Header=BB382_13 Depth=1
	s_or_b64 exec, exec, s[36:37]
.LBB382_261:                            ;   in Loop: Header=BB382_13 Depth=1
	s_or_b64 exec, exec, s[34:35]
.LBB382_262:                            ;   in Loop: Header=BB382_13 Depth=1
	s_or_b64 exec, exec, s[30:31]
	v_mul_f32_e32 v2, v30, v2
	v_and_b32_e32 v3, 0x7f800000, v2
	v_cmp_ne_u32_e64 s[8:9], s41, v3
                                        ; implicit-def: $agpr0
	s_and_saveexec_b64 s[30:31], s[8:9]
	s_xor_b64 s[8:9], exec, s[30:31]
; %bb.263:                              ;   in Loop: Header=BB382_13 Depth=1
	v_bfe_u32 v3, v2, 16, 1
	v_add3_u32 v0, v2, v3, s42
	v_accvgpr_write_b32 a0, v0
                                        ; implicit-def: $vgpr2
; %bb.264:                              ;   in Loop: Header=BB382_13 Depth=1
	s_andn2_saveexec_b64 s[30:31], s[8:9]
; %bb.265:                              ;   in Loop: Header=BB382_13 Depth=1
	v_or_b32_e32 v3, 0x10000, v2
	v_cmp_eq_u32_sdwa s[8:9], v2, v4 src0_sel:WORD_0 src1_sel:DWORD
	v_cndmask_b32_e64 v0, v3, v2, s[8:9]
	v_accvgpr_write_b32 a0, v0
; %bb.266:                              ;   in Loop: Header=BB382_13 Depth=1
	s_or_b64 exec, exec, s[30:31]
	v_lshrrev_b16_e32 v60, 8, v58
	v_cmp_ne_u16_e64 s[8:9], 0, v60
	v_mov_b32_e32 v2, 0
	s_and_saveexec_b64 s[30:31], s[8:9]
	s_cbranch_execz .LBB382_272
; %bb.267:                              ;   in Loop: Header=BB382_13 Depth=1
	v_cmp_ne_u16_e64 s[8:9], s39, v60
	v_bfrev_b32_e32 v2, 1
	s_and_saveexec_b64 s[34:35], s[8:9]
	s_cbranch_execz .LBB382_271
; %bb.268:                              ;   in Loop: Header=BB382_13 Depth=1
	v_and_b32_e32 v3, 0x7f, v60
	v_cmp_ne_u32_e64 s[8:9], s40, v3
	v_mov_b32_e32 v2, 0x7f800001
	s_and_saveexec_b64 s[36:37], s[8:9]
	s_cbranch_execz .LBB382_270
; %bb.269:                              ;   in Loop: Header=BB382_13 Depth=1
	v_and_b32_e32 v2, 7, v60
	v_ffbh_u32_e32 v10, v2
	v_min_u32_e32 v10, 32, v10
	v_subrev_u32_e32 v11, 28, v10
	v_lshlrev_b64 v[12:13], v11, v[60:61]
	v_lshrrev_b32_e32 v5, 3, v3
	v_sub_u32_e32 v10, 29, v10
	v_and_b32_e32 v11, 7, v12
	v_cmp_gt_u32_e64 s[8:9], 8, v3
	v_cndmask_b32_e64 v3, v5, v10, s[8:9]
	v_cndmask_b32_e64 v2, v2, v11, s[8:9]
	v_lshlrev_b32_e32 v5, 16, v58
	v_bfrev_b32_e32 v0, 60
	v_lshlrev_b32_e32 v2, 20, v2
	v_and_b32_e32 v5, 0x80000000, v5
	v_lshl_add_u32 v3, v3, 23, v0
	v_or3_b32 v2, v5, v3, v2
.LBB382_270:                            ;   in Loop: Header=BB382_13 Depth=1
	s_or_b64 exec, exec, s[36:37]
.LBB382_271:                            ;   in Loop: Header=BB382_13 Depth=1
	s_or_b64 exec, exec, s[34:35]
.LBB382_272:                            ;   in Loop: Header=BB382_13 Depth=1
	s_or_b64 exec, exec, s[30:31]
	v_mul_f32_e32 v2, v30, v2
	v_and_b32_e32 v3, 0x7f800000, v2
	v_cmp_ne_u32_e64 s[8:9], s41, v3
                                        ; implicit-def: $agpr1
	s_and_saveexec_b64 s[30:31], s[8:9]
	s_xor_b64 s[8:9], exec, s[30:31]
; %bb.273:                              ;   in Loop: Header=BB382_13 Depth=1
	v_bfe_u32 v3, v2, 16, 1
	v_add3_u32 v0, v2, v3, s42
	v_accvgpr_write_b32 a1, v0
                                        ; implicit-def: $vgpr2
; %bb.274:                              ;   in Loop: Header=BB382_13 Depth=1
	s_andn2_saveexec_b64 s[30:31], s[8:9]
; %bb.275:                              ;   in Loop: Header=BB382_13 Depth=1
	v_or_b32_e32 v3, 0x10000, v2
	v_cmp_eq_u32_sdwa s[8:9], v2, v4 src0_sel:WORD_0 src1_sel:DWORD
	v_cndmask_b32_e64 v0, v3, v2, s[8:9]
	v_accvgpr_write_b32 a1, v0
; %bb.276:                              ;   in Loop: Header=BB382_13 Depth=1
	s_or_b64 exec, exec, s[30:31]
	v_lshrrev_b32_e32 v60, 16, v58
	v_cmp_ne_u16_sdwa s[8:9], v60, v4 src0_sel:BYTE_0 src1_sel:DWORD
	v_mov_b32_e32 v2, 0
	s_and_saveexec_b64 s[30:31], s[8:9]
	s_cbranch_execz .LBB382_282
; %bb.277:                              ;   in Loop: Header=BB382_13 Depth=1
	v_cmp_ne_u16_sdwa s[8:9], v60, s39 src0_sel:BYTE_0 src1_sel:DWORD
	v_bfrev_b32_e32 v2, 1
	s_and_saveexec_b64 s[34:35], s[8:9]
	s_cbranch_execz .LBB382_281
; %bb.278:                              ;   in Loop: Header=BB382_13 Depth=1
	v_bfe_u32 v3, v58, 16, 7
	v_cmp_ne_u32_e64 s[8:9], s40, v3
	v_mov_b32_e32 v2, 0x7f800001
	s_and_saveexec_b64 s[36:37], s[8:9]
	s_cbranch_execz .LBB382_280
; %bb.279:                              ;   in Loop: Header=BB382_13 Depth=1
	v_and_b32_e32 v2, 7, v60
	v_ffbh_u32_e32 v10, v2
	v_min_u32_e32 v10, 32, v10
	v_subrev_u32_e32 v11, 28, v10
	v_lshlrev_b64 v[12:13], v11, v[60:61]
	v_lshrrev_b32_e32 v5, 3, v3
	v_sub_u32_e32 v10, 29, v10
	v_and_b32_e32 v11, 7, v12
	v_cmp_gt_u32_e64 s[8:9], 8, v3
	v_cndmask_b32_e64 v3, v5, v10, s[8:9]
	v_cndmask_b32_e64 v2, v2, v11, s[8:9]
	v_lshlrev_b32_e32 v5, 24, v60
	v_bfrev_b32_e32 v0, 60
	v_lshlrev_b32_e32 v2, 20, v2
	v_and_b32_e32 v5, 0x80000000, v5
	v_lshl_add_u32 v3, v3, 23, v0
	v_or3_b32 v2, v5, v3, v2
.LBB382_280:                            ;   in Loop: Header=BB382_13 Depth=1
	s_or_b64 exec, exec, s[36:37]
.LBB382_281:                            ;   in Loop: Header=BB382_13 Depth=1
	s_or_b64 exec, exec, s[34:35]
.LBB382_282:                            ;   in Loop: Header=BB382_13 Depth=1
	s_or_b64 exec, exec, s[30:31]
	v_mul_f32_e32 v2, v30, v2
	v_and_b32_e32 v3, 0x7f800000, v2
	v_cmp_ne_u32_e64 s[8:9], s41, v3
                                        ; implicit-def: $agpr24
	s_and_saveexec_b64 s[30:31], s[8:9]
	s_xor_b64 s[8:9], exec, s[30:31]
; %bb.283:                              ;   in Loop: Header=BB382_13 Depth=1
	v_bfe_u32 v3, v2, 16, 1
	v_add3_u32 v0, v2, v3, s42
	v_accvgpr_write_b32 a24, v0
                                        ; implicit-def: $vgpr2
; %bb.284:                              ;   in Loop: Header=BB382_13 Depth=1
	s_andn2_saveexec_b64 s[30:31], s[8:9]
; %bb.285:                              ;   in Loop: Header=BB382_13 Depth=1
	v_or_b32_e32 v3, 0x10000, v2
	v_cmp_eq_u32_sdwa s[8:9], v2, v4 src0_sel:WORD_0 src1_sel:DWORD
	v_cndmask_b32_e64 v0, v3, v2, s[8:9]
	v_accvgpr_write_b32 a24, v0
; %bb.286:                              ;   in Loop: Header=BB382_13 Depth=1
	s_or_b64 exec, exec, s[30:31]
	v_cmp_lt_u32_e64 s[8:9], s43, v58
	v_mov_b32_e32 v2, 0
	s_and_saveexec_b64 s[30:31], s[8:9]
	s_cbranch_execz .LBB382_292
; %bb.287:                              ;   in Loop: Header=BB382_13 Depth=1
	v_lshrrev_b32_e32 v60, 24, v58
	v_cmp_ne_u32_e64 s[8:9], s39, v60
	v_bfrev_b32_e32 v2, 1
	s_and_saveexec_b64 s[34:35], s[8:9]
	s_cbranch_execz .LBB382_291
; %bb.288:                              ;   in Loop: Header=BB382_13 Depth=1
	v_bfe_u32 v3, v58, 24, 7
	v_cmp_ne_u32_e64 s[8:9], s40, v3
	v_mov_b32_e32 v2, 0x7f800001
	s_and_saveexec_b64 s[36:37], s[8:9]
	s_cbranch_execz .LBB382_290
; %bb.289:                              ;   in Loop: Header=BB382_13 Depth=1
	v_and_b32_e32 v2, 7, v60
	v_ffbh_u32_e32 v10, v2
	v_min_u32_e32 v10, 32, v10
	v_subrev_u32_e32 v11, 28, v10
	v_lshlrev_b64 v[12:13], v11, v[60:61]
	v_lshrrev_b32_e32 v5, 3, v3
	v_sub_u32_e32 v10, 29, v10
	v_and_b32_e32 v11, 7, v12
	v_cmp_gt_u32_e64 s[8:9], 8, v3
	v_cndmask_b32_e64 v3, v5, v10, s[8:9]
	v_cndmask_b32_e64 v2, v2, v11, s[8:9]
	v_lshlrev_b32_e32 v5, 24, v60
	v_bfrev_b32_e32 v0, 60
	v_lshlrev_b32_e32 v2, 20, v2
	v_and_b32_e32 v5, 0x80000000, v5
	v_lshl_add_u32 v3, v3, 23, v0
	v_or3_b32 v2, v5, v3, v2
.LBB382_290:                            ;   in Loop: Header=BB382_13 Depth=1
	s_or_b64 exec, exec, s[36:37]
.LBB382_291:                            ;   in Loop: Header=BB382_13 Depth=1
	s_or_b64 exec, exec, s[34:35]
.LBB382_292:                            ;   in Loop: Header=BB382_13 Depth=1
	s_or_b64 exec, exec, s[30:31]
	v_mul_f32_e32 v2, v30, v2
	v_and_b32_e32 v3, 0x7f800000, v2
	v_cmp_ne_u32_e64 s[8:9], s41, v3
                                        ; implicit-def: $agpr22
	s_and_saveexec_b64 s[30:31], s[8:9]
	s_xor_b64 s[8:9], exec, s[30:31]
; %bb.293:                              ;   in Loop: Header=BB382_13 Depth=1
	v_bfe_u32 v3, v2, 16, 1
	v_add3_u32 v0, v2, v3, s42
	v_accvgpr_write_b32 a22, v0
                                        ; implicit-def: $vgpr2
; %bb.294:                              ;   in Loop: Header=BB382_13 Depth=1
	s_andn2_saveexec_b64 s[30:31], s[8:9]
; %bb.295:                              ;   in Loop: Header=BB382_13 Depth=1
	v_or_b32_e32 v3, 0x10000, v2
	v_cmp_eq_u32_sdwa s[8:9], v2, v4 src0_sel:WORD_0 src1_sel:DWORD
	v_cndmask_b32_e64 v0, v3, v2, s[8:9]
	v_accvgpr_write_b32 a22, v0
; %bb.296:                              ;   in Loop: Header=BB382_13 Depth=1
	s_or_b64 exec, exec, s[30:31]
	flat_load_dword v58, v[56:57] offset:1544
	v_mov_b32_e32 v2, 0
	s_waitcnt vmcnt(0) lgkmcnt(0)
	v_cmp_ne_u16_sdwa s[8:9], v58, v4 src0_sel:BYTE_0 src1_sel:DWORD
	s_and_saveexec_b64 s[30:31], s[8:9]
	s_cbranch_execz .LBB382_302
; %bb.297:                              ;   in Loop: Header=BB382_13 Depth=1
	v_cmp_ne_u16_sdwa s[8:9], v58, s39 src0_sel:BYTE_0 src1_sel:DWORD
	v_bfrev_b32_e32 v2, 1
	s_and_saveexec_b64 s[34:35], s[8:9]
	s_cbranch_execz .LBB382_301
; %bb.298:                              ;   in Loop: Header=BB382_13 Depth=1
	v_and_b32_e32 v3, 0x7f, v58
	v_cmp_ne_u32_e64 s[8:9], s40, v3
	v_mov_b32_e32 v2, 0x7f800001
	s_and_saveexec_b64 s[36:37], s[8:9]
	s_cbranch_execz .LBB382_300
; %bb.299:                              ;   in Loop: Header=BB382_13 Depth=1
	v_and_b32_e32 v2, 7, v58
	v_ffbh_u32_e32 v10, v2
	v_min_u32_e32 v10, 32, v10
	v_subrev_u32_e32 v11, 28, v10
	v_lshlrev_b64 v[12:13], v11, v[58:59]
	v_lshrrev_b32_e32 v5, 3, v3
	v_sub_u32_e32 v10, 29, v10
	v_and_b32_e32 v11, 7, v12
	v_cmp_gt_u32_e64 s[8:9], 8, v3
	v_cndmask_b32_e64 v3, v5, v10, s[8:9]
	v_cndmask_b32_e64 v2, v2, v11, s[8:9]
	v_lshlrev_b32_e32 v5, 24, v58
	v_bfrev_b32_e32 v0, 60
	v_lshlrev_b32_e32 v2, 20, v2
	v_and_b32_e32 v5, 0x80000000, v5
	v_lshl_add_u32 v3, v3, 23, v0
	v_or3_b32 v2, v5, v3, v2
.LBB382_300:                            ;   in Loop: Header=BB382_13 Depth=1
	s_or_b64 exec, exec, s[36:37]
.LBB382_301:                            ;   in Loop: Header=BB382_13 Depth=1
	s_or_b64 exec, exec, s[34:35]
.LBB382_302:                            ;   in Loop: Header=BB382_13 Depth=1
	s_or_b64 exec, exec, s[30:31]
	v_mul_f32_e32 v2, v30, v2
	v_and_b32_e32 v3, 0x7f800000, v2
	v_cmp_ne_u32_e64 s[8:9], s41, v3
                                        ; implicit-def: $agpr23
	s_and_saveexec_b64 s[30:31], s[8:9]
	s_xor_b64 s[8:9], exec, s[30:31]
; %bb.303:                              ;   in Loop: Header=BB382_13 Depth=1
	v_bfe_u32 v3, v2, 16, 1
	v_add3_u32 v0, v2, v3, s42
	v_accvgpr_write_b32 a23, v0
                                        ; implicit-def: $vgpr2
; %bb.304:                              ;   in Loop: Header=BB382_13 Depth=1
	s_andn2_saveexec_b64 s[30:31], s[8:9]
; %bb.305:                              ;   in Loop: Header=BB382_13 Depth=1
	v_or_b32_e32 v3, 0x10000, v2
	v_cmp_eq_u32_sdwa s[8:9], v2, v4 src0_sel:WORD_0 src1_sel:DWORD
	v_cndmask_b32_e64 v0, v3, v2, s[8:9]
	v_accvgpr_write_b32 a23, v0
; %bb.306:                              ;   in Loop: Header=BB382_13 Depth=1
	s_or_b64 exec, exec, s[30:31]
	v_lshrrev_b16_e32 v60, 8, v58
	v_cmp_ne_u16_e64 s[8:9], 0, v60
	v_mov_b32_e32 v2, 0
	s_and_saveexec_b64 s[30:31], s[8:9]
	s_cbranch_execz .LBB382_312
; %bb.307:                              ;   in Loop: Header=BB382_13 Depth=1
	v_cmp_ne_u16_e64 s[8:9], s39, v60
	v_bfrev_b32_e32 v2, 1
	s_and_saveexec_b64 s[34:35], s[8:9]
	s_cbranch_execz .LBB382_311
; %bb.308:                              ;   in Loop: Header=BB382_13 Depth=1
	v_and_b32_e32 v3, 0x7f, v60
	v_cmp_ne_u32_e64 s[8:9], s40, v3
	v_mov_b32_e32 v2, 0x7f800001
	s_and_saveexec_b64 s[36:37], s[8:9]
	s_cbranch_execz .LBB382_310
; %bb.309:                              ;   in Loop: Header=BB382_13 Depth=1
	v_and_b32_e32 v2, 7, v60
	v_ffbh_u32_e32 v10, v2
	v_min_u32_e32 v10, 32, v10
	v_subrev_u32_e32 v11, 28, v10
	v_lshlrev_b64 v[12:13], v11, v[60:61]
	v_lshrrev_b32_e32 v5, 3, v3
	v_sub_u32_e32 v10, 29, v10
	v_and_b32_e32 v11, 7, v12
	v_cmp_gt_u32_e64 s[8:9], 8, v3
	v_cndmask_b32_e64 v3, v5, v10, s[8:9]
	v_cndmask_b32_e64 v2, v2, v11, s[8:9]
	v_lshlrev_b32_e32 v5, 16, v58
	v_bfrev_b32_e32 v0, 60
	v_lshlrev_b32_e32 v2, 20, v2
	v_and_b32_e32 v5, 0x80000000, v5
	v_lshl_add_u32 v3, v3, 23, v0
	v_or3_b32 v2, v5, v3, v2
.LBB382_310:                            ;   in Loop: Header=BB382_13 Depth=1
	s_or_b64 exec, exec, s[36:37]
.LBB382_311:                            ;   in Loop: Header=BB382_13 Depth=1
	s_or_b64 exec, exec, s[34:35]
.LBB382_312:                            ;   in Loop: Header=BB382_13 Depth=1
	s_or_b64 exec, exec, s[30:31]
	v_mul_f32_e32 v2, v30, v2
	v_and_b32_e32 v3, 0x7f800000, v2
	v_cmp_ne_u32_e64 s[8:9], s41, v3
                                        ; implicit-def: $agpr20
	s_and_saveexec_b64 s[30:31], s[8:9]
	s_xor_b64 s[8:9], exec, s[30:31]
; %bb.313:                              ;   in Loop: Header=BB382_13 Depth=1
	v_bfe_u32 v3, v2, 16, 1
	v_add3_u32 v0, v2, v3, s42
	v_accvgpr_write_b32 a20, v0
                                        ; implicit-def: $vgpr2
; %bb.314:                              ;   in Loop: Header=BB382_13 Depth=1
	s_andn2_saveexec_b64 s[30:31], s[8:9]
; %bb.315:                              ;   in Loop: Header=BB382_13 Depth=1
	v_or_b32_e32 v3, 0x10000, v2
	v_cmp_eq_u32_sdwa s[8:9], v2, v4 src0_sel:WORD_0 src1_sel:DWORD
	v_cndmask_b32_e64 v0, v3, v2, s[8:9]
	v_accvgpr_write_b32 a20, v0
; %bb.316:                              ;   in Loop: Header=BB382_13 Depth=1
	s_or_b64 exec, exec, s[30:31]
	v_lshrrev_b32_e32 v60, 16, v58
	v_cmp_ne_u16_sdwa s[8:9], v60, v4 src0_sel:BYTE_0 src1_sel:DWORD
	v_mov_b32_e32 v2, 0
	s_and_saveexec_b64 s[30:31], s[8:9]
	s_cbranch_execz .LBB382_322
; %bb.317:                              ;   in Loop: Header=BB382_13 Depth=1
	v_cmp_ne_u16_sdwa s[8:9], v60, s39 src0_sel:BYTE_0 src1_sel:DWORD
	v_bfrev_b32_e32 v2, 1
	s_and_saveexec_b64 s[34:35], s[8:9]
	s_cbranch_execz .LBB382_321
; %bb.318:                              ;   in Loop: Header=BB382_13 Depth=1
	v_bfe_u32 v3, v58, 16, 7
	v_cmp_ne_u32_e64 s[8:9], s40, v3
	v_mov_b32_e32 v2, 0x7f800001
	s_and_saveexec_b64 s[36:37], s[8:9]
	s_cbranch_execz .LBB382_320
; %bb.319:                              ;   in Loop: Header=BB382_13 Depth=1
	v_and_b32_e32 v2, 7, v60
	v_ffbh_u32_e32 v10, v2
	v_min_u32_e32 v10, 32, v10
	v_subrev_u32_e32 v11, 28, v10
	v_lshlrev_b64 v[12:13], v11, v[60:61]
	v_lshrrev_b32_e32 v5, 3, v3
	v_sub_u32_e32 v10, 29, v10
	v_and_b32_e32 v11, 7, v12
	v_cmp_gt_u32_e64 s[8:9], 8, v3
	v_cndmask_b32_e64 v3, v5, v10, s[8:9]
	v_cndmask_b32_e64 v2, v2, v11, s[8:9]
	v_lshlrev_b32_e32 v5, 24, v60
	v_bfrev_b32_e32 v0, 60
	v_lshlrev_b32_e32 v2, 20, v2
	v_and_b32_e32 v5, 0x80000000, v5
	v_lshl_add_u32 v3, v3, 23, v0
	v_or3_b32 v2, v5, v3, v2
.LBB382_320:                            ;   in Loop: Header=BB382_13 Depth=1
	s_or_b64 exec, exec, s[36:37]
.LBB382_321:                            ;   in Loop: Header=BB382_13 Depth=1
	s_or_b64 exec, exec, s[34:35]
.LBB382_322:                            ;   in Loop: Header=BB382_13 Depth=1
	s_or_b64 exec, exec, s[30:31]
	v_mul_f32_e32 v2, v30, v2
	v_and_b32_e32 v3, 0x7f800000, v2
	v_cmp_ne_u32_e64 s[8:9], s41, v3
                                        ; implicit-def: $agpr21
	s_and_saveexec_b64 s[30:31], s[8:9]
	s_xor_b64 s[8:9], exec, s[30:31]
; %bb.323:                              ;   in Loop: Header=BB382_13 Depth=1
	v_bfe_u32 v3, v2, 16, 1
	v_add3_u32 v0, v2, v3, s42
	v_accvgpr_write_b32 a21, v0
                                        ; implicit-def: $vgpr2
; %bb.324:                              ;   in Loop: Header=BB382_13 Depth=1
	s_andn2_saveexec_b64 s[30:31], s[8:9]
; %bb.325:                              ;   in Loop: Header=BB382_13 Depth=1
	v_or_b32_e32 v3, 0x10000, v2
	v_cmp_eq_u32_sdwa s[8:9], v2, v4 src0_sel:WORD_0 src1_sel:DWORD
	v_cndmask_b32_e64 v0, v3, v2, s[8:9]
	v_accvgpr_write_b32 a21, v0
; %bb.326:                              ;   in Loop: Header=BB382_13 Depth=1
	s_or_b64 exec, exec, s[30:31]
	v_cmp_lt_u32_e64 s[8:9], s43, v58
	v_mov_b32_e32 v2, 0
	s_and_saveexec_b64 s[30:31], s[8:9]
	s_cbranch_execz .LBB382_332
; %bb.327:                              ;   in Loop: Header=BB382_13 Depth=1
	v_lshrrev_b32_e32 v60, 24, v58
	v_cmp_ne_u32_e64 s[8:9], s39, v60
	v_bfrev_b32_e32 v2, 1
	s_and_saveexec_b64 s[34:35], s[8:9]
	s_cbranch_execz .LBB382_331
; %bb.328:                              ;   in Loop: Header=BB382_13 Depth=1
	v_bfe_u32 v3, v58, 24, 7
	v_cmp_ne_u32_e64 s[8:9], s40, v3
	v_mov_b32_e32 v2, 0x7f800001
	s_and_saveexec_b64 s[36:37], s[8:9]
	s_cbranch_execz .LBB382_330
; %bb.329:                              ;   in Loop: Header=BB382_13 Depth=1
	v_and_b32_e32 v2, 7, v60
	v_ffbh_u32_e32 v10, v2
	v_min_u32_e32 v10, 32, v10
	v_subrev_u32_e32 v11, 28, v10
	v_lshlrev_b64 v[12:13], v11, v[60:61]
	v_lshrrev_b32_e32 v5, 3, v3
	v_sub_u32_e32 v10, 29, v10
	v_and_b32_e32 v11, 7, v12
	v_cmp_gt_u32_e64 s[8:9], 8, v3
	v_cndmask_b32_e64 v3, v5, v10, s[8:9]
	v_cndmask_b32_e64 v2, v2, v11, s[8:9]
	v_lshlrev_b32_e32 v5, 24, v60
	v_bfrev_b32_e32 v0, 60
	v_lshlrev_b32_e32 v2, 20, v2
	v_and_b32_e32 v5, 0x80000000, v5
	v_lshl_add_u32 v3, v3, 23, v0
	v_or3_b32 v2, v5, v3, v2
.LBB382_330:                            ;   in Loop: Header=BB382_13 Depth=1
	s_or_b64 exec, exec, s[36:37]
.LBB382_331:                            ;   in Loop: Header=BB382_13 Depth=1
	s_or_b64 exec, exec, s[34:35]
.LBB382_332:                            ;   in Loop: Header=BB382_13 Depth=1
	s_or_b64 exec, exec, s[30:31]
	v_mul_f32_e32 v2, v30, v2
	v_and_b32_e32 v3, 0x7f800000, v2
	v_cmp_ne_u32_e64 s[8:9], s41, v3
                                        ; implicit-def: $agpr19
	s_and_saveexec_b64 s[30:31], s[8:9]
	s_xor_b64 s[8:9], exec, s[30:31]
; %bb.333:                              ;   in Loop: Header=BB382_13 Depth=1
	v_bfe_u32 v3, v2, 16, 1
	v_add3_u32 v0, v2, v3, s42
	v_accvgpr_write_b32 a19, v0
                                        ; implicit-def: $vgpr2
; %bb.334:                              ;   in Loop: Header=BB382_13 Depth=1
	s_andn2_saveexec_b64 s[30:31], s[8:9]
; %bb.335:                              ;   in Loop: Header=BB382_13 Depth=1
	v_or_b32_e32 v3, 0x10000, v2
	v_cmp_eq_u32_sdwa s[8:9], v2, v4 src0_sel:WORD_0 src1_sel:DWORD
	v_cndmask_b32_e64 v0, v3, v2, s[8:9]
	v_accvgpr_write_b32 a19, v0
; %bb.336:                              ;   in Loop: Header=BB382_13 Depth=1
	s_or_b64 exec, exec, s[30:31]
	flat_load_dword v58, v[56:57] offset:2048
	v_mov_b32_e32 v2, 0
	s_waitcnt vmcnt(0) lgkmcnt(0)
	v_cmp_ne_u16_sdwa s[8:9], v58, v4 src0_sel:BYTE_0 src1_sel:DWORD
	s_and_saveexec_b64 s[30:31], s[8:9]
	s_cbranch_execz .LBB382_342
; %bb.337:                              ;   in Loop: Header=BB382_13 Depth=1
	v_cmp_ne_u16_sdwa s[8:9], v58, s39 src0_sel:BYTE_0 src1_sel:DWORD
	v_bfrev_b32_e32 v2, 1
	s_and_saveexec_b64 s[34:35], s[8:9]
	s_cbranch_execz .LBB382_341
; %bb.338:                              ;   in Loop: Header=BB382_13 Depth=1
	v_and_b32_e32 v3, 0x7f, v58
	v_cmp_ne_u32_e64 s[8:9], s40, v3
	v_mov_b32_e32 v2, 0x7f800001
	s_and_saveexec_b64 s[36:37], s[8:9]
	s_cbranch_execz .LBB382_340
; %bb.339:                              ;   in Loop: Header=BB382_13 Depth=1
	v_and_b32_e32 v2, 7, v58
	v_ffbh_u32_e32 v10, v2
	v_min_u32_e32 v10, 32, v10
	v_subrev_u32_e32 v11, 28, v10
	v_lshlrev_b64 v[12:13], v11, v[58:59]
	v_lshrrev_b32_e32 v5, 3, v3
	v_sub_u32_e32 v10, 29, v10
	v_and_b32_e32 v11, 7, v12
	v_cmp_gt_u32_e64 s[8:9], 8, v3
	v_cndmask_b32_e64 v3, v5, v10, s[8:9]
	v_cndmask_b32_e64 v2, v2, v11, s[8:9]
	v_lshlrev_b32_e32 v5, 24, v58
	v_bfrev_b32_e32 v0, 60
	v_lshlrev_b32_e32 v2, 20, v2
	v_and_b32_e32 v5, 0x80000000, v5
	v_lshl_add_u32 v3, v3, 23, v0
	v_or3_b32 v2, v5, v3, v2
.LBB382_340:                            ;   in Loop: Header=BB382_13 Depth=1
	s_or_b64 exec, exec, s[36:37]
.LBB382_341:                            ;   in Loop: Header=BB382_13 Depth=1
	s_or_b64 exec, exec, s[34:35]
.LBB382_342:                            ;   in Loop: Header=BB382_13 Depth=1
	s_or_b64 exec, exec, s[30:31]
	v_mul_f32_e32 v2, v30, v2
	v_and_b32_e32 v3, 0x7f800000, v2
	v_cmp_ne_u32_e64 s[8:9], s41, v3
                                        ; implicit-def: $agpr18
	s_and_saveexec_b64 s[30:31], s[8:9]
	s_xor_b64 s[8:9], exec, s[30:31]
; %bb.343:                              ;   in Loop: Header=BB382_13 Depth=1
	v_bfe_u32 v3, v2, 16, 1
	v_add3_u32 v0, v2, v3, s42
	v_accvgpr_write_b32 a18, v0
                                        ; implicit-def: $vgpr2
; %bb.344:                              ;   in Loop: Header=BB382_13 Depth=1
	s_andn2_saveexec_b64 s[30:31], s[8:9]
; %bb.345:                              ;   in Loop: Header=BB382_13 Depth=1
	v_or_b32_e32 v3, 0x10000, v2
	v_cmp_eq_u32_sdwa s[8:9], v2, v4 src0_sel:WORD_0 src1_sel:DWORD
	v_cndmask_b32_e64 v0, v3, v2, s[8:9]
	v_accvgpr_write_b32 a18, v0
; %bb.346:                              ;   in Loop: Header=BB382_13 Depth=1
	s_or_b64 exec, exec, s[30:31]
	v_lshrrev_b16_e32 v60, 8, v58
	v_cmp_ne_u16_e64 s[8:9], 0, v60
	v_mov_b32_e32 v2, 0
	s_and_saveexec_b64 s[30:31], s[8:9]
	s_cbranch_execz .LBB382_352
; %bb.347:                              ;   in Loop: Header=BB382_13 Depth=1
	v_cmp_ne_u16_e64 s[8:9], s39, v60
	v_bfrev_b32_e32 v2, 1
	s_and_saveexec_b64 s[34:35], s[8:9]
	s_cbranch_execz .LBB382_351
; %bb.348:                              ;   in Loop: Header=BB382_13 Depth=1
	v_and_b32_e32 v3, 0x7f, v60
	v_cmp_ne_u32_e64 s[8:9], s40, v3
	v_mov_b32_e32 v2, 0x7f800001
	s_and_saveexec_b64 s[36:37], s[8:9]
	s_cbranch_execz .LBB382_350
; %bb.349:                              ;   in Loop: Header=BB382_13 Depth=1
	v_and_b32_e32 v2, 7, v60
	v_ffbh_u32_e32 v10, v2
	v_min_u32_e32 v10, 32, v10
	v_subrev_u32_e32 v11, 28, v10
	v_lshlrev_b64 v[12:13], v11, v[60:61]
	v_lshrrev_b32_e32 v5, 3, v3
	v_sub_u32_e32 v10, 29, v10
	v_and_b32_e32 v11, 7, v12
	v_cmp_gt_u32_e64 s[8:9], 8, v3
	v_cndmask_b32_e64 v3, v5, v10, s[8:9]
	v_cndmask_b32_e64 v2, v2, v11, s[8:9]
	v_lshlrev_b32_e32 v5, 16, v58
	v_bfrev_b32_e32 v0, 60
	v_lshlrev_b32_e32 v2, 20, v2
	v_and_b32_e32 v5, 0x80000000, v5
	v_lshl_add_u32 v3, v3, 23, v0
	v_or3_b32 v2, v5, v3, v2
.LBB382_350:                            ;   in Loop: Header=BB382_13 Depth=1
	s_or_b64 exec, exec, s[36:37]
.LBB382_351:                            ;   in Loop: Header=BB382_13 Depth=1
	s_or_b64 exec, exec, s[34:35]
.LBB382_352:                            ;   in Loop: Header=BB382_13 Depth=1
	s_or_b64 exec, exec, s[30:31]
	v_mul_f32_e32 v2, v30, v2
	v_and_b32_e32 v3, 0x7f800000, v2
	v_cmp_ne_u32_e64 s[8:9], s41, v3
                                        ; implicit-def: $agpr17
	s_and_saveexec_b64 s[30:31], s[8:9]
	s_xor_b64 s[8:9], exec, s[30:31]
; %bb.353:                              ;   in Loop: Header=BB382_13 Depth=1
	v_bfe_u32 v3, v2, 16, 1
	v_add3_u32 v0, v2, v3, s42
	v_accvgpr_write_b32 a17, v0
                                        ; implicit-def: $vgpr2
; %bb.354:                              ;   in Loop: Header=BB382_13 Depth=1
	s_andn2_saveexec_b64 s[30:31], s[8:9]
; %bb.355:                              ;   in Loop: Header=BB382_13 Depth=1
	v_or_b32_e32 v3, 0x10000, v2
	v_cmp_eq_u32_sdwa s[8:9], v2, v4 src0_sel:WORD_0 src1_sel:DWORD
	v_cndmask_b32_e64 v0, v3, v2, s[8:9]
	v_accvgpr_write_b32 a17, v0
; %bb.356:                              ;   in Loop: Header=BB382_13 Depth=1
	s_or_b64 exec, exec, s[30:31]
	v_lshrrev_b32_e32 v60, 16, v58
	v_cmp_ne_u16_sdwa s[8:9], v60, v4 src0_sel:BYTE_0 src1_sel:DWORD
	v_mov_b32_e32 v2, 0
	s_and_saveexec_b64 s[30:31], s[8:9]
	s_cbranch_execz .LBB382_362
; %bb.357:                              ;   in Loop: Header=BB382_13 Depth=1
	v_cmp_ne_u16_sdwa s[8:9], v60, s39 src0_sel:BYTE_0 src1_sel:DWORD
	v_bfrev_b32_e32 v2, 1
	s_and_saveexec_b64 s[34:35], s[8:9]
	s_cbranch_execz .LBB382_361
; %bb.358:                              ;   in Loop: Header=BB382_13 Depth=1
	v_bfe_u32 v3, v58, 16, 7
	v_cmp_ne_u32_e64 s[8:9], s40, v3
	v_mov_b32_e32 v2, 0x7f800001
	s_and_saveexec_b64 s[36:37], s[8:9]
	s_cbranch_execz .LBB382_360
; %bb.359:                              ;   in Loop: Header=BB382_13 Depth=1
	v_and_b32_e32 v2, 7, v60
	v_ffbh_u32_e32 v10, v2
	v_min_u32_e32 v10, 32, v10
	v_subrev_u32_e32 v11, 28, v10
	v_lshlrev_b64 v[12:13], v11, v[60:61]
	v_lshrrev_b32_e32 v5, 3, v3
	v_sub_u32_e32 v10, 29, v10
	v_and_b32_e32 v11, 7, v12
	v_cmp_gt_u32_e64 s[8:9], 8, v3
	v_cndmask_b32_e64 v3, v5, v10, s[8:9]
	v_cndmask_b32_e64 v2, v2, v11, s[8:9]
	v_lshlrev_b32_e32 v5, 24, v60
	v_bfrev_b32_e32 v0, 60
	v_lshlrev_b32_e32 v2, 20, v2
	v_and_b32_e32 v5, 0x80000000, v5
	v_lshl_add_u32 v3, v3, 23, v0
	v_or3_b32 v2, v5, v3, v2
.LBB382_360:                            ;   in Loop: Header=BB382_13 Depth=1
	s_or_b64 exec, exec, s[36:37]
.LBB382_361:                            ;   in Loop: Header=BB382_13 Depth=1
	s_or_b64 exec, exec, s[34:35]
.LBB382_362:                            ;   in Loop: Header=BB382_13 Depth=1
	s_or_b64 exec, exec, s[30:31]
	v_mul_f32_e32 v2, v30, v2
	v_and_b32_e32 v3, 0x7f800000, v2
	v_cmp_ne_u32_e64 s[8:9], s41, v3
                                        ; implicit-def: $agpr16
	s_and_saveexec_b64 s[30:31], s[8:9]
	s_xor_b64 s[8:9], exec, s[30:31]
; %bb.363:                              ;   in Loop: Header=BB382_13 Depth=1
	v_bfe_u32 v3, v2, 16, 1
	v_add3_u32 v0, v2, v3, s42
	v_accvgpr_write_b32 a16, v0
                                        ; implicit-def: $vgpr2
; %bb.364:                              ;   in Loop: Header=BB382_13 Depth=1
	s_andn2_saveexec_b64 s[30:31], s[8:9]
; %bb.365:                              ;   in Loop: Header=BB382_13 Depth=1
	v_or_b32_e32 v3, 0x10000, v2
	v_cmp_eq_u32_sdwa s[8:9], v2, v4 src0_sel:WORD_0 src1_sel:DWORD
	v_cndmask_b32_e64 v0, v3, v2, s[8:9]
	v_accvgpr_write_b32 a16, v0
; %bb.366:                              ;   in Loop: Header=BB382_13 Depth=1
	s_or_b64 exec, exec, s[30:31]
	v_cmp_lt_u32_e64 s[8:9], s43, v58
	v_mov_b32_e32 v2, 0
	s_and_saveexec_b64 s[30:31], s[8:9]
	s_cbranch_execz .LBB382_372
; %bb.367:                              ;   in Loop: Header=BB382_13 Depth=1
	v_lshrrev_b32_e32 v60, 24, v58
	v_cmp_ne_u32_e64 s[8:9], s39, v60
	v_bfrev_b32_e32 v2, 1
	s_and_saveexec_b64 s[34:35], s[8:9]
	s_cbranch_execz .LBB382_371
; %bb.368:                              ;   in Loop: Header=BB382_13 Depth=1
	v_bfe_u32 v3, v58, 24, 7
	v_cmp_ne_u32_e64 s[8:9], s40, v3
	v_mov_b32_e32 v2, 0x7f800001
	s_and_saveexec_b64 s[36:37], s[8:9]
	s_cbranch_execz .LBB382_370
; %bb.369:                              ;   in Loop: Header=BB382_13 Depth=1
	v_and_b32_e32 v2, 7, v60
	v_ffbh_u32_e32 v10, v2
	v_min_u32_e32 v10, 32, v10
	v_subrev_u32_e32 v11, 28, v10
	v_lshlrev_b64 v[12:13], v11, v[60:61]
	v_lshrrev_b32_e32 v5, 3, v3
	v_sub_u32_e32 v10, 29, v10
	v_and_b32_e32 v11, 7, v12
	v_cmp_gt_u32_e64 s[8:9], 8, v3
	v_cndmask_b32_e64 v3, v5, v10, s[8:9]
	v_cndmask_b32_e64 v2, v2, v11, s[8:9]
	v_lshlrev_b32_e32 v5, 24, v60
	v_bfrev_b32_e32 v0, 60
	v_lshlrev_b32_e32 v2, 20, v2
	v_and_b32_e32 v5, 0x80000000, v5
	v_lshl_add_u32 v3, v3, 23, v0
	v_or3_b32 v2, v5, v3, v2
.LBB382_370:                            ;   in Loop: Header=BB382_13 Depth=1
	s_or_b64 exec, exec, s[36:37]
.LBB382_371:                            ;   in Loop: Header=BB382_13 Depth=1
	s_or_b64 exec, exec, s[34:35]
.LBB382_372:                            ;   in Loop: Header=BB382_13 Depth=1
	s_or_b64 exec, exec, s[30:31]
	v_mul_f32_e32 v2, v30, v2
	v_and_b32_e32 v3, 0x7f800000, v2
	v_cmp_ne_u32_e64 s[8:9], s41, v3
                                        ; implicit-def: $agpr2
	s_and_saveexec_b64 s[30:31], s[8:9]
	s_xor_b64 s[8:9], exec, s[30:31]
; %bb.373:                              ;   in Loop: Header=BB382_13 Depth=1
	v_bfe_u32 v3, v2, 16, 1
	v_add3_u32 v0, v2, v3, s42
	v_accvgpr_write_b32 a2, v0
                                        ; implicit-def: $vgpr2
; %bb.374:                              ;   in Loop: Header=BB382_13 Depth=1
	s_andn2_saveexec_b64 s[30:31], s[8:9]
; %bb.375:                              ;   in Loop: Header=BB382_13 Depth=1
	v_or_b32_e32 v3, 0x10000, v2
	v_cmp_eq_u32_sdwa s[8:9], v2, v4 src0_sel:WORD_0 src1_sel:DWORD
	v_cndmask_b32_e64 v0, v3, v2, s[8:9]
	v_accvgpr_write_b32 a2, v0
; %bb.376:                              ;   in Loop: Header=BB382_13 Depth=1
	s_or_b64 exec, exec, s[30:31]
	flat_load_dword v58, v[56:57] offset:2056
	v_mov_b32_e32 v2, 0
	s_waitcnt vmcnt(0) lgkmcnt(0)
	v_cmp_ne_u16_sdwa s[8:9], v58, v4 src0_sel:BYTE_0 src1_sel:DWORD
	s_and_saveexec_b64 s[30:31], s[8:9]
	s_cbranch_execz .LBB382_382
; %bb.377:                              ;   in Loop: Header=BB382_13 Depth=1
	v_cmp_ne_u16_sdwa s[8:9], v58, s39 src0_sel:BYTE_0 src1_sel:DWORD
	v_bfrev_b32_e32 v2, 1
	s_and_saveexec_b64 s[34:35], s[8:9]
	s_cbranch_execz .LBB382_381
; %bb.378:                              ;   in Loop: Header=BB382_13 Depth=1
	v_and_b32_e32 v3, 0x7f, v58
	v_cmp_ne_u32_e64 s[8:9], s40, v3
	v_mov_b32_e32 v2, 0x7f800001
	s_and_saveexec_b64 s[36:37], s[8:9]
	s_cbranch_execz .LBB382_380
; %bb.379:                              ;   in Loop: Header=BB382_13 Depth=1
	v_and_b32_e32 v5, 7, v58
	v_ffbh_u32_e32 v2, v5
	v_min_u32_e32 v11, 32, v2
	v_subrev_u32_e32 v2, 28, v11
	v_lshrrev_b32_e32 v10, 3, v3
	v_cmp_gt_u32_e64 s[8:9], 8, v3
	v_lshlrev_b64 v[2:3], v2, v[58:59]
	v_sub_u32_e32 v3, 29, v11
	v_and_b32_e32 v2, 7, v2
	v_cndmask_b32_e64 v3, v10, v3, s[8:9]
	v_cndmask_b32_e64 v2, v5, v2, s[8:9]
	v_lshlrev_b32_e32 v5, 24, v58
	v_bfrev_b32_e32 v0, 60
	v_lshlrev_b32_e32 v2, 20, v2
	v_and_b32_e32 v5, 0x80000000, v5
	v_lshl_add_u32 v3, v3, 23, v0
	v_or3_b32 v2, v5, v3, v2
.LBB382_380:                            ;   in Loop: Header=BB382_13 Depth=1
	s_or_b64 exec, exec, s[36:37]
.LBB382_381:                            ;   in Loop: Header=BB382_13 Depth=1
	s_or_b64 exec, exec, s[34:35]
.LBB382_382:                            ;   in Loop: Header=BB382_13 Depth=1
	s_or_b64 exec, exec, s[30:31]
	v_mul_f32_e32 v2, v30, v2
	v_and_b32_e32 v3, 0x7f800000, v2
	v_cmp_ne_u32_e64 s[8:9], s41, v3
                                        ; implicit-def: $agpr37
	s_and_saveexec_b64 s[30:31], s[8:9]
	s_xor_b64 s[8:9], exec, s[30:31]
; %bb.383:                              ;   in Loop: Header=BB382_13 Depth=1
	v_bfe_u32 v3, v2, 16, 1
	v_add3_u32 v0, v2, v3, s42
	v_accvgpr_write_b32 a37, v0
                                        ; implicit-def: $vgpr2
; %bb.384:                              ;   in Loop: Header=BB382_13 Depth=1
	s_andn2_saveexec_b64 s[30:31], s[8:9]
; %bb.385:                              ;   in Loop: Header=BB382_13 Depth=1
	v_or_b32_e32 v3, 0x10000, v2
	v_cmp_eq_u32_sdwa s[8:9], v2, v4 src0_sel:WORD_0 src1_sel:DWORD
	v_cndmask_b32_e64 v0, v3, v2, s[8:9]
	v_accvgpr_write_b32 a37, v0
; %bb.386:                              ;   in Loop: Header=BB382_13 Depth=1
	s_or_b64 exec, exec, s[30:31]
	v_lshrrev_b16_e32 v60, 8, v58
	v_cmp_ne_u16_e64 s[8:9], 0, v60
	v_mov_b32_e32 v2, 0
	s_and_saveexec_b64 s[30:31], s[8:9]
	s_cbranch_execz .LBB382_392
; %bb.387:                              ;   in Loop: Header=BB382_13 Depth=1
	v_cmp_ne_u16_e64 s[8:9], s39, v60
	v_bfrev_b32_e32 v2, 1
	s_and_saveexec_b64 s[34:35], s[8:9]
	s_cbranch_execz .LBB382_391
; %bb.388:                              ;   in Loop: Header=BB382_13 Depth=1
	v_and_b32_e32 v3, 0x7f, v60
	v_cmp_ne_u32_e64 s[8:9], s40, v3
	v_mov_b32_e32 v2, 0x7f800001
	s_and_saveexec_b64 s[36:37], s[8:9]
	s_cbranch_execz .LBB382_390
; %bb.389:                              ;   in Loop: Header=BB382_13 Depth=1
	v_and_b32_e32 v5, 7, v60
	v_ffbh_u32_e32 v2, v5
	v_min_u32_e32 v11, 32, v2
	v_subrev_u32_e32 v2, 28, v11
	v_lshrrev_b32_e32 v10, 3, v3
	v_cmp_gt_u32_e64 s[8:9], 8, v3
	v_lshlrev_b64 v[2:3], v2, v[60:61]
	v_sub_u32_e32 v3, 29, v11
	v_and_b32_e32 v2, 7, v2
	v_cndmask_b32_e64 v3, v10, v3, s[8:9]
	v_cndmask_b32_e64 v2, v5, v2, s[8:9]
	v_lshlrev_b32_e32 v5, 16, v58
	v_bfrev_b32_e32 v0, 60
	v_lshlrev_b32_e32 v2, 20, v2
	v_and_b32_e32 v5, 0x80000000, v5
	v_lshl_add_u32 v3, v3, 23, v0
	v_or3_b32 v2, v5, v3, v2
.LBB382_390:                            ;   in Loop: Header=BB382_13 Depth=1
	s_or_b64 exec, exec, s[36:37]
.LBB382_391:                            ;   in Loop: Header=BB382_13 Depth=1
	s_or_b64 exec, exec, s[34:35]
.LBB382_392:                            ;   in Loop: Header=BB382_13 Depth=1
	s_or_b64 exec, exec, s[30:31]
	v_mul_f32_e32 v2, v30, v2
	v_and_b32_e32 v3, 0x7f800000, v2
	v_cmp_ne_u32_e64 s[8:9], s41, v3
                                        ; implicit-def: $agpr45
	s_and_saveexec_b64 s[30:31], s[8:9]
	s_xor_b64 s[8:9], exec, s[30:31]
; %bb.393:                              ;   in Loop: Header=BB382_13 Depth=1
	v_bfe_u32 v3, v2, 16, 1
	v_add3_u32 v0, v2, v3, s42
	v_accvgpr_write_b32 a45, v0
                                        ; implicit-def: $vgpr2
; %bb.394:                              ;   in Loop: Header=BB382_13 Depth=1
	s_andn2_saveexec_b64 s[30:31], s[8:9]
; %bb.395:                              ;   in Loop: Header=BB382_13 Depth=1
	v_or_b32_e32 v3, 0x10000, v2
	v_cmp_eq_u32_sdwa s[8:9], v2, v4 src0_sel:WORD_0 src1_sel:DWORD
	v_cndmask_b32_e64 v0, v3, v2, s[8:9]
	v_accvgpr_write_b32 a45, v0
; %bb.396:                              ;   in Loop: Header=BB382_13 Depth=1
	s_or_b64 exec, exec, s[30:31]
	v_lshrrev_b32_e32 v60, 16, v58
	v_cmp_ne_u16_sdwa s[8:9], v60, v4 src0_sel:BYTE_0 src1_sel:DWORD
	v_mov_b32_e32 v2, 0
	s_and_saveexec_b64 s[30:31], s[8:9]
	s_cbranch_execz .LBB382_402
; %bb.397:                              ;   in Loop: Header=BB382_13 Depth=1
	v_cmp_ne_u16_sdwa s[8:9], v60, s39 src0_sel:BYTE_0 src1_sel:DWORD
	v_bfrev_b32_e32 v2, 1
	s_and_saveexec_b64 s[34:35], s[8:9]
	s_cbranch_execz .LBB382_401
; %bb.398:                              ;   in Loop: Header=BB382_13 Depth=1
	v_bfe_u32 v3, v58, 16, 7
	v_cmp_ne_u32_e64 s[8:9], s40, v3
	v_mov_b32_e32 v2, 0x7f800001
	s_and_saveexec_b64 s[36:37], s[8:9]
	s_cbranch_execz .LBB382_400
; %bb.399:                              ;   in Loop: Header=BB382_13 Depth=1
	v_and_b32_e32 v5, 7, v60
	v_ffbh_u32_e32 v2, v5
	v_min_u32_e32 v11, 32, v2
	v_subrev_u32_e32 v2, 28, v11
	v_lshrrev_b32_e32 v10, 3, v3
	v_cmp_gt_u32_e64 s[8:9], 8, v3
	v_lshlrev_b64 v[2:3], v2, v[60:61]
	v_sub_u32_e32 v3, 29, v11
	v_and_b32_e32 v2, 7, v2
	v_cndmask_b32_e64 v3, v10, v3, s[8:9]
	v_cndmask_b32_e64 v2, v5, v2, s[8:9]
	v_lshlrev_b32_e32 v5, 24, v60
	v_bfrev_b32_e32 v0, 60
	v_lshlrev_b32_e32 v2, 20, v2
	v_and_b32_e32 v5, 0x80000000, v5
	v_lshl_add_u32 v3, v3, 23, v0
	v_or3_b32 v2, v5, v3, v2
.LBB382_400:                            ;   in Loop: Header=BB382_13 Depth=1
	s_or_b64 exec, exec, s[36:37]
.LBB382_401:                            ;   in Loop: Header=BB382_13 Depth=1
	s_or_b64 exec, exec, s[34:35]
.LBB382_402:                            ;   in Loop: Header=BB382_13 Depth=1
	s_or_b64 exec, exec, s[30:31]
	v_mul_f32_e32 v3, v30, v2
	v_and_b32_e32 v2, 0x7f800000, v3
	v_cmp_ne_u32_e64 s[8:9], s41, v2
                                        ; implicit-def: $agpr46
	s_and_saveexec_b64 s[30:31], s[8:9]
	s_xor_b64 s[8:9], exec, s[30:31]
; %bb.403:                              ;   in Loop: Header=BB382_13 Depth=1
	v_bfe_u32 v2, v3, 16, 1
	v_add3_u32 v0, v3, v2, s42
	v_accvgpr_write_b32 a46, v0
                                        ; implicit-def: $vgpr3
; %bb.404:                              ;   in Loop: Header=BB382_13 Depth=1
	s_andn2_saveexec_b64 s[30:31], s[8:9]
; %bb.405:                              ;   in Loop: Header=BB382_13 Depth=1
	v_or_b32_e32 v2, 0x10000, v3
	v_cmp_eq_u32_sdwa s[8:9], v3, v4 src0_sel:WORD_0 src1_sel:DWORD
	v_cndmask_b32_e64 v0, v2, v3, s[8:9]
	v_accvgpr_write_b32 a46, v0
; %bb.406:                              ;   in Loop: Header=BB382_13 Depth=1
	s_or_b64 exec, exec, s[30:31]
	v_cmp_lt_u32_e64 s[8:9], s43, v58
	v_mov_b32_e32 v3, 0
	s_and_saveexec_b64 s[30:31], s[8:9]
	s_cbranch_execz .LBB382_412
; %bb.407:                              ;   in Loop: Header=BB382_13 Depth=1
	v_lshrrev_b32_e32 v60, 24, v58
	v_cmp_ne_u32_e64 s[8:9], s39, v60
	v_bfrev_b32_e32 v3, 1
	s_and_saveexec_b64 s[34:35], s[8:9]
	s_cbranch_execz .LBB382_411
; %bb.408:                              ;   in Loop: Header=BB382_13 Depth=1
	v_bfe_u32 v5, v58, 24, 7
	v_cmp_ne_u32_e64 s[8:9], s40, v5
	v_mov_b32_e32 v3, 0x7f800001
	s_and_saveexec_b64 s[36:37], s[8:9]
	s_cbranch_execz .LBB382_410
; %bb.409:                              ;   in Loop: Header=BB382_13 Depth=1
	v_and_b32_e32 v3, 7, v60
	v_lshrrev_b32_e32 v10, 3, v5
	v_cmp_gt_u32_e64 s[8:9], 8, v5
	v_ffbh_u32_e32 v5, v3
	v_min_u32_e32 v5, 32, v5
	v_subrev_u32_e32 v11, 28, v5
	v_lshlrev_b64 v[20:21], v11, v[60:61]
	v_sub_u32_e32 v5, 29, v5
	v_and_b32_e32 v11, 7, v20
	v_cndmask_b32_e64 v5, v10, v5, s[8:9]
	v_cndmask_b32_e64 v3, v3, v11, s[8:9]
	v_lshlrev_b32_e32 v10, 24, v60
	v_bfrev_b32_e32 v0, 60
	v_lshlrev_b32_e32 v3, 20, v3
	v_and_b32_e32 v10, 0x80000000, v10
	v_lshl_add_u32 v5, v5, 23, v0
	v_or3_b32 v3, v10, v5, v3
.LBB382_410:                            ;   in Loop: Header=BB382_13 Depth=1
	s_or_b64 exec, exec, s[36:37]
.LBB382_411:                            ;   in Loop: Header=BB382_13 Depth=1
	s_or_b64 exec, exec, s[34:35]
.LBB382_412:                            ;   in Loop: Header=BB382_13 Depth=1
	s_or_b64 exec, exec, s[30:31]
	v_mul_f32_e32 v3, v30, v3
	v_and_b32_e32 v5, 0x7f800000, v3
	v_cmp_ne_u32_e64 s[8:9], s41, v5
                                        ; implicit-def: $agpr33
	s_and_saveexec_b64 s[30:31], s[8:9]
	s_xor_b64 s[8:9], exec, s[30:31]
; %bb.413:                              ;   in Loop: Header=BB382_13 Depth=1
	v_bfe_u32 v5, v3, 16, 1
	v_add3_u32 v0, v3, v5, s42
	v_accvgpr_write_b32 a33, v0
                                        ; implicit-def: $vgpr3
; %bb.414:                              ;   in Loop: Header=BB382_13 Depth=1
	s_andn2_saveexec_b64 s[30:31], s[8:9]
; %bb.415:                              ;   in Loop: Header=BB382_13 Depth=1
	v_or_b32_e32 v5, 0x10000, v3
	v_cmp_eq_u32_sdwa s[8:9], v3, v4 src0_sel:WORD_0 src1_sel:DWORD
	v_cndmask_b32_e64 v0, v5, v3, s[8:9]
	v_accvgpr_write_b32 a33, v0
; %bb.416:                              ;   in Loop: Header=BB382_13 Depth=1
	s_or_b64 exec, exec, s[30:31]
	flat_load_dword v58, v[56:57] offset:2560
	v_mov_b32_e32 v3, 0
	s_waitcnt vmcnt(0) lgkmcnt(0)
	v_cmp_ne_u16_sdwa s[8:9], v58, v4 src0_sel:BYTE_0 src1_sel:DWORD
	s_and_saveexec_b64 s[30:31], s[8:9]
	s_cbranch_execz .LBB382_422
; %bb.417:                              ;   in Loop: Header=BB382_13 Depth=1
	v_cmp_ne_u16_sdwa s[8:9], v58, s39 src0_sel:BYTE_0 src1_sel:DWORD
	v_bfrev_b32_e32 v3, 1
	s_and_saveexec_b64 s[34:35], s[8:9]
	s_cbranch_execz .LBB382_421
; %bb.418:                              ;   in Loop: Header=BB382_13 Depth=1
	v_and_b32_e32 v5, 0x7f, v58
	v_cmp_ne_u32_e64 s[8:9], s40, v5
	v_mov_b32_e32 v3, 0x7f800001
	s_and_saveexec_b64 s[36:37], s[8:9]
	s_cbranch_execz .LBB382_420
; %bb.419:                              ;   in Loop: Header=BB382_13 Depth=1
	v_and_b32_e32 v3, 7, v58
	v_lshrrev_b32_e32 v10, 3, v5
	v_cmp_gt_u32_e64 s[8:9], 8, v5
	v_ffbh_u32_e32 v5, v3
	v_min_u32_e32 v5, 32, v5
	v_subrev_u32_e32 v11, 28, v5
	v_lshlrev_b64 v[20:21], v11, v[58:59]
	v_sub_u32_e32 v5, 29, v5
	v_and_b32_e32 v11, 7, v20
	v_cndmask_b32_e64 v5, v10, v5, s[8:9]
	v_cndmask_b32_e64 v3, v3, v11, s[8:9]
	v_lshlrev_b32_e32 v10, 24, v58
	v_bfrev_b32_e32 v0, 60
	v_lshlrev_b32_e32 v3, 20, v3
	v_and_b32_e32 v10, 0x80000000, v10
	v_lshl_add_u32 v5, v5, 23, v0
	v_or3_b32 v3, v10, v5, v3
.LBB382_420:                            ;   in Loop: Header=BB382_13 Depth=1
	s_or_b64 exec, exec, s[36:37]
.LBB382_421:                            ;   in Loop: Header=BB382_13 Depth=1
	s_or_b64 exec, exec, s[34:35]
.LBB382_422:                            ;   in Loop: Header=BB382_13 Depth=1
	s_or_b64 exec, exec, s[30:31]
	v_mul_f32_e32 v3, v30, v3
	v_and_b32_e32 v5, 0x7f800000, v3
	v_cmp_ne_u32_e64 s[8:9], s41, v5
                                        ; implicit-def: $agpr8
	s_and_saveexec_b64 s[30:31], s[8:9]
	s_xor_b64 s[8:9], exec, s[30:31]
; %bb.423:                              ;   in Loop: Header=BB382_13 Depth=1
	v_bfe_u32 v5, v3, 16, 1
	v_add3_u32 v0, v3, v5, s42
	v_accvgpr_write_b32 a8, v0
                                        ; implicit-def: $vgpr3
; %bb.424:                              ;   in Loop: Header=BB382_13 Depth=1
	s_andn2_saveexec_b64 s[30:31], s[8:9]
; %bb.425:                              ;   in Loop: Header=BB382_13 Depth=1
	v_or_b32_e32 v5, 0x10000, v3
	v_cmp_eq_u32_sdwa s[8:9], v3, v4 src0_sel:WORD_0 src1_sel:DWORD
	v_cndmask_b32_e64 v0, v5, v3, s[8:9]
	v_accvgpr_write_b32 a8, v0
; %bb.426:                              ;   in Loop: Header=BB382_13 Depth=1
	s_or_b64 exec, exec, s[30:31]
	v_lshrrev_b16_e32 v60, 8, v58
	v_cmp_ne_u16_e64 s[8:9], 0, v60
	v_mov_b32_e32 v3, 0
	s_and_saveexec_b64 s[30:31], s[8:9]
	s_cbranch_execz .LBB382_432
; %bb.427:                              ;   in Loop: Header=BB382_13 Depth=1
	v_cmp_ne_u16_e64 s[8:9], s39, v60
	v_bfrev_b32_e32 v3, 1
	s_and_saveexec_b64 s[34:35], s[8:9]
	s_cbranch_execz .LBB382_431
; %bb.428:                              ;   in Loop: Header=BB382_13 Depth=1
	v_and_b32_e32 v5, 0x7f, v60
	v_cmp_ne_u32_e64 s[8:9], s40, v5
	v_mov_b32_e32 v3, 0x7f800001
	s_and_saveexec_b64 s[36:37], s[8:9]
	s_cbranch_execz .LBB382_430
; %bb.429:                              ;   in Loop: Header=BB382_13 Depth=1
	v_and_b32_e32 v3, 7, v60
	v_lshrrev_b32_e32 v10, 3, v5
	v_cmp_gt_u32_e64 s[8:9], 8, v5
	v_ffbh_u32_e32 v5, v3
	v_min_u32_e32 v5, 32, v5
	v_subrev_u32_e32 v11, 28, v5
	v_lshlrev_b64 v[20:21], v11, v[60:61]
	v_sub_u32_e32 v5, 29, v5
	v_and_b32_e32 v11, 7, v20
	v_cndmask_b32_e64 v5, v10, v5, s[8:9]
	v_cndmask_b32_e64 v3, v3, v11, s[8:9]
	v_lshlrev_b32_e32 v10, 16, v58
	v_bfrev_b32_e32 v0, 60
	v_lshlrev_b32_e32 v3, 20, v3
	v_and_b32_e32 v10, 0x80000000, v10
	v_lshl_add_u32 v5, v5, 23, v0
	v_or3_b32 v3, v10, v5, v3
.LBB382_430:                            ;   in Loop: Header=BB382_13 Depth=1
	s_or_b64 exec, exec, s[36:37]
.LBB382_431:                            ;   in Loop: Header=BB382_13 Depth=1
	s_or_b64 exec, exec, s[34:35]
.LBB382_432:                            ;   in Loop: Header=BB382_13 Depth=1
	s_or_b64 exec, exec, s[30:31]
	v_mul_f32_e32 v3, v30, v3
	v_and_b32_e32 v5, 0x7f800000, v3
	v_cmp_ne_u32_e64 s[8:9], s41, v5
                                        ; implicit-def: $agpr14
	s_and_saveexec_b64 s[30:31], s[8:9]
	s_xor_b64 s[8:9], exec, s[30:31]
; %bb.433:                              ;   in Loop: Header=BB382_13 Depth=1
	v_bfe_u32 v5, v3, 16, 1
	v_add3_u32 v0, v3, v5, s42
	v_accvgpr_write_b32 a14, v0
                                        ; implicit-def: $vgpr3
; %bb.434:                              ;   in Loop: Header=BB382_13 Depth=1
	s_andn2_saveexec_b64 s[30:31], s[8:9]
; %bb.435:                              ;   in Loop: Header=BB382_13 Depth=1
	v_or_b32_e32 v5, 0x10000, v3
	v_cmp_eq_u32_sdwa s[8:9], v3, v4 src0_sel:WORD_0 src1_sel:DWORD
	v_cndmask_b32_e64 v0, v5, v3, s[8:9]
	v_accvgpr_write_b32 a14, v0
; %bb.436:                              ;   in Loop: Header=BB382_13 Depth=1
	s_or_b64 exec, exec, s[30:31]
	v_lshrrev_b32_e32 v60, 16, v58
	v_cmp_ne_u16_sdwa s[8:9], v60, v4 src0_sel:BYTE_0 src1_sel:DWORD
	v_mov_b32_e32 v3, 0
	s_and_saveexec_b64 s[30:31], s[8:9]
	s_cbranch_execz .LBB382_442
; %bb.437:                              ;   in Loop: Header=BB382_13 Depth=1
	v_cmp_ne_u16_sdwa s[8:9], v60, s39 src0_sel:BYTE_0 src1_sel:DWORD
	v_bfrev_b32_e32 v3, 1
	s_and_saveexec_b64 s[34:35], s[8:9]
	s_cbranch_execz .LBB382_441
; %bb.438:                              ;   in Loop: Header=BB382_13 Depth=1
	v_bfe_u32 v5, v58, 16, 7
	v_cmp_ne_u32_e64 s[8:9], s40, v5
	v_mov_b32_e32 v3, 0x7f800001
	s_and_saveexec_b64 s[36:37], s[8:9]
	s_cbranch_execz .LBB382_440
; %bb.439:                              ;   in Loop: Header=BB382_13 Depth=1
	v_and_b32_e32 v3, 7, v60
	v_lshrrev_b32_e32 v10, 3, v5
	v_cmp_gt_u32_e64 s[8:9], 8, v5
	v_ffbh_u32_e32 v5, v3
	v_min_u32_e32 v5, 32, v5
	v_subrev_u32_e32 v11, 28, v5
	v_lshlrev_b64 v[20:21], v11, v[60:61]
	v_sub_u32_e32 v5, 29, v5
	v_and_b32_e32 v11, 7, v20
	v_cndmask_b32_e64 v5, v10, v5, s[8:9]
	v_cndmask_b32_e64 v3, v3, v11, s[8:9]
	v_lshlrev_b32_e32 v10, 24, v60
	v_bfrev_b32_e32 v0, 60
	v_lshlrev_b32_e32 v3, 20, v3
	v_and_b32_e32 v10, 0x80000000, v10
	v_lshl_add_u32 v5, v5, 23, v0
	v_or3_b32 v3, v10, v5, v3
.LBB382_440:                            ;   in Loop: Header=BB382_13 Depth=1
	s_or_b64 exec, exec, s[36:37]
.LBB382_441:                            ;   in Loop: Header=BB382_13 Depth=1
	s_or_b64 exec, exec, s[34:35]
.LBB382_442:                            ;   in Loop: Header=BB382_13 Depth=1
	s_or_b64 exec, exec, s[30:31]
	v_mul_f32_e32 v3, v30, v3
	v_and_b32_e32 v5, 0x7f800000, v3
	v_cmp_ne_u32_e64 s[8:9], s41, v5
                                        ; implicit-def: $agpr7
	s_and_saveexec_b64 s[30:31], s[8:9]
	s_xor_b64 s[8:9], exec, s[30:31]
; %bb.443:                              ;   in Loop: Header=BB382_13 Depth=1
	v_bfe_u32 v5, v3, 16, 1
	v_add3_u32 v0, v3, v5, s42
	v_accvgpr_write_b32 a7, v0
                                        ; implicit-def: $vgpr3
; %bb.444:                              ;   in Loop: Header=BB382_13 Depth=1
	s_andn2_saveexec_b64 s[30:31], s[8:9]
; %bb.445:                              ;   in Loop: Header=BB382_13 Depth=1
	v_or_b32_e32 v5, 0x10000, v3
	v_cmp_eq_u32_sdwa s[8:9], v3, v4 src0_sel:WORD_0 src1_sel:DWORD
	v_cndmask_b32_e64 v0, v5, v3, s[8:9]
	v_accvgpr_write_b32 a7, v0
; %bb.446:                              ;   in Loop: Header=BB382_13 Depth=1
	s_or_b64 exec, exec, s[30:31]
	v_cmp_lt_u32_e64 s[8:9], s43, v58
	v_mov_b32_e32 v3, 0
	s_and_saveexec_b64 s[30:31], s[8:9]
	s_cbranch_execz .LBB382_452
; %bb.447:                              ;   in Loop: Header=BB382_13 Depth=1
	v_lshrrev_b32_e32 v60, 24, v58
	v_cmp_ne_u32_e64 s[8:9], s39, v60
	v_bfrev_b32_e32 v3, 1
	s_and_saveexec_b64 s[34:35], s[8:9]
	s_cbranch_execz .LBB382_451
; %bb.448:                              ;   in Loop: Header=BB382_13 Depth=1
	v_bfe_u32 v5, v58, 24, 7
	v_cmp_ne_u32_e64 s[8:9], s40, v5
	v_mov_b32_e32 v3, 0x7f800001
	s_and_saveexec_b64 s[36:37], s[8:9]
	s_cbranch_execz .LBB382_450
; %bb.449:                              ;   in Loop: Header=BB382_13 Depth=1
	v_and_b32_e32 v3, 7, v60
	v_lshrrev_b32_e32 v10, 3, v5
	v_cmp_gt_u32_e64 s[8:9], 8, v5
	v_ffbh_u32_e32 v5, v3
	v_min_u32_e32 v5, 32, v5
	v_subrev_u32_e32 v11, 28, v5
	v_lshlrev_b64 v[20:21], v11, v[60:61]
	v_sub_u32_e32 v5, 29, v5
	v_and_b32_e32 v11, 7, v20
	v_cndmask_b32_e64 v5, v10, v5, s[8:9]
	v_cndmask_b32_e64 v3, v3, v11, s[8:9]
	v_lshlrev_b32_e32 v10, 24, v60
	v_bfrev_b32_e32 v0, 60
	v_lshlrev_b32_e32 v3, 20, v3
	v_and_b32_e32 v10, 0x80000000, v10
	v_lshl_add_u32 v5, v5, 23, v0
	v_or3_b32 v3, v10, v5, v3
.LBB382_450:                            ;   in Loop: Header=BB382_13 Depth=1
	s_or_b64 exec, exec, s[36:37]
.LBB382_451:                            ;   in Loop: Header=BB382_13 Depth=1
	s_or_b64 exec, exec, s[34:35]
.LBB382_452:                            ;   in Loop: Header=BB382_13 Depth=1
	s_or_b64 exec, exec, s[30:31]
	v_mul_f32_e32 v3, v30, v3
	v_and_b32_e32 v5, 0x7f800000, v3
	v_cmp_ne_u32_e64 s[8:9], s41, v5
                                        ; implicit-def: $agpr9
	s_and_saveexec_b64 s[30:31], s[8:9]
	s_xor_b64 s[8:9], exec, s[30:31]
; %bb.453:                              ;   in Loop: Header=BB382_13 Depth=1
	v_bfe_u32 v5, v3, 16, 1
	v_add3_u32 v0, v3, v5, s42
	v_accvgpr_write_b32 a9, v0
                                        ; implicit-def: $vgpr3
; %bb.454:                              ;   in Loop: Header=BB382_13 Depth=1
	s_andn2_saveexec_b64 s[30:31], s[8:9]
; %bb.455:                              ;   in Loop: Header=BB382_13 Depth=1
	v_or_b32_e32 v5, 0x10000, v3
	v_cmp_eq_u32_sdwa s[8:9], v3, v4 src0_sel:WORD_0 src1_sel:DWORD
	v_cndmask_b32_e64 v0, v5, v3, s[8:9]
	v_accvgpr_write_b32 a9, v0
; %bb.456:                              ;   in Loop: Header=BB382_13 Depth=1
	s_or_b64 exec, exec, s[30:31]
	flat_load_dword v58, v[56:57] offset:2568
	v_mov_b32_e32 v3, 0
	s_waitcnt vmcnt(0) lgkmcnt(0)
	v_cmp_ne_u16_sdwa s[8:9], v58, v4 src0_sel:BYTE_0 src1_sel:DWORD
	s_and_saveexec_b64 s[30:31], s[8:9]
	s_cbranch_execz .LBB382_462
; %bb.457:                              ;   in Loop: Header=BB382_13 Depth=1
	v_cmp_ne_u16_sdwa s[8:9], v58, s39 src0_sel:BYTE_0 src1_sel:DWORD
	v_bfrev_b32_e32 v3, 1
	s_and_saveexec_b64 s[34:35], s[8:9]
	s_cbranch_execz .LBB382_461
; %bb.458:                              ;   in Loop: Header=BB382_13 Depth=1
	v_and_b32_e32 v5, 0x7f, v58
	v_cmp_ne_u32_e64 s[8:9], s40, v5
	v_mov_b32_e32 v3, 0x7f800001
	s_and_saveexec_b64 s[36:37], s[8:9]
	s_cbranch_execz .LBB382_460
; %bb.459:                              ;   in Loop: Header=BB382_13 Depth=1
	v_and_b32_e32 v3, 7, v58
	v_lshrrev_b32_e32 v10, 3, v5
	v_cmp_gt_u32_e64 s[8:9], 8, v5
	v_ffbh_u32_e32 v5, v3
	v_min_u32_e32 v5, 32, v5
	v_subrev_u32_e32 v11, 28, v5
	v_lshlrev_b64 v[26:27], v11, v[58:59]
	v_sub_u32_e32 v5, 29, v5
	v_and_b32_e32 v11, 7, v26
	v_cndmask_b32_e64 v5, v10, v5, s[8:9]
	v_cndmask_b32_e64 v3, v3, v11, s[8:9]
	v_lshlrev_b32_e32 v10, 24, v58
	v_bfrev_b32_e32 v0, 60
	v_lshlrev_b32_e32 v3, 20, v3
	v_and_b32_e32 v10, 0x80000000, v10
	v_lshl_add_u32 v5, v5, 23, v0
	v_or3_b32 v3, v10, v5, v3
.LBB382_460:                            ;   in Loop: Header=BB382_13 Depth=1
	s_or_b64 exec, exec, s[36:37]
.LBB382_461:                            ;   in Loop: Header=BB382_13 Depth=1
	s_or_b64 exec, exec, s[34:35]
.LBB382_462:                            ;   in Loop: Header=BB382_13 Depth=1
	s_or_b64 exec, exec, s[30:31]
	v_mul_f32_e32 v3, v30, v3
	v_and_b32_e32 v5, 0x7f800000, v3
	v_cmp_ne_u32_e64 s[8:9], s41, v5
                                        ; implicit-def: $agpr11
	s_and_saveexec_b64 s[30:31], s[8:9]
	s_xor_b64 s[8:9], exec, s[30:31]
; %bb.463:                              ;   in Loop: Header=BB382_13 Depth=1
	v_bfe_u32 v5, v3, 16, 1
	v_add3_u32 v0, v3, v5, s42
	v_accvgpr_write_b32 a11, v0
                                        ; implicit-def: $vgpr3
; %bb.464:                              ;   in Loop: Header=BB382_13 Depth=1
	s_andn2_saveexec_b64 s[30:31], s[8:9]
; %bb.465:                              ;   in Loop: Header=BB382_13 Depth=1
	v_or_b32_e32 v5, 0x10000, v3
	v_cmp_eq_u32_sdwa s[8:9], v3, v4 src0_sel:WORD_0 src1_sel:DWORD
	v_cndmask_b32_e64 v0, v5, v3, s[8:9]
	v_accvgpr_write_b32 a11, v0
; %bb.466:                              ;   in Loop: Header=BB382_13 Depth=1
	s_or_b64 exec, exec, s[30:31]
	v_lshrrev_b16_e32 v60, 8, v58
	v_cmp_ne_u16_e64 s[8:9], 0, v60
	v_mov_b32_e32 v3, 0
	s_and_saveexec_b64 s[30:31], s[8:9]
	s_cbranch_execz .LBB382_472
; %bb.467:                              ;   in Loop: Header=BB382_13 Depth=1
	v_cmp_ne_u16_e64 s[8:9], s39, v60
	v_bfrev_b32_e32 v3, 1
	s_and_saveexec_b64 s[34:35], s[8:9]
	s_cbranch_execz .LBB382_471
; %bb.468:                              ;   in Loop: Header=BB382_13 Depth=1
	v_and_b32_e32 v5, 0x7f, v60
	v_cmp_ne_u32_e64 s[8:9], s40, v5
	v_mov_b32_e32 v3, 0x7f800001
	s_and_saveexec_b64 s[36:37], s[8:9]
	s_cbranch_execz .LBB382_470
; %bb.469:                              ;   in Loop: Header=BB382_13 Depth=1
	v_and_b32_e32 v3, 7, v60
	v_lshrrev_b32_e32 v10, 3, v5
	v_cmp_gt_u32_e64 s[8:9], 8, v5
	v_ffbh_u32_e32 v5, v3
	v_min_u32_e32 v5, 32, v5
	v_subrev_u32_e32 v11, 28, v5
	v_lshlrev_b64 v[26:27], v11, v[60:61]
	v_sub_u32_e32 v5, 29, v5
	v_and_b32_e32 v11, 7, v26
	v_cndmask_b32_e64 v5, v10, v5, s[8:9]
	v_cndmask_b32_e64 v3, v3, v11, s[8:9]
	v_lshlrev_b32_e32 v10, 16, v58
	v_bfrev_b32_e32 v0, 60
	v_lshlrev_b32_e32 v3, 20, v3
	v_and_b32_e32 v10, 0x80000000, v10
	v_lshl_add_u32 v5, v5, 23, v0
	v_or3_b32 v3, v10, v5, v3
.LBB382_470:                            ;   in Loop: Header=BB382_13 Depth=1
	s_or_b64 exec, exec, s[36:37]
.LBB382_471:                            ;   in Loop: Header=BB382_13 Depth=1
	s_or_b64 exec, exec, s[34:35]
.LBB382_472:                            ;   in Loop: Header=BB382_13 Depth=1
	s_or_b64 exec, exec, s[30:31]
	v_mul_f32_e32 v3, v30, v3
	v_and_b32_e32 v5, 0x7f800000, v3
	v_cmp_ne_u32_e64 s[8:9], s41, v5
                                        ; implicit-def: $agpr6
	s_and_saveexec_b64 s[30:31], s[8:9]
	s_xor_b64 s[8:9], exec, s[30:31]
; %bb.473:                              ;   in Loop: Header=BB382_13 Depth=1
	v_bfe_u32 v5, v3, 16, 1
	v_add3_u32 v0, v3, v5, s42
	v_accvgpr_write_b32 a6, v0
                                        ; implicit-def: $vgpr3
; %bb.474:                              ;   in Loop: Header=BB382_13 Depth=1
	s_andn2_saveexec_b64 s[30:31], s[8:9]
; %bb.475:                              ;   in Loop: Header=BB382_13 Depth=1
	v_or_b32_e32 v5, 0x10000, v3
	v_cmp_eq_u32_sdwa s[8:9], v3, v4 src0_sel:WORD_0 src1_sel:DWORD
	v_cndmask_b32_e64 v0, v5, v3, s[8:9]
	v_accvgpr_write_b32 a6, v0
; %bb.476:                              ;   in Loop: Header=BB382_13 Depth=1
	s_or_b64 exec, exec, s[30:31]
	v_lshrrev_b32_e32 v60, 16, v58
	v_cmp_ne_u16_sdwa s[8:9], v60, v4 src0_sel:BYTE_0 src1_sel:DWORD
	v_mov_b32_e32 v3, 0
	s_and_saveexec_b64 s[30:31], s[8:9]
	s_cbranch_execz .LBB382_482
; %bb.477:                              ;   in Loop: Header=BB382_13 Depth=1
	v_cmp_ne_u16_sdwa s[8:9], v60, s39 src0_sel:BYTE_0 src1_sel:DWORD
	v_bfrev_b32_e32 v3, 1
	s_and_saveexec_b64 s[34:35], s[8:9]
	s_cbranch_execz .LBB382_481
; %bb.478:                              ;   in Loop: Header=BB382_13 Depth=1
	v_bfe_u32 v10, v58, 16, 7
	v_cmp_ne_u32_e64 s[8:9], s40, v10
	v_mov_b32_e32 v3, 0x7f800001
	s_and_saveexec_b64 s[36:37], s[8:9]
	s_cbranch_execz .LBB382_480
; %bb.479:                              ;   in Loop: Header=BB382_13 Depth=1
	v_and_b32_e32 v3, 7, v60
	v_lshrrev_b32_e32 v11, 3, v10
	v_cmp_gt_u32_e64 s[8:9], 8, v10
	v_ffbh_u32_e32 v10, v3
	v_min_u32_e32 v10, 32, v10
	v_subrev_u32_e32 v13, 28, v10
	v_lshlrev_b64 v[26:27], v13, v[60:61]
	v_sub_u32_e32 v10, 29, v10
	v_and_b32_e32 v13, 7, v26
	v_cndmask_b32_e64 v10, v11, v10, s[8:9]
	v_cndmask_b32_e64 v3, v3, v13, s[8:9]
	v_lshlrev_b32_e32 v11, 24, v60
	v_bfrev_b32_e32 v0, 60
	v_lshlrev_b32_e32 v3, 20, v3
	v_and_b32_e32 v11, 0x80000000, v11
	v_lshl_add_u32 v10, v10, 23, v0
	v_or3_b32 v3, v11, v10, v3
.LBB382_480:                            ;   in Loop: Header=BB382_13 Depth=1
	s_or_b64 exec, exec, s[36:37]
.LBB382_481:                            ;   in Loop: Header=BB382_13 Depth=1
	s_or_b64 exec, exec, s[34:35]
.LBB382_482:                            ;   in Loop: Header=BB382_13 Depth=1
	s_or_b64 exec, exec, s[30:31]
	v_mul_f32_e32 v3, v30, v3
	v_and_b32_e32 v10, 0x7f800000, v3
	v_cmp_ne_u32_e64 s[8:9], s41, v10
                                        ; implicit-def: $agpr41
	s_and_saveexec_b64 s[30:31], s[8:9]
	s_xor_b64 s[8:9], exec, s[30:31]
; %bb.483:                              ;   in Loop: Header=BB382_13 Depth=1
	v_bfe_u32 v10, v3, 16, 1
	v_add3_u32 v0, v3, v10, s42
	v_accvgpr_write_b32 a41, v0
                                        ; implicit-def: $vgpr3
; %bb.484:                              ;   in Loop: Header=BB382_13 Depth=1
	s_andn2_saveexec_b64 s[30:31], s[8:9]
; %bb.485:                              ;   in Loop: Header=BB382_13 Depth=1
	v_or_b32_e32 v10, 0x10000, v3
	v_cmp_eq_u32_sdwa s[8:9], v3, v4 src0_sel:WORD_0 src1_sel:DWORD
	v_cndmask_b32_e64 v0, v10, v3, s[8:9]
	v_accvgpr_write_b32 a41, v0
; %bb.486:                              ;   in Loop: Header=BB382_13 Depth=1
	s_or_b64 exec, exec, s[30:31]
	v_cmp_lt_u32_e64 s[8:9], s43, v58
	v_mov_b32_e32 v3, 0
	s_and_saveexec_b64 s[30:31], s[8:9]
	s_cbranch_execz .LBB382_492
; %bb.487:                              ;   in Loop: Header=BB382_13 Depth=1
	v_lshrrev_b32_e32 v60, 24, v58
	v_cmp_ne_u32_e64 s[8:9], s39, v60
	v_bfrev_b32_e32 v3, 1
	s_and_saveexec_b64 s[34:35], s[8:9]
	s_cbranch_execz .LBB382_491
; %bb.488:                              ;   in Loop: Header=BB382_13 Depth=1
	v_bfe_u32 v10, v58, 24, 7
	v_cmp_ne_u32_e64 s[8:9], s40, v10
	v_mov_b32_e32 v3, 0x7f800001
	s_and_saveexec_b64 s[36:37], s[8:9]
	s_cbranch_execz .LBB382_490
; %bb.489:                              ;   in Loop: Header=BB382_13 Depth=1
	v_and_b32_e32 v3, 7, v60
	v_lshrrev_b32_e32 v11, 3, v10
	v_cmp_gt_u32_e64 s[8:9], 8, v10
	v_ffbh_u32_e32 v10, v3
	v_min_u32_e32 v10, 32, v10
	v_subrev_u32_e32 v20, 28, v10
	v_lshlrev_b64 v[26:27], v20, v[60:61]
	v_sub_u32_e32 v10, 29, v10
	v_and_b32_e32 v20, 7, v26
	v_cndmask_b32_e64 v10, v11, v10, s[8:9]
	v_cndmask_b32_e64 v3, v3, v20, s[8:9]
	v_lshlrev_b32_e32 v11, 24, v60
	v_bfrev_b32_e32 v0, 60
	v_lshlrev_b32_e32 v3, 20, v3
	v_and_b32_e32 v11, 0x80000000, v11
	v_lshl_add_u32 v10, v10, 23, v0
	v_or3_b32 v3, v11, v10, v3
.LBB382_490:                            ;   in Loop: Header=BB382_13 Depth=1
	s_or_b64 exec, exec, s[36:37]
.LBB382_491:                            ;   in Loop: Header=BB382_13 Depth=1
	s_or_b64 exec, exec, s[34:35]
.LBB382_492:                            ;   in Loop: Header=BB382_13 Depth=1
	s_or_b64 exec, exec, s[30:31]
	v_mul_f32_e32 v3, v30, v3
	v_and_b32_e32 v10, 0x7f800000, v3
	v_cmp_ne_u32_e64 s[8:9], s41, v10
                                        ; implicit-def: $agpr38
	s_and_saveexec_b64 s[30:31], s[8:9]
	s_xor_b64 s[8:9], exec, s[30:31]
; %bb.493:                              ;   in Loop: Header=BB382_13 Depth=1
	v_bfe_u32 v10, v3, 16, 1
	v_add3_u32 v0, v3, v10, s42
	v_accvgpr_write_b32 a38, v0
                                        ; implicit-def: $vgpr3
; %bb.494:                              ;   in Loop: Header=BB382_13 Depth=1
	s_andn2_saveexec_b64 s[30:31], s[8:9]
; %bb.495:                              ;   in Loop: Header=BB382_13 Depth=1
	v_or_b32_e32 v10, 0x10000, v3
	v_cmp_eq_u32_sdwa s[8:9], v3, v4 src0_sel:WORD_0 src1_sel:DWORD
	v_cndmask_b32_e64 v0, v10, v3, s[8:9]
	v_accvgpr_write_b32 a38, v0
; %bb.496:                              ;   in Loop: Header=BB382_13 Depth=1
	s_or_b64 exec, exec, s[30:31]
	flat_load_dword v58, v[56:57] offset:3072
	v_mov_b32_e32 v3, 0
	s_waitcnt vmcnt(0) lgkmcnt(0)
	v_cmp_ne_u16_sdwa s[8:9], v58, v4 src0_sel:BYTE_0 src1_sel:DWORD
	s_and_saveexec_b64 s[30:31], s[8:9]
	s_cbranch_execz .LBB382_502
; %bb.497:                              ;   in Loop: Header=BB382_13 Depth=1
	v_cmp_ne_u16_sdwa s[8:9], v58, s39 src0_sel:BYTE_0 src1_sel:DWORD
	v_bfrev_b32_e32 v3, 1
	s_and_saveexec_b64 s[34:35], s[8:9]
	s_cbranch_execz .LBB382_501
; %bb.498:                              ;   in Loop: Header=BB382_13 Depth=1
	v_and_b32_e32 v10, 0x7f, v58
	v_cmp_ne_u32_e64 s[8:9], s40, v10
	v_mov_b32_e32 v3, 0x7f800001
	s_and_saveexec_b64 s[36:37], s[8:9]
	s_cbranch_execz .LBB382_500
; %bb.499:                              ;   in Loop: Header=BB382_13 Depth=1
	v_and_b32_e32 v3, 7, v58
	v_lshrrev_b32_e32 v11, 3, v10
	v_cmp_gt_u32_e64 s[8:9], 8, v10
	v_ffbh_u32_e32 v10, v3
	v_min_u32_e32 v10, 32, v10
	v_subrev_u32_e32 v20, 28, v10
	v_lshlrev_b64 v[26:27], v20, v[58:59]
	v_sub_u32_e32 v10, 29, v10
	v_and_b32_e32 v20, 7, v26
	v_cndmask_b32_e64 v10, v11, v10, s[8:9]
	v_cndmask_b32_e64 v3, v3, v20, s[8:9]
	v_lshlrev_b32_e32 v11, 24, v58
	v_bfrev_b32_e32 v0, 60
	v_lshlrev_b32_e32 v3, 20, v3
	v_and_b32_e32 v11, 0x80000000, v11
	v_lshl_add_u32 v10, v10, 23, v0
	v_or3_b32 v3, v11, v10, v3
.LBB382_500:                            ;   in Loop: Header=BB382_13 Depth=1
	s_or_b64 exec, exec, s[36:37]
.LBB382_501:                            ;   in Loop: Header=BB382_13 Depth=1
	s_or_b64 exec, exec, s[34:35]
.LBB382_502:                            ;   in Loop: Header=BB382_13 Depth=1
	s_or_b64 exec, exec, s[30:31]
	v_mul_f32_e32 v3, v30, v3
	v_and_b32_e32 v10, 0x7f800000, v3
	v_cmp_ne_u32_e64 s[8:9], s41, v10
                                        ; implicit-def: $agpr39
	s_and_saveexec_b64 s[30:31], s[8:9]
	s_xor_b64 s[8:9], exec, s[30:31]
; %bb.503:                              ;   in Loop: Header=BB382_13 Depth=1
	v_bfe_u32 v10, v3, 16, 1
	v_add3_u32 v0, v3, v10, s42
	v_accvgpr_write_b32 a39, v0
                                        ; implicit-def: $vgpr3
; %bb.504:                              ;   in Loop: Header=BB382_13 Depth=1
	s_andn2_saveexec_b64 s[30:31], s[8:9]
; %bb.505:                              ;   in Loop: Header=BB382_13 Depth=1
	v_or_b32_e32 v10, 0x10000, v3
	v_cmp_eq_u32_sdwa s[8:9], v3, v4 src0_sel:WORD_0 src1_sel:DWORD
	v_cndmask_b32_e64 v0, v10, v3, s[8:9]
	v_accvgpr_write_b32 a39, v0
; %bb.506:                              ;   in Loop: Header=BB382_13 Depth=1
	s_or_b64 exec, exec, s[30:31]
	v_lshrrev_b16_e32 v60, 8, v58
	v_cmp_ne_u16_e64 s[8:9], 0, v60
	v_mov_b32_e32 v3, 0
	s_and_saveexec_b64 s[30:31], s[8:9]
	s_cbranch_execz .LBB382_512
; %bb.507:                              ;   in Loop: Header=BB382_13 Depth=1
	v_cmp_ne_u16_e64 s[8:9], s39, v60
	v_bfrev_b32_e32 v3, 1
	s_and_saveexec_b64 s[34:35], s[8:9]
	s_cbranch_execz .LBB382_511
; %bb.508:                              ;   in Loop: Header=BB382_13 Depth=1
	v_and_b32_e32 v10, 0x7f, v60
	v_cmp_ne_u32_e64 s[8:9], s40, v10
	v_mov_b32_e32 v3, 0x7f800001
	s_and_saveexec_b64 s[36:37], s[8:9]
	s_cbranch_execz .LBB382_510
; %bb.509:                              ;   in Loop: Header=BB382_13 Depth=1
	v_and_b32_e32 v3, 7, v60
	v_lshrrev_b32_e32 v11, 3, v10
	v_cmp_gt_u32_e64 s[8:9], 8, v10
	v_ffbh_u32_e32 v10, v3
	v_min_u32_e32 v10, 32, v10
	v_subrev_u32_e32 v20, 28, v10
	v_lshlrev_b64 v[26:27], v20, v[60:61]
	v_sub_u32_e32 v10, 29, v10
	v_and_b32_e32 v20, 7, v26
	v_cndmask_b32_e64 v10, v11, v10, s[8:9]
	v_cndmask_b32_e64 v3, v3, v20, s[8:9]
	v_lshlrev_b32_e32 v11, 16, v58
	v_bfrev_b32_e32 v0, 60
	v_lshlrev_b32_e32 v3, 20, v3
	v_and_b32_e32 v11, 0x80000000, v11
	v_lshl_add_u32 v10, v10, 23, v0
	v_or3_b32 v3, v11, v10, v3
.LBB382_510:                            ;   in Loop: Header=BB382_13 Depth=1
	s_or_b64 exec, exec, s[36:37]
.LBB382_511:                            ;   in Loop: Header=BB382_13 Depth=1
	s_or_b64 exec, exec, s[34:35]
.LBB382_512:                            ;   in Loop: Header=BB382_13 Depth=1
	s_or_b64 exec, exec, s[30:31]
	v_mul_f32_e32 v10, v30, v3
	v_and_b32_e32 v3, 0x7f800000, v10
	v_cmp_ne_u32_e64 s[8:9], s41, v3
                                        ; implicit-def: $agpr40
	s_and_saveexec_b64 s[30:31], s[8:9]
	s_xor_b64 s[8:9], exec, s[30:31]
; %bb.513:                              ;   in Loop: Header=BB382_13 Depth=1
	v_bfe_u32 v3, v10, 16, 1
	v_add3_u32 v0, v10, v3, s42
	v_accvgpr_write_b32 a40, v0
                                        ; implicit-def: $vgpr10
; %bb.514:                              ;   in Loop: Header=BB382_13 Depth=1
	s_andn2_saveexec_b64 s[30:31], s[8:9]
; %bb.515:                              ;   in Loop: Header=BB382_13 Depth=1
	v_or_b32_e32 v3, 0x10000, v10
	v_cmp_eq_u32_sdwa s[8:9], v10, v4 src0_sel:WORD_0 src1_sel:DWORD
	v_cndmask_b32_e64 v0, v3, v10, s[8:9]
	v_accvgpr_write_b32 a40, v0
; %bb.516:                              ;   in Loop: Header=BB382_13 Depth=1
	s_or_b64 exec, exec, s[30:31]
	v_lshrrev_b32_e32 v60, 16, v58
	v_cmp_ne_u16_sdwa s[8:9], v60, v4 src0_sel:BYTE_0 src1_sel:DWORD
	v_mov_b32_e32 v10, 0
	s_and_saveexec_b64 s[30:31], s[8:9]
	s_cbranch_execz .LBB382_522
; %bb.517:                              ;   in Loop: Header=BB382_13 Depth=1
	v_cmp_ne_u16_sdwa s[8:9], v60, s39 src0_sel:BYTE_0 src1_sel:DWORD
	v_bfrev_b32_e32 v10, 1
	s_and_saveexec_b64 s[34:35], s[8:9]
	s_cbranch_execz .LBB382_521
; %bb.518:                              ;   in Loop: Header=BB382_13 Depth=1
	v_bfe_u32 v20, v58, 16, 7
	v_cmp_ne_u32_e64 s[8:9], s40, v20
	v_mov_b32_e32 v10, 0x7f800001
	s_and_saveexec_b64 s[36:37], s[8:9]
	s_cbranch_execz .LBB382_520
; %bb.519:                              ;   in Loop: Header=BB382_13 Depth=1
	v_and_b32_e32 v10, 7, v60
	v_lshrrev_b32_e32 v11, 3, v20
	v_cmp_gt_u32_e64 s[8:9], 8, v20
	v_ffbh_u32_e32 v20, v10
	v_min_u32_e32 v20, 32, v20
	v_subrev_u32_e32 v22, 28, v20
	v_lshlrev_b64 v[26:27], v22, v[60:61]
	v_sub_u32_e32 v20, 29, v20
	v_and_b32_e32 v22, 7, v26
	v_cndmask_b32_e64 v11, v11, v20, s[8:9]
	v_cndmask_b32_e64 v10, v10, v22, s[8:9]
	v_lshlrev_b32_e32 v20, 24, v60
	v_bfrev_b32_e32 v0, 60
	v_lshlrev_b32_e32 v10, 20, v10
	v_and_b32_e32 v20, 0x80000000, v20
	v_lshl_add_u32 v11, v11, 23, v0
	v_or3_b32 v10, v20, v11, v10
.LBB382_520:                            ;   in Loop: Header=BB382_13 Depth=1
	s_or_b64 exec, exec, s[36:37]
.LBB382_521:                            ;   in Loop: Header=BB382_13 Depth=1
	s_or_b64 exec, exec, s[34:35]
.LBB382_522:                            ;   in Loop: Header=BB382_13 Depth=1
	s_or_b64 exec, exec, s[30:31]
	v_mul_f32_e32 v10, v30, v10
	v_and_b32_e32 v11, 0x7f800000, v10
	v_cmp_ne_u32_e64 s[8:9], s41, v11
                                        ; implicit-def: $agpr34
	s_and_saveexec_b64 s[30:31], s[8:9]
	s_xor_b64 s[8:9], exec, s[30:31]
; %bb.523:                              ;   in Loop: Header=BB382_13 Depth=1
	v_bfe_u32 v11, v10, 16, 1
	v_add3_u32 v0, v10, v11, s42
	v_accvgpr_write_b32 a34, v0
                                        ; implicit-def: $vgpr10
; %bb.524:                              ;   in Loop: Header=BB382_13 Depth=1
	s_andn2_saveexec_b64 s[30:31], s[8:9]
; %bb.525:                              ;   in Loop: Header=BB382_13 Depth=1
	v_or_b32_e32 v11, 0x10000, v10
	v_cmp_eq_u32_sdwa s[8:9], v10, v4 src0_sel:WORD_0 src1_sel:DWORD
	v_cndmask_b32_e64 v0, v11, v10, s[8:9]
	v_accvgpr_write_b32 a34, v0
; %bb.526:                              ;   in Loop: Header=BB382_13 Depth=1
	s_or_b64 exec, exec, s[30:31]
	v_cmp_lt_u32_e64 s[8:9], s43, v58
	v_mov_b32_e32 v10, 0
	s_and_saveexec_b64 s[30:31], s[8:9]
	s_cbranch_execz .LBB382_532
; %bb.527:                              ;   in Loop: Header=BB382_13 Depth=1
	v_lshrrev_b32_e32 v60, 24, v58
	v_cmp_ne_u32_e64 s[8:9], s39, v60
	v_bfrev_b32_e32 v10, 1
	s_and_saveexec_b64 s[34:35], s[8:9]
	s_cbranch_execz .LBB382_531
; %bb.528:                              ;   in Loop: Header=BB382_13 Depth=1
	v_bfe_u32 v20, v58, 24, 7
	v_cmp_ne_u32_e64 s[8:9], s40, v20
	v_mov_b32_e32 v10, 0x7f800001
	s_and_saveexec_b64 s[36:37], s[8:9]
	s_cbranch_execz .LBB382_530
; %bb.529:                              ;   in Loop: Header=BB382_13 Depth=1
	v_and_b32_e32 v10, 7, v60
	v_lshrrev_b32_e32 v11, 3, v20
	v_cmp_gt_u32_e64 s[8:9], 8, v20
	v_ffbh_u32_e32 v20, v10
	v_min_u32_e32 v20, 32, v20
	v_subrev_u32_e32 v22, 28, v20
	v_lshlrev_b64 v[26:27], v22, v[60:61]
	v_sub_u32_e32 v20, 29, v20
	v_and_b32_e32 v22, 7, v26
	v_cndmask_b32_e64 v11, v11, v20, s[8:9]
	v_cndmask_b32_e64 v10, v10, v22, s[8:9]
	v_lshlrev_b32_e32 v20, 24, v60
	v_bfrev_b32_e32 v0, 60
	v_lshlrev_b32_e32 v10, 20, v10
	v_and_b32_e32 v20, 0x80000000, v20
	v_lshl_add_u32 v11, v11, 23, v0
	v_or3_b32 v10, v20, v11, v10
.LBB382_530:                            ;   in Loop: Header=BB382_13 Depth=1
	s_or_b64 exec, exec, s[36:37]
.LBB382_531:                            ;   in Loop: Header=BB382_13 Depth=1
	s_or_b64 exec, exec, s[34:35]
.LBB382_532:                            ;   in Loop: Header=BB382_13 Depth=1
	s_or_b64 exec, exec, s[30:31]
	v_mul_f32_e32 v10, v30, v10
	v_and_b32_e32 v11, 0x7f800000, v10
	v_cmp_ne_u32_e64 s[8:9], s41, v11
                                        ; implicit-def: $agpr35
	s_and_saveexec_b64 s[30:31], s[8:9]
	s_xor_b64 s[8:9], exec, s[30:31]
; %bb.533:                              ;   in Loop: Header=BB382_13 Depth=1
	v_bfe_u32 v11, v10, 16, 1
	v_add3_u32 v0, v10, v11, s42
	v_accvgpr_write_b32 a35, v0
                                        ; implicit-def: $vgpr10
; %bb.534:                              ;   in Loop: Header=BB382_13 Depth=1
	s_andn2_saveexec_b64 s[30:31], s[8:9]
; %bb.535:                              ;   in Loop: Header=BB382_13 Depth=1
	v_or_b32_e32 v11, 0x10000, v10
	v_cmp_eq_u32_sdwa s[8:9], v10, v4 src0_sel:WORD_0 src1_sel:DWORD
	v_cndmask_b32_e64 v0, v11, v10, s[8:9]
	v_accvgpr_write_b32 a35, v0
; %bb.536:                              ;   in Loop: Header=BB382_13 Depth=1
	s_or_b64 exec, exec, s[30:31]
	flat_load_dword v58, v[56:57] offset:3080
	v_mov_b32_e32 v10, 0
	s_waitcnt vmcnt(0) lgkmcnt(0)
	v_cmp_ne_u16_sdwa s[8:9], v58, v4 src0_sel:BYTE_0 src1_sel:DWORD
	s_and_saveexec_b64 s[30:31], s[8:9]
	s_cbranch_execz .LBB382_542
; %bb.537:                              ;   in Loop: Header=BB382_13 Depth=1
	v_cmp_ne_u16_sdwa s[8:9], v58, s39 src0_sel:BYTE_0 src1_sel:DWORD
	v_bfrev_b32_e32 v10, 1
	s_and_saveexec_b64 s[34:35], s[8:9]
	s_cbranch_execz .LBB382_541
; %bb.538:                              ;   in Loop: Header=BB382_13 Depth=1
	v_and_b32_e32 v20, 0x7f, v58
	v_cmp_ne_u32_e64 s[8:9], s40, v20
	v_mov_b32_e32 v10, 0x7f800001
	s_and_saveexec_b64 s[36:37], s[8:9]
	s_cbranch_execz .LBB382_540
; %bb.539:                              ;   in Loop: Header=BB382_13 Depth=1
	v_and_b32_e32 v10, 7, v58
	v_lshrrev_b32_e32 v11, 3, v20
	v_cmp_gt_u32_e64 s[8:9], 8, v20
	v_ffbh_u32_e32 v20, v10
	v_min_u32_e32 v20, 32, v20
	v_subrev_u32_e32 v22, 28, v20
	v_lshlrev_b64 v[26:27], v22, v[58:59]
	v_sub_u32_e32 v20, 29, v20
	v_and_b32_e32 v22, 7, v26
	v_cndmask_b32_e64 v11, v11, v20, s[8:9]
	v_cndmask_b32_e64 v10, v10, v22, s[8:9]
	v_lshlrev_b32_e32 v20, 24, v58
	v_bfrev_b32_e32 v0, 60
	v_lshlrev_b32_e32 v10, 20, v10
	v_and_b32_e32 v20, 0x80000000, v20
	v_lshl_add_u32 v11, v11, 23, v0
	v_or3_b32 v10, v20, v11, v10
.LBB382_540:                            ;   in Loop: Header=BB382_13 Depth=1
	s_or_b64 exec, exec, s[36:37]
.LBB382_541:                            ;   in Loop: Header=BB382_13 Depth=1
	s_or_b64 exec, exec, s[34:35]
.LBB382_542:                            ;   in Loop: Header=BB382_13 Depth=1
	s_or_b64 exec, exec, s[30:31]
	v_mul_f32_e32 v10, v30, v10
	v_and_b32_e32 v11, 0x7f800000, v10
	v_cmp_ne_u32_e64 s[8:9], s41, v11
                                        ; implicit-def: $agpr4
	s_and_saveexec_b64 s[30:31], s[8:9]
	s_xor_b64 s[8:9], exec, s[30:31]
; %bb.543:                              ;   in Loop: Header=BB382_13 Depth=1
	v_bfe_u32 v11, v10, 16, 1
	v_add3_u32 v0, v10, v11, s42
	v_accvgpr_write_b32 a4, v0
                                        ; implicit-def: $vgpr10
; %bb.544:                              ;   in Loop: Header=BB382_13 Depth=1
	s_andn2_saveexec_b64 s[30:31], s[8:9]
; %bb.545:                              ;   in Loop: Header=BB382_13 Depth=1
	v_or_b32_e32 v11, 0x10000, v10
	v_cmp_eq_u32_sdwa s[8:9], v10, v4 src0_sel:WORD_0 src1_sel:DWORD
	v_cndmask_b32_e64 v0, v11, v10, s[8:9]
	v_accvgpr_write_b32 a4, v0
; %bb.546:                              ;   in Loop: Header=BB382_13 Depth=1
	s_or_b64 exec, exec, s[30:31]
	v_lshrrev_b16_e32 v60, 8, v58
	v_cmp_ne_u16_e64 s[8:9], 0, v60
	v_mov_b32_e32 v10, 0
	s_and_saveexec_b64 s[30:31], s[8:9]
	s_cbranch_execz .LBB382_552
; %bb.547:                              ;   in Loop: Header=BB382_13 Depth=1
	v_cmp_ne_u16_e64 s[8:9], s39, v60
	v_bfrev_b32_e32 v10, 1
	s_and_saveexec_b64 s[34:35], s[8:9]
	s_cbranch_execz .LBB382_551
; %bb.548:                              ;   in Loop: Header=BB382_13 Depth=1
	v_and_b32_e32 v20, 0x7f, v60
	v_cmp_ne_u32_e64 s[8:9], s40, v20
	v_mov_b32_e32 v10, 0x7f800001
	s_and_saveexec_b64 s[36:37], s[8:9]
	s_cbranch_execz .LBB382_550
; %bb.549:                              ;   in Loop: Header=BB382_13 Depth=1
	v_and_b32_e32 v10, 7, v60
	v_lshrrev_b32_e32 v11, 3, v20
	v_cmp_gt_u32_e64 s[8:9], 8, v20
	v_ffbh_u32_e32 v20, v10
	v_min_u32_e32 v20, 32, v20
	v_subrev_u32_e32 v24, 28, v20
	v_lshlrev_b64 v[26:27], v24, v[60:61]
	v_sub_u32_e32 v20, 29, v20
	v_and_b32_e32 v24, 7, v26
	v_cndmask_b32_e64 v11, v11, v20, s[8:9]
	v_cndmask_b32_e64 v10, v10, v24, s[8:9]
	v_lshlrev_b32_e32 v20, 16, v58
	v_bfrev_b32_e32 v0, 60
	v_lshlrev_b32_e32 v10, 20, v10
	v_and_b32_e32 v20, 0x80000000, v20
	v_lshl_add_u32 v11, v11, 23, v0
	v_or3_b32 v10, v20, v11, v10
.LBB382_550:                            ;   in Loop: Header=BB382_13 Depth=1
	s_or_b64 exec, exec, s[36:37]
.LBB382_551:                            ;   in Loop: Header=BB382_13 Depth=1
	s_or_b64 exec, exec, s[34:35]
.LBB382_552:                            ;   in Loop: Header=BB382_13 Depth=1
	s_or_b64 exec, exec, s[30:31]
	v_mul_f32_e32 v10, v30, v10
	v_and_b32_e32 v11, 0x7f800000, v10
	v_cmp_ne_u32_e64 s[8:9], s41, v11
                                        ; implicit-def: $vgpr27
	s_and_saveexec_b64 s[30:31], s[8:9]
	s_xor_b64 s[8:9], exec, s[30:31]
; %bb.553:                              ;   in Loop: Header=BB382_13 Depth=1
	v_bfe_u32 v11, v10, 16, 1
	v_add3_u32 v27, v10, v11, s42
                                        ; implicit-def: $vgpr10
; %bb.554:                              ;   in Loop: Header=BB382_13 Depth=1
	s_andn2_saveexec_b64 s[30:31], s[8:9]
; %bb.555:                              ;   in Loop: Header=BB382_13 Depth=1
	v_or_b32_e32 v11, 0x10000, v10
	v_cmp_eq_u32_sdwa s[8:9], v10, v4 src0_sel:WORD_0 src1_sel:DWORD
	v_cndmask_b32_e64 v27, v11, v10, s[8:9]
; %bb.556:                              ;   in Loop: Header=BB382_13 Depth=1
	s_or_b64 exec, exec, s[30:31]
	v_lshrrev_b32_e32 v60, 16, v58
	v_cmp_ne_u16_sdwa s[8:9], v60, v4 src0_sel:BYTE_0 src1_sel:DWORD
	v_mov_b32_e32 v10, 0
	s_and_saveexec_b64 s[30:31], s[8:9]
	s_cbranch_execz .LBB382_562
; %bb.557:                              ;   in Loop: Header=BB382_13 Depth=1
	v_cmp_ne_u16_sdwa s[8:9], v60, s39 src0_sel:BYTE_0 src1_sel:DWORD
	v_bfrev_b32_e32 v10, 1
	s_and_saveexec_b64 s[34:35], s[8:9]
	s_cbranch_execz .LBB382_561
; %bb.558:                              ;   in Loop: Header=BB382_13 Depth=1
	v_bfe_u32 v20, v58, 16, 7
	v_cmp_ne_u32_e64 s[8:9], s40, v20
	v_mov_b32_e32 v10, 0x7f800001
	s_and_saveexec_b64 s[36:37], s[8:9]
	s_cbranch_execz .LBB382_560
; %bb.559:                              ;   in Loop: Header=BB382_13 Depth=1
	v_and_b32_e32 v24, 7, v60
	v_ffbh_u32_e32 v10, v24
	v_lshrrev_b32_e32 v25, 3, v20
	v_cmp_gt_u32_e64 s[8:9], 8, v20
	v_min_u32_e32 v20, 32, v10
	v_subrev_u32_e32 v10, 28, v20
	v_lshlrev_b64 v[10:11], v10, v[60:61]
	v_sub_u32_e32 v11, 29, v20
	v_and_b32_e32 v10, 7, v10
	v_cndmask_b32_e64 v11, v25, v11, s[8:9]
	v_cndmask_b32_e64 v10, v24, v10, s[8:9]
	v_lshlrev_b32_e32 v20, 24, v60
	v_bfrev_b32_e32 v0, 60
	v_lshlrev_b32_e32 v10, 20, v10
	v_and_b32_e32 v20, 0x80000000, v20
	v_lshl_add_u32 v11, v11, 23, v0
	v_or3_b32 v10, v20, v11, v10
.LBB382_560:                            ;   in Loop: Header=BB382_13 Depth=1
	s_or_b64 exec, exec, s[36:37]
.LBB382_561:                            ;   in Loop: Header=BB382_13 Depth=1
	s_or_b64 exec, exec, s[34:35]
.LBB382_562:                            ;   in Loop: Header=BB382_13 Depth=1
	s_or_b64 exec, exec, s[30:31]
	v_mul_f32_e32 v10, v30, v10
	v_and_b32_e32 v11, 0x7f800000, v10
	v_cmp_ne_u32_e64 s[8:9], s41, v11
                                        ; implicit-def: $vgpr20
	s_and_saveexec_b64 s[30:31], s[8:9]
	s_xor_b64 s[8:9], exec, s[30:31]
; %bb.563:                              ;   in Loop: Header=BB382_13 Depth=1
	v_bfe_u32 v11, v10, 16, 1
	v_add3_u32 v20, v10, v11, s42
                                        ; implicit-def: $vgpr10
; %bb.564:                              ;   in Loop: Header=BB382_13 Depth=1
	s_andn2_saveexec_b64 s[30:31], s[8:9]
; %bb.565:                              ;   in Loop: Header=BB382_13 Depth=1
	v_or_b32_e32 v11, 0x10000, v10
	v_cmp_eq_u32_sdwa s[8:9], v10, v4 src0_sel:WORD_0 src1_sel:DWORD
	v_cndmask_b32_e64 v20, v11, v10, s[8:9]
; %bb.566:                              ;   in Loop: Header=BB382_13 Depth=1
	s_or_b64 exec, exec, s[30:31]
	v_cmp_lt_u32_e64 s[8:9], s43, v58
	v_mov_b32_e32 v10, 0
	s_and_saveexec_b64 s[30:31], s[8:9]
	s_cbranch_execz .LBB382_572
; %bb.567:                              ;   in Loop: Header=BB382_13 Depth=1
	v_lshrrev_b32_e32 v60, 24, v58
	v_cmp_ne_u32_e64 s[8:9], s39, v60
	v_bfrev_b32_e32 v10, 1
	s_and_saveexec_b64 s[34:35], s[8:9]
	s_cbranch_execz .LBB382_571
; %bb.568:                              ;   in Loop: Header=BB382_13 Depth=1
	v_bfe_u32 v25, v58, 24, 7
	v_cmp_ne_u32_e64 s[8:9], s40, v25
	v_mov_b32_e32 v10, 0x7f800001
	s_and_saveexec_b64 s[36:37], s[8:9]
	s_cbranch_execz .LBB382_570
; %bb.569:                              ;   in Loop: Header=BB382_13 Depth=1
	v_and_b32_e32 v24, 7, v60
	v_ffbh_u32_e32 v10, v24
	v_lshrrev_b32_e32 v26, 3, v25
	v_cmp_gt_u32_e64 s[8:9], 8, v25
	v_min_u32_e32 v25, 32, v10
	v_subrev_u32_e32 v10, 28, v25
	v_lshlrev_b64 v[10:11], v10, v[60:61]
	v_sub_u32_e32 v11, 29, v25
	v_and_b32_e32 v10, 7, v10
	v_cndmask_b32_e64 v11, v26, v11, s[8:9]
	v_cndmask_b32_e64 v10, v24, v10, s[8:9]
	v_lshlrev_b32_e32 v24, 24, v60
	v_bfrev_b32_e32 v0, 60
	v_lshlrev_b32_e32 v10, 20, v10
	v_and_b32_e32 v24, 0x80000000, v24
	v_lshl_add_u32 v11, v11, 23, v0
	v_or3_b32 v10, v24, v11, v10
.LBB382_570:                            ;   in Loop: Header=BB382_13 Depth=1
	s_or_b64 exec, exec, s[36:37]
.LBB382_571:                            ;   in Loop: Header=BB382_13 Depth=1
	s_or_b64 exec, exec, s[34:35]
.LBB382_572:                            ;   in Loop: Header=BB382_13 Depth=1
	s_or_b64 exec, exec, s[30:31]
	v_mul_f32_e32 v10, v30, v10
	v_and_b32_e32 v11, 0x7f800000, v10
	v_cmp_ne_u32_e64 s[8:9], s41, v11
                                        ; implicit-def: $vgpr60
	s_and_saveexec_b64 s[30:31], s[8:9]
	s_xor_b64 s[8:9], exec, s[30:31]
; %bb.573:                              ;   in Loop: Header=BB382_13 Depth=1
	v_bfe_u32 v11, v10, 16, 1
	v_add3_u32 v60, v10, v11, s42
                                        ; implicit-def: $vgpr10
; %bb.574:                              ;   in Loop: Header=BB382_13 Depth=1
	s_andn2_saveexec_b64 s[30:31], s[8:9]
; %bb.575:                              ;   in Loop: Header=BB382_13 Depth=1
	v_or_b32_e32 v11, 0x10000, v10
	v_cmp_eq_u32_sdwa s[8:9], v10, v4 src0_sel:WORD_0 src1_sel:DWORD
	v_cndmask_b32_e64 v60, v11, v10, s[8:9]
; %bb.576:                              ;   in Loop: Header=BB382_13 Depth=1
	s_or_b64 exec, exec, s[30:31]
	flat_load_dword v56, v[56:57] offset:3584
	v_mov_b32_e32 v10, 0
	s_waitcnt vmcnt(0) lgkmcnt(0)
	v_cmp_ne_u16_sdwa s[8:9], v56, v4 src0_sel:BYTE_0 src1_sel:DWORD
	s_and_saveexec_b64 s[30:31], s[8:9]
	s_cbranch_execz .LBB382_582
; %bb.577:                              ;   in Loop: Header=BB382_13 Depth=1
	v_cmp_ne_u16_sdwa s[8:9], v56, s39 src0_sel:BYTE_0 src1_sel:DWORD
	v_bfrev_b32_e32 v10, 1
	s_and_saveexec_b64 s[34:35], s[8:9]
	s_cbranch_execz .LBB382_581
; %bb.578:                              ;   in Loop: Header=BB382_13 Depth=1
	v_and_b32_e32 v25, 0x7f, v56
	v_cmp_ne_u32_e64 s[8:9], s40, v25
	v_mov_b32_e32 v10, 0x7f800001
	s_and_saveexec_b64 s[36:37], s[8:9]
	s_cbranch_execz .LBB382_580
; %bb.579:                              ;   in Loop: Header=BB382_13 Depth=1
	v_and_b32_e32 v24, 7, v56
	v_ffbh_u32_e32 v10, v24
	v_lshrrev_b32_e32 v26, 3, v25
	v_cmp_gt_u32_e64 s[8:9], 8, v25
	v_min_u32_e32 v25, 32, v10
	v_subrev_u32_e32 v10, 28, v25
	v_lshlrev_b64 v[10:11], v10, v[56:57]
	v_sub_u32_e32 v11, 29, v25
	v_and_b32_e32 v10, 7, v10
	v_cndmask_b32_e64 v11, v26, v11, s[8:9]
	v_cndmask_b32_e64 v10, v24, v10, s[8:9]
	v_lshlrev_b32_e32 v24, 24, v56
	v_bfrev_b32_e32 v0, 60
	v_lshlrev_b32_e32 v10, 20, v10
	v_and_b32_e32 v24, 0x80000000, v24
	v_lshl_add_u32 v11, v11, 23, v0
	v_or3_b32 v10, v24, v11, v10
.LBB382_580:                            ;   in Loop: Header=BB382_13 Depth=1
	s_or_b64 exec, exec, s[36:37]
.LBB382_581:                            ;   in Loop: Header=BB382_13 Depth=1
	s_or_b64 exec, exec, s[34:35]
.LBB382_582:                            ;   in Loop: Header=BB382_13 Depth=1
	s_or_b64 exec, exec, s[30:31]
	v_mul_f32_e32 v10, v30, v10
	v_and_b32_e32 v11, 0x7f800000, v10
	v_cmp_ne_u32_e64 s[8:9], s41, v11
                                        ; implicit-def: $vgpr57
	s_and_saveexec_b64 s[30:31], s[8:9]
	s_xor_b64 s[8:9], exec, s[30:31]
; %bb.583:                              ;   in Loop: Header=BB382_13 Depth=1
	v_bfe_u32 v11, v10, 16, 1
	v_add3_u32 v57, v10, v11, s42
                                        ; implicit-def: $vgpr10
; %bb.584:                              ;   in Loop: Header=BB382_13 Depth=1
	s_andn2_saveexec_b64 s[30:31], s[8:9]
; %bb.585:                              ;   in Loop: Header=BB382_13 Depth=1
	v_or_b32_e32 v11, 0x10000, v10
	v_cmp_eq_u32_sdwa s[8:9], v10, v4 src0_sel:WORD_0 src1_sel:DWORD
	v_cndmask_b32_e64 v57, v11, v10, s[8:9]
; %bb.586:                              ;   in Loop: Header=BB382_13 Depth=1
	s_or_b64 exec, exec, s[30:31]
	v_lshrrev_b16_e32 v58, 8, v56
	v_cmp_ne_u16_e64 s[8:9], 0, v58
	v_mov_b32_e32 v10, 0
	s_and_saveexec_b64 s[30:31], s[8:9]
	s_cbranch_execz .LBB382_592
; %bb.587:                              ;   in Loop: Header=BB382_13 Depth=1
	v_cmp_ne_u16_e64 s[8:9], s39, v58
	v_bfrev_b32_e32 v10, 1
	s_and_saveexec_b64 s[34:35], s[8:9]
	s_cbranch_execz .LBB382_591
; %bb.588:                              ;   in Loop: Header=BB382_13 Depth=1
	v_and_b32_e32 v25, 0x7f, v58
	v_cmp_ne_u32_e64 s[8:9], s40, v25
	v_mov_b32_e32 v10, 0x7f800001
	s_and_saveexec_b64 s[36:37], s[8:9]
	s_cbranch_execz .LBB382_590
; %bb.589:                              ;   in Loop: Header=BB382_13 Depth=1
	v_and_b32_e32 v24, 7, v58
	v_ffbh_u32_e32 v10, v24
	v_lshrrev_b32_e32 v26, 3, v25
	v_cmp_gt_u32_e64 s[8:9], 8, v25
	v_min_u32_e32 v25, 32, v10
	v_subrev_u32_e32 v10, 28, v25
	v_lshlrev_b64 v[10:11], v10, v[58:59]
	v_sub_u32_e32 v11, 29, v25
	v_and_b32_e32 v10, 7, v10
	v_cndmask_b32_e64 v11, v26, v11, s[8:9]
	v_cndmask_b32_e64 v10, v24, v10, s[8:9]
	v_lshlrev_b32_e32 v24, 16, v56
	v_bfrev_b32_e32 v0, 60
	v_lshlrev_b32_e32 v10, 20, v10
	v_and_b32_e32 v24, 0x80000000, v24
	v_lshl_add_u32 v11, v11, 23, v0
	v_or3_b32 v10, v24, v11, v10
.LBB382_590:                            ;   in Loop: Header=BB382_13 Depth=1
	s_or_b64 exec, exec, s[36:37]
.LBB382_591:                            ;   in Loop: Header=BB382_13 Depth=1
	s_or_b64 exec, exec, s[34:35]
.LBB382_592:                            ;   in Loop: Header=BB382_13 Depth=1
	s_or_b64 exec, exec, s[30:31]
	v_mul_f32_e32 v10, v30, v10
	v_and_b32_e32 v11, 0x7f800000, v10
	v_cmp_ne_u32_e64 s[8:9], s41, v11
                                        ; implicit-def: $vgpr26
	s_and_saveexec_b64 s[30:31], s[8:9]
	s_xor_b64 s[8:9], exec, s[30:31]
; %bb.593:                              ;   in Loop: Header=BB382_13 Depth=1
	v_bfe_u32 v11, v10, 16, 1
	v_add3_u32 v26, v10, v11, s42
                                        ; implicit-def: $vgpr10
; %bb.594:                              ;   in Loop: Header=BB382_13 Depth=1
	s_andn2_saveexec_b64 s[30:31], s[8:9]
; %bb.595:                              ;   in Loop: Header=BB382_13 Depth=1
	v_or_b32_e32 v11, 0x10000, v10
	v_cmp_eq_u32_sdwa s[8:9], v10, v4 src0_sel:WORD_0 src1_sel:DWORD
	v_cndmask_b32_e64 v26, v11, v10, s[8:9]
; %bb.596:                              ;   in Loop: Header=BB382_13 Depth=1
	s_or_b64 exec, exec, s[30:31]
	v_lshrrev_b32_e32 v58, 16, v56
	v_cmp_ne_u16_sdwa s[8:9], v58, v4 src0_sel:BYTE_0 src1_sel:DWORD
	v_mov_b32_e32 v10, 0
	s_and_saveexec_b64 s[30:31], s[8:9]
	s_cbranch_execz .LBB382_602
; %bb.597:                              ;   in Loop: Header=BB382_13 Depth=1
	v_cmp_ne_u16_sdwa s[8:9], v58, s39 src0_sel:BYTE_0 src1_sel:DWORD
	v_bfrev_b32_e32 v10, 1
	s_and_saveexec_b64 s[34:35], s[8:9]
	s_cbranch_execz .LBB382_601
; %bb.598:                              ;   in Loop: Header=BB382_13 Depth=1
	v_bfe_u32 v25, v56, 16, 7
	v_cmp_ne_u32_e64 s[8:9], s40, v25
	v_mov_b32_e32 v10, 0x7f800001
	s_and_saveexec_b64 s[36:37], s[8:9]
	s_cbranch_execz .LBB382_600
; %bb.599:                              ;   in Loop: Header=BB382_13 Depth=1
	v_and_b32_e32 v24, 7, v58
	v_ffbh_u32_e32 v10, v24
	v_lshrrev_b32_e32 v41, 3, v25
	v_cmp_gt_u32_e64 s[8:9], 8, v25
	v_min_u32_e32 v25, 32, v10
	v_subrev_u32_e32 v10, 28, v25
	v_lshlrev_b64 v[10:11], v10, v[58:59]
	v_sub_u32_e32 v11, 29, v25
	v_and_b32_e32 v10, 7, v10
	v_cndmask_b32_e64 v11, v41, v11, s[8:9]
	v_cndmask_b32_e64 v10, v24, v10, s[8:9]
	v_lshlrev_b32_e32 v24, 24, v58
	v_bfrev_b32_e32 v0, 60
	v_lshlrev_b32_e32 v10, 20, v10
	v_and_b32_e32 v24, 0x80000000, v24
	v_lshl_add_u32 v11, v11, 23, v0
	v_or3_b32 v10, v24, v11, v10
.LBB382_600:                            ;   in Loop: Header=BB382_13 Depth=1
	s_or_b64 exec, exec, s[36:37]
.LBB382_601:                            ;   in Loop: Header=BB382_13 Depth=1
	s_or_b64 exec, exec, s[34:35]
.LBB382_602:                            ;   in Loop: Header=BB382_13 Depth=1
	s_or_b64 exec, exec, s[30:31]
	v_mul_f32_e32 v25, v30, v10
	v_and_b32_e32 v10, 0x7f800000, v25
	v_cmp_ne_u32_e64 s[8:9], s41, v10
                                        ; implicit-def: $vgpr10
	s_and_saveexec_b64 s[30:31], s[8:9]
	s_xor_b64 s[8:9], exec, s[30:31]
; %bb.603:                              ;   in Loop: Header=BB382_13 Depth=1
	v_bfe_u32 v10, v25, 16, 1
	v_add3_u32 v10, v25, v10, s42
                                        ; implicit-def: $vgpr25
; %bb.604:                              ;   in Loop: Header=BB382_13 Depth=1
	s_andn2_saveexec_b64 s[30:31], s[8:9]
; %bb.605:                              ;   in Loop: Header=BB382_13 Depth=1
	v_or_b32_e32 v10, 0x10000, v25
	v_cmp_eq_u32_sdwa s[8:9], v25, v4 src0_sel:WORD_0 src1_sel:DWORD
	v_cndmask_b32_e64 v10, v10, v25, s[8:9]
; %bb.606:                              ;   in Loop: Header=BB382_13 Depth=1
	s_or_b64 exec, exec, s[30:31]
	v_cmp_lt_u32_e64 s[8:9], s43, v56
	v_mov_b32_e32 v25, 0
	s_and_saveexec_b64 s[30:31], s[8:9]
	s_cbranch_execz .LBB382_612
; %bb.607:                              ;   in Loop: Header=BB382_13 Depth=1
	v_lshrrev_b32_e32 v58, 24, v56
	v_cmp_ne_u32_e64 s[8:9], s39, v58
	v_bfrev_b32_e32 v25, 1
	s_and_saveexec_b64 s[34:35], s[8:9]
	s_cbranch_execz .LBB382_611
; %bb.608:                              ;   in Loop: Header=BB382_13 Depth=1
	v_bfe_u32 v56, v56, 24, 7
	v_cmp_ne_u32_e64 s[8:9], s40, v56
	v_mov_b32_e32 v25, 0x7f800001
	s_and_saveexec_b64 s[36:37], s[8:9]
	s_cbranch_execz .LBB382_610
; %bb.609:                              ;   in Loop: Header=BB382_13 Depth=1
	v_and_b32_e32 v11, 7, v58
	v_ffbh_u32_e32 v24, v11
	v_lshrrev_b32_e32 v41, 3, v56
	v_cmp_gt_u32_e64 s[8:9], 8, v56
	v_min_u32_e32 v56, 32, v24
	v_subrev_u32_e32 v24, 28, v56
	v_lshlrev_b64 v[24:25], v24, v[58:59]
	v_sub_u32_e32 v25, 29, v56
	v_and_b32_e32 v24, 7, v24
	v_cndmask_b32_e64 v25, v41, v25, s[8:9]
	v_cndmask_b32_e64 v11, v11, v24, s[8:9]
	v_lshlrev_b32_e32 v24, 24, v58
	v_bfrev_b32_e32 v0, 60
	v_lshlrev_b32_e32 v11, 20, v11
	v_and_b32_e32 v24, 0x80000000, v24
	v_lshl_add_u32 v25, v25, 23, v0
	v_or3_b32 v25, v24, v25, v11
.LBB382_610:                            ;   in Loop: Header=BB382_13 Depth=1
	s_or_b64 exec, exec, s[36:37]
.LBB382_611:                            ;   in Loop: Header=BB382_13 Depth=1
	s_or_b64 exec, exec, s[34:35]
.LBB382_612:                            ;   in Loop: Header=BB382_13 Depth=1
	s_or_b64 exec, exec, s[30:31]
	v_mul_f32_e32 v25, v30, v25
	v_and_b32_e32 v11, 0x7f800000, v25
	v_cmp_ne_u32_e64 s[8:9], s41, v11
                                        ; implicit-def: $vgpr30
	s_and_saveexec_b64 s[30:31], s[8:9]
	s_xor_b64 s[8:9], exec, s[30:31]
; %bb.613:                              ;   in Loop: Header=BB382_13 Depth=1
	v_bfe_u32 v11, v25, 16, 1
	v_add3_u32 v30, v25, v11, s42
                                        ; implicit-def: $vgpr25
; %bb.614:                              ;   in Loop: Header=BB382_13 Depth=1
	s_or_saveexec_b64 s[30:31], s[8:9]
	v_accvgpr_write_b32 a42, v23
	s_xor_b64 exec, exec, s[30:31]
; %bb.615:                              ;   in Loop: Header=BB382_13 Depth=1
	v_or_b32_e32 v11, 0x10000, v25
	v_cmp_eq_u32_sdwa s[8:9], v25, v4 src0_sel:WORD_0 src1_sel:DWORD
	v_cndmask_b32_e64 v30, v11, v25, s[8:9]
; %bb.616:                              ;   in Loop: Header=BB382_13 Depth=1
	s_or_b64 exec, exec, s[30:31]
	v_lshlrev_b32_e32 v11, 16, v52
	v_lshlrev_b32_e32 v24, 16, v53
	v_and_b32_e32 v56, 0xffff0000, v52
	v_and_b32_e32 v12, 0xffff0000, v53
	v_lshlrev_b32_e32 v13, 16, v38
	v_and_b32_e32 v43, 0xffff0000, v38
	v_lshlrev_b32_e32 v52, 16, v35
	;; [unrolled: 2-line block ×3, first 2 shown]
	v_and_b32_e32 v38, 0xffff0000, v6
	v_accvgpr_read_b32 v6, a54
	v_lshlrev_b32_e32 v25, 16, v54
	v_lshlrev_b32_e32 v41, 16, v55
	v_and_b32_e32 v2, 0xffff0000, v55
	v_lshlrev_b32_e32 v31, 16, v32
	v_lshlrev_b32_e32 v58, 16, v34
	v_and_b32_e32 v0, 0xffff0000, v32
	v_and_b32_e32 v55, 0xffff0000, v34
	v_lshlrev_b32_e32 v32, 16, v7
	v_and_b32_e32 v34, 0xffff0000, v7
	v_and_b32_e32 v6, 0xffff0000, v6
	v_accvgpr_read_b32 v7, a50
	v_mul_f32_e32 v6, v25, v6
	v_and_b32_e32 v7, 0xffff0000, v7
	v_fmac_f32_e32 v6, v11, v7
	v_accvgpr_read_b32 v7, a55
	v_and_b32_e32 v54, 0xffff0000, v54
	v_lshlrev_b32_e32 v23, 16, v36
	v_lshlrev_b32_e32 v5, 16, v37
	v_lshlrev_b32_e32 v44, 16, v39
	v_and_b32_e32 v42, 0xffff0000, v36
	v_and_b32_e32 v3, 0xffff0000, v37
	;; [unrolled: 1-line block ×3, first 2 shown]
	v_lshlrev_b32_e32 v22, 16, v33
	v_and_b32_e32 v15, 0xffff0000, v33
	v_lshlrev_b32_e32 v37, 16, v18
	v_lshlrev_b32_e32 v33, 16, v19
	v_and_b32_e32 v39, 0xffff0000, v18
	v_and_b32_e32 v36, 0xffff0000, v19
	v_lshlrev_b32_e32 v18, 16, v8
	v_and_b32_e32 v19, 0xffff0000, v8
	v_and_b32_e32 v7, 0xffff0000, v7
	v_accvgpr_read_b32 v8, a51
	v_mul_f32_e32 v7, v54, v7
	v_and_b32_e32 v8, 0xffff0000, v8
	v_fmac_f32_e32 v7, v56, v8
	v_accvgpr_read_b32 v8, a56
	v_lshlrev_b32_e32 v14, 16, v48
	v_lshlrev_b32_e32 v40, 16, v49
	;; [unrolled: 1-line block ×4, first 2 shown]
	v_and_b32_e32 v59, 0xffff0000, v48
	v_and_b32_e32 v61, 0xffff0000, v49
	;; [unrolled: 1-line block ×4, first 2 shown]
	v_lshlrev_b32_e32 v51, 16, v16
	v_lshlrev_b32_e32 v48, 16, v17
	v_and_b32_e32 v50, 0xffff0000, v16
	v_and_b32_e32 v49, 0xffff0000, v17
	v_lshlrev_b32_e32 v16, 16, v9
	v_and_b32_e32 v17, 0xffff0000, v9
	v_and_b32_e32 v8, 0xffff0000, v8
	v_accvgpr_read_b32 v9, a52
	v_mul_f32_e32 v8, v41, v8
	v_and_b32_e32 v9, 0xffff0000, v9
	v_fmac_f32_e32 v8, v24, v9
	v_accvgpr_read_b32 v9, a57
	v_and_b32_e32 v9, 0xffff0000, v9
	v_mul_f32_e32 v9, v2, v9
	v_accvgpr_read_b32 v2, a53
	v_and_b32_e32 v2, 0xffff0000, v2
	v_fmac_f32_e32 v9, v12, v2
	v_accvgpr_read_b32 v2, a58
	v_and_b32_e32 v2, 0xffff0000, v2
	v_fmac_f32_e32 v6, v14, v2
	;; [unrolled: 3-line block ×5, first 2 shown]
	buffer_load_dword v61, off, s[0:3], s32 offset:248 ; 4-byte Folded Reload
	v_accvgpr_read_b32 v2, a62
	v_and_b32_e32 v2, 0xffff0000, v2
	v_fmac_f32_e32 v6, v28, v2
	v_accvgpr_read_b32 v2, a63
	v_and_b32_e32 v2, 0xffff0000, v2
	v_fmac_f32_e32 v7, v21, v2
	;; [unrolled: 3-line block ×16, first 2 shown]
	v_accvgpr_read_b32 v0, a4
	v_and_b32_e32 v22, 0xffff0000, v0
	v_accvgpr_read_b32 v0, a34
	v_accvgpr_read_b32 v2, a33
	v_and_b32_e32 v43, 0xffff0000, v0
	v_accvgpr_read_b32 v0, a35
	v_and_b32_e32 v11, 0xffff0000, v2
	;; [unrolled: 2-line block ×9, first 2 shown]
	v_and_b32_e32 v57, 0xffff0000, v0
	v_accvgpr_read_b32 v0, a38
	v_and_b32_e32 v23, 0xffff0000, v2
	v_accvgpr_read_b32 v2, a17
	v_and_b32_e32 v13, 0xffff0000, v0
	v_accvgpr_read_b32 v0, a6
	v_and_b32_e32 v24, 0xffff0000, v2
	v_accvgpr_read_b32 v2, a18
	v_and_b32_e32 v5, 0xffff0000, v0
	v_accvgpr_read_b32 v0, a11
	v_and_b32_e32 v25, 0xffff0000, v2
	v_accvgpr_read_b32 v2, a21
	v_and_b32_e32 v44, 0xffff0000, v0
	v_accvgpr_read_b32 v0, a7
	v_and_b32_e32 v28, 0xffff0000, v2
	v_accvgpr_read_b32 v2, a19
	v_and_b32_e32 v56, 0xffff0000, v20
	v_and_b32_e32 v20, 0xffff0000, v60
	v_and_b32_e32 v60, 0xffff0000, v0
	v_accvgpr_read_b32 v0, a9
	v_and_b32_e32 v29, 0xffff0000, v2
	v_accvgpr_read_b32 v2, a20
	v_and_b32_e32 v21, 0xffff0000, v0
	;; [unrolled: 2-line block ×5, first 2 shown]
	v_and_b32_e32 v40, 0xffff0000, v0
	v_accvgpr_read_b32 v0, a46
	v_fmac_f32_e32 v6, v58, v2
	v_fmac_f32_e32 v8, v52, v28
	;; [unrolled: 1-line block ×3, first 2 shown]
	v_and_b32_e32 v0, 0xffff0000, v0
	v_fmac_f32_e32 v6, v51, v25
	v_fmac_f32_e32 v8, v48, v15
	;; [unrolled: 1-line block ×6, first 2 shown]
	v_accvgpr_read_b32 v23, a42
	v_fmac_f32_e32 v7, v55, v41
	v_fmac_f32_e32 v6, v35, v40
	;; [unrolled: 1-line block ×4, first 2 shown]
	ds_read_b128 v[32:35], v23 offset:102
	ds_read_u16 v0, v23 offset:118
	s_waitcnt vmcnt(0)
	v_and_b32_e32 v45, 64, v61
	v_fmac_f32_e32 v7, v50, v24
	v_xor_b32_e32 v2, 1, v61
	v_add_u32_e32 v45, 64, v45
	v_fmac_f32_e32 v7, v39, v12
	v_cmp_lt_i32_e64 s[8:9], v2, v45
	v_accvgpr_read_b32 v62, a48
	v_fmac_f32_e32 v7, v38, v59
	v_cndmask_b32_e64 v2, v61, v2, s[8:9]
	v_and_b32_e32 v61, 0xffff0000, v10
	v_and_b32_e32 v10, 0xffff0000, v30
	v_and_b32_e32 v30, 0xffff0000, v62
	v_fmac_f32_e32 v7, v19, v5
	v_lshlrev_b32_e32 v45, 16, v62
	v_accvgpr_read_b32 v58, a49
	v_fmac_f32_e32 v6, v18, v44
	v_fmac_f32_e32 v9, v17, v13
	;; [unrolled: 1-line block ×3, first 2 shown]
	s_waitcnt lgkmcnt(1)
	v_lshlrev_b32_e32 v3, 16, v32
	v_and_b32_e32 v27, 0xffff0000, v27
	v_lshlrev_b32_e32 v58, 16, v58
	v_fmac_f32_e32 v8, v16, v57
	v_fmac_f32_e32 v6, v45, v42
	;; [unrolled: 1-line block ×3, first 2 shown]
	v_and_b32_e32 v3, 0xffff0000, v32
	v_lshlrev_b32_e32 v5, 16, v33
	v_fmac_f32_e32 v8, v58, v43
	v_fmac_f32_e32 v6, v3, v22
	;; [unrolled: 1-line block ×3, first 2 shown]
	v_and_b32_e32 v3, 0xffff0000, v33
	v_lshlrev_b32_e32 v5, 16, v34
	v_and_b32_e32 v26, 0xffff0000, v26
	v_fmac_f32_e32 v8, v3, v56
	v_fmac_f32_e32 v9, v5, v20
	v_and_b32_e32 v3, 0xffff0000, v34
	v_lshlrev_b32_e32 v5, 16, v35
	v_fmac_f32_e32 v6, v3, v54
	v_fmac_f32_e32 v7, v5, v26
	v_and_b32_e32 v3, 0xffff0000, v35
	s_waitcnt lgkmcnt(0)
	v_lshlrev_b32_e32 v0, 16, v0
	v_fmac_f32_e32 v8, v3, v61
	v_fmac_f32_e32 v9, v0, v10
	v_add_f32_e32 v0, v6, v7
	v_add_f32_e32 v0, v0, v8
	v_lshlrev_b32_e32 v2, 2, v2
	v_add_f32_e32 v3, v9, v0
	ds_bpermute_b32 v2, v2, v3
	s_and_saveexec_b64 s[30:31], vcc
	s_cbranch_execz .LBB382_11
; %bb.617:                              ;   in Loop: Header=BB382_13 Depth=1
	buffer_load_dword v0, off, s[0:3], s32 offset:280 ; 4-byte Folded Reload
	buffer_load_dword v6, off, s[0:3], s32 offset:268 ; 4-byte Folded Reload
	s_waitcnt lgkmcnt(0)
	v_add_f32_e32 v2, v3, v2
	buffer_load_dword v3, off, s[0:3], s32 offset:272 ; 4-byte Folded Reload
	buffer_load_dword v5, off, s[0:3], s32 offset:276 ; 4-byte Folded Reload
	s_load_dword s8, s[26:27], 0x0
	s_waitcnt vmcnt(3)
	v_add_u32_e32 v0, v0, v1
	v_cvt_f32_i32_e32 v0, v0
	s_waitcnt vmcnt(2)
	v_mul_f32_e32 v0, v6, v0
	v_cndmask_b32_e64 v0, 0, v0, s[6:7]
	s_waitcnt vmcnt(1)
	v_fmac_f32_e32 v0, v2, v3
	buffer_load_dword v3, off, s[0:3], s32 offset:244 ; 4-byte Folded Reload
	s_waitcnt vmcnt(1)
	v_add_u32_e32 v5, v5, v1
	v_accvgpr_read_b32 v6, a43
	v_accvgpr_read_b32 v2, a3
	s_waitcnt lgkmcnt(0)
	v_add_u32_e32 v6, s8, v6
	v_cmp_lt_i32_e64 s[8:9], v5, v2
	v_cndmask_b32_e64 v2, 0, v0, s[8:9]
	ds_write_b32 v6, v2
	s_waitcnt vmcnt(0)
	v_max_f32_e32 v2, v3, v3
	v_max_f32_e32 v0, v2, v0
	v_cndmask_b32_e64 v3, v3, v0, s[8:9]
	buffer_store_dword v3, off, s[0:3], s32 offset:244 ; 4-byte Folded Spill
	s_branch .LBB382_11
.LBB382_618:
	s_or_b64 exec, exec, s[28:29]
	buffer_load_dword v15, off, s[0:3], s32 offset:360 ; 4-byte Folded Reload
	buffer_load_dword v14, off, s[0:3], s32 offset:356 ; 4-byte Folded Reload
	;; [unrolled: 1-line block ×18, first 2 shown]
	v_mbcnt_lo_u32_b32 v0, -1, 0
.LBB382_619:
	s_or_b64 exec, exec, s[24:25]
	v_mbcnt_hi_u32_b32 v1, -1, v0
	v_and_b32_e32 v0, 64, v1
	v_add_u32_e32 v2, 64, v0
	v_xor_b32_e32 v0, 32, v1
	v_cmp_lt_i32_e32 vcc, v0, v2
	v_cndmask_b32_e32 v0, v1, v0, vcc
	v_lshlrev_b32_e32 v3, 2, v0
	s_waitcnt vmcnt(0)
	ds_bpermute_b32 v0, v3, v7
	v_xor_b32_e32 v5, 16, v1
	v_max_f32_e32 v4, v7, v7
	v_cmp_lt_i32_e32 vcc, v5, v2
	v_xor_b32_e32 v6, 8, v1
	s_waitcnt lgkmcnt(0)
	v_max_f32_e32 v0, v0, v0
	v_max_f32_e32 v0, v4, v0
	v_cndmask_b32_e32 v4, v1, v5, vcc
	v_lshlrev_b32_e32 v4, 2, v4
	ds_bpermute_b32 v5, v4, v0
	v_cmp_lt_i32_e32 vcc, v6, v2
	v_xor_b32_e32 v7, 4, v1
	v_xor_b32_e32 v9, 2, v1
	s_lshr_b32 s28, s38, 16
	s_waitcnt lgkmcnt(0)
	v_max_f32_e32 v5, v5, v5
	v_max_f32_e32 v0, v0, v5
	v_cndmask_b32_e32 v5, v1, v6, vcc
	v_lshlrev_b32_e32 v5, 2, v5
	ds_bpermute_b32 v6, v5, v0
	v_cmp_lt_i32_e32 vcc, v7, v2
	s_waitcnt lgkmcnt(0)
	v_max_f32_e32 v6, v6, v6
	v_max_f32_e32 v0, v0, v6
	v_cndmask_b32_e32 v6, v1, v7, vcc
	v_lshlrev_b32_e32 v6, 2, v6
	ds_bpermute_b32 v7, v6, v0
	v_cmp_lt_i32_e32 vcc, v9, v2
	s_waitcnt lgkmcnt(0)
	v_max_f32_e32 v7, v7, v7
	v_max_f32_e32 v8, v0, v7
	v_cndmask_b32_e32 v0, v1, v9, vcc
	v_lshlrev_b32_e32 v45, 2, v0
	buffer_load_dword v0, off, s[0:3], s32 offset:232 ; 4-byte Folded Reload
	ds_bpermute_b32 v9, v45, v8
	v_lshlrev_b32_e32 v7, 2, v32
	s_waitcnt vmcnt(0)
	v_and_b32_e32 v0, 63, v0
	v_cmp_eq_u32_e32 vcc, 0, v0
	s_and_saveexec_b64 s[6:7], vcc
	s_cbranch_execz .LBB382_621
; %bb.620:
	s_waitcnt lgkmcnt(0)
	v_max_f32_e32 v9, v9, v9
	v_max_f32_e32 v8, v8, v8
	;; [unrolled: 1-line block ×3, first 2 shown]
	ds_write_b32 v7, v8 offset:240
.LBB382_621:
	s_or_b64 exec, exec, s[6:7]
	v_cmp_gt_u32_e64 s[6:7], 2, v0
	s_waitcnt lgkmcnt(0)
	v_mov_b32_e32 v9, 0xff7fffff
	v_lshlrev_b32_e32 v8, 2, v0
	s_barrier
	s_and_saveexec_b64 s[8:9], s[6:7]
	s_cbranch_execz .LBB382_623
; %bb.622:
	ds_read_b32 v9, v8 offset:240
.LBB382_623:
	s_or_b64 exec, exec, s[8:9]
	v_xor_b32_e32 v10, 1, v1
	v_cmp_lt_i32_e64 s[8:9], v10, v2
	v_cndmask_b32_e64 v2, v1, v10, s[8:9]
	buffer_load_dword v10, off, s[0:3], s32 offset:200 ; 4-byte Folded Reload
	v_lshlrev_b32_e32 v20, 2, v2
	s_waitcnt lgkmcnt(0)
	ds_bpermute_b32 v2, v20, v9
	v_max_f32_e32 v9, v9, v9
	v_lshlrev_b32_e32 v1, 2, v1
	s_waitcnt lgkmcnt(0)
	v_max_f32_e32 v2, v2, v2
	v_max_f32_e32 v2, v9, v2
	s_waitcnt vmcnt(0)
	v_subrev_u32_e32 v10, s19, v10
	v_lshl_add_u32 v11, v10, 5, s23
	v_and_b32_e32 v10, 0x100, v1
	ds_bpermute_b32 v1, v10, v2
	v_accvgpr_read_b32 v2, a3
	v_min_i32_e32 v9, v11, v2
	buffer_load_dword v11, off, s[0:3], s32 offset:232 ; 4-byte Folded Reload
	v_subrev_u32_e32 v2, s23, v9
	s_waitcnt vmcnt(0)
	v_cmp_lt_i32_e64 s[8:9], v11, v2
	v_mov_b32_e32 v11, 0
	s_and_saveexec_b64 s[24:25], s[8:9]
	s_cbranch_execz .LBB382_627
; %bb.624:
	buffer_load_dword v13, off, s[0:3], s32 offset:232 ; 4-byte Folded Reload
	s_ashr_i32 s21, s20, 31
	s_lshl_b64 s[10:11], s[20:21], 2
	s_getpc_b64 s[26:27]
	s_add_u32 s26, s26, llvm.amdgcn.dynlds.offset.table@rel32@lo+4
	s_addc_u32 s27, s27, llvm.amdgcn.dynlds.offset.table@rel32@hi+12
	s_add_u32 s10, s10, s26
	s_addc_u32 s11, s11, s27
	s_load_dword s10, s[10:11], 0x0
	s_mov_b64 s[26:27], 0
	v_mov_b32_e32 v11, 0
	s_waitcnt vmcnt(0) lgkmcnt(0)
	v_lshl_add_u32 v12, v13, 2, s10
.LBB382_625:                            ; =>This Inner Loop Header: Depth=1
	ds_read_b32 v16, v12
	v_add_u32_e32 v13, 0x80, v13
	v_cmp_ge_i32_e64 s[10:11], v13, v2
	s_or_b64 s[26:27], s[10:11], s[26:27]
	s_waitcnt lgkmcnt(0)
	v_sub_f32_e32 v16, v16, v1
	v_mul_f32_e32 v16, 0x3fb8aa3b, v16
	v_exp_f32_e32 v16, v16
	ds_write_b32 v12, v16
	v_add_f32_e32 v11, v11, v16
	v_add_u32_e32 v12, 0x200, v12
	s_andn2_b64 exec, exec, s[26:27]
	s_cbranch_execnz .LBB382_625
; %bb.626:
	s_or_b64 exec, exec, s[26:27]
.LBB382_627:
	s_or_b64 exec, exec, s[24:25]
	ds_bpermute_b32 v3, v3, v11
	s_waitcnt lgkmcnt(0)
	v_add_f32_e32 v3, v11, v3
	ds_bpermute_b32 v4, v4, v3
	s_waitcnt lgkmcnt(0)
	v_add_f32_e32 v3, v3, v4
	;; [unrolled: 3-line block ×6, first 2 shown]
	s_and_saveexec_b64 s[10:11], vcc
	s_cbranch_execz .LBB382_629
; %bb.628:
	ds_write_b32 v7, v3 offset:248
.LBB382_629:
	s_or_b64 exec, exec, s[10:11]
	s_waitcnt lgkmcnt(0)
	s_barrier
	s_and_saveexec_b64 s[10:11], s[6:7]
	s_cbranch_execz .LBB382_631
; %bb.630:
	ds_read_b32 v3, v8 offset:248
.LBB382_631:
	s_or_b64 exec, exec, s[10:11]
	s_waitcnt lgkmcnt(0)
	ds_bpermute_b32 v4, v20, v3
	s_waitcnt lgkmcnt(0)
	v_add_f32_e32 v3, v3, v4
	ds_bpermute_b32 v3, v10, v3
	s_and_saveexec_b64 s[6:7], s[8:9]
	s_cbranch_execz .LBB382_644
; %bb.632:
	s_waitcnt lgkmcnt(0)
	v_add_f32_e32 v4, 0x358637bd, v3
	v_div_scale_f32 v5, s[8:9], v4, v4, 1.0
	v_rcp_f32_e32 v6, v5
	v_div_scale_f32 v7, vcc, 1.0, v4, 1.0
	s_movk_i32 s8, 0x7f
	v_fma_f32 v8, -v5, v6, 1.0
	v_fmac_f32_e32 v6, v8, v6
	v_mul_f32_e32 v8, v7, v6
	v_fma_f32 v10, -v5, v8, v7
	v_fmac_f32_e32 v8, v10, v6
	v_fma_f32 v5, -v5, v8, v7
	buffer_load_dword v7, off, s[0:3], s32 offset:232 ; 4-byte Folded Reload
	v_div_fmas_f32 v5, v5, v6, v8
	v_div_fixup_f32 v6, v5, v4, 1.0
	s_mov_b64 s[10:11], -1
	s_waitcnt vmcnt(0)
	v_xad_u32 v4, v7, -1, v9
	v_subrev_u32_e32 v5, s23, v4
	v_cmp_lt_u32_e32 vcc, s8, v5
	v_mov_b32_e32 v4, v7
	s_and_saveexec_b64 s[8:9], vcc
	s_cbranch_execz .LBB382_641
; %bb.633:
	v_lshrrev_b32_e32 v4, 7, v5
	v_add_u32_e32 v8, -1, v4
	v_lshrrev_b32_e32 v5, 1, v8
	v_mov_b32_e32 v7, v6
	v_add_u32_e32 v5, 1, v5
	v_cmp_lt_u32_e32 vcc, 13, v8
	v_mov_b32_e32 v10, 0
	s_and_saveexec_b64 s[10:11], vcc
	s_cbranch_execz .LBB382_637
; %bb.634:
	buffer_load_dword v9, off, s[0:3], s32 offset:232 ; 4-byte Folded Reload
	s_ashr_i32 s21, s20, 31
	s_lshl_b64 s[24:25], s[20:21], 2
	s_getpc_b64 s[26:27]
	s_add_u32 s26, s26, llvm.amdgcn.dynlds.offset.table@rel32@lo+4
	s_addc_u32 s27, s27, llvm.amdgcn.dynlds.offset.table@rel32@hi+12
	s_add_u32 s24, s24, s26
	s_addc_u32 s25, s25, s27
	s_load_dword s21, s[24:25], 0x0
	v_and_b32_e32 v8, -8, v5
	s_mov_b32 s19, 0
	s_mov_b64 s[24:25], 0
	s_waitcnt vmcnt(0) lgkmcnt(0)
	v_lshl_add_u32 v9, v9, 2, s21
.LBB382_635:                            ; =>This Inner Loop Header: Depth=1
	ds_read2st64_b32 v[10:11], v9 offset1:2
	ds_read2st64_b32 v[12:13], v9 offset0:4 offset1:6
	ds_read2st64_b32 v[18:19], v9 offset0:8 offset1:10
	;; [unrolled: 1-line block ×3, first 2 shown]
	v_add_u32_e32 v8, -8, v8
	s_waitcnt lgkmcnt(3)
	v_pk_mul_f32 v[10:11], v[6:7], v[10:11]
	s_waitcnt lgkmcnt(2)
	v_pk_mul_f32 v[12:13], v[6:7], v[12:13]
	ds_write2st64_b32 v9, v10, v11 offset1:2
	ds_write2st64_b32 v9, v12, v13 offset0:4 offset1:6
	ds_read2st64_b32 v[12:13], v9 offset0:16 offset1:18
	s_waitcnt lgkmcnt(4)
	v_pk_mul_f32 v[10:11], v[6:7], v[18:19]
	ds_write2st64_b32 v9, v10, v11 offset0:8 offset1:10
	s_waitcnt lgkmcnt(4)
	v_pk_mul_f32 v[10:11], v[6:7], v[16:17]
	ds_write2st64_b32 v9, v10, v11 offset0:12 offset1:14
	ds_read2st64_b32 v[10:11], v9 offset0:20 offset1:22
	s_waitcnt lgkmcnt(3)
	v_pk_mul_f32 v[12:13], v[6:7], v[12:13]
	ds_read2st64_b32 v[16:17], v9 offset0:24 offset1:26
	ds_write2st64_b32 v9, v12, v13 offset0:16 offset1:18
	ds_read2st64_b32 v[12:13], v9 offset0:28 offset1:30
	s_waitcnt lgkmcnt(3)
	v_pk_mul_f32 v[10:11], v[6:7], v[10:11]
	ds_write2st64_b32 v9, v10, v11 offset0:20 offset1:22
	s_waitcnt lgkmcnt(3)
	v_pk_mul_f32 v[10:11], v[6:7], v[16:17]
	ds_write2st64_b32 v9, v10, v11 offset0:24 offset1:26
	s_waitcnt lgkmcnt(2)
	v_pk_mul_f32 v[10:11], v[6:7], v[12:13]
	s_add_i32 s19, s19, 16
	v_cmp_eq_u32_e32 vcc, 0, v8
	ds_write2st64_b32 v9, v10, v11 offset0:28 offset1:30
	v_add_u32_e32 v9, 0x2000, v9
	s_or_b64 s[24:25], vcc, s[24:25]
	v_mov_b32_e32 v10, s19
	s_andn2_b64 exec, exec, s[24:25]
	s_cbranch_execnz .LBB382_635
; %bb.636:
	s_or_b64 exec, exec, s[24:25]
.LBB382_637:
	s_or_b64 exec, exec, s[10:11]
	v_and_b32_e32 v5, 7, v5
	v_cmp_ne_u32_e32 vcc, 0, v5
	s_and_saveexec_b64 s[10:11], vcc
	s_cbranch_execz .LBB382_640
; %bb.638:
	buffer_load_dword v9, off, s[0:3], s32 offset:232 ; 4-byte Folded Reload
	s_ashr_i32 s21, s20, 31
	s_lshl_b64 s[24:25], s[20:21], 2
	s_getpc_b64 s[26:27]
	s_add_u32 s26, s26, llvm.amdgcn.dynlds.offset.table@rel32@lo+4
	s_addc_u32 s27, s27, llvm.amdgcn.dynlds.offset.table@rel32@hi+12
	s_add_u32 s24, s24, s26
	s_addc_u32 s25, s25, s27
	s_load_dword s19, s[24:25], 0x0
	v_lshlrev_b32_e32 v8, 9, v10
	s_mov_b64 s[24:25], 0
	s_waitcnt vmcnt(0)
	v_lshlrev_b32_e32 v9, 2, v9
	s_waitcnt lgkmcnt(0)
	v_add3_u32 v8, v8, v9, s19
.LBB382_639:                            ; =>This Inner Loop Header: Depth=1
	ds_read2st64_b32 v[10:11], v8 offset1:2
	v_add_u32_e32 v5, -1, v5
	v_cmp_eq_u32_e32 vcc, 0, v5
	s_or_b64 s[24:25], vcc, s[24:25]
	s_waitcnt lgkmcnt(0)
	v_pk_mul_f32 v[10:11], v[6:7], v[10:11]
	ds_write2st64_b32 v8, v10, v11 offset1:2
	v_add_u32_e32 v8, 0x400, v8
	s_andn2_b64 exec, exec, s[24:25]
	s_cbranch_execnz .LBB382_639
.LBB382_640:
	s_or_b64 exec, exec, s[10:11]
	v_add_u32_e32 v5, 1, v4
	buffer_load_dword v4, off, s[0:3], s32 offset:232 ; 4-byte Folded Reload
	v_and_b32_e32 v7, 0x3fffffe, v5
	v_cmp_ne_u32_e32 vcc, v5, v7
	s_orn2_b64 s[10:11], vcc, exec
	s_waitcnt vmcnt(0)
	v_lshl_add_u32 v4, v7, 7, v4
.LBB382_641:
	s_or_b64 exec, exec, s[8:9]
	s_and_b64 exec, exec, s[10:11]
	s_cbranch_execz .LBB382_644
; %bb.642:
	s_ashr_i32 s21, s20, 31
	s_lshl_b64 s[8:9], s[20:21], 2
	s_getpc_b64 s[10:11]
	s_add_u32 s10, s10, llvm.amdgcn.dynlds.offset.table@rel32@lo+4
	s_addc_u32 s11, s11, llvm.amdgcn.dynlds.offset.table@rel32@hi+12
	s_add_u32 s8, s8, s10
	s_addc_u32 s9, s9, s11
	s_load_dword s8, s[8:9], 0x0
	s_waitcnt lgkmcnt(0)
	v_lshl_add_u32 v5, v4, 2, s8
	s_mov_b64 s[8:9], 0
.LBB382_643:                            ; =>This Inner Loop Header: Depth=1
	ds_read_b32 v7, v5
	v_add_u32_e32 v4, 0x80, v4
	v_cmp_ge_i32_e32 vcc, v4, v2
	s_or_b64 s[8:9], vcc, s[8:9]
	s_waitcnt lgkmcnt(0)
	v_mul_f32_e32 v7, v6, v7
	ds_write_b32 v5, v7
	v_add_u32_e32 v5, 0x200, v5
	s_andn2_b64 exec, exec, s[8:9]
	s_cbranch_execnz .LBB382_643
.LBB382_644:
	s_or_b64 exec, exec, s[6:7]
	s_waitcnt lgkmcnt(0)
	s_barrier
	buffer_load_dword v2, off, s[0:3], s32 offset:232 ; 4-byte Folded Reload
	v_cmp_ne_u16_e64 s[6:7], s28, 0
	s_cmp_lg_u64 s[6:7], 0
	s_addc_u32 s19, s13, 0
	s_mul_i32 s6, s19, s22
	s_mul_i32 s8, s6, s15
	s_waitcnt vmcnt(0)
	v_cmp_eq_u32_e32 vcc, 0, v2
	s_and_saveexec_b64 s[6:7], vcc
	s_cbranch_execz .LBB382_646
; %bb.645:
	s_mul_i32 s12, s19, s12
	s_ashr_i32 s9, s8, 31
	s_ashr_i32 s13, s12, 31
	;; [unrolled: 1-line block ×3, first 2 shown]
	s_lshl_b64 s[10:11], s[8:9], 2
	s_lshl_b64 s[12:13], s[12:13], 2
	;; [unrolled: 1-line block ×3, first 2 shown]
	s_add_u32 s9, s22, s12
	s_addc_u32 s12, s23, s13
	s_add_u32 s9, s9, s10
	s_addc_u32 s10, s12, s11
	v_mov_b32_e32 v2, s10
	v_add_co_u32_e32 v4, vcc, s9, v34
	v_addc_co_u32_e32 v5, vcc, v2, v27, vcc
	flat_store_dword v[4:5], v1
	v_mov_b32_e32 v1, s10
	v_add_co_u32_e32 v4, vcc, s9, v25
	v_addc_co_u32_e32 v5, vcc, v1, v24, vcc
	flat_store_dword v[4:5], v3
.LBB382_646:
	s_or_b64 exec, exec, s[6:7]
	v_lshrrev_b32_e32 v21, 2, v0
	buffer_load_dword v0, off, s[0:3], s32 offset:232 ; 4-byte Folded Reload
	s_ashr_i32 s21, s20, 31
	s_lshl_b64 s[6:7], s[20:21], 2
	s_getpc_b64 s[10:11]
	s_add_u32 s10, s10, llvm.amdgcn.dynlds.offset.table@rel32@lo+4
	s_addc_u32 s11, s11, llvm.amdgcn.dynlds.offset.table@rel32@hi+12
	s_add_u32 s10, s6, s10
	s_addc_u32 s11, s7, s11
	v_mov_b32_e32 v9, 0
	v_mov_b32_e32 v8, 0
	;; [unrolled: 1-line block ×8, first 2 shown]
	s_waitcnt vmcnt(0)
	v_and_b32_e32 v28, 3, v0
	s_and_saveexec_b64 s[12:13], s[4:5]
	s_cbranch_execz .LBB382_1598
; %bb.647:
	buffer_load_dword v3, off, s[0:3], s32 offset:292 ; 4-byte Folded Reload
	v_add_co_u32_e32 v0, vcc, v26, v35
	v_addc_co_u32_e32 v1, vcc, v22, v38, vcc
	v_accvgpr_write_b32 a25, v1
	v_max_i32_e32 v49, v30, v29
	v_accvgpr_write_b32 a24, v0
	v_cvt_f32_u32_e32 v0, v49
	v_and_b32_e32 v23, 24, v31
	v_add_u32_e32 v1, -1, v33
	v_accvgpr_write_b32 a23, v1
	v_rcp_iflag_f32_e32 v0, v0
	v_lshl_or_b32 v2, v21, 5, v23
	v_or_b32_e32 v1, 0x70, v21
	s_movk_i32 s4, 0x78
	v_mul_f32_e32 v0, 0x4f7ffffe, v0
	v_cvt_u32_f32_e32 v0, v0
	v_accvgpr_write_b32 a26, v2
	v_cmp_gt_u32_e32 vcc, s4, v1
	v_lshl_or_b32 v2, v1, 5, v23
	v_sub_u32_e32 v1, 0, v49
	v_mul_lo_u32 v1, v1, v0
	v_mul_hi_u32 v1, v0, v1
	v_add_u32_e32 v0, v0, v1
	v_accvgpr_write_b32 a30, v0
	v_accvgpr_read_b32 v0, a12
	v_accvgpr_read_b32 v1, a13
	s_load_dword s6, s[10:11], 0x0
	v_lshlrev_b64 v[0:1], 2, v[0:1]
	v_add_co_u32_e64 v0, s[4:5], v36, v0
	v_addc_co_u32_e64 v1, s[4:5], v37, v1, s[4:5]
	v_add_co_u32_e64 v14, s[4:5], v14, v0
	v_lshlrev_b32_e32 v0, 5, v28
	v_addc_co_u32_e64 v15, s[4:5], v15, v1, s[4:5]
	v_lshl_or_b32 v0, v32, 7, v0
	v_mov_b32_e32 v1, 0
	s_mov_b32 s20, -1
	s_waitcnt lgkmcnt(0)
	v_add_u32_e32 v4, s6, v0
	v_mov_b32_e32 v0, 0
	v_accvgpr_write_b32 a21, v1
	v_accvgpr_write_b32 a16, v20
	s_mov_b32 s21, 0xffffff
	v_mov_b32_e32 v33, 0
	v_accvgpr_write_b32 a17, v21
	v_accvgpr_write_b32 a28, v2
	s_mov_b64 s[22:23], 0
	s_mov_b32 s9, 0x7f800000
	s_movk_i32 s15, 0x7fff
	s_movk_i32 s36, 0x80
	;; [unrolled: 1-line block ×3, first 2 shown]
	v_mov_b32_e32 v24, 0
	v_mov_b32_e32 v25, 0
	;; [unrolled: 1-line block ×4, first 2 shown]
	v_accvgpr_write_b32 a20, v0
	v_mov_b32_e32 v8, 0
	v_mov_b32_e32 v9, 0
	v_accvgpr_write_b32 a15, v28
	v_accvgpr_write_b32 a22, v23
	s_branch .LBB382_651
.LBB382_648:                            ;   in Loop: Header=BB382_651 Depth=1
	s_or_b64 exec, exec, s[6:7]
	v_and_b32_e32 v47, 0xffff0000, v13
	v_and_b32_e32 v46, 0xffff0000, v5
	;; [unrolled: 1-line block ×8, first 2 shown]
	v_pk_add_f32 v[0:1], v[12:13], v[46:47]
	v_pk_add_f32 v[12:13], v[26:27], v[16:17]
	v_add_f32_e32 v0, v0, v1
	v_add_f32_e32 v0, v0, v12
	;; [unrolled: 1-line block ×3, first 2 shown]
	v_accvgpr_read_b32 v12, a18
	v_accvgpr_read_b32 v13, a19
	v_add_f32_e32 v13, v13, v0
	v_accvgpr_write_b32 a19, v13
	v_accvgpr_write_b32 a18, v12
.LBB382_649:                            ;   in Loop: Header=BB382_651 Depth=1
	s_or_b64 exec, exec, s[26:27]
	v_accvgpr_read_b32 v0, a32
	v_accvgpr_read_b32 v2, a31
	v_and_b32_e32 v1, 0xffff0000, v0
	v_accvgpr_read_b32 v0, a29
	v_and_b32_e32 v13, 0xffff0000, v2
	;; [unrolled: 2-line block ×3, first 2 shown]
	v_and_b32_e32 v12, 0xffff0000, v2
	v_accvgpr_read_b32 v2, a36
	v_pk_add_f32 v[0:1], v[12:13], v[0:1]
	v_and_b32_e32 v13, 0xffff0000, v2
	v_accvgpr_read_b32 v2, a34
	v_and_b32_e32 v12, 0xffff0000, v2
	v_accvgpr_read_b32 v2, a35
	;; [unrolled: 2-line block ×3, first 2 shown]
	v_and_b32_e32 v26, 0xffff0000, v2
	v_pk_add_f32 v[12:13], v[26:27], v[12:13]
	v_add_f32_e32 v0, v0, v1
	v_add_f32_e32 v0, v0, v12
	v_accvgpr_read_b32 v2, a45
	v_add_f32_e32 v0, v0, v13
	v_and_b32_e32 v13, 0xffff0000, v2
	v_accvgpr_read_b32 v2, a43
	v_and_b32_e32 v12, 0xffff0000, v2
	v_accvgpr_read_b32 v2, a42
	;; [unrolled: 2-line block ×4, first 2 shown]
	v_add_f32_e32 v24, v24, v0
	v_accvgpr_read_b32 v0, a46
	v_and_b32_e32 v47, 0xffff0000, v2
	v_accvgpr_read_b32 v2, a37
	v_and_b32_e32 v1, 0xffff0000, v0
	;; [unrolled: 2-line block ×3, first 2 shown]
	v_and_b32_e32 v0, 0xffff0000, v0
	v_pk_add_f32 v[26:27], v[46:47], v[26:27]
	v_pk_add_f32 v[0:1], v[12:13], v[0:1]
	v_add_f32_e32 v2, v26, v27
	v_add_f32_e32 v0, v2, v0
	v_accvgpr_read_b32 v2, a53
	v_and_b32_e32 v13, 0xffff0000, v2
	v_accvgpr_read_b32 v2, a51
	v_and_b32_e32 v12, 0xffff0000, v2
	;; [unrolled: 2-line block ×3, first 2 shown]
	v_accvgpr_read_b32 v2, a48
	v_add_f32_e32 v0, v0, v1
	v_and_b32_e32 v26, 0xffff0000, v2
	v_accvgpr_read_b32 v2, a49
	v_add_f32_e32 v25, v25, v0
	v_accvgpr_read_b32 v0, a54
	v_and_b32_e32 v47, 0xffff0000, v2
	v_accvgpr_read_b32 v2, a47
	v_and_b32_e32 v1, 0xffff0000, v0
	;; [unrolled: 2-line block ×3, first 2 shown]
	v_and_b32_e32 v0, 0xffff0000, v0
	v_pk_add_f32 v[26:27], v[46:47], v[26:27]
	v_pk_add_f32 v[0:1], v[12:13], v[0:1]
	v_add_f32_e32 v2, v26, v27
	v_add_f32_e32 v0, v2, v0
	v_accvgpr_read_b32 v2, a58
	v_and_b32_e32 v27, 0xffff0000, v2
	v_accvgpr_read_b32 v2, a56
	v_and_b32_e32 v26, 0xffff0000, v2
	;; [unrolled: 2-line block ×3, first 2 shown]
	v_accvgpr_read_b32 v2, a55
	v_add_f32_e32 v0, v0, v1
	v_and_b32_e32 v46, 0xffff0000, v2
	v_add_f32_e32 v18, v18, v0
	v_and_b32_e32 v1, 0xffff0000, v52
	v_and_b32_e32 v0, 0xffff0000, v20
	;; [unrolled: 1-line block ×4, first 2 shown]
	v_pk_add_f32 v[26:27], v[46:47], v[26:27]
	v_pk_add_f32 v[0:1], v[12:13], v[0:1]
	v_add_f32_e32 v2, v26, v27
	v_add_f32_e32 v0, v2, v0
	;; [unrolled: 1-line block ×4, first 2 shown]
	v_and_b32_e32 v0, 0xffff0000, v39
	v_and_b32_e32 v12, 0xffff0000, v38
	;; [unrolled: 1-line block ×8, first 2 shown]
	v_pk_add_f32 v[26:27], v[38:39], v[26:27]
	v_pk_add_f32 v[0:1], v[12:13], v[0:1]
	v_add_f32_e32 v2, v26, v27
	v_add_f32_e32 v0, v2, v0
	;; [unrolled: 1-line block ×3, first 2 shown]
	v_accvgpr_read_b32 v16, a20
	v_and_b32_e32 v9, 0xffff0000, v31
	v_and_b32_e32 v8, 0xffff0000, v8
	v_and_b32_e32 v27, 0xffff0000, v30
	v_and_b32_e32 v26, 0xffff0000, v7
	v_add_f32_e32 v16, v16, v0
	v_and_b32_e32 v1, 0xffff0000, v36
	v_and_b32_e32 v0, 0xffff0000, v35
	;; [unrolled: 1-line block ×4, first 2 shown]
	v_pk_add_f32 v[8:9], v[26:27], v[8:9]
	v_pk_add_f32 v[0:1], v[12:13], v[0:1]
	v_add_f32_e32 v2, v8, v9
	v_add_f32_e32 v0, v2, v0
	v_accvgpr_read_b32 v17, a21
	v_add_f32_e32 v0, v0, v1
	v_and_b32_e32 v7, 0xffff0000, v11
	v_and_b32_e32 v6, 0xffff0000, v6
	;; [unrolled: 1-line block ×4, first 2 shown]
	v_add_f32_e32 v17, v17, v0
	v_and_b32_e32 v1, 0xffff0000, v21
	v_and_b32_e32 v0, 0xffff0000, v61
	;; [unrolled: 1-line block ×4, first 2 shown]
	v_pk_add_f32 v[2:3], v[10:11], v[6:7]
	v_pk_add_f32 v[0:1], v[8:9], v[0:1]
	v_add_f32_e32 v2, v2, v3
	v_add_f32_e32 v0, v2, v0
	v_accvgpr_write_b32 a21, v17
	v_add_f32_e32 v0, v0, v1
	v_accvgpr_read_b32 v8, a18
	v_accvgpr_write_b32 a20, v16
	v_accvgpr_read_b32 v9, a19
	v_add_f32_e32 v8, v8, v0
.LBB382_650:                            ;   in Loop: Header=BB382_651 Depth=1
	s_or_b64 exec, exec, s[24:25]
	buffer_load_dword v0, off, s[0:3], s32 offset:200 ; 4-byte Folded Reload
	v_accvgpr_read_b32 v2, a12
	v_add_co_u32_e64 v14, s[4:5], 8, v14
	v_add_u32_e32 v2, 2, v2
	v_addc_co_u32_e64 v15, s[4:5], 0, v15, s[4:5]
	v_accvgpr_read_b32 v3, a13
	v_add_u32_e32 v3, 64, v3
	v_accvgpr_write_b32 a12, v2
	v_add_u32_e32 v4, 0x100, v4
	s_waitcnt vmcnt(0)
	v_cmp_ge_i32_e64 s[4:5], v2, v0
	s_or_b64 s[22:23], s[4:5], s[22:23]
	s_andn2_b64 exec, exec, s[22:23]
	s_cbranch_execz .LBB382_1597
.LBB382_651:                            ; =>This Inner Loop Header: Depth=1
	buffer_load_dword v1, off, s[0:3], s32 offset:196 ; 4-byte Folded Reload
	buffer_load_dword v2, off, s[0:3], s32 offset:204 ; 4-byte Folded Reload
	;; [unrolled: 1-line block ×3, first 2 shown]
	s_waitcnt vmcnt(3)
	v_ashrrev_i32_e32 v0, 31, v3
	v_accvgpr_write_b32 a13, v3
	v_accvgpr_read_b32 v6, a30
	s_waitcnt vmcnt(2)
	v_xor_b32_e32 v0, v0, v1
	v_sub_u32_e32 v1, 0, v3
	v_max_i32_e32 v1, v3, v1
	s_waitcnt vmcnt(1)
	v_mul_hi_u32 v2, v1, v2
	s_waitcnt vmcnt(0)
	v_mul_lo_u32 v3, v2, v5
	v_sub_u32_e32 v1, v1, v3
	v_add_u32_e32 v3, 1, v2
	v_cmp_ge_u32_e64 s[4:5], v1, v5
	v_cndmask_b32_e64 v2, v2, v3, s[4:5]
	v_sub_u32_e32 v3, v1, v5
	v_cndmask_b32_e64 v1, v1, v3, s[4:5]
	v_add_u32_e32 v3, 1, v2
	v_cmp_ge_u32_e64 s[4:5], v1, v5
	v_cndmask_b32_e64 v1, v2, v3, s[4:5]
	v_xor_b32_e32 v1, v1, v0
	v_sub_u32_e32 v0, v1, v0
	v_accvgpr_read_b32 v2, a10
	v_add_u32_e32 v1, v0, v2
	v_sub_u32_e32 v3, 0, v1
	v_ashrrev_i32_e32 v2, 31, v1
	v_max_i32_e32 v1, v1, v3
	v_mul_hi_u32 v3, v1, v6
	v_mul_lo_u32 v3, v3, v49
	v_sub_u32_e32 v1, v1, v3
	v_sub_u32_e32 v3, v1, v49
	v_cmp_ge_u32_e64 s[4:5], v1, v49
	v_cndmask_b32_e64 v1, v1, v3, s[4:5]
	v_sub_u32_e32 v3, v1, v49
	v_cmp_ge_u32_e64 s[4:5], v1, v49
	v_cndmask_b32_e64 v1, v1, v3, s[4:5]
	v_xor_b32_e32 v1, v1, v2
	v_sub_u32_e32 v1, v1, v2
	v_cmp_eq_u32_e64 s[4:5], 0, v1
	buffer_load_dword v1, off, s[0:3], s32 offset:208 ; 4-byte Folded Reload
	s_waitcnt vmcnt(0)
	v_cmp_gt_i32_e64 s[6:7], v0, v1
	s_or_b64 s[4:5], s[4:5], s[6:7]
	s_and_saveexec_b64 s[24:25], s[4:5]
	s_cbranch_execz .LBB382_650
; %bb.652:                              ;   in Loop: Header=BB382_651 Depth=1
	flat_load_dword v5, v[14:15]
	v_accvgpr_write_b32 a19, v9
	v_accvgpr_write_b32 a18, v8
	ds_read2_b64 v[6:9], v4 offset1:1
	ds_read2_b64 v[0:3], v4 offset0:2 offset1:3
                                        ; implicit-def: $vgpr29
	s_waitcnt lgkmcnt(0)
	v_and_b32_e32 v10, 0x7f800000, v6
	v_cmp_ne_u32_e64 s[4:5], s9, v10
	s_and_saveexec_b64 s[6:7], s[4:5]
	s_xor_b64 s[4:5], exec, s[6:7]
; %bb.653:                              ;   in Loop: Header=BB382_651 Depth=1
	v_bfe_u32 v10, v6, 16, 1
	v_add3_u32 v29, v6, v10, s15
; %bb.654:                              ;   in Loop: Header=BB382_651 Depth=1
	s_andn2_saveexec_b64 s[6:7], s[4:5]
; %bb.655:                              ;   in Loop: Header=BB382_651 Depth=1
	v_or_b32_e32 v10, 0x10000, v6
	v_cmp_eq_u32_sdwa s[4:5], v6, v33 src0_sel:WORD_0 src1_sel:DWORD
	v_cndmask_b32_e64 v29, v10, v6, s[4:5]
; %bb.656:                              ;   in Loop: Header=BB382_651 Depth=1
	s_or_b64 exec, exec, s[6:7]
	v_and_b32_e32 v6, 0x7f800000, v7
	v_cmp_ne_u32_e64 s[4:5], s9, v6
                                        ; implicit-def: $vgpr27
	s_and_saveexec_b64 s[6:7], s[4:5]
	s_xor_b64 s[4:5], exec, s[6:7]
; %bb.657:                              ;   in Loop: Header=BB382_651 Depth=1
	v_bfe_u32 v6, v7, 16, 1
	v_add3_u32 v27, v7, v6, s15
; %bb.658:                              ;   in Loop: Header=BB382_651 Depth=1
	s_andn2_saveexec_b64 s[6:7], s[4:5]
; %bb.659:                              ;   in Loop: Header=BB382_651 Depth=1
	v_or_b32_e32 v6, 0x10000, v7
	v_cmp_eq_u32_sdwa s[4:5], v7, v33 src0_sel:WORD_0 src1_sel:DWORD
	v_cndmask_b32_e64 v27, v6, v7, s[4:5]
; %bb.660:                              ;   in Loop: Header=BB382_651 Depth=1
	s_or_b64 exec, exec, s[6:7]
	v_and_b32_e32 v6, 0x7f800000, v8
	v_cmp_ne_u32_e64 s[4:5], s9, v6
                                        ; implicit-def: $vgpr26
	s_and_saveexec_b64 s[6:7], s[4:5]
	s_xor_b64 s[4:5], exec, s[6:7]
; %bb.661:                              ;   in Loop: Header=BB382_651 Depth=1
	v_bfe_u32 v6, v8, 16, 1
	v_add3_u32 v26, v8, v6, s15
; %bb.662:                              ;   in Loop: Header=BB382_651 Depth=1
	s_andn2_saveexec_b64 s[6:7], s[4:5]
; %bb.663:                              ;   in Loop: Header=BB382_651 Depth=1
	v_or_b32_e32 v6, 0x10000, v8
	v_cmp_eq_u32_sdwa s[4:5], v8, v33 src0_sel:WORD_0 src1_sel:DWORD
	v_cndmask_b32_e64 v26, v6, v8, s[4:5]
; %bb.664:                              ;   in Loop: Header=BB382_651 Depth=1
	s_or_b64 exec, exec, s[6:7]
	v_and_b32_e32 v6, 0x7f800000, v9
	v_cmp_ne_u32_e64 s[4:5], s9, v6
                                        ; implicit-def: $vgpr22
	s_and_saveexec_b64 s[6:7], s[4:5]
	s_xor_b64 s[4:5], exec, s[6:7]
; %bb.665:                              ;   in Loop: Header=BB382_651 Depth=1
	v_bfe_u32 v6, v9, 16, 1
	v_add3_u32 v22, v9, v6, s15
                                        ; implicit-def: $vgpr6_vgpr7_vgpr8_vgpr9
; %bb.666:                              ;   in Loop: Header=BB382_651 Depth=1
	s_andn2_saveexec_b64 s[6:7], s[4:5]
; %bb.667:                              ;   in Loop: Header=BB382_651 Depth=1
	v_or_b32_e32 v6, 0x10000, v9
	v_cmp_eq_u32_sdwa s[4:5], v9, v33 src0_sel:WORD_0 src1_sel:DWORD
	v_cndmask_b32_e64 v22, v6, v9, s[4:5]
; %bb.668:                              ;   in Loop: Header=BB382_651 Depth=1
	s_or_b64 exec, exec, s[6:7]
	v_and_b32_e32 v6, 0x7f800000, v0
	v_cmp_ne_u32_e64 s[4:5], s9, v6
                                        ; implicit-def: $vgpr21
	s_and_saveexec_b64 s[6:7], s[4:5]
	s_xor_b64 s[4:5], exec, s[6:7]
; %bb.669:                              ;   in Loop: Header=BB382_651 Depth=1
	v_bfe_u32 v6, v0, 16, 1
	v_add3_u32 v21, v0, v6, s15
; %bb.670:                              ;   in Loop: Header=BB382_651 Depth=1
	s_andn2_saveexec_b64 s[6:7], s[4:5]
; %bb.671:                              ;   in Loop: Header=BB382_651 Depth=1
	v_or_b32_e32 v6, 0x10000, v0
	v_cmp_eq_u32_sdwa s[4:5], v0, v33 src0_sel:WORD_0 src1_sel:DWORD
	v_cndmask_b32_e64 v21, v6, v0, s[4:5]
; %bb.672:                              ;   in Loop: Header=BB382_651 Depth=1
	s_or_b64 exec, exec, s[6:7]
	v_and_b32_e32 v0, 0x7f800000, v1
	v_cmp_ne_u32_e64 s[4:5], s9, v0
                                        ; implicit-def: $vgpr20
	s_and_saveexec_b64 s[6:7], s[4:5]
	s_xor_b64 s[4:5], exec, s[6:7]
; %bb.673:                              ;   in Loop: Header=BB382_651 Depth=1
	v_bfe_u32 v0, v1, 16, 1
	v_add3_u32 v20, v1, v0, s15
; %bb.674:                              ;   in Loop: Header=BB382_651 Depth=1
	s_andn2_saveexec_b64 s[6:7], s[4:5]
; %bb.675:                              ;   in Loop: Header=BB382_651 Depth=1
	v_or_b32_e32 v0, 0x10000, v1
	v_cmp_eq_u32_sdwa s[4:5], v1, v33 src0_sel:WORD_0 src1_sel:DWORD
	v_cndmask_b32_e64 v20, v0, v1, s[4:5]
; %bb.676:                              ;   in Loop: Header=BB382_651 Depth=1
	s_or_b64 exec, exec, s[6:7]
	v_and_b32_e32 v0, 0x7f800000, v2
	v_cmp_ne_u32_e64 s[4:5], s9, v0
                                        ; implicit-def: $vgpr11
	s_and_saveexec_b64 s[6:7], s[4:5]
	s_xor_b64 s[4:5], exec, s[6:7]
; %bb.677:                              ;   in Loop: Header=BB382_651 Depth=1
	v_bfe_u32 v0, v2, 16, 1
	v_add3_u32 v11, v2, v0, s15
; %bb.678:                              ;   in Loop: Header=BB382_651 Depth=1
	s_andn2_saveexec_b64 s[6:7], s[4:5]
; %bb.679:                              ;   in Loop: Header=BB382_651 Depth=1
	v_or_b32_e32 v0, 0x10000, v2
	v_cmp_eq_u32_sdwa s[4:5], v2, v33 src0_sel:WORD_0 src1_sel:DWORD
	v_cndmask_b32_e64 v11, v0, v2, s[4:5]
; %bb.680:                              ;   in Loop: Header=BB382_651 Depth=1
	s_or_b64 exec, exec, s[6:7]
	v_and_b32_e32 v0, 0x7f800000, v3
	v_cmp_ne_u32_e64 s[4:5], s9, v0
                                        ; implicit-def: $vgpr10
	s_and_saveexec_b64 s[6:7], s[4:5]
	s_xor_b64 s[4:5], exec, s[6:7]
; %bb.681:                              ;   in Loop: Header=BB382_651 Depth=1
	v_bfe_u32 v0, v3, 16, 1
	v_add3_u32 v10, v3, v0, s15
                                        ; implicit-def: $vgpr0_vgpr1_vgpr2_vgpr3
; %bb.682:                              ;   in Loop: Header=BB382_651 Depth=1
	s_andn2_saveexec_b64 s[6:7], s[4:5]
; %bb.683:                              ;   in Loop: Header=BB382_651 Depth=1
	v_or_b32_e32 v0, 0x10000, v3
	v_cmp_eq_u32_sdwa s[4:5], v3, v33 src0_sel:WORD_0 src1_sel:DWORD
	v_cndmask_b32_e64 v10, v0, v3, s[4:5]
; %bb.684:                              ;   in Loop: Header=BB382_651 Depth=1
	s_or_b64 exec, exec, s[6:7]
	buffer_load_dword v0, off, s[0:3], s32 offset:220 ; 4-byte Folded Reload
	buffer_load_dword v1, off, s[0:3], s32 offset:224 ; 4-byte Folded Reload
	v_accvgpr_read_b32 v2, a24
	v_accvgpr_read_b32 v3, a25
	s_waitcnt vmcnt(0)
	v_mad_i64_i32 v[6:7], s[4:5], v5, v0, v[2:3]
	v_accvgpr_read_b32 v0, a26
	v_add_co_u32_e64 v2, s[4:5], v6, v0
	v_accvgpr_write_b32 a39, v7
	v_addc_co_u32_e64 v3, s[4:5], 0, v7, s[4:5]
	v_accvgpr_write_b32 a38, v6
	flat_load_dwordx2 v[6:7], v[2:3]
	buffer_load_dword v0, off, s[0:3], s32 offset:212 ; 4-byte Folded Reload
	buffer_load_dword v1, off, s[0:3], s32 offset:216 ; 4-byte Folded Reload
	v_mov_b32_e32 v5, 0
	s_waitcnt vmcnt(0) lgkmcnt(0)
	v_cmp_ne_u16_sdwa s[4:5], v6, v33 src0_sel:BYTE_0 src1_sel:DWORD
	flat_load_dword v9, v[0:1]
	s_and_saveexec_b64 s[6:7], s[4:5]
	s_cbranch_execz .LBB382_690
; %bb.685:                              ;   in Loop: Header=BB382_651 Depth=1
	v_cmp_ne_u16_sdwa s[4:5], v6, s36 src0_sel:BYTE_0 src1_sel:DWORD
	v_bfrev_b32_e32 v5, 1
	s_and_saveexec_b64 s[26:27], s[4:5]
	s_cbranch_execz .LBB382_689
; %bb.686:                              ;   in Loop: Header=BB382_651 Depth=1
	v_and_b32_e32 v8, 0x7f, v6
	v_cmp_ne_u32_e64 s[4:5], s37, v8
	v_mov_b32_e32 v5, 0x7f800001
	s_and_saveexec_b64 s[28:29], s[4:5]
	s_cbranch_execz .LBB382_688
; %bb.687:                              ;   in Loop: Header=BB382_651 Depth=1
	v_and_b32_e32 v0, 7, v6
	v_ffbh_u32_e32 v0, v0
	v_min_u32_e32 v0, 32, v0
	v_lshrrev_b32_e32 v1, 3, v8
	v_subrev_u32_e32 v5, 28, v0
	v_sub_u32_e32 v0, 29, v0
	v_cmp_gt_u32_e64 s[4:5], 8, v8
	v_cndmask_b32_e64 v0, v1, v0, s[4:5]
	v_cndmask_b32_e64 v1, 0, v5, s[4:5]
	v_lshlrev_b64 v[12:13], v1, v[6:7]
	v_lshlrev_b32_e32 v1, 20, v12
	v_lshlrev_b32_e32 v5, 24, v6
	v_bfrev_b32_e32 v8, 60
	v_and_b32_e32 v1, 0x700000, v1
	v_and_b32_e32 v5, 0x80000000, v5
	v_lshl_add_u32 v0, v0, 23, v8
	v_or3_b32 v5, v5, v0, v1
.LBB382_688:                            ;   in Loop: Header=BB382_651 Depth=1
	s_or_b64 exec, exec, s[28:29]
.LBB382_689:                            ;   in Loop: Header=BB382_651 Depth=1
	s_or_b64 exec, exec, s[26:27]
.LBB382_690:                            ;   in Loop: Header=BB382_651 Depth=1
	s_or_b64 exec, exec, s[6:7]
	s_waitcnt vmcnt(0) lgkmcnt(0)
	v_mul_f32_e32 v5, v9, v5
	v_and_b32_e32 v0, 0x7f800000, v5
	v_cmp_ne_u32_e64 s[4:5], s9, v0
                                        ; implicit-def: $vgpr30
	s_and_saveexec_b64 s[6:7], s[4:5]
	s_xor_b64 s[4:5], exec, s[6:7]
; %bb.691:                              ;   in Loop: Header=BB382_651 Depth=1
	v_bfe_u32 v0, v5, 16, 1
	v_add3_u32 v30, v5, v0, s15
                                        ; implicit-def: $vgpr5
; %bb.692:                              ;   in Loop: Header=BB382_651 Depth=1
	s_andn2_saveexec_b64 s[6:7], s[4:5]
; %bb.693:                              ;   in Loop: Header=BB382_651 Depth=1
	v_or_b32_e32 v0, 0x10000, v5
	v_cmp_eq_u32_sdwa s[4:5], v5, v33 src0_sel:WORD_0 src1_sel:DWORD
	v_cndmask_b32_e64 v30, v0, v5, s[4:5]
; %bb.694:                              ;   in Loop: Header=BB382_651 Depth=1
	s_or_b64 exec, exec, s[6:7]
	v_lshrrev_b16_e32 v8, 8, v6
	v_cmp_ne_u16_e64 s[4:5], 0, v8
	v_mov_b32_e32 v5, 0
	s_and_saveexec_b64 s[6:7], s[4:5]
	s_cbranch_execz .LBB382_700
; %bb.695:                              ;   in Loop: Header=BB382_651 Depth=1
	v_cmp_ne_u16_e64 s[4:5], s36, v8
	v_bfrev_b32_e32 v5, 1
	s_and_saveexec_b64 s[26:27], s[4:5]
	s_cbranch_execz .LBB382_699
; %bb.696:                              ;   in Loop: Header=BB382_651 Depth=1
	v_and_b32_e32 v12, 0x7f, v8
	v_cmp_ne_u32_e64 s[4:5], s37, v12
	v_mov_b32_e32 v5, 0x7f800001
	s_and_saveexec_b64 s[28:29], s[4:5]
	s_cbranch_execz .LBB382_698
; %bb.697:                              ;   in Loop: Header=BB382_651 Depth=1
	v_and_b32_e32 v0, 7, v8
	v_ffbh_u32_e32 v5, v0
	v_min_u32_e32 v5, 32, v5
	v_subrev_u32_e32 v13, 28, v5
	v_lshlrev_b64 v[34:35], v13, v[8:9]
	v_lshrrev_b32_e32 v1, 3, v12
	v_sub_u32_e32 v5, 29, v5
	v_and_b32_e32 v8, 7, v34
	v_cmp_gt_u32_e64 s[4:5], 8, v12
	v_cndmask_b32_e64 v1, v1, v5, s[4:5]
	v_cndmask_b32_e64 v0, v0, v8, s[4:5]
	v_lshlrev_b32_e32 v5, 16, v6
	v_bfrev_b32_e32 v8, 60
	v_lshlrev_b32_e32 v0, 20, v0
	v_and_b32_e32 v5, 0x80000000, v5
	v_lshl_add_u32 v1, v1, 23, v8
	v_or3_b32 v5, v5, v1, v0
.LBB382_698:                            ;   in Loop: Header=BB382_651 Depth=1
	s_or_b64 exec, exec, s[28:29]
.LBB382_699:                            ;   in Loop: Header=BB382_651 Depth=1
	s_or_b64 exec, exec, s[26:27]
.LBB382_700:                            ;   in Loop: Header=BB382_651 Depth=1
	s_or_b64 exec, exec, s[6:7]
	v_mul_f32_e32 v8, v9, v5
	v_and_b32_e32 v0, 0x7f800000, v8
	v_cmp_ne_u32_e64 s[4:5], s9, v0
                                        ; implicit-def: $vgpr5
	s_and_saveexec_b64 s[6:7], s[4:5]
	s_xor_b64 s[4:5], exec, s[6:7]
; %bb.701:                              ;   in Loop: Header=BB382_651 Depth=1
	v_bfe_u32 v0, v8, 16, 1
	v_add3_u32 v5, v8, v0, s15
                                        ; implicit-def: $vgpr8
; %bb.702:                              ;   in Loop: Header=BB382_651 Depth=1
	s_andn2_saveexec_b64 s[6:7], s[4:5]
; %bb.703:                              ;   in Loop: Header=BB382_651 Depth=1
	v_or_b32_e32 v0, 0x10000, v8
	v_cmp_eq_u32_sdwa s[4:5], v8, v33 src0_sel:WORD_0 src1_sel:DWORD
	v_cndmask_b32_e64 v5, v0, v8, s[4:5]
; %bb.704:                              ;   in Loop: Header=BB382_651 Depth=1
	s_or_b64 exec, exec, s[6:7]
	v_lshrrev_b32_e32 v8, 16, v6
	v_cmp_ne_u16_sdwa s[4:5], v8, v33 src0_sel:BYTE_0 src1_sel:DWORD
	v_mov_b32_e32 v12, 0
	s_and_saveexec_b64 s[6:7], s[4:5]
	s_cbranch_execz .LBB382_710
; %bb.705:                              ;   in Loop: Header=BB382_651 Depth=1
	v_cmp_ne_u16_sdwa s[4:5], v8, s36 src0_sel:BYTE_0 src1_sel:DWORD
	v_bfrev_b32_e32 v12, 1
	s_and_saveexec_b64 s[26:27], s[4:5]
	s_cbranch_execz .LBB382_709
; %bb.706:                              ;   in Loop: Header=BB382_651 Depth=1
	v_bfe_u32 v13, v6, 16, 7
	v_cmp_ne_u32_e64 s[4:5], s37, v13
	v_mov_b32_e32 v12, 0x7f800001
	s_and_saveexec_b64 s[28:29], s[4:5]
	s_cbranch_execz .LBB382_708
; %bb.707:                              ;   in Loop: Header=BB382_651 Depth=1
	v_and_b32_e32 v0, 7, v8
	v_ffbh_u32_e32 v12, v0
	v_min_u32_e32 v12, 32, v12
	v_subrev_u32_e32 v16, 28, v12
	v_lshlrev_b64 v[34:35], v16, v[8:9]
	v_lshrrev_b32_e32 v1, 3, v13
	v_sub_u32_e32 v12, 29, v12
	v_and_b32_e32 v16, 7, v34
	v_cmp_gt_u32_e64 s[4:5], 8, v13
	v_cndmask_b32_e64 v1, v1, v12, s[4:5]
	v_cndmask_b32_e64 v0, v0, v16, s[4:5]
	v_lshlrev_b32_e32 v8, 24, v8
	v_bfrev_b32_e32 v12, 60
	v_lshlrev_b32_e32 v0, 20, v0
	v_and_b32_e32 v8, 0x80000000, v8
	v_lshl_add_u32 v1, v1, 23, v12
	v_or3_b32 v12, v8, v1, v0
.LBB382_708:                            ;   in Loop: Header=BB382_651 Depth=1
	s_or_b64 exec, exec, s[28:29]
.LBB382_709:                            ;   in Loop: Header=BB382_651 Depth=1
	s_or_b64 exec, exec, s[26:27]
.LBB382_710:                            ;   in Loop: Header=BB382_651 Depth=1
	s_or_b64 exec, exec, s[6:7]
	v_mul_f32_e32 v8, v9, v12
	v_and_b32_e32 v0, 0x7f800000, v8
	v_cmp_ne_u32_e64 s[4:5], s9, v0
                                        ; implicit-def: $vgpr12
	s_and_saveexec_b64 s[6:7], s[4:5]
	s_xor_b64 s[4:5], exec, s[6:7]
; %bb.711:                              ;   in Loop: Header=BB382_651 Depth=1
	v_bfe_u32 v0, v8, 16, 1
	v_add3_u32 v12, v8, v0, s15
                                        ; implicit-def: $vgpr8
; %bb.712:                              ;   in Loop: Header=BB382_651 Depth=1
	s_andn2_saveexec_b64 s[6:7], s[4:5]
; %bb.713:                              ;   in Loop: Header=BB382_651 Depth=1
	v_or_b32_e32 v0, 0x10000, v8
	v_cmp_eq_u32_sdwa s[4:5], v8, v33 src0_sel:WORD_0 src1_sel:DWORD
	v_cndmask_b32_e64 v12, v0, v8, s[4:5]
; %bb.714:                              ;   in Loop: Header=BB382_651 Depth=1
	s_or_b64 exec, exec, s[6:7]
	v_cmp_lt_u32_e64 s[4:5], s21, v6
	v_mov_b32_e32 v13, 0
	s_and_saveexec_b64 s[6:7], s[4:5]
	s_cbranch_execz .LBB382_720
; %bb.715:                              ;   in Loop: Header=BB382_651 Depth=1
	v_lshrrev_b32_e32 v8, 24, v6
	v_cmp_ne_u32_e64 s[4:5], s36, v8
	v_bfrev_b32_e32 v13, 1
	s_and_saveexec_b64 s[26:27], s[4:5]
	s_cbranch_execz .LBB382_719
; %bb.716:                              ;   in Loop: Header=BB382_651 Depth=1
	v_bfe_u32 v31, v6, 24, 7
	v_cmp_ne_u32_e64 s[4:5], s37, v31
	v_mov_b32_e32 v13, 0x7f800001
	s_and_saveexec_b64 s[28:29], s[4:5]
	s_cbranch_execz .LBB382_718
; %bb.717:                              ;   in Loop: Header=BB382_651 Depth=1
	v_and_b32_e32 v0, 7, v8
	v_ffbh_u32_e32 v13, v0
	v_min_u32_e32 v13, 32, v13
	v_subrev_u32_e32 v16, 28, v13
	v_lshlrev_b64 v[34:35], v16, v[8:9]
	v_lshrrev_b32_e32 v1, 3, v31
	v_sub_u32_e32 v13, 29, v13
	v_and_b32_e32 v16, 7, v34
	v_cmp_gt_u32_e64 s[4:5], 8, v31
	v_cndmask_b32_e64 v1, v1, v13, s[4:5]
	v_cndmask_b32_e64 v0, v0, v16, s[4:5]
	v_lshlrev_b32_e32 v8, 24, v8
	v_bfrev_b32_e32 v13, 60
	v_lshlrev_b32_e32 v0, 20, v0
	v_and_b32_e32 v8, 0x80000000, v8
	v_lshl_add_u32 v1, v1, 23, v13
	v_or3_b32 v13, v8, v1, v0
.LBB382_718:                            ;   in Loop: Header=BB382_651 Depth=1
	s_or_b64 exec, exec, s[28:29]
.LBB382_719:                            ;   in Loop: Header=BB382_651 Depth=1
	s_or_b64 exec, exec, s[26:27]
.LBB382_720:                            ;   in Loop: Header=BB382_651 Depth=1
	s_or_b64 exec, exec, s[6:7]
	v_mul_f32_e32 v8, v9, v13
	v_and_b32_e32 v0, 0x7f800000, v8
	v_cmp_ne_u32_e64 s[4:5], s9, v0
                                        ; implicit-def: $vgpr13
	s_and_saveexec_b64 s[6:7], s[4:5]
	s_xor_b64 s[4:5], exec, s[6:7]
; %bb.721:                              ;   in Loop: Header=BB382_651 Depth=1
	v_bfe_u32 v0, v8, 16, 1
	v_add3_u32 v13, v8, v0, s15
                                        ; implicit-def: $vgpr8
; %bb.722:                              ;   in Loop: Header=BB382_651 Depth=1
	s_andn2_saveexec_b64 s[6:7], s[4:5]
; %bb.723:                              ;   in Loop: Header=BB382_651 Depth=1
	v_or_b32_e32 v0, 0x10000, v8
	v_cmp_eq_u32_sdwa s[4:5], v8, v33 src0_sel:WORD_0 src1_sel:DWORD
	v_cndmask_b32_e64 v13, v0, v8, s[4:5]
; %bb.724:                              ;   in Loop: Header=BB382_651 Depth=1
	s_or_b64 exec, exec, s[6:7]
	v_mov_b32_e32 v32, v7
	v_cmp_ne_u16_sdwa s[4:5], v7, v33 src0_sel:BYTE_0 src1_sel:DWORD
	v_mov_b32_e32 v8, 0
	s_and_saveexec_b64 s[6:7], s[4:5]
	s_cbranch_execz .LBB382_730
; %bb.725:                              ;   in Loop: Header=BB382_651 Depth=1
	v_cmp_ne_u16_sdwa s[4:5], v7, s36 src0_sel:BYTE_0 src1_sel:DWORD
	v_bfrev_b32_e32 v8, 1
	s_and_saveexec_b64 s[26:27], s[4:5]
	s_cbranch_execz .LBB382_729
; %bb.726:                              ;   in Loop: Header=BB382_651 Depth=1
	v_and_b32_e32 v31, 0x7f, v7
	v_cmp_ne_u32_e64 s[4:5], s37, v31
	v_mov_b32_e32 v8, 0x7f800001
	s_and_saveexec_b64 s[28:29], s[4:5]
	s_cbranch_execz .LBB382_728
; %bb.727:                              ;   in Loop: Header=BB382_651 Depth=1
	v_and_b32_e32 v0, 7, v7
	v_ffbh_u32_e32 v0, v0
	v_min_u32_e32 v0, 32, v0
	v_lshrrev_b32_e32 v1, 3, v31
	v_subrev_u32_e32 v8, 28, v0
	v_sub_u32_e32 v0, 29, v0
	v_cmp_gt_u32_e64 s[4:5], 8, v31
	v_cndmask_b32_e64 v0, v1, v0, s[4:5]
	v_cndmask_b32_e64 v1, 0, v8, s[4:5]
	v_lshlrev_b64 v[34:35], v1, v[32:33]
	v_lshlrev_b32_e32 v1, 20, v34
	v_lshlrev_b32_e32 v8, 24, v32
	v_bfrev_b32_e32 v16, 60
	v_and_b32_e32 v1, 0x700000, v1
	v_and_b32_e32 v8, 0x80000000, v8
	v_lshl_add_u32 v0, v0, 23, v16
	v_or3_b32 v8, v8, v0, v1
.LBB382_728:                            ;   in Loop: Header=BB382_651 Depth=1
	s_or_b64 exec, exec, s[28:29]
.LBB382_729:                            ;   in Loop: Header=BB382_651 Depth=1
	s_or_b64 exec, exec, s[26:27]
.LBB382_730:                            ;   in Loop: Header=BB382_651 Depth=1
	s_or_b64 exec, exec, s[6:7]
	v_mul_f32_e32 v8, v9, v8
	v_and_b32_e32 v0, 0x7f800000, v8
	v_cmp_ne_u32_e64 s[4:5], s9, v0
                                        ; implicit-def: $vgpr31
	s_and_saveexec_b64 s[6:7], s[4:5]
	s_xor_b64 s[4:5], exec, s[6:7]
; %bb.731:                              ;   in Loop: Header=BB382_651 Depth=1
	v_bfe_u32 v0, v8, 16, 1
	v_add3_u32 v31, v8, v0, s15
                                        ; implicit-def: $vgpr8
; %bb.732:                              ;   in Loop: Header=BB382_651 Depth=1
	s_andn2_saveexec_b64 s[6:7], s[4:5]
; %bb.733:                              ;   in Loop: Header=BB382_651 Depth=1
	v_or_b32_e32 v0, 0x10000, v8
	v_cmp_eq_u32_sdwa s[4:5], v8, v33 src0_sel:WORD_0 src1_sel:DWORD
	v_cndmask_b32_e64 v31, v0, v8, s[4:5]
; %bb.734:                              ;   in Loop: Header=BB382_651 Depth=1
	s_or_b64 exec, exec, s[6:7]
	v_lshrrev_b16_e32 v8, 8, v32
	v_cmp_ne_u16_e64 s[4:5], 0, v8
	v_mov_b32_e32 v34, 0
	s_and_saveexec_b64 s[6:7], s[4:5]
	s_cbranch_execz .LBB382_740
; %bb.735:                              ;   in Loop: Header=BB382_651 Depth=1
	v_cmp_ne_u16_e64 s[4:5], s36, v8
	v_bfrev_b32_e32 v34, 1
	s_and_saveexec_b64 s[26:27], s[4:5]
	s_cbranch_execz .LBB382_739
; %bb.736:                              ;   in Loop: Header=BB382_651 Depth=1
	v_and_b32_e32 v35, 0x7f, v8
	v_cmp_ne_u32_e64 s[4:5], s37, v35
	v_mov_b32_e32 v34, 0x7f800001
	s_and_saveexec_b64 s[28:29], s[4:5]
	s_cbranch_execz .LBB382_738
; %bb.737:                              ;   in Loop: Header=BB382_651 Depth=1
	v_and_b32_e32 v0, 7, v8
	v_ffbh_u32_e32 v16, v0
	v_min_u32_e32 v16, 32, v16
	v_subrev_u32_e32 v17, 28, v16
	v_lshlrev_b64 v[36:37], v17, v[8:9]
	v_lshrrev_b32_e32 v1, 3, v35
	v_sub_u32_e32 v8, 29, v16
	v_and_b32_e32 v16, 7, v36
	v_cmp_gt_u32_e64 s[4:5], 8, v35
	v_cndmask_b32_e64 v1, v1, v8, s[4:5]
	v_cndmask_b32_e64 v0, v0, v16, s[4:5]
	v_lshlrev_b32_e32 v8, 16, v32
	v_bfrev_b32_e32 v16, 60
	v_lshlrev_b32_e32 v0, 20, v0
	v_and_b32_e32 v8, 0x80000000, v8
	v_lshl_add_u32 v1, v1, 23, v16
	v_or3_b32 v34, v8, v1, v0
.LBB382_738:                            ;   in Loop: Header=BB382_651 Depth=1
	s_or_b64 exec, exec, s[28:29]
.LBB382_739:                            ;   in Loop: Header=BB382_651 Depth=1
	s_or_b64 exec, exec, s[26:27]
.LBB382_740:                            ;   in Loop: Header=BB382_651 Depth=1
	s_or_b64 exec, exec, s[6:7]
	v_mul_f32_e32 v8, v9, v34
	v_and_b32_e32 v0, 0x7f800000, v8
	v_cmp_ne_u32_e64 s[4:5], s9, v0
                                        ; implicit-def: $vgpr32
	s_and_saveexec_b64 s[6:7], s[4:5]
	s_xor_b64 s[4:5], exec, s[6:7]
; %bb.741:                              ;   in Loop: Header=BB382_651 Depth=1
	v_bfe_u32 v0, v8, 16, 1
	v_add3_u32 v32, v8, v0, s15
                                        ; implicit-def: $vgpr8
; %bb.742:                              ;   in Loop: Header=BB382_651 Depth=1
	s_andn2_saveexec_b64 s[6:7], s[4:5]
; %bb.743:                              ;   in Loop: Header=BB382_651 Depth=1
	v_or_b32_e32 v0, 0x10000, v8
	v_cmp_eq_u32_sdwa s[4:5], v8, v33 src0_sel:WORD_0 src1_sel:DWORD
	v_cndmask_b32_e64 v32, v0, v8, s[4:5]
; %bb.744:                              ;   in Loop: Header=BB382_651 Depth=1
	s_or_b64 exec, exec, s[6:7]
	v_lshrrev_b32_e32 v8, 16, v7
	v_cmp_ne_u16_sdwa s[4:5], v8, v33 src0_sel:BYTE_0 src1_sel:DWORD
	v_mov_b32_e32 v34, 0
	s_and_saveexec_b64 s[6:7], s[4:5]
	s_cbranch_execz .LBB382_750
; %bb.745:                              ;   in Loop: Header=BB382_651 Depth=1
	v_cmp_ne_u16_sdwa s[4:5], v8, s36 src0_sel:BYTE_0 src1_sel:DWORD
	v_bfrev_b32_e32 v34, 1
	s_and_saveexec_b64 s[26:27], s[4:5]
	s_cbranch_execz .LBB382_749
; %bb.746:                              ;   in Loop: Header=BB382_651 Depth=1
	v_bfe_u32 v35, v7, 16, 7
	v_cmp_ne_u32_e64 s[4:5], s37, v35
	v_mov_b32_e32 v34, 0x7f800001
	s_and_saveexec_b64 s[28:29], s[4:5]
	s_cbranch_execz .LBB382_748
; %bb.747:                              ;   in Loop: Header=BB382_651 Depth=1
	v_and_b32_e32 v0, 7, v8
	v_ffbh_u32_e32 v16, v0
	v_min_u32_e32 v16, 32, v16
	v_subrev_u32_e32 v17, 28, v16
	v_lshlrev_b64 v[36:37], v17, v[8:9]
	v_lshrrev_b32_e32 v1, 3, v35
	v_sub_u32_e32 v16, 29, v16
	v_and_b32_e32 v17, 7, v36
	v_cmp_gt_u32_e64 s[4:5], 8, v35
	v_cndmask_b32_e64 v1, v1, v16, s[4:5]
	v_cndmask_b32_e64 v0, v0, v17, s[4:5]
	v_lshlrev_b32_e32 v8, 24, v8
	v_bfrev_b32_e32 v16, 60
	v_lshlrev_b32_e32 v0, 20, v0
	v_and_b32_e32 v8, 0x80000000, v8
	v_lshl_add_u32 v1, v1, 23, v16
	v_or3_b32 v34, v8, v1, v0
.LBB382_748:                            ;   in Loop: Header=BB382_651 Depth=1
	s_or_b64 exec, exec, s[28:29]
.LBB382_749:                            ;   in Loop: Header=BB382_651 Depth=1
	s_or_b64 exec, exec, s[26:27]
.LBB382_750:                            ;   in Loop: Header=BB382_651 Depth=1
	s_or_b64 exec, exec, s[6:7]
	v_mul_f32_e32 v8, v9, v34
	v_and_b32_e32 v0, 0x7f800000, v8
	v_cmp_ne_u32_e64 s[4:5], s9, v0
                                        ; implicit-def: $vgpr34
	s_and_saveexec_b64 s[6:7], s[4:5]
	s_xor_b64 s[4:5], exec, s[6:7]
; %bb.751:                              ;   in Loop: Header=BB382_651 Depth=1
	v_bfe_u32 v0, v8, 16, 1
	v_add3_u32 v34, v8, v0, s15
                                        ; implicit-def: $vgpr8
; %bb.752:                              ;   in Loop: Header=BB382_651 Depth=1
	s_andn2_saveexec_b64 s[6:7], s[4:5]
; %bb.753:                              ;   in Loop: Header=BB382_651 Depth=1
	v_or_b32_e32 v0, 0x10000, v8
	v_cmp_eq_u32_sdwa s[4:5], v8, v33 src0_sel:WORD_0 src1_sel:DWORD
	v_cndmask_b32_e64 v34, v0, v8, s[4:5]
; %bb.754:                              ;   in Loop: Header=BB382_651 Depth=1
	s_or_b64 exec, exec, s[6:7]
	v_cmp_lt_u64_e64 s[4:5], s[20:21], v[6:7]
	v_mov_b32_e32 v8, 0
	s_and_saveexec_b64 s[6:7], s[4:5]
	s_cbranch_execz .LBB382_760
; %bb.755:                              ;   in Loop: Header=BB382_651 Depth=1
	v_lshrrev_b32_e32 v6, 24, v7
	v_cmp_ne_u32_e64 s[4:5], s36, v6
	v_bfrev_b32_e32 v8, 1
	s_and_saveexec_b64 s[26:27], s[4:5]
	s_cbranch_execz .LBB382_759
; %bb.756:                              ;   in Loop: Header=BB382_651 Depth=1
	v_bfe_u32 v7, v7, 24, 7
	v_cmp_ne_u32_e64 s[4:5], s37, v7
	v_mov_b32_e32 v8, 0x7f800001
	s_and_saveexec_b64 s[28:29], s[4:5]
	s_cbranch_execz .LBB382_758
; %bb.757:                              ;   in Loop: Header=BB382_651 Depth=1
	v_and_b32_e32 v0, 7, v6
	v_ffbh_u32_e32 v8, v0
	v_min_u32_e32 v8, 32, v8
	v_subrev_u32_e32 v16, 28, v8
	v_lshlrev_b64 v[36:37], v16, v[6:7]
	v_lshrrev_b32_e32 v1, 3, v7
	v_sub_u32_e32 v8, 29, v8
	v_and_b32_e32 v16, 7, v36
	v_cmp_gt_u32_e64 s[4:5], 8, v7
	v_cndmask_b32_e64 v1, v1, v8, s[4:5]
	v_cndmask_b32_e64 v0, v0, v16, s[4:5]
	v_lshlrev_b32_e32 v6, 24, v6
	v_bfrev_b32_e32 v7, 60
	v_lshlrev_b32_e32 v0, 20, v0
	v_and_b32_e32 v6, 0x80000000, v6
	v_lshl_add_u32 v1, v1, 23, v7
	v_or3_b32 v8, v6, v1, v0
.LBB382_758:                            ;   in Loop: Header=BB382_651 Depth=1
	s_or_b64 exec, exec, s[28:29]
.LBB382_759:                            ;   in Loop: Header=BB382_651 Depth=1
	s_or_b64 exec, exec, s[26:27]
.LBB382_760:                            ;   in Loop: Header=BB382_651 Depth=1
	s_or_b64 exec, exec, s[6:7]
	v_mul_f32_e32 v6, v9, v8
	v_and_b32_e32 v0, 0x7f800000, v6
	v_cmp_ne_u32_e64 s[4:5], s9, v0
                                        ; implicit-def: $vgpr35
	s_and_saveexec_b64 s[6:7], s[4:5]
	s_xor_b64 s[4:5], exec, s[6:7]
; %bb.761:                              ;   in Loop: Header=BB382_651 Depth=1
	v_bfe_u32 v0, v6, 16, 1
	v_add3_u32 v35, v6, v0, s15
                                        ; implicit-def: $vgpr6
; %bb.762:                              ;   in Loop: Header=BB382_651 Depth=1
	s_andn2_saveexec_b64 s[6:7], s[4:5]
; %bb.763:                              ;   in Loop: Header=BB382_651 Depth=1
	v_or_b32_e32 v0, 0x10000, v6
	v_cmp_eq_u32_sdwa s[4:5], v6, v33 src0_sel:WORD_0 src1_sel:DWORD
	v_cndmask_b32_e64 v35, v0, v6, s[4:5]
; %bb.764:                              ;   in Loop: Header=BB382_651 Depth=1
	s_or_b64 exec, exec, s[6:7]
	v_accvgpr_read_b32 v0, a12
	v_accvgpr_read_b32 v1, a23
	v_cmp_eq_u32_e64 s[4:5], v1, v0
	v_accvgpr_read_b32 v0, a13
	v_add_u32_e32 v43, v23, v0
	v_lshrrev_b32_e32 v7, 16, v32
	v_lshrrev_b32_e32 v8, 16, v31
	;; [unrolled: 1-line block ×8, first 2 shown]
	s_and_saveexec_b64 s[26:27], s[4:5]
	s_cbranch_execz .LBB382_766
; %bb.765:                              ;   in Loop: Header=BB382_651 Depth=1
	v_accvgpr_read_b32 v1, a3
	v_cmp_lt_i32_e64 s[6:7], v43, v1
	v_add_u32_e32 v0, 1, v43
	v_cndmask_b32_e64 v30, 0, v30, s[6:7]
	v_cmp_lt_i32_e64 s[6:7], v0, v1
	v_add_u32_e32 v0, 2, v43
	v_cndmask_b32_e64 v31, 0, v31, s[6:7]
	;; [unrolled: 3-line block ×7, first 2 shown]
	v_cmp_lt_i32_e64 s[6:7], v0, v1
	v_cndmask_b32_e64 v5, 0, v5, s[6:7]
.LBB382_766:                            ;   in Loop: Header=BB382_651 Depth=1
	s_or_b64 exec, exec, s[26:27]
	v_and_b32_e32 v44, 0xffff0000, v29
	v_lshlrev_b32_e32 v0, 16, v30
	v_mul_f32_e32 v29, v44, v0
	v_and_b32_e32 v0, 0x7f800000, v29
	v_cmp_ne_u32_e64 s[6:7], s9, v0
                                        ; implicit-def: $agpr27
	s_and_saveexec_b64 s[26:27], s[6:7]
	s_xor_b64 s[6:7], exec, s[26:27]
; %bb.767:                              ;   in Loop: Header=BB382_651 Depth=1
	v_bfe_u32 v0, v29, 16, 1
	v_add3_u32 v0, v29, v0, s15
	v_accvgpr_write_b32 a27, v0
                                        ; implicit-def: $vgpr29
; %bb.768:                              ;   in Loop: Header=BB382_651 Depth=1
	s_andn2_saveexec_b64 s[26:27], s[6:7]
; %bb.769:                              ;   in Loop: Header=BB382_651 Depth=1
	v_or_b32_e32 v0, 0x10000, v29
	v_cmp_eq_u32_sdwa s[6:7], v29, v33 src0_sel:WORD_0 src1_sel:DWORD
	v_cndmask_b32_e64 v0, v0, v29, s[6:7]
	v_accvgpr_write_b32 a27, v0
; %bb.770:                              ;   in Loop: Header=BB382_651 Depth=1
	s_or_b64 exec, exec, s[26:27]
	v_and_b32_e32 v46, 0xffff0000, v27
	v_lshlrev_b32_e32 v0, 16, v31
	v_mul_f32_e32 v27, v46, v0
	v_and_b32_e32 v0, 0x7f800000, v27
	v_cmp_ne_u32_e64 s[6:7], s9, v0
                                        ; implicit-def: $agpr29
	s_and_saveexec_b64 s[26:27], s[6:7]
	s_xor_b64 s[6:7], exec, s[26:27]
; %bb.771:                              ;   in Loop: Header=BB382_651 Depth=1
	v_bfe_u32 v0, v27, 16, 1
	v_add3_u32 v0, v27, v0, s15
	v_accvgpr_write_b32 a29, v0
                                        ; implicit-def: $vgpr27
; %bb.772:                              ;   in Loop: Header=BB382_651 Depth=1
	s_andn2_saveexec_b64 s[26:27], s[6:7]
; %bb.773:                              ;   in Loop: Header=BB382_651 Depth=1
	v_or_b32_e32 v0, 0x10000, v27
	v_cmp_eq_u32_sdwa s[6:7], v27, v33 src0_sel:WORD_0 src1_sel:DWORD
	v_cndmask_b32_e64 v0, v0, v27, s[6:7]
	v_accvgpr_write_b32 a29, v0
; %bb.774:                              ;   in Loop: Header=BB382_651 Depth=1
	s_or_b64 exec, exec, s[26:27]
	v_and_b32_e32 v47, 0xffff0000, v26
	v_lshlrev_b32_e32 v0, 16, v12
	v_mul_f32_e32 v12, v47, v0
	v_and_b32_e32 v0, 0x7f800000, v12
	v_cmp_ne_u32_e64 s[6:7], s9, v0
                                        ; implicit-def: $agpr31
	s_and_saveexec_b64 s[26:27], s[6:7]
	s_xor_b64 s[6:7], exec, s[26:27]
; %bb.775:                              ;   in Loop: Header=BB382_651 Depth=1
	v_bfe_u32 v0, v12, 16, 1
	v_add3_u32 v0, v12, v0, s15
	v_accvgpr_write_b32 a31, v0
                                        ; implicit-def: $vgpr12
; %bb.776:                              ;   in Loop: Header=BB382_651 Depth=1
	s_andn2_saveexec_b64 s[26:27], s[6:7]
; %bb.777:                              ;   in Loop: Header=BB382_651 Depth=1
	v_or_b32_e32 v0, 0x10000, v12
	v_cmp_eq_u32_sdwa s[6:7], v12, v33 src0_sel:WORD_0 src1_sel:DWORD
	v_cndmask_b32_e64 v0, v0, v12, s[6:7]
	v_accvgpr_write_b32 a31, v0
; %bb.778:                              ;   in Loop: Header=BB382_651 Depth=1
	s_or_b64 exec, exec, s[26:27]
	v_and_b32_e32 v56, 0xffff0000, v22
	v_lshlrev_b32_e32 v0, 16, v13
	v_mul_f32_e32 v12, v56, v0
	v_and_b32_e32 v0, 0x7f800000, v12
	v_cmp_ne_u32_e64 s[6:7], s9, v0
                                        ; implicit-def: $agpr32
	s_and_saveexec_b64 s[26:27], s[6:7]
	s_xor_b64 s[6:7], exec, s[26:27]
; %bb.779:                              ;   in Loop: Header=BB382_651 Depth=1
	v_bfe_u32 v0, v12, 16, 1
	v_add3_u32 v0, v12, v0, s15
	v_accvgpr_write_b32 a32, v0
                                        ; implicit-def: $vgpr12
; %bb.780:                              ;   in Loop: Header=BB382_651 Depth=1
	s_andn2_saveexec_b64 s[26:27], s[6:7]
; %bb.781:                              ;   in Loop: Header=BB382_651 Depth=1
	v_or_b32_e32 v0, 0x10000, v12
	v_cmp_eq_u32_sdwa s[6:7], v12, v33 src0_sel:WORD_0 src1_sel:DWORD
	v_cndmask_b32_e64 v0, v0, v12, s[6:7]
	v_accvgpr_write_b32 a32, v0
; %bb.782:                              ;   in Loop: Header=BB382_651 Depth=1
	s_or_b64 exec, exec, s[26:27]
	v_and_b32_e32 v57, 0xffff0000, v21
	v_lshlrev_b32_e32 v0, 16, v8
	v_mul_f32_e32 v8, v57, v0
	v_and_b32_e32 v0, 0x7f800000, v8
	v_cmp_ne_u32_e64 s[6:7], s9, v0
                                        ; implicit-def: $agpr33
	s_and_saveexec_b64 s[26:27], s[6:7]
	s_xor_b64 s[6:7], exec, s[26:27]
; %bb.783:                              ;   in Loop: Header=BB382_651 Depth=1
	v_bfe_u32 v0, v8, 16, 1
	v_add3_u32 v0, v8, v0, s15
	v_accvgpr_write_b32 a33, v0
                                        ; implicit-def: $vgpr8
; %bb.784:                              ;   in Loop: Header=BB382_651 Depth=1
	s_andn2_saveexec_b64 s[26:27], s[6:7]
; %bb.785:                              ;   in Loop: Header=BB382_651 Depth=1
	v_or_b32_e32 v0, 0x10000, v8
	v_cmp_eq_u32_sdwa s[6:7], v8, v33 src0_sel:WORD_0 src1_sel:DWORD
	v_cndmask_b32_e64 v0, v0, v8, s[6:7]
	v_accvgpr_write_b32 a33, v0
; %bb.786:                              ;   in Loop: Header=BB382_651 Depth=1
	s_or_b64 exec, exec, s[26:27]
	v_and_b32_e32 v58, 0xffff0000, v20
	v_lshlrev_b32_e32 v0, 16, v7
	v_mul_f32_e32 v7, v58, v0
	v_and_b32_e32 v0, 0x7f800000, v7
	v_cmp_ne_u32_e64 s[6:7], s9, v0
                                        ; implicit-def: $agpr34
	s_and_saveexec_b64 s[26:27], s[6:7]
	s_xor_b64 s[6:7], exec, s[26:27]
; %bb.787:                              ;   in Loop: Header=BB382_651 Depth=1
	v_bfe_u32 v0, v7, 16, 1
	v_add3_u32 v0, v7, v0, s15
	v_accvgpr_write_b32 a34, v0
                                        ; implicit-def: $vgpr7
; %bb.788:                              ;   in Loop: Header=BB382_651 Depth=1
	s_andn2_saveexec_b64 s[26:27], s[6:7]
; %bb.789:                              ;   in Loop: Header=BB382_651 Depth=1
	v_or_b32_e32 v0, 0x10000, v7
	v_cmp_eq_u32_sdwa s[6:7], v7, v33 src0_sel:WORD_0 src1_sel:DWORD
	v_cndmask_b32_e64 v0, v0, v7, s[6:7]
	v_accvgpr_write_b32 a34, v0
; %bb.790:                              ;   in Loop: Header=BB382_651 Depth=1
	s_or_b64 exec, exec, s[26:27]
	v_and_b32_e32 v60, 0xffff0000, v11
	v_lshlrev_b32_e32 v0, 16, v6
	v_mul_f32_e32 v6, v60, v0
	v_and_b32_e32 v0, 0x7f800000, v6
	v_cmp_ne_u32_e64 s[6:7], s9, v0
                                        ; implicit-def: $agpr35
	s_and_saveexec_b64 s[26:27], s[6:7]
	s_xor_b64 s[6:7], exec, s[26:27]
; %bb.791:                              ;   in Loop: Header=BB382_651 Depth=1
	v_bfe_u32 v0, v6, 16, 1
	v_add3_u32 v0, v6, v0, s15
	v_accvgpr_write_b32 a35, v0
                                        ; implicit-def: $vgpr6
; %bb.792:                              ;   in Loop: Header=BB382_651 Depth=1
	s_andn2_saveexec_b64 s[26:27], s[6:7]
; %bb.793:                              ;   in Loop: Header=BB382_651 Depth=1
	v_or_b32_e32 v0, 0x10000, v6
	v_cmp_eq_u32_sdwa s[6:7], v6, v33 src0_sel:WORD_0 src1_sel:DWORD
	v_cndmask_b32_e64 v0, v0, v6, s[6:7]
	v_accvgpr_write_b32 a35, v0
; %bb.794:                              ;   in Loop: Header=BB382_651 Depth=1
	s_or_b64 exec, exec, s[26:27]
	v_and_b32_e32 v41, 0xffff0000, v10
	v_lshlrev_b32_e32 v0, 16, v5
	v_mul_f32_e32 v5, v41, v0
	v_and_b32_e32 v0, 0x7f800000, v5
	v_cmp_ne_u32_e64 s[6:7], s9, v0
                                        ; implicit-def: $agpr36
	s_and_saveexec_b64 s[26:27], s[6:7]
	s_xor_b64 s[6:7], exec, s[26:27]
; %bb.795:                              ;   in Loop: Header=BB382_651 Depth=1
	v_bfe_u32 v0, v5, 16, 1
	v_add3_u32 v0, v5, v0, s15
	v_accvgpr_write_b32 a36, v0
                                        ; implicit-def: $vgpr5
; %bb.796:                              ;   in Loop: Header=BB382_651 Depth=1
	s_andn2_saveexec_b64 s[26:27], s[6:7]
; %bb.797:                              ;   in Loop: Header=BB382_651 Depth=1
	v_or_b32_e32 v0, 0x10000, v5
	v_cmp_eq_u32_sdwa s[6:7], v5, v33 src0_sel:WORD_0 src1_sel:DWORD
	v_cndmask_b32_e64 v0, v0, v5, s[6:7]
	v_accvgpr_write_b32 a36, v0
; %bb.798:                              ;   in Loop: Header=BB382_651 Depth=1
	s_or_b64 exec, exec, s[26:27]
	flat_load_dwordx2 v[6:7], v[2:3] offset:512
	v_mov_b32_e32 v5, 0
	s_waitcnt vmcnt(0) lgkmcnt(0)
	v_cmp_ne_u16_sdwa s[6:7], v6, v33 src0_sel:BYTE_0 src1_sel:DWORD
	s_and_saveexec_b64 s[26:27], s[6:7]
	s_cbranch_execz .LBB382_804
; %bb.799:                              ;   in Loop: Header=BB382_651 Depth=1
	v_cmp_ne_u16_sdwa s[6:7], v6, s36 src0_sel:BYTE_0 src1_sel:DWORD
	v_bfrev_b32_e32 v5, 1
	s_and_saveexec_b64 s[28:29], s[6:7]
	s_cbranch_execz .LBB382_803
; %bb.800:                              ;   in Loop: Header=BB382_651 Depth=1
	v_and_b32_e32 v8, 0x7f, v6
	v_cmp_ne_u32_e64 s[6:7], s37, v8
	v_mov_b32_e32 v5, 0x7f800001
	s_and_saveexec_b64 s[30:31], s[6:7]
	s_cbranch_execz .LBB382_802
; %bb.801:                              ;   in Loop: Header=BB382_651 Depth=1
	v_and_b32_e32 v0, 7, v6
	v_ffbh_u32_e32 v0, v0
	v_min_u32_e32 v0, 32, v0
	v_lshrrev_b32_e32 v1, 3, v8
	v_subrev_u32_e32 v5, 28, v0
	v_sub_u32_e32 v0, 29, v0
	v_cmp_gt_u32_e64 s[6:7], 8, v8
	v_cndmask_b32_e64 v0, v1, v0, s[6:7]
	v_cndmask_b32_e64 v1, 0, v5, s[6:7]
	v_lshlrev_b64 v[10:11], v1, v[6:7]
	v_lshlrev_b32_e32 v1, 20, v10
	v_lshlrev_b32_e32 v5, 24, v6
	v_bfrev_b32_e32 v8, 60
	v_and_b32_e32 v1, 0x700000, v1
	v_and_b32_e32 v5, 0x80000000, v5
	v_lshl_add_u32 v0, v0, 23, v8
	v_or3_b32 v5, v5, v0, v1
.LBB382_802:                            ;   in Loop: Header=BB382_651 Depth=1
	s_or_b64 exec, exec, s[30:31]
.LBB382_803:                            ;   in Loop: Header=BB382_651 Depth=1
	s_or_b64 exec, exec, s[28:29]
.LBB382_804:                            ;   in Loop: Header=BB382_651 Depth=1
	s_or_b64 exec, exec, s[26:27]
	v_mul_f32_e32 v5, v9, v5
	v_and_b32_e32 v0, 0x7f800000, v5
	v_cmp_ne_u32_e64 s[6:7], s9, v0
                                        ; implicit-def: $vgpr10
	s_and_saveexec_b64 s[26:27], s[6:7]
	s_xor_b64 s[6:7], exec, s[26:27]
; %bb.805:                              ;   in Loop: Header=BB382_651 Depth=1
	v_bfe_u32 v0, v5, 16, 1
	v_add3_u32 v10, v5, v0, s15
                                        ; implicit-def: $vgpr5
; %bb.806:                              ;   in Loop: Header=BB382_651 Depth=1
	s_andn2_saveexec_b64 s[26:27], s[6:7]
; %bb.807:                              ;   in Loop: Header=BB382_651 Depth=1
	v_or_b32_e32 v0, 0x10000, v5
	v_cmp_eq_u32_sdwa s[6:7], v5, v33 src0_sel:WORD_0 src1_sel:DWORD
	v_cndmask_b32_e64 v10, v0, v5, s[6:7]
; %bb.808:                              ;   in Loop: Header=BB382_651 Depth=1
	s_or_b64 exec, exec, s[26:27]
	v_lshrrev_b16_e32 v8, 8, v6
	v_cmp_ne_u16_e64 s[6:7], 0, v8
	v_mov_b32_e32 v5, 0
	s_and_saveexec_b64 s[26:27], s[6:7]
	s_cbranch_execz .LBB382_814
; %bb.809:                              ;   in Loop: Header=BB382_651 Depth=1
	v_cmp_ne_u16_e64 s[6:7], s36, v8
	v_bfrev_b32_e32 v5, 1
	s_and_saveexec_b64 s[28:29], s[6:7]
	s_cbranch_execz .LBB382_813
; %bb.810:                              ;   in Loop: Header=BB382_651 Depth=1
	v_and_b32_e32 v11, 0x7f, v8
	v_cmp_ne_u32_e64 s[6:7], s37, v11
	v_mov_b32_e32 v5, 0x7f800001
	s_and_saveexec_b64 s[30:31], s[6:7]
	s_cbranch_execz .LBB382_812
; %bb.811:                              ;   in Loop: Header=BB382_651 Depth=1
	v_and_b32_e32 v0, 7, v8
	v_ffbh_u32_e32 v5, v0
	v_min_u32_e32 v5, 32, v5
	v_subrev_u32_e32 v12, 28, v5
	v_lshlrev_b64 v[12:13], v12, v[8:9]
	v_lshrrev_b32_e32 v1, 3, v11
	v_sub_u32_e32 v5, 29, v5
	v_and_b32_e32 v8, 7, v12
	v_cmp_gt_u32_e64 s[6:7], 8, v11
	v_cndmask_b32_e64 v1, v1, v5, s[6:7]
	v_cndmask_b32_e64 v0, v0, v8, s[6:7]
	v_lshlrev_b32_e32 v5, 16, v6
	v_bfrev_b32_e32 v8, 60
	v_lshlrev_b32_e32 v0, 20, v0
	v_and_b32_e32 v5, 0x80000000, v5
	v_lshl_add_u32 v1, v1, 23, v8
	v_or3_b32 v5, v5, v1, v0
.LBB382_812:                            ;   in Loop: Header=BB382_651 Depth=1
	s_or_b64 exec, exec, s[30:31]
.LBB382_813:                            ;   in Loop: Header=BB382_651 Depth=1
	s_or_b64 exec, exec, s[28:29]
.LBB382_814:                            ;   in Loop: Header=BB382_651 Depth=1
	s_or_b64 exec, exec, s[26:27]
	v_mul_f32_e32 v8, v9, v5
	v_and_b32_e32 v0, 0x7f800000, v8
	v_cmp_ne_u32_e64 s[6:7], s9, v0
                                        ; implicit-def: $vgpr5
	s_and_saveexec_b64 s[26:27], s[6:7]
	s_xor_b64 s[6:7], exec, s[26:27]
; %bb.815:                              ;   in Loop: Header=BB382_651 Depth=1
	v_bfe_u32 v0, v8, 16, 1
	v_add3_u32 v5, v8, v0, s15
                                        ; implicit-def: $vgpr8
; %bb.816:                              ;   in Loop: Header=BB382_651 Depth=1
	s_andn2_saveexec_b64 s[26:27], s[6:7]
; %bb.817:                              ;   in Loop: Header=BB382_651 Depth=1
	v_or_b32_e32 v0, 0x10000, v8
	v_cmp_eq_u32_sdwa s[6:7], v8, v33 src0_sel:WORD_0 src1_sel:DWORD
	v_cndmask_b32_e64 v5, v0, v8, s[6:7]
; %bb.818:                              ;   in Loop: Header=BB382_651 Depth=1
	s_or_b64 exec, exec, s[26:27]
	v_lshrrev_b32_e32 v8, 16, v6
	v_cmp_ne_u16_sdwa s[6:7], v8, v33 src0_sel:BYTE_0 src1_sel:DWORD
	v_mov_b32_e32 v11, 0
	s_and_saveexec_b64 s[26:27], s[6:7]
	s_cbranch_execz .LBB382_824
; %bb.819:                              ;   in Loop: Header=BB382_651 Depth=1
	v_cmp_ne_u16_sdwa s[6:7], v8, s36 src0_sel:BYTE_0 src1_sel:DWORD
	v_bfrev_b32_e32 v11, 1
	s_and_saveexec_b64 s[28:29], s[6:7]
	s_cbranch_execz .LBB382_823
; %bb.820:                              ;   in Loop: Header=BB382_651 Depth=1
	v_bfe_u32 v12, v6, 16, 7
	v_cmp_ne_u32_e64 s[6:7], s37, v12
	v_mov_b32_e32 v11, 0x7f800001
	s_and_saveexec_b64 s[30:31], s[6:7]
	s_cbranch_execz .LBB382_822
; %bb.821:                              ;   in Loop: Header=BB382_651 Depth=1
	v_and_b32_e32 v0, 7, v8
	v_ffbh_u32_e32 v11, v0
	v_min_u32_e32 v11, 32, v11
	v_subrev_u32_e32 v13, 28, v11
	v_lshlrev_b64 v[20:21], v13, v[8:9]
	v_lshrrev_b32_e32 v1, 3, v12
	v_sub_u32_e32 v11, 29, v11
	v_and_b32_e32 v13, 7, v20
	v_cmp_gt_u32_e64 s[6:7], 8, v12
	v_cndmask_b32_e64 v1, v1, v11, s[6:7]
	v_cndmask_b32_e64 v0, v0, v13, s[6:7]
	v_lshlrev_b32_e32 v8, 24, v8
	v_bfrev_b32_e32 v11, 60
	v_lshlrev_b32_e32 v0, 20, v0
	v_and_b32_e32 v8, 0x80000000, v8
	v_lshl_add_u32 v1, v1, 23, v11
	v_or3_b32 v11, v8, v1, v0
.LBB382_822:                            ;   in Loop: Header=BB382_651 Depth=1
	s_or_b64 exec, exec, s[30:31]
.LBB382_823:                            ;   in Loop: Header=BB382_651 Depth=1
	s_or_b64 exec, exec, s[28:29]
.LBB382_824:                            ;   in Loop: Header=BB382_651 Depth=1
	s_or_b64 exec, exec, s[26:27]
	v_mul_f32_e32 v8, v9, v11
	v_and_b32_e32 v0, 0x7f800000, v8
	v_cmp_ne_u32_e64 s[6:7], s9, v0
                                        ; implicit-def: $vgpr11
	s_and_saveexec_b64 s[26:27], s[6:7]
	s_xor_b64 s[6:7], exec, s[26:27]
; %bb.825:                              ;   in Loop: Header=BB382_651 Depth=1
	v_bfe_u32 v0, v8, 16, 1
	v_add3_u32 v11, v8, v0, s15
                                        ; implicit-def: $vgpr8
; %bb.826:                              ;   in Loop: Header=BB382_651 Depth=1
	s_andn2_saveexec_b64 s[26:27], s[6:7]
; %bb.827:                              ;   in Loop: Header=BB382_651 Depth=1
	v_or_b32_e32 v0, 0x10000, v8
	v_cmp_eq_u32_sdwa s[6:7], v8, v33 src0_sel:WORD_0 src1_sel:DWORD
	v_cndmask_b32_e64 v11, v0, v8, s[6:7]
; %bb.828:                              ;   in Loop: Header=BB382_651 Depth=1
	s_or_b64 exec, exec, s[26:27]
	v_cmp_lt_u32_e64 s[6:7], s21, v6
	v_mov_b32_e32 v12, 0
	s_and_saveexec_b64 s[26:27], s[6:7]
	s_cbranch_execz .LBB382_834
; %bb.829:                              ;   in Loop: Header=BB382_651 Depth=1
	v_lshrrev_b32_e32 v8, 24, v6
	v_cmp_ne_u32_e64 s[6:7], s36, v8
	v_bfrev_b32_e32 v12, 1
	s_and_saveexec_b64 s[28:29], s[6:7]
	s_cbranch_execz .LBB382_833
; %bb.830:                              ;   in Loop: Header=BB382_651 Depth=1
	v_bfe_u32 v13, v6, 24, 7
	v_cmp_ne_u32_e64 s[6:7], s37, v13
	v_mov_b32_e32 v12, 0x7f800001
	s_and_saveexec_b64 s[30:31], s[6:7]
	s_cbranch_execz .LBB382_832
; %bb.831:                              ;   in Loop: Header=BB382_651 Depth=1
	v_and_b32_e32 v0, 7, v8
	v_ffbh_u32_e32 v12, v0
	v_min_u32_e32 v12, 32, v12
	v_subrev_u32_e32 v16, 28, v12
	v_lshlrev_b64 v[20:21], v16, v[8:9]
	v_lshrrev_b32_e32 v1, 3, v13
	v_sub_u32_e32 v12, 29, v12
	v_and_b32_e32 v16, 7, v20
	v_cmp_gt_u32_e64 s[6:7], 8, v13
	v_cndmask_b32_e64 v1, v1, v12, s[6:7]
	v_cndmask_b32_e64 v0, v0, v16, s[6:7]
	v_lshlrev_b32_e32 v8, 24, v8
	v_bfrev_b32_e32 v12, 60
	v_lshlrev_b32_e32 v0, 20, v0
	v_and_b32_e32 v8, 0x80000000, v8
	v_lshl_add_u32 v1, v1, 23, v12
	v_or3_b32 v12, v8, v1, v0
.LBB382_832:                            ;   in Loop: Header=BB382_651 Depth=1
	s_or_b64 exec, exec, s[30:31]
.LBB382_833:                            ;   in Loop: Header=BB382_651 Depth=1
	s_or_b64 exec, exec, s[28:29]
.LBB382_834:                            ;   in Loop: Header=BB382_651 Depth=1
	s_or_b64 exec, exec, s[26:27]
	v_mul_f32_e32 v8, v9, v12
	v_and_b32_e32 v0, 0x7f800000, v8
	v_cmp_ne_u32_e64 s[6:7], s9, v0
                                        ; implicit-def: $vgpr12
	s_and_saveexec_b64 s[26:27], s[6:7]
	s_xor_b64 s[6:7], exec, s[26:27]
; %bb.835:                              ;   in Loop: Header=BB382_651 Depth=1
	v_bfe_u32 v0, v8, 16, 1
	v_add3_u32 v12, v8, v0, s15
                                        ; implicit-def: $vgpr8
; %bb.836:                              ;   in Loop: Header=BB382_651 Depth=1
	s_andn2_saveexec_b64 s[26:27], s[6:7]
; %bb.837:                              ;   in Loop: Header=BB382_651 Depth=1
	v_or_b32_e32 v0, 0x10000, v8
	v_cmp_eq_u32_sdwa s[6:7], v8, v33 src0_sel:WORD_0 src1_sel:DWORD
	v_cndmask_b32_e64 v12, v0, v8, s[6:7]
; %bb.838:                              ;   in Loop: Header=BB382_651 Depth=1
	s_or_b64 exec, exec, s[26:27]
	v_mov_b32_e32 v32, v7
	v_cmp_ne_u16_sdwa s[6:7], v7, v33 src0_sel:BYTE_0 src1_sel:DWORD
	v_mov_b32_e32 v8, 0
	s_and_saveexec_b64 s[26:27], s[6:7]
	s_cbranch_execz .LBB382_844
; %bb.839:                              ;   in Loop: Header=BB382_651 Depth=1
	v_cmp_ne_u16_sdwa s[6:7], v7, s36 src0_sel:BYTE_0 src1_sel:DWORD
	v_bfrev_b32_e32 v8, 1
	s_and_saveexec_b64 s[28:29], s[6:7]
	s_cbranch_execz .LBB382_843
; %bb.840:                              ;   in Loop: Header=BB382_651 Depth=1
	v_and_b32_e32 v13, 0x7f, v7
	v_cmp_ne_u32_e64 s[6:7], s37, v13
	v_mov_b32_e32 v8, 0x7f800001
	s_and_saveexec_b64 s[30:31], s[6:7]
	s_cbranch_execz .LBB382_842
; %bb.841:                              ;   in Loop: Header=BB382_651 Depth=1
	v_and_b32_e32 v0, 7, v7
	v_ffbh_u32_e32 v0, v0
	v_min_u32_e32 v0, 32, v0
	v_lshrrev_b32_e32 v1, 3, v13
	v_subrev_u32_e32 v8, 28, v0
	v_sub_u32_e32 v0, 29, v0
	v_cmp_gt_u32_e64 s[6:7], 8, v13
	v_cndmask_b32_e64 v0, v1, v0, s[6:7]
	v_cndmask_b32_e64 v1, 0, v8, s[6:7]
	v_lshlrev_b64 v[20:21], v1, v[32:33]
	v_lshlrev_b32_e32 v1, 20, v20
	v_lshlrev_b32_e32 v8, 24, v32
	v_bfrev_b32_e32 v13, 60
	v_and_b32_e32 v1, 0x700000, v1
	v_and_b32_e32 v8, 0x80000000, v8
	v_lshl_add_u32 v0, v0, 23, v13
	v_or3_b32 v8, v8, v0, v1
.LBB382_842:                            ;   in Loop: Header=BB382_651 Depth=1
	s_or_b64 exec, exec, s[30:31]
.LBB382_843:                            ;   in Loop: Header=BB382_651 Depth=1
	s_or_b64 exec, exec, s[28:29]
.LBB382_844:                            ;   in Loop: Header=BB382_651 Depth=1
	s_or_b64 exec, exec, s[26:27]
	v_mul_f32_e32 v8, v9, v8
	v_and_b32_e32 v0, 0x7f800000, v8
	v_cmp_ne_u32_e64 s[6:7], s9, v0
                                        ; implicit-def: $vgpr13
	s_and_saveexec_b64 s[26:27], s[6:7]
	s_xor_b64 s[6:7], exec, s[26:27]
; %bb.845:                              ;   in Loop: Header=BB382_651 Depth=1
	v_bfe_u32 v0, v8, 16, 1
	v_add3_u32 v13, v8, v0, s15
                                        ; implicit-def: $vgpr8
; %bb.846:                              ;   in Loop: Header=BB382_651 Depth=1
	s_andn2_saveexec_b64 s[26:27], s[6:7]
; %bb.847:                              ;   in Loop: Header=BB382_651 Depth=1
	v_or_b32_e32 v0, 0x10000, v8
	v_cmp_eq_u32_sdwa s[6:7], v8, v33 src0_sel:WORD_0 src1_sel:DWORD
	v_cndmask_b32_e64 v13, v0, v8, s[6:7]
; %bb.848:                              ;   in Loop: Header=BB382_651 Depth=1
	s_or_b64 exec, exec, s[26:27]
	v_lshrrev_b16_e32 v8, 8, v32
	v_cmp_ne_u16_e64 s[6:7], 0, v8
	v_mov_b32_e32 v20, 0
	s_and_saveexec_b64 s[26:27], s[6:7]
	s_cbranch_execz .LBB382_854
; %bb.849:                              ;   in Loop: Header=BB382_651 Depth=1
	v_cmp_ne_u16_e64 s[6:7], s36, v8
	v_bfrev_b32_e32 v20, 1
	s_and_saveexec_b64 s[28:29], s[6:7]
	s_cbranch_execz .LBB382_853
; %bb.850:                              ;   in Loop: Header=BB382_651 Depth=1
	v_and_b32_e32 v21, 0x7f, v8
	v_cmp_ne_u32_e64 s[6:7], s37, v21
	v_mov_b32_e32 v20, 0x7f800001
	s_and_saveexec_b64 s[30:31], s[6:7]
	s_cbranch_execz .LBB382_852
; %bb.851:                              ;   in Loop: Header=BB382_651 Depth=1
	v_and_b32_e32 v0, 7, v8
	v_ffbh_u32_e32 v16, v0
	v_min_u32_e32 v16, 32, v16
	v_subrev_u32_e32 v17, 28, v16
	v_lshlrev_b64 v[26:27], v17, v[8:9]
	v_lshrrev_b32_e32 v1, 3, v21
	v_sub_u32_e32 v8, 29, v16
	v_and_b32_e32 v16, 7, v26
	v_cmp_gt_u32_e64 s[6:7], 8, v21
	v_cndmask_b32_e64 v1, v1, v8, s[6:7]
	v_cndmask_b32_e64 v0, v0, v16, s[6:7]
	v_lshlrev_b32_e32 v8, 16, v32
	v_bfrev_b32_e32 v16, 60
	v_lshlrev_b32_e32 v0, 20, v0
	v_and_b32_e32 v8, 0x80000000, v8
	v_lshl_add_u32 v1, v1, 23, v16
	v_or3_b32 v20, v8, v1, v0
.LBB382_852:                            ;   in Loop: Header=BB382_651 Depth=1
	s_or_b64 exec, exec, s[30:31]
.LBB382_853:                            ;   in Loop: Header=BB382_651 Depth=1
	s_or_b64 exec, exec, s[28:29]
.LBB382_854:                            ;   in Loop: Header=BB382_651 Depth=1
	s_or_b64 exec, exec, s[26:27]
	v_mul_f32_e32 v8, v9, v20
	v_and_b32_e32 v0, 0x7f800000, v8
	v_cmp_ne_u32_e64 s[6:7], s9, v0
                                        ; implicit-def: $vgpr20
	s_and_saveexec_b64 s[26:27], s[6:7]
	s_xor_b64 s[6:7], exec, s[26:27]
; %bb.855:                              ;   in Loop: Header=BB382_651 Depth=1
	v_bfe_u32 v0, v8, 16, 1
	v_add3_u32 v20, v8, v0, s15
                                        ; implicit-def: $vgpr8
; %bb.856:                              ;   in Loop: Header=BB382_651 Depth=1
	s_andn2_saveexec_b64 s[26:27], s[6:7]
; %bb.857:                              ;   in Loop: Header=BB382_651 Depth=1
	v_or_b32_e32 v0, 0x10000, v8
	v_cmp_eq_u32_sdwa s[6:7], v8, v33 src0_sel:WORD_0 src1_sel:DWORD
	v_cndmask_b32_e64 v20, v0, v8, s[6:7]
; %bb.858:                              ;   in Loop: Header=BB382_651 Depth=1
	s_or_b64 exec, exec, s[26:27]
	v_lshrrev_b32_e32 v8, 16, v7
	v_cmp_ne_u16_sdwa s[6:7], v8, v33 src0_sel:BYTE_0 src1_sel:DWORD
	v_mov_b32_e32 v21, 0
	s_and_saveexec_b64 s[26:27], s[6:7]
	s_cbranch_execz .LBB382_864
; %bb.859:                              ;   in Loop: Header=BB382_651 Depth=1
	v_cmp_ne_u16_sdwa s[6:7], v8, s36 src0_sel:BYTE_0 src1_sel:DWORD
	v_bfrev_b32_e32 v21, 1
	s_and_saveexec_b64 s[28:29], s[6:7]
	s_cbranch_execz .LBB382_863
; %bb.860:                              ;   in Loop: Header=BB382_651 Depth=1
	v_bfe_u32 v22, v7, 16, 7
	v_cmp_ne_u32_e64 s[6:7], s37, v22
	v_mov_b32_e32 v21, 0x7f800001
	s_and_saveexec_b64 s[30:31], s[6:7]
	s_cbranch_execz .LBB382_862
; %bb.861:                              ;   in Loop: Header=BB382_651 Depth=1
	v_and_b32_e32 v0, 7, v8
	v_ffbh_u32_e32 v16, v0
	v_min_u32_e32 v16, 32, v16
	v_subrev_u32_e32 v17, 28, v16
	v_lshlrev_b64 v[26:27], v17, v[8:9]
	v_lshrrev_b32_e32 v1, 3, v22
	v_sub_u32_e32 v16, 29, v16
	v_and_b32_e32 v17, 7, v26
	v_cmp_gt_u32_e64 s[6:7], 8, v22
	v_cndmask_b32_e64 v1, v1, v16, s[6:7]
	v_cndmask_b32_e64 v0, v0, v17, s[6:7]
	v_lshlrev_b32_e32 v8, 24, v8
	v_bfrev_b32_e32 v16, 60
	v_lshlrev_b32_e32 v0, 20, v0
	v_and_b32_e32 v8, 0x80000000, v8
	v_lshl_add_u32 v1, v1, 23, v16
	v_or3_b32 v21, v8, v1, v0
.LBB382_862:                            ;   in Loop: Header=BB382_651 Depth=1
	s_or_b64 exec, exec, s[30:31]
.LBB382_863:                            ;   in Loop: Header=BB382_651 Depth=1
	s_or_b64 exec, exec, s[28:29]
.LBB382_864:                            ;   in Loop: Header=BB382_651 Depth=1
	s_or_b64 exec, exec, s[26:27]
	v_mul_f32_e32 v8, v9, v21
	v_and_b32_e32 v0, 0x7f800000, v8
	v_cmp_ne_u32_e64 s[6:7], s9, v0
                                        ; implicit-def: $vgpr21
	s_and_saveexec_b64 s[26:27], s[6:7]
	s_xor_b64 s[6:7], exec, s[26:27]
; %bb.865:                              ;   in Loop: Header=BB382_651 Depth=1
	v_bfe_u32 v0, v8, 16, 1
	v_add3_u32 v21, v8, v0, s15
                                        ; implicit-def: $vgpr8
; %bb.866:                              ;   in Loop: Header=BB382_651 Depth=1
	s_andn2_saveexec_b64 s[26:27], s[6:7]
; %bb.867:                              ;   in Loop: Header=BB382_651 Depth=1
	v_or_b32_e32 v0, 0x10000, v8
	v_cmp_eq_u32_sdwa s[6:7], v8, v33 src0_sel:WORD_0 src1_sel:DWORD
	v_cndmask_b32_e64 v21, v0, v8, s[6:7]
; %bb.868:                              ;   in Loop: Header=BB382_651 Depth=1
	s_or_b64 exec, exec, s[26:27]
	v_cmp_lt_u64_e64 s[6:7], s[20:21], v[6:7]
	v_mov_b32_e32 v8, 0
	s_and_saveexec_b64 s[26:27], s[6:7]
	s_cbranch_execz .LBB382_874
; %bb.869:                              ;   in Loop: Header=BB382_651 Depth=1
	v_lshrrev_b32_e32 v6, 24, v7
	v_cmp_ne_u32_e64 s[6:7], s36, v6
	v_bfrev_b32_e32 v8, 1
	s_and_saveexec_b64 s[28:29], s[6:7]
	s_cbranch_execz .LBB382_873
; %bb.870:                              ;   in Loop: Header=BB382_651 Depth=1
	v_bfe_u32 v7, v7, 24, 7
	v_cmp_ne_u32_e64 s[6:7], s37, v7
	v_mov_b32_e32 v8, 0x7f800001
	s_and_saveexec_b64 s[30:31], s[6:7]
	s_cbranch_execz .LBB382_872
; %bb.871:                              ;   in Loop: Header=BB382_651 Depth=1
	v_and_b32_e32 v0, 7, v6
	v_ffbh_u32_e32 v8, v0
	v_min_u32_e32 v8, 32, v8
	v_subrev_u32_e32 v16, 28, v8
	v_lshlrev_b64 v[26:27], v16, v[6:7]
	v_lshrrev_b32_e32 v1, 3, v7
	v_sub_u32_e32 v8, 29, v8
	v_and_b32_e32 v16, 7, v26
	v_cmp_gt_u32_e64 s[6:7], 8, v7
	v_cndmask_b32_e64 v1, v1, v8, s[6:7]
	v_cndmask_b32_e64 v0, v0, v16, s[6:7]
	v_lshlrev_b32_e32 v6, 24, v6
	v_bfrev_b32_e32 v7, 60
	v_lshlrev_b32_e32 v0, 20, v0
	v_and_b32_e32 v6, 0x80000000, v6
	v_lshl_add_u32 v1, v1, 23, v7
	v_or3_b32 v8, v6, v1, v0
.LBB382_872:                            ;   in Loop: Header=BB382_651 Depth=1
	s_or_b64 exec, exec, s[30:31]
.LBB382_873:                            ;   in Loop: Header=BB382_651 Depth=1
	s_or_b64 exec, exec, s[28:29]
.LBB382_874:                            ;   in Loop: Header=BB382_651 Depth=1
	s_or_b64 exec, exec, s[26:27]
	v_mul_f32_e32 v6, v9, v8
	v_and_b32_e32 v0, 0x7f800000, v6
	v_cmp_ne_u32_e64 s[6:7], s9, v0
                                        ; implicit-def: $vgpr22
	s_and_saveexec_b64 s[26:27], s[6:7]
	s_xor_b64 s[6:7], exec, s[26:27]
; %bb.875:                              ;   in Loop: Header=BB382_651 Depth=1
	v_bfe_u32 v0, v6, 16, 1
	v_add3_u32 v22, v6, v0, s15
                                        ; implicit-def: $vgpr6
; %bb.876:                              ;   in Loop: Header=BB382_651 Depth=1
	s_andn2_saveexec_b64 s[26:27], s[6:7]
; %bb.877:                              ;   in Loop: Header=BB382_651 Depth=1
	v_or_b32_e32 v0, 0x10000, v6
	v_cmp_eq_u32_sdwa s[6:7], v6, v33 src0_sel:WORD_0 src1_sel:DWORD
	v_cndmask_b32_e64 v22, v0, v6, s[6:7]
; %bb.878:                              ;   in Loop: Header=BB382_651 Depth=1
	s_or_b64 exec, exec, s[26:27]
	v_lshrrev_b32_e32 v7, 16, v20
	v_lshrrev_b32_e32 v8, 16, v13
	;; [unrolled: 1-line block ×8, first 2 shown]
	s_and_saveexec_b64 s[26:27], s[4:5]
	s_cbranch_execz .LBB382_880
; %bb.879:                              ;   in Loop: Header=BB382_651 Depth=1
	v_accvgpr_read_b32 v1, a3
	v_cmp_lt_i32_e64 s[6:7], v43, v1
	v_add_u32_e32 v0, 1, v43
	v_cndmask_b32_e64 v10, 0, v10, s[6:7]
	v_cmp_lt_i32_e64 s[6:7], v0, v1
	v_add_u32_e32 v0, 2, v43
	v_cndmask_b32_e64 v13, 0, v13, s[6:7]
	;; [unrolled: 3-line block ×7, first 2 shown]
	v_cmp_lt_i32_e64 s[6:7], v0, v1
	v_cndmask_b32_e64 v5, 0, v5, s[6:7]
.LBB382_880:                            ;   in Loop: Header=BB382_651 Depth=1
	s_or_b64 exec, exec, s[26:27]
	v_lshlrev_b32_e32 v0, 16, v10
	v_mul_f32_e32 v10, v44, v0
	v_and_b32_e32 v0, 0x7f800000, v10
	v_cmp_ne_u32_e64 s[6:7], s9, v0
                                        ; implicit-def: $agpr37
	s_and_saveexec_b64 s[26:27], s[6:7]
	s_xor_b64 s[6:7], exec, s[26:27]
; %bb.881:                              ;   in Loop: Header=BB382_651 Depth=1
	v_bfe_u32 v0, v10, 16, 1
	v_add3_u32 v0, v10, v0, s15
	v_accvgpr_write_b32 a37, v0
                                        ; implicit-def: $vgpr10
; %bb.882:                              ;   in Loop: Header=BB382_651 Depth=1
	s_andn2_saveexec_b64 s[26:27], s[6:7]
; %bb.883:                              ;   in Loop: Header=BB382_651 Depth=1
	v_or_b32_e32 v0, 0x10000, v10
	v_cmp_eq_u32_sdwa s[6:7], v10, v33 src0_sel:WORD_0 src1_sel:DWORD
	v_cndmask_b32_e64 v0, v0, v10, s[6:7]
	v_accvgpr_write_b32 a37, v0
; %bb.884:                              ;   in Loop: Header=BB382_651 Depth=1
	s_or_b64 exec, exec, s[26:27]
	v_lshlrev_b32_e32 v0, 16, v13
	v_mul_f32_e32 v10, v46, v0
	v_and_b32_e32 v0, 0x7f800000, v10
	v_cmp_ne_u32_e64 s[6:7], s9, v0
                                        ; implicit-def: $agpr40
	s_and_saveexec_b64 s[26:27], s[6:7]
	s_xor_b64 s[6:7], exec, s[26:27]
; %bb.885:                              ;   in Loop: Header=BB382_651 Depth=1
	v_bfe_u32 v0, v10, 16, 1
	v_add3_u32 v0, v10, v0, s15
	v_accvgpr_write_b32 a40, v0
                                        ; implicit-def: $vgpr10
; %bb.886:                              ;   in Loop: Header=BB382_651 Depth=1
	s_andn2_saveexec_b64 s[26:27], s[6:7]
; %bb.887:                              ;   in Loop: Header=BB382_651 Depth=1
	v_or_b32_e32 v0, 0x10000, v10
	v_cmp_eq_u32_sdwa s[6:7], v10, v33 src0_sel:WORD_0 src1_sel:DWORD
	v_cndmask_b32_e64 v0, v0, v10, s[6:7]
	v_accvgpr_write_b32 a40, v0
; %bb.888:                              ;   in Loop: Header=BB382_651 Depth=1
	s_or_b64 exec, exec, s[26:27]
	v_lshlrev_b32_e32 v0, 16, v11
	v_mul_f32_e32 v10, v47, v0
	v_and_b32_e32 v0, 0x7f800000, v10
	v_cmp_ne_u32_e64 s[6:7], s9, v0
                                        ; implicit-def: $agpr41
	s_and_saveexec_b64 s[26:27], s[6:7]
	s_xor_b64 s[6:7], exec, s[26:27]
; %bb.889:                              ;   in Loop: Header=BB382_651 Depth=1
	v_bfe_u32 v0, v10, 16, 1
	v_add3_u32 v0, v10, v0, s15
	v_accvgpr_write_b32 a41, v0
                                        ; implicit-def: $vgpr10
; %bb.890:                              ;   in Loop: Header=BB382_651 Depth=1
	s_andn2_saveexec_b64 s[26:27], s[6:7]
; %bb.891:                              ;   in Loop: Header=BB382_651 Depth=1
	v_or_b32_e32 v0, 0x10000, v10
	v_cmp_eq_u32_sdwa s[6:7], v10, v33 src0_sel:WORD_0 src1_sel:DWORD
	v_cndmask_b32_e64 v0, v0, v10, s[6:7]
	v_accvgpr_write_b32 a41, v0
; %bb.892:                              ;   in Loop: Header=BB382_651 Depth=1
	s_or_b64 exec, exec, s[26:27]
	v_lshlrev_b32_e32 v0, 16, v12
	v_mul_f32_e32 v10, v56, v0
	v_and_b32_e32 v0, 0x7f800000, v10
	v_cmp_ne_u32_e64 s[6:7], s9, v0
                                        ; implicit-def: $agpr42
	s_and_saveexec_b64 s[26:27], s[6:7]
	s_xor_b64 s[6:7], exec, s[26:27]
; %bb.893:                              ;   in Loop: Header=BB382_651 Depth=1
	v_bfe_u32 v0, v10, 16, 1
	v_add3_u32 v0, v10, v0, s15
	v_accvgpr_write_b32 a42, v0
                                        ; implicit-def: $vgpr10
; %bb.894:                              ;   in Loop: Header=BB382_651 Depth=1
	s_andn2_saveexec_b64 s[26:27], s[6:7]
; %bb.895:                              ;   in Loop: Header=BB382_651 Depth=1
	v_or_b32_e32 v0, 0x10000, v10
	v_cmp_eq_u32_sdwa s[6:7], v10, v33 src0_sel:WORD_0 src1_sel:DWORD
	v_cndmask_b32_e64 v0, v0, v10, s[6:7]
	v_accvgpr_write_b32 a42, v0
; %bb.896:                              ;   in Loop: Header=BB382_651 Depth=1
	s_or_b64 exec, exec, s[26:27]
	v_lshlrev_b32_e32 v0, 16, v8
	v_mul_f32_e32 v8, v57, v0
	v_and_b32_e32 v0, 0x7f800000, v8
	v_cmp_ne_u32_e64 s[6:7], s9, v0
                                        ; implicit-def: $agpr43
	s_and_saveexec_b64 s[26:27], s[6:7]
	s_xor_b64 s[6:7], exec, s[26:27]
; %bb.897:                              ;   in Loop: Header=BB382_651 Depth=1
	v_bfe_u32 v0, v8, 16, 1
	v_add3_u32 v0, v8, v0, s15
	v_accvgpr_write_b32 a43, v0
                                        ; implicit-def: $vgpr8
; %bb.898:                              ;   in Loop: Header=BB382_651 Depth=1
	s_andn2_saveexec_b64 s[26:27], s[6:7]
; %bb.899:                              ;   in Loop: Header=BB382_651 Depth=1
	v_or_b32_e32 v0, 0x10000, v8
	v_cmp_eq_u32_sdwa s[6:7], v8, v33 src0_sel:WORD_0 src1_sel:DWORD
	v_cndmask_b32_e64 v0, v0, v8, s[6:7]
	v_accvgpr_write_b32 a43, v0
; %bb.900:                              ;   in Loop: Header=BB382_651 Depth=1
	s_or_b64 exec, exec, s[26:27]
	v_lshlrev_b32_e32 v0, 16, v7
	v_mul_f32_e32 v7, v58, v0
	v_and_b32_e32 v0, 0x7f800000, v7
	v_cmp_ne_u32_e64 s[6:7], s9, v0
                                        ; implicit-def: $agpr44
	s_and_saveexec_b64 s[26:27], s[6:7]
	s_xor_b64 s[6:7], exec, s[26:27]
; %bb.901:                              ;   in Loop: Header=BB382_651 Depth=1
	v_bfe_u32 v0, v7, 16, 1
	v_add3_u32 v0, v7, v0, s15
	v_accvgpr_write_b32 a44, v0
                                        ; implicit-def: $vgpr7
; %bb.902:                              ;   in Loop: Header=BB382_651 Depth=1
	s_andn2_saveexec_b64 s[26:27], s[6:7]
; %bb.903:                              ;   in Loop: Header=BB382_651 Depth=1
	v_or_b32_e32 v0, 0x10000, v7
	v_cmp_eq_u32_sdwa s[6:7], v7, v33 src0_sel:WORD_0 src1_sel:DWORD
	v_cndmask_b32_e64 v0, v0, v7, s[6:7]
	v_accvgpr_write_b32 a44, v0
; %bb.904:                              ;   in Loop: Header=BB382_651 Depth=1
	s_or_b64 exec, exec, s[26:27]
	v_lshlrev_b32_e32 v0, 16, v6
	v_mul_f32_e32 v6, v60, v0
	v_and_b32_e32 v0, 0x7f800000, v6
	v_cmp_ne_u32_e64 s[6:7], s9, v0
                                        ; implicit-def: $agpr45
	s_and_saveexec_b64 s[26:27], s[6:7]
	s_xor_b64 s[6:7], exec, s[26:27]
; %bb.905:                              ;   in Loop: Header=BB382_651 Depth=1
	v_bfe_u32 v0, v6, 16, 1
	v_add3_u32 v0, v6, v0, s15
	v_accvgpr_write_b32 a45, v0
                                        ; implicit-def: $vgpr6
; %bb.906:                              ;   in Loop: Header=BB382_651 Depth=1
	s_andn2_saveexec_b64 s[26:27], s[6:7]
; %bb.907:                              ;   in Loop: Header=BB382_651 Depth=1
	v_or_b32_e32 v0, 0x10000, v6
	v_cmp_eq_u32_sdwa s[6:7], v6, v33 src0_sel:WORD_0 src1_sel:DWORD
	v_cndmask_b32_e64 v0, v0, v6, s[6:7]
	v_accvgpr_write_b32 a45, v0
; %bb.908:                              ;   in Loop: Header=BB382_651 Depth=1
	s_or_b64 exec, exec, s[26:27]
	v_lshlrev_b32_e32 v0, 16, v5
	v_mul_f32_e32 v5, v41, v0
	v_and_b32_e32 v0, 0x7f800000, v5
	v_cmp_ne_u32_e64 s[6:7], s9, v0
                                        ; implicit-def: $agpr46
	s_and_saveexec_b64 s[26:27], s[6:7]
	s_xor_b64 s[6:7], exec, s[26:27]
; %bb.909:                              ;   in Loop: Header=BB382_651 Depth=1
	v_bfe_u32 v0, v5, 16, 1
	v_add3_u32 v0, v5, v0, s15
	v_accvgpr_write_b32 a46, v0
                                        ; implicit-def: $vgpr5
; %bb.910:                              ;   in Loop: Header=BB382_651 Depth=1
	s_andn2_saveexec_b64 s[26:27], s[6:7]
; %bb.911:                              ;   in Loop: Header=BB382_651 Depth=1
	v_or_b32_e32 v0, 0x10000, v5
	v_cmp_eq_u32_sdwa s[6:7], v5, v33 src0_sel:WORD_0 src1_sel:DWORD
	v_cndmask_b32_e64 v0, v0, v5, s[6:7]
	v_accvgpr_write_b32 a46, v0
; %bb.912:                              ;   in Loop: Header=BB382_651 Depth=1
	s_or_b64 exec, exec, s[26:27]
	flat_load_dwordx2 v[6:7], v[2:3] offset:1024
	v_mov_b32_e32 v5, 0
	s_waitcnt vmcnt(0) lgkmcnt(0)
	v_cmp_ne_u16_sdwa s[6:7], v6, v33 src0_sel:BYTE_0 src1_sel:DWORD
	s_and_saveexec_b64 s[26:27], s[6:7]
	s_cbranch_execz .LBB382_918
; %bb.913:                              ;   in Loop: Header=BB382_651 Depth=1
	v_cmp_ne_u16_sdwa s[6:7], v6, s36 src0_sel:BYTE_0 src1_sel:DWORD
	v_bfrev_b32_e32 v5, 1
	s_and_saveexec_b64 s[28:29], s[6:7]
	s_cbranch_execz .LBB382_917
; %bb.914:                              ;   in Loop: Header=BB382_651 Depth=1
	v_and_b32_e32 v8, 0x7f, v6
	v_cmp_ne_u32_e64 s[6:7], s37, v8
	v_mov_b32_e32 v5, 0x7f800001
	s_and_saveexec_b64 s[30:31], s[6:7]
	s_cbranch_execz .LBB382_916
; %bb.915:                              ;   in Loop: Header=BB382_651 Depth=1
	v_and_b32_e32 v0, 7, v6
	v_ffbh_u32_e32 v0, v0
	v_min_u32_e32 v0, 32, v0
	v_lshrrev_b32_e32 v1, 3, v8
	v_subrev_u32_e32 v5, 28, v0
	v_sub_u32_e32 v0, 29, v0
	v_cmp_gt_u32_e64 s[6:7], 8, v8
	v_cndmask_b32_e64 v0, v1, v0, s[6:7]
	v_cndmask_b32_e64 v1, 0, v5, s[6:7]
	v_lshlrev_b64 v[10:11], v1, v[6:7]
	v_lshlrev_b32_e32 v1, 20, v10
	v_lshlrev_b32_e32 v5, 24, v6
	v_bfrev_b32_e32 v8, 60
	v_and_b32_e32 v1, 0x700000, v1
	v_and_b32_e32 v5, 0x80000000, v5
	v_lshl_add_u32 v0, v0, 23, v8
	v_or3_b32 v5, v5, v0, v1
.LBB382_916:                            ;   in Loop: Header=BB382_651 Depth=1
	s_or_b64 exec, exec, s[30:31]
.LBB382_917:                            ;   in Loop: Header=BB382_651 Depth=1
	s_or_b64 exec, exec, s[28:29]
.LBB382_918:                            ;   in Loop: Header=BB382_651 Depth=1
	s_or_b64 exec, exec, s[26:27]
	v_mul_f32_e32 v5, v9, v5
	v_and_b32_e32 v0, 0x7f800000, v5
	v_cmp_ne_u32_e64 s[6:7], s9, v0
                                        ; implicit-def: $vgpr10
	s_and_saveexec_b64 s[26:27], s[6:7]
	s_xor_b64 s[6:7], exec, s[26:27]
; %bb.919:                              ;   in Loop: Header=BB382_651 Depth=1
	v_bfe_u32 v0, v5, 16, 1
	v_add3_u32 v10, v5, v0, s15
                                        ; implicit-def: $vgpr5
; %bb.920:                              ;   in Loop: Header=BB382_651 Depth=1
	s_andn2_saveexec_b64 s[26:27], s[6:7]
; %bb.921:                              ;   in Loop: Header=BB382_651 Depth=1
	v_or_b32_e32 v0, 0x10000, v5
	v_cmp_eq_u32_sdwa s[6:7], v5, v33 src0_sel:WORD_0 src1_sel:DWORD
	v_cndmask_b32_e64 v10, v0, v5, s[6:7]
; %bb.922:                              ;   in Loop: Header=BB382_651 Depth=1
	s_or_b64 exec, exec, s[26:27]
	v_lshrrev_b16_e32 v8, 8, v6
	v_cmp_ne_u16_e64 s[6:7], 0, v8
	v_mov_b32_e32 v5, 0
	s_and_saveexec_b64 s[26:27], s[6:7]
	s_cbranch_execz .LBB382_928
; %bb.923:                              ;   in Loop: Header=BB382_651 Depth=1
	v_cmp_ne_u16_e64 s[6:7], s36, v8
	v_bfrev_b32_e32 v5, 1
	s_and_saveexec_b64 s[28:29], s[6:7]
	s_cbranch_execz .LBB382_927
; %bb.924:                              ;   in Loop: Header=BB382_651 Depth=1
	v_and_b32_e32 v11, 0x7f, v8
	v_cmp_ne_u32_e64 s[6:7], s37, v11
	v_mov_b32_e32 v5, 0x7f800001
	s_and_saveexec_b64 s[30:31], s[6:7]
	s_cbranch_execz .LBB382_926
; %bb.925:                              ;   in Loop: Header=BB382_651 Depth=1
	v_and_b32_e32 v0, 7, v8
	v_ffbh_u32_e32 v5, v0
	v_min_u32_e32 v5, 32, v5
	v_subrev_u32_e32 v12, 28, v5
	v_lshlrev_b64 v[12:13], v12, v[8:9]
	v_lshrrev_b32_e32 v1, 3, v11
	v_sub_u32_e32 v5, 29, v5
	v_and_b32_e32 v8, 7, v12
	v_cmp_gt_u32_e64 s[6:7], 8, v11
	v_cndmask_b32_e64 v1, v1, v5, s[6:7]
	v_cndmask_b32_e64 v0, v0, v8, s[6:7]
	v_lshlrev_b32_e32 v5, 16, v6
	v_bfrev_b32_e32 v8, 60
	v_lshlrev_b32_e32 v0, 20, v0
	v_and_b32_e32 v5, 0x80000000, v5
	v_lshl_add_u32 v1, v1, 23, v8
	v_or3_b32 v5, v5, v1, v0
.LBB382_926:                            ;   in Loop: Header=BB382_651 Depth=1
	s_or_b64 exec, exec, s[30:31]
.LBB382_927:                            ;   in Loop: Header=BB382_651 Depth=1
	s_or_b64 exec, exec, s[28:29]
.LBB382_928:                            ;   in Loop: Header=BB382_651 Depth=1
	s_or_b64 exec, exec, s[26:27]
	v_mul_f32_e32 v8, v9, v5
	v_and_b32_e32 v0, 0x7f800000, v8
	v_cmp_ne_u32_e64 s[6:7], s9, v0
                                        ; implicit-def: $vgpr5
	s_and_saveexec_b64 s[26:27], s[6:7]
	s_xor_b64 s[6:7], exec, s[26:27]
; %bb.929:                              ;   in Loop: Header=BB382_651 Depth=1
	v_bfe_u32 v0, v8, 16, 1
	v_add3_u32 v5, v8, v0, s15
                                        ; implicit-def: $vgpr8
; %bb.930:                              ;   in Loop: Header=BB382_651 Depth=1
	s_andn2_saveexec_b64 s[26:27], s[6:7]
; %bb.931:                              ;   in Loop: Header=BB382_651 Depth=1
	v_or_b32_e32 v0, 0x10000, v8
	v_cmp_eq_u32_sdwa s[6:7], v8, v33 src0_sel:WORD_0 src1_sel:DWORD
	v_cndmask_b32_e64 v5, v0, v8, s[6:7]
; %bb.932:                              ;   in Loop: Header=BB382_651 Depth=1
	s_or_b64 exec, exec, s[26:27]
	v_lshrrev_b32_e32 v8, 16, v6
	v_cmp_ne_u16_sdwa s[6:7], v8, v33 src0_sel:BYTE_0 src1_sel:DWORD
	v_mov_b32_e32 v11, 0
	s_and_saveexec_b64 s[26:27], s[6:7]
	s_cbranch_execz .LBB382_938
; %bb.933:                              ;   in Loop: Header=BB382_651 Depth=1
	v_cmp_ne_u16_sdwa s[6:7], v8, s36 src0_sel:BYTE_0 src1_sel:DWORD
	v_bfrev_b32_e32 v11, 1
	s_and_saveexec_b64 s[28:29], s[6:7]
	s_cbranch_execz .LBB382_937
; %bb.934:                              ;   in Loop: Header=BB382_651 Depth=1
	v_bfe_u32 v12, v6, 16, 7
	v_cmp_ne_u32_e64 s[6:7], s37, v12
	v_mov_b32_e32 v11, 0x7f800001
	s_and_saveexec_b64 s[30:31], s[6:7]
	s_cbranch_execz .LBB382_936
; %bb.935:                              ;   in Loop: Header=BB382_651 Depth=1
	v_and_b32_e32 v0, 7, v8
	v_ffbh_u32_e32 v11, v0
	v_min_u32_e32 v11, 32, v11
	v_subrev_u32_e32 v13, 28, v11
	v_lshlrev_b64 v[20:21], v13, v[8:9]
	v_lshrrev_b32_e32 v1, 3, v12
	v_sub_u32_e32 v11, 29, v11
	v_and_b32_e32 v13, 7, v20
	v_cmp_gt_u32_e64 s[6:7], 8, v12
	v_cndmask_b32_e64 v1, v1, v11, s[6:7]
	v_cndmask_b32_e64 v0, v0, v13, s[6:7]
	v_lshlrev_b32_e32 v8, 24, v8
	v_bfrev_b32_e32 v11, 60
	v_lshlrev_b32_e32 v0, 20, v0
	v_and_b32_e32 v8, 0x80000000, v8
	v_lshl_add_u32 v1, v1, 23, v11
	v_or3_b32 v11, v8, v1, v0
.LBB382_936:                            ;   in Loop: Header=BB382_651 Depth=1
	s_or_b64 exec, exec, s[30:31]
.LBB382_937:                            ;   in Loop: Header=BB382_651 Depth=1
	s_or_b64 exec, exec, s[28:29]
.LBB382_938:                            ;   in Loop: Header=BB382_651 Depth=1
	s_or_b64 exec, exec, s[26:27]
	v_mul_f32_e32 v8, v9, v11
	v_and_b32_e32 v0, 0x7f800000, v8
	v_cmp_ne_u32_e64 s[6:7], s9, v0
                                        ; implicit-def: $vgpr11
	s_and_saveexec_b64 s[26:27], s[6:7]
	s_xor_b64 s[6:7], exec, s[26:27]
; %bb.939:                              ;   in Loop: Header=BB382_651 Depth=1
	v_bfe_u32 v0, v8, 16, 1
	v_add3_u32 v11, v8, v0, s15
                                        ; implicit-def: $vgpr8
; %bb.940:                              ;   in Loop: Header=BB382_651 Depth=1
	s_andn2_saveexec_b64 s[26:27], s[6:7]
; %bb.941:                              ;   in Loop: Header=BB382_651 Depth=1
	v_or_b32_e32 v0, 0x10000, v8
	v_cmp_eq_u32_sdwa s[6:7], v8, v33 src0_sel:WORD_0 src1_sel:DWORD
	v_cndmask_b32_e64 v11, v0, v8, s[6:7]
; %bb.942:                              ;   in Loop: Header=BB382_651 Depth=1
	s_or_b64 exec, exec, s[26:27]
	v_cmp_lt_u32_e64 s[6:7], s21, v6
	v_mov_b32_e32 v12, 0
	s_and_saveexec_b64 s[26:27], s[6:7]
	s_cbranch_execz .LBB382_948
; %bb.943:                              ;   in Loop: Header=BB382_651 Depth=1
	v_lshrrev_b32_e32 v8, 24, v6
	v_cmp_ne_u32_e64 s[6:7], s36, v8
	v_bfrev_b32_e32 v12, 1
	s_and_saveexec_b64 s[28:29], s[6:7]
	s_cbranch_execz .LBB382_947
; %bb.944:                              ;   in Loop: Header=BB382_651 Depth=1
	v_bfe_u32 v13, v6, 24, 7
	v_cmp_ne_u32_e64 s[6:7], s37, v13
	v_mov_b32_e32 v12, 0x7f800001
	s_and_saveexec_b64 s[30:31], s[6:7]
	s_cbranch_execz .LBB382_946
; %bb.945:                              ;   in Loop: Header=BB382_651 Depth=1
	v_and_b32_e32 v0, 7, v8
	v_ffbh_u32_e32 v12, v0
	v_min_u32_e32 v12, 32, v12
	v_subrev_u32_e32 v16, 28, v12
	v_lshlrev_b64 v[20:21], v16, v[8:9]
	v_lshrrev_b32_e32 v1, 3, v13
	v_sub_u32_e32 v12, 29, v12
	v_and_b32_e32 v16, 7, v20
	v_cmp_gt_u32_e64 s[6:7], 8, v13
	v_cndmask_b32_e64 v1, v1, v12, s[6:7]
	v_cndmask_b32_e64 v0, v0, v16, s[6:7]
	v_lshlrev_b32_e32 v8, 24, v8
	v_bfrev_b32_e32 v12, 60
	v_lshlrev_b32_e32 v0, 20, v0
	v_and_b32_e32 v8, 0x80000000, v8
	v_lshl_add_u32 v1, v1, 23, v12
	v_or3_b32 v12, v8, v1, v0
.LBB382_946:                            ;   in Loop: Header=BB382_651 Depth=1
	s_or_b64 exec, exec, s[30:31]
.LBB382_947:                            ;   in Loop: Header=BB382_651 Depth=1
	s_or_b64 exec, exec, s[28:29]
.LBB382_948:                            ;   in Loop: Header=BB382_651 Depth=1
	s_or_b64 exec, exec, s[26:27]
	v_mul_f32_e32 v8, v9, v12
	v_and_b32_e32 v0, 0x7f800000, v8
	v_cmp_ne_u32_e64 s[6:7], s9, v0
                                        ; implicit-def: $vgpr12
	s_and_saveexec_b64 s[26:27], s[6:7]
	s_xor_b64 s[6:7], exec, s[26:27]
; %bb.949:                              ;   in Loop: Header=BB382_651 Depth=1
	v_bfe_u32 v0, v8, 16, 1
	v_add3_u32 v12, v8, v0, s15
                                        ; implicit-def: $vgpr8
; %bb.950:                              ;   in Loop: Header=BB382_651 Depth=1
	s_andn2_saveexec_b64 s[26:27], s[6:7]
; %bb.951:                              ;   in Loop: Header=BB382_651 Depth=1
	v_or_b32_e32 v0, 0x10000, v8
	v_cmp_eq_u32_sdwa s[6:7], v8, v33 src0_sel:WORD_0 src1_sel:DWORD
	v_cndmask_b32_e64 v12, v0, v8, s[6:7]
; %bb.952:                              ;   in Loop: Header=BB382_651 Depth=1
	s_or_b64 exec, exec, s[26:27]
	v_mov_b32_e32 v32, v7
	v_cmp_ne_u16_sdwa s[6:7], v7, v33 src0_sel:BYTE_0 src1_sel:DWORD
	v_mov_b32_e32 v8, 0
	s_and_saveexec_b64 s[26:27], s[6:7]
	s_cbranch_execz .LBB382_958
; %bb.953:                              ;   in Loop: Header=BB382_651 Depth=1
	v_cmp_ne_u16_sdwa s[6:7], v7, s36 src0_sel:BYTE_0 src1_sel:DWORD
	v_bfrev_b32_e32 v8, 1
	s_and_saveexec_b64 s[28:29], s[6:7]
	s_cbranch_execz .LBB382_957
; %bb.954:                              ;   in Loop: Header=BB382_651 Depth=1
	v_and_b32_e32 v13, 0x7f, v7
	v_cmp_ne_u32_e64 s[6:7], s37, v13
	v_mov_b32_e32 v8, 0x7f800001
	s_and_saveexec_b64 s[30:31], s[6:7]
	s_cbranch_execz .LBB382_956
; %bb.955:                              ;   in Loop: Header=BB382_651 Depth=1
	v_and_b32_e32 v0, 7, v7
	v_ffbh_u32_e32 v0, v0
	v_min_u32_e32 v0, 32, v0
	v_lshrrev_b32_e32 v1, 3, v13
	v_subrev_u32_e32 v8, 28, v0
	v_sub_u32_e32 v0, 29, v0
	v_cmp_gt_u32_e64 s[6:7], 8, v13
	v_cndmask_b32_e64 v0, v1, v0, s[6:7]
	v_cndmask_b32_e64 v1, 0, v8, s[6:7]
	v_lshlrev_b64 v[20:21], v1, v[32:33]
	v_lshlrev_b32_e32 v1, 20, v20
	v_lshlrev_b32_e32 v8, 24, v32
	v_bfrev_b32_e32 v13, 60
	v_and_b32_e32 v1, 0x700000, v1
	v_and_b32_e32 v8, 0x80000000, v8
	v_lshl_add_u32 v0, v0, 23, v13
	v_or3_b32 v8, v8, v0, v1
.LBB382_956:                            ;   in Loop: Header=BB382_651 Depth=1
	s_or_b64 exec, exec, s[30:31]
.LBB382_957:                            ;   in Loop: Header=BB382_651 Depth=1
	s_or_b64 exec, exec, s[28:29]
.LBB382_958:                            ;   in Loop: Header=BB382_651 Depth=1
	s_or_b64 exec, exec, s[26:27]
	v_mul_f32_e32 v8, v9, v8
	v_and_b32_e32 v0, 0x7f800000, v8
	v_cmp_ne_u32_e64 s[6:7], s9, v0
                                        ; implicit-def: $vgpr13
	s_and_saveexec_b64 s[26:27], s[6:7]
	s_xor_b64 s[6:7], exec, s[26:27]
; %bb.959:                              ;   in Loop: Header=BB382_651 Depth=1
	v_bfe_u32 v0, v8, 16, 1
	v_add3_u32 v13, v8, v0, s15
                                        ; implicit-def: $vgpr8
; %bb.960:                              ;   in Loop: Header=BB382_651 Depth=1
	s_andn2_saveexec_b64 s[26:27], s[6:7]
; %bb.961:                              ;   in Loop: Header=BB382_651 Depth=1
	v_or_b32_e32 v0, 0x10000, v8
	v_cmp_eq_u32_sdwa s[6:7], v8, v33 src0_sel:WORD_0 src1_sel:DWORD
	v_cndmask_b32_e64 v13, v0, v8, s[6:7]
; %bb.962:                              ;   in Loop: Header=BB382_651 Depth=1
	s_or_b64 exec, exec, s[26:27]
	v_lshrrev_b16_e32 v8, 8, v32
	v_cmp_ne_u16_e64 s[6:7], 0, v8
	v_mov_b32_e32 v20, 0
	s_and_saveexec_b64 s[26:27], s[6:7]
	s_cbranch_execz .LBB382_968
; %bb.963:                              ;   in Loop: Header=BB382_651 Depth=1
	v_cmp_ne_u16_e64 s[6:7], s36, v8
	v_bfrev_b32_e32 v20, 1
	s_and_saveexec_b64 s[28:29], s[6:7]
	s_cbranch_execz .LBB382_967
; %bb.964:                              ;   in Loop: Header=BB382_651 Depth=1
	v_and_b32_e32 v21, 0x7f, v8
	v_cmp_ne_u32_e64 s[6:7], s37, v21
	v_mov_b32_e32 v20, 0x7f800001
	s_and_saveexec_b64 s[30:31], s[6:7]
	s_cbranch_execz .LBB382_966
; %bb.965:                              ;   in Loop: Header=BB382_651 Depth=1
	v_and_b32_e32 v0, 7, v8
	v_ffbh_u32_e32 v16, v0
	v_min_u32_e32 v16, 32, v16
	v_subrev_u32_e32 v17, 28, v16
	v_lshlrev_b64 v[26:27], v17, v[8:9]
	v_lshrrev_b32_e32 v1, 3, v21
	v_sub_u32_e32 v8, 29, v16
	v_and_b32_e32 v16, 7, v26
	v_cmp_gt_u32_e64 s[6:7], 8, v21
	v_cndmask_b32_e64 v1, v1, v8, s[6:7]
	v_cndmask_b32_e64 v0, v0, v16, s[6:7]
	v_lshlrev_b32_e32 v8, 16, v32
	v_bfrev_b32_e32 v16, 60
	v_lshlrev_b32_e32 v0, 20, v0
	v_and_b32_e32 v8, 0x80000000, v8
	v_lshl_add_u32 v1, v1, 23, v16
	v_or3_b32 v20, v8, v1, v0
.LBB382_966:                            ;   in Loop: Header=BB382_651 Depth=1
	s_or_b64 exec, exec, s[30:31]
.LBB382_967:                            ;   in Loop: Header=BB382_651 Depth=1
	s_or_b64 exec, exec, s[28:29]
.LBB382_968:                            ;   in Loop: Header=BB382_651 Depth=1
	s_or_b64 exec, exec, s[26:27]
	v_mul_f32_e32 v8, v9, v20
	v_and_b32_e32 v0, 0x7f800000, v8
	v_cmp_ne_u32_e64 s[6:7], s9, v0
                                        ; implicit-def: $vgpr20
	s_and_saveexec_b64 s[26:27], s[6:7]
	s_xor_b64 s[6:7], exec, s[26:27]
; %bb.969:                              ;   in Loop: Header=BB382_651 Depth=1
	v_bfe_u32 v0, v8, 16, 1
	v_add3_u32 v20, v8, v0, s15
                                        ; implicit-def: $vgpr8
; %bb.970:                              ;   in Loop: Header=BB382_651 Depth=1
	s_andn2_saveexec_b64 s[26:27], s[6:7]
; %bb.971:                              ;   in Loop: Header=BB382_651 Depth=1
	v_or_b32_e32 v0, 0x10000, v8
	v_cmp_eq_u32_sdwa s[6:7], v8, v33 src0_sel:WORD_0 src1_sel:DWORD
	v_cndmask_b32_e64 v20, v0, v8, s[6:7]
; %bb.972:                              ;   in Loop: Header=BB382_651 Depth=1
	s_or_b64 exec, exec, s[26:27]
	v_lshrrev_b32_e32 v8, 16, v7
	v_cmp_ne_u16_sdwa s[6:7], v8, v33 src0_sel:BYTE_0 src1_sel:DWORD
	v_mov_b32_e32 v21, 0
	s_and_saveexec_b64 s[26:27], s[6:7]
	s_cbranch_execz .LBB382_978
; %bb.973:                              ;   in Loop: Header=BB382_651 Depth=1
	v_cmp_ne_u16_sdwa s[6:7], v8, s36 src0_sel:BYTE_0 src1_sel:DWORD
	v_bfrev_b32_e32 v21, 1
	s_and_saveexec_b64 s[28:29], s[6:7]
	s_cbranch_execz .LBB382_977
; %bb.974:                              ;   in Loop: Header=BB382_651 Depth=1
	v_bfe_u32 v22, v7, 16, 7
	v_cmp_ne_u32_e64 s[6:7], s37, v22
	v_mov_b32_e32 v21, 0x7f800001
	s_and_saveexec_b64 s[30:31], s[6:7]
	s_cbranch_execz .LBB382_976
; %bb.975:                              ;   in Loop: Header=BB382_651 Depth=1
	v_and_b32_e32 v0, 7, v8
	v_ffbh_u32_e32 v16, v0
	v_min_u32_e32 v16, 32, v16
	v_subrev_u32_e32 v17, 28, v16
	v_lshlrev_b64 v[26:27], v17, v[8:9]
	v_lshrrev_b32_e32 v1, 3, v22
	v_sub_u32_e32 v16, 29, v16
	v_and_b32_e32 v17, 7, v26
	v_cmp_gt_u32_e64 s[6:7], 8, v22
	v_cndmask_b32_e64 v1, v1, v16, s[6:7]
	v_cndmask_b32_e64 v0, v0, v17, s[6:7]
	v_lshlrev_b32_e32 v8, 24, v8
	v_bfrev_b32_e32 v16, 60
	v_lshlrev_b32_e32 v0, 20, v0
	v_and_b32_e32 v8, 0x80000000, v8
	v_lshl_add_u32 v1, v1, 23, v16
	v_or3_b32 v21, v8, v1, v0
.LBB382_976:                            ;   in Loop: Header=BB382_651 Depth=1
	s_or_b64 exec, exec, s[30:31]
.LBB382_977:                            ;   in Loop: Header=BB382_651 Depth=1
	s_or_b64 exec, exec, s[28:29]
.LBB382_978:                            ;   in Loop: Header=BB382_651 Depth=1
	s_or_b64 exec, exec, s[26:27]
	v_mul_f32_e32 v8, v9, v21
	v_and_b32_e32 v0, 0x7f800000, v8
	v_cmp_ne_u32_e64 s[6:7], s9, v0
                                        ; implicit-def: $vgpr21
	s_and_saveexec_b64 s[26:27], s[6:7]
	s_xor_b64 s[6:7], exec, s[26:27]
; %bb.979:                              ;   in Loop: Header=BB382_651 Depth=1
	v_bfe_u32 v0, v8, 16, 1
	v_add3_u32 v21, v8, v0, s15
                                        ; implicit-def: $vgpr8
; %bb.980:                              ;   in Loop: Header=BB382_651 Depth=1
	s_andn2_saveexec_b64 s[26:27], s[6:7]
; %bb.981:                              ;   in Loop: Header=BB382_651 Depth=1
	v_or_b32_e32 v0, 0x10000, v8
	v_cmp_eq_u32_sdwa s[6:7], v8, v33 src0_sel:WORD_0 src1_sel:DWORD
	v_cndmask_b32_e64 v21, v0, v8, s[6:7]
; %bb.982:                              ;   in Loop: Header=BB382_651 Depth=1
	s_or_b64 exec, exec, s[26:27]
	v_cmp_lt_u64_e64 s[6:7], s[20:21], v[6:7]
	v_mov_b32_e32 v8, 0
	s_and_saveexec_b64 s[26:27], s[6:7]
	s_cbranch_execz .LBB382_988
; %bb.983:                              ;   in Loop: Header=BB382_651 Depth=1
	v_lshrrev_b32_e32 v6, 24, v7
	v_cmp_ne_u32_e64 s[6:7], s36, v6
	v_bfrev_b32_e32 v8, 1
	s_and_saveexec_b64 s[28:29], s[6:7]
	s_cbranch_execz .LBB382_987
; %bb.984:                              ;   in Loop: Header=BB382_651 Depth=1
	v_bfe_u32 v7, v7, 24, 7
	v_cmp_ne_u32_e64 s[6:7], s37, v7
	v_mov_b32_e32 v8, 0x7f800001
	s_and_saveexec_b64 s[30:31], s[6:7]
	s_cbranch_execz .LBB382_986
; %bb.985:                              ;   in Loop: Header=BB382_651 Depth=1
	v_and_b32_e32 v0, 7, v6
	v_ffbh_u32_e32 v8, v0
	v_min_u32_e32 v8, 32, v8
	v_subrev_u32_e32 v16, 28, v8
	v_lshlrev_b64 v[26:27], v16, v[6:7]
	v_lshrrev_b32_e32 v1, 3, v7
	v_sub_u32_e32 v8, 29, v8
	v_and_b32_e32 v16, 7, v26
	v_cmp_gt_u32_e64 s[6:7], 8, v7
	v_cndmask_b32_e64 v1, v1, v8, s[6:7]
	v_cndmask_b32_e64 v0, v0, v16, s[6:7]
	v_lshlrev_b32_e32 v6, 24, v6
	v_bfrev_b32_e32 v7, 60
	v_lshlrev_b32_e32 v0, 20, v0
	v_and_b32_e32 v6, 0x80000000, v6
	v_lshl_add_u32 v1, v1, 23, v7
	v_or3_b32 v8, v6, v1, v0
.LBB382_986:                            ;   in Loop: Header=BB382_651 Depth=1
	s_or_b64 exec, exec, s[30:31]
.LBB382_987:                            ;   in Loop: Header=BB382_651 Depth=1
	s_or_b64 exec, exec, s[28:29]
.LBB382_988:                            ;   in Loop: Header=BB382_651 Depth=1
	s_or_b64 exec, exec, s[26:27]
	v_mul_f32_e32 v6, v9, v8
	v_and_b32_e32 v0, 0x7f800000, v6
	v_cmp_ne_u32_e64 s[6:7], s9, v0
                                        ; implicit-def: $vgpr22
	s_and_saveexec_b64 s[26:27], s[6:7]
	s_xor_b64 s[6:7], exec, s[26:27]
; %bb.989:                              ;   in Loop: Header=BB382_651 Depth=1
	v_bfe_u32 v0, v6, 16, 1
	v_add3_u32 v22, v6, v0, s15
                                        ; implicit-def: $vgpr6
; %bb.990:                              ;   in Loop: Header=BB382_651 Depth=1
	s_andn2_saveexec_b64 s[26:27], s[6:7]
; %bb.991:                              ;   in Loop: Header=BB382_651 Depth=1
	v_or_b32_e32 v0, 0x10000, v6
	v_cmp_eq_u32_sdwa s[6:7], v6, v33 src0_sel:WORD_0 src1_sel:DWORD
	v_cndmask_b32_e64 v22, v0, v6, s[6:7]
; %bb.992:                              ;   in Loop: Header=BB382_651 Depth=1
	s_or_b64 exec, exec, s[26:27]
	v_lshrrev_b32_e32 v7, 16, v20
	v_lshrrev_b32_e32 v8, 16, v13
	;; [unrolled: 1-line block ×8, first 2 shown]
	s_and_saveexec_b64 s[26:27], s[4:5]
	s_cbranch_execz .LBB382_994
; %bb.993:                              ;   in Loop: Header=BB382_651 Depth=1
	v_accvgpr_read_b32 v1, a3
	v_cmp_lt_i32_e64 s[6:7], v43, v1
	v_add_u32_e32 v0, 1, v43
	v_cndmask_b32_e64 v10, 0, v10, s[6:7]
	v_cmp_lt_i32_e64 s[6:7], v0, v1
	v_add_u32_e32 v0, 2, v43
	v_cndmask_b32_e64 v12, 0, v12, s[6:7]
	v_cmp_lt_i32_e64 s[6:7], v0, v1
	v_add_u32_e32 v0, 3, v43
	v_cndmask_b32_e64 v11, 0, v11, s[6:7]
	v_cmp_lt_i32_e64 s[6:7], v0, v1
	v_add_u32_e32 v0, 4, v43
	v_cndmask_b32_e64 v9, 0, v9, s[6:7]
	v_cmp_lt_i32_e64 s[6:7], v0, v1
	v_add_u32_e32 v0, 5, v43
	v_cndmask_b32_e64 v8, 0, v8, s[6:7]
	v_cmp_lt_i32_e64 s[6:7], v0, v1
	v_add_u32_e32 v0, 6, v43
	v_cndmask_b32_e64 v7, 0, v7, s[6:7]
	v_cmp_lt_i32_e64 s[6:7], v0, v1
	v_add_u32_e32 v0, 7, v43
	v_cndmask_b32_e64 v6, 0, v6, s[6:7]
	v_cmp_lt_i32_e64 s[6:7], v0, v1
	v_cndmask_b32_e64 v5, 0, v5, s[6:7]
.LBB382_994:                            ;   in Loop: Header=BB382_651 Depth=1
	s_or_b64 exec, exec, s[26:27]
	v_lshlrev_b32_e32 v0, 16, v10
	v_mul_f32_e32 v10, v44, v0
	v_and_b32_e32 v0, 0x7f800000, v10
	v_cmp_ne_u32_e64 s[6:7], s9, v0
                                        ; implicit-def: $agpr47
	s_and_saveexec_b64 s[26:27], s[6:7]
	s_xor_b64 s[6:7], exec, s[26:27]
; %bb.995:                              ;   in Loop: Header=BB382_651 Depth=1
	v_bfe_u32 v0, v10, 16, 1
	v_add3_u32 v0, v10, v0, s15
	v_accvgpr_write_b32 a47, v0
                                        ; implicit-def: $vgpr10
; %bb.996:                              ;   in Loop: Header=BB382_651 Depth=1
	s_andn2_saveexec_b64 s[26:27], s[6:7]
; %bb.997:                              ;   in Loop: Header=BB382_651 Depth=1
	v_or_b32_e32 v0, 0x10000, v10
	v_cmp_eq_u32_sdwa s[6:7], v10, v33 src0_sel:WORD_0 src1_sel:DWORD
	v_cndmask_b32_e64 v0, v0, v10, s[6:7]
	v_accvgpr_write_b32 a47, v0
; %bb.998:                              ;   in Loop: Header=BB382_651 Depth=1
	s_or_b64 exec, exec, s[26:27]
	v_lshlrev_b32_e32 v0, 16, v12
	v_mul_f32_e32 v10, v46, v0
	v_and_b32_e32 v0, 0x7f800000, v10
	v_cmp_ne_u32_e64 s[6:7], s9, v0
                                        ; implicit-def: $agpr48
	s_and_saveexec_b64 s[26:27], s[6:7]
	s_xor_b64 s[6:7], exec, s[26:27]
; %bb.999:                              ;   in Loop: Header=BB382_651 Depth=1
	v_bfe_u32 v0, v10, 16, 1
	v_add3_u32 v0, v10, v0, s15
	v_accvgpr_write_b32 a48, v0
                                        ; implicit-def: $vgpr10
; %bb.1000:                             ;   in Loop: Header=BB382_651 Depth=1
	s_andn2_saveexec_b64 s[26:27], s[6:7]
; %bb.1001:                             ;   in Loop: Header=BB382_651 Depth=1
	v_or_b32_e32 v0, 0x10000, v10
	v_cmp_eq_u32_sdwa s[6:7], v10, v33 src0_sel:WORD_0 src1_sel:DWORD
	v_cndmask_b32_e64 v0, v0, v10, s[6:7]
	v_accvgpr_write_b32 a48, v0
; %bb.1002:                             ;   in Loop: Header=BB382_651 Depth=1
	s_or_b64 exec, exec, s[26:27]
	v_lshlrev_b32_e32 v0, 16, v11
	v_mul_f32_e32 v10, v47, v0
	v_and_b32_e32 v0, 0x7f800000, v10
	v_cmp_ne_u32_e64 s[6:7], s9, v0
                                        ; implicit-def: $agpr49
	s_and_saveexec_b64 s[26:27], s[6:7]
	s_xor_b64 s[6:7], exec, s[26:27]
; %bb.1003:                             ;   in Loop: Header=BB382_651 Depth=1
	v_bfe_u32 v0, v10, 16, 1
	v_add3_u32 v0, v10, v0, s15
	v_accvgpr_write_b32 a49, v0
                                        ; implicit-def: $vgpr10
; %bb.1004:                             ;   in Loop: Header=BB382_651 Depth=1
	s_andn2_saveexec_b64 s[26:27], s[6:7]
; %bb.1005:                             ;   in Loop: Header=BB382_651 Depth=1
	v_or_b32_e32 v0, 0x10000, v10
	v_cmp_eq_u32_sdwa s[6:7], v10, v33 src0_sel:WORD_0 src1_sel:DWORD
	v_cndmask_b32_e64 v0, v0, v10, s[6:7]
	v_accvgpr_write_b32 a49, v0
; %bb.1006:                             ;   in Loop: Header=BB382_651 Depth=1
	s_or_b64 exec, exec, s[26:27]
	v_lshlrev_b32_e32 v0, 16, v9
	v_mul_f32_e32 v9, v56, v0
	v_and_b32_e32 v0, 0x7f800000, v9
	v_cmp_ne_u32_e64 s[6:7], s9, v0
                                        ; implicit-def: $agpr50
	s_and_saveexec_b64 s[26:27], s[6:7]
	s_xor_b64 s[6:7], exec, s[26:27]
; %bb.1007:                             ;   in Loop: Header=BB382_651 Depth=1
	v_bfe_u32 v0, v9, 16, 1
	v_add3_u32 v0, v9, v0, s15
	v_accvgpr_write_b32 a50, v0
                                        ; implicit-def: $vgpr9
; %bb.1008:                             ;   in Loop: Header=BB382_651 Depth=1
	s_andn2_saveexec_b64 s[26:27], s[6:7]
; %bb.1009:                             ;   in Loop: Header=BB382_651 Depth=1
	v_or_b32_e32 v0, 0x10000, v9
	v_cmp_eq_u32_sdwa s[6:7], v9, v33 src0_sel:WORD_0 src1_sel:DWORD
	v_cndmask_b32_e64 v0, v0, v9, s[6:7]
	v_accvgpr_write_b32 a50, v0
; %bb.1010:                             ;   in Loop: Header=BB382_651 Depth=1
	s_or_b64 exec, exec, s[26:27]
	v_lshlrev_b32_e32 v0, 16, v8
	v_mul_f32_e32 v8, v57, v0
	v_and_b32_e32 v0, 0x7f800000, v8
	v_cmp_ne_u32_e64 s[6:7], s9, v0
                                        ; implicit-def: $agpr51
	s_and_saveexec_b64 s[26:27], s[6:7]
	s_xor_b64 s[6:7], exec, s[26:27]
; %bb.1011:                             ;   in Loop: Header=BB382_651 Depth=1
	v_bfe_u32 v0, v8, 16, 1
	v_add3_u32 v0, v8, v0, s15
	v_accvgpr_write_b32 a51, v0
                                        ; implicit-def: $vgpr8
; %bb.1012:                             ;   in Loop: Header=BB382_651 Depth=1
	s_andn2_saveexec_b64 s[26:27], s[6:7]
; %bb.1013:                             ;   in Loop: Header=BB382_651 Depth=1
	v_or_b32_e32 v0, 0x10000, v8
	v_cmp_eq_u32_sdwa s[6:7], v8, v33 src0_sel:WORD_0 src1_sel:DWORD
	v_cndmask_b32_e64 v0, v0, v8, s[6:7]
	v_accvgpr_write_b32 a51, v0
; %bb.1014:                             ;   in Loop: Header=BB382_651 Depth=1
	s_or_b64 exec, exec, s[26:27]
	v_lshlrev_b32_e32 v0, 16, v7
	v_mul_f32_e32 v7, v58, v0
	v_and_b32_e32 v0, 0x7f800000, v7
	v_cmp_ne_u32_e64 s[6:7], s9, v0
                                        ; implicit-def: $agpr52
	s_and_saveexec_b64 s[26:27], s[6:7]
	s_xor_b64 s[6:7], exec, s[26:27]
; %bb.1015:                             ;   in Loop: Header=BB382_651 Depth=1
	v_bfe_u32 v0, v7, 16, 1
	v_add3_u32 v0, v7, v0, s15
	v_accvgpr_write_b32 a52, v0
                                        ; implicit-def: $vgpr7
; %bb.1016:                             ;   in Loop: Header=BB382_651 Depth=1
	s_andn2_saveexec_b64 s[26:27], s[6:7]
; %bb.1017:                             ;   in Loop: Header=BB382_651 Depth=1
	v_or_b32_e32 v0, 0x10000, v7
	v_cmp_eq_u32_sdwa s[6:7], v7, v33 src0_sel:WORD_0 src1_sel:DWORD
	v_cndmask_b32_e64 v0, v0, v7, s[6:7]
	v_accvgpr_write_b32 a52, v0
; %bb.1018:                             ;   in Loop: Header=BB382_651 Depth=1
	s_or_b64 exec, exec, s[26:27]
	v_lshlrev_b32_e32 v0, 16, v6
	v_mul_f32_e32 v6, v60, v0
	v_and_b32_e32 v0, 0x7f800000, v6
	v_cmp_ne_u32_e64 s[6:7], s9, v0
                                        ; implicit-def: $agpr53
	s_and_saveexec_b64 s[26:27], s[6:7]
	s_xor_b64 s[6:7], exec, s[26:27]
; %bb.1019:                             ;   in Loop: Header=BB382_651 Depth=1
	v_bfe_u32 v0, v6, 16, 1
	v_add3_u32 v0, v6, v0, s15
	v_accvgpr_write_b32 a53, v0
                                        ; implicit-def: $vgpr6
; %bb.1020:                             ;   in Loop: Header=BB382_651 Depth=1
	s_andn2_saveexec_b64 s[26:27], s[6:7]
; %bb.1021:                             ;   in Loop: Header=BB382_651 Depth=1
	v_or_b32_e32 v0, 0x10000, v6
	v_cmp_eq_u32_sdwa s[6:7], v6, v33 src0_sel:WORD_0 src1_sel:DWORD
	v_cndmask_b32_e64 v0, v0, v6, s[6:7]
	v_accvgpr_write_b32 a53, v0
; %bb.1022:                             ;   in Loop: Header=BB382_651 Depth=1
	s_or_b64 exec, exec, s[26:27]
	v_lshlrev_b32_e32 v0, 16, v5
	v_mul_f32_e32 v5, v41, v0
	v_and_b32_e32 v0, 0x7f800000, v5
	v_cmp_ne_u32_e64 s[6:7], s9, v0
                                        ; implicit-def: $agpr54
	s_and_saveexec_b64 s[26:27], s[6:7]
	s_xor_b64 s[6:7], exec, s[26:27]
; %bb.1023:                             ;   in Loop: Header=BB382_651 Depth=1
	v_bfe_u32 v0, v5, 16, 1
	v_add3_u32 v0, v5, v0, s15
	v_accvgpr_write_b32 a54, v0
                                        ; implicit-def: $vgpr5
; %bb.1024:                             ;   in Loop: Header=BB382_651 Depth=1
	s_andn2_saveexec_b64 s[26:27], s[6:7]
; %bb.1025:                             ;   in Loop: Header=BB382_651 Depth=1
	v_or_b32_e32 v0, 0x10000, v5
	v_cmp_eq_u32_sdwa s[6:7], v5, v33 src0_sel:WORD_0 src1_sel:DWORD
	v_cndmask_b32_e64 v0, v0, v5, s[6:7]
	v_accvgpr_write_b32 a54, v0
; %bb.1026:                             ;   in Loop: Header=BB382_651 Depth=1
	s_or_b64 exec, exec, s[26:27]
	flat_load_dwordx2 v[6:7], v[2:3] offset:1536
	buffer_load_dword v0, off, s[0:3], s32 offset:212 ; 4-byte Folded Reload
	buffer_load_dword v1, off, s[0:3], s32 offset:216 ; 4-byte Folded Reload
	v_mov_b32_e32 v5, 0
	s_waitcnt vmcnt(0) lgkmcnt(0)
	v_cmp_ne_u16_sdwa s[6:7], v6, v33 src0_sel:BYTE_0 src1_sel:DWORD
	flat_load_dword v30, v[0:1]
	s_and_saveexec_b64 s[26:27], s[6:7]
	s_cbranch_execz .LBB382_1032
; %bb.1027:                             ;   in Loop: Header=BB382_651 Depth=1
	v_cmp_ne_u16_sdwa s[6:7], v6, s36 src0_sel:BYTE_0 src1_sel:DWORD
	v_bfrev_b32_e32 v5, 1
	s_and_saveexec_b64 s[28:29], s[6:7]
	s_cbranch_execz .LBB382_1031
; %bb.1028:                             ;   in Loop: Header=BB382_651 Depth=1
	v_and_b32_e32 v8, 0x7f, v6
	v_cmp_ne_u32_e64 s[6:7], s37, v8
	v_mov_b32_e32 v5, 0x7f800001
	s_and_saveexec_b64 s[30:31], s[6:7]
	s_cbranch_execz .LBB382_1030
; %bb.1029:                             ;   in Loop: Header=BB382_651 Depth=1
	v_and_b32_e32 v0, 7, v6
	v_ffbh_u32_e32 v0, v0
	v_min_u32_e32 v0, 32, v0
	v_lshrrev_b32_e32 v1, 3, v8
	v_subrev_u32_e32 v5, 28, v0
	v_sub_u32_e32 v0, 29, v0
	v_cmp_gt_u32_e64 s[6:7], 8, v8
	v_cndmask_b32_e64 v0, v1, v0, s[6:7]
	v_cndmask_b32_e64 v1, 0, v5, s[6:7]
	v_lshlrev_b64 v[8:9], v1, v[6:7]
	v_lshlrev_b32_e32 v1, 20, v8
	v_lshlrev_b32_e32 v5, 24, v6
	v_bfrev_b32_e32 v8, 60
	v_and_b32_e32 v1, 0x700000, v1
	v_and_b32_e32 v5, 0x80000000, v5
	v_lshl_add_u32 v0, v0, 23, v8
	v_or3_b32 v5, v5, v0, v1
.LBB382_1030:                           ;   in Loop: Header=BB382_651 Depth=1
	s_or_b64 exec, exec, s[30:31]
.LBB382_1031:                           ;   in Loop: Header=BB382_651 Depth=1
	s_or_b64 exec, exec, s[28:29]
.LBB382_1032:                           ;   in Loop: Header=BB382_651 Depth=1
	s_or_b64 exec, exec, s[26:27]
	s_waitcnt vmcnt(0) lgkmcnt(0)
	v_mul_f32_e32 v5, v30, v5
	v_and_b32_e32 v0, 0x7f800000, v5
	v_cmp_ne_u32_e64 s[6:7], s9, v0
                                        ; implicit-def: $vgpr9
	s_and_saveexec_b64 s[26:27], s[6:7]
	s_xor_b64 s[6:7], exec, s[26:27]
; %bb.1033:                             ;   in Loop: Header=BB382_651 Depth=1
	v_bfe_u32 v0, v5, 16, 1
	v_add3_u32 v9, v5, v0, s15
                                        ; implicit-def: $vgpr5
; %bb.1034:                             ;   in Loop: Header=BB382_651 Depth=1
	s_andn2_saveexec_b64 s[26:27], s[6:7]
; %bb.1035:                             ;   in Loop: Header=BB382_651 Depth=1
	v_or_b32_e32 v0, 0x10000, v5
	v_cmp_eq_u32_sdwa s[6:7], v5, v33 src0_sel:WORD_0 src1_sel:DWORD
	v_cndmask_b32_e64 v9, v0, v5, s[6:7]
; %bb.1036:                             ;   in Loop: Header=BB382_651 Depth=1
	s_or_b64 exec, exec, s[26:27]
	v_lshrrev_b16_e32 v8, 8, v6
	v_cmp_ne_u16_e64 s[6:7], 0, v8
	v_mov_b32_e32 v5, 0
	s_and_saveexec_b64 s[26:27], s[6:7]
	s_cbranch_execz .LBB382_1042
; %bb.1037:                             ;   in Loop: Header=BB382_651 Depth=1
	v_cmp_ne_u16_e64 s[6:7], s36, v8
	v_bfrev_b32_e32 v5, 1
	s_and_saveexec_b64 s[28:29], s[6:7]
	s_cbranch_execz .LBB382_1041
; %bb.1038:                             ;   in Loop: Header=BB382_651 Depth=1
	v_and_b32_e32 v10, 0x7f, v8
	v_cmp_ne_u32_e64 s[6:7], s37, v10
	v_mov_b32_e32 v5, 0x7f800001
	s_and_saveexec_b64 s[30:31], s[6:7]
	s_cbranch_execz .LBB382_1040
; %bb.1039:                             ;   in Loop: Header=BB382_651 Depth=1
	v_and_b32_e32 v0, 7, v8
	v_ffbh_u32_e32 v5, v0
	v_min_u32_e32 v5, 32, v5
	v_subrev_u32_e32 v11, 28, v5
	v_lshlrev_b64 v[12:13], v11, v[8:9]
	v_lshrrev_b32_e32 v1, 3, v10
	v_sub_u32_e32 v5, 29, v5
	v_and_b32_e32 v8, 7, v12
	v_cmp_gt_u32_e64 s[6:7], 8, v10
	v_cndmask_b32_e64 v1, v1, v5, s[6:7]
	v_cndmask_b32_e64 v0, v0, v8, s[6:7]
	v_lshlrev_b32_e32 v5, 16, v6
	v_bfrev_b32_e32 v8, 60
	v_lshlrev_b32_e32 v0, 20, v0
	v_and_b32_e32 v5, 0x80000000, v5
	v_lshl_add_u32 v1, v1, 23, v8
	v_or3_b32 v5, v5, v1, v0
.LBB382_1040:                           ;   in Loop: Header=BB382_651 Depth=1
	s_or_b64 exec, exec, s[30:31]
.LBB382_1041:                           ;   in Loop: Header=BB382_651 Depth=1
	s_or_b64 exec, exec, s[28:29]
.LBB382_1042:                           ;   in Loop: Header=BB382_651 Depth=1
	s_or_b64 exec, exec, s[26:27]
	v_mul_f32_e32 v8, v30, v5
	v_and_b32_e32 v0, 0x7f800000, v8
	v_cmp_ne_u32_e64 s[6:7], s9, v0
                                        ; implicit-def: $vgpr5
	s_and_saveexec_b64 s[26:27], s[6:7]
	s_xor_b64 s[6:7], exec, s[26:27]
; %bb.1043:                             ;   in Loop: Header=BB382_651 Depth=1
	v_bfe_u32 v0, v8, 16, 1
	v_add3_u32 v5, v8, v0, s15
                                        ; implicit-def: $vgpr8
; %bb.1044:                             ;   in Loop: Header=BB382_651 Depth=1
	s_andn2_saveexec_b64 s[26:27], s[6:7]
; %bb.1045:                             ;   in Loop: Header=BB382_651 Depth=1
	v_or_b32_e32 v0, 0x10000, v8
	v_cmp_eq_u32_sdwa s[6:7], v8, v33 src0_sel:WORD_0 src1_sel:DWORD
	v_cndmask_b32_e64 v5, v0, v8, s[6:7]
; %bb.1046:                             ;   in Loop: Header=BB382_651 Depth=1
	s_or_b64 exec, exec, s[26:27]
	v_lshrrev_b32_e32 v8, 16, v6
	v_cmp_ne_u16_sdwa s[6:7], v8, v33 src0_sel:BYTE_0 src1_sel:DWORD
	v_mov_b32_e32 v10, 0
	s_and_saveexec_b64 s[26:27], s[6:7]
	s_cbranch_execz .LBB382_1052
; %bb.1047:                             ;   in Loop: Header=BB382_651 Depth=1
	v_cmp_ne_u16_sdwa s[6:7], v8, s36 src0_sel:BYTE_0 src1_sel:DWORD
	v_bfrev_b32_e32 v10, 1
	s_and_saveexec_b64 s[28:29], s[6:7]
	s_cbranch_execz .LBB382_1051
; %bb.1048:                             ;   in Loop: Header=BB382_651 Depth=1
	v_bfe_u32 v11, v6, 16, 7
	v_cmp_ne_u32_e64 s[6:7], s37, v11
	v_mov_b32_e32 v10, 0x7f800001
	s_and_saveexec_b64 s[30:31], s[6:7]
	s_cbranch_execz .LBB382_1050
; %bb.1049:                             ;   in Loop: Header=BB382_651 Depth=1
	v_and_b32_e32 v0, 7, v8
	v_ffbh_u32_e32 v10, v0
	v_min_u32_e32 v10, 32, v10
	v_subrev_u32_e32 v12, 28, v10
	v_lshlrev_b64 v[12:13], v12, v[8:9]
	v_lshrrev_b32_e32 v1, 3, v11
	v_sub_u32_e32 v10, 29, v10
	v_and_b32_e32 v12, 7, v12
	v_cmp_gt_u32_e64 s[6:7], 8, v11
	v_cndmask_b32_e64 v1, v1, v10, s[6:7]
	v_cndmask_b32_e64 v0, v0, v12, s[6:7]
	v_lshlrev_b32_e32 v8, 24, v8
	v_bfrev_b32_e32 v10, 60
	v_lshlrev_b32_e32 v0, 20, v0
	v_and_b32_e32 v8, 0x80000000, v8
	v_lshl_add_u32 v1, v1, 23, v10
	v_or3_b32 v10, v8, v1, v0
.LBB382_1050:                           ;   in Loop: Header=BB382_651 Depth=1
	s_or_b64 exec, exec, s[30:31]
.LBB382_1051:                           ;   in Loop: Header=BB382_651 Depth=1
	s_or_b64 exec, exec, s[28:29]
.LBB382_1052:                           ;   in Loop: Header=BB382_651 Depth=1
	s_or_b64 exec, exec, s[26:27]
	v_mul_f32_e32 v8, v30, v10
	v_and_b32_e32 v0, 0x7f800000, v8
	v_cmp_ne_u32_e64 s[6:7], s9, v0
                                        ; implicit-def: $vgpr10
	s_and_saveexec_b64 s[26:27], s[6:7]
	s_xor_b64 s[6:7], exec, s[26:27]
; %bb.1053:                             ;   in Loop: Header=BB382_651 Depth=1
	v_bfe_u32 v0, v8, 16, 1
	v_add3_u32 v10, v8, v0, s15
                                        ; implicit-def: $vgpr8
; %bb.1054:                             ;   in Loop: Header=BB382_651 Depth=1
	s_andn2_saveexec_b64 s[26:27], s[6:7]
; %bb.1055:                             ;   in Loop: Header=BB382_651 Depth=1
	v_or_b32_e32 v0, 0x10000, v8
	v_cmp_eq_u32_sdwa s[6:7], v8, v33 src0_sel:WORD_0 src1_sel:DWORD
	v_cndmask_b32_e64 v10, v0, v8, s[6:7]
; %bb.1056:                             ;   in Loop: Header=BB382_651 Depth=1
	s_or_b64 exec, exec, s[26:27]
	v_cmp_lt_u32_e64 s[6:7], s21, v6
	v_mov_b32_e32 v11, 0
	s_and_saveexec_b64 s[26:27], s[6:7]
	s_cbranch_execz .LBB382_1062
; %bb.1057:                             ;   in Loop: Header=BB382_651 Depth=1
	v_lshrrev_b32_e32 v8, 24, v6
	v_cmp_ne_u32_e64 s[6:7], s36, v8
	v_bfrev_b32_e32 v11, 1
	s_and_saveexec_b64 s[28:29], s[6:7]
	s_cbranch_execz .LBB382_1061
; %bb.1058:                             ;   in Loop: Header=BB382_651 Depth=1
	v_bfe_u32 v12, v6, 24, 7
	v_cmp_ne_u32_e64 s[6:7], s37, v12
	v_mov_b32_e32 v11, 0x7f800001
	s_and_saveexec_b64 s[30:31], s[6:7]
	s_cbranch_execz .LBB382_1060
; %bb.1059:                             ;   in Loop: Header=BB382_651 Depth=1
	v_and_b32_e32 v0, 7, v8
	v_ffbh_u32_e32 v11, v0
	v_min_u32_e32 v11, 32, v11
	v_subrev_u32_e32 v13, 28, v11
	v_lshlrev_b64 v[20:21], v13, v[8:9]
	v_lshrrev_b32_e32 v1, 3, v12
	v_sub_u32_e32 v11, 29, v11
	v_and_b32_e32 v13, 7, v20
	v_cmp_gt_u32_e64 s[6:7], 8, v12
	v_cndmask_b32_e64 v1, v1, v11, s[6:7]
	v_cndmask_b32_e64 v0, v0, v13, s[6:7]
	v_lshlrev_b32_e32 v8, 24, v8
	v_bfrev_b32_e32 v11, 60
	v_lshlrev_b32_e32 v0, 20, v0
	v_and_b32_e32 v8, 0x80000000, v8
	v_lshl_add_u32 v1, v1, 23, v11
	v_or3_b32 v11, v8, v1, v0
.LBB382_1060:                           ;   in Loop: Header=BB382_651 Depth=1
	s_or_b64 exec, exec, s[30:31]
.LBB382_1061:                           ;   in Loop: Header=BB382_651 Depth=1
	s_or_b64 exec, exec, s[28:29]
.LBB382_1062:                           ;   in Loop: Header=BB382_651 Depth=1
	s_or_b64 exec, exec, s[26:27]
	v_mul_f32_e32 v8, v30, v11
	v_and_b32_e32 v0, 0x7f800000, v8
	v_cmp_ne_u32_e64 s[6:7], s9, v0
                                        ; implicit-def: $vgpr11
	s_and_saveexec_b64 s[26:27], s[6:7]
	s_xor_b64 s[6:7], exec, s[26:27]
; %bb.1063:                             ;   in Loop: Header=BB382_651 Depth=1
	v_bfe_u32 v0, v8, 16, 1
	v_add3_u32 v11, v8, v0, s15
                                        ; implicit-def: $vgpr8
; %bb.1064:                             ;   in Loop: Header=BB382_651 Depth=1
	s_andn2_saveexec_b64 s[26:27], s[6:7]
; %bb.1065:                             ;   in Loop: Header=BB382_651 Depth=1
	v_or_b32_e32 v0, 0x10000, v8
	v_cmp_eq_u32_sdwa s[6:7], v8, v33 src0_sel:WORD_0 src1_sel:DWORD
	v_cndmask_b32_e64 v11, v0, v8, s[6:7]
; %bb.1066:                             ;   in Loop: Header=BB382_651 Depth=1
	s_or_b64 exec, exec, s[26:27]
	v_mov_b32_e32 v32, v7
	v_cmp_ne_u16_sdwa s[6:7], v7, v33 src0_sel:BYTE_0 src1_sel:DWORD
	v_mov_b32_e32 v8, 0
	s_and_saveexec_b64 s[26:27], s[6:7]
	s_cbranch_execz .LBB382_1072
; %bb.1067:                             ;   in Loop: Header=BB382_651 Depth=1
	v_cmp_ne_u16_sdwa s[6:7], v7, s36 src0_sel:BYTE_0 src1_sel:DWORD
	v_bfrev_b32_e32 v8, 1
	s_and_saveexec_b64 s[28:29], s[6:7]
	s_cbranch_execz .LBB382_1071
; %bb.1068:                             ;   in Loop: Header=BB382_651 Depth=1
	v_and_b32_e32 v12, 0x7f, v7
	v_cmp_ne_u32_e64 s[6:7], s37, v12
	v_mov_b32_e32 v8, 0x7f800001
	s_and_saveexec_b64 s[30:31], s[6:7]
	s_cbranch_execz .LBB382_1070
; %bb.1069:                             ;   in Loop: Header=BB382_651 Depth=1
	v_and_b32_e32 v0, 7, v7
	v_ffbh_u32_e32 v0, v0
	v_min_u32_e32 v0, 32, v0
	v_lshrrev_b32_e32 v1, 3, v12
	v_subrev_u32_e32 v8, 28, v0
	v_sub_u32_e32 v0, 29, v0
	v_cmp_gt_u32_e64 s[6:7], 8, v12
	v_cndmask_b32_e64 v0, v1, v0, s[6:7]
	v_cndmask_b32_e64 v1, 0, v8, s[6:7]
	v_lshlrev_b64 v[12:13], v1, v[32:33]
	v_lshlrev_b32_e32 v1, 20, v12
	v_lshlrev_b32_e32 v8, 24, v32
	v_bfrev_b32_e32 v12, 60
	v_and_b32_e32 v1, 0x700000, v1
	v_and_b32_e32 v8, 0x80000000, v8
	v_lshl_add_u32 v0, v0, 23, v12
	v_or3_b32 v8, v8, v0, v1
.LBB382_1070:                           ;   in Loop: Header=BB382_651 Depth=1
	s_or_b64 exec, exec, s[30:31]
.LBB382_1071:                           ;   in Loop: Header=BB382_651 Depth=1
	s_or_b64 exec, exec, s[28:29]
.LBB382_1072:                           ;   in Loop: Header=BB382_651 Depth=1
	s_or_b64 exec, exec, s[26:27]
	v_mul_f32_e32 v8, v30, v8
	v_and_b32_e32 v0, 0x7f800000, v8
	v_cmp_ne_u32_e64 s[6:7], s9, v0
                                        ; implicit-def: $vgpr12
	s_and_saveexec_b64 s[26:27], s[6:7]
	s_xor_b64 s[6:7], exec, s[26:27]
; %bb.1073:                             ;   in Loop: Header=BB382_651 Depth=1
	v_bfe_u32 v0, v8, 16, 1
	v_add3_u32 v12, v8, v0, s15
                                        ; implicit-def: $vgpr8
; %bb.1074:                             ;   in Loop: Header=BB382_651 Depth=1
	s_andn2_saveexec_b64 s[26:27], s[6:7]
; %bb.1075:                             ;   in Loop: Header=BB382_651 Depth=1
	v_or_b32_e32 v0, 0x10000, v8
	v_cmp_eq_u32_sdwa s[6:7], v8, v33 src0_sel:WORD_0 src1_sel:DWORD
	v_cndmask_b32_e64 v12, v0, v8, s[6:7]
; %bb.1076:                             ;   in Loop: Header=BB382_651 Depth=1
	s_or_b64 exec, exec, s[26:27]
	v_lshrrev_b16_e32 v8, 8, v32
	v_cmp_ne_u16_e64 s[6:7], 0, v8
	v_mov_b32_e32 v13, 0
	s_and_saveexec_b64 s[26:27], s[6:7]
	s_cbranch_execz .LBB382_1082
; %bb.1077:                             ;   in Loop: Header=BB382_651 Depth=1
	v_cmp_ne_u16_e64 s[6:7], s36, v8
	v_bfrev_b32_e32 v13, 1
	s_and_saveexec_b64 s[28:29], s[6:7]
	s_cbranch_execz .LBB382_1081
; %bb.1078:                             ;   in Loop: Header=BB382_651 Depth=1
	v_and_b32_e32 v20, 0x7f, v8
	v_cmp_ne_u32_e64 s[6:7], s37, v20
	v_mov_b32_e32 v13, 0x7f800001
	s_and_saveexec_b64 s[30:31], s[6:7]
	s_cbranch_execz .LBB382_1080
; %bb.1079:                             ;   in Loop: Header=BB382_651 Depth=1
	v_and_b32_e32 v0, 7, v8
	v_ffbh_u32_e32 v13, v0
	v_min_u32_e32 v13, 32, v13
	v_subrev_u32_e32 v16, 28, v13
	v_lshlrev_b64 v[26:27], v16, v[8:9]
	v_lshrrev_b32_e32 v1, 3, v20
	v_sub_u32_e32 v8, 29, v13
	v_and_b32_e32 v13, 7, v26
	v_cmp_gt_u32_e64 s[6:7], 8, v20
	v_cndmask_b32_e64 v1, v1, v8, s[6:7]
	v_cndmask_b32_e64 v0, v0, v13, s[6:7]
	v_lshlrev_b32_e32 v8, 16, v32
	v_bfrev_b32_e32 v13, 60
	v_lshlrev_b32_e32 v0, 20, v0
	v_and_b32_e32 v8, 0x80000000, v8
	v_lshl_add_u32 v1, v1, 23, v13
	v_or3_b32 v13, v8, v1, v0
.LBB382_1080:                           ;   in Loop: Header=BB382_651 Depth=1
	s_or_b64 exec, exec, s[30:31]
.LBB382_1081:                           ;   in Loop: Header=BB382_651 Depth=1
	s_or_b64 exec, exec, s[28:29]
.LBB382_1082:                           ;   in Loop: Header=BB382_651 Depth=1
	s_or_b64 exec, exec, s[26:27]
	v_mul_f32_e32 v8, v30, v13
	v_and_b32_e32 v0, 0x7f800000, v8
	v_cmp_ne_u32_e64 s[6:7], s9, v0
                                        ; implicit-def: $vgpr13
	s_and_saveexec_b64 s[26:27], s[6:7]
	s_xor_b64 s[6:7], exec, s[26:27]
; %bb.1083:                             ;   in Loop: Header=BB382_651 Depth=1
	v_bfe_u32 v0, v8, 16, 1
	v_add3_u32 v13, v8, v0, s15
                                        ; implicit-def: $vgpr8
; %bb.1084:                             ;   in Loop: Header=BB382_651 Depth=1
	s_andn2_saveexec_b64 s[26:27], s[6:7]
; %bb.1085:                             ;   in Loop: Header=BB382_651 Depth=1
	v_or_b32_e32 v0, 0x10000, v8
	v_cmp_eq_u32_sdwa s[6:7], v8, v33 src0_sel:WORD_0 src1_sel:DWORD
	v_cndmask_b32_e64 v13, v0, v8, s[6:7]
; %bb.1086:                             ;   in Loop: Header=BB382_651 Depth=1
	s_or_b64 exec, exec, s[26:27]
	v_lshrrev_b32_e32 v8, 16, v7
	v_cmp_ne_u16_sdwa s[6:7], v8, v33 src0_sel:BYTE_0 src1_sel:DWORD
	v_mov_b32_e32 v20, 0
	s_and_saveexec_b64 s[26:27], s[6:7]
	s_cbranch_execz .LBB382_1092
; %bb.1087:                             ;   in Loop: Header=BB382_651 Depth=1
	v_cmp_ne_u16_sdwa s[6:7], v8, s36 src0_sel:BYTE_0 src1_sel:DWORD
	v_bfrev_b32_e32 v20, 1
	s_and_saveexec_b64 s[28:29], s[6:7]
	s_cbranch_execz .LBB382_1091
; %bb.1088:                             ;   in Loop: Header=BB382_651 Depth=1
	v_bfe_u32 v21, v7, 16, 7
	v_cmp_ne_u32_e64 s[6:7], s37, v21
	v_mov_b32_e32 v20, 0x7f800001
	s_and_saveexec_b64 s[30:31], s[6:7]
	s_cbranch_execz .LBB382_1090
; %bb.1089:                             ;   in Loop: Header=BB382_651 Depth=1
	v_and_b32_e32 v0, 7, v8
	v_ffbh_u32_e32 v16, v0
	v_min_u32_e32 v16, 32, v16
	v_subrev_u32_e32 v17, 28, v16
	v_lshlrev_b64 v[26:27], v17, v[8:9]
	v_lshrrev_b32_e32 v1, 3, v21
	v_sub_u32_e32 v16, 29, v16
	v_and_b32_e32 v17, 7, v26
	v_cmp_gt_u32_e64 s[6:7], 8, v21
	v_cndmask_b32_e64 v1, v1, v16, s[6:7]
	v_cndmask_b32_e64 v0, v0, v17, s[6:7]
	v_lshlrev_b32_e32 v8, 24, v8
	v_bfrev_b32_e32 v16, 60
	v_lshlrev_b32_e32 v0, 20, v0
	v_and_b32_e32 v8, 0x80000000, v8
	v_lshl_add_u32 v1, v1, 23, v16
	v_or3_b32 v20, v8, v1, v0
.LBB382_1090:                           ;   in Loop: Header=BB382_651 Depth=1
	s_or_b64 exec, exec, s[30:31]
.LBB382_1091:                           ;   in Loop: Header=BB382_651 Depth=1
	s_or_b64 exec, exec, s[28:29]
.LBB382_1092:                           ;   in Loop: Header=BB382_651 Depth=1
	s_or_b64 exec, exec, s[26:27]
	v_mul_f32_e32 v8, v30, v20
	v_and_b32_e32 v0, 0x7f800000, v8
	v_cmp_ne_u32_e64 s[6:7], s9, v0
                                        ; implicit-def: $vgpr20
	s_and_saveexec_b64 s[26:27], s[6:7]
	s_xor_b64 s[6:7], exec, s[26:27]
; %bb.1093:                             ;   in Loop: Header=BB382_651 Depth=1
	v_bfe_u32 v0, v8, 16, 1
	v_add3_u32 v20, v8, v0, s15
                                        ; implicit-def: $vgpr8
; %bb.1094:                             ;   in Loop: Header=BB382_651 Depth=1
	s_andn2_saveexec_b64 s[26:27], s[6:7]
; %bb.1095:                             ;   in Loop: Header=BB382_651 Depth=1
	v_or_b32_e32 v0, 0x10000, v8
	v_cmp_eq_u32_sdwa s[6:7], v8, v33 src0_sel:WORD_0 src1_sel:DWORD
	v_cndmask_b32_e64 v20, v0, v8, s[6:7]
; %bb.1096:                             ;   in Loop: Header=BB382_651 Depth=1
	s_or_b64 exec, exec, s[26:27]
	v_cmp_lt_u64_e64 s[6:7], s[20:21], v[6:7]
	v_mov_b32_e32 v8, 0
	s_and_saveexec_b64 s[26:27], s[6:7]
	s_cbranch_execz .LBB382_1102
; %bb.1097:                             ;   in Loop: Header=BB382_651 Depth=1
	v_lshrrev_b32_e32 v6, 24, v7
	v_cmp_ne_u32_e64 s[6:7], s36, v6
	v_bfrev_b32_e32 v8, 1
	s_and_saveexec_b64 s[28:29], s[6:7]
	s_cbranch_execz .LBB382_1101
; %bb.1098:                             ;   in Loop: Header=BB382_651 Depth=1
	v_bfe_u32 v7, v7, 24, 7
	v_cmp_ne_u32_e64 s[6:7], s37, v7
	v_mov_b32_e32 v8, 0x7f800001
	s_and_saveexec_b64 s[30:31], s[6:7]
	s_cbranch_execz .LBB382_1100
; %bb.1099:                             ;   in Loop: Header=BB382_651 Depth=1
	v_and_b32_e32 v0, 7, v6
	v_ffbh_u32_e32 v8, v0
	v_min_u32_e32 v8, 32, v8
	v_subrev_u32_e32 v16, 28, v8
	v_lshlrev_b64 v[26:27], v16, v[6:7]
	v_lshrrev_b32_e32 v1, 3, v7
	v_sub_u32_e32 v8, 29, v8
	v_and_b32_e32 v16, 7, v26
	v_cmp_gt_u32_e64 s[6:7], 8, v7
	v_cndmask_b32_e64 v1, v1, v8, s[6:7]
	v_cndmask_b32_e64 v0, v0, v16, s[6:7]
	v_lshlrev_b32_e32 v6, 24, v6
	v_bfrev_b32_e32 v7, 60
	v_lshlrev_b32_e32 v0, 20, v0
	v_and_b32_e32 v6, 0x80000000, v6
	v_lshl_add_u32 v1, v1, 23, v7
	v_or3_b32 v8, v6, v1, v0
.LBB382_1100:                           ;   in Loop: Header=BB382_651 Depth=1
	s_or_b64 exec, exec, s[30:31]
.LBB382_1101:                           ;   in Loop: Header=BB382_651 Depth=1
	s_or_b64 exec, exec, s[28:29]
.LBB382_1102:                           ;   in Loop: Header=BB382_651 Depth=1
	s_or_b64 exec, exec, s[26:27]
	v_mul_f32_e32 v6, v30, v8
	v_and_b32_e32 v0, 0x7f800000, v6
	v_cmp_ne_u32_e64 s[6:7], s9, v0
                                        ; implicit-def: $vgpr21
	s_and_saveexec_b64 s[26:27], s[6:7]
	s_xor_b64 s[6:7], exec, s[26:27]
; %bb.1103:                             ;   in Loop: Header=BB382_651 Depth=1
	v_bfe_u32 v0, v6, 16, 1
	v_add3_u32 v21, v6, v0, s15
                                        ; implicit-def: $vgpr6
; %bb.1104:                             ;   in Loop: Header=BB382_651 Depth=1
	s_andn2_saveexec_b64 s[26:27], s[6:7]
; %bb.1105:                             ;   in Loop: Header=BB382_651 Depth=1
	v_or_b32_e32 v0, 0x10000, v6
	v_cmp_eq_u32_sdwa s[6:7], v6, v33 src0_sel:WORD_0 src1_sel:DWORD
	v_cndmask_b32_e64 v21, v0, v6, s[6:7]
; %bb.1106:                             ;   in Loop: Header=BB382_651 Depth=1
	s_or_b64 exec, exec, s[26:27]
	v_lshrrev_b32_e32 v7, 16, v13
	v_lshrrev_b32_e32 v8, 16, v12
	;; [unrolled: 1-line block ×8, first 2 shown]
	s_and_saveexec_b64 s[26:27], s[4:5]
	s_cbranch_execz .LBB382_1108
; %bb.1107:                             ;   in Loop: Header=BB382_651 Depth=1
	v_accvgpr_read_b32 v1, a3
	v_cmp_lt_i32_e64 s[6:7], v43, v1
	v_add_u32_e32 v0, 1, v43
	v_cndmask_b32_e64 v9, 0, v9, s[6:7]
	v_cmp_lt_i32_e64 s[6:7], v0, v1
	v_add_u32_e32 v0, 2, v43
	v_cndmask_b32_e64 v12, 0, v12, s[6:7]
	;; [unrolled: 3-line block ×7, first 2 shown]
	v_cmp_lt_i32_e64 s[6:7], v0, v1
	v_cndmask_b32_e64 v5, 0, v5, s[6:7]
.LBB382_1108:                           ;   in Loop: Header=BB382_651 Depth=1
	s_or_b64 exec, exec, s[26:27]
	v_lshlrev_b32_e32 v0, 16, v9
	v_mul_f32_e32 v9, v44, v0
	v_and_b32_e32 v0, 0x7f800000, v9
	v_cmp_ne_u32_e64 s[6:7], s9, v0
                                        ; implicit-def: $agpr55
	s_and_saveexec_b64 s[26:27], s[6:7]
	s_xor_b64 s[6:7], exec, s[26:27]
; %bb.1109:                             ;   in Loop: Header=BB382_651 Depth=1
	v_bfe_u32 v0, v9, 16, 1
	v_add3_u32 v0, v9, v0, s15
	v_accvgpr_write_b32 a55, v0
                                        ; implicit-def: $vgpr9
; %bb.1110:                             ;   in Loop: Header=BB382_651 Depth=1
	s_andn2_saveexec_b64 s[26:27], s[6:7]
; %bb.1111:                             ;   in Loop: Header=BB382_651 Depth=1
	v_or_b32_e32 v0, 0x10000, v9
	v_cmp_eq_u32_sdwa s[6:7], v9, v33 src0_sel:WORD_0 src1_sel:DWORD
	v_cndmask_b32_e64 v0, v0, v9, s[6:7]
	v_accvgpr_write_b32 a55, v0
; %bb.1112:                             ;   in Loop: Header=BB382_651 Depth=1
	s_or_b64 exec, exec, s[26:27]
	v_lshlrev_b32_e32 v0, 16, v12
	v_mul_f32_e32 v9, v46, v0
	v_and_b32_e32 v0, 0x7f800000, v9
	v_cmp_ne_u32_e64 s[6:7], s9, v0
                                        ; implicit-def: $agpr56
	s_and_saveexec_b64 s[26:27], s[6:7]
	s_xor_b64 s[6:7], exec, s[26:27]
; %bb.1113:                             ;   in Loop: Header=BB382_651 Depth=1
	v_bfe_u32 v0, v9, 16, 1
	v_add3_u32 v0, v9, v0, s15
	v_accvgpr_write_b32 a56, v0
                                        ; implicit-def: $vgpr9
; %bb.1114:                             ;   in Loop: Header=BB382_651 Depth=1
	s_andn2_saveexec_b64 s[26:27], s[6:7]
; %bb.1115:                             ;   in Loop: Header=BB382_651 Depth=1
	v_or_b32_e32 v0, 0x10000, v9
	v_cmp_eq_u32_sdwa s[6:7], v9, v33 src0_sel:WORD_0 src1_sel:DWORD
	v_cndmask_b32_e64 v0, v0, v9, s[6:7]
	v_accvgpr_write_b32 a56, v0
; %bb.1116:                             ;   in Loop: Header=BB382_651 Depth=1
	s_or_b64 exec, exec, s[26:27]
	v_lshlrev_b32_e32 v0, 16, v10
	v_mul_f32_e32 v9, v47, v0
	v_and_b32_e32 v0, 0x7f800000, v9
	v_cmp_ne_u32_e64 s[6:7], s9, v0
                                        ; implicit-def: $agpr57
	s_and_saveexec_b64 s[26:27], s[6:7]
	s_xor_b64 s[6:7], exec, s[26:27]
; %bb.1117:                             ;   in Loop: Header=BB382_651 Depth=1
	v_bfe_u32 v0, v9, 16, 1
	v_add3_u32 v0, v9, v0, s15
	v_accvgpr_write_b32 a57, v0
                                        ; implicit-def: $vgpr9
; %bb.1118:                             ;   in Loop: Header=BB382_651 Depth=1
	s_andn2_saveexec_b64 s[26:27], s[6:7]
; %bb.1119:                             ;   in Loop: Header=BB382_651 Depth=1
	v_or_b32_e32 v0, 0x10000, v9
	v_cmp_eq_u32_sdwa s[6:7], v9, v33 src0_sel:WORD_0 src1_sel:DWORD
	v_cndmask_b32_e64 v0, v0, v9, s[6:7]
	v_accvgpr_write_b32 a57, v0
; %bb.1120:                             ;   in Loop: Header=BB382_651 Depth=1
	s_or_b64 exec, exec, s[26:27]
	v_lshlrev_b32_e32 v0, 16, v11
	v_mul_f32_e32 v10, v56, v0
	v_and_b32_e32 v0, 0x7f800000, v10
	v_cmp_ne_u32_e64 s[6:7], s9, v0
                                        ; implicit-def: $agpr58
	s_and_saveexec_b64 s[26:27], s[6:7]
	s_xor_b64 s[6:7], exec, s[26:27]
; %bb.1121:                             ;   in Loop: Header=BB382_651 Depth=1
	v_bfe_u32 v0, v10, 16, 1
	v_add3_u32 v0, v10, v0, s15
	v_accvgpr_write_b32 a58, v0
                                        ; implicit-def: $vgpr10
; %bb.1122:                             ;   in Loop: Header=BB382_651 Depth=1
	s_andn2_saveexec_b64 s[26:27], s[6:7]
; %bb.1123:                             ;   in Loop: Header=BB382_651 Depth=1
	v_or_b32_e32 v0, 0x10000, v10
	v_cmp_eq_u32_sdwa s[6:7], v10, v33 src0_sel:WORD_0 src1_sel:DWORD
	v_cndmask_b32_e64 v0, v0, v10, s[6:7]
	v_accvgpr_write_b32 a58, v0
; %bb.1124:                             ;   in Loop: Header=BB382_651 Depth=1
	s_or_b64 exec, exec, s[26:27]
	v_lshlrev_b32_e32 v0, 16, v8
	v_mul_f32_e32 v8, v57, v0
	v_and_b32_e32 v0, 0x7f800000, v8
	v_cmp_ne_u32_e64 s[6:7], s9, v0
                                        ; implicit-def: $vgpr29
	s_and_saveexec_b64 s[26:27], s[6:7]
	s_xor_b64 s[6:7], exec, s[26:27]
; %bb.1125:                             ;   in Loop: Header=BB382_651 Depth=1
	v_bfe_u32 v0, v8, 16, 1
	v_add3_u32 v29, v8, v0, s15
                                        ; implicit-def: $vgpr8
; %bb.1126:                             ;   in Loop: Header=BB382_651 Depth=1
	s_andn2_saveexec_b64 s[26:27], s[6:7]
; %bb.1127:                             ;   in Loop: Header=BB382_651 Depth=1
	v_or_b32_e32 v0, 0x10000, v8
	v_cmp_eq_u32_sdwa s[6:7], v8, v33 src0_sel:WORD_0 src1_sel:DWORD
	v_cndmask_b32_e64 v29, v0, v8, s[6:7]
; %bb.1128:                             ;   in Loop: Header=BB382_651 Depth=1
	s_or_b64 exec, exec, s[26:27]
	v_lshlrev_b32_e32 v0, 16, v7
	v_mul_f32_e32 v7, v58, v0
	v_and_b32_e32 v0, 0x7f800000, v7
	v_cmp_ne_u32_e64 s[6:7], s9, v0
                                        ; implicit-def: $vgpr20
	s_and_saveexec_b64 s[26:27], s[6:7]
	s_xor_b64 s[6:7], exec, s[26:27]
; %bb.1129:                             ;   in Loop: Header=BB382_651 Depth=1
	v_bfe_u32 v0, v7, 16, 1
	v_add3_u32 v20, v7, v0, s15
                                        ; implicit-def: $vgpr7
; %bb.1130:                             ;   in Loop: Header=BB382_651 Depth=1
	s_andn2_saveexec_b64 s[26:27], s[6:7]
; %bb.1131:                             ;   in Loop: Header=BB382_651 Depth=1
	v_or_b32_e32 v0, 0x10000, v7
	v_cmp_eq_u32_sdwa s[6:7], v7, v33 src0_sel:WORD_0 src1_sel:DWORD
	v_cndmask_b32_e64 v20, v0, v7, s[6:7]
; %bb.1132:                             ;   in Loop: Header=BB382_651 Depth=1
	s_or_b64 exec, exec, s[26:27]
	v_lshlrev_b32_e32 v0, 16, v6
	v_mul_f32_e32 v6, v60, v0
	v_and_b32_e32 v0, 0x7f800000, v6
	v_cmp_ne_u32_e64 s[6:7], s9, v0
                                        ; implicit-def: $vgpr51
	s_and_saveexec_b64 s[26:27], s[6:7]
	s_xor_b64 s[6:7], exec, s[26:27]
; %bb.1133:                             ;   in Loop: Header=BB382_651 Depth=1
	v_bfe_u32 v0, v6, 16, 1
	v_add3_u32 v51, v6, v0, s15
                                        ; implicit-def: $vgpr6
; %bb.1134:                             ;   in Loop: Header=BB382_651 Depth=1
	s_andn2_saveexec_b64 s[26:27], s[6:7]
; %bb.1135:                             ;   in Loop: Header=BB382_651 Depth=1
	v_or_b32_e32 v0, 0x10000, v6
	v_cmp_eq_u32_sdwa s[6:7], v6, v33 src0_sel:WORD_0 src1_sel:DWORD
	v_cndmask_b32_e64 v51, v0, v6, s[6:7]
; %bb.1136:                             ;   in Loop: Header=BB382_651 Depth=1
	s_or_b64 exec, exec, s[26:27]
	v_lshlrev_b32_e32 v0, 16, v5
	v_mul_f32_e32 v5, v41, v0
	v_and_b32_e32 v0, 0x7f800000, v5
	v_cmp_ne_u32_e64 s[6:7], s9, v0
                                        ; implicit-def: $vgpr52
	s_and_saveexec_b64 s[26:27], s[6:7]
	s_xor_b64 s[6:7], exec, s[26:27]
; %bb.1137:                             ;   in Loop: Header=BB382_651 Depth=1
	v_bfe_u32 v0, v5, 16, 1
	v_add3_u32 v52, v5, v0, s15
                                        ; implicit-def: $vgpr5
; %bb.1138:                             ;   in Loop: Header=BB382_651 Depth=1
	s_andn2_saveexec_b64 s[26:27], s[6:7]
; %bb.1139:                             ;   in Loop: Header=BB382_651 Depth=1
	v_or_b32_e32 v0, 0x10000, v5
	v_cmp_eq_u32_sdwa s[6:7], v5, v33 src0_sel:WORD_0 src1_sel:DWORD
	v_cndmask_b32_e64 v52, v0, v5, s[6:7]
; %bb.1140:                             ;   in Loop: Header=BB382_651 Depth=1
	s_or_b64 exec, exec, s[26:27]
	flat_load_dwordx2 v[6:7], v[2:3] offset:2048
	v_mov_b32_e32 v5, 0
	s_waitcnt vmcnt(0) lgkmcnt(0)
	v_cmp_ne_u16_sdwa s[6:7], v6, v33 src0_sel:BYTE_0 src1_sel:DWORD
	s_and_saveexec_b64 s[26:27], s[6:7]
	s_cbranch_execz .LBB382_1146
; %bb.1141:                             ;   in Loop: Header=BB382_651 Depth=1
	v_cmp_ne_u16_sdwa s[6:7], v6, s36 src0_sel:BYTE_0 src1_sel:DWORD
	v_bfrev_b32_e32 v5, 1
	s_and_saveexec_b64 s[28:29], s[6:7]
	s_cbranch_execz .LBB382_1145
; %bb.1142:                             ;   in Loop: Header=BB382_651 Depth=1
	v_and_b32_e32 v8, 0x7f, v6
	v_cmp_ne_u32_e64 s[6:7], s37, v8
	v_mov_b32_e32 v5, 0x7f800001
	s_and_saveexec_b64 s[30:31], s[6:7]
	s_cbranch_execz .LBB382_1144
; %bb.1143:                             ;   in Loop: Header=BB382_651 Depth=1
	v_and_b32_e32 v0, 7, v6
	v_ffbh_u32_e32 v0, v0
	v_min_u32_e32 v0, 32, v0
	v_lshrrev_b32_e32 v1, 3, v8
	v_subrev_u32_e32 v5, 28, v0
	v_sub_u32_e32 v0, 29, v0
	v_cmp_gt_u32_e64 s[6:7], 8, v8
	v_cndmask_b32_e64 v0, v1, v0, s[6:7]
	v_cndmask_b32_e64 v1, 0, v5, s[6:7]
	v_lshlrev_b64 v[8:9], v1, v[6:7]
	v_lshlrev_b32_e32 v1, 20, v8
	v_lshlrev_b32_e32 v5, 24, v6
	v_bfrev_b32_e32 v8, 60
	v_and_b32_e32 v1, 0x700000, v1
	v_and_b32_e32 v5, 0x80000000, v5
	v_lshl_add_u32 v0, v0, 23, v8
	v_or3_b32 v5, v5, v0, v1
.LBB382_1144:                           ;   in Loop: Header=BB382_651 Depth=1
	s_or_b64 exec, exec, s[30:31]
.LBB382_1145:                           ;   in Loop: Header=BB382_651 Depth=1
	s_or_b64 exec, exec, s[28:29]
.LBB382_1146:                           ;   in Loop: Header=BB382_651 Depth=1
	s_or_b64 exec, exec, s[26:27]
	v_mul_f32_e32 v5, v30, v5
	v_and_b32_e32 v0, 0x7f800000, v5
	v_cmp_ne_u32_e64 s[6:7], s9, v0
                                        ; implicit-def: $vgpr10
	s_and_saveexec_b64 s[26:27], s[6:7]
	s_xor_b64 s[6:7], exec, s[26:27]
; %bb.1147:                             ;   in Loop: Header=BB382_651 Depth=1
	v_bfe_u32 v0, v5, 16, 1
	v_add3_u32 v10, v5, v0, s15
                                        ; implicit-def: $vgpr5
; %bb.1148:                             ;   in Loop: Header=BB382_651 Depth=1
	s_andn2_saveexec_b64 s[26:27], s[6:7]
; %bb.1149:                             ;   in Loop: Header=BB382_651 Depth=1
	v_or_b32_e32 v0, 0x10000, v5
	v_cmp_eq_u32_sdwa s[6:7], v5, v33 src0_sel:WORD_0 src1_sel:DWORD
	v_cndmask_b32_e64 v10, v0, v5, s[6:7]
; %bb.1150:                             ;   in Loop: Header=BB382_651 Depth=1
	s_or_b64 exec, exec, s[26:27]
	v_lshrrev_b16_e32 v8, 8, v6
	v_cmp_ne_u16_e64 s[6:7], 0, v8
	v_mov_b32_e32 v5, 0
	s_and_saveexec_b64 s[26:27], s[6:7]
	s_cbranch_execz .LBB382_1156
; %bb.1151:                             ;   in Loop: Header=BB382_651 Depth=1
	v_cmp_ne_u16_e64 s[6:7], s36, v8
	v_bfrev_b32_e32 v5, 1
	s_and_saveexec_b64 s[28:29], s[6:7]
	s_cbranch_execz .LBB382_1155
; %bb.1152:                             ;   in Loop: Header=BB382_651 Depth=1
	v_and_b32_e32 v11, 0x7f, v8
	v_cmp_ne_u32_e64 s[6:7], s37, v11
	v_mov_b32_e32 v5, 0x7f800001
	s_and_saveexec_b64 s[30:31], s[6:7]
	s_cbranch_execz .LBB382_1154
; %bb.1153:                             ;   in Loop: Header=BB382_651 Depth=1
	v_and_b32_e32 v0, 7, v8
	v_ffbh_u32_e32 v5, v0
	v_min_u32_e32 v5, 32, v5
	v_subrev_u32_e32 v9, 28, v5
	v_lshlrev_b64 v[8:9], v9, v[8:9]
	v_lshrrev_b32_e32 v1, 3, v11
	v_sub_u32_e32 v5, 29, v5
	v_and_b32_e32 v8, 7, v8
	v_cmp_gt_u32_e64 s[6:7], 8, v11
	v_cndmask_b32_e64 v1, v1, v5, s[6:7]
	v_cndmask_b32_e64 v0, v0, v8, s[6:7]
	v_lshlrev_b32_e32 v5, 16, v6
	v_bfrev_b32_e32 v8, 60
	v_lshlrev_b32_e32 v0, 20, v0
	v_and_b32_e32 v5, 0x80000000, v5
	v_lshl_add_u32 v1, v1, 23, v8
	v_or3_b32 v5, v5, v1, v0
.LBB382_1154:                           ;   in Loop: Header=BB382_651 Depth=1
	s_or_b64 exec, exec, s[30:31]
.LBB382_1155:                           ;   in Loop: Header=BB382_651 Depth=1
	s_or_b64 exec, exec, s[28:29]
.LBB382_1156:                           ;   in Loop: Header=BB382_651 Depth=1
	s_or_b64 exec, exec, s[26:27]
	v_mul_f32_e32 v8, v30, v5
	v_and_b32_e32 v0, 0x7f800000, v8
	v_cmp_ne_u32_e64 s[6:7], s9, v0
                                        ; implicit-def: $vgpr5
	s_and_saveexec_b64 s[26:27], s[6:7]
	s_xor_b64 s[6:7], exec, s[26:27]
; %bb.1157:                             ;   in Loop: Header=BB382_651 Depth=1
	v_bfe_u32 v0, v8, 16, 1
	v_add3_u32 v5, v8, v0, s15
                                        ; implicit-def: $vgpr8
; %bb.1158:                             ;   in Loop: Header=BB382_651 Depth=1
	s_andn2_saveexec_b64 s[26:27], s[6:7]
; %bb.1159:                             ;   in Loop: Header=BB382_651 Depth=1
	v_or_b32_e32 v0, 0x10000, v8
	v_cmp_eq_u32_sdwa s[6:7], v8, v33 src0_sel:WORD_0 src1_sel:DWORD
	v_cndmask_b32_e64 v5, v0, v8, s[6:7]
; %bb.1160:                             ;   in Loop: Header=BB382_651 Depth=1
	s_or_b64 exec, exec, s[26:27]
	v_lshrrev_b32_e32 v8, 16, v6
	v_cmp_ne_u16_sdwa s[6:7], v8, v33 src0_sel:BYTE_0 src1_sel:DWORD
	v_mov_b32_e32 v11, 0
	s_and_saveexec_b64 s[26:27], s[6:7]
	s_cbranch_execz .LBB382_1166
; %bb.1161:                             ;   in Loop: Header=BB382_651 Depth=1
	v_cmp_ne_u16_sdwa s[6:7], v8, s36 src0_sel:BYTE_0 src1_sel:DWORD
	v_bfrev_b32_e32 v11, 1
	s_and_saveexec_b64 s[28:29], s[6:7]
	s_cbranch_execz .LBB382_1165
; %bb.1162:                             ;   in Loop: Header=BB382_651 Depth=1
	v_bfe_u32 v12, v6, 16, 7
	v_cmp_ne_u32_e64 s[6:7], s37, v12
	v_mov_b32_e32 v11, 0x7f800001
	s_and_saveexec_b64 s[30:31], s[6:7]
	s_cbranch_execz .LBB382_1164
; %bb.1163:                             ;   in Loop: Header=BB382_651 Depth=1
	v_and_b32_e32 v0, 7, v8
	v_ffbh_u32_e32 v9, v0
	v_min_u32_e32 v9, 32, v9
	v_subrev_u32_e32 v11, 28, v9
	v_lshlrev_b64 v[26:27], v11, v[8:9]
	v_lshrrev_b32_e32 v1, 3, v12
	v_sub_u32_e32 v9, 29, v9
	v_and_b32_e32 v11, 7, v26
	v_cmp_gt_u32_e64 s[6:7], 8, v12
	v_cndmask_b32_e64 v1, v1, v9, s[6:7]
	v_cndmask_b32_e64 v0, v0, v11, s[6:7]
	v_lshlrev_b32_e32 v8, 24, v8
	v_bfrev_b32_e32 v9, 60
	v_lshlrev_b32_e32 v0, 20, v0
	v_and_b32_e32 v8, 0x80000000, v8
	v_lshl_add_u32 v1, v1, 23, v9
	v_or3_b32 v11, v8, v1, v0
.LBB382_1164:                           ;   in Loop: Header=BB382_651 Depth=1
	s_or_b64 exec, exec, s[30:31]
.LBB382_1165:                           ;   in Loop: Header=BB382_651 Depth=1
	s_or_b64 exec, exec, s[28:29]
.LBB382_1166:                           ;   in Loop: Header=BB382_651 Depth=1
	s_or_b64 exec, exec, s[26:27]
	v_mul_f32_e32 v8, v30, v11
	v_and_b32_e32 v0, 0x7f800000, v8
	v_cmp_ne_u32_e64 s[6:7], s9, v0
                                        ; implicit-def: $vgpr11
	s_and_saveexec_b64 s[26:27], s[6:7]
	s_xor_b64 s[6:7], exec, s[26:27]
; %bb.1167:                             ;   in Loop: Header=BB382_651 Depth=1
	v_bfe_u32 v0, v8, 16, 1
	v_add3_u32 v11, v8, v0, s15
                                        ; implicit-def: $vgpr8
; %bb.1168:                             ;   in Loop: Header=BB382_651 Depth=1
	s_andn2_saveexec_b64 s[26:27], s[6:7]
; %bb.1169:                             ;   in Loop: Header=BB382_651 Depth=1
	v_or_b32_e32 v0, 0x10000, v8
	v_cmp_eq_u32_sdwa s[6:7], v8, v33 src0_sel:WORD_0 src1_sel:DWORD
	v_cndmask_b32_e64 v11, v0, v8, s[6:7]
; %bb.1170:                             ;   in Loop: Header=BB382_651 Depth=1
	s_or_b64 exec, exec, s[26:27]
	v_cmp_lt_u32_e64 s[6:7], s21, v6
	v_mov_b32_e32 v12, 0
	s_and_saveexec_b64 s[26:27], s[6:7]
	s_cbranch_execz .LBB382_1176
; %bb.1171:                             ;   in Loop: Header=BB382_651 Depth=1
	v_lshrrev_b32_e32 v8, 24, v6
	v_cmp_ne_u32_e64 s[6:7], s36, v8
	v_bfrev_b32_e32 v12, 1
	s_and_saveexec_b64 s[28:29], s[6:7]
	s_cbranch_execz .LBB382_1175
; %bb.1172:                             ;   in Loop: Header=BB382_651 Depth=1
	v_bfe_u32 v13, v6, 24, 7
	v_cmp_ne_u32_e64 s[6:7], s37, v13
	v_mov_b32_e32 v12, 0x7f800001
	s_and_saveexec_b64 s[30:31], s[6:7]
	s_cbranch_execz .LBB382_1174
; %bb.1173:                             ;   in Loop: Header=BB382_651 Depth=1
	v_and_b32_e32 v0, 7, v8
	v_ffbh_u32_e32 v9, v0
	v_min_u32_e32 v9, 32, v9
	v_subrev_u32_e32 v12, 28, v9
	v_lshlrev_b64 v[26:27], v12, v[8:9]
	v_lshrrev_b32_e32 v1, 3, v13
	v_sub_u32_e32 v9, 29, v9
	v_and_b32_e32 v12, 7, v26
	v_cmp_gt_u32_e64 s[6:7], 8, v13
	v_cndmask_b32_e64 v1, v1, v9, s[6:7]
	v_cndmask_b32_e64 v0, v0, v12, s[6:7]
	v_lshlrev_b32_e32 v8, 24, v8
	v_bfrev_b32_e32 v9, 60
	v_lshlrev_b32_e32 v0, 20, v0
	v_and_b32_e32 v8, 0x80000000, v8
	v_lshl_add_u32 v1, v1, 23, v9
	v_or3_b32 v12, v8, v1, v0
.LBB382_1174:                           ;   in Loop: Header=BB382_651 Depth=1
	s_or_b64 exec, exec, s[30:31]
.LBB382_1175:                           ;   in Loop: Header=BB382_651 Depth=1
	s_or_b64 exec, exec, s[28:29]
.LBB382_1176:                           ;   in Loop: Header=BB382_651 Depth=1
	s_or_b64 exec, exec, s[26:27]
	v_mul_f32_e32 v8, v30, v12
	v_and_b32_e32 v0, 0x7f800000, v8
	v_cmp_ne_u32_e64 s[6:7], s9, v0
                                        ; implicit-def: $vgpr12
	s_and_saveexec_b64 s[26:27], s[6:7]
	s_xor_b64 s[6:7], exec, s[26:27]
; %bb.1177:                             ;   in Loop: Header=BB382_651 Depth=1
	v_bfe_u32 v0, v8, 16, 1
	v_add3_u32 v12, v8, v0, s15
                                        ; implicit-def: $vgpr8
; %bb.1178:                             ;   in Loop: Header=BB382_651 Depth=1
	s_andn2_saveexec_b64 s[26:27], s[6:7]
; %bb.1179:                             ;   in Loop: Header=BB382_651 Depth=1
	v_or_b32_e32 v0, 0x10000, v8
	v_cmp_eq_u32_sdwa s[6:7], v8, v33 src0_sel:WORD_0 src1_sel:DWORD
	v_cndmask_b32_e64 v12, v0, v8, s[6:7]
; %bb.1180:                             ;   in Loop: Header=BB382_651 Depth=1
	s_or_b64 exec, exec, s[26:27]
	v_mov_b32_e32 v32, v7
	v_cmp_ne_u16_sdwa s[6:7], v7, v33 src0_sel:BYTE_0 src1_sel:DWORD
	v_mov_b32_e32 v8, 0
	s_and_saveexec_b64 s[26:27], s[6:7]
	s_cbranch_execz .LBB382_1186
; %bb.1181:                             ;   in Loop: Header=BB382_651 Depth=1
	v_cmp_ne_u16_sdwa s[6:7], v7, s36 src0_sel:BYTE_0 src1_sel:DWORD
	v_bfrev_b32_e32 v8, 1
	s_and_saveexec_b64 s[28:29], s[6:7]
	s_cbranch_execz .LBB382_1185
; %bb.1182:                             ;   in Loop: Header=BB382_651 Depth=1
	v_and_b32_e32 v9, 0x7f, v7
	v_cmp_ne_u32_e64 s[6:7], s37, v9
	v_mov_b32_e32 v8, 0x7f800001
	s_and_saveexec_b64 s[30:31], s[6:7]
	s_cbranch_execz .LBB382_1184
; %bb.1183:                             ;   in Loop: Header=BB382_651 Depth=1
	v_and_b32_e32 v0, 7, v7
	v_ffbh_u32_e32 v0, v0
	v_min_u32_e32 v0, 32, v0
	v_lshrrev_b32_e32 v1, 3, v9
	v_subrev_u32_e32 v8, 28, v0
	v_sub_u32_e32 v0, 29, v0
	v_cmp_gt_u32_e64 s[6:7], 8, v9
	v_cndmask_b32_e64 v0, v1, v0, s[6:7]
	v_cndmask_b32_e64 v1, 0, v8, s[6:7]
	v_lshlrev_b64 v[8:9], v1, v[32:33]
	v_lshlrev_b32_e32 v1, 20, v8
	v_lshlrev_b32_e32 v8, 24, v32
	v_bfrev_b32_e32 v9, 60
	v_and_b32_e32 v1, 0x700000, v1
	v_and_b32_e32 v8, 0x80000000, v8
	v_lshl_add_u32 v0, v0, 23, v9
	v_or3_b32 v8, v8, v0, v1
.LBB382_1184:                           ;   in Loop: Header=BB382_651 Depth=1
	s_or_b64 exec, exec, s[30:31]
.LBB382_1185:                           ;   in Loop: Header=BB382_651 Depth=1
	s_or_b64 exec, exec, s[28:29]
.LBB382_1186:                           ;   in Loop: Header=BB382_651 Depth=1
	s_or_b64 exec, exec, s[26:27]
	v_mul_f32_e32 v8, v30, v8
	v_and_b32_e32 v0, 0x7f800000, v8
	v_cmp_ne_u32_e64 s[6:7], s9, v0
                                        ; implicit-def: $vgpr13
	s_and_saveexec_b64 s[26:27], s[6:7]
	s_xor_b64 s[6:7], exec, s[26:27]
; %bb.1187:                             ;   in Loop: Header=BB382_651 Depth=1
	v_bfe_u32 v0, v8, 16, 1
	v_add3_u32 v13, v8, v0, s15
                                        ; implicit-def: $vgpr8
; %bb.1188:                             ;   in Loop: Header=BB382_651 Depth=1
	s_andn2_saveexec_b64 s[26:27], s[6:7]
; %bb.1189:                             ;   in Loop: Header=BB382_651 Depth=1
	v_or_b32_e32 v0, 0x10000, v8
	v_cmp_eq_u32_sdwa s[6:7], v8, v33 src0_sel:WORD_0 src1_sel:DWORD
	v_cndmask_b32_e64 v13, v0, v8, s[6:7]
; %bb.1190:                             ;   in Loop: Header=BB382_651 Depth=1
	s_or_b64 exec, exec, s[26:27]
	v_lshrrev_b16_e32 v8, 8, v32
	v_cmp_ne_u16_e64 s[6:7], 0, v8
	v_mov_b32_e32 v21, 0
	s_and_saveexec_b64 s[26:27], s[6:7]
	s_cbranch_execz .LBB382_1196
; %bb.1191:                             ;   in Loop: Header=BB382_651 Depth=1
	v_cmp_ne_u16_e64 s[6:7], s36, v8
	v_bfrev_b32_e32 v21, 1
	s_and_saveexec_b64 s[28:29], s[6:7]
	s_cbranch_execz .LBB382_1195
; %bb.1192:                             ;   in Loop: Header=BB382_651 Depth=1
	v_and_b32_e32 v22, 0x7f, v8
	v_cmp_ne_u32_e64 s[6:7], s37, v22
	v_mov_b32_e32 v21, 0x7f800001
	s_and_saveexec_b64 s[30:31], s[6:7]
	s_cbranch_execz .LBB382_1194
; %bb.1193:                             ;   in Loop: Header=BB382_651 Depth=1
	v_and_b32_e32 v0, 7, v8
	v_ffbh_u32_e32 v9, v0
	v_min_u32_e32 v16, 32, v9
	v_subrev_u32_e32 v9, 28, v16
	v_lshlrev_b64 v[8:9], v9, v[8:9]
	v_lshrrev_b32_e32 v1, 3, v22
	v_sub_u32_e32 v9, 29, v16
	v_and_b32_e32 v8, 7, v8
	v_cmp_gt_u32_e64 s[6:7], 8, v22
	v_cndmask_b32_e64 v1, v1, v9, s[6:7]
	v_cndmask_b32_e64 v0, v0, v8, s[6:7]
	v_lshlrev_b32_e32 v8, 16, v32
	v_bfrev_b32_e32 v9, 60
	v_lshlrev_b32_e32 v0, 20, v0
	v_and_b32_e32 v8, 0x80000000, v8
	v_lshl_add_u32 v1, v1, 23, v9
	v_or3_b32 v21, v8, v1, v0
.LBB382_1194:                           ;   in Loop: Header=BB382_651 Depth=1
	s_or_b64 exec, exec, s[30:31]
.LBB382_1195:                           ;   in Loop: Header=BB382_651 Depth=1
	s_or_b64 exec, exec, s[28:29]
.LBB382_1196:                           ;   in Loop: Header=BB382_651 Depth=1
	s_or_b64 exec, exec, s[26:27]
	v_mul_f32_e32 v8, v30, v21
	v_and_b32_e32 v0, 0x7f800000, v8
	v_cmp_ne_u32_e64 s[6:7], s9, v0
                                        ; implicit-def: $vgpr21
	s_and_saveexec_b64 s[26:27], s[6:7]
	s_xor_b64 s[6:7], exec, s[26:27]
; %bb.1197:                             ;   in Loop: Header=BB382_651 Depth=1
	v_bfe_u32 v0, v8, 16, 1
	v_add3_u32 v21, v8, v0, s15
                                        ; implicit-def: $vgpr8
; %bb.1198:                             ;   in Loop: Header=BB382_651 Depth=1
	s_andn2_saveexec_b64 s[26:27], s[6:7]
; %bb.1199:                             ;   in Loop: Header=BB382_651 Depth=1
	v_or_b32_e32 v0, 0x10000, v8
	v_cmp_eq_u32_sdwa s[6:7], v8, v33 src0_sel:WORD_0 src1_sel:DWORD
	v_cndmask_b32_e64 v21, v0, v8, s[6:7]
; %bb.1200:                             ;   in Loop: Header=BB382_651 Depth=1
	s_or_b64 exec, exec, s[26:27]
	v_lshrrev_b32_e32 v8, 16, v7
	v_cmp_ne_u16_sdwa s[6:7], v8, v33 src0_sel:BYTE_0 src1_sel:DWORD
	v_mov_b32_e32 v22, 0
	s_and_saveexec_b64 s[26:27], s[6:7]
	s_cbranch_execz .LBB382_1206
; %bb.1201:                             ;   in Loop: Header=BB382_651 Depth=1
	v_cmp_ne_u16_sdwa s[6:7], v8, s36 src0_sel:BYTE_0 src1_sel:DWORD
	v_bfrev_b32_e32 v22, 1
	s_and_saveexec_b64 s[28:29], s[6:7]
	s_cbranch_execz .LBB382_1205
; %bb.1202:                             ;   in Loop: Header=BB382_651 Depth=1
	v_bfe_u32 v26, v7, 16, 7
	v_cmp_ne_u32_e64 s[6:7], s37, v26
	v_mov_b32_e32 v22, 0x7f800001
	s_and_saveexec_b64 s[30:31], s[6:7]
	s_cbranch_execz .LBB382_1204
; %bb.1203:                             ;   in Loop: Header=BB382_651 Depth=1
	v_and_b32_e32 v0, 7, v8
	v_ffbh_u32_e32 v9, v0
	v_min_u32_e32 v9, 32, v9
	v_subrev_u32_e32 v16, 28, v9
	v_lshlrev_b64 v[34:35], v16, v[8:9]
	v_lshrrev_b32_e32 v1, 3, v26
	v_sub_u32_e32 v9, 29, v9
	v_and_b32_e32 v16, 7, v34
	v_cmp_gt_u32_e64 s[6:7], 8, v26
	v_cndmask_b32_e64 v1, v1, v9, s[6:7]
	v_cndmask_b32_e64 v0, v0, v16, s[6:7]
	v_lshlrev_b32_e32 v8, 24, v8
	v_bfrev_b32_e32 v9, 60
	v_lshlrev_b32_e32 v0, 20, v0
	v_and_b32_e32 v8, 0x80000000, v8
	v_lshl_add_u32 v1, v1, 23, v9
	v_or3_b32 v22, v8, v1, v0
.LBB382_1204:                           ;   in Loop: Header=BB382_651 Depth=1
	s_or_b64 exec, exec, s[30:31]
.LBB382_1205:                           ;   in Loop: Header=BB382_651 Depth=1
	s_or_b64 exec, exec, s[28:29]
.LBB382_1206:                           ;   in Loop: Header=BB382_651 Depth=1
	s_or_b64 exec, exec, s[26:27]
	v_mul_f32_e32 v8, v30, v22
	v_and_b32_e32 v0, 0x7f800000, v8
	v_cmp_ne_u32_e64 s[6:7], s9, v0
                                        ; implicit-def: $vgpr22
	s_and_saveexec_b64 s[26:27], s[6:7]
	s_xor_b64 s[6:7], exec, s[26:27]
; %bb.1207:                             ;   in Loop: Header=BB382_651 Depth=1
	v_bfe_u32 v0, v8, 16, 1
	v_add3_u32 v22, v8, v0, s15
                                        ; implicit-def: $vgpr8
; %bb.1208:                             ;   in Loop: Header=BB382_651 Depth=1
	s_andn2_saveexec_b64 s[26:27], s[6:7]
; %bb.1209:                             ;   in Loop: Header=BB382_651 Depth=1
	v_or_b32_e32 v0, 0x10000, v8
	v_cmp_eq_u32_sdwa s[6:7], v8, v33 src0_sel:WORD_0 src1_sel:DWORD
	v_cndmask_b32_e64 v22, v0, v8, s[6:7]
; %bb.1210:                             ;   in Loop: Header=BB382_651 Depth=1
	s_or_b64 exec, exec, s[26:27]
	v_cmp_lt_u64_e64 s[6:7], s[20:21], v[6:7]
	v_mov_b32_e32 v8, 0
	s_and_saveexec_b64 s[26:27], s[6:7]
	s_cbranch_execz .LBB382_1216
; %bb.1211:                             ;   in Loop: Header=BB382_651 Depth=1
	v_lshrrev_b32_e32 v6, 24, v7
	v_cmp_ne_u32_e64 s[6:7], s36, v6
	v_bfrev_b32_e32 v8, 1
	s_and_saveexec_b64 s[28:29], s[6:7]
	s_cbranch_execz .LBB382_1215
; %bb.1212:                             ;   in Loop: Header=BB382_651 Depth=1
	v_bfe_u32 v7, v7, 24, 7
	v_cmp_ne_u32_e64 s[6:7], s37, v7
	v_mov_b32_e32 v8, 0x7f800001
	s_and_saveexec_b64 s[30:31], s[6:7]
	s_cbranch_execz .LBB382_1214
; %bb.1213:                             ;   in Loop: Header=BB382_651 Depth=1
	v_and_b32_e32 v0, 7, v6
	v_ffbh_u32_e32 v8, v0
	v_min_u32_e32 v16, 32, v8
	v_subrev_u32_e32 v8, 28, v16
	v_lshlrev_b64 v[8:9], v8, v[6:7]
	v_lshrrev_b32_e32 v1, 3, v7
	v_sub_u32_e32 v9, 29, v16
	v_and_b32_e32 v8, 7, v8
	v_cmp_gt_u32_e64 s[6:7], 8, v7
	v_cndmask_b32_e64 v1, v1, v9, s[6:7]
	v_cndmask_b32_e64 v0, v0, v8, s[6:7]
	v_lshlrev_b32_e32 v6, 24, v6
	v_bfrev_b32_e32 v7, 60
	v_lshlrev_b32_e32 v0, 20, v0
	v_and_b32_e32 v6, 0x80000000, v6
	v_lshl_add_u32 v1, v1, 23, v7
	v_or3_b32 v8, v6, v1, v0
.LBB382_1214:                           ;   in Loop: Header=BB382_651 Depth=1
	s_or_b64 exec, exec, s[30:31]
.LBB382_1215:                           ;   in Loop: Header=BB382_651 Depth=1
	s_or_b64 exec, exec, s[28:29]
.LBB382_1216:                           ;   in Loop: Header=BB382_651 Depth=1
	s_or_b64 exec, exec, s[26:27]
	v_mul_f32_e32 v6, v30, v8
	v_and_b32_e32 v0, 0x7f800000, v6
	v_cmp_ne_u32_e64 s[6:7], s9, v0
                                        ; implicit-def: $vgpr26
	s_and_saveexec_b64 s[26:27], s[6:7]
	s_xor_b64 s[6:7], exec, s[26:27]
; %bb.1217:                             ;   in Loop: Header=BB382_651 Depth=1
	v_bfe_u32 v0, v6, 16, 1
	v_add3_u32 v26, v6, v0, s15
                                        ; implicit-def: $vgpr6
; %bb.1218:                             ;   in Loop: Header=BB382_651 Depth=1
	s_andn2_saveexec_b64 s[26:27], s[6:7]
; %bb.1219:                             ;   in Loop: Header=BB382_651 Depth=1
	v_or_b32_e32 v0, 0x10000, v6
	v_cmp_eq_u32_sdwa s[6:7], v6, v33 src0_sel:WORD_0 src1_sel:DWORD
	v_cndmask_b32_e64 v26, v0, v6, s[6:7]
; %bb.1220:                             ;   in Loop: Header=BB382_651 Depth=1
	s_or_b64 exec, exec, s[26:27]
	v_lshrrev_b32_e32 v7, 16, v21
	v_lshrrev_b32_e32 v8, 16, v13
	;; [unrolled: 1-line block ×8, first 2 shown]
	s_and_saveexec_b64 s[26:27], s[4:5]
	s_cbranch_execz .LBB382_1222
; %bb.1221:                             ;   in Loop: Header=BB382_651 Depth=1
	v_accvgpr_read_b32 v1, a3
	v_cmp_lt_i32_e64 s[6:7], v43, v1
	v_add_u32_e32 v0, 1, v43
	v_cndmask_b32_e64 v10, 0, v10, s[6:7]
	v_cmp_lt_i32_e64 s[6:7], v0, v1
	v_add_u32_e32 v0, 2, v43
	v_cndmask_b32_e64 v13, 0, v13, s[6:7]
	;; [unrolled: 3-line block ×7, first 2 shown]
	v_cmp_lt_i32_e64 s[6:7], v0, v1
	v_cndmask_b32_e64 v5, 0, v5, s[6:7]
.LBB382_1222:                           ;   in Loop: Header=BB382_651 Depth=1
	s_or_b64 exec, exec, s[26:27]
	v_lshlrev_b32_e32 v0, 16, v10
	v_mul_f32_e32 v10, v44, v0
	v_and_b32_e32 v0, 0x7f800000, v10
	v_cmp_ne_u32_e64 s[6:7], s9, v0
                                        ; implicit-def: $vgpr53
	s_and_saveexec_b64 s[26:27], s[6:7]
	s_xor_b64 s[6:7], exec, s[26:27]
; %bb.1223:                             ;   in Loop: Header=BB382_651 Depth=1
	v_bfe_u32 v0, v10, 16, 1
	v_add3_u32 v53, v10, v0, s15
                                        ; implicit-def: $vgpr10
; %bb.1224:                             ;   in Loop: Header=BB382_651 Depth=1
	s_andn2_saveexec_b64 s[26:27], s[6:7]
; %bb.1225:                             ;   in Loop: Header=BB382_651 Depth=1
	v_or_b32_e32 v0, 0x10000, v10
	v_cmp_eq_u32_sdwa s[6:7], v10, v33 src0_sel:WORD_0 src1_sel:DWORD
	v_cndmask_b32_e64 v53, v0, v10, s[6:7]
; %bb.1226:                             ;   in Loop: Header=BB382_651 Depth=1
	s_or_b64 exec, exec, s[26:27]
	v_lshlrev_b32_e32 v0, 16, v13
	v_mul_f32_e32 v10, v46, v0
	v_and_b32_e32 v0, 0x7f800000, v10
	v_cmp_ne_u32_e64 s[6:7], s9, v0
                                        ; implicit-def: $vgpr54
	s_and_saveexec_b64 s[26:27], s[6:7]
	s_xor_b64 s[6:7], exec, s[26:27]
; %bb.1227:                             ;   in Loop: Header=BB382_651 Depth=1
	v_bfe_u32 v0, v10, 16, 1
	v_add3_u32 v54, v10, v0, s15
                                        ; implicit-def: $vgpr10
; %bb.1228:                             ;   in Loop: Header=BB382_651 Depth=1
	s_andn2_saveexec_b64 s[26:27], s[6:7]
; %bb.1229:                             ;   in Loop: Header=BB382_651 Depth=1
	v_or_b32_e32 v0, 0x10000, v10
	v_cmp_eq_u32_sdwa s[6:7], v10, v33 src0_sel:WORD_0 src1_sel:DWORD
	v_cndmask_b32_e64 v54, v0, v10, s[6:7]
; %bb.1230:                             ;   in Loop: Header=BB382_651 Depth=1
	s_or_b64 exec, exec, s[26:27]
	v_lshlrev_b32_e32 v0, 16, v11
	v_mul_f32_e32 v10, v47, v0
	v_and_b32_e32 v0, 0x7f800000, v10
	v_cmp_ne_u32_e64 s[6:7], s9, v0
                                        ; implicit-def: $vgpr55
	s_and_saveexec_b64 s[26:27], s[6:7]
	s_xor_b64 s[6:7], exec, s[26:27]
; %bb.1231:                             ;   in Loop: Header=BB382_651 Depth=1
	v_bfe_u32 v0, v10, 16, 1
	v_add3_u32 v55, v10, v0, s15
                                        ; implicit-def: $vgpr10
; %bb.1232:                             ;   in Loop: Header=BB382_651 Depth=1
	s_andn2_saveexec_b64 s[26:27], s[6:7]
; %bb.1233:                             ;   in Loop: Header=BB382_651 Depth=1
	v_or_b32_e32 v0, 0x10000, v10
	v_cmp_eq_u32_sdwa s[6:7], v10, v33 src0_sel:WORD_0 src1_sel:DWORD
	v_cndmask_b32_e64 v55, v0, v10, s[6:7]
; %bb.1234:                             ;   in Loop: Header=BB382_651 Depth=1
	s_or_b64 exec, exec, s[26:27]
	v_lshlrev_b32_e32 v0, 16, v12
	v_mul_f32_e32 v10, v56, v0
	v_and_b32_e32 v0, 0x7f800000, v10
	v_cmp_ne_u32_e64 s[6:7], s9, v0
                                        ; implicit-def: $vgpr42
	s_and_saveexec_b64 s[26:27], s[6:7]
	s_xor_b64 s[6:7], exec, s[26:27]
; %bb.1235:                             ;   in Loop: Header=BB382_651 Depth=1
	v_bfe_u32 v0, v10, 16, 1
	v_add3_u32 v42, v10, v0, s15
                                        ; implicit-def: $vgpr10
; %bb.1236:                             ;   in Loop: Header=BB382_651 Depth=1
	s_andn2_saveexec_b64 s[26:27], s[6:7]
; %bb.1237:                             ;   in Loop: Header=BB382_651 Depth=1
	v_or_b32_e32 v0, 0x10000, v10
	v_cmp_eq_u32_sdwa s[6:7], v10, v33 src0_sel:WORD_0 src1_sel:DWORD
	v_cndmask_b32_e64 v42, v0, v10, s[6:7]
; %bb.1238:                             ;   in Loop: Header=BB382_651 Depth=1
	s_or_b64 exec, exec, s[26:27]
	v_lshlrev_b32_e32 v0, 16, v8
	v_mul_f32_e32 v8, v57, v0
	v_and_b32_e32 v0, 0x7f800000, v8
	v_cmp_ne_u32_e64 s[6:7], s9, v0
                                        ; implicit-def: $vgpr38
	s_and_saveexec_b64 s[26:27], s[6:7]
	s_xor_b64 s[6:7], exec, s[26:27]
; %bb.1239:                             ;   in Loop: Header=BB382_651 Depth=1
	v_bfe_u32 v0, v8, 16, 1
	v_add3_u32 v38, v8, v0, s15
                                        ; implicit-def: $vgpr8
; %bb.1240:                             ;   in Loop: Header=BB382_651 Depth=1
	s_andn2_saveexec_b64 s[26:27], s[6:7]
; %bb.1241:                             ;   in Loop: Header=BB382_651 Depth=1
	v_or_b32_e32 v0, 0x10000, v8
	v_cmp_eq_u32_sdwa s[6:7], v8, v33 src0_sel:WORD_0 src1_sel:DWORD
	v_cndmask_b32_e64 v38, v0, v8, s[6:7]
; %bb.1242:                             ;   in Loop: Header=BB382_651 Depth=1
	s_or_b64 exec, exec, s[26:27]
	v_lshlrev_b32_e32 v0, 16, v7
	v_mul_f32_e32 v7, v58, v0
	v_and_b32_e32 v0, 0x7f800000, v7
	v_cmp_ne_u32_e64 s[6:7], s9, v0
                                        ; implicit-def: $vgpr39
	s_and_saveexec_b64 s[26:27], s[6:7]
	s_xor_b64 s[6:7], exec, s[26:27]
; %bb.1243:                             ;   in Loop: Header=BB382_651 Depth=1
	v_bfe_u32 v0, v7, 16, 1
	v_add3_u32 v39, v7, v0, s15
                                        ; implicit-def: $vgpr7
; %bb.1244:                             ;   in Loop: Header=BB382_651 Depth=1
	s_andn2_saveexec_b64 s[26:27], s[6:7]
; %bb.1245:                             ;   in Loop: Header=BB382_651 Depth=1
	v_or_b32_e32 v0, 0x10000, v7
	v_cmp_eq_u32_sdwa s[6:7], v7, v33 src0_sel:WORD_0 src1_sel:DWORD
	v_cndmask_b32_e64 v39, v0, v7, s[6:7]
; %bb.1246:                             ;   in Loop: Header=BB382_651 Depth=1
	s_or_b64 exec, exec, s[26:27]
	v_lshlrev_b32_e32 v0, 16, v6
	v_mul_f32_e32 v6, v60, v0
	v_and_b32_e32 v0, 0x7f800000, v6
	v_cmp_ne_u32_e64 s[6:7], s9, v0
                                        ; implicit-def: $vgpr34
	s_and_saveexec_b64 s[26:27], s[6:7]
	s_xor_b64 s[6:7], exec, s[26:27]
; %bb.1247:                             ;   in Loop: Header=BB382_651 Depth=1
	v_bfe_u32 v0, v6, 16, 1
	v_add3_u32 v34, v6, v0, s15
                                        ; implicit-def: $vgpr6
; %bb.1248:                             ;   in Loop: Header=BB382_651 Depth=1
	s_andn2_saveexec_b64 s[26:27], s[6:7]
; %bb.1249:                             ;   in Loop: Header=BB382_651 Depth=1
	v_or_b32_e32 v0, 0x10000, v6
	v_cmp_eq_u32_sdwa s[6:7], v6, v33 src0_sel:WORD_0 src1_sel:DWORD
	v_cndmask_b32_e64 v34, v0, v6, s[6:7]
; %bb.1250:                             ;   in Loop: Header=BB382_651 Depth=1
	s_or_b64 exec, exec, s[26:27]
	v_lshlrev_b32_e32 v0, 16, v5
	v_mul_f32_e32 v5, v41, v0
	v_and_b32_e32 v0, 0x7f800000, v5
	v_cmp_ne_u32_e64 s[6:7], s9, v0
                                        ; implicit-def: $vgpr50
	s_and_saveexec_b64 s[26:27], s[6:7]
	s_xor_b64 s[6:7], exec, s[26:27]
; %bb.1251:                             ;   in Loop: Header=BB382_651 Depth=1
	v_bfe_u32 v0, v5, 16, 1
	v_add3_u32 v50, v5, v0, s15
                                        ; implicit-def: $vgpr5
; %bb.1252:                             ;   in Loop: Header=BB382_651 Depth=1
	s_andn2_saveexec_b64 s[26:27], s[6:7]
; %bb.1253:                             ;   in Loop: Header=BB382_651 Depth=1
	v_or_b32_e32 v0, 0x10000, v5
	v_cmp_eq_u32_sdwa s[6:7], v5, v33 src0_sel:WORD_0 src1_sel:DWORD
	v_cndmask_b32_e64 v50, v0, v5, s[6:7]
; %bb.1254:                             ;   in Loop: Header=BB382_651 Depth=1
	s_or_b64 exec, exec, s[26:27]
	flat_load_dwordx2 v[6:7], v[2:3] offset:2560
	v_mov_b32_e32 v5, 0
	s_waitcnt vmcnt(0) lgkmcnt(0)
	v_cmp_ne_u16_sdwa s[6:7], v6, v33 src0_sel:BYTE_0 src1_sel:DWORD
	s_and_saveexec_b64 s[26:27], s[6:7]
	s_cbranch_execz .LBB382_1260
; %bb.1255:                             ;   in Loop: Header=BB382_651 Depth=1
	v_cmp_ne_u16_sdwa s[6:7], v6, s36 src0_sel:BYTE_0 src1_sel:DWORD
	v_bfrev_b32_e32 v5, 1
	s_and_saveexec_b64 s[28:29], s[6:7]
	s_cbranch_execz .LBB382_1259
; %bb.1256:                             ;   in Loop: Header=BB382_651 Depth=1
	v_and_b32_e32 v8, 0x7f, v6
	v_cmp_ne_u32_e64 s[6:7], s37, v8
	v_mov_b32_e32 v5, 0x7f800001
	s_and_saveexec_b64 s[30:31], s[6:7]
	s_cbranch_execz .LBB382_1258
; %bb.1257:                             ;   in Loop: Header=BB382_651 Depth=1
	v_and_b32_e32 v0, 7, v6
	v_ffbh_u32_e32 v0, v0
	v_min_u32_e32 v0, 32, v0
	v_lshrrev_b32_e32 v1, 3, v8
	v_subrev_u32_e32 v5, 28, v0
	v_sub_u32_e32 v0, 29, v0
	v_cmp_gt_u32_e64 s[6:7], 8, v8
	v_cndmask_b32_e64 v0, v1, v0, s[6:7]
	v_cndmask_b32_e64 v1, 0, v5, s[6:7]
	v_lshlrev_b64 v[8:9], v1, v[6:7]
	v_lshlrev_b32_e32 v1, 20, v8
	v_lshlrev_b32_e32 v5, 24, v6
	v_bfrev_b32_e32 v8, 60
	v_and_b32_e32 v1, 0x700000, v1
	v_and_b32_e32 v5, 0x80000000, v5
	v_lshl_add_u32 v0, v0, 23, v8
	v_or3_b32 v5, v5, v0, v1
.LBB382_1258:                           ;   in Loop: Header=BB382_651 Depth=1
	s_or_b64 exec, exec, s[30:31]
.LBB382_1259:                           ;   in Loop: Header=BB382_651 Depth=1
	s_or_b64 exec, exec, s[28:29]
.LBB382_1260:                           ;   in Loop: Header=BB382_651 Depth=1
	s_or_b64 exec, exec, s[26:27]
	v_mul_f32_e32 v5, v30, v5
	v_and_b32_e32 v0, 0x7f800000, v5
	v_cmp_ne_u32_e64 s[6:7], s9, v0
                                        ; implicit-def: $vgpr10
	s_and_saveexec_b64 s[26:27], s[6:7]
	s_xor_b64 s[6:7], exec, s[26:27]
; %bb.1261:                             ;   in Loop: Header=BB382_651 Depth=1
	v_bfe_u32 v0, v5, 16, 1
	v_add3_u32 v10, v5, v0, s15
                                        ; implicit-def: $vgpr5
; %bb.1262:                             ;   in Loop: Header=BB382_651 Depth=1
	s_andn2_saveexec_b64 s[26:27], s[6:7]
; %bb.1263:                             ;   in Loop: Header=BB382_651 Depth=1
	v_or_b32_e32 v0, 0x10000, v5
	v_cmp_eq_u32_sdwa s[6:7], v5, v33 src0_sel:WORD_0 src1_sel:DWORD
	v_cndmask_b32_e64 v10, v0, v5, s[6:7]
; %bb.1264:                             ;   in Loop: Header=BB382_651 Depth=1
	s_or_b64 exec, exec, s[26:27]
	v_lshrrev_b16_e32 v8, 8, v6
	v_cmp_ne_u16_e64 s[6:7], 0, v8
	v_mov_b32_e32 v5, 0
	s_and_saveexec_b64 s[26:27], s[6:7]
	s_cbranch_execz .LBB382_1270
; %bb.1265:                             ;   in Loop: Header=BB382_651 Depth=1
	v_cmp_ne_u16_e64 s[6:7], s36, v8
	v_bfrev_b32_e32 v5, 1
	s_and_saveexec_b64 s[28:29], s[6:7]
	s_cbranch_execz .LBB382_1269
; %bb.1266:                             ;   in Loop: Header=BB382_651 Depth=1
	v_and_b32_e32 v11, 0x7f, v8
	v_cmp_ne_u32_e64 s[6:7], s37, v11
	v_mov_b32_e32 v5, 0x7f800001
	s_and_saveexec_b64 s[30:31], s[6:7]
	s_cbranch_execz .LBB382_1268
; %bb.1267:                             ;   in Loop: Header=BB382_651 Depth=1
	v_and_b32_e32 v0, 7, v8
	v_ffbh_u32_e32 v5, v0
	v_min_u32_e32 v5, 32, v5
	v_subrev_u32_e32 v9, 28, v5
	v_lshlrev_b64 v[8:9], v9, v[8:9]
	v_lshrrev_b32_e32 v1, 3, v11
	v_sub_u32_e32 v5, 29, v5
	v_and_b32_e32 v8, 7, v8
	v_cmp_gt_u32_e64 s[6:7], 8, v11
	v_cndmask_b32_e64 v1, v1, v5, s[6:7]
	v_cndmask_b32_e64 v0, v0, v8, s[6:7]
	v_lshlrev_b32_e32 v5, 16, v6
	v_bfrev_b32_e32 v8, 60
	v_lshlrev_b32_e32 v0, 20, v0
	v_and_b32_e32 v5, 0x80000000, v5
	v_lshl_add_u32 v1, v1, 23, v8
	v_or3_b32 v5, v5, v1, v0
.LBB382_1268:                           ;   in Loop: Header=BB382_651 Depth=1
	s_or_b64 exec, exec, s[30:31]
.LBB382_1269:                           ;   in Loop: Header=BB382_651 Depth=1
	s_or_b64 exec, exec, s[28:29]
.LBB382_1270:                           ;   in Loop: Header=BB382_651 Depth=1
	s_or_b64 exec, exec, s[26:27]
	v_mul_f32_e32 v8, v30, v5
	v_and_b32_e32 v0, 0x7f800000, v8
	v_cmp_ne_u32_e64 s[6:7], s9, v0
                                        ; implicit-def: $vgpr5
	s_and_saveexec_b64 s[26:27], s[6:7]
	s_xor_b64 s[6:7], exec, s[26:27]
; %bb.1271:                             ;   in Loop: Header=BB382_651 Depth=1
	v_bfe_u32 v0, v8, 16, 1
	v_add3_u32 v5, v8, v0, s15
                                        ; implicit-def: $vgpr8
; %bb.1272:                             ;   in Loop: Header=BB382_651 Depth=1
	s_andn2_saveexec_b64 s[26:27], s[6:7]
; %bb.1273:                             ;   in Loop: Header=BB382_651 Depth=1
	v_or_b32_e32 v0, 0x10000, v8
	v_cmp_eq_u32_sdwa s[6:7], v8, v33 src0_sel:WORD_0 src1_sel:DWORD
	v_cndmask_b32_e64 v5, v0, v8, s[6:7]
; %bb.1274:                             ;   in Loop: Header=BB382_651 Depth=1
	s_or_b64 exec, exec, s[26:27]
	v_lshrrev_b32_e32 v8, 16, v6
	v_cmp_ne_u16_sdwa s[6:7], v8, v33 src0_sel:BYTE_0 src1_sel:DWORD
	v_mov_b32_e32 v11, 0
	s_and_saveexec_b64 s[26:27], s[6:7]
	s_cbranch_execz .LBB382_1280
; %bb.1275:                             ;   in Loop: Header=BB382_651 Depth=1
	v_cmp_ne_u16_sdwa s[6:7], v8, s36 src0_sel:BYTE_0 src1_sel:DWORD
	v_bfrev_b32_e32 v11, 1
	s_and_saveexec_b64 s[28:29], s[6:7]
	s_cbranch_execz .LBB382_1279
; %bb.1276:                             ;   in Loop: Header=BB382_651 Depth=1
	v_bfe_u32 v12, v6, 16, 7
	v_cmp_ne_u32_e64 s[6:7], s37, v12
	v_mov_b32_e32 v11, 0x7f800001
	s_and_saveexec_b64 s[30:31], s[6:7]
	s_cbranch_execz .LBB382_1278
; %bb.1277:                             ;   in Loop: Header=BB382_651 Depth=1
	v_and_b32_e32 v0, 7, v8
	v_ffbh_u32_e32 v9, v0
	v_min_u32_e32 v9, 32, v9
	v_subrev_u32_e32 v11, 28, v9
	v_lshlrev_b64 v[26:27], v11, v[8:9]
	v_lshrrev_b32_e32 v1, 3, v12
	v_sub_u32_e32 v9, 29, v9
	v_and_b32_e32 v11, 7, v26
	v_cmp_gt_u32_e64 s[6:7], 8, v12
	v_cndmask_b32_e64 v1, v1, v9, s[6:7]
	v_cndmask_b32_e64 v0, v0, v11, s[6:7]
	v_lshlrev_b32_e32 v8, 24, v8
	v_bfrev_b32_e32 v9, 60
	v_lshlrev_b32_e32 v0, 20, v0
	v_and_b32_e32 v8, 0x80000000, v8
	v_lshl_add_u32 v1, v1, 23, v9
	v_or3_b32 v11, v8, v1, v0
.LBB382_1278:                           ;   in Loop: Header=BB382_651 Depth=1
	s_or_b64 exec, exec, s[30:31]
.LBB382_1279:                           ;   in Loop: Header=BB382_651 Depth=1
	s_or_b64 exec, exec, s[28:29]
.LBB382_1280:                           ;   in Loop: Header=BB382_651 Depth=1
	s_or_b64 exec, exec, s[26:27]
	v_mul_f32_e32 v8, v30, v11
	v_and_b32_e32 v0, 0x7f800000, v8
	v_cmp_ne_u32_e64 s[6:7], s9, v0
                                        ; implicit-def: $vgpr11
	s_and_saveexec_b64 s[26:27], s[6:7]
	s_xor_b64 s[6:7], exec, s[26:27]
; %bb.1281:                             ;   in Loop: Header=BB382_651 Depth=1
	v_bfe_u32 v0, v8, 16, 1
	v_add3_u32 v11, v8, v0, s15
                                        ; implicit-def: $vgpr8
; %bb.1282:                             ;   in Loop: Header=BB382_651 Depth=1
	s_andn2_saveexec_b64 s[26:27], s[6:7]
; %bb.1283:                             ;   in Loop: Header=BB382_651 Depth=1
	v_or_b32_e32 v0, 0x10000, v8
	v_cmp_eq_u32_sdwa s[6:7], v8, v33 src0_sel:WORD_0 src1_sel:DWORD
	v_cndmask_b32_e64 v11, v0, v8, s[6:7]
; %bb.1284:                             ;   in Loop: Header=BB382_651 Depth=1
	s_or_b64 exec, exec, s[26:27]
	v_cmp_lt_u32_e64 s[6:7], s21, v6
	v_mov_b32_e32 v12, 0
	s_and_saveexec_b64 s[26:27], s[6:7]
	s_cbranch_execz .LBB382_1290
; %bb.1285:                             ;   in Loop: Header=BB382_651 Depth=1
	v_lshrrev_b32_e32 v8, 24, v6
	v_cmp_ne_u32_e64 s[6:7], s36, v8
	v_bfrev_b32_e32 v12, 1
	s_and_saveexec_b64 s[28:29], s[6:7]
	s_cbranch_execz .LBB382_1289
; %bb.1286:                             ;   in Loop: Header=BB382_651 Depth=1
	v_bfe_u32 v13, v6, 24, 7
	v_cmp_ne_u32_e64 s[6:7], s37, v13
	v_mov_b32_e32 v12, 0x7f800001
	s_and_saveexec_b64 s[30:31], s[6:7]
	s_cbranch_execz .LBB382_1288
; %bb.1287:                             ;   in Loop: Header=BB382_651 Depth=1
	v_and_b32_e32 v0, 7, v8
	v_ffbh_u32_e32 v9, v0
	v_min_u32_e32 v9, 32, v9
	v_subrev_u32_e32 v12, 28, v9
	v_lshlrev_b64 v[26:27], v12, v[8:9]
	v_lshrrev_b32_e32 v1, 3, v13
	v_sub_u32_e32 v9, 29, v9
	v_and_b32_e32 v12, 7, v26
	v_cmp_gt_u32_e64 s[6:7], 8, v13
	v_cndmask_b32_e64 v1, v1, v9, s[6:7]
	v_cndmask_b32_e64 v0, v0, v12, s[6:7]
	v_lshlrev_b32_e32 v8, 24, v8
	v_bfrev_b32_e32 v9, 60
	v_lshlrev_b32_e32 v0, 20, v0
	v_and_b32_e32 v8, 0x80000000, v8
	v_lshl_add_u32 v1, v1, 23, v9
	v_or3_b32 v12, v8, v1, v0
.LBB382_1288:                           ;   in Loop: Header=BB382_651 Depth=1
	s_or_b64 exec, exec, s[30:31]
.LBB382_1289:                           ;   in Loop: Header=BB382_651 Depth=1
	s_or_b64 exec, exec, s[28:29]
.LBB382_1290:                           ;   in Loop: Header=BB382_651 Depth=1
	s_or_b64 exec, exec, s[26:27]
	v_mul_f32_e32 v8, v30, v12
	v_and_b32_e32 v0, 0x7f800000, v8
	v_cmp_ne_u32_e64 s[6:7], s9, v0
                                        ; implicit-def: $vgpr12
	s_and_saveexec_b64 s[26:27], s[6:7]
	s_xor_b64 s[6:7], exec, s[26:27]
; %bb.1291:                             ;   in Loop: Header=BB382_651 Depth=1
	v_bfe_u32 v0, v8, 16, 1
	v_add3_u32 v12, v8, v0, s15
                                        ; implicit-def: $vgpr8
; %bb.1292:                             ;   in Loop: Header=BB382_651 Depth=1
	s_andn2_saveexec_b64 s[26:27], s[6:7]
; %bb.1293:                             ;   in Loop: Header=BB382_651 Depth=1
	v_or_b32_e32 v0, 0x10000, v8
	v_cmp_eq_u32_sdwa s[6:7], v8, v33 src0_sel:WORD_0 src1_sel:DWORD
	v_cndmask_b32_e64 v12, v0, v8, s[6:7]
; %bb.1294:                             ;   in Loop: Header=BB382_651 Depth=1
	s_or_b64 exec, exec, s[26:27]
	v_mov_b32_e32 v32, v7
	v_cmp_ne_u16_sdwa s[6:7], v7, v33 src0_sel:BYTE_0 src1_sel:DWORD
	v_mov_b32_e32 v8, 0
	s_and_saveexec_b64 s[26:27], s[6:7]
	s_cbranch_execz .LBB382_1300
; %bb.1295:                             ;   in Loop: Header=BB382_651 Depth=1
	v_cmp_ne_u16_sdwa s[6:7], v7, s36 src0_sel:BYTE_0 src1_sel:DWORD
	v_bfrev_b32_e32 v8, 1
	s_and_saveexec_b64 s[28:29], s[6:7]
	s_cbranch_execz .LBB382_1299
; %bb.1296:                             ;   in Loop: Header=BB382_651 Depth=1
	v_and_b32_e32 v9, 0x7f, v7
	v_cmp_ne_u32_e64 s[6:7], s37, v9
	v_mov_b32_e32 v8, 0x7f800001
	s_and_saveexec_b64 s[30:31], s[6:7]
	s_cbranch_execz .LBB382_1298
; %bb.1297:                             ;   in Loop: Header=BB382_651 Depth=1
	v_and_b32_e32 v0, 7, v7
	v_ffbh_u32_e32 v0, v0
	v_min_u32_e32 v0, 32, v0
	v_lshrrev_b32_e32 v1, 3, v9
	v_subrev_u32_e32 v8, 28, v0
	v_sub_u32_e32 v0, 29, v0
	v_cmp_gt_u32_e64 s[6:7], 8, v9
	v_cndmask_b32_e64 v0, v1, v0, s[6:7]
	v_cndmask_b32_e64 v1, 0, v8, s[6:7]
	v_lshlrev_b64 v[8:9], v1, v[32:33]
	v_lshlrev_b32_e32 v1, 20, v8
	v_lshlrev_b32_e32 v8, 24, v32
	v_bfrev_b32_e32 v9, 60
	v_and_b32_e32 v1, 0x700000, v1
	v_and_b32_e32 v8, 0x80000000, v8
	v_lshl_add_u32 v0, v0, 23, v9
	v_or3_b32 v8, v8, v0, v1
.LBB382_1298:                           ;   in Loop: Header=BB382_651 Depth=1
	s_or_b64 exec, exec, s[30:31]
.LBB382_1299:                           ;   in Loop: Header=BB382_651 Depth=1
	s_or_b64 exec, exec, s[28:29]
.LBB382_1300:                           ;   in Loop: Header=BB382_651 Depth=1
	s_or_b64 exec, exec, s[26:27]
	v_mul_f32_e32 v8, v30, v8
	v_and_b32_e32 v0, 0x7f800000, v8
	v_cmp_ne_u32_e64 s[6:7], s9, v0
                                        ; implicit-def: $vgpr13
	s_and_saveexec_b64 s[26:27], s[6:7]
	s_xor_b64 s[6:7], exec, s[26:27]
; %bb.1301:                             ;   in Loop: Header=BB382_651 Depth=1
	v_bfe_u32 v0, v8, 16, 1
	v_add3_u32 v13, v8, v0, s15
                                        ; implicit-def: $vgpr8
; %bb.1302:                             ;   in Loop: Header=BB382_651 Depth=1
	s_andn2_saveexec_b64 s[26:27], s[6:7]
; %bb.1303:                             ;   in Loop: Header=BB382_651 Depth=1
	v_or_b32_e32 v0, 0x10000, v8
	v_cmp_eq_u32_sdwa s[6:7], v8, v33 src0_sel:WORD_0 src1_sel:DWORD
	v_cndmask_b32_e64 v13, v0, v8, s[6:7]
; %bb.1304:                             ;   in Loop: Header=BB382_651 Depth=1
	s_or_b64 exec, exec, s[26:27]
	v_lshrrev_b16_e32 v8, 8, v32
	v_cmp_ne_u16_e64 s[6:7], 0, v8
	v_mov_b32_e32 v21, 0
	s_and_saveexec_b64 s[26:27], s[6:7]
	s_cbranch_execz .LBB382_1310
; %bb.1305:                             ;   in Loop: Header=BB382_651 Depth=1
	v_cmp_ne_u16_e64 s[6:7], s36, v8
	v_bfrev_b32_e32 v21, 1
	s_and_saveexec_b64 s[28:29], s[6:7]
	s_cbranch_execz .LBB382_1309
; %bb.1306:                             ;   in Loop: Header=BB382_651 Depth=1
	v_and_b32_e32 v22, 0x7f, v8
	v_cmp_ne_u32_e64 s[6:7], s37, v22
	v_mov_b32_e32 v21, 0x7f800001
	s_and_saveexec_b64 s[30:31], s[6:7]
	s_cbranch_execz .LBB382_1308
; %bb.1307:                             ;   in Loop: Header=BB382_651 Depth=1
	v_and_b32_e32 v0, 7, v8
	v_ffbh_u32_e32 v9, v0
	v_min_u32_e32 v16, 32, v9
	v_subrev_u32_e32 v9, 28, v16
	v_lshlrev_b64 v[8:9], v9, v[8:9]
	v_lshrrev_b32_e32 v1, 3, v22
	v_sub_u32_e32 v9, 29, v16
	v_and_b32_e32 v8, 7, v8
	v_cmp_gt_u32_e64 s[6:7], 8, v22
	v_cndmask_b32_e64 v1, v1, v9, s[6:7]
	v_cndmask_b32_e64 v0, v0, v8, s[6:7]
	v_lshlrev_b32_e32 v8, 16, v32
	v_bfrev_b32_e32 v9, 60
	v_lshlrev_b32_e32 v0, 20, v0
	v_and_b32_e32 v8, 0x80000000, v8
	v_lshl_add_u32 v1, v1, 23, v9
	v_or3_b32 v21, v8, v1, v0
.LBB382_1308:                           ;   in Loop: Header=BB382_651 Depth=1
	s_or_b64 exec, exec, s[30:31]
.LBB382_1309:                           ;   in Loop: Header=BB382_651 Depth=1
	s_or_b64 exec, exec, s[28:29]
.LBB382_1310:                           ;   in Loop: Header=BB382_651 Depth=1
	s_or_b64 exec, exec, s[26:27]
	v_mul_f32_e32 v8, v30, v21
	v_and_b32_e32 v0, 0x7f800000, v8
	v_cmp_ne_u32_e64 s[6:7], s9, v0
                                        ; implicit-def: $vgpr21
	s_and_saveexec_b64 s[26:27], s[6:7]
	s_xor_b64 s[6:7], exec, s[26:27]
; %bb.1311:                             ;   in Loop: Header=BB382_651 Depth=1
	v_bfe_u32 v0, v8, 16, 1
	v_add3_u32 v21, v8, v0, s15
                                        ; implicit-def: $vgpr8
; %bb.1312:                             ;   in Loop: Header=BB382_651 Depth=1
	s_andn2_saveexec_b64 s[26:27], s[6:7]
; %bb.1313:                             ;   in Loop: Header=BB382_651 Depth=1
	v_or_b32_e32 v0, 0x10000, v8
	v_cmp_eq_u32_sdwa s[6:7], v8, v33 src0_sel:WORD_0 src1_sel:DWORD
	v_cndmask_b32_e64 v21, v0, v8, s[6:7]
; %bb.1314:                             ;   in Loop: Header=BB382_651 Depth=1
	s_or_b64 exec, exec, s[26:27]
	v_lshrrev_b32_e32 v8, 16, v7
	v_cmp_ne_u16_sdwa s[6:7], v8, v33 src0_sel:BYTE_0 src1_sel:DWORD
	v_mov_b32_e32 v22, 0
	s_and_saveexec_b64 s[26:27], s[6:7]
	s_cbranch_execz .LBB382_1320
; %bb.1315:                             ;   in Loop: Header=BB382_651 Depth=1
	v_cmp_ne_u16_sdwa s[6:7], v8, s36 src0_sel:BYTE_0 src1_sel:DWORD
	v_bfrev_b32_e32 v22, 1
	s_and_saveexec_b64 s[28:29], s[6:7]
	s_cbranch_execz .LBB382_1319
; %bb.1316:                             ;   in Loop: Header=BB382_651 Depth=1
	v_bfe_u32 v26, v7, 16, 7
	v_cmp_ne_u32_e64 s[6:7], s37, v26
	v_mov_b32_e32 v22, 0x7f800001
	s_and_saveexec_b64 s[30:31], s[6:7]
	s_cbranch_execz .LBB382_1318
; %bb.1317:                             ;   in Loop: Header=BB382_651 Depth=1
	v_and_b32_e32 v0, 7, v8
	v_ffbh_u32_e32 v9, v0
	v_min_u32_e32 v9, 32, v9
	v_subrev_u32_e32 v16, 28, v9
	v_lshlrev_b64 v[36:37], v16, v[8:9]
	v_lshrrev_b32_e32 v1, 3, v26
	v_sub_u32_e32 v9, 29, v9
	v_and_b32_e32 v16, 7, v36
	v_cmp_gt_u32_e64 s[6:7], 8, v26
	v_cndmask_b32_e64 v1, v1, v9, s[6:7]
	v_cndmask_b32_e64 v0, v0, v16, s[6:7]
	v_lshlrev_b32_e32 v8, 24, v8
	v_bfrev_b32_e32 v9, 60
	v_lshlrev_b32_e32 v0, 20, v0
	v_and_b32_e32 v8, 0x80000000, v8
	v_lshl_add_u32 v1, v1, 23, v9
	v_or3_b32 v22, v8, v1, v0
.LBB382_1318:                           ;   in Loop: Header=BB382_651 Depth=1
	s_or_b64 exec, exec, s[30:31]
.LBB382_1319:                           ;   in Loop: Header=BB382_651 Depth=1
	s_or_b64 exec, exec, s[28:29]
.LBB382_1320:                           ;   in Loop: Header=BB382_651 Depth=1
	s_or_b64 exec, exec, s[26:27]
	v_mul_f32_e32 v22, v30, v22
	v_and_b32_e32 v0, 0x7f800000, v22
	v_cmp_ne_u32_e64 s[6:7], s9, v0
                                        ; implicit-def: $vgpr8
	s_and_saveexec_b64 s[26:27], s[6:7]
	s_xor_b64 s[6:7], exec, s[26:27]
; %bb.1321:                             ;   in Loop: Header=BB382_651 Depth=1
	v_bfe_u32 v0, v22, 16, 1
	v_add3_u32 v8, v22, v0, s15
                                        ; implicit-def: $vgpr22
; %bb.1322:                             ;   in Loop: Header=BB382_651 Depth=1
	s_andn2_saveexec_b64 s[26:27], s[6:7]
; %bb.1323:                             ;   in Loop: Header=BB382_651 Depth=1
	v_or_b32_e32 v0, 0x10000, v22
	v_cmp_eq_u32_sdwa s[6:7], v22, v33 src0_sel:WORD_0 src1_sel:DWORD
	v_cndmask_b32_e64 v8, v0, v22, s[6:7]
; %bb.1324:                             ;   in Loop: Header=BB382_651 Depth=1
	s_or_b64 exec, exec, s[26:27]
	v_cmp_lt_u64_e64 s[6:7], s[20:21], v[6:7]
	v_mov_b32_e32 v22, 0
	s_and_saveexec_b64 s[26:27], s[6:7]
	s_cbranch_execz .LBB382_1330
; %bb.1325:                             ;   in Loop: Header=BB382_651 Depth=1
	v_lshrrev_b32_e32 v6, 24, v7
	v_cmp_ne_u32_e64 s[6:7], s36, v6
	v_bfrev_b32_e32 v22, 1
	s_and_saveexec_b64 s[28:29], s[6:7]
	s_cbranch_execz .LBB382_1329
; %bb.1326:                             ;   in Loop: Header=BB382_651 Depth=1
	v_bfe_u32 v7, v7, 24, 7
	v_cmp_ne_u32_e64 s[6:7], s37, v7
	v_mov_b32_e32 v22, 0x7f800001
	s_and_saveexec_b64 s[30:31], s[6:7]
	s_cbranch_execz .LBB382_1328
; %bb.1327:                             ;   in Loop: Header=BB382_651 Depth=1
	v_and_b32_e32 v0, 7, v6
	v_ffbh_u32_e32 v9, v0
	v_min_u32_e32 v9, 32, v9
	v_subrev_u32_e32 v16, 28, v9
	v_lshlrev_b64 v[26:27], v16, v[6:7]
	v_lshrrev_b32_e32 v1, 3, v7
	v_sub_u32_e32 v9, 29, v9
	v_and_b32_e32 v16, 7, v26
	v_cmp_gt_u32_e64 s[6:7], 8, v7
	v_cndmask_b32_e64 v1, v1, v9, s[6:7]
	v_cndmask_b32_e64 v0, v0, v16, s[6:7]
	v_lshlrev_b32_e32 v6, 24, v6
	v_bfrev_b32_e32 v7, 60
	v_lshlrev_b32_e32 v0, 20, v0
	v_and_b32_e32 v6, 0x80000000, v6
	v_lshl_add_u32 v1, v1, 23, v7
	v_or3_b32 v22, v6, v1, v0
.LBB382_1328:                           ;   in Loop: Header=BB382_651 Depth=1
	s_or_b64 exec, exec, s[30:31]
.LBB382_1329:                           ;   in Loop: Header=BB382_651 Depth=1
	s_or_b64 exec, exec, s[28:29]
.LBB382_1330:                           ;   in Loop: Header=BB382_651 Depth=1
	s_or_b64 exec, exec, s[26:27]
	v_mul_f32_e32 v6, v30, v22
	v_and_b32_e32 v0, 0x7f800000, v6
	v_cmp_ne_u32_e64 s[6:7], s9, v0
                                        ; implicit-def: $vgpr26
	s_and_saveexec_b64 s[26:27], s[6:7]
	s_xor_b64 s[6:7], exec, s[26:27]
; %bb.1331:                             ;   in Loop: Header=BB382_651 Depth=1
	v_bfe_u32 v0, v6, 16, 1
	v_add3_u32 v26, v6, v0, s15
                                        ; implicit-def: $vgpr6
; %bb.1332:                             ;   in Loop: Header=BB382_651 Depth=1
	s_andn2_saveexec_b64 s[26:27], s[6:7]
; %bb.1333:                             ;   in Loop: Header=BB382_651 Depth=1
	v_or_b32_e32 v0, 0x10000, v6
	v_cmp_eq_u32_sdwa s[6:7], v6, v33 src0_sel:WORD_0 src1_sel:DWORD
	v_cndmask_b32_e64 v26, v0, v6, s[6:7]
; %bb.1334:                             ;   in Loop: Header=BB382_651 Depth=1
	s_or_b64 exec, exec, s[26:27]
	v_lshrrev_b32_e32 v21, 16, v21
	v_lshrrev_b32_e32 v13, 16, v13
	;; [unrolled: 1-line block ×8, first 2 shown]
	s_and_saveexec_b64 s[26:27], s[4:5]
	s_cbranch_execz .LBB382_1336
; %bb.1335:                             ;   in Loop: Header=BB382_651 Depth=1
	v_accvgpr_read_b32 v1, a3
	v_cmp_lt_i32_e64 s[6:7], v43, v1
	v_add_u32_e32 v0, 1, v43
	v_cndmask_b32_e64 v7, 0, v7, s[6:7]
	v_cmp_lt_i32_e64 s[6:7], v0, v1
	v_add_u32_e32 v0, 2, v43
	v_cndmask_b32_e64 v22, 0, v22, s[6:7]
	;; [unrolled: 3-line block ×7, first 2 shown]
	v_cmp_lt_i32_e64 s[6:7], v0, v1
	v_cndmask_b32_e64 v5, 0, v5, s[6:7]
.LBB382_1336:                           ;   in Loop: Header=BB382_651 Depth=1
	s_or_b64 exec, exec, s[26:27]
	v_lshlrev_b32_e32 v0, 16, v7
	v_mul_f32_e32 v8, v44, v0
	v_and_b32_e32 v0, 0x7f800000, v8
	v_cmp_ne_u32_e64 s[6:7], s9, v0
                                        ; implicit-def: $vgpr7
	s_and_saveexec_b64 s[26:27], s[6:7]
	s_xor_b64 s[6:7], exec, s[26:27]
; %bb.1337:                             ;   in Loop: Header=BB382_651 Depth=1
	v_bfe_u32 v0, v8, 16, 1
	v_add3_u32 v7, v8, v0, s15
                                        ; implicit-def: $vgpr8
; %bb.1338:                             ;   in Loop: Header=BB382_651 Depth=1
	s_andn2_saveexec_b64 s[26:27], s[6:7]
; %bb.1339:                             ;   in Loop: Header=BB382_651 Depth=1
	v_or_b32_e32 v0, 0x10000, v8
	v_cmp_eq_u32_sdwa s[6:7], v8, v33 src0_sel:WORD_0 src1_sel:DWORD
	v_cndmask_b32_e64 v7, v0, v8, s[6:7]
; %bb.1340:                             ;   in Loop: Header=BB382_651 Depth=1
	s_or_b64 exec, exec, s[26:27]
	v_lshlrev_b32_e32 v0, 16, v22
	v_mul_f32_e32 v10, v46, v0
	v_and_b32_e32 v0, 0x7f800000, v10
	v_cmp_ne_u32_e64 s[6:7], s9, v0
                                        ; implicit-def: $vgpr8
	s_and_saveexec_b64 s[26:27], s[6:7]
	s_xor_b64 s[6:7], exec, s[26:27]
; %bb.1341:                             ;   in Loop: Header=BB382_651 Depth=1
	v_bfe_u32 v0, v10, 16, 1
	v_add3_u32 v8, v10, v0, s15
                                        ; implicit-def: $vgpr10
; %bb.1342:                             ;   in Loop: Header=BB382_651 Depth=1
	s_andn2_saveexec_b64 s[26:27], s[6:7]
; %bb.1343:                             ;   in Loop: Header=BB382_651 Depth=1
	v_or_b32_e32 v0, 0x10000, v10
	v_cmp_eq_u32_sdwa s[6:7], v10, v33 src0_sel:WORD_0 src1_sel:DWORD
	v_cndmask_b32_e64 v8, v0, v10, s[6:7]
; %bb.1344:                             ;   in Loop: Header=BB382_651 Depth=1
	s_or_b64 exec, exec, s[26:27]
	v_lshlrev_b32_e32 v0, 16, v11
	v_mul_f32_e32 v10, v47, v0
	v_and_b32_e32 v0, 0x7f800000, v10
	v_cmp_ne_u32_e64 s[6:7], s9, v0
                                        ; implicit-def: $vgpr30
	s_and_saveexec_b64 s[26:27], s[6:7]
	s_xor_b64 s[6:7], exec, s[26:27]
; %bb.1345:                             ;   in Loop: Header=BB382_651 Depth=1
	v_bfe_u32 v0, v10, 16, 1
	v_add3_u32 v30, v10, v0, s15
                                        ; implicit-def: $vgpr10
; %bb.1346:                             ;   in Loop: Header=BB382_651 Depth=1
	s_andn2_saveexec_b64 s[26:27], s[6:7]
; %bb.1347:                             ;   in Loop: Header=BB382_651 Depth=1
	v_or_b32_e32 v0, 0x10000, v10
	v_cmp_eq_u32_sdwa s[6:7], v10, v33 src0_sel:WORD_0 src1_sel:DWORD
	v_cndmask_b32_e64 v30, v0, v10, s[6:7]
; %bb.1348:                             ;   in Loop: Header=BB382_651 Depth=1
	s_or_b64 exec, exec, s[26:27]
	v_lshlrev_b32_e32 v0, 16, v12
	v_mul_f32_e32 v10, v56, v0
	v_and_b32_e32 v0, 0x7f800000, v10
	v_cmp_ne_u32_e64 s[6:7], s9, v0
                                        ; implicit-def: $vgpr31
	s_and_saveexec_b64 s[26:27], s[6:7]
	s_xor_b64 s[6:7], exec, s[26:27]
; %bb.1349:                             ;   in Loop: Header=BB382_651 Depth=1
	v_bfe_u32 v0, v10, 16, 1
	v_add3_u32 v31, v10, v0, s15
                                        ; implicit-def: $vgpr10
; %bb.1350:                             ;   in Loop: Header=BB382_651 Depth=1
	s_andn2_saveexec_b64 s[26:27], s[6:7]
; %bb.1351:                             ;   in Loop: Header=BB382_651 Depth=1
	v_or_b32_e32 v0, 0x10000, v10
	v_cmp_eq_u32_sdwa s[6:7], v10, v33 src0_sel:WORD_0 src1_sel:DWORD
	v_cndmask_b32_e64 v31, v0, v10, s[6:7]
; %bb.1352:                             ;   in Loop: Header=BB382_651 Depth=1
	s_or_b64 exec, exec, s[26:27]
	v_lshlrev_b32_e32 v0, 16, v13
	v_mul_f32_e32 v10, v57, v0
	v_and_b32_e32 v0, 0x7f800000, v10
	v_cmp_ne_u32_e64 s[6:7], s9, v0
                                        ; implicit-def: $vgpr48
	s_and_saveexec_b64 s[26:27], s[6:7]
	s_xor_b64 s[6:7], exec, s[26:27]
; %bb.1353:                             ;   in Loop: Header=BB382_651 Depth=1
	v_bfe_u32 v0, v10, 16, 1
	v_add3_u32 v48, v10, v0, s15
                                        ; implicit-def: $vgpr10
; %bb.1354:                             ;   in Loop: Header=BB382_651 Depth=1
	s_andn2_saveexec_b64 s[26:27], s[6:7]
; %bb.1355:                             ;   in Loop: Header=BB382_651 Depth=1
	v_or_b32_e32 v0, 0x10000, v10
	v_cmp_eq_u32_sdwa s[6:7], v10, v33 src0_sel:WORD_0 src1_sel:DWORD
	v_cndmask_b32_e64 v48, v0, v10, s[6:7]
; %bb.1356:                             ;   in Loop: Header=BB382_651 Depth=1
	s_or_b64 exec, exec, s[26:27]
	v_lshlrev_b32_e32 v0, 16, v21
	v_mul_f32_e32 v10, v58, v0
	v_and_b32_e32 v0, 0x7f800000, v10
	v_cmp_ne_u32_e64 s[6:7], s9, v0
                                        ; implicit-def: $vgpr35
	s_and_saveexec_b64 s[26:27], s[6:7]
	s_xor_b64 s[6:7], exec, s[26:27]
; %bb.1357:                             ;   in Loop: Header=BB382_651 Depth=1
	v_bfe_u32 v0, v10, 16, 1
	v_add3_u32 v35, v10, v0, s15
                                        ; implicit-def: $vgpr10
; %bb.1358:                             ;   in Loop: Header=BB382_651 Depth=1
	s_andn2_saveexec_b64 s[26:27], s[6:7]
; %bb.1359:                             ;   in Loop: Header=BB382_651 Depth=1
	v_or_b32_e32 v0, 0x10000, v10
	v_cmp_eq_u32_sdwa s[6:7], v10, v33 src0_sel:WORD_0 src1_sel:DWORD
	v_cndmask_b32_e64 v35, v0, v10, s[6:7]
; %bb.1360:                             ;   in Loop: Header=BB382_651 Depth=1
	s_or_b64 exec, exec, s[26:27]
	v_lshlrev_b32_e32 v0, 16, v6
	v_mul_f32_e32 v6, v60, v0
	v_and_b32_e32 v0, 0x7f800000, v6
	v_cmp_ne_u32_e64 s[6:7], s9, v0
                                        ; implicit-def: $vgpr37
	s_and_saveexec_b64 s[26:27], s[6:7]
	s_xor_b64 s[6:7], exec, s[26:27]
; %bb.1361:                             ;   in Loop: Header=BB382_651 Depth=1
	v_bfe_u32 v0, v6, 16, 1
	v_add3_u32 v37, v6, v0, s15
                                        ; implicit-def: $vgpr6
; %bb.1362:                             ;   in Loop: Header=BB382_651 Depth=1
	s_andn2_saveexec_b64 s[26:27], s[6:7]
; %bb.1363:                             ;   in Loop: Header=BB382_651 Depth=1
	v_or_b32_e32 v0, 0x10000, v6
	v_cmp_eq_u32_sdwa s[6:7], v6, v33 src0_sel:WORD_0 src1_sel:DWORD
	v_cndmask_b32_e64 v37, v0, v6, s[6:7]
; %bb.1364:                             ;   in Loop: Header=BB382_651 Depth=1
	s_or_b64 exec, exec, s[26:27]
	v_lshlrev_b32_e32 v0, 16, v5
	v_mul_f32_e32 v5, v41, v0
	v_and_b32_e32 v0, 0x7f800000, v5
	v_cmp_ne_u32_e64 s[6:7], s9, v0
                                        ; implicit-def: $vgpr36
	s_and_saveexec_b64 s[26:27], s[6:7]
	s_xor_b64 s[6:7], exec, s[26:27]
; %bb.1365:                             ;   in Loop: Header=BB382_651 Depth=1
	v_bfe_u32 v0, v5, 16, 1
	v_add3_u32 v36, v5, v0, s15
                                        ; implicit-def: $vgpr5
; %bb.1366:                             ;   in Loop: Header=BB382_651 Depth=1
	s_andn2_saveexec_b64 s[26:27], s[6:7]
; %bb.1367:                             ;   in Loop: Header=BB382_651 Depth=1
	v_or_b32_e32 v0, 0x10000, v5
	v_cmp_eq_u32_sdwa s[6:7], v5, v33 src0_sel:WORD_0 src1_sel:DWORD
	v_cndmask_b32_e64 v36, v0, v5, s[6:7]
; %bb.1368:                             ;   in Loop: Header=BB382_651 Depth=1
	s_or_b64 exec, exec, s[26:27]
	flat_load_dwordx2 v[2:3], v[2:3] offset:3072
	s_nop 0
	buffer_load_dword v0, off, s[0:3], s32 offset:212 ; 4-byte Folded Reload
	buffer_load_dword v1, off, s[0:3], s32 offset:216 ; 4-byte Folded Reload
	v_mov_b32_e32 v5, 0
	s_waitcnt vmcnt(0) lgkmcnt(0)
	v_cmp_ne_u16_sdwa s[6:7], v2, v33 src0_sel:BYTE_0 src1_sel:DWORD
	flat_load_dword v59, v[0:1]
	s_and_saveexec_b64 s[26:27], s[6:7]
	s_cbranch_execz .LBB382_1374
; %bb.1369:                             ;   in Loop: Header=BB382_651 Depth=1
	v_cmp_ne_u16_sdwa s[6:7], v2, s36 src0_sel:BYTE_0 src1_sel:DWORD
	v_bfrev_b32_e32 v5, 1
	s_and_saveexec_b64 s[28:29], s[6:7]
	s_cbranch_execz .LBB382_1373
; %bb.1370:                             ;   in Loop: Header=BB382_651 Depth=1
	v_and_b32_e32 v6, 0x7f, v2
	v_cmp_ne_u32_e64 s[6:7], s37, v6
	v_mov_b32_e32 v5, 0x7f800001
	s_and_saveexec_b64 s[30:31], s[6:7]
	s_cbranch_execz .LBB382_1372
; %bb.1371:                             ;   in Loop: Header=BB382_651 Depth=1
	v_and_b32_e32 v0, 7, v2
	v_ffbh_u32_e32 v0, v0
	v_min_u32_e32 v0, 32, v0
	v_lshrrev_b32_e32 v1, 3, v6
	v_subrev_u32_e32 v5, 28, v0
	v_sub_u32_e32 v0, 29, v0
	v_cmp_gt_u32_e64 s[6:7], 8, v6
	v_cndmask_b32_e64 v0, v1, v0, s[6:7]
	v_cndmask_b32_e64 v1, 0, v5, s[6:7]
	v_lshlrev_b64 v[10:11], v1, v[2:3]
	v_lshlrev_b32_e32 v1, 20, v10
	v_lshlrev_b32_e32 v5, 24, v2
	v_bfrev_b32_e32 v6, 60
	v_and_b32_e32 v1, 0x700000, v1
	v_and_b32_e32 v5, 0x80000000, v5
	v_lshl_add_u32 v0, v0, 23, v6
	v_or3_b32 v5, v5, v0, v1
.LBB382_1372:                           ;   in Loop: Header=BB382_651 Depth=1
	s_or_b64 exec, exec, s[30:31]
.LBB382_1373:                           ;   in Loop: Header=BB382_651 Depth=1
	s_or_b64 exec, exec, s[28:29]
.LBB382_1374:                           ;   in Loop: Header=BB382_651 Depth=1
	s_or_b64 exec, exec, s[26:27]
	s_waitcnt vmcnt(0) lgkmcnt(0)
	v_mul_f32_e32 v5, v59, v5
	v_and_b32_e32 v0, 0x7f800000, v5
	v_cmp_ne_u32_e64 s[6:7], s9, v0
                                        ; implicit-def: $vgpr10
	s_and_saveexec_b64 s[26:27], s[6:7]
	s_xor_b64 s[6:7], exec, s[26:27]
; %bb.1375:                             ;   in Loop: Header=BB382_651 Depth=1
	v_bfe_u32 v0, v5, 16, 1
	v_add3_u32 v10, v5, v0, s15
                                        ; implicit-def: $vgpr5
; %bb.1376:                             ;   in Loop: Header=BB382_651 Depth=1
	s_andn2_saveexec_b64 s[26:27], s[6:7]
; %bb.1377:                             ;   in Loop: Header=BB382_651 Depth=1
	v_or_b32_e32 v0, 0x10000, v5
	v_cmp_eq_u32_sdwa s[6:7], v5, v33 src0_sel:WORD_0 src1_sel:DWORD
	v_cndmask_b32_e64 v10, v0, v5, s[6:7]
; %bb.1378:                             ;   in Loop: Header=BB382_651 Depth=1
	s_or_b64 exec, exec, s[26:27]
	v_lshrrev_b16_e32 v6, 8, v2
	v_cmp_ne_u16_e64 s[6:7], 0, v6
	v_mov_b32_e32 v5, 0
	s_and_saveexec_b64 s[26:27], s[6:7]
	s_cbranch_execz .LBB382_1384
; %bb.1379:                             ;   in Loop: Header=BB382_651 Depth=1
	v_cmp_ne_u16_e64 s[6:7], s36, v6
	v_bfrev_b32_e32 v5, 1
	s_and_saveexec_b64 s[28:29], s[6:7]
	s_cbranch_execz .LBB382_1383
; %bb.1380:                             ;   in Loop: Header=BB382_651 Depth=1
	v_and_b32_e32 v11, 0x7f, v6
	v_cmp_ne_u32_e64 s[6:7], s37, v11
	v_mov_b32_e32 v5, 0x7f800001
	s_and_saveexec_b64 s[30:31], s[6:7]
	s_cbranch_execz .LBB382_1382
; %bb.1381:                             ;   in Loop: Header=BB382_651 Depth=1
	v_and_b32_e32 v0, 7, v6
	v_ffbh_u32_e32 v5, v0
	v_min_u32_e32 v5, 32, v5
	v_subrev_u32_e32 v9, 28, v5
	v_lshlrev_b64 v[12:13], v9, v[6:7]
	v_lshrrev_b32_e32 v1, 3, v11
	v_sub_u32_e32 v5, 29, v5
	v_and_b32_e32 v6, 7, v12
	v_cmp_gt_u32_e64 s[6:7], 8, v11
	v_cndmask_b32_e64 v1, v1, v5, s[6:7]
	v_cndmask_b32_e64 v0, v0, v6, s[6:7]
	v_lshlrev_b32_e32 v5, 16, v2
	v_bfrev_b32_e32 v6, 60
	v_lshlrev_b32_e32 v0, 20, v0
	v_and_b32_e32 v5, 0x80000000, v5
	v_lshl_add_u32 v1, v1, 23, v6
	v_or3_b32 v5, v5, v1, v0
.LBB382_1382:                           ;   in Loop: Header=BB382_651 Depth=1
	s_or_b64 exec, exec, s[30:31]
.LBB382_1383:                           ;   in Loop: Header=BB382_651 Depth=1
	s_or_b64 exec, exec, s[28:29]
.LBB382_1384:                           ;   in Loop: Header=BB382_651 Depth=1
	s_or_b64 exec, exec, s[26:27]
	v_mul_f32_e32 v6, v59, v5
	v_and_b32_e32 v0, 0x7f800000, v6
	v_cmp_ne_u32_e64 s[6:7], s9, v0
                                        ; implicit-def: $vgpr5
	s_and_saveexec_b64 s[26:27], s[6:7]
	s_xor_b64 s[6:7], exec, s[26:27]
; %bb.1385:                             ;   in Loop: Header=BB382_651 Depth=1
	v_bfe_u32 v0, v6, 16, 1
	v_add3_u32 v5, v6, v0, s15
                                        ; implicit-def: $vgpr6
; %bb.1386:                             ;   in Loop: Header=BB382_651 Depth=1
	s_andn2_saveexec_b64 s[26:27], s[6:7]
; %bb.1387:                             ;   in Loop: Header=BB382_651 Depth=1
	v_or_b32_e32 v0, 0x10000, v6
	v_cmp_eq_u32_sdwa s[6:7], v6, v33 src0_sel:WORD_0 src1_sel:DWORD
	v_cndmask_b32_e64 v5, v0, v6, s[6:7]
; %bb.1388:                             ;   in Loop: Header=BB382_651 Depth=1
	s_or_b64 exec, exec, s[26:27]
	v_lshrrev_b32_e32 v6, 16, v2
	v_cmp_ne_u16_sdwa s[6:7], v6, v33 src0_sel:BYTE_0 src1_sel:DWORD
	v_mov_b32_e32 v11, 0
	s_and_saveexec_b64 s[26:27], s[6:7]
	s_cbranch_execz .LBB382_1394
; %bb.1389:                             ;   in Loop: Header=BB382_651 Depth=1
	v_cmp_ne_u16_sdwa s[6:7], v6, s36 src0_sel:BYTE_0 src1_sel:DWORD
	v_bfrev_b32_e32 v11, 1
	s_and_saveexec_b64 s[28:29], s[6:7]
	s_cbranch_execz .LBB382_1393
; %bb.1390:                             ;   in Loop: Header=BB382_651 Depth=1
	v_bfe_u32 v12, v2, 16, 7
	v_cmp_ne_u32_e64 s[6:7], s37, v12
	v_mov_b32_e32 v11, 0x7f800001
	s_and_saveexec_b64 s[30:31], s[6:7]
	s_cbranch_execz .LBB382_1392
; %bb.1391:                             ;   in Loop: Header=BB382_651 Depth=1
	v_and_b32_e32 v0, 7, v6
	v_ffbh_u32_e32 v9, v0
	v_min_u32_e32 v9, 32, v9
	v_subrev_u32_e32 v11, 28, v9
	v_lshlrev_b64 v[26:27], v11, v[6:7]
	v_lshrrev_b32_e32 v1, 3, v12
	v_sub_u32_e32 v9, 29, v9
	v_and_b32_e32 v11, 7, v26
	v_cmp_gt_u32_e64 s[6:7], 8, v12
	v_cndmask_b32_e64 v1, v1, v9, s[6:7]
	v_cndmask_b32_e64 v0, v0, v11, s[6:7]
	v_lshlrev_b32_e32 v6, 24, v6
	v_bfrev_b32_e32 v9, 60
	v_lshlrev_b32_e32 v0, 20, v0
	v_and_b32_e32 v6, 0x80000000, v6
	v_lshl_add_u32 v1, v1, 23, v9
	v_or3_b32 v11, v6, v1, v0
.LBB382_1392:                           ;   in Loop: Header=BB382_651 Depth=1
	s_or_b64 exec, exec, s[30:31]
.LBB382_1393:                           ;   in Loop: Header=BB382_651 Depth=1
	s_or_b64 exec, exec, s[28:29]
.LBB382_1394:                           ;   in Loop: Header=BB382_651 Depth=1
	s_or_b64 exec, exec, s[26:27]
	v_mul_f32_e32 v6, v59, v11
	v_and_b32_e32 v0, 0x7f800000, v6
	v_cmp_ne_u32_e64 s[6:7], s9, v0
                                        ; implicit-def: $vgpr11
	s_and_saveexec_b64 s[26:27], s[6:7]
	s_xor_b64 s[6:7], exec, s[26:27]
; %bb.1395:                             ;   in Loop: Header=BB382_651 Depth=1
	v_bfe_u32 v0, v6, 16, 1
	v_add3_u32 v11, v6, v0, s15
                                        ; implicit-def: $vgpr6
; %bb.1396:                             ;   in Loop: Header=BB382_651 Depth=1
	s_andn2_saveexec_b64 s[26:27], s[6:7]
; %bb.1397:                             ;   in Loop: Header=BB382_651 Depth=1
	v_or_b32_e32 v0, 0x10000, v6
	v_cmp_eq_u32_sdwa s[6:7], v6, v33 src0_sel:WORD_0 src1_sel:DWORD
	v_cndmask_b32_e64 v11, v0, v6, s[6:7]
; %bb.1398:                             ;   in Loop: Header=BB382_651 Depth=1
	s_or_b64 exec, exec, s[26:27]
	v_cmp_lt_u32_e64 s[6:7], s21, v2
	v_mov_b32_e32 v12, 0
	s_and_saveexec_b64 s[26:27], s[6:7]
	s_cbranch_execz .LBB382_1404
; %bb.1399:                             ;   in Loop: Header=BB382_651 Depth=1
	v_lshrrev_b32_e32 v6, 24, v2
	v_cmp_ne_u32_e64 s[6:7], s36, v6
	v_bfrev_b32_e32 v12, 1
	s_and_saveexec_b64 s[28:29], s[6:7]
	s_cbranch_execz .LBB382_1403
; %bb.1400:                             ;   in Loop: Header=BB382_651 Depth=1
	v_bfe_u32 v13, v2, 24, 7
	v_cmp_ne_u32_e64 s[6:7], s37, v13
	v_mov_b32_e32 v12, 0x7f800001
	s_and_saveexec_b64 s[30:31], s[6:7]
	s_cbranch_execz .LBB382_1402
; %bb.1401:                             ;   in Loop: Header=BB382_651 Depth=1
	v_and_b32_e32 v0, 7, v6
	v_ffbh_u32_e32 v9, v0
	v_min_u32_e32 v9, 32, v9
	v_subrev_u32_e32 v12, 28, v9
	v_lshlrev_b64 v[26:27], v12, v[6:7]
	v_lshrrev_b32_e32 v1, 3, v13
	v_sub_u32_e32 v9, 29, v9
	v_and_b32_e32 v12, 7, v26
	v_cmp_gt_u32_e64 s[6:7], 8, v13
	v_cndmask_b32_e64 v1, v1, v9, s[6:7]
	v_cndmask_b32_e64 v0, v0, v12, s[6:7]
	v_lshlrev_b32_e32 v6, 24, v6
	v_bfrev_b32_e32 v9, 60
	v_lshlrev_b32_e32 v0, 20, v0
	v_and_b32_e32 v6, 0x80000000, v6
	v_lshl_add_u32 v1, v1, 23, v9
	v_or3_b32 v12, v6, v1, v0
.LBB382_1402:                           ;   in Loop: Header=BB382_651 Depth=1
	s_or_b64 exec, exec, s[30:31]
.LBB382_1403:                           ;   in Loop: Header=BB382_651 Depth=1
	s_or_b64 exec, exec, s[28:29]
.LBB382_1404:                           ;   in Loop: Header=BB382_651 Depth=1
	s_or_b64 exec, exec, s[26:27]
	v_mul_f32_e32 v6, v59, v12
	v_and_b32_e32 v0, 0x7f800000, v6
	v_cmp_ne_u32_e64 s[6:7], s9, v0
                                        ; implicit-def: $vgpr12
	s_and_saveexec_b64 s[26:27], s[6:7]
	s_xor_b64 s[6:7], exec, s[26:27]
; %bb.1405:                             ;   in Loop: Header=BB382_651 Depth=1
	v_bfe_u32 v0, v6, 16, 1
	v_add3_u32 v12, v6, v0, s15
                                        ; implicit-def: $vgpr6
; %bb.1406:                             ;   in Loop: Header=BB382_651 Depth=1
	s_andn2_saveexec_b64 s[26:27], s[6:7]
; %bb.1407:                             ;   in Loop: Header=BB382_651 Depth=1
	v_or_b32_e32 v0, 0x10000, v6
	v_cmp_eq_u32_sdwa s[6:7], v6, v33 src0_sel:WORD_0 src1_sel:DWORD
	v_cndmask_b32_e64 v12, v0, v6, s[6:7]
; %bb.1408:                             ;   in Loop: Header=BB382_651 Depth=1
	s_or_b64 exec, exec, s[26:27]
	v_mov_b32_e32 v32, v3
	v_cmp_ne_u16_sdwa s[6:7], v3, v33 src0_sel:BYTE_0 src1_sel:DWORD
	v_mov_b32_e32 v6, 0
	s_and_saveexec_b64 s[26:27], s[6:7]
	s_cbranch_execz .LBB382_1414
; %bb.1409:                             ;   in Loop: Header=BB382_651 Depth=1
	v_cmp_ne_u16_sdwa s[6:7], v3, s36 src0_sel:BYTE_0 src1_sel:DWORD
	v_bfrev_b32_e32 v6, 1
	s_and_saveexec_b64 s[28:29], s[6:7]
	s_cbranch_execz .LBB382_1413
; %bb.1410:                             ;   in Loop: Header=BB382_651 Depth=1
	v_and_b32_e32 v9, 0x7f, v3
	v_cmp_ne_u32_e64 s[6:7], s37, v9
	v_mov_b32_e32 v6, 0x7f800001
	s_and_saveexec_b64 s[30:31], s[6:7]
	s_cbranch_execz .LBB382_1412
; %bb.1411:                             ;   in Loop: Header=BB382_651 Depth=1
	v_and_b32_e32 v0, 7, v3
	v_ffbh_u32_e32 v0, v0
	v_min_u32_e32 v0, 32, v0
	v_lshrrev_b32_e32 v1, 3, v9
	v_subrev_u32_e32 v6, 28, v0
	v_sub_u32_e32 v0, 29, v0
	v_cmp_gt_u32_e64 s[6:7], 8, v9
	v_cndmask_b32_e64 v0, v1, v0, s[6:7]
	v_cndmask_b32_e64 v1, 0, v6, s[6:7]
	v_lshlrev_b64 v[26:27], v1, v[32:33]
	v_lshlrev_b32_e32 v1, 20, v26
	v_lshlrev_b32_e32 v6, 24, v32
	v_bfrev_b32_e32 v9, 60
	v_and_b32_e32 v1, 0x700000, v1
	v_and_b32_e32 v6, 0x80000000, v6
	v_lshl_add_u32 v0, v0, 23, v9
	v_or3_b32 v6, v6, v0, v1
.LBB382_1412:                           ;   in Loop: Header=BB382_651 Depth=1
	s_or_b64 exec, exec, s[30:31]
.LBB382_1413:                           ;   in Loop: Header=BB382_651 Depth=1
	s_or_b64 exec, exec, s[28:29]
.LBB382_1414:                           ;   in Loop: Header=BB382_651 Depth=1
	s_or_b64 exec, exec, s[26:27]
	v_mul_f32_e32 v6, v59, v6
	v_and_b32_e32 v0, 0x7f800000, v6
	v_cmp_ne_u32_e64 s[6:7], s9, v0
                                        ; implicit-def: $vgpr13
	s_and_saveexec_b64 s[26:27], s[6:7]
	s_xor_b64 s[6:7], exec, s[26:27]
; %bb.1415:                             ;   in Loop: Header=BB382_651 Depth=1
	v_bfe_u32 v0, v6, 16, 1
	v_add3_u32 v13, v6, v0, s15
                                        ; implicit-def: $vgpr6
; %bb.1416:                             ;   in Loop: Header=BB382_651 Depth=1
	s_andn2_saveexec_b64 s[26:27], s[6:7]
; %bb.1417:                             ;   in Loop: Header=BB382_651 Depth=1
	v_or_b32_e32 v0, 0x10000, v6
	v_cmp_eq_u32_sdwa s[6:7], v6, v33 src0_sel:WORD_0 src1_sel:DWORD
	v_cndmask_b32_e64 v13, v0, v6, s[6:7]
; %bb.1418:                             ;   in Loop: Header=BB382_651 Depth=1
	s_or_b64 exec, exec, s[26:27]
	v_lshrrev_b16_e32 v6, 8, v32
	v_cmp_ne_u16_e64 s[6:7], 0, v6
	v_mov_b32_e32 v21, 0
	s_and_saveexec_b64 s[26:27], s[6:7]
	s_cbranch_execz .LBB382_1424
; %bb.1419:                             ;   in Loop: Header=BB382_651 Depth=1
	v_cmp_ne_u16_e64 s[6:7], s36, v6
	v_bfrev_b32_e32 v21, 1
	s_and_saveexec_b64 s[28:29], s[6:7]
	s_cbranch_execz .LBB382_1423
; %bb.1420:                             ;   in Loop: Header=BB382_651 Depth=1
	v_and_b32_e32 v22, 0x7f, v6
	v_cmp_ne_u32_e64 s[6:7], s37, v22
	v_mov_b32_e32 v21, 0x7f800001
	s_and_saveexec_b64 s[30:31], s[6:7]
	s_cbranch_execz .LBB382_1422
; %bb.1421:                             ;   in Loop: Header=BB382_651 Depth=1
	v_and_b32_e32 v0, 7, v6
	v_ffbh_u32_e32 v9, v0
	v_min_u32_e32 v9, 32, v9
	v_subrev_u32_e32 v16, 28, v9
	v_lshlrev_b64 v[26:27], v16, v[6:7]
	v_lshrrev_b32_e32 v1, 3, v22
	v_sub_u32_e32 v6, 29, v9
	v_and_b32_e32 v9, 7, v26
	v_cmp_gt_u32_e64 s[6:7], 8, v22
	v_cndmask_b32_e64 v1, v1, v6, s[6:7]
	v_cndmask_b32_e64 v0, v0, v9, s[6:7]
	v_lshlrev_b32_e32 v6, 16, v32
	v_bfrev_b32_e32 v9, 60
	v_lshlrev_b32_e32 v0, 20, v0
	v_and_b32_e32 v6, 0x80000000, v6
	v_lshl_add_u32 v1, v1, 23, v9
	v_or3_b32 v21, v6, v1, v0
.LBB382_1422:                           ;   in Loop: Header=BB382_651 Depth=1
	s_or_b64 exec, exec, s[30:31]
.LBB382_1423:                           ;   in Loop: Header=BB382_651 Depth=1
	s_or_b64 exec, exec, s[28:29]
.LBB382_1424:                           ;   in Loop: Header=BB382_651 Depth=1
	s_or_b64 exec, exec, s[26:27]
	v_mul_f32_e32 v6, v59, v21
	v_and_b32_e32 v0, 0x7f800000, v6
	v_cmp_ne_u32_e64 s[6:7], s9, v0
                                        ; implicit-def: $vgpr21
	s_and_saveexec_b64 s[26:27], s[6:7]
	s_xor_b64 s[6:7], exec, s[26:27]
; %bb.1425:                             ;   in Loop: Header=BB382_651 Depth=1
	v_bfe_u32 v0, v6, 16, 1
	v_add3_u32 v21, v6, v0, s15
                                        ; implicit-def: $vgpr6
; %bb.1426:                             ;   in Loop: Header=BB382_651 Depth=1
	s_andn2_saveexec_b64 s[26:27], s[6:7]
; %bb.1427:                             ;   in Loop: Header=BB382_651 Depth=1
	v_or_b32_e32 v0, 0x10000, v6
	v_cmp_eq_u32_sdwa s[6:7], v6, v33 src0_sel:WORD_0 src1_sel:DWORD
	v_cndmask_b32_e64 v21, v0, v6, s[6:7]
; %bb.1428:                             ;   in Loop: Header=BB382_651 Depth=1
	s_or_b64 exec, exec, s[26:27]
	v_lshrrev_b32_e32 v6, 16, v3
	v_cmp_ne_u16_sdwa s[6:7], v6, v33 src0_sel:BYTE_0 src1_sel:DWORD
	v_mov_b32_e32 v22, 0
	s_and_saveexec_b64 s[26:27], s[6:7]
	s_cbranch_execz .LBB382_1434
; %bb.1429:                             ;   in Loop: Header=BB382_651 Depth=1
	v_cmp_ne_u16_sdwa s[6:7], v6, s36 src0_sel:BYTE_0 src1_sel:DWORD
	v_bfrev_b32_e32 v22, 1
	s_and_saveexec_b64 s[28:29], s[6:7]
	s_cbranch_execz .LBB382_1433
; %bb.1430:                             ;   in Loop: Header=BB382_651 Depth=1
	v_bfe_u32 v26, v3, 16, 7
	v_cmp_ne_u32_e64 s[6:7], s37, v26
	v_mov_b32_e32 v22, 0x7f800001
	s_and_saveexec_b64 s[30:31], s[6:7]
	s_cbranch_execz .LBB382_1432
; %bb.1431:                             ;   in Loop: Header=BB382_651 Depth=1
	v_and_b32_e32 v9, 7, v6
	v_ffbh_u32_e32 v0, v9
	v_min_u32_e32 v17, 32, v0
	v_subrev_u32_e32 v0, 28, v17
	v_lshlrev_b64 v[0:1], v0, v[6:7]
	v_lshrrev_b32_e32 v16, 3, v26
	v_sub_u32_e32 v1, 29, v17
	v_and_b32_e32 v0, 7, v0
	v_cmp_gt_u32_e64 s[6:7], 8, v26
	v_cndmask_b32_e64 v1, v16, v1, s[6:7]
	v_cndmask_b32_e64 v0, v9, v0, s[6:7]
	v_lshlrev_b32_e32 v6, 24, v6
	v_bfrev_b32_e32 v9, 60
	v_lshlrev_b32_e32 v0, 20, v0
	v_and_b32_e32 v6, 0x80000000, v6
	v_lshl_add_u32 v1, v1, 23, v9
	v_or3_b32 v22, v6, v1, v0
.LBB382_1432:                           ;   in Loop: Header=BB382_651 Depth=1
	s_or_b64 exec, exec, s[30:31]
.LBB382_1433:                           ;   in Loop: Header=BB382_651 Depth=1
	s_or_b64 exec, exec, s[28:29]
.LBB382_1434:                           ;   in Loop: Header=BB382_651 Depth=1
	s_or_b64 exec, exec, s[26:27]
	v_mul_f32_e32 v22, v59, v22
	v_and_b32_e32 v0, 0x7f800000, v22
	v_cmp_ne_u32_e64 s[6:7], s9, v0
                                        ; implicit-def: $vgpr6
	s_and_saveexec_b64 s[26:27], s[6:7]
	s_xor_b64 s[6:7], exec, s[26:27]
; %bb.1435:                             ;   in Loop: Header=BB382_651 Depth=1
	v_bfe_u32 v0, v22, 16, 1
	v_add3_u32 v6, v22, v0, s15
                                        ; implicit-def: $vgpr22
; %bb.1436:                             ;   in Loop: Header=BB382_651 Depth=1
	s_andn2_saveexec_b64 s[26:27], s[6:7]
; %bb.1437:                             ;   in Loop: Header=BB382_651 Depth=1
	v_or_b32_e32 v0, 0x10000, v22
	v_cmp_eq_u32_sdwa s[6:7], v22, v33 src0_sel:WORD_0 src1_sel:DWORD
	v_cndmask_b32_e64 v6, v0, v22, s[6:7]
; %bb.1438:                             ;   in Loop: Header=BB382_651 Depth=1
	s_or_b64 exec, exec, s[26:27]
	v_cmp_lt_u64_e64 s[6:7], s[20:21], v[2:3]
	v_mov_b32_e32 v22, 0
	s_and_saveexec_b64 s[26:27], s[6:7]
	s_cbranch_execz .LBB382_1444
; %bb.1439:                             ;   in Loop: Header=BB382_651 Depth=1
	v_lshrrev_b32_e32 v2, 24, v3
	v_cmp_ne_u32_e64 s[6:7], s36, v2
	v_bfrev_b32_e32 v22, 1
	s_and_saveexec_b64 s[28:29], s[6:7]
	s_cbranch_execz .LBB382_1443
; %bb.1440:                             ;   in Loop: Header=BB382_651 Depth=1
	v_bfe_u32 v3, v3, 24, 7
	v_cmp_ne_u32_e64 s[6:7], s37, v3
	v_mov_b32_e32 v22, 0x7f800001
	s_and_saveexec_b64 s[30:31], s[6:7]
	s_cbranch_execz .LBB382_1442
; %bb.1441:                             ;   in Loop: Header=BB382_651 Depth=1
	v_and_b32_e32 v9, 7, v2
	v_ffbh_u32_e32 v0, v9
	v_min_u32_e32 v17, 32, v0
	v_subrev_u32_e32 v0, 28, v17
	v_lshlrev_b64 v[0:1], v0, v[2:3]
	v_lshrrev_b32_e32 v16, 3, v3
	v_sub_u32_e32 v1, 29, v17
	v_and_b32_e32 v0, 7, v0
	v_cmp_gt_u32_e64 s[6:7], 8, v3
	v_cndmask_b32_e64 v1, v16, v1, s[6:7]
	v_cndmask_b32_e64 v0, v9, v0, s[6:7]
	v_lshlrev_b32_e32 v2, 24, v2
	v_bfrev_b32_e32 v3, 60
	v_lshlrev_b32_e32 v0, 20, v0
	v_and_b32_e32 v2, 0x80000000, v2
	v_lshl_add_u32 v1, v1, 23, v3
	v_or3_b32 v22, v2, v1, v0
.LBB382_1442:                           ;   in Loop: Header=BB382_651 Depth=1
	s_or_b64 exec, exec, s[30:31]
.LBB382_1443:                           ;   in Loop: Header=BB382_651 Depth=1
	s_or_b64 exec, exec, s[28:29]
.LBB382_1444:                           ;   in Loop: Header=BB382_651 Depth=1
	s_or_b64 exec, exec, s[26:27]
	v_mul_f32_e32 v3, v59, v22
	v_and_b32_e32 v0, 0x7f800000, v3
	v_cmp_ne_u32_e64 s[6:7], s9, v0
                                        ; implicit-def: $vgpr2
	s_and_saveexec_b64 s[26:27], s[6:7]
	s_xor_b64 s[6:7], exec, s[26:27]
; %bb.1445:                             ;   in Loop: Header=BB382_651 Depth=1
	v_bfe_u32 v0, v3, 16, 1
	v_add3_u32 v2, v3, v0, s15
                                        ; implicit-def: $vgpr3
; %bb.1446:                             ;   in Loop: Header=BB382_651 Depth=1
	s_andn2_saveexec_b64 s[26:27], s[6:7]
; %bb.1447:                             ;   in Loop: Header=BB382_651 Depth=1
	v_or_b32_e32 v0, 0x10000, v3
	v_cmp_eq_u32_sdwa s[6:7], v3, v33 src0_sel:WORD_0 src1_sel:DWORD
	v_cndmask_b32_e64 v2, v0, v3, s[6:7]
; %bb.1448:                             ;   in Loop: Header=BB382_651 Depth=1
	s_or_b64 exec, exec, s[26:27]
	v_lshrrev_b32_e32 v21, 16, v21
	v_lshrrev_b32_e32 v13, 16, v13
	;; [unrolled: 1-line block ×8, first 2 shown]
	s_and_saveexec_b64 s[26:27], s[4:5]
	s_cbranch_execz .LBB382_1450
; %bb.1449:                             ;   in Loop: Header=BB382_651 Depth=1
	v_accvgpr_read_b32 v1, a3
	v_cmp_lt_i32_e64 s[6:7], v43, v1
	v_add_u32_e32 v0, 1, v43
	v_cndmask_b32_e64 v3, 0, v3, s[6:7]
	v_cmp_lt_i32_e64 s[6:7], v0, v1
	v_add_u32_e32 v0, 2, v43
	v_cndmask_b32_e64 v22, 0, v22, s[6:7]
	;; [unrolled: 3-line block ×7, first 2 shown]
	v_cmp_lt_i32_e64 s[6:7], v0, v1
	v_cndmask_b32_e64 v2, 0, v2, s[6:7]
.LBB382_1450:                           ;   in Loop: Header=BB382_651 Depth=1
	s_or_b64 exec, exec, s[26:27]
	v_lshlrev_b32_e32 v0, 16, v3
	v_mul_f32_e32 v6, v44, v0
	v_and_b32_e32 v0, 0x7f800000, v6
	v_cmp_ne_u32_e64 s[6:7], s9, v0
                                        ; implicit-def: $vgpr3
	s_and_saveexec_b64 s[26:27], s[6:7]
	s_xor_b64 s[6:7], exec, s[26:27]
; %bb.1451:                             ;   in Loop: Header=BB382_651 Depth=1
	v_bfe_u32 v0, v6, 16, 1
	v_add3_u32 v3, v6, v0, s15
                                        ; implicit-def: $vgpr6
; %bb.1452:                             ;   in Loop: Header=BB382_651 Depth=1
	s_andn2_saveexec_b64 s[26:27], s[6:7]
; %bb.1453:                             ;   in Loop: Header=BB382_651 Depth=1
	v_or_b32_e32 v0, 0x10000, v6
	v_cmp_eq_u32_sdwa s[6:7], v6, v33 src0_sel:WORD_0 src1_sel:DWORD
	v_cndmask_b32_e64 v3, v0, v6, s[6:7]
; %bb.1454:                             ;   in Loop: Header=BB382_651 Depth=1
	s_or_b64 exec, exec, s[26:27]
	v_lshlrev_b32_e32 v0, 16, v22
	v_mul_f32_e32 v10, v46, v0
	v_and_b32_e32 v0, 0x7f800000, v10
	v_cmp_ne_u32_e64 s[6:7], s9, v0
                                        ; implicit-def: $vgpr6
	s_and_saveexec_b64 s[26:27], s[6:7]
	s_xor_b64 s[6:7], exec, s[26:27]
; %bb.1455:                             ;   in Loop: Header=BB382_651 Depth=1
	v_bfe_u32 v0, v10, 16, 1
	v_add3_u32 v6, v10, v0, s15
                                        ; implicit-def: $vgpr10
; %bb.1456:                             ;   in Loop: Header=BB382_651 Depth=1
	s_andn2_saveexec_b64 s[26:27], s[6:7]
; %bb.1457:                             ;   in Loop: Header=BB382_651 Depth=1
	v_or_b32_e32 v0, 0x10000, v10
	v_cmp_eq_u32_sdwa s[6:7], v10, v33 src0_sel:WORD_0 src1_sel:DWORD
	v_cndmask_b32_e64 v6, v0, v10, s[6:7]
; %bb.1458:                             ;   in Loop: Header=BB382_651 Depth=1
	s_or_b64 exec, exec, s[26:27]
	v_lshlrev_b32_e32 v0, 16, v11
	v_mul_f32_e32 v11, v47, v0
	v_and_b32_e32 v0, 0x7f800000, v11
	v_cmp_ne_u32_e64 s[6:7], s9, v0
                                        ; implicit-def: $vgpr10
	s_and_saveexec_b64 s[26:27], s[6:7]
	s_xor_b64 s[6:7], exec, s[26:27]
; %bb.1459:                             ;   in Loop: Header=BB382_651 Depth=1
	v_bfe_u32 v0, v11, 16, 1
	v_add3_u32 v10, v11, v0, s15
                                        ; implicit-def: $vgpr11
; %bb.1460:                             ;   in Loop: Header=BB382_651 Depth=1
	s_andn2_saveexec_b64 s[26:27], s[6:7]
; %bb.1461:                             ;   in Loop: Header=BB382_651 Depth=1
	v_or_b32_e32 v0, 0x10000, v11
	v_cmp_eq_u32_sdwa s[6:7], v11, v33 src0_sel:WORD_0 src1_sel:DWORD
	v_cndmask_b32_e64 v10, v0, v11, s[6:7]
; %bb.1462:                             ;   in Loop: Header=BB382_651 Depth=1
	s_or_b64 exec, exec, s[26:27]
	v_lshlrev_b32_e32 v0, 16, v12
	v_mul_f32_e32 v12, v56, v0
	v_and_b32_e32 v0, 0x7f800000, v12
	v_cmp_ne_u32_e64 s[6:7], s9, v0
                                        ; implicit-def: $vgpr11
	s_and_saveexec_b64 s[26:27], s[6:7]
	s_xor_b64 s[6:7], exec, s[26:27]
; %bb.1463:                             ;   in Loop: Header=BB382_651 Depth=1
	v_bfe_u32 v0, v12, 16, 1
	v_add3_u32 v11, v12, v0, s15
                                        ; implicit-def: $vgpr12
; %bb.1464:                             ;   in Loop: Header=BB382_651 Depth=1
	s_andn2_saveexec_b64 s[26:27], s[6:7]
; %bb.1465:                             ;   in Loop: Header=BB382_651 Depth=1
	v_or_b32_e32 v0, 0x10000, v12
	v_cmp_eq_u32_sdwa s[6:7], v12, v33 src0_sel:WORD_0 src1_sel:DWORD
	v_cndmask_b32_e64 v11, v0, v12, s[6:7]
; %bb.1466:                             ;   in Loop: Header=BB382_651 Depth=1
	s_or_b64 exec, exec, s[26:27]
	v_lshlrev_b32_e32 v0, 16, v13
	v_mul_f32_e32 v12, v57, v0
	v_and_b32_e32 v0, 0x7f800000, v12
	v_cmp_ne_u32_e64 s[6:7], s9, v0
                                        ; implicit-def: $vgpr40
	s_and_saveexec_b64 s[26:27], s[6:7]
	s_xor_b64 s[6:7], exec, s[26:27]
; %bb.1467:                             ;   in Loop: Header=BB382_651 Depth=1
	v_bfe_u32 v0, v12, 16, 1
	v_add3_u32 v40, v12, v0, s15
                                        ; implicit-def: $vgpr12
; %bb.1468:                             ;   in Loop: Header=BB382_651 Depth=1
	s_andn2_saveexec_b64 s[26:27], s[6:7]
; %bb.1469:                             ;   in Loop: Header=BB382_651 Depth=1
	v_or_b32_e32 v0, 0x10000, v12
	v_cmp_eq_u32_sdwa s[6:7], v12, v33 src0_sel:WORD_0 src1_sel:DWORD
	v_cndmask_b32_e64 v40, v0, v12, s[6:7]
; %bb.1470:                             ;   in Loop: Header=BB382_651 Depth=1
	s_or_b64 exec, exec, s[26:27]
	v_lshlrev_b32_e32 v0, 16, v21
	v_mul_f32_e32 v12, v58, v0
	v_and_b32_e32 v0, 0x7f800000, v12
	v_cmp_ne_u32_e64 s[6:7], s9, v0
                                        ; implicit-def: $vgpr61
	s_and_saveexec_b64 s[26:27], s[6:7]
	s_xor_b64 s[6:7], exec, s[26:27]
; %bb.1471:                             ;   in Loop: Header=BB382_651 Depth=1
	v_bfe_u32 v0, v12, 16, 1
	v_add3_u32 v61, v12, v0, s15
                                        ; implicit-def: $vgpr12
; %bb.1472:                             ;   in Loop: Header=BB382_651 Depth=1
	s_andn2_saveexec_b64 s[26:27], s[6:7]
; %bb.1473:                             ;   in Loop: Header=BB382_651 Depth=1
	v_or_b32_e32 v0, 0x10000, v12
	v_cmp_eq_u32_sdwa s[6:7], v12, v33 src0_sel:WORD_0 src1_sel:DWORD
	v_cndmask_b32_e64 v61, v0, v12, s[6:7]
; %bb.1474:                             ;   in Loop: Header=BB382_651 Depth=1
	s_or_b64 exec, exec, s[26:27]
	v_lshlrev_b32_e32 v0, 16, v5
	v_mul_f32_e32 v5, v60, v0
	v_and_b32_e32 v0, 0x7f800000, v5
	v_cmp_ne_u32_e64 s[6:7], s9, v0
                                        ; implicit-def: $vgpr62
	s_and_saveexec_b64 s[26:27], s[6:7]
	s_xor_b64 s[6:7], exec, s[26:27]
; %bb.1475:                             ;   in Loop: Header=BB382_651 Depth=1
	v_bfe_u32 v0, v5, 16, 1
	v_add3_u32 v62, v5, v0, s15
                                        ; implicit-def: $vgpr5
; %bb.1476:                             ;   in Loop: Header=BB382_651 Depth=1
	s_andn2_saveexec_b64 s[26:27], s[6:7]
; %bb.1477:                             ;   in Loop: Header=BB382_651 Depth=1
	v_or_b32_e32 v0, 0x10000, v5
	v_cmp_eq_u32_sdwa s[6:7], v5, v33 src0_sel:WORD_0 src1_sel:DWORD
	v_cndmask_b32_e64 v62, v0, v5, s[6:7]
; %bb.1478:                             ;   in Loop: Header=BB382_651 Depth=1
	s_or_b64 exec, exec, s[26:27]
	v_lshlrev_b32_e32 v0, 16, v2
	v_mul_f32_e32 v2, v41, v0
	v_and_b32_e32 v0, 0x7f800000, v2
	v_cmp_ne_u32_e64 s[6:7], s9, v0
                                        ; implicit-def: $vgpr21
	s_and_saveexec_b64 s[26:27], s[6:7]
	s_xor_b64 s[6:7], exec, s[26:27]
	s_cbranch_execnz .LBB382_1481
; %bb.1479:                             ;   in Loop: Header=BB382_651 Depth=1
	s_andn2_saveexec_b64 s[26:27], s[6:7]
	s_cbranch_execnz .LBB382_1482
.LBB382_1480:                           ;   in Loop: Header=BB382_651 Depth=1
	s_or_b64 exec, exec, s[26:27]
	s_and_saveexec_b64 s[26:27], vcc
	s_cbranch_execz .LBB382_649
	s_branch .LBB382_1483
.LBB382_1481:                           ;   in Loop: Header=BB382_651 Depth=1
	v_bfe_u32 v0, v2, 16, 1
	v_add3_u32 v21, v2, v0, s15
                                        ; implicit-def: $vgpr2
	s_andn2_saveexec_b64 s[26:27], s[6:7]
	s_cbranch_execz .LBB382_1480
.LBB382_1482:                           ;   in Loop: Header=BB382_651 Depth=1
	v_or_b32_e32 v0, 0x10000, v2
	v_cmp_eq_u32_sdwa s[6:7], v2, v33 src0_sel:WORD_0 src1_sel:DWORD
	v_cndmask_b32_e64 v21, v0, v2, s[6:7]
	s_or_b64 exec, exec, s[26:27]
	s_and_saveexec_b64 s[26:27], vcc
	s_cbranch_execz .LBB382_649
.LBB382_1483:                           ;   in Loop: Header=BB382_651 Depth=1
	v_accvgpr_read_b32 v0, a28
	v_accvgpr_read_b32 v12, a38
	;; [unrolled: 1-line block ×3, first 2 shown]
	v_add_co_u32_e64 v0, s[6:7], v12, v0
	v_addc_co_u32_e64 v1, s[6:7], 0, v13, s[6:7]
	flat_load_dwordx2 v[0:1], v[0:1]
	v_mov_b32_e32 v2, 0
	s_waitcnt vmcnt(0) lgkmcnt(0)
	v_cmp_ne_u16_sdwa s[6:7], v0, v33 src0_sel:BYTE_0 src1_sel:DWORD
	s_and_saveexec_b64 s[28:29], s[6:7]
	s_cbranch_execz .LBB382_1489
; %bb.1484:                             ;   in Loop: Header=BB382_651 Depth=1
	v_cmp_ne_u16_sdwa s[6:7], v0, s36 src0_sel:BYTE_0 src1_sel:DWORD
	v_bfrev_b32_e32 v2, 1
	s_and_saveexec_b64 s[30:31], s[6:7]
	s_cbranch_execz .LBB382_1488
; %bb.1485:                             ;   in Loop: Header=BB382_651 Depth=1
	v_and_b32_e32 v5, 0x7f, v0
	v_cmp_ne_u32_e64 s[6:7], s37, v5
	v_mov_b32_e32 v2, 0x7f800001
	s_and_saveexec_b64 s[34:35], s[6:7]
	s_cbranch_execz .LBB382_1487
; %bb.1486:                             ;   in Loop: Header=BB382_651 Depth=1
	v_and_b32_e32 v2, 7, v0
	v_ffbh_u32_e32 v2, v2
	v_min_u32_e32 v2, 32, v2
	v_subrev_u32_e32 v12, 28, v2
	v_cmp_gt_u32_e64 s[6:7], 8, v5
	v_lshrrev_b32_e32 v9, 3, v5
	v_cndmask_b32_e64 v5, 0, v12, s[6:7]
	v_sub_u32_e32 v2, 29, v2
	v_lshlrev_b64 v[12:13], v5, v[0:1]
	v_cndmask_b32_e64 v2, v9, v2, s[6:7]
	v_lshlrev_b32_e32 v5, 20, v12
	v_lshlrev_b32_e32 v9, 24, v0
	v_bfrev_b32_e32 v12, 60
	v_and_b32_e32 v5, 0x700000, v5
	v_and_b32_e32 v9, 0x80000000, v9
	v_lshl_add_u32 v2, v2, 23, v12
	v_or3_b32 v2, v9, v2, v5
.LBB382_1487:                           ;   in Loop: Header=BB382_651 Depth=1
	s_or_b64 exec, exec, s[34:35]
.LBB382_1488:                           ;   in Loop: Header=BB382_651 Depth=1
	s_or_b64 exec, exec, s[30:31]
.LBB382_1489:                           ;   in Loop: Header=BB382_651 Depth=1
	s_or_b64 exec, exec, s[28:29]
	v_mul_f32_e32 v2, v59, v2
	v_and_b32_e32 v5, 0x7f800000, v2
	v_cmp_ne_u32_e64 s[6:7], s9, v5
                                        ; implicit-def: $vgpr5
	s_and_saveexec_b64 s[28:29], s[6:7]
	s_xor_b64 s[6:7], exec, s[28:29]
; %bb.1490:                             ;   in Loop: Header=BB382_651 Depth=1
	v_bfe_u32 v5, v2, 16, 1
	v_add3_u32 v5, v2, v5, s15
                                        ; implicit-def: $vgpr2
; %bb.1491:                             ;   in Loop: Header=BB382_651 Depth=1
	s_andn2_saveexec_b64 s[28:29], s[6:7]
; %bb.1492:                             ;   in Loop: Header=BB382_651 Depth=1
	v_or_b32_e32 v5, 0x10000, v2
	v_cmp_eq_u32_sdwa s[6:7], v2, v33 src0_sel:WORD_0 src1_sel:DWORD
	v_cndmask_b32_e64 v5, v5, v2, s[6:7]
; %bb.1493:                             ;   in Loop: Header=BB382_651 Depth=1
	s_or_b64 exec, exec, s[28:29]
	v_lshrrev_b16_e32 v2, 8, v0
	v_cmp_ne_u16_e64 s[6:7], 0, v2
	v_mov_b32_e32 v12, 0
	s_and_saveexec_b64 s[28:29], s[6:7]
	s_cbranch_execz .LBB382_1499
; %bb.1494:                             ;   in Loop: Header=BB382_651 Depth=1
	v_cmp_ne_u16_e64 s[6:7], s36, v2
	v_bfrev_b32_e32 v12, 1
	s_and_saveexec_b64 s[30:31], s[6:7]
	s_cbranch_execz .LBB382_1498
; %bb.1495:                             ;   in Loop: Header=BB382_651 Depth=1
	v_and_b32_e32 v13, 0x7f, v2
	v_cmp_ne_u32_e64 s[6:7], s37, v13
	v_mov_b32_e32 v12, 0x7f800001
	s_and_saveexec_b64 s[34:35], s[6:7]
	s_cbranch_execz .LBB382_1497
; %bb.1496:                             ;   in Loop: Header=BB382_651 Depth=1
	v_and_b32_e32 v9, 7, v2
	v_ffbh_u32_e32 v16, v9
	v_min_u32_e32 v16, 32, v16
	v_subrev_u32_e32 v17, 28, v16
	v_lshlrev_b64 v[26:27], v17, v[2:3]
	v_lshrrev_b32_e32 v12, 3, v13
	v_sub_u32_e32 v2, 29, v16
	v_and_b32_e32 v16, 7, v26
	v_cmp_gt_u32_e64 s[6:7], 8, v13
	v_cndmask_b32_e64 v2, v12, v2, s[6:7]
	v_cndmask_b32_e64 v9, v9, v16, s[6:7]
	v_lshlrev_b32_e32 v12, 16, v0
	v_bfrev_b32_e32 v13, 60
	v_lshlrev_b32_e32 v9, 20, v9
	v_and_b32_e32 v12, 0x80000000, v12
	v_lshl_add_u32 v2, v2, 23, v13
	v_or3_b32 v12, v12, v2, v9
.LBB382_1497:                           ;   in Loop: Header=BB382_651 Depth=1
	s_or_b64 exec, exec, s[34:35]
.LBB382_1498:                           ;   in Loop: Header=BB382_651 Depth=1
	s_or_b64 exec, exec, s[30:31]
.LBB382_1499:                           ;   in Loop: Header=BB382_651 Depth=1
	s_or_b64 exec, exec, s[28:29]
	v_mul_f32_e32 v2, v59, v12
	v_and_b32_e32 v9, 0x7f800000, v2
	v_cmp_ne_u32_e64 s[6:7], s9, v9
                                        ; implicit-def: $vgpr12
	s_and_saveexec_b64 s[28:29], s[6:7]
	s_xor_b64 s[6:7], exec, s[28:29]
; %bb.1500:                             ;   in Loop: Header=BB382_651 Depth=1
	v_bfe_u32 v9, v2, 16, 1
	v_add3_u32 v12, v2, v9, s15
                                        ; implicit-def: $vgpr2
; %bb.1501:                             ;   in Loop: Header=BB382_651 Depth=1
	s_andn2_saveexec_b64 s[28:29], s[6:7]
; %bb.1502:                             ;   in Loop: Header=BB382_651 Depth=1
	v_or_b32_e32 v9, 0x10000, v2
	v_cmp_eq_u32_sdwa s[6:7], v2, v33 src0_sel:WORD_0 src1_sel:DWORD
	v_cndmask_b32_e64 v12, v9, v2, s[6:7]
; %bb.1503:                             ;   in Loop: Header=BB382_651 Depth=1
	s_or_b64 exec, exec, s[28:29]
	v_lshrrev_b32_e32 v2, 16, v0
	v_cmp_ne_u16_sdwa s[6:7], v2, v33 src0_sel:BYTE_0 src1_sel:DWORD
	v_mov_b32_e32 v13, 0
	s_and_saveexec_b64 s[28:29], s[6:7]
	s_cbranch_execz .LBB382_1509
; %bb.1504:                             ;   in Loop: Header=BB382_651 Depth=1
	v_cmp_ne_u16_sdwa s[6:7], v2, s36 src0_sel:BYTE_0 src1_sel:DWORD
	v_bfrev_b32_e32 v13, 1
	s_and_saveexec_b64 s[30:31], s[6:7]
	s_cbranch_execz .LBB382_1508
; %bb.1505:                             ;   in Loop: Header=BB382_651 Depth=1
	v_bfe_u32 v22, v0, 16, 7
	v_cmp_ne_u32_e64 s[6:7], s37, v22
	v_mov_b32_e32 v13, 0x7f800001
	s_and_saveexec_b64 s[34:35], s[6:7]
	s_cbranch_execz .LBB382_1507
; %bb.1506:                             ;   in Loop: Header=BB382_651 Depth=1
	v_and_b32_e32 v9, 7, v2
	v_ffbh_u32_e32 v16, v9
	v_min_u32_e32 v16, 32, v16
	v_subrev_u32_e32 v17, 28, v16
	v_lshlrev_b64 v[26:27], v17, v[2:3]
	v_lshrrev_b32_e32 v13, 3, v22
	v_sub_u32_e32 v16, 29, v16
	v_and_b32_e32 v17, 7, v26
	v_cmp_gt_u32_e64 s[6:7], 8, v22
	v_cndmask_b32_e64 v13, v13, v16, s[6:7]
	v_cndmask_b32_e64 v9, v9, v17, s[6:7]
	v_lshlrev_b32_e32 v2, 24, v2
	v_bfrev_b32_e32 v16, 60
	v_lshlrev_b32_e32 v9, 20, v9
	v_and_b32_e32 v2, 0x80000000, v2
	v_lshl_add_u32 v13, v13, 23, v16
	v_or3_b32 v13, v2, v13, v9
.LBB382_1507:                           ;   in Loop: Header=BB382_651 Depth=1
	s_or_b64 exec, exec, s[34:35]
.LBB382_1508:                           ;   in Loop: Header=BB382_651 Depth=1
	s_or_b64 exec, exec, s[30:31]
.LBB382_1509:                           ;   in Loop: Header=BB382_651 Depth=1
	s_or_b64 exec, exec, s[28:29]
	v_mul_f32_e32 v2, v59, v13
	v_and_b32_e32 v9, 0x7f800000, v2
	v_cmp_ne_u32_e64 s[6:7], s9, v9
                                        ; implicit-def: $vgpr13
	s_and_saveexec_b64 s[28:29], s[6:7]
	s_xor_b64 s[6:7], exec, s[28:29]
; %bb.1510:                             ;   in Loop: Header=BB382_651 Depth=1
	v_bfe_u32 v9, v2, 16, 1
	v_add3_u32 v13, v2, v9, s15
                                        ; implicit-def: $vgpr2
; %bb.1511:                             ;   in Loop: Header=BB382_651 Depth=1
	s_andn2_saveexec_b64 s[28:29], s[6:7]
; %bb.1512:                             ;   in Loop: Header=BB382_651 Depth=1
	v_or_b32_e32 v9, 0x10000, v2
	v_cmp_eq_u32_sdwa s[6:7], v2, v33 src0_sel:WORD_0 src1_sel:DWORD
	v_cndmask_b32_e64 v13, v9, v2, s[6:7]
; %bb.1513:                             ;   in Loop: Header=BB382_651 Depth=1
	s_or_b64 exec, exec, s[28:29]
	v_cmp_lt_u32_e64 s[6:7], s21, v0
	v_mov_b32_e32 v22, 0
	s_and_saveexec_b64 s[28:29], s[6:7]
	s_cbranch_execz .LBB382_1519
; %bb.1514:                             ;   in Loop: Header=BB382_651 Depth=1
	v_lshrrev_b32_e32 v2, 24, v0
	v_cmp_ne_u32_e64 s[6:7], s36, v2
	v_bfrev_b32_e32 v22, 1
	s_and_saveexec_b64 s[30:31], s[6:7]
	s_cbranch_execz .LBB382_1518
; %bb.1515:                             ;   in Loop: Header=BB382_651 Depth=1
	v_bfe_u32 v26, v0, 24, 7
	v_cmp_ne_u32_e64 s[6:7], s37, v26
	v_mov_b32_e32 v22, 0x7f800001
	s_and_saveexec_b64 s[34:35], s[6:7]
	s_cbranch_execz .LBB382_1517
; %bb.1516:                             ;   in Loop: Header=BB382_651 Depth=1
	v_and_b32_e32 v9, 7, v2
	v_ffbh_u32_e32 v16, v9
	v_min_u32_e32 v23, 32, v16
	v_subrev_u32_e32 v16, 28, v23
	v_lshlrev_b64 v[16:17], v16, v[2:3]
	v_lshrrev_b32_e32 v22, 3, v26
	v_sub_u32_e32 v17, 29, v23
	v_and_b32_e32 v16, 7, v16
	v_cmp_gt_u32_e64 s[6:7], 8, v26
	v_cndmask_b32_e64 v17, v22, v17, s[6:7]
	v_cndmask_b32_e64 v9, v9, v16, s[6:7]
	v_lshlrev_b32_e32 v2, 24, v2
	v_bfrev_b32_e32 v16, 60
	v_lshlrev_b32_e32 v9, 20, v9
	v_and_b32_e32 v2, 0x80000000, v2
	v_lshl_add_u32 v16, v17, 23, v16
	v_accvgpr_read_b32 v23, a22
	v_or3_b32 v22, v2, v16, v9
.LBB382_1517:                           ;   in Loop: Header=BB382_651 Depth=1
	s_or_b64 exec, exec, s[34:35]
.LBB382_1518:                           ;   in Loop: Header=BB382_651 Depth=1
	s_or_b64 exec, exec, s[30:31]
.LBB382_1519:                           ;   in Loop: Header=BB382_651 Depth=1
	s_or_b64 exec, exec, s[28:29]
	v_mul_f32_e32 v2, v59, v22
	v_and_b32_e32 v9, 0x7f800000, v2
	v_cmp_ne_u32_e64 s[6:7], s9, v9
                                        ; implicit-def: $vgpr22
	s_and_saveexec_b64 s[28:29], s[6:7]
	s_xor_b64 s[6:7], exec, s[28:29]
; %bb.1520:                             ;   in Loop: Header=BB382_651 Depth=1
	v_bfe_u32 v9, v2, 16, 1
	v_add3_u32 v22, v2, v9, s15
                                        ; implicit-def: $vgpr2
; %bb.1521:                             ;   in Loop: Header=BB382_651 Depth=1
	s_andn2_saveexec_b64 s[28:29], s[6:7]
; %bb.1522:                             ;   in Loop: Header=BB382_651 Depth=1
	v_or_b32_e32 v9, 0x10000, v2
	v_cmp_eq_u32_sdwa s[6:7], v2, v33 src0_sel:WORD_0 src1_sel:DWORD
	v_cndmask_b32_e64 v22, v9, v2, s[6:7]
; %bb.1523:                             ;   in Loop: Header=BB382_651 Depth=1
	s_or_b64 exec, exec, s[28:29]
	v_mov_b32_e32 v32, v1
	v_cmp_ne_u16_sdwa s[6:7], v1, v33 src0_sel:BYTE_0 src1_sel:DWORD
	v_mov_b32_e32 v2, 0
	s_and_saveexec_b64 s[28:29], s[6:7]
	s_cbranch_execz .LBB382_1529
; %bb.1524:                             ;   in Loop: Header=BB382_651 Depth=1
	v_cmp_ne_u16_sdwa s[6:7], v1, s36 src0_sel:BYTE_0 src1_sel:DWORD
	v_bfrev_b32_e32 v2, 1
	s_and_saveexec_b64 s[30:31], s[6:7]
	s_cbranch_execz .LBB382_1528
; %bb.1525:                             ;   in Loop: Header=BB382_651 Depth=1
	v_and_b32_e32 v9, 0x7f, v1
	v_cmp_ne_u32_e64 s[6:7], s37, v9
	v_mov_b32_e32 v2, 0x7f800001
	s_and_saveexec_b64 s[34:35], s[6:7]
	s_cbranch_execz .LBB382_1527
; %bb.1526:                             ;   in Loop: Header=BB382_651 Depth=1
	v_and_b32_e32 v2, 7, v1
	v_ffbh_u32_e32 v2, v2
	v_min_u32_e32 v2, 32, v2
	v_subrev_u32_e32 v17, 28, v2
	v_cmp_gt_u32_e64 s[6:7], 8, v9
	v_lshrrev_b32_e32 v16, 3, v9
	v_sub_u32_e32 v2, 29, v2
	v_cndmask_b32_e64 v9, 0, v17, s[6:7]
	v_cndmask_b32_e64 v2, v16, v2, s[6:7]
	v_lshlrev_b64 v[16:17], v9, v[32:33]
	v_lshlrev_b32_e32 v9, 20, v16
	v_lshlrev_b32_e32 v16, 24, v32
	v_bfrev_b32_e32 v17, 60
	v_and_b32_e32 v9, 0x700000, v9
	v_and_b32_e32 v16, 0x80000000, v16
	v_lshl_add_u32 v2, v2, 23, v17
	v_or3_b32 v2, v16, v2, v9
.LBB382_1527:                           ;   in Loop: Header=BB382_651 Depth=1
	s_or_b64 exec, exec, s[34:35]
.LBB382_1528:                           ;   in Loop: Header=BB382_651 Depth=1
	s_or_b64 exec, exec, s[30:31]
.LBB382_1529:                           ;   in Loop: Header=BB382_651 Depth=1
	s_or_b64 exec, exec, s[28:29]
	v_mul_f32_e32 v2, v59, v2
	v_and_b32_e32 v9, 0x7f800000, v2
	v_cmp_ne_u32_e64 s[6:7], s9, v9
                                        ; implicit-def: $vgpr26
	s_and_saveexec_b64 s[28:29], s[6:7]
	s_xor_b64 s[6:7], exec, s[28:29]
; %bb.1530:                             ;   in Loop: Header=BB382_651 Depth=1
	v_bfe_u32 v9, v2, 16, 1
	v_add3_u32 v26, v2, v9, s15
                                        ; implicit-def: $vgpr2
; %bb.1531:                             ;   in Loop: Header=BB382_651 Depth=1
	s_andn2_saveexec_b64 s[28:29], s[6:7]
; %bb.1532:                             ;   in Loop: Header=BB382_651 Depth=1
	v_or_b32_e32 v9, 0x10000, v2
	v_cmp_eq_u32_sdwa s[6:7], v2, v33 src0_sel:WORD_0 src1_sel:DWORD
	v_cndmask_b32_e64 v26, v9, v2, s[6:7]
; %bb.1533:                             ;   in Loop: Header=BB382_651 Depth=1
	s_or_b64 exec, exec, s[28:29]
	v_lshrrev_b16_e32 v2, 8, v32
	v_cmp_ne_u16_e64 s[6:7], 0, v2
	v_mov_b32_e32 v27, 0
	s_and_saveexec_b64 s[28:29], s[6:7]
	s_cbranch_execz .LBB382_1539
; %bb.1534:                             ;   in Loop: Header=BB382_651 Depth=1
	v_cmp_ne_u16_e64 s[6:7], s36, v2
	v_bfrev_b32_e32 v27, 1
	s_and_saveexec_b64 s[30:31], s[6:7]
	s_cbranch_execz .LBB382_1538
; %bb.1535:                             ;   in Loop: Header=BB382_651 Depth=1
	v_and_b32_e32 v9, 0x7f, v2
	v_cmp_ne_u32_e64 s[6:7], s37, v9
	v_mov_b32_e32 v27, 0x7f800001
	s_and_saveexec_b64 s[34:35], s[6:7]
	s_cbranch_execz .LBB382_1537
; %bb.1536:                             ;   in Loop: Header=BB382_651 Depth=1
	v_and_b32_e32 v23, 7, v2
	v_ffbh_u32_e32 v16, v23
	v_min_u32_e32 v28, 32, v16
	v_subrev_u32_e32 v16, 28, v28
	v_lshlrev_b64 v[16:17], v16, v[2:3]
	v_lshrrev_b32_e32 v27, 3, v9
	v_sub_u32_e32 v2, 29, v28
	v_and_b32_e32 v16, 7, v16
	v_cmp_gt_u32_e64 s[6:7], 8, v9
	v_cndmask_b32_e64 v2, v27, v2, s[6:7]
	v_cndmask_b32_e64 v9, v23, v16, s[6:7]
	v_lshlrev_b32_e32 v16, 16, v32
	v_bfrev_b32_e32 v17, 60
	v_lshlrev_b32_e32 v9, 20, v9
	v_and_b32_e32 v16, 0x80000000, v16
	v_lshl_add_u32 v2, v2, 23, v17
	v_accvgpr_read_b32 v28, a15
	v_accvgpr_read_b32 v23, a22
	v_or3_b32 v27, v16, v2, v9
.LBB382_1537:                           ;   in Loop: Header=BB382_651 Depth=1
	s_or_b64 exec, exec, s[34:35]
.LBB382_1538:                           ;   in Loop: Header=BB382_651 Depth=1
	s_or_b64 exec, exec, s[30:31]
.LBB382_1539:                           ;   in Loop: Header=BB382_651 Depth=1
	s_or_b64 exec, exec, s[28:29]
	v_mul_f32_e32 v2, v59, v27
	v_and_b32_e32 v9, 0x7f800000, v2
	v_cmp_ne_u32_e64 s[6:7], s9, v9
                                        ; implicit-def: $vgpr32
	s_and_saveexec_b64 s[28:29], s[6:7]
	s_xor_b64 s[6:7], exec, s[28:29]
; %bb.1540:                             ;   in Loop: Header=BB382_651 Depth=1
	v_bfe_u32 v9, v2, 16, 1
	v_add3_u32 v32, v2, v9, s15
                                        ; implicit-def: $vgpr2
; %bb.1541:                             ;   in Loop: Header=BB382_651 Depth=1
	s_andn2_saveexec_b64 s[28:29], s[6:7]
; %bb.1542:                             ;   in Loop: Header=BB382_651 Depth=1
	v_or_b32_e32 v9, 0x10000, v2
	v_cmp_eq_u32_sdwa s[6:7], v2, v33 src0_sel:WORD_0 src1_sel:DWORD
	v_cndmask_b32_e64 v32, v9, v2, s[6:7]
; %bb.1543:                             ;   in Loop: Header=BB382_651 Depth=1
	s_or_b64 exec, exec, s[28:29]
	v_lshrrev_b32_e32 v2, 16, v1
	v_cmp_ne_u16_sdwa s[6:7], v2, v33 src0_sel:BYTE_0 src1_sel:DWORD
	v_mov_b32_e32 v27, 0
	s_and_saveexec_b64 s[28:29], s[6:7]
	s_cbranch_execz .LBB382_1549
; %bb.1544:                             ;   in Loop: Header=BB382_651 Depth=1
	v_cmp_ne_u16_sdwa s[6:7], v2, s36 src0_sel:BYTE_0 src1_sel:DWORD
	v_bfrev_b32_e32 v27, 1
	s_and_saveexec_b64 s[30:31], s[6:7]
	s_cbranch_execz .LBB382_1548
; %bb.1545:                             ;   in Loop: Header=BB382_651 Depth=1
	v_bfe_u32 v9, v1, 16, 7
	v_cmp_ne_u32_e64 s[6:7], s37, v9
	v_mov_b32_e32 v27, 0x7f800001
	s_and_saveexec_b64 s[34:35], s[6:7]
	s_cbranch_execz .LBB382_1547
; %bb.1546:                             ;   in Loop: Header=BB382_651 Depth=1
	v_and_b32_e32 v23, 7, v2
	v_ffbh_u32_e32 v16, v23
	v_min_u32_e32 v28, 32, v16
	v_subrev_u32_e32 v16, 28, v28
	v_lshlrev_b64 v[16:17], v16, v[2:3]
	v_lshrrev_b32_e32 v27, 3, v9
	v_sub_u32_e32 v17, 29, v28
	v_and_b32_e32 v16, 7, v16
	v_cmp_gt_u32_e64 s[6:7], 8, v9
	v_cndmask_b32_e64 v9, v27, v17, s[6:7]
	v_cndmask_b32_e64 v16, v23, v16, s[6:7]
	v_lshlrev_b32_e32 v2, 24, v2
	v_bfrev_b32_e32 v17, 60
	v_lshlrev_b32_e32 v16, 20, v16
	v_and_b32_e32 v2, 0x80000000, v2
	v_lshl_add_u32 v9, v9, 23, v17
	v_accvgpr_read_b32 v28, a15
	v_accvgpr_read_b32 v23, a22
	v_or3_b32 v27, v2, v9, v16
.LBB382_1547:                           ;   in Loop: Header=BB382_651 Depth=1
	s_or_b64 exec, exec, s[34:35]
.LBB382_1548:                           ;   in Loop: Header=BB382_651 Depth=1
	s_or_b64 exec, exec, s[30:31]
.LBB382_1549:                           ;   in Loop: Header=BB382_651 Depth=1
	s_or_b64 exec, exec, s[28:29]
	v_mul_f32_e32 v27, v59, v27
	v_and_b32_e32 v2, 0x7f800000, v27
	v_cmp_ne_u32_e64 s[6:7], s9, v2
                                        ; implicit-def: $vgpr2
	s_and_saveexec_b64 s[28:29], s[6:7]
	s_xor_b64 s[6:7], exec, s[28:29]
; %bb.1550:                             ;   in Loop: Header=BB382_651 Depth=1
	v_bfe_u32 v2, v27, 16, 1
	v_add3_u32 v2, v27, v2, s15
                                        ; implicit-def: $vgpr27
; %bb.1551:                             ;   in Loop: Header=BB382_651 Depth=1
	s_andn2_saveexec_b64 s[28:29], s[6:7]
; %bb.1552:                             ;   in Loop: Header=BB382_651 Depth=1
	v_or_b32_e32 v2, 0x10000, v27
	v_cmp_eq_u32_sdwa s[6:7], v27, v33 src0_sel:WORD_0 src1_sel:DWORD
	v_cndmask_b32_e64 v2, v2, v27, s[6:7]
; %bb.1553:                             ;   in Loop: Header=BB382_651 Depth=1
	s_or_b64 exec, exec, s[28:29]
	v_cmp_lt_u64_e64 s[6:7], s[20:21], v[0:1]
	v_mov_b32_e32 v27, 0
	s_and_saveexec_b64 s[28:29], s[6:7]
	s_cbranch_execz .LBB382_1559
; %bb.1554:                             ;   in Loop: Header=BB382_651 Depth=1
	v_lshrrev_b32_e32 v0, 24, v1
	v_cmp_ne_u32_e64 s[6:7], s36, v0
	v_bfrev_b32_e32 v27, 1
	s_and_saveexec_b64 s[30:31], s[6:7]
	s_cbranch_execz .LBB382_1558
; %bb.1555:                             ;   in Loop: Header=BB382_651 Depth=1
	v_bfe_u32 v1, v1, 24, 7
	v_cmp_ne_u32_e64 s[6:7], s37, v1
	v_mov_b32_e32 v27, 0x7f800001
	s_and_saveexec_b64 s[34:35], s[6:7]
	s_cbranch_execz .LBB382_1557
; %bb.1556:                             ;   in Loop: Header=BB382_651 Depth=1
	v_and_b32_e32 v9, 7, v0
	v_ffbh_u32_e32 v16, v9
	v_min_u32_e32 v27, 32, v16
	v_subrev_u32_e32 v16, 28, v27
	v_lshlrev_b64 v[16:17], v16, v[0:1]
	v_lshrrev_b32_e32 v23, 3, v1
	v_sub_u32_e32 v17, 29, v27
	v_and_b32_e32 v16, 7, v16
	v_cmp_gt_u32_e64 s[6:7], 8, v1
	v_cndmask_b32_e64 v1, v23, v17, s[6:7]
	v_cndmask_b32_e64 v9, v9, v16, s[6:7]
	v_lshlrev_b32_e32 v0, 24, v0
	v_bfrev_b32_e32 v16, 60
	v_lshlrev_b32_e32 v9, 20, v9
	v_and_b32_e32 v0, 0x80000000, v0
	v_lshl_add_u32 v1, v1, 23, v16
	v_accvgpr_read_b32 v23, a22
	v_or3_b32 v27, v0, v1, v9
.LBB382_1557:                           ;   in Loop: Header=BB382_651 Depth=1
	s_or_b64 exec, exec, s[34:35]
.LBB382_1558:                           ;   in Loop: Header=BB382_651 Depth=1
	s_or_b64 exec, exec, s[30:31]
.LBB382_1559:                           ;   in Loop: Header=BB382_651 Depth=1
	s_or_b64 exec, exec, s[28:29]
	v_mul_f32_e32 v1, v59, v27
	v_and_b32_e32 v0, 0x7f800000, v1
	v_cmp_ne_u32_e64 s[6:7], s9, v0
                                        ; implicit-def: $vgpr0
	s_and_saveexec_b64 s[28:29], s[6:7]
	s_xor_b64 s[6:7], exec, s[28:29]
; %bb.1560:                             ;   in Loop: Header=BB382_651 Depth=1
	v_bfe_u32 v0, v1, 16, 1
	v_add3_u32 v0, v1, v0, s15
                                        ; implicit-def: $vgpr1
; %bb.1561:                             ;   in Loop: Header=BB382_651 Depth=1
	s_andn2_saveexec_b64 s[28:29], s[6:7]
; %bb.1562:                             ;   in Loop: Header=BB382_651 Depth=1
	v_or_b32_e32 v0, 0x10000, v1
	v_cmp_eq_u32_sdwa s[6:7], v1, v33 src0_sel:WORD_0 src1_sel:DWORD
	v_cndmask_b32_e64 v0, v0, v1, s[6:7]
; %bb.1563:                             ;   in Loop: Header=BB382_651 Depth=1
	s_or_b64 exec, exec, s[28:29]
	v_lshrrev_b32_e32 v32, 16, v32
	v_lshrrev_b32_e32 v26, 16, v26
	;; [unrolled: 1-line block ×8, first 2 shown]
	s_and_saveexec_b64 s[6:7], s[4:5]
	s_cbranch_execz .LBB382_1565
; %bb.1564:                             ;   in Loop: Header=BB382_651 Depth=1
	v_accvgpr_read_b32 v9, a3
	v_cmp_lt_i32_e64 s[4:5], v43, v9
	v_add_u32_e32 v5, 1, v43
	v_cndmask_b32_e64 v1, 0, v1, s[4:5]
	v_cmp_lt_i32_e64 s[4:5], v5, v9
	v_add_u32_e32 v5, 2, v43
	v_cndmask_b32_e64 v12, 0, v12, s[4:5]
	;; [unrolled: 3-line block ×7, first 2 shown]
	v_cmp_lt_i32_e64 s[4:5], v5, v9
	v_cndmask_b32_e64 v0, 0, v0, s[4:5]
.LBB382_1565:                           ;   in Loop: Header=BB382_651 Depth=1
	s_or_b64 exec, exec, s[6:7]
	v_lshlrev_b32_e32 v1, 16, v1
	v_mul_f32_e32 v5, v44, v1
	v_and_b32_e32 v1, 0x7f800000, v5
	v_cmp_ne_u32_e64 s[4:5], s9, v1
                                        ; implicit-def: $vgpr1
	s_and_saveexec_b64 s[6:7], s[4:5]
	s_xor_b64 s[4:5], exec, s[6:7]
; %bb.1566:                             ;   in Loop: Header=BB382_651 Depth=1
	v_bfe_u32 v1, v5, 16, 1
	v_add3_u32 v1, v5, v1, s15
                                        ; implicit-def: $vgpr5
; %bb.1567:                             ;   in Loop: Header=BB382_651 Depth=1
	s_andn2_saveexec_b64 s[6:7], s[4:5]
; %bb.1568:                             ;   in Loop: Header=BB382_651 Depth=1
	v_or_b32_e32 v1, 0x10000, v5
	v_cmp_eq_u32_sdwa s[4:5], v5, v33 src0_sel:WORD_0 src1_sel:DWORD
	v_cndmask_b32_e64 v1, v1, v5, s[4:5]
; %bb.1569:                             ;   in Loop: Header=BB382_651 Depth=1
	s_or_b64 exec, exec, s[6:7]
	v_lshlrev_b32_e32 v5, 16, v12
	v_mul_f32_e32 v12, v46, v5
	v_and_b32_e32 v5, 0x7f800000, v12
	v_cmp_ne_u32_e64 s[4:5], s9, v5
                                        ; implicit-def: $vgpr5
	s_and_saveexec_b64 s[6:7], s[4:5]
	s_xor_b64 s[4:5], exec, s[6:7]
; %bb.1570:                             ;   in Loop: Header=BB382_651 Depth=1
	v_bfe_u32 v5, v12, 16, 1
	v_add3_u32 v5, v12, v5, s15
                                        ; implicit-def: $vgpr12
; %bb.1571:                             ;   in Loop: Header=BB382_651 Depth=1
	s_andn2_saveexec_b64 s[6:7], s[4:5]
; %bb.1572:                             ;   in Loop: Header=BB382_651 Depth=1
	v_or_b32_e32 v5, 0x10000, v12
	v_cmp_eq_u32_sdwa s[4:5], v12, v33 src0_sel:WORD_0 src1_sel:DWORD
	v_cndmask_b32_e64 v5, v5, v12, s[4:5]
; %bb.1573:                             ;   in Loop: Header=BB382_651 Depth=1
	s_or_b64 exec, exec, s[6:7]
	v_lshlrev_b32_e32 v9, 16, v13
	v_mul_f32_e32 v13, v47, v9
	v_and_b32_e32 v9, 0x7f800000, v13
	v_cmp_ne_u32_e64 s[4:5], s9, v9
                                        ; implicit-def: $vgpr12
	s_and_saveexec_b64 s[6:7], s[4:5]
	s_xor_b64 s[4:5], exec, s[6:7]
; %bb.1574:                             ;   in Loop: Header=BB382_651 Depth=1
	v_bfe_u32 v9, v13, 16, 1
	v_add3_u32 v12, v13, v9, s15
                                        ; implicit-def: $vgpr13
; %bb.1575:                             ;   in Loop: Header=BB382_651 Depth=1
	s_andn2_saveexec_b64 s[6:7], s[4:5]
; %bb.1576:                             ;   in Loop: Header=BB382_651 Depth=1
	v_or_b32_e32 v9, 0x10000, v13
	v_cmp_eq_u32_sdwa s[4:5], v13, v33 src0_sel:WORD_0 src1_sel:DWORD
	v_cndmask_b32_e64 v12, v9, v13, s[4:5]
; %bb.1577:                             ;   in Loop: Header=BB382_651 Depth=1
	s_or_b64 exec, exec, s[6:7]
	v_lshlrev_b32_e32 v9, 16, v22
	v_mul_f32_e32 v22, v56, v9
	v_and_b32_e32 v9, 0x7f800000, v22
	v_cmp_ne_u32_e64 s[4:5], s9, v9
                                        ; implicit-def: $vgpr13
	s_and_saveexec_b64 s[6:7], s[4:5]
	s_xor_b64 s[4:5], exec, s[6:7]
; %bb.1578:                             ;   in Loop: Header=BB382_651 Depth=1
	v_bfe_u32 v9, v22, 16, 1
	v_add3_u32 v13, v22, v9, s15
                                        ; implicit-def: $vgpr22
; %bb.1579:                             ;   in Loop: Header=BB382_651 Depth=1
	s_andn2_saveexec_b64 s[6:7], s[4:5]
; %bb.1580:                             ;   in Loop: Header=BB382_651 Depth=1
	v_or_b32_e32 v9, 0x10000, v22
	v_cmp_eq_u32_sdwa s[4:5], v22, v33 src0_sel:WORD_0 src1_sel:DWORD
	v_cndmask_b32_e64 v13, v9, v22, s[4:5]
; %bb.1581:                             ;   in Loop: Header=BB382_651 Depth=1
	s_or_b64 exec, exec, s[6:7]
	v_lshlrev_b32_e32 v9, 16, v26
	v_mul_f32_e32 v26, v57, v9
	v_and_b32_e32 v9, 0x7f800000, v26
	v_cmp_ne_u32_e64 s[4:5], s9, v9
                                        ; implicit-def: $vgpr22
	s_and_saveexec_b64 s[6:7], s[4:5]
	s_xor_b64 s[4:5], exec, s[6:7]
; %bb.1582:                             ;   in Loop: Header=BB382_651 Depth=1
	v_bfe_u32 v9, v26, 16, 1
	v_add3_u32 v22, v26, v9, s15
                                        ; implicit-def: $vgpr26
; %bb.1583:                             ;   in Loop: Header=BB382_651 Depth=1
	s_andn2_saveexec_b64 s[6:7], s[4:5]
; %bb.1584:                             ;   in Loop: Header=BB382_651 Depth=1
	v_or_b32_e32 v9, 0x10000, v26
	v_cmp_eq_u32_sdwa s[4:5], v26, v33 src0_sel:WORD_0 src1_sel:DWORD
	v_cndmask_b32_e64 v22, v9, v26, s[4:5]
; %bb.1585:                             ;   in Loop: Header=BB382_651 Depth=1
	s_or_b64 exec, exec, s[6:7]
	v_lshlrev_b32_e32 v9, 16, v32
	v_mul_f32_e32 v27, v58, v9
	v_and_b32_e32 v9, 0x7f800000, v27
	v_cmp_ne_u32_e64 s[4:5], s9, v9
                                        ; implicit-def: $vgpr26
	s_and_saveexec_b64 s[6:7], s[4:5]
	s_xor_b64 s[4:5], exec, s[6:7]
; %bb.1586:                             ;   in Loop: Header=BB382_651 Depth=1
	v_bfe_u32 v9, v27, 16, 1
	v_add3_u32 v26, v27, v9, s15
                                        ; implicit-def: $vgpr27
; %bb.1587:                             ;   in Loop: Header=BB382_651 Depth=1
	s_andn2_saveexec_b64 s[6:7], s[4:5]
; %bb.1588:                             ;   in Loop: Header=BB382_651 Depth=1
	v_or_b32_e32 v9, 0x10000, v27
	v_cmp_eq_u32_sdwa s[4:5], v27, v33 src0_sel:WORD_0 src1_sel:DWORD
	v_cndmask_b32_e64 v26, v9, v27, s[4:5]
; %bb.1589:                             ;   in Loop: Header=BB382_651 Depth=1
	s_or_b64 exec, exec, s[6:7]
	v_lshlrev_b32_e32 v2, 16, v2
	v_mul_f32_e32 v27, v60, v2
	v_and_b32_e32 v2, 0x7f800000, v27
	v_cmp_ne_u32_e64 s[4:5], s9, v2
                                        ; implicit-def: $vgpr2
	s_and_saveexec_b64 s[6:7], s[4:5]
	s_xor_b64 s[4:5], exec, s[6:7]
; %bb.1590:                             ;   in Loop: Header=BB382_651 Depth=1
	v_bfe_u32 v2, v27, 16, 1
	v_add3_u32 v2, v27, v2, s15
                                        ; implicit-def: $vgpr27
; %bb.1591:                             ;   in Loop: Header=BB382_651 Depth=1
	s_andn2_saveexec_b64 s[6:7], s[4:5]
; %bb.1592:                             ;   in Loop: Header=BB382_651 Depth=1
	v_or_b32_e32 v2, 0x10000, v27
	v_cmp_eq_u32_sdwa s[4:5], v27, v33 src0_sel:WORD_0 src1_sel:DWORD
	v_cndmask_b32_e64 v2, v2, v27, s[4:5]
; %bb.1593:                             ;   in Loop: Header=BB382_651 Depth=1
	s_or_b64 exec, exec, s[6:7]
	v_lshlrev_b32_e32 v0, 16, v0
	v_mul_f32_e32 v0, v41, v0
	v_and_b32_e32 v9, 0x7f800000, v0
	v_cmp_ne_u32_e64 s[4:5], s9, v9
                                        ; implicit-def: $vgpr27
	s_and_saveexec_b64 s[6:7], s[4:5]
	s_xor_b64 s[4:5], exec, s[6:7]
; %bb.1594:                             ;   in Loop: Header=BB382_651 Depth=1
	v_bfe_u32 v9, v0, 16, 1
	v_add3_u32 v27, v0, v9, s15
                                        ; implicit-def: $vgpr0
; %bb.1595:                             ;   in Loop: Header=BB382_651 Depth=1
	s_andn2_saveexec_b64 s[6:7], s[4:5]
	s_cbranch_execz .LBB382_648
; %bb.1596:                             ;   in Loop: Header=BB382_651 Depth=1
	v_or_b32_e32 v9, 0x10000, v0
	v_cmp_eq_u32_sdwa s[4:5], v0, v33 src0_sel:WORD_0 src1_sel:DWORD
	v_cndmask_b32_e64 v27, v9, v0, s[4:5]
	s_branch .LBB382_648
.LBB382_1597:
	s_or_b64 exec, exec, s[22:23]
	v_accvgpr_read_b32 v12, a20
	v_accvgpr_read_b32 v20, a16
	;; [unrolled: 1-line block ×4, first 2 shown]
.LBB382_1598:
	s_or_b64 exec, exec, s[12:13]
	ds_bpermute_b32 v0, v45, v24
	ds_bpermute_b32 v1, v45, v25
	v_pk_mov_b32 v[14:15], v[8:9], v[8:9] op_sel:[0,1]
	ds_bpermute_b32 v8, v45, v14
	ds_bpermute_b32 v9, v45, v15
	s_waitcnt lgkmcnt(0)
	v_pk_add_f32 v[0:1], v[24:25], v[0:1]
	ds_bpermute_b32 v4, v20, v0
	ds_bpermute_b32 v5, v20, v1
	v_pk_add_f32 v[14:15], v[14:15], v[8:9]
	s_barrier
	s_waitcnt lgkmcnt(0)
	ds_bpermute_b32 v2, v45, v18
	v_pk_add_f32 v[8:9], v[0:1], v[4:5]
	buffer_load_dword v4, off, s[0:3], s32 offset:232 ; 4-byte Folded Reload
	ds_bpermute_b32 v3, v45, v19
	ds_bpermute_b32 v6, v45, v12
	;; [unrolled: 1-line block ×5, first 2 shown]
	s_waitcnt lgkmcnt(4)
	v_pk_add_f32 v[2:3], v[18:19], v[2:3]
	ds_bpermute_b32 v10, v20, v2
	s_waitcnt lgkmcnt(3)
	v_pk_add_f32 v[6:7], v[12:13], v[6:7]
	ds_bpermute_b32 v11, v20, v3
	ds_bpermute_b32 v12, v20, v6
	;; [unrolled: 1-line block ×3, first 2 shown]
	s_waitcnt lgkmcnt(2)
	v_pk_add_f32 v[2:3], v[2:3], v[10:11]
	s_waitcnt lgkmcnt(0)
	v_pk_add_f32 v[0:1], v[6:7], v[12:13]
	v_pk_add_f32 v[6:7], v[14:15], v[16:17]
	s_waitcnt vmcnt(0)
	v_and_b32_e32 v4, 0x3c0, v4
	v_cmp_eq_u32_e32 vcc, 64, v4
	s_mov_b64 s[6:7], exec
	buffer_load_dword v5, off, s[0:3], s32 offset:288 ; 4-byte Folded Reload
	s_and_b64 s[4:5], s[6:7], vcc
	s_mov_b64 exec, s[4:5]
	s_cbranch_execz .LBB382_1603
; %bb.1599:
	v_cmp_eq_u32_e32 vcc, 0, v28
	s_and_saveexec_b64 s[4:5], vcc
	s_cbranch_execz .LBB382_1601
; %bb.1600:
	s_load_dword s9, s[10:11], 0x0
	s_waitcnt lgkmcnt(0)
	v_lshl_add_u32 v4, v21, 2, s9
	ds_write2_b32 v4, v8, v9 offset1:16
	ds_write2_b32 v4, v2, v3 offset0:32 offset1:48
	ds_write2_b32 v4, v0, v1 offset0:64 offset1:80
	ds_write_b32 v4, v6 offset:384
.LBB382_1601:
	s_or_b64 exec, exec, s[4:5]
	v_or_b32_e32 v4, 0x70, v21
	s_movk_i32 s4, 0x78
	v_cmp_gt_u32_e64 s[4:5], s4, v4
	s_and_b64 s[4:5], vcc, s[4:5]
	s_and_b64 exec, exec, s[4:5]
	s_cbranch_execz .LBB382_1603
; %bb.1602:
	s_load_dword s4, s[10:11], 0x0
	s_waitcnt lgkmcnt(0)
	v_lshl_add_u32 v4, v21, 2, s4
	ds_write_b32 v4, v7 offset:448
.LBB382_1603:
	s_or_b64 exec, exec, s[6:7]
	s_waitcnt lgkmcnt(0)
	s_barrier
	buffer_load_dword v4, off, s[0:3], s32 offset:232 ; 4-byte Folded Reload
	s_waitcnt vmcnt(0)
	v_cmp_gt_u32_e32 vcc, 64, v4
	v_lshrrev_b32_e32 v10, 2, v4
	s_and_saveexec_b64 s[12:13], vcc
	s_cbranch_execz .LBB382_1615
; %bb.1604:
	v_cmp_eq_u32_e64 s[4:5], 0, v28
	s_and_saveexec_b64 s[6:7], s[4:5]
	s_cbranch_execnz .LBB382_1653
; %bb.1605:
	s_or_b64 exec, exec, s[6:7]
	s_and_saveexec_b64 s[6:7], s[4:5]
	s_cbranch_execnz .LBB382_1654
.LBB382_1606:
	s_or_b64 exec, exec, s[6:7]
	s_and_saveexec_b64 s[6:7], s[4:5]
	s_cbranch_execnz .LBB382_1655
.LBB382_1607:
	s_or_b64 exec, exec, s[6:7]
	s_and_saveexec_b64 s[6:7], s[4:5]
	s_cbranch_execnz .LBB382_1656
.LBB382_1608:
	s_or_b64 exec, exec, s[6:7]
	s_and_saveexec_b64 s[6:7], s[4:5]
	s_cbranch_execnz .LBB382_1657
.LBB382_1609:
	s_or_b64 exec, exec, s[6:7]
	s_and_saveexec_b64 s[6:7], s[4:5]
	s_cbranch_execnz .LBB382_1658
.LBB382_1610:
	s_or_b64 exec, exec, s[6:7]
	s_and_saveexec_b64 s[6:7], s[4:5]
	s_cbranch_execz .LBB382_1612
.LBB382_1611:
	s_load_dword s9, s[10:11], 0x0
	s_waitcnt lgkmcnt(0)
	v_lshl_add_u32 v4, v10, 2, s9
	ds_read_b32 v4, v4 offset:384
	s_waitcnt lgkmcnt(0)
	v_add_f32_e32 v6, v6, v4
.LBB382_1612:
	s_or_b64 exec, exec, s[6:7]
	v_or_b32_e32 v4, 0x70, v10
	s_movk_i32 s6, 0x78
	v_cmp_gt_u32_e64 s[6:7], s6, v4
	s_and_b64 s[6:7], s[4:5], s[6:7]
	s_and_saveexec_b64 s[4:5], s[6:7]
	s_cbranch_execz .LBB382_1614
; %bb.1613:
	s_load_dword s6, s[10:11], 0x0
	s_waitcnt lgkmcnt(0)
	v_lshl_add_u32 v4, v10, 2, s6
	ds_read_b32 v4, v4 offset:448
	s_waitcnt lgkmcnt(0)
	v_add_f32_e32 v7, v7, v4
.LBB382_1614:
	s_or_b64 exec, exec, s[4:5]
.LBB382_1615:
	s_or_b64 exec, exec, s[12:13]
	s_barrier
	s_and_b64 exec, exec, vcc
	s_cbranch_execz .LBB382_1652
; %bb.1616:
	buffer_load_dword v11, off, s[0:3], s32 offset:284 ; 4-byte Folded Reload
	s_mul_i32 s4, s8, 0x78
	s_mul_i32 s6, s18, s19
	;; [unrolled: 1-line block ×3, first 2 shown]
	s_ashr_i32 s5, s4, 31
	s_ashr_i32 s7, s6, 31
	;; [unrolled: 1-line block ×3, first 2 shown]
	s_lshl_b64 s[4:5], s[4:5], 1
	s_lshl_b64 s[6:7], s[6:7], 1
	;; [unrolled: 1-line block ×3, first 2 shown]
	s_add_u32 s6, s8, s6
	s_addc_u32 s7, s9, s7
	s_add_u32 s4, s6, s4
	s_addc_u32 s5, s7, s5
	v_mov_b32_e32 v4, s5
	s_waitcnt vmcnt(0)
	v_add_co_u32_e32 v11, vcc, s4, v11
	v_addc_co_u32_e32 v12, vcc, v4, v5, vcc
	v_cmp_eq_u32_e32 vcc, 0, v28
	s_and_saveexec_b64 s[6:7], vcc
	s_cbranch_execz .LBB382_1646
; %bb.1617:
	s_mov_b32 s4, 0x7f800000
	v_and_b32_e32 v4, 0x7f800000, v8
	v_cmp_ne_u32_e64 s[4:5], s4, v4
                                        ; implicit-def: $vgpr13
	s_and_saveexec_b64 s[8:9], s[4:5]
	s_xor_b64 s[4:5], exec, s[8:9]
; %bb.1618:
	v_bfe_u32 v4, v8, 16, 1
	s_movk_i32 s8, 0x7fff
	v_add3_u32 v13, v8, v4, s8
; %bb.1619:
	s_andn2_saveexec_b64 s[8:9], s[4:5]
; %bb.1620:
	v_mov_b32_e32 v4, 0
	v_or_b32_e32 v5, 0x10000, v8
	v_cmp_eq_u32_sdwa s[4:5], v8, v4 src0_sel:WORD_0 src1_sel:DWORD
	v_cndmask_b32_e64 v13, v5, v8, s[4:5]
; %bb.1621:
	s_or_b64 exec, exec, s[8:9]
	v_lshlrev_b32_e32 v4, 1, v10
	v_add_co_u32_e64 v4, s[4:5], v11, v4
	v_addc_co_u32_e64 v5, s[4:5], 0, v12, s[4:5]
	s_mov_b32 s4, 0x7f800000
	v_and_b32_e32 v8, 0x7f800000, v9
	v_cmp_ne_u32_e64 s[4:5], s4, v8
	flat_store_short_d16_hi v[4:5], v13
                                        ; implicit-def: $vgpr8
	s_and_saveexec_b64 s[8:9], s[4:5]
	s_xor_b64 s[4:5], exec, s[8:9]
; %bb.1622:
	v_bfe_u32 v8, v9, 16, 1
	s_movk_i32 s8, 0x7fff
	v_add3_u32 v8, v9, v8, s8
; %bb.1623:
	s_andn2_saveexec_b64 s[8:9], s[4:5]
; %bb.1624:
	v_mov_b32_e32 v8, 0
	v_or_b32_e32 v13, 0x10000, v9
	v_cmp_eq_u32_sdwa s[4:5], v9, v8 src0_sel:WORD_0 src1_sel:DWORD
	v_cndmask_b32_e64 v8, v13, v9, s[4:5]
; %bb.1625:
	s_or_b64 exec, exec, s[8:9]
	flat_store_short_d16_hi v[4:5], v8 offset:32
	s_mov_b32 s4, 0x7f800000
	v_and_b32_e32 v8, 0x7f800000, v2
	v_cmp_ne_u32_e64 s[4:5], s4, v8
                                        ; implicit-def: $vgpr8
	s_and_saveexec_b64 s[8:9], s[4:5]
	s_xor_b64 s[4:5], exec, s[8:9]
; %bb.1626:
	v_bfe_u32 v8, v2, 16, 1
	s_movk_i32 s8, 0x7fff
	v_add3_u32 v8, v2, v8, s8
; %bb.1627:
	s_andn2_saveexec_b64 s[8:9], s[4:5]
; %bb.1628:
	v_mov_b32_e32 v8, 0
	v_or_b32_e32 v9, 0x10000, v2
	v_cmp_eq_u32_sdwa s[4:5], v2, v8 src0_sel:WORD_0 src1_sel:DWORD
	v_cndmask_b32_e64 v8, v9, v2, s[4:5]
; %bb.1629:
	s_or_b64 exec, exec, s[8:9]
	s_mov_b32 s4, 0x7f800000
	v_and_b32_e32 v2, 0x7f800000, v3
	v_cmp_ne_u32_e64 s[4:5], s4, v2
	flat_store_short_d16_hi v[4:5], v8 offset:64
                                        ; implicit-def: $vgpr2
	s_and_saveexec_b64 s[8:9], s[4:5]
	s_xor_b64 s[4:5], exec, s[8:9]
; %bb.1630:
	v_bfe_u32 v2, v3, 16, 1
	s_movk_i32 s8, 0x7fff
	v_add3_u32 v2, v3, v2, s8
; %bb.1631:
	s_andn2_saveexec_b64 s[8:9], s[4:5]
; %bb.1632:
	v_mov_b32_e32 v2, 0
	v_or_b32_e32 v8, 0x10000, v3
	v_cmp_eq_u32_sdwa s[4:5], v3, v2 src0_sel:WORD_0 src1_sel:DWORD
	v_cndmask_b32_e64 v2, v8, v3, s[4:5]
; %bb.1633:
	s_or_b64 exec, exec, s[8:9]
	flat_store_short_d16_hi v[4:5], v2 offset:96
	s_mov_b32 s4, 0x7f800000
	v_and_b32_e32 v2, 0x7f800000, v0
	v_cmp_ne_u32_e64 s[4:5], s4, v2
                                        ; implicit-def: $vgpr2
	s_and_saveexec_b64 s[8:9], s[4:5]
	s_xor_b64 s[4:5], exec, s[8:9]
; %bb.1634:
	v_bfe_u32 v2, v0, 16, 1
	s_movk_i32 s8, 0x7fff
	v_add3_u32 v2, v0, v2, s8
; %bb.1635:
	s_andn2_saveexec_b64 s[8:9], s[4:5]
; %bb.1636:
	v_mov_b32_e32 v2, 0
	v_or_b32_e32 v3, 0x10000, v0
	v_cmp_eq_u32_sdwa s[4:5], v0, v2 src0_sel:WORD_0 src1_sel:DWORD
	v_cndmask_b32_e64 v2, v3, v0, s[4:5]
; %bb.1637:
	s_or_b64 exec, exec, s[8:9]
	s_mov_b32 s4, 0x7f800000
	v_and_b32_e32 v0, 0x7f800000, v1
	v_cmp_ne_u32_e64 s[4:5], s4, v0
	flat_store_short_d16_hi v[4:5], v2 offset:128
                                        ; implicit-def: $vgpr0
	s_and_saveexec_b64 s[8:9], s[4:5]
	s_xor_b64 s[4:5], exec, s[8:9]
; %bb.1638:
	v_bfe_u32 v0, v1, 16, 1
	s_movk_i32 s8, 0x7fff
	v_add3_u32 v0, v1, v0, s8
; %bb.1639:
	s_andn2_saveexec_b64 s[8:9], s[4:5]
; %bb.1640:
	v_mov_b32_e32 v0, 0
	v_or_b32_e32 v2, 0x10000, v1
	v_cmp_eq_u32_sdwa s[4:5], v1, v0 src0_sel:WORD_0 src1_sel:DWORD
	v_cndmask_b32_e64 v0, v2, v1, s[4:5]
; %bb.1641:
	s_or_b64 exec, exec, s[8:9]
	flat_store_short_d16_hi v[4:5], v0 offset:160
	s_mov_b32 s4, 0x7f800000
	v_and_b32_e32 v0, 0x7f800000, v6
	v_cmp_ne_u32_e64 s[4:5], s4, v0
                                        ; implicit-def: $vgpr0
	s_and_saveexec_b64 s[8:9], s[4:5]
	s_xor_b64 s[4:5], exec, s[8:9]
; %bb.1642:
	v_bfe_u32 v0, v6, 16, 1
	s_movk_i32 s8, 0x7fff
	v_add3_u32 v0, v6, v0, s8
; %bb.1643:
	s_andn2_saveexec_b64 s[8:9], s[4:5]
; %bb.1644:
	v_mov_b32_e32 v0, 0
	v_or_b32_e32 v1, 0x10000, v6
	v_cmp_eq_u32_sdwa s[4:5], v6, v0 src0_sel:WORD_0 src1_sel:DWORD
	v_cndmask_b32_e64 v0, v1, v6, s[4:5]
; %bb.1645:
	s_or_b64 exec, exec, s[8:9]
	flat_store_short_d16_hi v[4:5], v0 offset:192
.LBB382_1646:
	s_or_b64 exec, exec, s[6:7]
	v_or_b32_e32 v0, 0x70, v10
	s_movk_i32 s4, 0x78
	v_cmp_gt_u32_e64 s[4:5], s4, v0
	s_and_b64 s[4:5], vcc, s[4:5]
	s_and_b64 exec, exec, s[4:5]
	s_cbranch_execz .LBB382_1652
; %bb.1647:
	s_mov_b32 s4, 0x7f800000
	v_and_b32_e32 v0, 0x7f800000, v7
	v_cmp_ne_u32_e32 vcc, s4, v0
                                        ; implicit-def: $vgpr8
	s_and_saveexec_b64 s[4:5], vcc
	s_xor_b64 s[4:5], exec, s[4:5]
; %bb.1648:
	v_bfe_u32 v0, v7, 16, 1
	s_movk_i32 s6, 0x7fff
	v_add3_u32 v8, v7, v0, s6
                                        ; implicit-def: $vgpr0_vgpr1_vgpr2_vgpr3_vgpr4_vgpr5_vgpr6_vgpr7
; %bb.1649:
	s_andn2_saveexec_b64 s[4:5], s[4:5]
; %bb.1650:
	v_mov_b32_e32 v0, 0
	v_or_b32_e32 v1, 0x10000, v7
	v_cmp_eq_u32_sdwa vcc, v7, v0 src0_sel:WORD_0 src1_sel:DWORD
	v_cndmask_b32_e32 v8, v1, v7, vcc
; %bb.1651:
	s_or_b64 exec, exec, s[4:5]
	v_lshlrev_b32_e32 v0, 1, v10
	v_add_co_u32_e32 v0, vcc, v11, v0
	v_addc_co_u32_e32 v1, vcc, 0, v12, vcc
	flat_store_short_d16_hi v[0:1], v8 offset:224
.LBB382_1652:
	s_or_b64 exec, exec, s[16:17]
	buffer_load_dword a63, off, s[0:3], s32 offset:8 ; 4-byte Folded Reload
	buffer_load_dword a62, off, s[0:3], s32 offset:12 ; 4-byte Folded Reload
	;; [unrolled: 1-line block ×46, first 2 shown]
	v_readlane_b32 s30, v63, 10
	v_readlane_b32 s31, v63, 11
	;; [unrolled: 1-line block ×12, first 2 shown]
	v_accvgpr_read_b32 v40, a5              ;  Reload Reuse
	s_or_saveexec_b64 s[4:5], -1
	buffer_load_dword v63, off, s[0:3], s32 offset:364 ; 4-byte Folded Reload
	s_mov_b64 exec, s[4:5]
	s_waitcnt vmcnt(0) lgkmcnt(0)
	s_setpc_b64 s[30:31]
.LBB382_1653:
	s_load_dword s9, s[10:11], 0x0
	s_waitcnt lgkmcnt(0)
	v_lshl_add_u32 v4, v10, 2, s9
	ds_read_b32 v4, v4
	s_waitcnt lgkmcnt(0)
	v_add_f32_e32 v8, v8, v4
	s_or_b64 exec, exec, s[6:7]
	s_and_saveexec_b64 s[6:7], s[4:5]
	s_cbranch_execz .LBB382_1606
.LBB382_1654:
	s_load_dword s9, s[10:11], 0x0
	s_waitcnt lgkmcnt(0)
	v_lshl_add_u32 v4, v10, 2, s9
	ds_read_b32 v4, v4 offset:64
	s_waitcnt lgkmcnt(0)
	v_add_f32_e32 v9, v9, v4
	s_or_b64 exec, exec, s[6:7]
	s_and_saveexec_b64 s[6:7], s[4:5]
	s_cbranch_execz .LBB382_1607
.LBB382_1655:
	s_load_dword s9, s[10:11], 0x0
	s_waitcnt lgkmcnt(0)
	v_lshl_add_u32 v4, v10, 2, s9
	ds_read_b32 v4, v4 offset:128
	s_waitcnt lgkmcnt(0)
	v_add_f32_e32 v2, v2, v4
	s_or_b64 exec, exec, s[6:7]
	s_and_saveexec_b64 s[6:7], s[4:5]
	s_cbranch_execz .LBB382_1608
.LBB382_1656:
	s_load_dword s9, s[10:11], 0x0
	s_waitcnt lgkmcnt(0)
	v_lshl_add_u32 v4, v10, 2, s9
	ds_read_b32 v4, v4 offset:192
	s_waitcnt lgkmcnt(0)
	v_add_f32_e32 v3, v3, v4
	s_or_b64 exec, exec, s[6:7]
	s_and_saveexec_b64 s[6:7], s[4:5]
	s_cbranch_execz .LBB382_1609
.LBB382_1657:
	s_load_dword s9, s[10:11], 0x0
	s_waitcnt lgkmcnt(0)
	v_lshl_add_u32 v4, v10, 2, s9
	ds_read_b32 v4, v4 offset:256
	s_waitcnt lgkmcnt(0)
	v_add_f32_e32 v0, v0, v4
	s_or_b64 exec, exec, s[6:7]
	s_and_saveexec_b64 s[6:7], s[4:5]
	s_cbranch_execz .LBB382_1610
.LBB382_1658:
	s_load_dword s9, s[10:11], 0x0
	s_waitcnt lgkmcnt(0)
	v_lshl_add_u32 v4, v10, 2, s9
	ds_read_b32 v4, v4 offset:320
	s_waitcnt lgkmcnt(0)
	v_add_f32_e32 v1, v1, v4
	s_or_b64 exec, exec, s[6:7]
	s_and_saveexec_b64 s[6:7], s[4:5]
	s_cbranch_execnz .LBB382_1611
	s_branch .LBB382_1612
.Lfunc_end382:
	.size	_ZN4vllm22paged_attention_kernelI14__hip_bfloat16hLi120ELi32ELi128ELNS_18Fp8KVCacheDataTypeE1ELb1ELi512EEEvPfS3_PT_PKS4_PKT0_SA_ifPKiSC_iPKfiiiSE_SE_iiiii, .Lfunc_end382-_ZN4vllm22paged_attention_kernelI14__hip_bfloat16hLi120ELi32ELi128ELNS_18Fp8KVCacheDataTypeE1ELb1ELi512EEEvPfS3_PT_PKS4_PKT0_SA_ifPKiSC_iPKfiiiSE_SE_iiiii
                                        ; -- End function
	.section	.AMDGPU.csdata,"",@progbits
; Function info:
; codeLenInByte = 52552
; NumSgprs: 48
; NumVgprs: 64
; NumAgprs: 64
; TotalNumVgprs: 128
; ScratchSize: 372
; MemoryBound: 0
	.section	.text._ZN4vllm25paged_attention_v2_kernelI14__hip_bfloat16hLi120ELi32ELi128ELNS_18Fp8KVCacheDataTypeE1ELb1ELi512EEEvPfS3_PT_PKS4_PKT0_SA_ifPKiSC_iPKfiiiSE_SE_iiiii,"axG",@progbits,_ZN4vllm25paged_attention_v2_kernelI14__hip_bfloat16hLi120ELi32ELi128ELNS_18Fp8KVCacheDataTypeE1ELb1ELi512EEEvPfS3_PT_PKS4_PKT0_SA_ifPKiSC_iPKfiiiSE_SE_iiiii,comdat
	.protected	_ZN4vllm25paged_attention_v2_kernelI14__hip_bfloat16hLi120ELi32ELi128ELNS_18Fp8KVCacheDataTypeE1ELb1ELi512EEEvPfS3_PT_PKS4_PKT0_SA_ifPKiSC_iPKfiiiSE_SE_iiiii ; -- Begin function _ZN4vllm25paged_attention_v2_kernelI14__hip_bfloat16hLi120ELi32ELi128ELNS_18Fp8KVCacheDataTypeE1ELb1ELi512EEEvPfS3_PT_PKS4_PKT0_SA_ifPKiSC_iPKfiiiSE_SE_iiiii
	.globl	_ZN4vllm25paged_attention_v2_kernelI14__hip_bfloat16hLi120ELi32ELi128ELNS_18Fp8KVCacheDataTypeE1ELb1ELi512EEEvPfS3_PT_PKS4_PKT0_SA_ifPKiSC_iPKfiiiSE_SE_iiiii
	.p2align	8
	.type	_ZN4vllm25paged_attention_v2_kernelI14__hip_bfloat16hLi120ELi32ELi128ELNS_18Fp8KVCacheDataTypeE1ELb1ELi512EEEvPfS3_PT_PKS4_PKT0_SA_ifPKiSC_iPKfiiiSE_SE_iiiii,@function
_ZN4vllm25paged_attention_v2_kernelI14__hip_bfloat16hLi120ELi32ELi128ELNS_18Fp8KVCacheDataTypeE1ELb1ELi512EEEvPfS3_PT_PKS4_PKT0_SA_ifPKiSC_iPKfiiiSE_SE_iiiii: ; @_ZN4vllm25paged_attention_v2_kernelI14__hip_bfloat16hLi120ELi32ELi128ELNS_18Fp8KVCacheDataTypeE1ELb1ELi512EEEvPfS3_PT_PKS4_PKT0_SA_ifPKiSC_iPKfiiiSE_SE_iiiii
; %bb.0:
	s_add_u32 flat_scratch_lo, s6, s11
	s_addc_u32 flat_scratch_hi, s7, 0
	s_add_u32 s0, s0, s11
	s_mov_b32 s12, s8
	s_load_dwordx8 s[24:31], s[4:5], 0x0
	s_load_dwordx8 s[16:23], s[4:5], 0x20
	s_load_dwordx2 s[6:7], s[4:5], 0x40
	s_load_dwordx4 s[44:47], s[4:5], 0x78
	s_load_dwordx2 s[34:35], s[4:5], 0x50
	s_load_dword s11, s[4:5], 0x48
	s_load_dword s8, s[4:5], 0x88
	s_load_dwordx8 s[36:43], s[4:5], 0x58
	s_mov_b32 s32, 0
	s_addc_u32 s1, s1, 0
	s_waitcnt lgkmcnt(0)
	v_mov_b32_e32 v1, s47
	buffer_store_dword v1, off, s[0:3], s32
	v_mov_b32_e32 v1, s8
	s_add_u32 s8, s4, 0x90
	s_mov_b32 s13, s9
	buffer_store_dword v1, off, s[0:3], s32 offset:4
	s_addc_u32 s9, s5, 0
	s_mov_b32 s14, s10
	s_mov_b32 s15, 7
	v_mov_b32_e32 v31, v0
	v_mov_b32_e32 v0, s24
	;; [unrolled: 1-line block ×32, first 2 shown]
	s_getpc_b64 s[4:5]
	s_add_u32 s4, s4, _ZN4vllm22paged_attention_kernelI14__hip_bfloat16hLi120ELi32ELi128ELNS_18Fp8KVCacheDataTypeE1ELb1ELi512EEEvPfS3_PT_PKS4_PKT0_SA_ifPKiSC_iPKfiiiSE_SE_iiiii@rel32@lo+4
	s_addc_u32 s5, s5, _ZN4vllm22paged_attention_kernelI14__hip_bfloat16hLi120ELi32ELi128ELNS_18Fp8KVCacheDataTypeE1ELb1ELi512EEEvPfS3_PT_PKS4_PKT0_SA_ifPKiSC_iPKfiiiSE_SE_iiiii@rel32@hi+12
	s_swappc_b64 s[30:31], s[4:5]
	s_endpgm
	.section	.rodata,"a",@progbits
	.p2align	6, 0x0
	.amdhsa_kernel _ZN4vllm25paged_attention_v2_kernelI14__hip_bfloat16hLi120ELi32ELi128ELNS_18Fp8KVCacheDataTypeE1ELb1ELi512EEEvPfS3_PT_PKS4_PKT0_SA_ifPKiSC_iPKfiiiSE_SE_iiiii
		.amdhsa_group_segment_fixed_size 256
		.amdhsa_private_segment_fixed_size 372
		.amdhsa_kernarg_size 400
		.amdhsa_user_sgpr_count 8
		.amdhsa_user_sgpr_private_segment_buffer 1
		.amdhsa_user_sgpr_dispatch_ptr 0
		.amdhsa_user_sgpr_queue_ptr 0
		.amdhsa_user_sgpr_kernarg_segment_ptr 1
		.amdhsa_user_sgpr_dispatch_id 0
		.amdhsa_user_sgpr_flat_scratch_init 1
		.amdhsa_user_sgpr_kernarg_preload_length 0
		.amdhsa_user_sgpr_kernarg_preload_offset 0
		.amdhsa_user_sgpr_private_segment_size 0
		.amdhsa_uses_dynamic_stack 0
		.amdhsa_system_sgpr_private_segment_wavefront_offset 1
		.amdhsa_system_sgpr_workgroup_id_x 1
		.amdhsa_system_sgpr_workgroup_id_y 1
		.amdhsa_system_sgpr_workgroup_id_z 1
		.amdhsa_system_sgpr_workgroup_info 0
		.amdhsa_system_vgpr_workitem_id 0
		.amdhsa_next_free_vgpr 128
		.amdhsa_next_free_sgpr 48
		.amdhsa_accum_offset 64
		.amdhsa_reserve_vcc 1
		.amdhsa_reserve_flat_scratch 1
		.amdhsa_float_round_mode_32 0
		.amdhsa_float_round_mode_16_64 0
		.amdhsa_float_denorm_mode_32 3
		.amdhsa_float_denorm_mode_16_64 3
		.amdhsa_dx10_clamp 1
		.amdhsa_ieee_mode 1
		.amdhsa_fp16_overflow 0
		.amdhsa_tg_split 0
		.amdhsa_exception_fp_ieee_invalid_op 0
		.amdhsa_exception_fp_denorm_src 0
		.amdhsa_exception_fp_ieee_div_zero 0
		.amdhsa_exception_fp_ieee_overflow 0
		.amdhsa_exception_fp_ieee_underflow 0
		.amdhsa_exception_fp_ieee_inexact 0
		.amdhsa_exception_int_div_zero 0
	.end_amdhsa_kernel
	.section	.text._ZN4vllm25paged_attention_v2_kernelI14__hip_bfloat16hLi120ELi32ELi128ELNS_18Fp8KVCacheDataTypeE1ELb1ELi512EEEvPfS3_PT_PKS4_PKT0_SA_ifPKiSC_iPKfiiiSE_SE_iiiii,"axG",@progbits,_ZN4vllm25paged_attention_v2_kernelI14__hip_bfloat16hLi120ELi32ELi128ELNS_18Fp8KVCacheDataTypeE1ELb1ELi512EEEvPfS3_PT_PKS4_PKT0_SA_ifPKiSC_iPKfiiiSE_SE_iiiii,comdat
.Lfunc_end383:
	.size	_ZN4vllm25paged_attention_v2_kernelI14__hip_bfloat16hLi120ELi32ELi128ELNS_18Fp8KVCacheDataTypeE1ELb1ELi512EEEvPfS3_PT_PKS4_PKT0_SA_ifPKiSC_iPKfiiiSE_SE_iiiii, .Lfunc_end383-_ZN4vllm25paged_attention_v2_kernelI14__hip_bfloat16hLi120ELi32ELi128ELNS_18Fp8KVCacheDataTypeE1ELb1ELi512EEEvPfS3_PT_PKS4_PKT0_SA_ifPKiSC_iPKfiiiSE_SE_iiiii
                                        ; -- End function
	.section	.AMDGPU.csdata,"",@progbits
; Kernel info:
; codeLenInByte = 296
; NumSgprs: 54
; NumVgprs: 64
; NumAgprs: 64
; TotalNumVgprs: 128
; ScratchSize: 372
; MemoryBound: 0
; FloatMode: 240
; IeeeMode: 1
; LDSByteSize: 256 bytes/workgroup (compile time only)
; SGPRBlocks: 6
; VGPRBlocks: 15
; NumSGPRsForWavesPerEU: 54
; NumVGPRsForWavesPerEU: 128
; AccumOffset: 64
; Occupancy: 4
; WaveLimiterHint : 1
; COMPUTE_PGM_RSRC2:SCRATCH_EN: 1
; COMPUTE_PGM_RSRC2:USER_SGPR: 8
; COMPUTE_PGM_RSRC2:TRAP_HANDLER: 0
; COMPUTE_PGM_RSRC2:TGID_X_EN: 1
; COMPUTE_PGM_RSRC2:TGID_Y_EN: 1
; COMPUTE_PGM_RSRC2:TGID_Z_EN: 1
; COMPUTE_PGM_RSRC2:TIDIG_COMP_CNT: 0
; COMPUTE_PGM_RSRC3_GFX90A:ACCUM_OFFSET: 15
; COMPUTE_PGM_RSRC3_GFX90A:TG_SPLIT: 0
	.text
	.p2align	2                               ; -- Begin function _ZN4vllm22paged_attention_kernelI14__hip_bfloat16hLi128ELi32ELi128ELNS_18Fp8KVCacheDataTypeE1ELb1ELi512EEEvPfS3_PT_PKS4_PKT0_SA_ifPKiSC_iPKfiiiSE_SE_iiiii
	.type	_ZN4vllm22paged_attention_kernelI14__hip_bfloat16hLi128ELi32ELi128ELNS_18Fp8KVCacheDataTypeE1ELb1ELi512EEEvPfS3_PT_PKS4_PKT0_SA_ifPKiSC_iPKfiiiSE_SE_iiiii,@function
_ZN4vllm22paged_attention_kernelI14__hip_bfloat16hLi128ELi32ELi128ELNS_18Fp8KVCacheDataTypeE1ELb1ELi512EEEvPfS3_PT_PKS4_PKT0_SA_ifPKiSC_iPKfiiiSE_SE_iiiii: ; @_ZN4vllm22paged_attention_kernelI14__hip_bfloat16hLi128ELi32ELi128ELNS_18Fp8KVCacheDataTypeE1ELb1ELi512EEEvPfS3_PT_PKS4_PKT0_SA_ifPKiSC_iPKfiiiSE_SE_iiiii
; %bb.0:
	s_waitcnt vmcnt(0) expcnt(0) lgkmcnt(0)
	s_or_saveexec_b64 s[4:5], -1
	buffer_store_dword v63, off, s[0:3], s32 offset:412 ; 4-byte Folded Spill
	s_mov_b64 exec, s[4:5]
	buffer_store_dword v40, off, s[0:3], s32 offset:192 ; 4-byte Folded Spill
	buffer_store_dword v41, off, s[0:3], s32 offset:188 ; 4-byte Folded Spill
	;; [unrolled: 1-line block ×47, first 2 shown]
	v_writelane_b32 v63, s34, 0
	v_writelane_b32 v63, s35, 1
	;; [unrolled: 1-line block ×12, first 2 shown]
	s_mov_b32 s18, s13
	s_ashr_i32 s19, s13, 31
	buffer_store_dword v26, off, s[0:3], s32 offset:276 ; 4-byte Folded Spill
	s_nop 0
	buffer_store_dword v27, off, s[0:3], s32 offset:280 ; 4-byte Folded Spill
	buffer_store_dword v24, off, s[0:3], s32 offset:284 ; 4-byte Folded Spill
	s_nop 0
	buffer_store_dword v25, off, s[0:3], s32 offset:288 ; 4-byte Folded Spill
	;; [unrolled: 3-line block ×3, first 2 shown]
	s_lshl_b64 s[4:5], s[18:19], 2
	v_mov_b32_e32 v22, v1
	v_mov_b32_e32 v24, v0
	;; [unrolled: 1-line block ×3, first 2 shown]
	v_add_co_u32_e32 v0, vcc, s4, v16
	v_addc_co_u32_e32 v1, vcc, v17, v1, vcc
	buffer_store_dword v13, off, s[0:3], s32 offset:320 ; 4-byte Folded Spill
	buffer_store_dword v4, off, s[0:3], s32 offset:332 ; 4-byte Folded Spill
	v_mov_b32_e32 v34, v2
	flat_load_dword v2, v[0:1]
	s_nop 0
	buffer_load_dword v0, off, s[0:3], s32 offset:4
	buffer_load_dword v1, off, s[0:3], s32
	s_mov_b32 s22, s15
	s_lshl_b32 s15, s14, 9
	v_mov_b32_e32 v33, v20
	v_mov_b32_e32 v32, v19
	;; [unrolled: 1-line block ×5, first 2 shown]
	s_waitcnt vmcnt(0) lgkmcnt(0)
	v_cmp_lt_i32_e32 vcc, s15, v2
	buffer_store_dword v2, off, s[0:3], s32 offset:196 ; 4-byte Folded Spill
	s_and_saveexec_b64 s[16:17], vcc
	s_cbranch_execz .LBB384_1684
; %bb.1:
	v_sub_u32_e32 v2, 0, v12
	v_max_i32_e32 v2, v12, v2
	v_cvt_f32_u32_e32 v3, v2
	buffer_store_dword v5, off, s[0:3], s32 offset:336 ; 4-byte Folded Spill
	s_load_dword s4, s[8:9], 0x10
	s_load_dword s6, s[8:9], 0x0
	v_sub_u32_e32 v5, 0, v2
	v_rcp_iflag_f32_e32 v3, v3
	s_waitcnt lgkmcnt(0)
	s_lshr_b32 s4, s4, 16
	s_cmp_lg_u32 s4, 0
	v_mul_f32_e32 v3, 0x4f7ffffe, v3
	v_cvt_u32_f32_e32 v3, v3
	s_cselect_b64 s[4:5], -1, 0
	s_cmp_lg_u64 s[4:5], 0
	s_addc_u32 s19, s6, 0
	v_mul_lo_u32 v5, v5, v3
	v_mul_hi_u32 v5, v3, v5
	s_abs_i32 s4, s19
	v_add_u32_e32 v3, v3, v5
	v_mul_hi_u32 v3, s4, v3
	v_mul_lo_u32 v5, v3, v2
	v_sub_u32_e32 v5, s4, v5
	v_add_u32_e32 v10, 1, v3
	v_cmp_ge_u32_e32 vcc, v5, v2
	v_cndmask_b32_e32 v3, v3, v10, vcc
	v_sub_u32_e32 v10, v5, v2
	v_cndmask_b32_e32 v5, v5, v10, vcc
	v_xor_b32_e32 v4, s19, v12
	v_add_u32_e32 v10, 1, v3
	v_cmp_ge_u32_e32 vcc, v5, v2
	v_ashrrev_i32_e32 v4, 31, v4
	v_cndmask_b32_e32 v2, v3, v10, vcc
	v_xor_b32_e32 v2, v2, v4
	v_sub_u32_e32 v2, v2, v4
	v_sub_u32_e32 v3, 0, v2
	v_max_i32_e32 v3, v2, v3
	v_cvt_f32_u32_e32 v4, v3
	v_sub_u32_e32 v5, 0, v3
	s_abs_i32 s6, s12
	v_cmp_ne_u64_e32 vcc, 0, v[32:33]
	v_rcp_iflag_f32_e32 v4, v4
	v_mul_f32_e32 v4, 0x4f7ffffe, v4
	v_cvt_u32_f32_e32 v4, v4
	v_mul_lo_u32 v5, v5, v4
	v_mul_hi_u32 v5, v4, v5
	v_add_u32_e32 v4, v4, v5
	v_mad_u64_u32 v[16:17], s[4:5], s6, v4, 0
	v_mov_b32_e32 v4, 0
	buffer_store_dword v4, off, s[0:3], s32 offset:316 ; 4-byte Folded Spill
	s_and_saveexec_b64 s[4:5], vcc
	s_cbranch_execz .LBB384_3
; %bb.2:
	s_ashr_i32 s13, s12, 31
	s_lshl_b64 s[10:11], s[12:13], 2
	v_mov_b32_e32 v5, s11
	v_add_co_u32_e32 v4, vcc, s10, v32
	v_addc_co_u32_e32 v5, vcc, v33, v5, vcc
	flat_load_dword v4, v[4:5]
	s_waitcnt vmcnt(0) lgkmcnt(0)
	buffer_store_dword v4, off, s[0:3], s32 offset:316 ; 4-byte Folded Spill
.LBB384_3:
	s_or_b64 exec, exec, s[4:5]
	v_and_b32_e32 v5, 0x3ff, v31
	s_ashr_i32 s7, s12, 31
	v_ashrrev_i32_e32 v4, 31, v2
	v_and_b32_e32 v2, 1, v5
	s_lshl_b32 s20, s12, 7
	v_cmp_gt_u32_e32 vcc, 32, v5
	v_lshlrev_b32_e32 v31, 3, v5
	buffer_store_dword v5, off, s[0:3], s32 offset:272 ; 4-byte Folded Spill
	s_and_saveexec_b64 s[4:5], vcc
	s_cbranch_execz .LBB384_5
; %bb.4:
	v_mul_lo_u32 v10, s18, v21
	v_ashrrev_i32_e32 v11, 31, v10
	v_lshlrev_b64 v[10:11], 1, v[10:11]
	v_add_co_u32_e32 v5, vcc, v6, v10
	s_ashr_i32 s21, s20, 31
	v_addc_co_u32_e32 v6, vcc, v7, v11, vcc
	s_lshl_b64 s[10:11], s[20:21], 1
	v_mov_b32_e32 v7, s11
	v_add_co_u32_e32 v5, vcc, s10, v5
	v_addc_co_u32_e32 v7, vcc, v6, v7, vcc
	v_add_co_u32_e32 v6, vcc, v5, v31
	buffer_load_dword v5, off, s[0:3], s32 offset:272 ; 4-byte Folded Reload
	v_addc_co_u32_e32 v7, vcc, 0, v7, vcc
	flat_load_dwordx2 v[6:7], v[6:7]
	s_waitcnt vmcnt(0)
	v_lshlrev_b32_e32 v5, 2, v5
	v_and_b32_e32 v5, 0xff8, v5
	v_lshl_add_u32 v5, v2, 7, v5
	s_waitcnt lgkmcnt(0)
	ds_write_b64 v5, v[6:7]
.LBB384_5:
	s_or_b64 exec, exec, s[4:5]
	v_mul_lo_u32 v5, v17, v3
	v_sub_u32_e32 v5, s6, v5
	v_add_u32_e32 v6, 1, v17
	v_cmp_ge_u32_e32 vcc, v5, v3
	v_sub_u32_e32 v7, v5, v3
	v_cndmask_b32_e32 v6, v17, v6, vcc
	v_cndmask_b32_e32 v5, v5, v7, vcc
	v_add_u32_e32 v7, 1, v6
	v_cmp_ge_u32_e32 vcc, v5, v3
	v_xor_b32_e32 v4, s7, v4
	v_cndmask_b32_e32 v3, v6, v7, vcc
	v_xor_b32_e32 v3, v3, v4
	v_sub_u32_e32 v6, v3, v4
	s_waitcnt lgkmcnt(0)
	s_barrier
	buffer_load_dword v4, off, s[0:3], s32 offset:196 ; 4-byte Folded Reload
	v_sub_u32_e32 v5, 0, v1
	v_max_i32_e32 v7, v1, v5
	v_cvt_f32_u32_e32 v5, v7
	buffer_store_dword v7, off, s[0:3], s32 offset:200 ; 4-byte Folded Spill
	v_sub_u32_e32 v7, 0, v7
	v_cmp_gt_i32_e32 vcc, 0, v0
	v_rcp_iflag_f32_e32 v3, v5
                                        ; implicit-def: $vgpr10
	v_mul_f32_e32 v3, 0x4f7ffffe, v3
	v_cvt_u32_f32_e32 v5, v3
	v_mul_lo_u32 v7, v7, v5
	v_mul_hi_u32 v7, v5, v7
	v_add_u32_e32 v5, v5, v7
	buffer_store_dword v5, off, s[0:3], s32 offset:220 ; 4-byte Folded Spill
	buffer_store_dword v10, off, s[0:3], s32 offset:212 ; 4-byte Folded Spill
	s_nop 0
	buffer_store_dword v11, off, s[0:3], s32 offset:216 ; 4-byte Folded Spill
	s_waitcnt vmcnt(4)
	v_add_u32_e32 v4, -1, v4
	v_sub_u32_e32 v3, 0, v4
	v_max_i32_e32 v3, v4, v3
	v_mad_u64_u32 v[16:17], s[4:5], v3, v5, 0
	s_and_saveexec_b64 s[4:5], vcc
	s_xor_b64 s[4:5], exec, s[4:5]
	s_cbranch_execz .LBB384_7
; %bb.6:
	v_mad_u64_u32 v[10:11], s[6:7], v28, v12, v[6:7]
	v_mul_lo_u32 v0, v10, v0
	v_sub_u32_e32 v0, 1, v0
	buffer_store_dword v0, off, s[0:3], s32 offset:212 ; 4-byte Folded Spill
	s_nop 0
	buffer_store_dword v1, off, s[0:3], s32 offset:216 ; 4-byte Folded Spill
                                        ; implicit-def: $vgpr28
                                        ; implicit-def: $vgpr0
.LBB384_7:
	s_or_saveexec_b64 s[4:5], s[4:5]
	v_ashrrev_i32_e32 v4, 31, v4
	v_ashrrev_i32_e32 v1, 31, v1
	buffer_store_dword v1, off, s[0:3], s32 offset:204 ; 4-byte Folded Spill
	s_xor_b64 exec, exec, s[4:5]
	s_cbranch_execz .LBB384_9
; %bb.8:
	v_mul_lo_u32 v1, s19, v28
	v_add_u32_e32 v1, s12, v1
	v_mad_u64_u32 v[0:1], s[6:7], v1, v0, 1
	buffer_store_dword v0, off, s[0:3], s32 offset:212 ; 4-byte Folded Spill
	s_nop 0
	buffer_store_dword v1, off, s[0:3], s32 offset:216 ; 4-byte Folded Spill
.LBB384_9:
	s_or_b64 exec, exec, s[4:5]
	s_load_dword s38, s[8:9], 0x14
	s_load_dword s13, s[8:9], 0x8
	buffer_load_dword v5, off, s[0:3], s32 offset:204 ; 4-byte Folded Reload
	buffer_load_dword v10, off, s[0:3], s32 offset:200 ; 4-byte Folded Reload
	s_lshl_b32 s21, s14, 4
	s_add_i32 s4, s21, 16
	v_mul_lo_u32 v0, s18, v18
	v_ashrrev_i32_e32 v1, 31, v0
	v_mul_lo_u32 v23, v6, v23
	v_mov_b32_e32 v13, 0xff7fffff
	v_sub_u32_e32 v36, 0, v30
	v_lshlrev_b64 v[32:33], 2, v[0:1]
	s_waitcnt vmcnt(1)
	v_xor_b32_e32 v4, v4, v5
	s_waitcnt vmcnt(0)
	v_mul_lo_u32 v5, v17, v10
	v_sub_u32_e32 v3, v3, v5
	v_add_u32_e32 v5, 1, v17
	v_cmp_ge_u32_e32 vcc, v3, v10
	v_sub_u32_e32 v7, v3, v10
	v_cndmask_b32_e32 v5, v17, v5, vcc
	v_cndmask_b32_e32 v3, v3, v7, vcc
	v_add_u32_e32 v7, 1, v5
	v_cmp_ge_u32_e32 vcc, v3, v10
	v_cndmask_b32_e32 v3, v5, v7, vcc
	v_xor_b32_e32 v3, v3, v4
	v_sub_u32_e32 v3, v3, v4
	buffer_load_dword v4, off, s[0:3], s32 offset:196 ; 4-byte Folded Reload
	v_sub_u32_e32 v3, v3, v29
	v_ashrrev_i32_e32 v29, 31, v23
	buffer_store_dword v3, off, s[0:3], s32 offset:224 ; 4-byte Folded Spill
	s_waitcnt vmcnt(1)
	v_add_u32_e32 v4, 31, v4
	v_ashrrev_i32_e32 v5, 31, v4
	v_lshrrev_b32_e32 v5, 27, v5
	v_add_u32_e32 v4, v4, v5
	v_ashrrev_i32_e32 v35, 5, v4
	buffer_load_dword v4, off, s[0:3], s32 offset:272 ; 4-byte Folded Reload
	v_min_i32_e32 v5, s4, v35
	buffer_store_dword v5, off, s[0:3], s32 offset:208 ; 4-byte Folded Spill
	s_waitcnt vmcnt(1)
	v_lshrrev_b32_e32 v28, 6, v4
	v_or_b32_e32 v4, s21, v28
	v_cmp_lt_i32_e64 s[4:5], v4, v5
	v_ashrrev_i32_e32 v5, 31, v4
	v_accvgpr_write_b32 a13, v5
	v_accvgpr_write_b32 a12, v4
	v_lshl_add_u32 v0, v28, 5, s15
	v_mbcnt_lo_u32_b32 v4, -1, 0
	buffer_store_dword v0, off, s[0:3], s32 offset:340 ; 4-byte Folded Spill
	s_and_saveexec_b64 s[24:25], s[4:5]
	s_cbranch_execz .LBB384_659
; %bb.10:
	buffer_store_dword v35, off, s[0:3], s32 offset:344 ; 4-byte Folded Spill
	buffer_store_dword v31, off, s[0:3], s32 offset:348 ; 4-byte Folded Spill
	;; [unrolled: 1-line block ×8, first 2 shown]
	buffer_load_dword v0, off, s[0:3], s32 offset:272 ; 4-byte Folded Reload
	s_ashr_i32 s23, s22, 31
	buffer_store_dword v23, off, s[0:3], s32 offset:352 ; 4-byte Folded Spill
	buffer_store_dword v29, off, s[0:3], s32 offset:356 ; 4-byte Folded Spill
	s_lshl_b64 s[8:9], s[22:23], 2
	s_getpc_b64 s[10:11]
	s_add_u32 s10, s10, llvm.amdgcn.dynlds.offset.table@rel32@lo+4
	s_addc_u32 s11, s11, llvm.amdgcn.dynlds.offset.table@rel32@hi+12
	s_add_u32 s26, s8, s10
	v_cmp_eq_u32_e32 vcc, 0, v2
	v_lshlrev_b32_e32 v11, 7, v2
	s_addc_u32 s27, s9, s11
	v_mov_b32_e32 v27, 0
	s_mov_b64 s[28:29], 0
	s_movk_i32 s39, 0x80
	s_movk_i32 s40, 0x7f
	s_mov_b32 s41, 0x7f800000
	s_movk_i32 s42, 0x7fff
	s_mov_b32 s43, 0xffffff
	s_waitcnt vmcnt(2)
	v_bfe_u32 v5, v0, 1, 5
	v_add_co_u32_e64 v0, s[6:7], v8, v23
	v_addc_co_u32_e64 v1, s[6:7], v9, v29, s[6:7]
	v_lshlrev_b32_e32 v3, 4, v5
	v_add_co_u32_e64 v0, s[6:7], v0, v3
	v_addc_co_u32_e64 v1, s[6:7], 0, v1, s[6:7]
	buffer_store_dword v0, off, s[0:3], s32 offset:300 ; 4-byte Folded Spill
	s_nop 0
	buffer_store_dword v1, off, s[0:3], s32 offset:304 ; 4-byte Folded Spill
	v_lshlrev_b32_e32 v0, 2, v2
	v_max_i32_e32 v3, v30, v36
	buffer_store_dword v0, off, s[0:3], s32 offset:308 ; 4-byte Folded Spill
	s_nop 0
	buffer_store_dword v1, off, s[0:3], s32 offset:312 ; 4-byte Folded Spill
	buffer_store_dword v30, off, s[0:3], s32 offset:400 ; 4-byte Folded Spill
	;; [unrolled: 1-line block ×3, first 2 shown]
	buffer_load_dword v1, off, s[0:3], s32 offset:316 ; 4-byte Folded Reload
	v_cvt_f32_u32_e32 v0, v3
	buffer_store_dword v3, off, s[0:3], s32 offset:236 ; 4-byte Folded Spill
	s_load_dword s23, s[26:27], 0x0
	v_rcp_iflag_f32_e32 v0, v0
	v_mul_f32_e32 v0, 0x4f7ffffe, v0
	v_cvt_u32_f32_e32 v0, v0
	s_waitcnt vmcnt(1)
	v_cmp_neq_f32_e64 s[6:7], 0, v1
	v_sub_u32_e32 v1, 0, v3
	v_mul_lo_u32 v1, v1, v0
	v_mul_hi_u32 v1, v0, v1
	v_add_u32_e32 v0, v0, v1
	v_accvgpr_read_b32 v2, a12
	buffer_store_dword v0, off, s[0:3], s32 offset:240 ; 4-byte Folded Spill
	s_nop 0
	buffer_store_dword v1, off, s[0:3], s32 offset:244 ; 4-byte Folded Spill
	v_accvgpr_read_b32 v3, a13
	v_lshlrev_b64 v[0:1], 2, v[2:3]
	v_add_co_u32_e64 v0, s[8:9], v32, v0
	buffer_store_dword v32, off, s[0:3], s32 offset:364 ; 4-byte Folded Spill
	s_nop 0
	buffer_store_dword v33, off, s[0:3], s32 offset:368 ; 4-byte Folded Spill
	buffer_store_dword v14, off, s[0:3], s32 offset:404 ; 4-byte Folded Spill
	;; [unrolled: 1-line block ×5, first 2 shown]
	v_addc_co_u32_e64 v1, s[8:9], v33, v1, s[8:9]
	v_add_co_u32_e64 v32, s[8:9], v14, v0
	v_lshlrev_b32_e32 v0, 2, v5
	v_lshl_or_b32 v0, v28, 7, v0
	v_accvgpr_write_b32 a45, v0
	buffer_load_dword v0, off, s[0:3], s32 offset:196 ; 4-byte Folded Reload
	v_addc_co_u32_e64 v33, s[8:9], v15, v1, s[8:9]
	v_lshl_add_u32 v1, v28, 5, s15
	s_waitcnt vmcnt(0)
	v_sub_u32_e32 v0, v5, v0
	v_add_u32_e32 v0, 1, v0
	buffer_store_dword v0, off, s[0:3], s32 offset:328 ; 4-byte Folded Spill
	v_mbcnt_hi_u32_b32 v0, -1, v4
	buffer_store_dword v0, off, s[0:3], s32 offset:296 ; 4-byte Folded Spill
	v_mov_b32_e32 v0, 0xff7fffff
	buffer_store_dword v0, off, s[0:3], s32 offset:292 ; 4-byte Folded Spill
	s_branch .LBB384_13
.LBB384_11:                             ;   in Loop: Header=BB384_13 Depth=1
	s_or_b64 exec, exec, s[30:31]
.LBB384_12:                             ;   in Loop: Header=BB384_13 Depth=1
	s_or_b64 exec, exec, s[10:11]
	buffer_load_dword v0, off, s[0:3], s32 offset:208 ; 4-byte Folded Reload
	v_accvgpr_read_b32 v2, a48
	v_add_co_u32_e64 v32, s[8:9], 8, v32
	v_add_u32_e32 v2, 2, v2
	v_addc_co_u32_e64 v33, s[8:9], 0, v33, s[8:9]
	s_waitcnt lgkmcnt(0)
	v_accvgpr_read_b32 v1, a43
	v_add_u32_e32 v1, 64, v1
	s_waitcnt vmcnt(0)
	v_cmp_ge_i32_e64 s[8:9], v2, v0
	v_accvgpr_read_b32 v0, a45
	v_add_u32_e32 v0, 0x100, v0
	s_or_b64 s[28:29], s[8:9], s[28:29]
	v_accvgpr_write_b32 a45, v0
	s_andn2_b64 exec, exec, s[28:29]
	s_cbranch_execz .LBB384_658
.LBB384_13:                             ; =>This Inner Loop Header: Depth=1
	v_accvgpr_write_b32 a48, v2
	v_ashrrev_i32_e32 v0, 31, v1
	v_mov_b32_e32 v2, v1
	buffer_load_dword v1, off, s[0:3], s32 offset:204 ; 4-byte Folded Reload
	v_accvgpr_write_b32 a43, v2
	s_waitcnt vmcnt(0)
	v_xor_b32_e32 v0, v0, v1
	v_sub_u32_e32 v1, 0, v2
	v_max_i32_e32 v1, v2, v1
	buffer_load_dword v2, off, s[0:3], s32 offset:220 ; 4-byte Folded Reload
	s_waitcnt vmcnt(0)
	v_mul_hi_u32 v3, v1, v2
	buffer_load_dword v2, off, s[0:3], s32 offset:200 ; 4-byte Folded Reload
	s_waitcnt vmcnt(0)
	v_mul_lo_u32 v4, v3, v2
	v_sub_u32_e32 v1, v1, v4
	v_add_u32_e32 v4, 1, v3
	v_cmp_ge_u32_e64 s[8:9], v1, v2
	v_cndmask_b32_e64 v3, v3, v4, s[8:9]
	v_sub_u32_e32 v4, v1, v2
	v_cndmask_b32_e64 v1, v1, v4, s[8:9]
	v_add_u32_e32 v4, 1, v3
	v_cmp_ge_u32_e64 s[8:9], v1, v2
	v_cndmask_b32_e64 v1, v3, v4, s[8:9]
	buffer_load_dword v2, off, s[0:3], s32 offset:212 ; 4-byte Folded Reload
	buffer_load_dword v3, off, s[0:3], s32 offset:216 ; 4-byte Folded Reload
	v_xor_b32_e32 v1, v1, v0
	v_sub_u32_e32 v0, v1, v0
	s_waitcnt vmcnt(1)
	v_add_u32_e32 v1, v0, v2
	v_sub_u32_e32 v4, 0, v1
	s_waitcnt vmcnt(0)
	v_ashrrev_i32_e32 v3, 31, v1
	v_max_i32_e32 v1, v1, v4
	buffer_load_dword v4, off, s[0:3], s32 offset:240 ; 4-byte Folded Reload
	buffer_load_dword v5, off, s[0:3], s32 offset:244 ; 4-byte Folded Reload
	;; [unrolled: 1-line block ×3, first 2 shown]
	s_waitcnt vmcnt(2)
	v_mul_hi_u32 v4, v1, v4
	s_waitcnt vmcnt(0)
	v_mul_lo_u32 v4, v4, v2
	v_sub_u32_e32 v1, v1, v4
	v_sub_u32_e32 v4, v1, v2
	v_cmp_ge_u32_e64 s[8:9], v1, v2
	v_cndmask_b32_e64 v1, v1, v4, s[8:9]
	v_sub_u32_e32 v4, v1, v2
	v_cmp_ge_u32_e64 s[8:9], v1, v2
	v_cndmask_b32_e64 v1, v1, v4, s[8:9]
	v_xor_b32_e32 v1, v1, v3
	v_sub_u32_e32 v1, v1, v3
	v_cmp_ne_u32_e64 s[8:9], 0, v1
	buffer_load_dword v1, off, s[0:3], s32 offset:224 ; 4-byte Folded Reload
	s_waitcnt vmcnt(0)
	v_cmp_le_i32_e64 s[10:11], v0, v1
	s_and_b64 s[8:9], s[8:9], s[10:11]
	s_and_b64 s[30:31], vcc, s[8:9]
	s_and_saveexec_b64 s[10:11], s[30:31]
	s_cbranch_execz .LBB384_15
; %bb.14:                               ;   in Loop: Header=BB384_13 Depth=1
	v_accvgpr_read_b32 v0, a45
	s_waitcnt lgkmcnt(0)
	v_add_u32_e32 v0, s23, v0
	v_mov_b32_e32 v1, 0xff7fffff
	ds_write_b32 v0, v1
.LBB384_15:                             ;   in Loop: Header=BB384_13 Depth=1
	s_or_b64 exec, exec, s[10:11]
	s_xor_b64 s[8:9], s[8:9], -1
	s_and_saveexec_b64 s[10:11], s[8:9]
	s_cbranch_execz .LBB384_12
; %bb.16:                               ;   in Loop: Header=BB384_13 Depth=1
	flat_load_dword v0, v[32:33]
	buffer_load_dword v2, off, s[0:3], s32 offset:228 ; 4-byte Folded Reload
	buffer_load_dword v3, off, s[0:3], s32 offset:232 ; 4-byte Folded Reload
	;; [unrolled: 1-line block ×4, first 2 shown]
	s_waitcnt vmcnt(0) lgkmcnt(0)
	v_mad_i64_i32 v[0:1], s[8:9], v0, v2, v[4:5]
	buffer_load_dword v2, off, s[0:3], s32 offset:308 ; 4-byte Folded Reload
	buffer_load_dword v3, off, s[0:3], s32 offset:312 ; 4-byte Folded Reload
	s_waitcnt vmcnt(1)
	v_add_co_u32_e64 v56, s[8:9], v0, v2
	v_addc_co_u32_e64 v57, s[8:9], 0, v1, s[8:9]
	flat_load_dword v58, v[56:57]
	buffer_load_dword v0, off, s[0:3], s32 offset:284 ; 4-byte Folded Reload
	buffer_load_dword v1, off, s[0:3], s32 offset:288 ; 4-byte Folded Reload
	s_waitcnt vmcnt(0) lgkmcnt(0)
	v_cmp_ne_u16_sdwa s[8:9], v58, v27 src0_sel:BYTE_0 src1_sel:DWORD
	flat_load_dword v14, v[0:1]
	ds_read_b128 v[52:55], v11
	ds_read_b128 v[48:51], v11 offset:16
	ds_read_b128 v[36:39], v11 offset:32
	;; [unrolled: 1-line block ×5, first 2 shown]
	s_waitcnt lgkmcnt(0)
	buffer_store_dword v0, off, s[0:3], s32 offset:256 ; 4-byte Folded Spill
	s_nop 0
	buffer_store_dword v1, off, s[0:3], s32 offset:260 ; 4-byte Folded Spill
	buffer_store_dword v2, off, s[0:3], s32 offset:264 ; 4-byte Folded Spill
	;; [unrolled: 1-line block ×3, first 2 shown]
	ds_read_b32 v0, v11 offset:96
	s_waitcnt lgkmcnt(0)
	buffer_store_dword v0, off, s[0:3], s32 offset:248 ; 4-byte Folded Spill
	ds_read_u16 v0, v11 offset:100
	s_waitcnt lgkmcnt(0)
	buffer_store_dword v0, off, s[0:3], s32 offset:252 ; 4-byte Folded Spill
	v_mov_b32_e32 v0, 0
	s_and_saveexec_b64 s[30:31], s[8:9]
	s_cbranch_execz .LBB384_22
; %bb.17:                               ;   in Loop: Header=BB384_13 Depth=1
	v_cmp_ne_u16_sdwa s[8:9], v58, s39 src0_sel:BYTE_0 src1_sel:DWORD
	v_bfrev_b32_e32 v0, 1
	s_and_saveexec_b64 s[34:35], s[8:9]
	s_cbranch_execz .LBB384_21
; %bb.18:                               ;   in Loop: Header=BB384_13 Depth=1
	v_and_b32_e32 v1, 0x7f, v58
	v_cmp_ne_u32_e64 s[8:9], s40, v1
	v_mov_b32_e32 v0, 0x7f800001
	s_and_saveexec_b64 s[36:37], s[8:9]
	s_cbranch_execz .LBB384_20
; %bb.19:                               ;   in Loop: Header=BB384_13 Depth=1
	v_and_b32_e32 v0, 7, v58
	v_ffbh_u32_e32 v4, v0
	v_min_u32_e32 v10, 32, v4
	v_subrev_u32_e32 v4, 28, v10
	v_lshlrev_b64 v[4:5], v4, v[58:59]
	v_lshrrev_b32_e32 v3, 3, v1
	v_sub_u32_e32 v5, 29, v10
	v_and_b32_e32 v4, 7, v4
	v_cmp_gt_u32_e64 s[8:9], 8, v1
	v_cndmask_b32_e64 v1, v3, v5, s[8:9]
	v_cndmask_b32_e64 v0, v0, v4, s[8:9]
	v_lshlrev_b32_e32 v3, 24, v58
	v_bfrev_b32_e32 v2, 60
	v_lshlrev_b32_e32 v0, 20, v0
	v_and_b32_e32 v3, 0x80000000, v3
	v_lshl_add_u32 v1, v1, 23, v2
	v_or3_b32 v0, v3, v1, v0
.LBB384_20:                             ;   in Loop: Header=BB384_13 Depth=1
	s_or_b64 exec, exec, s[36:37]
.LBB384_21:                             ;   in Loop: Header=BB384_13 Depth=1
	s_or_b64 exec, exec, s[34:35]
.LBB384_22:                             ;   in Loop: Header=BB384_13 Depth=1
	s_or_b64 exec, exec, s[30:31]
	s_waitcnt vmcnt(0)
	v_mul_f32_e32 v0, v14, v0
	v_and_b32_e32 v1, 0x7f800000, v0
	v_cmp_ne_u32_e64 s[8:9], s41, v1
                                        ; implicit-def: $agpr52
	s_and_saveexec_b64 s[30:31], s[8:9]
	s_xor_b64 s[8:9], exec, s[30:31]
; %bb.23:                               ;   in Loop: Header=BB384_13 Depth=1
	v_bfe_u32 v1, v0, 16, 1
	v_add3_u32 v0, v0, v1, s42
	v_accvgpr_write_b32 a52, v0
                                        ; implicit-def: $vgpr0
; %bb.24:                               ;   in Loop: Header=BB384_13 Depth=1
	s_andn2_saveexec_b64 s[30:31], s[8:9]
; %bb.25:                               ;   in Loop: Header=BB384_13 Depth=1
	v_or_b32_e32 v1, 0x10000, v0
	v_cmp_eq_u32_sdwa s[8:9], v0, v27 src0_sel:WORD_0 src1_sel:DWORD
	v_cndmask_b32_e64 v0, v1, v0, s[8:9]
	v_accvgpr_write_b32 a52, v0
; %bb.26:                               ;   in Loop: Header=BB384_13 Depth=1
	s_or_b64 exec, exec, s[30:31]
	v_lshrrev_b16_e32 v60, 8, v58
	v_cmp_ne_u16_e64 s[8:9], 0, v60
	v_mov_b32_e32 v0, 0
	s_and_saveexec_b64 s[30:31], s[8:9]
	s_cbranch_execz .LBB384_32
; %bb.27:                               ;   in Loop: Header=BB384_13 Depth=1
	v_cmp_ne_u16_e64 s[8:9], s39, v60
	v_bfrev_b32_e32 v0, 1
	s_and_saveexec_b64 s[34:35], s[8:9]
	s_cbranch_execz .LBB384_31
; %bb.28:                               ;   in Loop: Header=BB384_13 Depth=1
	v_and_b32_e32 v1, 0x7f, v60
	v_cmp_ne_u32_e64 s[8:9], s40, v1
	v_mov_b32_e32 v0, 0x7f800001
	s_and_saveexec_b64 s[36:37], s[8:9]
	s_cbranch_execz .LBB384_30
; %bb.29:                               ;   in Loop: Header=BB384_13 Depth=1
	v_and_b32_e32 v0, 7, v60
	v_ffbh_u32_e32 v4, v0
	v_min_u32_e32 v10, 32, v4
	v_subrev_u32_e32 v4, 28, v10
	v_lshlrev_b64 v[4:5], v4, v[60:61]
	v_lshrrev_b32_e32 v3, 3, v1
	v_sub_u32_e32 v5, 29, v10
	v_and_b32_e32 v4, 7, v4
	v_cmp_gt_u32_e64 s[8:9], 8, v1
	v_cndmask_b32_e64 v1, v3, v5, s[8:9]
	v_cndmask_b32_e64 v0, v0, v4, s[8:9]
	v_lshlrev_b32_e32 v3, 16, v58
	v_bfrev_b32_e32 v2, 60
	v_lshlrev_b32_e32 v0, 20, v0
	v_and_b32_e32 v3, 0x80000000, v3
	v_lshl_add_u32 v1, v1, 23, v2
	v_or3_b32 v0, v3, v1, v0
.LBB384_30:                             ;   in Loop: Header=BB384_13 Depth=1
	s_or_b64 exec, exec, s[36:37]
.LBB384_31:                             ;   in Loop: Header=BB384_13 Depth=1
	s_or_b64 exec, exec, s[34:35]
.LBB384_32:                             ;   in Loop: Header=BB384_13 Depth=1
	s_or_b64 exec, exec, s[30:31]
	v_mul_f32_e32 v0, v14, v0
	v_and_b32_e32 v1, 0x7f800000, v0
	v_cmp_ne_u32_e64 s[8:9], s41, v1
                                        ; implicit-def: $agpr51
	s_and_saveexec_b64 s[30:31], s[8:9]
	s_xor_b64 s[8:9], exec, s[30:31]
; %bb.33:                               ;   in Loop: Header=BB384_13 Depth=1
	v_bfe_u32 v1, v0, 16, 1
	v_add3_u32 v0, v0, v1, s42
	v_accvgpr_write_b32 a51, v0
                                        ; implicit-def: $vgpr0
; %bb.34:                               ;   in Loop: Header=BB384_13 Depth=1
	s_andn2_saveexec_b64 s[30:31], s[8:9]
; %bb.35:                               ;   in Loop: Header=BB384_13 Depth=1
	v_or_b32_e32 v1, 0x10000, v0
	v_cmp_eq_u32_sdwa s[8:9], v0, v27 src0_sel:WORD_0 src1_sel:DWORD
	v_cndmask_b32_e64 v0, v1, v0, s[8:9]
	v_accvgpr_write_b32 a51, v0
; %bb.36:                               ;   in Loop: Header=BB384_13 Depth=1
	s_or_b64 exec, exec, s[30:31]
	v_lshrrev_b32_e32 v60, 16, v58
	v_cmp_ne_u16_sdwa s[8:9], v60, v27 src0_sel:BYTE_0 src1_sel:DWORD
	v_mov_b32_e32 v0, 0
	s_and_saveexec_b64 s[30:31], s[8:9]
	s_cbranch_execz .LBB384_42
; %bb.37:                               ;   in Loop: Header=BB384_13 Depth=1
	v_cmp_ne_u16_sdwa s[8:9], v60, s39 src0_sel:BYTE_0 src1_sel:DWORD
	v_bfrev_b32_e32 v0, 1
	s_and_saveexec_b64 s[34:35], s[8:9]
	s_cbranch_execz .LBB384_41
; %bb.38:                               ;   in Loop: Header=BB384_13 Depth=1
	v_bfe_u32 v1, v58, 16, 7
	v_cmp_ne_u32_e64 s[8:9], s40, v1
	v_mov_b32_e32 v0, 0x7f800001
	s_and_saveexec_b64 s[36:37], s[8:9]
	s_cbranch_execz .LBB384_40
; %bb.39:                               ;   in Loop: Header=BB384_13 Depth=1
	v_and_b32_e32 v0, 7, v60
	v_ffbh_u32_e32 v4, v0
	v_min_u32_e32 v10, 32, v4
	v_subrev_u32_e32 v4, 28, v10
	v_lshlrev_b64 v[4:5], v4, v[60:61]
	v_lshrrev_b32_e32 v3, 3, v1
	v_sub_u32_e32 v5, 29, v10
	v_and_b32_e32 v4, 7, v4
	v_cmp_gt_u32_e64 s[8:9], 8, v1
	v_cndmask_b32_e64 v1, v3, v5, s[8:9]
	v_cndmask_b32_e64 v0, v0, v4, s[8:9]
	v_lshlrev_b32_e32 v3, 24, v60
	v_bfrev_b32_e32 v2, 60
	v_lshlrev_b32_e32 v0, 20, v0
	v_and_b32_e32 v3, 0x80000000, v3
	v_lshl_add_u32 v1, v1, 23, v2
	v_or3_b32 v0, v3, v1, v0
.LBB384_40:                             ;   in Loop: Header=BB384_13 Depth=1
	s_or_b64 exec, exec, s[36:37]
.LBB384_41:                             ;   in Loop: Header=BB384_13 Depth=1
	s_or_b64 exec, exec, s[34:35]
.LBB384_42:                             ;   in Loop: Header=BB384_13 Depth=1
	s_or_b64 exec, exec, s[30:31]
	v_mul_f32_e32 v0, v14, v0
	v_and_b32_e32 v1, 0x7f800000, v0
	v_cmp_ne_u32_e64 s[8:9], s41, v1
                                        ; implicit-def: $agpr56
	s_and_saveexec_b64 s[30:31], s[8:9]
	s_xor_b64 s[8:9], exec, s[30:31]
; %bb.43:                               ;   in Loop: Header=BB384_13 Depth=1
	v_bfe_u32 v1, v0, 16, 1
	v_add3_u32 v0, v0, v1, s42
	v_accvgpr_write_b32 a56, v0
                                        ; implicit-def: $vgpr0
; %bb.44:                               ;   in Loop: Header=BB384_13 Depth=1
	s_andn2_saveexec_b64 s[30:31], s[8:9]
; %bb.45:                               ;   in Loop: Header=BB384_13 Depth=1
	v_or_b32_e32 v1, 0x10000, v0
	v_cmp_eq_u32_sdwa s[8:9], v0, v27 src0_sel:WORD_0 src1_sel:DWORD
	v_cndmask_b32_e64 v0, v1, v0, s[8:9]
	v_accvgpr_write_b32 a56, v0
; %bb.46:                               ;   in Loop: Header=BB384_13 Depth=1
	s_or_b64 exec, exec, s[30:31]
	v_cmp_lt_u32_e64 s[8:9], s43, v58
	v_mov_b32_e32 v0, 0
	s_and_saveexec_b64 s[30:31], s[8:9]
	s_cbranch_execz .LBB384_52
; %bb.47:                               ;   in Loop: Header=BB384_13 Depth=1
	v_lshrrev_b32_e32 v60, 24, v58
	v_cmp_ne_u32_e64 s[8:9], s39, v60
	v_bfrev_b32_e32 v0, 1
	s_and_saveexec_b64 s[34:35], s[8:9]
	s_cbranch_execz .LBB384_51
; %bb.48:                               ;   in Loop: Header=BB384_13 Depth=1
	v_bfe_u32 v1, v58, 24, 7
	v_cmp_ne_u32_e64 s[8:9], s40, v1
	v_mov_b32_e32 v0, 0x7f800001
	s_and_saveexec_b64 s[36:37], s[8:9]
	s_cbranch_execz .LBB384_50
; %bb.49:                               ;   in Loop: Header=BB384_13 Depth=1
	v_and_b32_e32 v0, 7, v60
	v_ffbh_u32_e32 v4, v0
	v_min_u32_e32 v10, 32, v4
	v_subrev_u32_e32 v4, 28, v10
	v_lshlrev_b64 v[4:5], v4, v[60:61]
	v_lshrrev_b32_e32 v3, 3, v1
	v_sub_u32_e32 v5, 29, v10
	v_and_b32_e32 v4, 7, v4
	v_cmp_gt_u32_e64 s[8:9], 8, v1
	v_cndmask_b32_e64 v1, v3, v5, s[8:9]
	v_cndmask_b32_e64 v0, v0, v4, s[8:9]
	v_lshlrev_b32_e32 v3, 24, v60
	v_bfrev_b32_e32 v2, 60
	v_lshlrev_b32_e32 v0, 20, v0
	v_and_b32_e32 v3, 0x80000000, v3
	v_lshl_add_u32 v1, v1, 23, v2
	v_or3_b32 v0, v3, v1, v0
.LBB384_50:                             ;   in Loop: Header=BB384_13 Depth=1
	s_or_b64 exec, exec, s[36:37]
.LBB384_51:                             ;   in Loop: Header=BB384_13 Depth=1
	s_or_b64 exec, exec, s[34:35]
.LBB384_52:                             ;   in Loop: Header=BB384_13 Depth=1
	s_or_b64 exec, exec, s[30:31]
	v_mul_f32_e32 v0, v14, v0
	v_and_b32_e32 v1, 0x7f800000, v0
	v_cmp_ne_u32_e64 s[8:9], s41, v1
                                        ; implicit-def: $agpr57
	s_and_saveexec_b64 s[30:31], s[8:9]
	s_xor_b64 s[8:9], exec, s[30:31]
; %bb.53:                               ;   in Loop: Header=BB384_13 Depth=1
	v_bfe_u32 v1, v0, 16, 1
	v_add3_u32 v0, v0, v1, s42
	v_accvgpr_write_b32 a57, v0
                                        ; implicit-def: $vgpr0
; %bb.54:                               ;   in Loop: Header=BB384_13 Depth=1
	s_andn2_saveexec_b64 s[30:31], s[8:9]
; %bb.55:                               ;   in Loop: Header=BB384_13 Depth=1
	v_or_b32_e32 v1, 0x10000, v0
	v_cmp_eq_u32_sdwa s[8:9], v0, v27 src0_sel:WORD_0 src1_sel:DWORD
	v_cndmask_b32_e64 v0, v1, v0, s[8:9]
	v_accvgpr_write_b32 a57, v0
; %bb.56:                               ;   in Loop: Header=BB384_13 Depth=1
	s_or_b64 exec, exec, s[30:31]
	flat_load_dword v58, v[56:57] offset:8
	v_mov_b32_e32 v0, 0
	s_waitcnt vmcnt(0) lgkmcnt(0)
	v_cmp_ne_u16_sdwa s[8:9], v58, v27 src0_sel:BYTE_0 src1_sel:DWORD
	s_and_saveexec_b64 s[30:31], s[8:9]
	s_cbranch_execz .LBB384_62
; %bb.57:                               ;   in Loop: Header=BB384_13 Depth=1
	v_cmp_ne_u16_sdwa s[8:9], v58, s39 src0_sel:BYTE_0 src1_sel:DWORD
	v_bfrev_b32_e32 v0, 1
	s_and_saveexec_b64 s[34:35], s[8:9]
	s_cbranch_execz .LBB384_61
; %bb.58:                               ;   in Loop: Header=BB384_13 Depth=1
	v_and_b32_e32 v1, 0x7f, v58
	v_cmp_ne_u32_e64 s[8:9], s40, v1
	v_mov_b32_e32 v0, 0x7f800001
	s_and_saveexec_b64 s[36:37], s[8:9]
	s_cbranch_execz .LBB384_60
; %bb.59:                               ;   in Loop: Header=BB384_13 Depth=1
	v_and_b32_e32 v3, 7, v58
	v_ffbh_u32_e32 v0, v3
	v_min_u32_e32 v5, 32, v0
	v_subrev_u32_e32 v0, 28, v5
	v_lshrrev_b32_e32 v4, 3, v1
	v_cmp_gt_u32_e64 s[8:9], 8, v1
	v_lshlrev_b64 v[0:1], v0, v[58:59]
	v_sub_u32_e32 v1, 29, v5
	v_and_b32_e32 v0, 7, v0
	v_cndmask_b32_e64 v1, v4, v1, s[8:9]
	v_cndmask_b32_e64 v0, v3, v0, s[8:9]
	v_lshlrev_b32_e32 v3, 24, v58
	v_bfrev_b32_e32 v2, 60
	v_lshlrev_b32_e32 v0, 20, v0
	v_and_b32_e32 v3, 0x80000000, v3
	v_lshl_add_u32 v1, v1, 23, v2
	v_or3_b32 v0, v3, v1, v0
.LBB384_60:                             ;   in Loop: Header=BB384_13 Depth=1
	s_or_b64 exec, exec, s[36:37]
.LBB384_61:                             ;   in Loop: Header=BB384_13 Depth=1
	s_or_b64 exec, exec, s[34:35]
.LBB384_62:                             ;   in Loop: Header=BB384_13 Depth=1
	s_or_b64 exec, exec, s[30:31]
	v_mul_f32_e32 v0, v14, v0
	v_and_b32_e32 v1, 0x7f800000, v0
	v_cmp_ne_u32_e64 s[8:9], s41, v1
                                        ; implicit-def: $agpr58
	s_and_saveexec_b64 s[30:31], s[8:9]
	s_xor_b64 s[8:9], exec, s[30:31]
; %bb.63:                               ;   in Loop: Header=BB384_13 Depth=1
	v_bfe_u32 v1, v0, 16, 1
	v_add3_u32 v0, v0, v1, s42
	v_accvgpr_write_b32 a58, v0
                                        ; implicit-def: $vgpr0
; %bb.64:                               ;   in Loop: Header=BB384_13 Depth=1
	s_andn2_saveexec_b64 s[30:31], s[8:9]
; %bb.65:                               ;   in Loop: Header=BB384_13 Depth=1
	v_or_b32_e32 v1, 0x10000, v0
	v_cmp_eq_u32_sdwa s[8:9], v0, v27 src0_sel:WORD_0 src1_sel:DWORD
	v_cndmask_b32_e64 v0, v1, v0, s[8:9]
	v_accvgpr_write_b32 a58, v0
; %bb.66:                               ;   in Loop: Header=BB384_13 Depth=1
	s_or_b64 exec, exec, s[30:31]
	v_lshrrev_b16_e32 v60, 8, v58
	v_cmp_ne_u16_e64 s[8:9], 0, v60
	v_mov_b32_e32 v0, 0
	s_and_saveexec_b64 s[30:31], s[8:9]
	s_cbranch_execz .LBB384_72
; %bb.67:                               ;   in Loop: Header=BB384_13 Depth=1
	v_cmp_ne_u16_e64 s[8:9], s39, v60
	v_bfrev_b32_e32 v0, 1
	s_and_saveexec_b64 s[34:35], s[8:9]
	s_cbranch_execz .LBB384_71
; %bb.68:                               ;   in Loop: Header=BB384_13 Depth=1
	v_and_b32_e32 v1, 0x7f, v60
	v_cmp_ne_u32_e64 s[8:9], s40, v1
	v_mov_b32_e32 v0, 0x7f800001
	s_and_saveexec_b64 s[36:37], s[8:9]
	s_cbranch_execz .LBB384_70
; %bb.69:                               ;   in Loop: Header=BB384_13 Depth=1
	v_and_b32_e32 v0, 7, v60
	v_ffbh_u32_e32 v4, v0
	v_min_u32_e32 v10, 32, v4
	v_subrev_u32_e32 v4, 28, v10
	v_lshlrev_b64 v[4:5], v4, v[60:61]
	v_lshrrev_b32_e32 v3, 3, v1
	v_sub_u32_e32 v5, 29, v10
	v_and_b32_e32 v4, 7, v4
	v_cmp_gt_u32_e64 s[8:9], 8, v1
	v_cndmask_b32_e64 v1, v3, v5, s[8:9]
	v_cndmask_b32_e64 v0, v0, v4, s[8:9]
	v_lshlrev_b32_e32 v3, 16, v58
	v_bfrev_b32_e32 v2, 60
	v_lshlrev_b32_e32 v0, 20, v0
	v_and_b32_e32 v3, 0x80000000, v3
	v_lshl_add_u32 v1, v1, 23, v2
	v_or3_b32 v0, v3, v1, v0
.LBB384_70:                             ;   in Loop: Header=BB384_13 Depth=1
	s_or_b64 exec, exec, s[36:37]
.LBB384_71:                             ;   in Loop: Header=BB384_13 Depth=1
	s_or_b64 exec, exec, s[34:35]
.LBB384_72:                             ;   in Loop: Header=BB384_13 Depth=1
	s_or_b64 exec, exec, s[30:31]
	v_mul_f32_e32 v0, v14, v0
	v_and_b32_e32 v1, 0x7f800000, v0
	v_cmp_ne_u32_e64 s[8:9], s41, v1
                                        ; implicit-def: $agpr59
	s_and_saveexec_b64 s[30:31], s[8:9]
	s_xor_b64 s[8:9], exec, s[30:31]
; %bb.73:                               ;   in Loop: Header=BB384_13 Depth=1
	v_bfe_u32 v1, v0, 16, 1
	v_add3_u32 v0, v0, v1, s42
	v_accvgpr_write_b32 a59, v0
                                        ; implicit-def: $vgpr0
; %bb.74:                               ;   in Loop: Header=BB384_13 Depth=1
	s_andn2_saveexec_b64 s[30:31], s[8:9]
; %bb.75:                               ;   in Loop: Header=BB384_13 Depth=1
	v_or_b32_e32 v1, 0x10000, v0
	v_cmp_eq_u32_sdwa s[8:9], v0, v27 src0_sel:WORD_0 src1_sel:DWORD
	v_cndmask_b32_e64 v0, v1, v0, s[8:9]
	v_accvgpr_write_b32 a59, v0
; %bb.76:                               ;   in Loop: Header=BB384_13 Depth=1
	s_or_b64 exec, exec, s[30:31]
	v_lshrrev_b32_e32 v60, 16, v58
	v_cmp_ne_u16_sdwa s[8:9], v60, v27 src0_sel:BYTE_0 src1_sel:DWORD
	v_mov_b32_e32 v0, 0
	s_and_saveexec_b64 s[30:31], s[8:9]
	s_cbranch_execz .LBB384_82
; %bb.77:                               ;   in Loop: Header=BB384_13 Depth=1
	v_cmp_ne_u16_sdwa s[8:9], v60, s39 src0_sel:BYTE_0 src1_sel:DWORD
	v_bfrev_b32_e32 v0, 1
	s_and_saveexec_b64 s[34:35], s[8:9]
	s_cbranch_execz .LBB384_81
; %bb.78:                               ;   in Loop: Header=BB384_13 Depth=1
	v_bfe_u32 v1, v58, 16, 7
	v_cmp_ne_u32_e64 s[8:9], s40, v1
	v_mov_b32_e32 v0, 0x7f800001
	s_and_saveexec_b64 s[36:37], s[8:9]
	s_cbranch_execz .LBB384_80
; %bb.79:                               ;   in Loop: Header=BB384_13 Depth=1
	v_and_b32_e32 v0, 7, v60
	v_ffbh_u32_e32 v4, v0
	v_min_u32_e32 v10, 32, v4
	v_subrev_u32_e32 v4, 28, v10
	v_lshlrev_b64 v[4:5], v4, v[60:61]
	v_lshrrev_b32_e32 v3, 3, v1
	v_sub_u32_e32 v5, 29, v10
	v_and_b32_e32 v4, 7, v4
	v_cmp_gt_u32_e64 s[8:9], 8, v1
	v_cndmask_b32_e64 v1, v3, v5, s[8:9]
	v_cndmask_b32_e64 v0, v0, v4, s[8:9]
	v_lshlrev_b32_e32 v3, 24, v60
	v_bfrev_b32_e32 v2, 60
	v_lshlrev_b32_e32 v0, 20, v0
	v_and_b32_e32 v3, 0x80000000, v3
	v_lshl_add_u32 v1, v1, 23, v2
	v_or3_b32 v0, v3, v1, v0
.LBB384_80:                             ;   in Loop: Header=BB384_13 Depth=1
	s_or_b64 exec, exec, s[36:37]
.LBB384_81:                             ;   in Loop: Header=BB384_13 Depth=1
	s_or_b64 exec, exec, s[34:35]
.LBB384_82:                             ;   in Loop: Header=BB384_13 Depth=1
	s_or_b64 exec, exec, s[30:31]
	v_mul_f32_e32 v0, v14, v0
	v_and_b32_e32 v1, 0x7f800000, v0
	v_cmp_ne_u32_e64 s[8:9], s41, v1
                                        ; implicit-def: $agpr60
	s_and_saveexec_b64 s[30:31], s[8:9]
	s_xor_b64 s[8:9], exec, s[30:31]
; %bb.83:                               ;   in Loop: Header=BB384_13 Depth=1
	v_bfe_u32 v1, v0, 16, 1
	v_add3_u32 v0, v0, v1, s42
	v_accvgpr_write_b32 a60, v0
                                        ; implicit-def: $vgpr0
; %bb.84:                               ;   in Loop: Header=BB384_13 Depth=1
	s_andn2_saveexec_b64 s[30:31], s[8:9]
; %bb.85:                               ;   in Loop: Header=BB384_13 Depth=1
	v_or_b32_e32 v1, 0x10000, v0
	v_cmp_eq_u32_sdwa s[8:9], v0, v27 src0_sel:WORD_0 src1_sel:DWORD
	v_cndmask_b32_e64 v0, v1, v0, s[8:9]
	v_accvgpr_write_b32 a60, v0
; %bb.86:                               ;   in Loop: Header=BB384_13 Depth=1
	s_or_b64 exec, exec, s[30:31]
	v_cmp_lt_u32_e64 s[8:9], s43, v58
	v_mov_b32_e32 v0, 0
	s_and_saveexec_b64 s[30:31], s[8:9]
	s_cbranch_execz .LBB384_92
; %bb.87:                               ;   in Loop: Header=BB384_13 Depth=1
	v_lshrrev_b32_e32 v60, 24, v58
	v_cmp_ne_u32_e64 s[8:9], s39, v60
	v_bfrev_b32_e32 v0, 1
	s_and_saveexec_b64 s[34:35], s[8:9]
	s_cbranch_execz .LBB384_91
; %bb.88:                               ;   in Loop: Header=BB384_13 Depth=1
	v_bfe_u32 v1, v58, 24, 7
	v_cmp_ne_u32_e64 s[8:9], s40, v1
	v_mov_b32_e32 v0, 0x7f800001
	s_and_saveexec_b64 s[36:37], s[8:9]
	s_cbranch_execz .LBB384_90
; %bb.89:                               ;   in Loop: Header=BB384_13 Depth=1
	v_and_b32_e32 v0, 7, v60
	v_ffbh_u32_e32 v4, v0
	v_min_u32_e32 v10, 32, v4
	v_subrev_u32_e32 v4, 28, v10
	v_lshlrev_b64 v[4:5], v4, v[60:61]
	v_lshrrev_b32_e32 v3, 3, v1
	v_sub_u32_e32 v5, 29, v10
	v_and_b32_e32 v4, 7, v4
	v_cmp_gt_u32_e64 s[8:9], 8, v1
	v_cndmask_b32_e64 v1, v3, v5, s[8:9]
	v_cndmask_b32_e64 v0, v0, v4, s[8:9]
	v_lshlrev_b32_e32 v3, 24, v60
	v_bfrev_b32_e32 v2, 60
	v_lshlrev_b32_e32 v0, 20, v0
	v_and_b32_e32 v3, 0x80000000, v3
	v_lshl_add_u32 v1, v1, 23, v2
	v_or3_b32 v0, v3, v1, v0
.LBB384_90:                             ;   in Loop: Header=BB384_13 Depth=1
	s_or_b64 exec, exec, s[36:37]
.LBB384_91:                             ;   in Loop: Header=BB384_13 Depth=1
	s_or_b64 exec, exec, s[34:35]
.LBB384_92:                             ;   in Loop: Header=BB384_13 Depth=1
	s_or_b64 exec, exec, s[30:31]
	v_mul_f32_e32 v0, v14, v0
	v_and_b32_e32 v1, 0x7f800000, v0
	v_cmp_ne_u32_e64 s[8:9], s41, v1
                                        ; implicit-def: $agpr61
	s_and_saveexec_b64 s[30:31], s[8:9]
	s_xor_b64 s[8:9], exec, s[30:31]
; %bb.93:                               ;   in Loop: Header=BB384_13 Depth=1
	v_bfe_u32 v1, v0, 16, 1
	v_add3_u32 v0, v0, v1, s42
	v_accvgpr_write_b32 a61, v0
                                        ; implicit-def: $vgpr0
; %bb.94:                               ;   in Loop: Header=BB384_13 Depth=1
	s_andn2_saveexec_b64 s[30:31], s[8:9]
; %bb.95:                               ;   in Loop: Header=BB384_13 Depth=1
	v_or_b32_e32 v1, 0x10000, v0
	v_cmp_eq_u32_sdwa s[8:9], v0, v27 src0_sel:WORD_0 src1_sel:DWORD
	v_cndmask_b32_e64 v0, v1, v0, s[8:9]
	v_accvgpr_write_b32 a61, v0
; %bb.96:                               ;   in Loop: Header=BB384_13 Depth=1
	s_or_b64 exec, exec, s[30:31]
	flat_load_dword v58, v[56:57] offset:512
	v_mov_b32_e32 v0, 0
	s_waitcnt vmcnt(0) lgkmcnt(0)
	v_cmp_ne_u16_sdwa s[8:9], v58, v27 src0_sel:BYTE_0 src1_sel:DWORD
	s_and_saveexec_b64 s[30:31], s[8:9]
	s_cbranch_execz .LBB384_102
; %bb.97:                               ;   in Loop: Header=BB384_13 Depth=1
	v_cmp_ne_u16_sdwa s[8:9], v58, s39 src0_sel:BYTE_0 src1_sel:DWORD
	v_bfrev_b32_e32 v0, 1
	s_and_saveexec_b64 s[34:35], s[8:9]
	s_cbranch_execz .LBB384_101
; %bb.98:                               ;   in Loop: Header=BB384_13 Depth=1
	v_and_b32_e32 v1, 0x7f, v58
	v_cmp_ne_u32_e64 s[8:9], s40, v1
	v_mov_b32_e32 v0, 0x7f800001
	s_and_saveexec_b64 s[36:37], s[8:9]
	s_cbranch_execz .LBB384_100
; %bb.99:                               ;   in Loop: Header=BB384_13 Depth=1
	v_and_b32_e32 v0, 7, v58
	v_ffbh_u32_e32 v4, v0
	v_min_u32_e32 v10, 32, v4
	v_subrev_u32_e32 v4, 28, v10
	v_lshlrev_b64 v[4:5], v4, v[58:59]
	v_lshrrev_b32_e32 v3, 3, v1
	v_sub_u32_e32 v5, 29, v10
	v_and_b32_e32 v4, 7, v4
	v_cmp_gt_u32_e64 s[8:9], 8, v1
	v_cndmask_b32_e64 v1, v3, v5, s[8:9]
	v_cndmask_b32_e64 v0, v0, v4, s[8:9]
	v_lshlrev_b32_e32 v3, 24, v58
	v_bfrev_b32_e32 v2, 60
	v_lshlrev_b32_e32 v0, 20, v0
	v_and_b32_e32 v3, 0x80000000, v3
	v_lshl_add_u32 v1, v1, 23, v2
	v_or3_b32 v0, v3, v1, v0
.LBB384_100:                            ;   in Loop: Header=BB384_13 Depth=1
	s_or_b64 exec, exec, s[36:37]
.LBB384_101:                            ;   in Loop: Header=BB384_13 Depth=1
	s_or_b64 exec, exec, s[34:35]
.LBB384_102:                            ;   in Loop: Header=BB384_13 Depth=1
	s_or_b64 exec, exec, s[30:31]
	v_mul_f32_e32 v0, v14, v0
	v_and_b32_e32 v1, 0x7f800000, v0
	v_cmp_ne_u32_e64 s[8:9], s41, v1
                                        ; implicit-def: $agpr62
	s_and_saveexec_b64 s[30:31], s[8:9]
	s_xor_b64 s[8:9], exec, s[30:31]
; %bb.103:                              ;   in Loop: Header=BB384_13 Depth=1
	v_bfe_u32 v1, v0, 16, 1
	v_add3_u32 v0, v0, v1, s42
	v_accvgpr_write_b32 a62, v0
                                        ; implicit-def: $vgpr0
; %bb.104:                              ;   in Loop: Header=BB384_13 Depth=1
	s_andn2_saveexec_b64 s[30:31], s[8:9]
; %bb.105:                              ;   in Loop: Header=BB384_13 Depth=1
	v_or_b32_e32 v1, 0x10000, v0
	v_cmp_eq_u32_sdwa s[8:9], v0, v27 src0_sel:WORD_0 src1_sel:DWORD
	v_cndmask_b32_e64 v0, v1, v0, s[8:9]
	v_accvgpr_write_b32 a62, v0
; %bb.106:                              ;   in Loop: Header=BB384_13 Depth=1
	s_or_b64 exec, exec, s[30:31]
	v_lshrrev_b16_e32 v60, 8, v58
	v_cmp_ne_u16_e64 s[8:9], 0, v60
	v_mov_b32_e32 v0, 0
	s_and_saveexec_b64 s[30:31], s[8:9]
	s_cbranch_execz .LBB384_112
; %bb.107:                              ;   in Loop: Header=BB384_13 Depth=1
	v_cmp_ne_u16_e64 s[8:9], s39, v60
	v_bfrev_b32_e32 v0, 1
	s_and_saveexec_b64 s[34:35], s[8:9]
	s_cbranch_execz .LBB384_111
; %bb.108:                              ;   in Loop: Header=BB384_13 Depth=1
	v_and_b32_e32 v1, 0x7f, v60
	v_cmp_ne_u32_e64 s[8:9], s40, v1
	v_mov_b32_e32 v0, 0x7f800001
	s_and_saveexec_b64 s[36:37], s[8:9]
	s_cbranch_execz .LBB384_110
; %bb.109:                              ;   in Loop: Header=BB384_13 Depth=1
	v_and_b32_e32 v0, 7, v60
	v_ffbh_u32_e32 v4, v0
	v_min_u32_e32 v10, 32, v4
	v_subrev_u32_e32 v4, 28, v10
	v_lshlrev_b64 v[4:5], v4, v[60:61]
	v_lshrrev_b32_e32 v3, 3, v1
	v_sub_u32_e32 v5, 29, v10
	v_and_b32_e32 v4, 7, v4
	v_cmp_gt_u32_e64 s[8:9], 8, v1
	v_cndmask_b32_e64 v1, v3, v5, s[8:9]
	v_cndmask_b32_e64 v0, v0, v4, s[8:9]
	v_lshlrev_b32_e32 v3, 16, v58
	v_bfrev_b32_e32 v2, 60
	v_lshlrev_b32_e32 v0, 20, v0
	v_and_b32_e32 v3, 0x80000000, v3
	v_lshl_add_u32 v1, v1, 23, v2
	v_or3_b32 v0, v3, v1, v0
.LBB384_110:                            ;   in Loop: Header=BB384_13 Depth=1
	s_or_b64 exec, exec, s[36:37]
.LBB384_111:                            ;   in Loop: Header=BB384_13 Depth=1
	s_or_b64 exec, exec, s[34:35]
.LBB384_112:                            ;   in Loop: Header=BB384_13 Depth=1
	s_or_b64 exec, exec, s[30:31]
	v_mul_f32_e32 v0, v14, v0
	v_and_b32_e32 v1, 0x7f800000, v0
	v_cmp_ne_u32_e64 s[8:9], s41, v1
                                        ; implicit-def: $agpr63
	s_and_saveexec_b64 s[30:31], s[8:9]
	s_xor_b64 s[8:9], exec, s[30:31]
; %bb.113:                              ;   in Loop: Header=BB384_13 Depth=1
	v_bfe_u32 v1, v0, 16, 1
	v_add3_u32 v0, v0, v1, s42
	v_accvgpr_write_b32 a63, v0
                                        ; implicit-def: $vgpr0
; %bb.114:                              ;   in Loop: Header=BB384_13 Depth=1
	s_andn2_saveexec_b64 s[30:31], s[8:9]
; %bb.115:                              ;   in Loop: Header=BB384_13 Depth=1
	v_or_b32_e32 v1, 0x10000, v0
	v_cmp_eq_u32_sdwa s[8:9], v0, v27 src0_sel:WORD_0 src1_sel:DWORD
	v_cndmask_b32_e64 v0, v1, v0, s[8:9]
	v_accvgpr_write_b32 a63, v0
; %bb.116:                              ;   in Loop: Header=BB384_13 Depth=1
	s_or_b64 exec, exec, s[30:31]
	v_lshrrev_b32_e32 v60, 16, v58
	v_cmp_ne_u16_sdwa s[8:9], v60, v27 src0_sel:BYTE_0 src1_sel:DWORD
	v_mov_b32_e32 v0, 0
	s_and_saveexec_b64 s[30:31], s[8:9]
	s_cbranch_execz .LBB384_122
; %bb.117:                              ;   in Loop: Header=BB384_13 Depth=1
	v_cmp_ne_u16_sdwa s[8:9], v60, s39 src0_sel:BYTE_0 src1_sel:DWORD
	v_bfrev_b32_e32 v0, 1
	s_and_saveexec_b64 s[34:35], s[8:9]
	s_cbranch_execz .LBB384_121
; %bb.118:                              ;   in Loop: Header=BB384_13 Depth=1
	v_bfe_u32 v1, v58, 16, 7
	v_cmp_ne_u32_e64 s[8:9], s40, v1
	v_mov_b32_e32 v0, 0x7f800001
	s_and_saveexec_b64 s[36:37], s[8:9]
	s_cbranch_execz .LBB384_120
; %bb.119:                              ;   in Loop: Header=BB384_13 Depth=1
	v_and_b32_e32 v0, 7, v60
	v_ffbh_u32_e32 v4, v0
	v_min_u32_e32 v10, 32, v4
	v_subrev_u32_e32 v4, 28, v10
	v_lshlrev_b64 v[4:5], v4, v[60:61]
	v_lshrrev_b32_e32 v3, 3, v1
	v_sub_u32_e32 v5, 29, v10
	v_and_b32_e32 v4, 7, v4
	v_cmp_gt_u32_e64 s[8:9], 8, v1
	v_cndmask_b32_e64 v1, v3, v5, s[8:9]
	v_cndmask_b32_e64 v0, v0, v4, s[8:9]
	v_lshlrev_b32_e32 v3, 24, v60
	v_bfrev_b32_e32 v2, 60
	v_lshlrev_b32_e32 v0, 20, v0
	v_and_b32_e32 v3, 0x80000000, v3
	v_lshl_add_u32 v1, v1, 23, v2
	v_or3_b32 v0, v3, v1, v0
.LBB384_120:                            ;   in Loop: Header=BB384_13 Depth=1
	s_or_b64 exec, exec, s[36:37]
.LBB384_121:                            ;   in Loop: Header=BB384_13 Depth=1
	s_or_b64 exec, exec, s[34:35]
.LBB384_122:                            ;   in Loop: Header=BB384_13 Depth=1
	s_or_b64 exec, exec, s[30:31]
	v_mul_f32_e32 v0, v14, v0
	v_and_b32_e32 v1, 0x7f800000, v0
	v_cmp_ne_u32_e64 s[8:9], s41, v1
                                        ; implicit-def: $agpr27
	s_and_saveexec_b64 s[30:31], s[8:9]
	s_xor_b64 s[8:9], exec, s[30:31]
; %bb.123:                              ;   in Loop: Header=BB384_13 Depth=1
	v_bfe_u32 v1, v0, 16, 1
	v_add3_u32 v0, v0, v1, s42
	v_accvgpr_write_b32 a27, v0
                                        ; implicit-def: $vgpr0
; %bb.124:                              ;   in Loop: Header=BB384_13 Depth=1
	s_andn2_saveexec_b64 s[30:31], s[8:9]
; %bb.125:                              ;   in Loop: Header=BB384_13 Depth=1
	v_or_b32_e32 v1, 0x10000, v0
	v_cmp_eq_u32_sdwa s[8:9], v0, v27 src0_sel:WORD_0 src1_sel:DWORD
	v_cndmask_b32_e64 v0, v1, v0, s[8:9]
	v_accvgpr_write_b32 a27, v0
; %bb.126:                              ;   in Loop: Header=BB384_13 Depth=1
	s_or_b64 exec, exec, s[30:31]
	v_cmp_lt_u32_e64 s[8:9], s43, v58
	v_mov_b32_e32 v0, 0
	s_and_saveexec_b64 s[30:31], s[8:9]
	s_cbranch_execz .LBB384_132
; %bb.127:                              ;   in Loop: Header=BB384_13 Depth=1
	v_lshrrev_b32_e32 v60, 24, v58
	v_cmp_ne_u32_e64 s[8:9], s39, v60
	v_bfrev_b32_e32 v0, 1
	s_and_saveexec_b64 s[34:35], s[8:9]
	s_cbranch_execz .LBB384_131
; %bb.128:                              ;   in Loop: Header=BB384_13 Depth=1
	v_bfe_u32 v1, v58, 24, 7
	v_cmp_ne_u32_e64 s[8:9], s40, v1
	v_mov_b32_e32 v0, 0x7f800001
	s_and_saveexec_b64 s[36:37], s[8:9]
	s_cbranch_execz .LBB384_130
; %bb.129:                              ;   in Loop: Header=BB384_13 Depth=1
	v_and_b32_e32 v0, 7, v60
	v_ffbh_u32_e32 v4, v0
	v_min_u32_e32 v10, 32, v4
	v_subrev_u32_e32 v4, 28, v10
	v_lshlrev_b64 v[4:5], v4, v[60:61]
	v_lshrrev_b32_e32 v3, 3, v1
	v_sub_u32_e32 v5, 29, v10
	v_and_b32_e32 v4, 7, v4
	v_cmp_gt_u32_e64 s[8:9], 8, v1
	v_cndmask_b32_e64 v1, v3, v5, s[8:9]
	v_cndmask_b32_e64 v0, v0, v4, s[8:9]
	v_lshlrev_b32_e32 v3, 24, v60
	v_bfrev_b32_e32 v2, 60
	v_lshlrev_b32_e32 v0, 20, v0
	v_and_b32_e32 v3, 0x80000000, v3
	v_lshl_add_u32 v1, v1, 23, v2
	v_or3_b32 v0, v3, v1, v0
.LBB384_130:                            ;   in Loop: Header=BB384_13 Depth=1
	s_or_b64 exec, exec, s[36:37]
.LBB384_131:                            ;   in Loop: Header=BB384_13 Depth=1
	s_or_b64 exec, exec, s[34:35]
.LBB384_132:                            ;   in Loop: Header=BB384_13 Depth=1
	s_or_b64 exec, exec, s[30:31]
	v_mul_f32_e32 v0, v14, v0
	v_and_b32_e32 v1, 0x7f800000, v0
	v_cmp_ne_u32_e64 s[8:9], s41, v1
                                        ; implicit-def: $agpr25
	s_and_saveexec_b64 s[30:31], s[8:9]
	s_xor_b64 s[8:9], exec, s[30:31]
; %bb.133:                              ;   in Loop: Header=BB384_13 Depth=1
	v_bfe_u32 v1, v0, 16, 1
	v_add3_u32 v0, v0, v1, s42
	v_accvgpr_write_b32 a25, v0
                                        ; implicit-def: $vgpr0
; %bb.134:                              ;   in Loop: Header=BB384_13 Depth=1
	s_andn2_saveexec_b64 s[30:31], s[8:9]
; %bb.135:                              ;   in Loop: Header=BB384_13 Depth=1
	v_or_b32_e32 v1, 0x10000, v0
	v_cmp_eq_u32_sdwa s[8:9], v0, v27 src0_sel:WORD_0 src1_sel:DWORD
	v_cndmask_b32_e64 v0, v1, v0, s[8:9]
	v_accvgpr_write_b32 a25, v0
; %bb.136:                              ;   in Loop: Header=BB384_13 Depth=1
	s_or_b64 exec, exec, s[30:31]
	flat_load_dword v58, v[56:57] offset:520
	v_mov_b32_e32 v0, 0
	s_waitcnt vmcnt(0) lgkmcnt(0)
	v_cmp_ne_u16_sdwa s[8:9], v58, v27 src0_sel:BYTE_0 src1_sel:DWORD
	s_and_saveexec_b64 s[30:31], s[8:9]
	s_cbranch_execz .LBB384_142
; %bb.137:                              ;   in Loop: Header=BB384_13 Depth=1
	v_cmp_ne_u16_sdwa s[8:9], v58, s39 src0_sel:BYTE_0 src1_sel:DWORD
	v_bfrev_b32_e32 v0, 1
	s_and_saveexec_b64 s[34:35], s[8:9]
	s_cbranch_execz .LBB384_141
; %bb.138:                              ;   in Loop: Header=BB384_13 Depth=1
	v_and_b32_e32 v1, 0x7f, v58
	v_cmp_ne_u32_e64 s[8:9], s40, v1
	v_mov_b32_e32 v0, 0x7f800001
	s_and_saveexec_b64 s[36:37], s[8:9]
	s_cbranch_execz .LBB384_140
; %bb.139:                              ;   in Loop: Header=BB384_13 Depth=1
	v_and_b32_e32 v0, 7, v58
	v_ffbh_u32_e32 v4, v0
	v_min_u32_e32 v10, 32, v4
	v_subrev_u32_e32 v4, 28, v10
	v_lshlrev_b64 v[4:5], v4, v[58:59]
	v_lshrrev_b32_e32 v3, 3, v1
	v_sub_u32_e32 v5, 29, v10
	v_and_b32_e32 v4, 7, v4
	v_cmp_gt_u32_e64 s[8:9], 8, v1
	v_cndmask_b32_e64 v1, v3, v5, s[8:9]
	v_cndmask_b32_e64 v0, v0, v4, s[8:9]
	v_lshlrev_b32_e32 v3, 24, v58
	v_bfrev_b32_e32 v2, 60
	v_lshlrev_b32_e32 v0, 20, v0
	v_and_b32_e32 v3, 0x80000000, v3
	v_lshl_add_u32 v1, v1, 23, v2
	v_or3_b32 v0, v3, v1, v0
.LBB384_140:                            ;   in Loop: Header=BB384_13 Depth=1
	s_or_b64 exec, exec, s[36:37]
.LBB384_141:                            ;   in Loop: Header=BB384_13 Depth=1
	s_or_b64 exec, exec, s[34:35]
.LBB384_142:                            ;   in Loop: Header=BB384_13 Depth=1
	s_or_b64 exec, exec, s[30:31]
	v_mul_f32_e32 v0, v14, v0
	v_and_b32_e32 v1, 0x7f800000, v0
	v_cmp_ne_u32_e64 s[8:9], s41, v1
                                        ; implicit-def: $agpr30
	s_and_saveexec_b64 s[30:31], s[8:9]
	s_xor_b64 s[8:9], exec, s[30:31]
; %bb.143:                              ;   in Loop: Header=BB384_13 Depth=1
	v_bfe_u32 v1, v0, 16, 1
	v_add3_u32 v0, v0, v1, s42
	v_accvgpr_write_b32 a30, v0
                                        ; implicit-def: $vgpr0
; %bb.144:                              ;   in Loop: Header=BB384_13 Depth=1
	s_andn2_saveexec_b64 s[30:31], s[8:9]
; %bb.145:                              ;   in Loop: Header=BB384_13 Depth=1
	v_or_b32_e32 v1, 0x10000, v0
	v_cmp_eq_u32_sdwa s[8:9], v0, v27 src0_sel:WORD_0 src1_sel:DWORD
	v_cndmask_b32_e64 v0, v1, v0, s[8:9]
	v_accvgpr_write_b32 a30, v0
; %bb.146:                              ;   in Loop: Header=BB384_13 Depth=1
	s_or_b64 exec, exec, s[30:31]
	v_lshrrev_b16_e32 v60, 8, v58
	v_cmp_ne_u16_e64 s[8:9], 0, v60
	v_mov_b32_e32 v0, 0
	s_and_saveexec_b64 s[30:31], s[8:9]
	s_cbranch_execz .LBB384_152
; %bb.147:                              ;   in Loop: Header=BB384_13 Depth=1
	v_cmp_ne_u16_e64 s[8:9], s39, v60
	v_bfrev_b32_e32 v0, 1
	s_and_saveexec_b64 s[34:35], s[8:9]
	s_cbranch_execz .LBB384_151
; %bb.148:                              ;   in Loop: Header=BB384_13 Depth=1
	v_and_b32_e32 v1, 0x7f, v60
	v_cmp_ne_u32_e64 s[8:9], s40, v1
	v_mov_b32_e32 v0, 0x7f800001
	s_and_saveexec_b64 s[36:37], s[8:9]
	s_cbranch_execz .LBB384_150
; %bb.149:                              ;   in Loop: Header=BB384_13 Depth=1
	v_and_b32_e32 v0, 7, v60
	v_ffbh_u32_e32 v4, v0
	v_min_u32_e32 v10, 32, v4
	v_subrev_u32_e32 v4, 28, v10
	v_lshlrev_b64 v[4:5], v4, v[60:61]
	v_lshrrev_b32_e32 v3, 3, v1
	v_sub_u32_e32 v5, 29, v10
	v_and_b32_e32 v4, 7, v4
	v_cmp_gt_u32_e64 s[8:9], 8, v1
	v_cndmask_b32_e64 v1, v3, v5, s[8:9]
	v_cndmask_b32_e64 v0, v0, v4, s[8:9]
	v_lshlrev_b32_e32 v3, 16, v58
	v_bfrev_b32_e32 v2, 60
	v_lshlrev_b32_e32 v0, 20, v0
	v_and_b32_e32 v3, 0x80000000, v3
	v_lshl_add_u32 v1, v1, 23, v2
	v_or3_b32 v0, v3, v1, v0
.LBB384_150:                            ;   in Loop: Header=BB384_13 Depth=1
	s_or_b64 exec, exec, s[36:37]
.LBB384_151:                            ;   in Loop: Header=BB384_13 Depth=1
	s_or_b64 exec, exec, s[34:35]
.LBB384_152:                            ;   in Loop: Header=BB384_13 Depth=1
	s_or_b64 exec, exec, s[30:31]
	v_mul_f32_e32 v0, v14, v0
	v_and_b32_e32 v1, 0x7f800000, v0
	v_cmp_ne_u32_e64 s[8:9], s41, v1
                                        ; implicit-def: $agpr31
	s_and_saveexec_b64 s[30:31], s[8:9]
	s_xor_b64 s[8:9], exec, s[30:31]
; %bb.153:                              ;   in Loop: Header=BB384_13 Depth=1
	v_bfe_u32 v1, v0, 16, 1
	v_add3_u32 v0, v0, v1, s42
	v_accvgpr_write_b32 a31, v0
                                        ; implicit-def: $vgpr0
; %bb.154:                              ;   in Loop: Header=BB384_13 Depth=1
	s_andn2_saveexec_b64 s[30:31], s[8:9]
; %bb.155:                              ;   in Loop: Header=BB384_13 Depth=1
	v_or_b32_e32 v1, 0x10000, v0
	v_cmp_eq_u32_sdwa s[8:9], v0, v27 src0_sel:WORD_0 src1_sel:DWORD
	v_cndmask_b32_e64 v0, v1, v0, s[8:9]
	v_accvgpr_write_b32 a31, v0
; %bb.156:                              ;   in Loop: Header=BB384_13 Depth=1
	s_or_b64 exec, exec, s[30:31]
	v_lshrrev_b32_e32 v60, 16, v58
	v_cmp_ne_u16_sdwa s[8:9], v60, v27 src0_sel:BYTE_0 src1_sel:DWORD
	v_mov_b32_e32 v0, 0
	s_and_saveexec_b64 s[30:31], s[8:9]
	s_cbranch_execz .LBB384_162
; %bb.157:                              ;   in Loop: Header=BB384_13 Depth=1
	v_cmp_ne_u16_sdwa s[8:9], v60, s39 src0_sel:BYTE_0 src1_sel:DWORD
	v_bfrev_b32_e32 v0, 1
	s_and_saveexec_b64 s[34:35], s[8:9]
	s_cbranch_execz .LBB384_161
; %bb.158:                              ;   in Loop: Header=BB384_13 Depth=1
	v_bfe_u32 v1, v58, 16, 7
	v_cmp_ne_u32_e64 s[8:9], s40, v1
	v_mov_b32_e32 v0, 0x7f800001
	s_and_saveexec_b64 s[36:37], s[8:9]
	s_cbranch_execz .LBB384_160
; %bb.159:                              ;   in Loop: Header=BB384_13 Depth=1
	v_and_b32_e32 v0, 7, v60
	v_ffbh_u32_e32 v4, v0
	v_min_u32_e32 v10, 32, v4
	v_subrev_u32_e32 v4, 28, v10
	v_lshlrev_b64 v[4:5], v4, v[60:61]
	v_lshrrev_b32_e32 v3, 3, v1
	v_sub_u32_e32 v5, 29, v10
	v_and_b32_e32 v4, 7, v4
	v_cmp_gt_u32_e64 s[8:9], 8, v1
	v_cndmask_b32_e64 v1, v3, v5, s[8:9]
	v_cndmask_b32_e64 v0, v0, v4, s[8:9]
	v_lshlrev_b32_e32 v3, 24, v60
	v_bfrev_b32_e32 v2, 60
	v_lshlrev_b32_e32 v0, 20, v0
	v_and_b32_e32 v3, 0x80000000, v3
	v_lshl_add_u32 v1, v1, 23, v2
	v_or3_b32 v0, v3, v1, v0
.LBB384_160:                            ;   in Loop: Header=BB384_13 Depth=1
	s_or_b64 exec, exec, s[36:37]
.LBB384_161:                            ;   in Loop: Header=BB384_13 Depth=1
	s_or_b64 exec, exec, s[34:35]
.LBB384_162:                            ;   in Loop: Header=BB384_13 Depth=1
	s_or_b64 exec, exec, s[30:31]
	v_mul_f32_e32 v0, v14, v0
	v_and_b32_e32 v1, 0x7f800000, v0
	v_cmp_ne_u32_e64 s[8:9], s41, v1
                                        ; implicit-def: $agpr32
	s_and_saveexec_b64 s[30:31], s[8:9]
	s_xor_b64 s[8:9], exec, s[30:31]
; %bb.163:                              ;   in Loop: Header=BB384_13 Depth=1
	v_bfe_u32 v1, v0, 16, 1
	v_add3_u32 v0, v0, v1, s42
	v_accvgpr_write_b32 a32, v0
                                        ; implicit-def: $vgpr0
; %bb.164:                              ;   in Loop: Header=BB384_13 Depth=1
	s_andn2_saveexec_b64 s[30:31], s[8:9]
; %bb.165:                              ;   in Loop: Header=BB384_13 Depth=1
	v_or_b32_e32 v1, 0x10000, v0
	v_cmp_eq_u32_sdwa s[8:9], v0, v27 src0_sel:WORD_0 src1_sel:DWORD
	v_cndmask_b32_e64 v0, v1, v0, s[8:9]
	v_accvgpr_write_b32 a32, v0
; %bb.166:                              ;   in Loop: Header=BB384_13 Depth=1
	s_or_b64 exec, exec, s[30:31]
	v_cmp_lt_u32_e64 s[8:9], s43, v58
	v_mov_b32_e32 v0, 0
	s_and_saveexec_b64 s[30:31], s[8:9]
	s_cbranch_execz .LBB384_172
; %bb.167:                              ;   in Loop: Header=BB384_13 Depth=1
	v_lshrrev_b32_e32 v60, 24, v58
	v_cmp_ne_u32_e64 s[8:9], s39, v60
	v_bfrev_b32_e32 v0, 1
	s_and_saveexec_b64 s[34:35], s[8:9]
	s_cbranch_execz .LBB384_171
; %bb.168:                              ;   in Loop: Header=BB384_13 Depth=1
	v_bfe_u32 v1, v58, 24, 7
	v_cmp_ne_u32_e64 s[8:9], s40, v1
	v_mov_b32_e32 v0, 0x7f800001
	s_and_saveexec_b64 s[36:37], s[8:9]
	s_cbranch_execz .LBB384_170
; %bb.169:                              ;   in Loop: Header=BB384_13 Depth=1
	v_and_b32_e32 v0, 7, v60
	v_ffbh_u32_e32 v4, v0
	v_min_u32_e32 v10, 32, v4
	v_subrev_u32_e32 v4, 28, v10
	v_lshlrev_b64 v[4:5], v4, v[60:61]
	v_lshrrev_b32_e32 v3, 3, v1
	v_sub_u32_e32 v5, 29, v10
	v_and_b32_e32 v4, 7, v4
	v_cmp_gt_u32_e64 s[8:9], 8, v1
	v_cndmask_b32_e64 v1, v3, v5, s[8:9]
	v_cndmask_b32_e64 v0, v0, v4, s[8:9]
	v_lshlrev_b32_e32 v3, 24, v60
	v_bfrev_b32_e32 v2, 60
	v_lshlrev_b32_e32 v0, 20, v0
	v_and_b32_e32 v3, 0x80000000, v3
	v_lshl_add_u32 v1, v1, 23, v2
	v_or3_b32 v0, v3, v1, v0
.LBB384_170:                            ;   in Loop: Header=BB384_13 Depth=1
	s_or_b64 exec, exec, s[36:37]
.LBB384_171:                            ;   in Loop: Header=BB384_13 Depth=1
	s_or_b64 exec, exec, s[34:35]
.LBB384_172:                            ;   in Loop: Header=BB384_13 Depth=1
	s_or_b64 exec, exec, s[30:31]
	v_mul_f32_e32 v0, v14, v0
	v_and_b32_e32 v1, 0x7f800000, v0
	v_cmp_ne_u32_e64 s[8:9], s41, v1
                                        ; implicit-def: $agpr28
	s_and_saveexec_b64 s[30:31], s[8:9]
	s_xor_b64 s[8:9], exec, s[30:31]
; %bb.173:                              ;   in Loop: Header=BB384_13 Depth=1
	v_bfe_u32 v1, v0, 16, 1
	v_add3_u32 v0, v0, v1, s42
	v_accvgpr_write_b32 a28, v0
                                        ; implicit-def: $vgpr0
; %bb.174:                              ;   in Loop: Header=BB384_13 Depth=1
	s_andn2_saveexec_b64 s[30:31], s[8:9]
; %bb.175:                              ;   in Loop: Header=BB384_13 Depth=1
	v_or_b32_e32 v1, 0x10000, v0
	v_cmp_eq_u32_sdwa s[8:9], v0, v27 src0_sel:WORD_0 src1_sel:DWORD
	v_cndmask_b32_e64 v0, v1, v0, s[8:9]
	v_accvgpr_write_b32 a28, v0
; %bb.176:                              ;   in Loop: Header=BB384_13 Depth=1
	s_or_b64 exec, exec, s[30:31]
	flat_load_dword v58, v[56:57] offset:1024
	v_mov_b32_e32 v0, 0
	s_waitcnt vmcnt(0) lgkmcnt(0)
	v_cmp_ne_u16_sdwa s[8:9], v58, v27 src0_sel:BYTE_0 src1_sel:DWORD
	s_and_saveexec_b64 s[30:31], s[8:9]
	s_cbranch_execz .LBB384_182
; %bb.177:                              ;   in Loop: Header=BB384_13 Depth=1
	v_cmp_ne_u16_sdwa s[8:9], v58, s39 src0_sel:BYTE_0 src1_sel:DWORD
	v_bfrev_b32_e32 v0, 1
	s_and_saveexec_b64 s[34:35], s[8:9]
	s_cbranch_execz .LBB384_181
; %bb.178:                              ;   in Loop: Header=BB384_13 Depth=1
	v_and_b32_e32 v1, 0x7f, v58
	v_cmp_ne_u32_e64 s[8:9], s40, v1
	v_mov_b32_e32 v0, 0x7f800001
	s_and_saveexec_b64 s[36:37], s[8:9]
	s_cbranch_execz .LBB384_180
; %bb.179:                              ;   in Loop: Header=BB384_13 Depth=1
	v_and_b32_e32 v0, 7, v58
	v_ffbh_u32_e32 v4, v0
	v_min_u32_e32 v10, 32, v4
	v_subrev_u32_e32 v4, 28, v10
	v_lshlrev_b64 v[4:5], v4, v[58:59]
	v_lshrrev_b32_e32 v3, 3, v1
	v_sub_u32_e32 v5, 29, v10
	v_and_b32_e32 v4, 7, v4
	v_cmp_gt_u32_e64 s[8:9], 8, v1
	v_cndmask_b32_e64 v1, v3, v5, s[8:9]
	v_cndmask_b32_e64 v0, v0, v4, s[8:9]
	v_lshlrev_b32_e32 v3, 24, v58
	v_bfrev_b32_e32 v2, 60
	v_lshlrev_b32_e32 v0, 20, v0
	v_and_b32_e32 v3, 0x80000000, v3
	v_lshl_add_u32 v1, v1, 23, v2
	v_or3_b32 v0, v3, v1, v0
.LBB384_180:                            ;   in Loop: Header=BB384_13 Depth=1
	s_or_b64 exec, exec, s[36:37]
.LBB384_181:                            ;   in Loop: Header=BB384_13 Depth=1
	s_or_b64 exec, exec, s[34:35]
.LBB384_182:                            ;   in Loop: Header=BB384_13 Depth=1
	s_or_b64 exec, exec, s[30:31]
	v_mul_f32_e32 v0, v14, v0
	v_and_b32_e32 v1, 0x7f800000, v0
	v_cmp_ne_u32_e64 s[8:9], s41, v1
                                        ; implicit-def: $agpr29
	s_and_saveexec_b64 s[30:31], s[8:9]
	s_xor_b64 s[8:9], exec, s[30:31]
; %bb.183:                              ;   in Loop: Header=BB384_13 Depth=1
	v_bfe_u32 v1, v0, 16, 1
	v_add3_u32 v0, v0, v1, s42
	v_accvgpr_write_b32 a29, v0
                                        ; implicit-def: $vgpr0
; %bb.184:                              ;   in Loop: Header=BB384_13 Depth=1
	s_andn2_saveexec_b64 s[30:31], s[8:9]
; %bb.185:                              ;   in Loop: Header=BB384_13 Depth=1
	v_or_b32_e32 v1, 0x10000, v0
	v_cmp_eq_u32_sdwa s[8:9], v0, v27 src0_sel:WORD_0 src1_sel:DWORD
	v_cndmask_b32_e64 v0, v1, v0, s[8:9]
	v_accvgpr_write_b32 a29, v0
; %bb.186:                              ;   in Loop: Header=BB384_13 Depth=1
	s_or_b64 exec, exec, s[30:31]
	v_lshrrev_b16_e32 v60, 8, v58
	v_cmp_ne_u16_e64 s[8:9], 0, v60
	v_mov_b32_e32 v0, 0
	s_and_saveexec_b64 s[30:31], s[8:9]
	s_cbranch_execz .LBB384_192
; %bb.187:                              ;   in Loop: Header=BB384_13 Depth=1
	v_cmp_ne_u16_e64 s[8:9], s39, v60
	v_bfrev_b32_e32 v0, 1
	s_and_saveexec_b64 s[34:35], s[8:9]
	s_cbranch_execz .LBB384_191
; %bb.188:                              ;   in Loop: Header=BB384_13 Depth=1
	v_and_b32_e32 v1, 0x7f, v60
	v_cmp_ne_u32_e64 s[8:9], s40, v1
	v_mov_b32_e32 v0, 0x7f800001
	s_and_saveexec_b64 s[36:37], s[8:9]
	s_cbranch_execz .LBB384_190
; %bb.189:                              ;   in Loop: Header=BB384_13 Depth=1
	v_and_b32_e32 v0, 7, v60
	v_ffbh_u32_e32 v4, v0
	v_min_u32_e32 v10, 32, v4
	v_subrev_u32_e32 v4, 28, v10
	v_lshlrev_b64 v[4:5], v4, v[60:61]
	v_lshrrev_b32_e32 v3, 3, v1
	v_sub_u32_e32 v5, 29, v10
	v_and_b32_e32 v4, 7, v4
	v_cmp_gt_u32_e64 s[8:9], 8, v1
	v_cndmask_b32_e64 v1, v3, v5, s[8:9]
	v_cndmask_b32_e64 v0, v0, v4, s[8:9]
	v_lshlrev_b32_e32 v3, 16, v58
	v_bfrev_b32_e32 v2, 60
	v_lshlrev_b32_e32 v0, 20, v0
	v_and_b32_e32 v3, 0x80000000, v3
	v_lshl_add_u32 v1, v1, 23, v2
	v_or3_b32 v0, v3, v1, v0
.LBB384_190:                            ;   in Loop: Header=BB384_13 Depth=1
	s_or_b64 exec, exec, s[36:37]
.LBB384_191:                            ;   in Loop: Header=BB384_13 Depth=1
	s_or_b64 exec, exec, s[34:35]
.LBB384_192:                            ;   in Loop: Header=BB384_13 Depth=1
	s_or_b64 exec, exec, s[30:31]
	v_mul_f32_e32 v0, v14, v0
	v_and_b32_e32 v1, 0x7f800000, v0
	v_cmp_ne_u32_e64 s[8:9], s41, v1
                                        ; implicit-def: $agpr26
	s_and_saveexec_b64 s[30:31], s[8:9]
	s_xor_b64 s[8:9], exec, s[30:31]
; %bb.193:                              ;   in Loop: Header=BB384_13 Depth=1
	v_bfe_u32 v1, v0, 16, 1
	v_add3_u32 v0, v0, v1, s42
	v_accvgpr_write_b32 a26, v0
                                        ; implicit-def: $vgpr0
; %bb.194:                              ;   in Loop: Header=BB384_13 Depth=1
	s_andn2_saveexec_b64 s[30:31], s[8:9]
; %bb.195:                              ;   in Loop: Header=BB384_13 Depth=1
	v_or_b32_e32 v1, 0x10000, v0
	v_cmp_eq_u32_sdwa s[8:9], v0, v27 src0_sel:WORD_0 src1_sel:DWORD
	v_cndmask_b32_e64 v0, v1, v0, s[8:9]
	v_accvgpr_write_b32 a26, v0
; %bb.196:                              ;   in Loop: Header=BB384_13 Depth=1
	s_or_b64 exec, exec, s[30:31]
	v_lshrrev_b32_e32 v60, 16, v58
	v_cmp_ne_u16_sdwa s[8:9], v60, v27 src0_sel:BYTE_0 src1_sel:DWORD
	v_mov_b32_e32 v0, 0
	s_and_saveexec_b64 s[30:31], s[8:9]
	s_cbranch_execz .LBB384_202
; %bb.197:                              ;   in Loop: Header=BB384_13 Depth=1
	v_cmp_ne_u16_sdwa s[8:9], v60, s39 src0_sel:BYTE_0 src1_sel:DWORD
	v_bfrev_b32_e32 v0, 1
	s_and_saveexec_b64 s[34:35], s[8:9]
	s_cbranch_execz .LBB384_201
; %bb.198:                              ;   in Loop: Header=BB384_13 Depth=1
	v_bfe_u32 v1, v58, 16, 7
	v_cmp_ne_u32_e64 s[8:9], s40, v1
	v_mov_b32_e32 v0, 0x7f800001
	s_and_saveexec_b64 s[36:37], s[8:9]
	s_cbranch_execz .LBB384_200
; %bb.199:                              ;   in Loop: Header=BB384_13 Depth=1
	v_and_b32_e32 v0, 7, v60
	v_ffbh_u32_e32 v4, v0
	v_min_u32_e32 v10, 32, v4
	v_subrev_u32_e32 v4, 28, v10
	v_lshlrev_b64 v[4:5], v4, v[60:61]
	v_lshrrev_b32_e32 v3, 3, v1
	v_sub_u32_e32 v5, 29, v10
	v_and_b32_e32 v4, 7, v4
	v_cmp_gt_u32_e64 s[8:9], 8, v1
	v_cndmask_b32_e64 v1, v3, v5, s[8:9]
	v_cndmask_b32_e64 v0, v0, v4, s[8:9]
	v_lshlrev_b32_e32 v3, 24, v60
	v_bfrev_b32_e32 v2, 60
	v_lshlrev_b32_e32 v0, 20, v0
	v_and_b32_e32 v3, 0x80000000, v3
	v_lshl_add_u32 v1, v1, 23, v2
	v_or3_b32 v0, v3, v1, v0
.LBB384_200:                            ;   in Loop: Header=BB384_13 Depth=1
	s_or_b64 exec, exec, s[36:37]
.LBB384_201:                            ;   in Loop: Header=BB384_13 Depth=1
	s_or_b64 exec, exec, s[34:35]
.LBB384_202:                            ;   in Loop: Header=BB384_13 Depth=1
	s_or_b64 exec, exec, s[30:31]
	v_mul_f32_e32 v0, v14, v0
	v_and_b32_e32 v1, 0x7f800000, v0
	v_cmp_ne_u32_e64 s[8:9], s41, v1
                                        ; implicit-def: $agpr36
	s_and_saveexec_b64 s[30:31], s[8:9]
	s_xor_b64 s[8:9], exec, s[30:31]
; %bb.203:                              ;   in Loop: Header=BB384_13 Depth=1
	v_bfe_u32 v1, v0, 16, 1
	v_add3_u32 v0, v0, v1, s42
	v_accvgpr_write_b32 a36, v0
                                        ; implicit-def: $vgpr0
; %bb.204:                              ;   in Loop: Header=BB384_13 Depth=1
	s_andn2_saveexec_b64 s[30:31], s[8:9]
; %bb.205:                              ;   in Loop: Header=BB384_13 Depth=1
	v_or_b32_e32 v1, 0x10000, v0
	v_cmp_eq_u32_sdwa s[8:9], v0, v27 src0_sel:WORD_0 src1_sel:DWORD
	v_cndmask_b32_e64 v0, v1, v0, s[8:9]
	v_accvgpr_write_b32 a36, v0
; %bb.206:                              ;   in Loop: Header=BB384_13 Depth=1
	s_or_b64 exec, exec, s[30:31]
	v_cmp_lt_u32_e64 s[8:9], s43, v58
	v_mov_b32_e32 v0, 0
	s_and_saveexec_b64 s[30:31], s[8:9]
	s_cbranch_execz .LBB384_212
; %bb.207:                              ;   in Loop: Header=BB384_13 Depth=1
	v_lshrrev_b32_e32 v60, 24, v58
	v_cmp_ne_u32_e64 s[8:9], s39, v60
	v_bfrev_b32_e32 v0, 1
	s_and_saveexec_b64 s[34:35], s[8:9]
	s_cbranch_execz .LBB384_211
; %bb.208:                              ;   in Loop: Header=BB384_13 Depth=1
	v_bfe_u32 v1, v58, 24, 7
	v_cmp_ne_u32_e64 s[8:9], s40, v1
	v_mov_b32_e32 v0, 0x7f800001
	s_and_saveexec_b64 s[36:37], s[8:9]
	s_cbranch_execz .LBB384_210
; %bb.209:                              ;   in Loop: Header=BB384_13 Depth=1
	v_and_b32_e32 v0, 7, v60
	v_ffbh_u32_e32 v4, v0
	v_min_u32_e32 v10, 32, v4
	v_subrev_u32_e32 v4, 28, v10
	v_lshlrev_b64 v[4:5], v4, v[60:61]
	v_lshrrev_b32_e32 v3, 3, v1
	v_sub_u32_e32 v5, 29, v10
	v_and_b32_e32 v4, 7, v4
	v_cmp_gt_u32_e64 s[8:9], 8, v1
	v_cndmask_b32_e64 v1, v3, v5, s[8:9]
	v_cndmask_b32_e64 v0, v0, v4, s[8:9]
	v_lshlrev_b32_e32 v3, 24, v60
	v_bfrev_b32_e32 v2, 60
	v_lshlrev_b32_e32 v0, 20, v0
	v_and_b32_e32 v3, 0x80000000, v3
	v_lshl_add_u32 v1, v1, 23, v2
	v_or3_b32 v0, v3, v1, v0
.LBB384_210:                            ;   in Loop: Header=BB384_13 Depth=1
	s_or_b64 exec, exec, s[36:37]
.LBB384_211:                            ;   in Loop: Header=BB384_13 Depth=1
	s_or_b64 exec, exec, s[34:35]
.LBB384_212:                            ;   in Loop: Header=BB384_13 Depth=1
	s_or_b64 exec, exec, s[30:31]
	v_mul_f32_e32 v0, v14, v0
	v_and_b32_e32 v1, 0x7f800000, v0
	v_cmp_ne_u32_e64 s[8:9], s41, v1
                                        ; implicit-def: $agpr15
	s_and_saveexec_b64 s[30:31], s[8:9]
	s_xor_b64 s[8:9], exec, s[30:31]
; %bb.213:                              ;   in Loop: Header=BB384_13 Depth=1
	v_bfe_u32 v1, v0, 16, 1
	v_add3_u32 v0, v0, v1, s42
	v_accvgpr_write_b32 a15, v0
                                        ; implicit-def: $vgpr0
; %bb.214:                              ;   in Loop: Header=BB384_13 Depth=1
	s_andn2_saveexec_b64 s[30:31], s[8:9]
; %bb.215:                              ;   in Loop: Header=BB384_13 Depth=1
	v_or_b32_e32 v1, 0x10000, v0
	v_cmp_eq_u32_sdwa s[8:9], v0, v27 src0_sel:WORD_0 src1_sel:DWORD
	v_cndmask_b32_e64 v0, v1, v0, s[8:9]
	v_accvgpr_write_b32 a15, v0
; %bb.216:                              ;   in Loop: Header=BB384_13 Depth=1
	s_or_b64 exec, exec, s[30:31]
	flat_load_dword v58, v[56:57] offset:1032
	v_mov_b32_e32 v0, 0
	s_waitcnt vmcnt(0) lgkmcnt(0)
	v_cmp_ne_u16_sdwa s[8:9], v58, v27 src0_sel:BYTE_0 src1_sel:DWORD
	s_and_saveexec_b64 s[30:31], s[8:9]
	s_cbranch_execz .LBB384_222
; %bb.217:                              ;   in Loop: Header=BB384_13 Depth=1
	v_cmp_ne_u16_sdwa s[8:9], v58, s39 src0_sel:BYTE_0 src1_sel:DWORD
	v_bfrev_b32_e32 v0, 1
	s_and_saveexec_b64 s[34:35], s[8:9]
	s_cbranch_execz .LBB384_221
; %bb.218:                              ;   in Loop: Header=BB384_13 Depth=1
	v_and_b32_e32 v1, 0x7f, v58
	v_cmp_ne_u32_e64 s[8:9], s40, v1
	v_mov_b32_e32 v0, 0x7f800001
	s_and_saveexec_b64 s[36:37], s[8:9]
	s_cbranch_execz .LBB384_220
; %bb.219:                              ;   in Loop: Header=BB384_13 Depth=1
	v_and_b32_e32 v0, 7, v58
	v_ffbh_u32_e32 v4, v0
	v_min_u32_e32 v10, 32, v4
	v_subrev_u32_e32 v4, 28, v10
	v_lshlrev_b64 v[4:5], v4, v[58:59]
	v_lshrrev_b32_e32 v3, 3, v1
	v_sub_u32_e32 v5, 29, v10
	v_and_b32_e32 v4, 7, v4
	v_cmp_gt_u32_e64 s[8:9], 8, v1
	v_cndmask_b32_e64 v1, v3, v5, s[8:9]
	v_cndmask_b32_e64 v0, v0, v4, s[8:9]
	v_lshlrev_b32_e32 v3, 24, v58
	v_bfrev_b32_e32 v2, 60
	v_lshlrev_b32_e32 v0, 20, v0
	v_and_b32_e32 v3, 0x80000000, v3
	v_lshl_add_u32 v1, v1, 23, v2
	v_or3_b32 v0, v3, v1, v0
.LBB384_220:                            ;   in Loop: Header=BB384_13 Depth=1
	s_or_b64 exec, exec, s[36:37]
.LBB384_221:                            ;   in Loop: Header=BB384_13 Depth=1
	s_or_b64 exec, exec, s[34:35]
.LBB384_222:                            ;   in Loop: Header=BB384_13 Depth=1
	s_or_b64 exec, exec, s[30:31]
	v_mul_f32_e32 v0, v14, v0
	v_and_b32_e32 v1, 0x7f800000, v0
	v_cmp_ne_u32_e64 s[8:9], s41, v1
                                        ; implicit-def: $agpr0
	s_and_saveexec_b64 s[30:31], s[8:9]
	s_xor_b64 s[8:9], exec, s[30:31]
; %bb.223:                              ;   in Loop: Header=BB384_13 Depth=1
	v_bfe_u32 v1, v0, 16, 1
	v_add3_u32 v0, v0, v1, s42
	v_accvgpr_write_b32 a0, v0
                                        ; implicit-def: $vgpr0
; %bb.224:                              ;   in Loop: Header=BB384_13 Depth=1
	s_andn2_saveexec_b64 s[30:31], s[8:9]
; %bb.225:                              ;   in Loop: Header=BB384_13 Depth=1
	v_or_b32_e32 v1, 0x10000, v0
	v_cmp_eq_u32_sdwa s[8:9], v0, v27 src0_sel:WORD_0 src1_sel:DWORD
	v_cndmask_b32_e64 v0, v1, v0, s[8:9]
	v_accvgpr_write_b32 a0, v0
; %bb.226:                              ;   in Loop: Header=BB384_13 Depth=1
	s_or_b64 exec, exec, s[30:31]
	v_lshrrev_b16_e32 v60, 8, v58
	v_cmp_ne_u16_e64 s[8:9], 0, v60
	v_mov_b32_e32 v0, 0
	s_and_saveexec_b64 s[30:31], s[8:9]
	s_cbranch_execz .LBB384_232
; %bb.227:                              ;   in Loop: Header=BB384_13 Depth=1
	v_cmp_ne_u16_e64 s[8:9], s39, v60
	v_bfrev_b32_e32 v0, 1
	s_and_saveexec_b64 s[34:35], s[8:9]
	s_cbranch_execz .LBB384_231
; %bb.228:                              ;   in Loop: Header=BB384_13 Depth=1
	v_and_b32_e32 v1, 0x7f, v60
	v_cmp_ne_u32_e64 s[8:9], s40, v1
	v_mov_b32_e32 v0, 0x7f800001
	s_and_saveexec_b64 s[36:37], s[8:9]
	s_cbranch_execz .LBB384_230
; %bb.229:                              ;   in Loop: Header=BB384_13 Depth=1
	v_and_b32_e32 v0, 7, v60
	v_ffbh_u32_e32 v4, v0
	v_min_u32_e32 v10, 32, v4
	v_subrev_u32_e32 v4, 28, v10
	v_lshlrev_b64 v[4:5], v4, v[60:61]
	v_lshrrev_b32_e32 v3, 3, v1
	v_sub_u32_e32 v5, 29, v10
	v_and_b32_e32 v4, 7, v4
	v_cmp_gt_u32_e64 s[8:9], 8, v1
	v_cndmask_b32_e64 v1, v3, v5, s[8:9]
	v_cndmask_b32_e64 v0, v0, v4, s[8:9]
	v_lshlrev_b32_e32 v3, 16, v58
	v_bfrev_b32_e32 v2, 60
	v_lshlrev_b32_e32 v0, 20, v0
	v_and_b32_e32 v3, 0x80000000, v3
	v_lshl_add_u32 v1, v1, 23, v2
	v_or3_b32 v0, v3, v1, v0
.LBB384_230:                            ;   in Loop: Header=BB384_13 Depth=1
	s_or_b64 exec, exec, s[36:37]
.LBB384_231:                            ;   in Loop: Header=BB384_13 Depth=1
	s_or_b64 exec, exec, s[34:35]
.LBB384_232:                            ;   in Loop: Header=BB384_13 Depth=1
	s_or_b64 exec, exec, s[30:31]
	v_mul_f32_e32 v0, v14, v0
	v_and_b32_e32 v1, 0x7f800000, v0
	v_cmp_ne_u32_e64 s[8:9], s41, v1
                                        ; implicit-def: $agpr1
	s_and_saveexec_b64 s[30:31], s[8:9]
	s_xor_b64 s[8:9], exec, s[30:31]
; %bb.233:                              ;   in Loop: Header=BB384_13 Depth=1
	v_bfe_u32 v1, v0, 16, 1
	v_add3_u32 v0, v0, v1, s42
	v_accvgpr_write_b32 a1, v0
                                        ; implicit-def: $vgpr0
; %bb.234:                              ;   in Loop: Header=BB384_13 Depth=1
	s_andn2_saveexec_b64 s[30:31], s[8:9]
; %bb.235:                              ;   in Loop: Header=BB384_13 Depth=1
	v_or_b32_e32 v1, 0x10000, v0
	v_cmp_eq_u32_sdwa s[8:9], v0, v27 src0_sel:WORD_0 src1_sel:DWORD
	v_cndmask_b32_e64 v0, v1, v0, s[8:9]
	v_accvgpr_write_b32 a1, v0
; %bb.236:                              ;   in Loop: Header=BB384_13 Depth=1
	s_or_b64 exec, exec, s[30:31]
	v_lshrrev_b32_e32 v60, 16, v58
	v_cmp_ne_u16_sdwa s[8:9], v60, v27 src0_sel:BYTE_0 src1_sel:DWORD
	v_mov_b32_e32 v0, 0
	s_and_saveexec_b64 s[30:31], s[8:9]
	s_cbranch_execz .LBB384_242
; %bb.237:                              ;   in Loop: Header=BB384_13 Depth=1
	v_cmp_ne_u16_sdwa s[8:9], v60, s39 src0_sel:BYTE_0 src1_sel:DWORD
	v_bfrev_b32_e32 v0, 1
	s_and_saveexec_b64 s[34:35], s[8:9]
	s_cbranch_execz .LBB384_241
; %bb.238:                              ;   in Loop: Header=BB384_13 Depth=1
	v_bfe_u32 v1, v58, 16, 7
	v_cmp_ne_u32_e64 s[8:9], s40, v1
	v_mov_b32_e32 v0, 0x7f800001
	s_and_saveexec_b64 s[36:37], s[8:9]
	s_cbranch_execz .LBB384_240
; %bb.239:                              ;   in Loop: Header=BB384_13 Depth=1
	v_and_b32_e32 v0, 7, v60
	v_ffbh_u32_e32 v4, v0
	v_min_u32_e32 v10, 32, v4
	v_subrev_u32_e32 v4, 28, v10
	v_lshlrev_b64 v[4:5], v4, v[60:61]
	v_lshrrev_b32_e32 v3, 3, v1
	v_sub_u32_e32 v5, 29, v10
	v_and_b32_e32 v4, 7, v4
	v_cmp_gt_u32_e64 s[8:9], 8, v1
	v_cndmask_b32_e64 v1, v3, v5, s[8:9]
	v_cndmask_b32_e64 v0, v0, v4, s[8:9]
	v_lshlrev_b32_e32 v3, 24, v60
	v_bfrev_b32_e32 v2, 60
	v_lshlrev_b32_e32 v0, 20, v0
	v_and_b32_e32 v3, 0x80000000, v3
	v_lshl_add_u32 v1, v1, 23, v2
	v_or3_b32 v0, v3, v1, v0
.LBB384_240:                            ;   in Loop: Header=BB384_13 Depth=1
	s_or_b64 exec, exec, s[36:37]
.LBB384_241:                            ;   in Loop: Header=BB384_13 Depth=1
	s_or_b64 exec, exec, s[34:35]
.LBB384_242:                            ;   in Loop: Header=BB384_13 Depth=1
	s_or_b64 exec, exec, s[30:31]
	v_mul_f32_e32 v0, v14, v0
	v_and_b32_e32 v1, 0x7f800000, v0
	v_cmp_ne_u32_e64 s[8:9], s41, v1
                                        ; implicit-def: $agpr23
	s_and_saveexec_b64 s[30:31], s[8:9]
	s_xor_b64 s[8:9], exec, s[30:31]
; %bb.243:                              ;   in Loop: Header=BB384_13 Depth=1
	v_bfe_u32 v1, v0, 16, 1
	v_add3_u32 v0, v0, v1, s42
	v_accvgpr_write_b32 a23, v0
                                        ; implicit-def: $vgpr0
; %bb.244:                              ;   in Loop: Header=BB384_13 Depth=1
	s_andn2_saveexec_b64 s[30:31], s[8:9]
; %bb.245:                              ;   in Loop: Header=BB384_13 Depth=1
	v_or_b32_e32 v1, 0x10000, v0
	v_cmp_eq_u32_sdwa s[8:9], v0, v27 src0_sel:WORD_0 src1_sel:DWORD
	v_cndmask_b32_e64 v0, v1, v0, s[8:9]
	v_accvgpr_write_b32 a23, v0
; %bb.246:                              ;   in Loop: Header=BB384_13 Depth=1
	s_or_b64 exec, exec, s[30:31]
	v_cmp_lt_u32_e64 s[8:9], s43, v58
	v_mov_b32_e32 v0, 0
	s_and_saveexec_b64 s[30:31], s[8:9]
	s_cbranch_execz .LBB384_252
; %bb.247:                              ;   in Loop: Header=BB384_13 Depth=1
	v_lshrrev_b32_e32 v60, 24, v58
	v_cmp_ne_u32_e64 s[8:9], s39, v60
	v_bfrev_b32_e32 v0, 1
	s_and_saveexec_b64 s[34:35], s[8:9]
	s_cbranch_execz .LBB384_251
; %bb.248:                              ;   in Loop: Header=BB384_13 Depth=1
	v_bfe_u32 v1, v58, 24, 7
	v_cmp_ne_u32_e64 s[8:9], s40, v1
	v_mov_b32_e32 v0, 0x7f800001
	s_and_saveexec_b64 s[36:37], s[8:9]
	s_cbranch_execz .LBB384_250
; %bb.249:                              ;   in Loop: Header=BB384_13 Depth=1
	v_and_b32_e32 v0, 7, v60
	v_ffbh_u32_e32 v4, v0
	v_min_u32_e32 v10, 32, v4
	v_subrev_u32_e32 v4, 28, v10
	v_lshlrev_b64 v[4:5], v4, v[60:61]
	v_lshrrev_b32_e32 v3, 3, v1
	v_sub_u32_e32 v5, 29, v10
	v_and_b32_e32 v4, 7, v4
	v_cmp_gt_u32_e64 s[8:9], 8, v1
	v_cndmask_b32_e64 v1, v3, v5, s[8:9]
	v_cndmask_b32_e64 v0, v0, v4, s[8:9]
	v_lshlrev_b32_e32 v3, 24, v60
	v_bfrev_b32_e32 v2, 60
	v_lshlrev_b32_e32 v0, 20, v0
	v_and_b32_e32 v3, 0x80000000, v3
	v_lshl_add_u32 v1, v1, 23, v2
	v_or3_b32 v0, v3, v1, v0
.LBB384_250:                            ;   in Loop: Header=BB384_13 Depth=1
	s_or_b64 exec, exec, s[36:37]
.LBB384_251:                            ;   in Loop: Header=BB384_13 Depth=1
	s_or_b64 exec, exec, s[34:35]
.LBB384_252:                            ;   in Loop: Header=BB384_13 Depth=1
	s_or_b64 exec, exec, s[30:31]
	v_mul_f32_e32 v0, v14, v0
	v_and_b32_e32 v1, 0x7f800000, v0
	v_cmp_ne_u32_e64 s[8:9], s41, v1
                                        ; implicit-def: $agpr24
	s_and_saveexec_b64 s[30:31], s[8:9]
	s_xor_b64 s[8:9], exec, s[30:31]
; %bb.253:                              ;   in Loop: Header=BB384_13 Depth=1
	v_bfe_u32 v1, v0, 16, 1
	v_add3_u32 v0, v0, v1, s42
	v_accvgpr_write_b32 a24, v0
                                        ; implicit-def: $vgpr0
; %bb.254:                              ;   in Loop: Header=BB384_13 Depth=1
	s_andn2_saveexec_b64 s[30:31], s[8:9]
; %bb.255:                              ;   in Loop: Header=BB384_13 Depth=1
	v_or_b32_e32 v1, 0x10000, v0
	v_cmp_eq_u32_sdwa s[8:9], v0, v27 src0_sel:WORD_0 src1_sel:DWORD
	v_cndmask_b32_e64 v0, v1, v0, s[8:9]
	v_accvgpr_write_b32 a24, v0
; %bb.256:                              ;   in Loop: Header=BB384_13 Depth=1
	s_or_b64 exec, exec, s[30:31]
	flat_load_dword v58, v[56:57] offset:1536
	v_mov_b32_e32 v0, 0
	s_waitcnt vmcnt(0) lgkmcnt(0)
	v_cmp_ne_u16_sdwa s[8:9], v58, v27 src0_sel:BYTE_0 src1_sel:DWORD
	s_and_saveexec_b64 s[30:31], s[8:9]
	s_cbranch_execz .LBB384_262
; %bb.257:                              ;   in Loop: Header=BB384_13 Depth=1
	v_cmp_ne_u16_sdwa s[8:9], v58, s39 src0_sel:BYTE_0 src1_sel:DWORD
	v_bfrev_b32_e32 v0, 1
	s_and_saveexec_b64 s[34:35], s[8:9]
	s_cbranch_execz .LBB384_261
; %bb.258:                              ;   in Loop: Header=BB384_13 Depth=1
	v_and_b32_e32 v1, 0x7f, v58
	v_cmp_ne_u32_e64 s[8:9], s40, v1
	v_mov_b32_e32 v0, 0x7f800001
	s_and_saveexec_b64 s[36:37], s[8:9]
	s_cbranch_execz .LBB384_260
; %bb.259:                              ;   in Loop: Header=BB384_13 Depth=1
	v_and_b32_e32 v0, 7, v58
	v_ffbh_u32_e32 v4, v0
	v_min_u32_e32 v10, 32, v4
	v_subrev_u32_e32 v4, 28, v10
	v_lshlrev_b64 v[4:5], v4, v[58:59]
	v_lshrrev_b32_e32 v3, 3, v1
	v_sub_u32_e32 v5, 29, v10
	v_and_b32_e32 v4, 7, v4
	v_cmp_gt_u32_e64 s[8:9], 8, v1
	v_cndmask_b32_e64 v1, v3, v5, s[8:9]
	v_cndmask_b32_e64 v0, v0, v4, s[8:9]
	v_lshlrev_b32_e32 v3, 24, v58
	v_bfrev_b32_e32 v2, 60
	v_lshlrev_b32_e32 v0, 20, v0
	v_and_b32_e32 v3, 0x80000000, v3
	v_lshl_add_u32 v1, v1, 23, v2
	v_or3_b32 v0, v3, v1, v0
.LBB384_260:                            ;   in Loop: Header=BB384_13 Depth=1
	s_or_b64 exec, exec, s[36:37]
.LBB384_261:                            ;   in Loop: Header=BB384_13 Depth=1
	s_or_b64 exec, exec, s[34:35]
.LBB384_262:                            ;   in Loop: Header=BB384_13 Depth=1
	s_or_b64 exec, exec, s[30:31]
	v_mul_f32_e32 v0, v14, v0
	v_and_b32_e32 v1, 0x7f800000, v0
	v_cmp_ne_u32_e64 s[8:9], s41, v1
                                        ; implicit-def: $agpr21
	s_and_saveexec_b64 s[30:31], s[8:9]
	s_xor_b64 s[8:9], exec, s[30:31]
; %bb.263:                              ;   in Loop: Header=BB384_13 Depth=1
	v_bfe_u32 v1, v0, 16, 1
	v_add3_u32 v0, v0, v1, s42
	v_accvgpr_write_b32 a21, v0
                                        ; implicit-def: $vgpr0
; %bb.264:                              ;   in Loop: Header=BB384_13 Depth=1
	s_andn2_saveexec_b64 s[30:31], s[8:9]
; %bb.265:                              ;   in Loop: Header=BB384_13 Depth=1
	v_or_b32_e32 v1, 0x10000, v0
	v_cmp_eq_u32_sdwa s[8:9], v0, v27 src0_sel:WORD_0 src1_sel:DWORD
	v_cndmask_b32_e64 v0, v1, v0, s[8:9]
	v_accvgpr_write_b32 a21, v0
; %bb.266:                              ;   in Loop: Header=BB384_13 Depth=1
	s_or_b64 exec, exec, s[30:31]
	v_lshrrev_b16_e32 v60, 8, v58
	v_cmp_ne_u16_e64 s[8:9], 0, v60
	v_mov_b32_e32 v0, 0
	s_and_saveexec_b64 s[30:31], s[8:9]
	s_cbranch_execz .LBB384_272
; %bb.267:                              ;   in Loop: Header=BB384_13 Depth=1
	v_cmp_ne_u16_e64 s[8:9], s39, v60
	v_bfrev_b32_e32 v0, 1
	s_and_saveexec_b64 s[34:35], s[8:9]
	s_cbranch_execz .LBB384_271
; %bb.268:                              ;   in Loop: Header=BB384_13 Depth=1
	v_and_b32_e32 v1, 0x7f, v60
	v_cmp_ne_u32_e64 s[8:9], s40, v1
	v_mov_b32_e32 v0, 0x7f800001
	s_and_saveexec_b64 s[36:37], s[8:9]
	s_cbranch_execz .LBB384_270
; %bb.269:                              ;   in Loop: Header=BB384_13 Depth=1
	v_and_b32_e32 v0, 7, v60
	v_ffbh_u32_e32 v4, v0
	v_min_u32_e32 v10, 32, v4
	v_subrev_u32_e32 v4, 28, v10
	v_lshlrev_b64 v[4:5], v4, v[60:61]
	v_lshrrev_b32_e32 v3, 3, v1
	v_sub_u32_e32 v5, 29, v10
	v_and_b32_e32 v4, 7, v4
	v_cmp_gt_u32_e64 s[8:9], 8, v1
	v_cndmask_b32_e64 v1, v3, v5, s[8:9]
	v_cndmask_b32_e64 v0, v0, v4, s[8:9]
	v_lshlrev_b32_e32 v3, 16, v58
	v_bfrev_b32_e32 v2, 60
	v_lshlrev_b32_e32 v0, 20, v0
	v_and_b32_e32 v3, 0x80000000, v3
	v_lshl_add_u32 v1, v1, 23, v2
	v_or3_b32 v0, v3, v1, v0
.LBB384_270:                            ;   in Loop: Header=BB384_13 Depth=1
	s_or_b64 exec, exec, s[36:37]
.LBB384_271:                            ;   in Loop: Header=BB384_13 Depth=1
	s_or_b64 exec, exec, s[34:35]
.LBB384_272:                            ;   in Loop: Header=BB384_13 Depth=1
	s_or_b64 exec, exec, s[30:31]
	v_mul_f32_e32 v0, v14, v0
	v_and_b32_e32 v1, 0x7f800000, v0
	v_cmp_ne_u32_e64 s[8:9], s41, v1
                                        ; implicit-def: $agpr22
	s_and_saveexec_b64 s[30:31], s[8:9]
	s_xor_b64 s[8:9], exec, s[30:31]
; %bb.273:                              ;   in Loop: Header=BB384_13 Depth=1
	v_bfe_u32 v1, v0, 16, 1
	v_add3_u32 v0, v0, v1, s42
	v_accvgpr_write_b32 a22, v0
                                        ; implicit-def: $vgpr0
; %bb.274:                              ;   in Loop: Header=BB384_13 Depth=1
	s_andn2_saveexec_b64 s[30:31], s[8:9]
; %bb.275:                              ;   in Loop: Header=BB384_13 Depth=1
	v_or_b32_e32 v1, 0x10000, v0
	v_cmp_eq_u32_sdwa s[8:9], v0, v27 src0_sel:WORD_0 src1_sel:DWORD
	v_cndmask_b32_e64 v0, v1, v0, s[8:9]
	v_accvgpr_write_b32 a22, v0
; %bb.276:                              ;   in Loop: Header=BB384_13 Depth=1
	s_or_b64 exec, exec, s[30:31]
	v_lshrrev_b32_e32 v60, 16, v58
	v_cmp_ne_u16_sdwa s[8:9], v60, v27 src0_sel:BYTE_0 src1_sel:DWORD
	v_mov_b32_e32 v0, 0
	s_and_saveexec_b64 s[30:31], s[8:9]
	s_cbranch_execz .LBB384_282
; %bb.277:                              ;   in Loop: Header=BB384_13 Depth=1
	v_cmp_ne_u16_sdwa s[8:9], v60, s39 src0_sel:BYTE_0 src1_sel:DWORD
	v_bfrev_b32_e32 v0, 1
	s_and_saveexec_b64 s[34:35], s[8:9]
	s_cbranch_execz .LBB384_281
; %bb.278:                              ;   in Loop: Header=BB384_13 Depth=1
	v_bfe_u32 v1, v58, 16, 7
	v_cmp_ne_u32_e64 s[8:9], s40, v1
	v_mov_b32_e32 v0, 0x7f800001
	s_and_saveexec_b64 s[36:37], s[8:9]
	s_cbranch_execz .LBB384_280
; %bb.279:                              ;   in Loop: Header=BB384_13 Depth=1
	v_and_b32_e32 v0, 7, v60
	v_ffbh_u32_e32 v4, v0
	v_min_u32_e32 v10, 32, v4
	v_subrev_u32_e32 v4, 28, v10
	v_lshlrev_b64 v[4:5], v4, v[60:61]
	v_lshrrev_b32_e32 v3, 3, v1
	v_sub_u32_e32 v5, 29, v10
	v_and_b32_e32 v4, 7, v4
	v_cmp_gt_u32_e64 s[8:9], 8, v1
	v_cndmask_b32_e64 v1, v3, v5, s[8:9]
	v_cndmask_b32_e64 v0, v0, v4, s[8:9]
	v_lshlrev_b32_e32 v3, 24, v60
	v_bfrev_b32_e32 v2, 60
	v_lshlrev_b32_e32 v0, 20, v0
	v_and_b32_e32 v3, 0x80000000, v3
	v_lshl_add_u32 v1, v1, 23, v2
	v_or3_b32 v0, v3, v1, v0
.LBB384_280:                            ;   in Loop: Header=BB384_13 Depth=1
	s_or_b64 exec, exec, s[36:37]
.LBB384_281:                            ;   in Loop: Header=BB384_13 Depth=1
	s_or_b64 exec, exec, s[34:35]
.LBB384_282:                            ;   in Loop: Header=BB384_13 Depth=1
	s_or_b64 exec, exec, s[30:31]
	v_mul_f32_e32 v0, v14, v0
	v_and_b32_e32 v1, 0x7f800000, v0
	v_cmp_ne_u32_e64 s[8:9], s41, v1
                                        ; implicit-def: $agpr19
	s_and_saveexec_b64 s[30:31], s[8:9]
	s_xor_b64 s[8:9], exec, s[30:31]
; %bb.283:                              ;   in Loop: Header=BB384_13 Depth=1
	v_bfe_u32 v1, v0, 16, 1
	v_add3_u32 v0, v0, v1, s42
	v_accvgpr_write_b32 a19, v0
                                        ; implicit-def: $vgpr0
; %bb.284:                              ;   in Loop: Header=BB384_13 Depth=1
	s_andn2_saveexec_b64 s[30:31], s[8:9]
; %bb.285:                              ;   in Loop: Header=BB384_13 Depth=1
	v_or_b32_e32 v1, 0x10000, v0
	v_cmp_eq_u32_sdwa s[8:9], v0, v27 src0_sel:WORD_0 src1_sel:DWORD
	v_cndmask_b32_e64 v0, v1, v0, s[8:9]
	v_accvgpr_write_b32 a19, v0
; %bb.286:                              ;   in Loop: Header=BB384_13 Depth=1
	s_or_b64 exec, exec, s[30:31]
	v_cmp_lt_u32_e64 s[8:9], s43, v58
	v_mov_b32_e32 v0, 0
	s_and_saveexec_b64 s[30:31], s[8:9]
	s_cbranch_execz .LBB384_292
; %bb.287:                              ;   in Loop: Header=BB384_13 Depth=1
	v_lshrrev_b32_e32 v60, 24, v58
	v_cmp_ne_u32_e64 s[8:9], s39, v60
	v_bfrev_b32_e32 v0, 1
	s_and_saveexec_b64 s[34:35], s[8:9]
	s_cbranch_execz .LBB384_291
; %bb.288:                              ;   in Loop: Header=BB384_13 Depth=1
	v_bfe_u32 v1, v58, 24, 7
	v_cmp_ne_u32_e64 s[8:9], s40, v1
	v_mov_b32_e32 v0, 0x7f800001
	s_and_saveexec_b64 s[36:37], s[8:9]
	s_cbranch_execz .LBB384_290
; %bb.289:                              ;   in Loop: Header=BB384_13 Depth=1
	v_and_b32_e32 v0, 7, v60
	v_ffbh_u32_e32 v4, v0
	v_min_u32_e32 v10, 32, v4
	v_subrev_u32_e32 v4, 28, v10
	v_lshlrev_b64 v[4:5], v4, v[60:61]
	v_lshrrev_b32_e32 v3, 3, v1
	v_sub_u32_e32 v5, 29, v10
	v_and_b32_e32 v4, 7, v4
	v_cmp_gt_u32_e64 s[8:9], 8, v1
	v_cndmask_b32_e64 v1, v3, v5, s[8:9]
	v_cndmask_b32_e64 v0, v0, v4, s[8:9]
	v_lshlrev_b32_e32 v3, 24, v60
	v_bfrev_b32_e32 v2, 60
	v_lshlrev_b32_e32 v0, 20, v0
	v_and_b32_e32 v3, 0x80000000, v3
	v_lshl_add_u32 v1, v1, 23, v2
	v_or3_b32 v0, v3, v1, v0
.LBB384_290:                            ;   in Loop: Header=BB384_13 Depth=1
	s_or_b64 exec, exec, s[36:37]
.LBB384_291:                            ;   in Loop: Header=BB384_13 Depth=1
	s_or_b64 exec, exec, s[34:35]
.LBB384_292:                            ;   in Loop: Header=BB384_13 Depth=1
	s_or_b64 exec, exec, s[30:31]
	v_mul_f32_e32 v0, v14, v0
	v_and_b32_e32 v1, 0x7f800000, v0
	v_cmp_ne_u32_e64 s[8:9], s41, v1
                                        ; implicit-def: $agpr20
	s_and_saveexec_b64 s[30:31], s[8:9]
	s_xor_b64 s[8:9], exec, s[30:31]
; %bb.293:                              ;   in Loop: Header=BB384_13 Depth=1
	v_bfe_u32 v1, v0, 16, 1
	v_add3_u32 v0, v0, v1, s42
	v_accvgpr_write_b32 a20, v0
                                        ; implicit-def: $vgpr0
; %bb.294:                              ;   in Loop: Header=BB384_13 Depth=1
	s_andn2_saveexec_b64 s[30:31], s[8:9]
; %bb.295:                              ;   in Loop: Header=BB384_13 Depth=1
	v_or_b32_e32 v1, 0x10000, v0
	v_cmp_eq_u32_sdwa s[8:9], v0, v27 src0_sel:WORD_0 src1_sel:DWORD
	v_cndmask_b32_e64 v0, v1, v0, s[8:9]
	v_accvgpr_write_b32 a20, v0
; %bb.296:                              ;   in Loop: Header=BB384_13 Depth=1
	s_or_b64 exec, exec, s[30:31]
	flat_load_dword v58, v[56:57] offset:1544
	v_mov_b32_e32 v0, 0
	s_waitcnt vmcnt(0) lgkmcnt(0)
	v_cmp_ne_u16_sdwa s[8:9], v58, v27 src0_sel:BYTE_0 src1_sel:DWORD
	s_and_saveexec_b64 s[30:31], s[8:9]
	s_cbranch_execz .LBB384_302
; %bb.297:                              ;   in Loop: Header=BB384_13 Depth=1
	v_cmp_ne_u16_sdwa s[8:9], v58, s39 src0_sel:BYTE_0 src1_sel:DWORD
	v_bfrev_b32_e32 v0, 1
	s_and_saveexec_b64 s[34:35], s[8:9]
	s_cbranch_execz .LBB384_301
; %bb.298:                              ;   in Loop: Header=BB384_13 Depth=1
	v_and_b32_e32 v1, 0x7f, v58
	v_cmp_ne_u32_e64 s[8:9], s40, v1
	v_mov_b32_e32 v0, 0x7f800001
	s_and_saveexec_b64 s[36:37], s[8:9]
	s_cbranch_execz .LBB384_300
; %bb.299:                              ;   in Loop: Header=BB384_13 Depth=1
	v_and_b32_e32 v0, 7, v58
	v_ffbh_u32_e32 v4, v0
	v_min_u32_e32 v10, 32, v4
	v_subrev_u32_e32 v4, 28, v10
	v_lshlrev_b64 v[4:5], v4, v[58:59]
	v_lshrrev_b32_e32 v3, 3, v1
	v_sub_u32_e32 v5, 29, v10
	v_and_b32_e32 v4, 7, v4
	v_cmp_gt_u32_e64 s[8:9], 8, v1
	v_cndmask_b32_e64 v1, v3, v5, s[8:9]
	v_cndmask_b32_e64 v0, v0, v4, s[8:9]
	v_lshlrev_b32_e32 v3, 24, v58
	v_bfrev_b32_e32 v2, 60
	v_lshlrev_b32_e32 v0, 20, v0
	v_and_b32_e32 v3, 0x80000000, v3
	v_lshl_add_u32 v1, v1, 23, v2
	v_or3_b32 v0, v3, v1, v0
.LBB384_300:                            ;   in Loop: Header=BB384_13 Depth=1
	s_or_b64 exec, exec, s[36:37]
.LBB384_301:                            ;   in Loop: Header=BB384_13 Depth=1
	s_or_b64 exec, exec, s[34:35]
.LBB384_302:                            ;   in Loop: Header=BB384_13 Depth=1
	s_or_b64 exec, exec, s[30:31]
	v_mul_f32_e32 v0, v14, v0
	v_and_b32_e32 v1, 0x7f800000, v0
	v_cmp_ne_u32_e64 s[8:9], s41, v1
                                        ; implicit-def: $agpr18
	s_and_saveexec_b64 s[30:31], s[8:9]
	s_xor_b64 s[8:9], exec, s[30:31]
; %bb.303:                              ;   in Loop: Header=BB384_13 Depth=1
	v_bfe_u32 v1, v0, 16, 1
	v_add3_u32 v0, v0, v1, s42
	v_accvgpr_write_b32 a18, v0
                                        ; implicit-def: $vgpr0
; %bb.304:                              ;   in Loop: Header=BB384_13 Depth=1
	s_andn2_saveexec_b64 s[30:31], s[8:9]
; %bb.305:                              ;   in Loop: Header=BB384_13 Depth=1
	v_or_b32_e32 v1, 0x10000, v0
	v_cmp_eq_u32_sdwa s[8:9], v0, v27 src0_sel:WORD_0 src1_sel:DWORD
	v_cndmask_b32_e64 v0, v1, v0, s[8:9]
	v_accvgpr_write_b32 a18, v0
; %bb.306:                              ;   in Loop: Header=BB384_13 Depth=1
	s_or_b64 exec, exec, s[30:31]
	v_lshrrev_b16_e32 v60, 8, v58
	v_cmp_ne_u16_e64 s[8:9], 0, v60
	v_mov_b32_e32 v0, 0
	s_and_saveexec_b64 s[30:31], s[8:9]
	s_cbranch_execz .LBB384_312
; %bb.307:                              ;   in Loop: Header=BB384_13 Depth=1
	v_cmp_ne_u16_e64 s[8:9], s39, v60
	v_bfrev_b32_e32 v0, 1
	s_and_saveexec_b64 s[34:35], s[8:9]
	s_cbranch_execz .LBB384_311
; %bb.308:                              ;   in Loop: Header=BB384_13 Depth=1
	v_and_b32_e32 v1, 0x7f, v60
	v_cmp_ne_u32_e64 s[8:9], s40, v1
	v_mov_b32_e32 v0, 0x7f800001
	s_and_saveexec_b64 s[36:37], s[8:9]
	s_cbranch_execz .LBB384_310
; %bb.309:                              ;   in Loop: Header=BB384_13 Depth=1
	v_and_b32_e32 v0, 7, v60
	v_ffbh_u32_e32 v4, v0
	v_min_u32_e32 v10, 32, v4
	v_subrev_u32_e32 v4, 28, v10
	v_lshlrev_b64 v[4:5], v4, v[60:61]
	v_lshrrev_b32_e32 v3, 3, v1
	v_sub_u32_e32 v5, 29, v10
	v_and_b32_e32 v4, 7, v4
	v_cmp_gt_u32_e64 s[8:9], 8, v1
	v_cndmask_b32_e64 v1, v3, v5, s[8:9]
	v_cndmask_b32_e64 v0, v0, v4, s[8:9]
	v_lshlrev_b32_e32 v3, 16, v58
	v_bfrev_b32_e32 v2, 60
	v_lshlrev_b32_e32 v0, 20, v0
	v_and_b32_e32 v3, 0x80000000, v3
	v_lshl_add_u32 v1, v1, 23, v2
	v_or3_b32 v0, v3, v1, v0
.LBB384_310:                            ;   in Loop: Header=BB384_13 Depth=1
	s_or_b64 exec, exec, s[36:37]
.LBB384_311:                            ;   in Loop: Header=BB384_13 Depth=1
	s_or_b64 exec, exec, s[34:35]
.LBB384_312:                            ;   in Loop: Header=BB384_13 Depth=1
	s_or_b64 exec, exec, s[30:31]
	v_mul_f32_e32 v0, v14, v0
	v_and_b32_e32 v1, 0x7f800000, v0
	v_cmp_ne_u32_e64 s[8:9], s41, v1
                                        ; implicit-def: $agpr17
	s_and_saveexec_b64 s[30:31], s[8:9]
	s_xor_b64 s[8:9], exec, s[30:31]
; %bb.313:                              ;   in Loop: Header=BB384_13 Depth=1
	v_bfe_u32 v1, v0, 16, 1
	v_add3_u32 v0, v0, v1, s42
	v_accvgpr_write_b32 a17, v0
                                        ; implicit-def: $vgpr0
; %bb.314:                              ;   in Loop: Header=BB384_13 Depth=1
	s_andn2_saveexec_b64 s[30:31], s[8:9]
; %bb.315:                              ;   in Loop: Header=BB384_13 Depth=1
	v_or_b32_e32 v1, 0x10000, v0
	v_cmp_eq_u32_sdwa s[8:9], v0, v27 src0_sel:WORD_0 src1_sel:DWORD
	v_cndmask_b32_e64 v0, v1, v0, s[8:9]
	v_accvgpr_write_b32 a17, v0
; %bb.316:                              ;   in Loop: Header=BB384_13 Depth=1
	s_or_b64 exec, exec, s[30:31]
	v_lshrrev_b32_e32 v60, 16, v58
	v_cmp_ne_u16_sdwa s[8:9], v60, v27 src0_sel:BYTE_0 src1_sel:DWORD
	v_mov_b32_e32 v0, 0
	s_and_saveexec_b64 s[30:31], s[8:9]
	s_cbranch_execz .LBB384_322
; %bb.317:                              ;   in Loop: Header=BB384_13 Depth=1
	v_cmp_ne_u16_sdwa s[8:9], v60, s39 src0_sel:BYTE_0 src1_sel:DWORD
	v_bfrev_b32_e32 v0, 1
	s_and_saveexec_b64 s[34:35], s[8:9]
	s_cbranch_execz .LBB384_321
; %bb.318:                              ;   in Loop: Header=BB384_13 Depth=1
	v_bfe_u32 v1, v58, 16, 7
	v_cmp_ne_u32_e64 s[8:9], s40, v1
	v_mov_b32_e32 v0, 0x7f800001
	s_and_saveexec_b64 s[36:37], s[8:9]
	s_cbranch_execz .LBB384_320
; %bb.319:                              ;   in Loop: Header=BB384_13 Depth=1
	v_and_b32_e32 v0, 7, v60
	v_ffbh_u32_e32 v4, v0
	v_min_u32_e32 v10, 32, v4
	v_subrev_u32_e32 v4, 28, v10
	v_lshlrev_b64 v[4:5], v4, v[60:61]
	v_lshrrev_b32_e32 v3, 3, v1
	v_sub_u32_e32 v5, 29, v10
	v_and_b32_e32 v4, 7, v4
	v_cmp_gt_u32_e64 s[8:9], 8, v1
	v_cndmask_b32_e64 v1, v3, v5, s[8:9]
	v_cndmask_b32_e64 v0, v0, v4, s[8:9]
	v_lshlrev_b32_e32 v3, 24, v60
	v_bfrev_b32_e32 v2, 60
	v_lshlrev_b32_e32 v0, 20, v0
	v_and_b32_e32 v3, 0x80000000, v3
	v_lshl_add_u32 v1, v1, 23, v2
	v_or3_b32 v0, v3, v1, v0
.LBB384_320:                            ;   in Loop: Header=BB384_13 Depth=1
	s_or_b64 exec, exec, s[36:37]
.LBB384_321:                            ;   in Loop: Header=BB384_13 Depth=1
	s_or_b64 exec, exec, s[34:35]
.LBB384_322:                            ;   in Loop: Header=BB384_13 Depth=1
	s_or_b64 exec, exec, s[30:31]
	v_mul_f32_e32 v0, v14, v0
	v_and_b32_e32 v1, 0x7f800000, v0
	v_cmp_ne_u32_e64 s[8:9], s41, v1
                                        ; implicit-def: $agpr16
	s_and_saveexec_b64 s[30:31], s[8:9]
	s_xor_b64 s[8:9], exec, s[30:31]
; %bb.323:                              ;   in Loop: Header=BB384_13 Depth=1
	v_bfe_u32 v1, v0, 16, 1
	v_add3_u32 v0, v0, v1, s42
	v_accvgpr_write_b32 a16, v0
                                        ; implicit-def: $vgpr0
; %bb.324:                              ;   in Loop: Header=BB384_13 Depth=1
	s_andn2_saveexec_b64 s[30:31], s[8:9]
; %bb.325:                              ;   in Loop: Header=BB384_13 Depth=1
	v_or_b32_e32 v1, 0x10000, v0
	v_cmp_eq_u32_sdwa s[8:9], v0, v27 src0_sel:WORD_0 src1_sel:DWORD
	v_cndmask_b32_e64 v0, v1, v0, s[8:9]
	v_accvgpr_write_b32 a16, v0
; %bb.326:                              ;   in Loop: Header=BB384_13 Depth=1
	s_or_b64 exec, exec, s[30:31]
	v_cmp_lt_u32_e64 s[8:9], s43, v58
	v_mov_b32_e32 v0, 0
	s_and_saveexec_b64 s[30:31], s[8:9]
	s_cbranch_execz .LBB384_332
; %bb.327:                              ;   in Loop: Header=BB384_13 Depth=1
	v_lshrrev_b32_e32 v60, 24, v58
	v_cmp_ne_u32_e64 s[8:9], s39, v60
	v_bfrev_b32_e32 v0, 1
	s_and_saveexec_b64 s[34:35], s[8:9]
	s_cbranch_execz .LBB384_331
; %bb.328:                              ;   in Loop: Header=BB384_13 Depth=1
	v_bfe_u32 v1, v58, 24, 7
	v_cmp_ne_u32_e64 s[8:9], s40, v1
	v_mov_b32_e32 v0, 0x7f800001
	s_and_saveexec_b64 s[36:37], s[8:9]
	s_cbranch_execz .LBB384_330
; %bb.329:                              ;   in Loop: Header=BB384_13 Depth=1
	v_and_b32_e32 v0, 7, v60
	v_ffbh_u32_e32 v4, v0
	v_min_u32_e32 v10, 32, v4
	v_subrev_u32_e32 v4, 28, v10
	v_lshlrev_b64 v[4:5], v4, v[60:61]
	v_lshrrev_b32_e32 v3, 3, v1
	v_sub_u32_e32 v5, 29, v10
	v_and_b32_e32 v4, 7, v4
	v_cmp_gt_u32_e64 s[8:9], 8, v1
	v_cndmask_b32_e64 v1, v3, v5, s[8:9]
	v_cndmask_b32_e64 v0, v0, v4, s[8:9]
	v_lshlrev_b32_e32 v3, 24, v60
	v_bfrev_b32_e32 v2, 60
	v_lshlrev_b32_e32 v0, 20, v0
	v_and_b32_e32 v3, 0x80000000, v3
	v_lshl_add_u32 v1, v1, 23, v2
	v_or3_b32 v0, v3, v1, v0
.LBB384_330:                            ;   in Loop: Header=BB384_13 Depth=1
	s_or_b64 exec, exec, s[36:37]
.LBB384_331:                            ;   in Loop: Header=BB384_13 Depth=1
	s_or_b64 exec, exec, s[34:35]
.LBB384_332:                            ;   in Loop: Header=BB384_13 Depth=1
	s_or_b64 exec, exec, s[30:31]
	v_mul_f32_e32 v0, v14, v0
	v_and_b32_e32 v1, 0x7f800000, v0
	v_cmp_ne_u32_e64 s[8:9], s41, v1
                                        ; implicit-def: $agpr2
	s_and_saveexec_b64 s[30:31], s[8:9]
	s_xor_b64 s[8:9], exec, s[30:31]
; %bb.333:                              ;   in Loop: Header=BB384_13 Depth=1
	v_bfe_u32 v1, v0, 16, 1
	v_add3_u32 v0, v0, v1, s42
	v_accvgpr_write_b32 a2, v0
                                        ; implicit-def: $vgpr0
; %bb.334:                              ;   in Loop: Header=BB384_13 Depth=1
	s_andn2_saveexec_b64 s[30:31], s[8:9]
; %bb.335:                              ;   in Loop: Header=BB384_13 Depth=1
	v_or_b32_e32 v1, 0x10000, v0
	v_cmp_eq_u32_sdwa s[8:9], v0, v27 src0_sel:WORD_0 src1_sel:DWORD
	v_cndmask_b32_e64 v0, v1, v0, s[8:9]
	v_accvgpr_write_b32 a2, v0
; %bb.336:                              ;   in Loop: Header=BB384_13 Depth=1
	s_or_b64 exec, exec, s[30:31]
	flat_load_dword v58, v[56:57] offset:2048
	v_mov_b32_e32 v0, 0
	s_waitcnt vmcnt(0) lgkmcnt(0)
	v_cmp_ne_u16_sdwa s[8:9], v58, v27 src0_sel:BYTE_0 src1_sel:DWORD
	s_and_saveexec_b64 s[30:31], s[8:9]
	s_cbranch_execz .LBB384_342
; %bb.337:                              ;   in Loop: Header=BB384_13 Depth=1
	v_cmp_ne_u16_sdwa s[8:9], v58, s39 src0_sel:BYTE_0 src1_sel:DWORD
	v_bfrev_b32_e32 v0, 1
	s_and_saveexec_b64 s[34:35], s[8:9]
	s_cbranch_execz .LBB384_341
; %bb.338:                              ;   in Loop: Header=BB384_13 Depth=1
	v_and_b32_e32 v1, 0x7f, v58
	v_cmp_ne_u32_e64 s[8:9], s40, v1
	v_mov_b32_e32 v0, 0x7f800001
	s_and_saveexec_b64 s[36:37], s[8:9]
	s_cbranch_execz .LBB384_340
; %bb.339:                              ;   in Loop: Header=BB384_13 Depth=1
	v_and_b32_e32 v0, 7, v58
	v_ffbh_u32_e32 v4, v0
	v_min_u32_e32 v10, 32, v4
	v_subrev_u32_e32 v4, 28, v10
	v_lshlrev_b64 v[4:5], v4, v[58:59]
	v_lshrrev_b32_e32 v3, 3, v1
	v_sub_u32_e32 v5, 29, v10
	v_and_b32_e32 v4, 7, v4
	v_cmp_gt_u32_e64 s[8:9], 8, v1
	v_cndmask_b32_e64 v1, v3, v5, s[8:9]
	v_cndmask_b32_e64 v0, v0, v4, s[8:9]
	v_lshlrev_b32_e32 v3, 24, v58
	v_bfrev_b32_e32 v2, 60
	v_lshlrev_b32_e32 v0, 20, v0
	v_and_b32_e32 v3, 0x80000000, v3
	v_lshl_add_u32 v1, v1, 23, v2
	v_or3_b32 v0, v3, v1, v0
.LBB384_340:                            ;   in Loop: Header=BB384_13 Depth=1
	s_or_b64 exec, exec, s[36:37]
.LBB384_341:                            ;   in Loop: Header=BB384_13 Depth=1
	s_or_b64 exec, exec, s[34:35]
.LBB384_342:                            ;   in Loop: Header=BB384_13 Depth=1
	s_or_b64 exec, exec, s[30:31]
	v_mul_f32_e32 v0, v14, v0
	v_and_b32_e32 v1, 0x7f800000, v0
	v_cmp_ne_u32_e64 s[8:9], s41, v1
                                        ; implicit-def: $agpr37
	s_and_saveexec_b64 s[30:31], s[8:9]
	s_xor_b64 s[8:9], exec, s[30:31]
; %bb.343:                              ;   in Loop: Header=BB384_13 Depth=1
	v_bfe_u32 v1, v0, 16, 1
	v_add3_u32 v0, v0, v1, s42
	v_accvgpr_write_b32 a37, v0
                                        ; implicit-def: $vgpr0
; %bb.344:                              ;   in Loop: Header=BB384_13 Depth=1
	s_andn2_saveexec_b64 s[30:31], s[8:9]
; %bb.345:                              ;   in Loop: Header=BB384_13 Depth=1
	v_or_b32_e32 v1, 0x10000, v0
	v_cmp_eq_u32_sdwa s[8:9], v0, v27 src0_sel:WORD_0 src1_sel:DWORD
	v_cndmask_b32_e64 v0, v1, v0, s[8:9]
	v_accvgpr_write_b32 a37, v0
; %bb.346:                              ;   in Loop: Header=BB384_13 Depth=1
	s_or_b64 exec, exec, s[30:31]
	v_lshrrev_b16_e32 v60, 8, v58
	v_cmp_ne_u16_e64 s[8:9], 0, v60
	v_mov_b32_e32 v0, 0
	s_and_saveexec_b64 s[30:31], s[8:9]
	s_cbranch_execz .LBB384_352
; %bb.347:                              ;   in Loop: Header=BB384_13 Depth=1
	v_cmp_ne_u16_e64 s[8:9], s39, v60
	v_bfrev_b32_e32 v0, 1
	s_and_saveexec_b64 s[34:35], s[8:9]
	s_cbranch_execz .LBB384_351
; %bb.348:                              ;   in Loop: Header=BB384_13 Depth=1
	v_and_b32_e32 v1, 0x7f, v60
	v_cmp_ne_u32_e64 s[8:9], s40, v1
	v_mov_b32_e32 v0, 0x7f800001
	s_and_saveexec_b64 s[36:37], s[8:9]
	s_cbranch_execz .LBB384_350
; %bb.349:                              ;   in Loop: Header=BB384_13 Depth=1
	v_and_b32_e32 v0, 7, v60
	v_ffbh_u32_e32 v4, v0
	v_min_u32_e32 v10, 32, v4
	v_subrev_u32_e32 v4, 28, v10
	v_lshlrev_b64 v[4:5], v4, v[60:61]
	v_lshrrev_b32_e32 v3, 3, v1
	v_sub_u32_e32 v5, 29, v10
	v_and_b32_e32 v4, 7, v4
	v_cmp_gt_u32_e64 s[8:9], 8, v1
	v_cndmask_b32_e64 v1, v3, v5, s[8:9]
	v_cndmask_b32_e64 v0, v0, v4, s[8:9]
	v_lshlrev_b32_e32 v3, 16, v58
	v_bfrev_b32_e32 v2, 60
	v_lshlrev_b32_e32 v0, 20, v0
	v_and_b32_e32 v3, 0x80000000, v3
	v_lshl_add_u32 v1, v1, 23, v2
	v_or3_b32 v0, v3, v1, v0
.LBB384_350:                            ;   in Loop: Header=BB384_13 Depth=1
	s_or_b64 exec, exec, s[36:37]
.LBB384_351:                            ;   in Loop: Header=BB384_13 Depth=1
	s_or_b64 exec, exec, s[34:35]
.LBB384_352:                            ;   in Loop: Header=BB384_13 Depth=1
	s_or_b64 exec, exec, s[30:31]
	v_mul_f32_e32 v0, v14, v0
	v_and_b32_e32 v1, 0x7f800000, v0
	v_cmp_ne_u32_e64 s[8:9], s41, v1
                                        ; implicit-def: $agpr46
	s_and_saveexec_b64 s[30:31], s[8:9]
	s_xor_b64 s[8:9], exec, s[30:31]
; %bb.353:                              ;   in Loop: Header=BB384_13 Depth=1
	v_bfe_u32 v1, v0, 16, 1
	v_add3_u32 v0, v0, v1, s42
	v_accvgpr_write_b32 a46, v0
                                        ; implicit-def: $vgpr0
; %bb.354:                              ;   in Loop: Header=BB384_13 Depth=1
	s_andn2_saveexec_b64 s[30:31], s[8:9]
; %bb.355:                              ;   in Loop: Header=BB384_13 Depth=1
	v_or_b32_e32 v1, 0x10000, v0
	v_cmp_eq_u32_sdwa s[8:9], v0, v27 src0_sel:WORD_0 src1_sel:DWORD
	v_cndmask_b32_e64 v0, v1, v0, s[8:9]
	v_accvgpr_write_b32 a46, v0
; %bb.356:                              ;   in Loop: Header=BB384_13 Depth=1
	s_or_b64 exec, exec, s[30:31]
	v_lshrrev_b32_e32 v60, 16, v58
	v_cmp_ne_u16_sdwa s[8:9], v60, v27 src0_sel:BYTE_0 src1_sel:DWORD
	v_mov_b32_e32 v0, 0
	s_and_saveexec_b64 s[30:31], s[8:9]
	s_cbranch_execz .LBB384_362
; %bb.357:                              ;   in Loop: Header=BB384_13 Depth=1
	v_cmp_ne_u16_sdwa s[8:9], v60, s39 src0_sel:BYTE_0 src1_sel:DWORD
	v_bfrev_b32_e32 v0, 1
	s_and_saveexec_b64 s[34:35], s[8:9]
	s_cbranch_execz .LBB384_361
; %bb.358:                              ;   in Loop: Header=BB384_13 Depth=1
	v_bfe_u32 v1, v58, 16, 7
	v_cmp_ne_u32_e64 s[8:9], s40, v1
	v_mov_b32_e32 v0, 0x7f800001
	s_and_saveexec_b64 s[36:37], s[8:9]
	s_cbranch_execz .LBB384_360
; %bb.359:                              ;   in Loop: Header=BB384_13 Depth=1
	v_and_b32_e32 v0, 7, v60
	v_ffbh_u32_e32 v4, v0
	v_min_u32_e32 v10, 32, v4
	v_subrev_u32_e32 v4, 28, v10
	v_lshlrev_b64 v[4:5], v4, v[60:61]
	v_lshrrev_b32_e32 v3, 3, v1
	v_sub_u32_e32 v5, 29, v10
	v_and_b32_e32 v4, 7, v4
	v_cmp_gt_u32_e64 s[8:9], 8, v1
	v_cndmask_b32_e64 v1, v3, v5, s[8:9]
	v_cndmask_b32_e64 v0, v0, v4, s[8:9]
	v_lshlrev_b32_e32 v3, 24, v60
	v_bfrev_b32_e32 v2, 60
	v_lshlrev_b32_e32 v0, 20, v0
	v_and_b32_e32 v3, 0x80000000, v3
	v_lshl_add_u32 v1, v1, 23, v2
	v_or3_b32 v0, v3, v1, v0
.LBB384_360:                            ;   in Loop: Header=BB384_13 Depth=1
	s_or_b64 exec, exec, s[36:37]
.LBB384_361:                            ;   in Loop: Header=BB384_13 Depth=1
	s_or_b64 exec, exec, s[34:35]
.LBB384_362:                            ;   in Loop: Header=BB384_13 Depth=1
	s_or_b64 exec, exec, s[30:31]
	v_mul_f32_e32 v0, v14, v0
	v_and_b32_e32 v1, 0x7f800000, v0
	v_cmp_ne_u32_e64 s[8:9], s41, v1
                                        ; implicit-def: $agpr4
	s_and_saveexec_b64 s[30:31], s[8:9]
	s_xor_b64 s[8:9], exec, s[30:31]
; %bb.363:                              ;   in Loop: Header=BB384_13 Depth=1
	v_bfe_u32 v1, v0, 16, 1
	v_add3_u32 v0, v0, v1, s42
	v_accvgpr_write_b32 a4, v0
                                        ; implicit-def: $vgpr0
; %bb.364:                              ;   in Loop: Header=BB384_13 Depth=1
	s_andn2_saveexec_b64 s[30:31], s[8:9]
; %bb.365:                              ;   in Loop: Header=BB384_13 Depth=1
	v_or_b32_e32 v1, 0x10000, v0
	v_cmp_eq_u32_sdwa s[8:9], v0, v27 src0_sel:WORD_0 src1_sel:DWORD
	v_cndmask_b32_e64 v0, v1, v0, s[8:9]
	v_accvgpr_write_b32 a4, v0
; %bb.366:                              ;   in Loop: Header=BB384_13 Depth=1
	s_or_b64 exec, exec, s[30:31]
	v_cmp_lt_u32_e64 s[8:9], s43, v58
	v_mov_b32_e32 v0, 0
	s_and_saveexec_b64 s[30:31], s[8:9]
	s_cbranch_execz .LBB384_372
; %bb.367:                              ;   in Loop: Header=BB384_13 Depth=1
	v_lshrrev_b32_e32 v60, 24, v58
	v_cmp_ne_u32_e64 s[8:9], s39, v60
	v_bfrev_b32_e32 v0, 1
	s_and_saveexec_b64 s[34:35], s[8:9]
	s_cbranch_execz .LBB384_371
; %bb.368:                              ;   in Loop: Header=BB384_13 Depth=1
	v_bfe_u32 v1, v58, 24, 7
	v_cmp_ne_u32_e64 s[8:9], s40, v1
	v_mov_b32_e32 v0, 0x7f800001
	s_and_saveexec_b64 s[36:37], s[8:9]
	s_cbranch_execz .LBB384_370
; %bb.369:                              ;   in Loop: Header=BB384_13 Depth=1
	v_and_b32_e32 v0, 7, v60
	v_ffbh_u32_e32 v4, v0
	v_min_u32_e32 v10, 32, v4
	v_subrev_u32_e32 v4, 28, v10
	v_lshlrev_b64 v[4:5], v4, v[60:61]
	v_lshrrev_b32_e32 v3, 3, v1
	v_sub_u32_e32 v5, 29, v10
	v_and_b32_e32 v4, 7, v4
	v_cmp_gt_u32_e64 s[8:9], 8, v1
	v_cndmask_b32_e64 v1, v3, v5, s[8:9]
	v_cndmask_b32_e64 v0, v0, v4, s[8:9]
	v_lshlrev_b32_e32 v3, 24, v60
	v_bfrev_b32_e32 v2, 60
	v_lshlrev_b32_e32 v0, 20, v0
	v_and_b32_e32 v3, 0x80000000, v3
	v_lshl_add_u32 v1, v1, 23, v2
	v_or3_b32 v0, v3, v1, v0
.LBB384_370:                            ;   in Loop: Header=BB384_13 Depth=1
	s_or_b64 exec, exec, s[36:37]
.LBB384_371:                            ;   in Loop: Header=BB384_13 Depth=1
	s_or_b64 exec, exec, s[34:35]
.LBB384_372:                            ;   in Loop: Header=BB384_13 Depth=1
	s_or_b64 exec, exec, s[30:31]
	v_mul_f32_e32 v0, v14, v0
	v_and_b32_e32 v1, 0x7f800000, v0
	v_cmp_ne_u32_e64 s[8:9], s41, v1
                                        ; implicit-def: $agpr5
	s_and_saveexec_b64 s[30:31], s[8:9]
	s_xor_b64 s[8:9], exec, s[30:31]
; %bb.373:                              ;   in Loop: Header=BB384_13 Depth=1
	v_bfe_u32 v1, v0, 16, 1
	v_add3_u32 v0, v0, v1, s42
	v_accvgpr_write_b32 a5, v0
                                        ; implicit-def: $vgpr0
; %bb.374:                              ;   in Loop: Header=BB384_13 Depth=1
	s_andn2_saveexec_b64 s[30:31], s[8:9]
; %bb.375:                              ;   in Loop: Header=BB384_13 Depth=1
	v_or_b32_e32 v1, 0x10000, v0
	v_cmp_eq_u32_sdwa s[8:9], v0, v27 src0_sel:WORD_0 src1_sel:DWORD
	v_cndmask_b32_e64 v0, v1, v0, s[8:9]
	v_accvgpr_write_b32 a5, v0
; %bb.376:                              ;   in Loop: Header=BB384_13 Depth=1
	s_or_b64 exec, exec, s[30:31]
	flat_load_dword v58, v[56:57] offset:2056
	v_mov_b32_e32 v0, 0
	s_waitcnt vmcnt(0) lgkmcnt(0)
	v_cmp_ne_u16_sdwa s[8:9], v58, v27 src0_sel:BYTE_0 src1_sel:DWORD
	s_and_saveexec_b64 s[30:31], s[8:9]
	s_cbranch_execz .LBB384_382
; %bb.377:                              ;   in Loop: Header=BB384_13 Depth=1
	v_cmp_ne_u16_sdwa s[8:9], v58, s39 src0_sel:BYTE_0 src1_sel:DWORD
	v_bfrev_b32_e32 v0, 1
	s_and_saveexec_b64 s[34:35], s[8:9]
	s_cbranch_execz .LBB384_381
; %bb.378:                              ;   in Loop: Header=BB384_13 Depth=1
	v_and_b32_e32 v1, 0x7f, v58
	v_cmp_ne_u32_e64 s[8:9], s40, v1
	v_mov_b32_e32 v0, 0x7f800001
	s_and_saveexec_b64 s[36:37], s[8:9]
	s_cbranch_execz .LBB384_380
; %bb.379:                              ;   in Loop: Header=BB384_13 Depth=1
	v_and_b32_e32 v3, 7, v58
	v_ffbh_u32_e32 v0, v3
	v_min_u32_e32 v5, 32, v0
	v_subrev_u32_e32 v0, 28, v5
	v_lshrrev_b32_e32 v4, 3, v1
	v_cmp_gt_u32_e64 s[8:9], 8, v1
	v_lshlrev_b64 v[0:1], v0, v[58:59]
	v_sub_u32_e32 v1, 29, v5
	v_and_b32_e32 v0, 7, v0
	v_cndmask_b32_e64 v1, v4, v1, s[8:9]
	v_cndmask_b32_e64 v0, v3, v0, s[8:9]
	v_lshlrev_b32_e32 v3, 24, v58
	v_bfrev_b32_e32 v2, 60
	v_lshlrev_b32_e32 v0, 20, v0
	v_and_b32_e32 v3, 0x80000000, v3
	v_lshl_add_u32 v1, v1, 23, v2
	v_or3_b32 v0, v3, v1, v0
.LBB384_380:                            ;   in Loop: Header=BB384_13 Depth=1
	s_or_b64 exec, exec, s[36:37]
.LBB384_381:                            ;   in Loop: Header=BB384_13 Depth=1
	s_or_b64 exec, exec, s[34:35]
.LBB384_382:                            ;   in Loop: Header=BB384_13 Depth=1
	s_or_b64 exec, exec, s[30:31]
	v_mul_f32_e32 v0, v14, v0
	v_and_b32_e32 v1, 0x7f800000, v0
	v_cmp_ne_u32_e64 s[8:9], s41, v1
                                        ; implicit-def: $agpr47
	s_and_saveexec_b64 s[30:31], s[8:9]
	s_xor_b64 s[8:9], exec, s[30:31]
; %bb.383:                              ;   in Loop: Header=BB384_13 Depth=1
	v_bfe_u32 v1, v0, 16, 1
	v_add3_u32 v0, v0, v1, s42
	v_accvgpr_write_b32 a47, v0
                                        ; implicit-def: $vgpr0
; %bb.384:                              ;   in Loop: Header=BB384_13 Depth=1
	s_andn2_saveexec_b64 s[30:31], s[8:9]
; %bb.385:                              ;   in Loop: Header=BB384_13 Depth=1
	v_or_b32_e32 v1, 0x10000, v0
	v_cmp_eq_u32_sdwa s[8:9], v0, v27 src0_sel:WORD_0 src1_sel:DWORD
	v_cndmask_b32_e64 v0, v1, v0, s[8:9]
	v_accvgpr_write_b32 a47, v0
; %bb.386:                              ;   in Loop: Header=BB384_13 Depth=1
	s_or_b64 exec, exec, s[30:31]
	v_lshrrev_b16_e32 v60, 8, v58
	v_cmp_ne_u16_e64 s[8:9], 0, v60
	v_mov_b32_e32 v0, 0
	s_and_saveexec_b64 s[30:31], s[8:9]
	s_cbranch_execz .LBB384_392
; %bb.387:                              ;   in Loop: Header=BB384_13 Depth=1
	v_cmp_ne_u16_e64 s[8:9], s39, v60
	v_bfrev_b32_e32 v0, 1
	s_and_saveexec_b64 s[34:35], s[8:9]
	s_cbranch_execz .LBB384_391
; %bb.388:                              ;   in Loop: Header=BB384_13 Depth=1
	v_and_b32_e32 v1, 0x7f, v60
	v_cmp_ne_u32_e64 s[8:9], s40, v1
	v_mov_b32_e32 v0, 0x7f800001
	s_and_saveexec_b64 s[36:37], s[8:9]
	s_cbranch_execz .LBB384_390
; %bb.389:                              ;   in Loop: Header=BB384_13 Depth=1
	v_and_b32_e32 v3, 7, v60
	v_ffbh_u32_e32 v0, v3
	v_min_u32_e32 v5, 32, v0
	v_subrev_u32_e32 v0, 28, v5
	v_lshrrev_b32_e32 v4, 3, v1
	v_cmp_gt_u32_e64 s[8:9], 8, v1
	v_lshlrev_b64 v[0:1], v0, v[60:61]
	v_sub_u32_e32 v1, 29, v5
	v_and_b32_e32 v0, 7, v0
	v_cndmask_b32_e64 v1, v4, v1, s[8:9]
	v_cndmask_b32_e64 v0, v3, v0, s[8:9]
	v_lshlrev_b32_e32 v3, 16, v58
	v_bfrev_b32_e32 v2, 60
	v_lshlrev_b32_e32 v0, 20, v0
	v_and_b32_e32 v3, 0x80000000, v3
	v_lshl_add_u32 v1, v1, 23, v2
	v_or3_b32 v0, v3, v1, v0
.LBB384_390:                            ;   in Loop: Header=BB384_13 Depth=1
	s_or_b64 exec, exec, s[36:37]
.LBB384_391:                            ;   in Loop: Header=BB384_13 Depth=1
	s_or_b64 exec, exec, s[34:35]
.LBB384_392:                            ;   in Loop: Header=BB384_13 Depth=1
	s_or_b64 exec, exec, s[30:31]
	v_mul_f32_e32 v0, v14, v0
	v_and_b32_e32 v1, 0x7f800000, v0
	v_cmp_ne_u32_e64 s[8:9], s41, v1
                                        ; implicit-def: $agpr33
	s_and_saveexec_b64 s[30:31], s[8:9]
	s_xor_b64 s[8:9], exec, s[30:31]
; %bb.393:                              ;   in Loop: Header=BB384_13 Depth=1
	v_bfe_u32 v1, v0, 16, 1
	v_add3_u32 v0, v0, v1, s42
	v_accvgpr_write_b32 a33, v0
                                        ; implicit-def: $vgpr0
; %bb.394:                              ;   in Loop: Header=BB384_13 Depth=1
	s_andn2_saveexec_b64 s[30:31], s[8:9]
; %bb.395:                              ;   in Loop: Header=BB384_13 Depth=1
	v_or_b32_e32 v1, 0x10000, v0
	v_cmp_eq_u32_sdwa s[8:9], v0, v27 src0_sel:WORD_0 src1_sel:DWORD
	v_cndmask_b32_e64 v0, v1, v0, s[8:9]
	v_accvgpr_write_b32 a33, v0
; %bb.396:                              ;   in Loop: Header=BB384_13 Depth=1
	s_or_b64 exec, exec, s[30:31]
	v_lshrrev_b32_e32 v60, 16, v58
	v_cmp_ne_u16_sdwa s[8:9], v60, v27 src0_sel:BYTE_0 src1_sel:DWORD
	v_mov_b32_e32 v0, 0
	s_and_saveexec_b64 s[30:31], s[8:9]
	s_cbranch_execz .LBB384_402
; %bb.397:                              ;   in Loop: Header=BB384_13 Depth=1
	v_cmp_ne_u16_sdwa s[8:9], v60, s39 src0_sel:BYTE_0 src1_sel:DWORD
	v_bfrev_b32_e32 v0, 1
	s_and_saveexec_b64 s[34:35], s[8:9]
	s_cbranch_execz .LBB384_401
; %bb.398:                              ;   in Loop: Header=BB384_13 Depth=1
	v_bfe_u32 v1, v58, 16, 7
	v_cmp_ne_u32_e64 s[8:9], s40, v1
	v_mov_b32_e32 v0, 0x7f800001
	s_and_saveexec_b64 s[36:37], s[8:9]
	s_cbranch_execz .LBB384_400
; %bb.399:                              ;   in Loop: Header=BB384_13 Depth=1
	v_and_b32_e32 v3, 7, v60
	v_ffbh_u32_e32 v0, v3
	v_min_u32_e32 v5, 32, v0
	v_subrev_u32_e32 v0, 28, v5
	v_lshrrev_b32_e32 v4, 3, v1
	v_cmp_gt_u32_e64 s[8:9], 8, v1
	v_lshlrev_b64 v[0:1], v0, v[60:61]
	v_sub_u32_e32 v1, 29, v5
	v_and_b32_e32 v0, 7, v0
	v_cndmask_b32_e64 v1, v4, v1, s[8:9]
	v_cndmask_b32_e64 v0, v3, v0, s[8:9]
	v_lshlrev_b32_e32 v3, 24, v60
	v_bfrev_b32_e32 v2, 60
	v_lshlrev_b32_e32 v0, 20, v0
	v_and_b32_e32 v3, 0x80000000, v3
	v_lshl_add_u32 v1, v1, 23, v2
	v_or3_b32 v0, v3, v1, v0
.LBB384_400:                            ;   in Loop: Header=BB384_13 Depth=1
	s_or_b64 exec, exec, s[36:37]
.LBB384_401:                            ;   in Loop: Header=BB384_13 Depth=1
	s_or_b64 exec, exec, s[34:35]
.LBB384_402:                            ;   in Loop: Header=BB384_13 Depth=1
	s_or_b64 exec, exec, s[30:31]
	v_mul_f32_e32 v0, v14, v0
	v_and_b32_e32 v1, 0x7f800000, v0
	v_cmp_ne_u32_e64 s[8:9], s41, v1
                                        ; implicit-def: $agpr8
	s_and_saveexec_b64 s[30:31], s[8:9]
	s_xor_b64 s[8:9], exec, s[30:31]
; %bb.403:                              ;   in Loop: Header=BB384_13 Depth=1
	v_bfe_u32 v1, v0, 16, 1
	v_add3_u32 v0, v0, v1, s42
	v_accvgpr_write_b32 a8, v0
                                        ; implicit-def: $vgpr0
; %bb.404:                              ;   in Loop: Header=BB384_13 Depth=1
	s_andn2_saveexec_b64 s[30:31], s[8:9]
; %bb.405:                              ;   in Loop: Header=BB384_13 Depth=1
	v_or_b32_e32 v1, 0x10000, v0
	v_cmp_eq_u32_sdwa s[8:9], v0, v27 src0_sel:WORD_0 src1_sel:DWORD
	v_cndmask_b32_e64 v0, v1, v0, s[8:9]
	v_accvgpr_write_b32 a8, v0
; %bb.406:                              ;   in Loop: Header=BB384_13 Depth=1
	s_or_b64 exec, exec, s[30:31]
	v_cmp_lt_u32_e64 s[8:9], s43, v58
	v_mov_b32_e32 v0, 0
	s_and_saveexec_b64 s[30:31], s[8:9]
	s_cbranch_execz .LBB384_412
; %bb.407:                              ;   in Loop: Header=BB384_13 Depth=1
	v_lshrrev_b32_e32 v60, 24, v58
	v_cmp_ne_u32_e64 s[8:9], s39, v60
	v_bfrev_b32_e32 v0, 1
	s_and_saveexec_b64 s[34:35], s[8:9]
	s_cbranch_execz .LBB384_411
; %bb.408:                              ;   in Loop: Header=BB384_13 Depth=1
	v_bfe_u32 v1, v58, 24, 7
	v_cmp_ne_u32_e64 s[8:9], s40, v1
	v_mov_b32_e32 v0, 0x7f800001
	s_and_saveexec_b64 s[36:37], s[8:9]
	s_cbranch_execz .LBB384_410
; %bb.409:                              ;   in Loop: Header=BB384_13 Depth=1
	v_and_b32_e32 v3, 7, v60
	v_ffbh_u32_e32 v0, v3
	v_min_u32_e32 v5, 32, v0
	v_subrev_u32_e32 v0, 28, v5
	v_lshrrev_b32_e32 v4, 3, v1
	v_cmp_gt_u32_e64 s[8:9], 8, v1
	v_lshlrev_b64 v[0:1], v0, v[60:61]
	v_sub_u32_e32 v1, 29, v5
	v_and_b32_e32 v0, 7, v0
	v_cndmask_b32_e64 v1, v4, v1, s[8:9]
	v_cndmask_b32_e64 v0, v3, v0, s[8:9]
	v_lshlrev_b32_e32 v3, 24, v60
	v_bfrev_b32_e32 v2, 60
	v_lshlrev_b32_e32 v0, 20, v0
	v_and_b32_e32 v3, 0x80000000, v3
	v_lshl_add_u32 v1, v1, 23, v2
	v_or3_b32 v0, v3, v1, v0
.LBB384_410:                            ;   in Loop: Header=BB384_13 Depth=1
	s_or_b64 exec, exec, s[36:37]
.LBB384_411:                            ;   in Loop: Header=BB384_13 Depth=1
	s_or_b64 exec, exec, s[34:35]
.LBB384_412:                            ;   in Loop: Header=BB384_13 Depth=1
	s_or_b64 exec, exec, s[30:31]
	v_mul_f32_e32 v0, v14, v0
	v_and_b32_e32 v1, 0x7f800000, v0
	v_cmp_ne_u32_e64 s[8:9], s41, v1
                                        ; implicit-def: $agpr14
	s_and_saveexec_b64 s[30:31], s[8:9]
	s_xor_b64 s[8:9], exec, s[30:31]
; %bb.413:                              ;   in Loop: Header=BB384_13 Depth=1
	v_bfe_u32 v1, v0, 16, 1
	v_add3_u32 v0, v0, v1, s42
	v_accvgpr_write_b32 a14, v0
                                        ; implicit-def: $vgpr0
; %bb.414:                              ;   in Loop: Header=BB384_13 Depth=1
	s_andn2_saveexec_b64 s[30:31], s[8:9]
; %bb.415:                              ;   in Loop: Header=BB384_13 Depth=1
	v_or_b32_e32 v1, 0x10000, v0
	v_cmp_eq_u32_sdwa s[8:9], v0, v27 src0_sel:WORD_0 src1_sel:DWORD
	v_cndmask_b32_e64 v0, v1, v0, s[8:9]
	v_accvgpr_write_b32 a14, v0
; %bb.416:                              ;   in Loop: Header=BB384_13 Depth=1
	s_or_b64 exec, exec, s[30:31]
	flat_load_dword v58, v[56:57] offset:2560
	v_mov_b32_e32 v0, 0
	s_waitcnt vmcnt(0) lgkmcnt(0)
	v_cmp_ne_u16_sdwa s[8:9], v58, v27 src0_sel:BYTE_0 src1_sel:DWORD
	s_and_saveexec_b64 s[30:31], s[8:9]
	s_cbranch_execz .LBB384_422
; %bb.417:                              ;   in Loop: Header=BB384_13 Depth=1
	v_cmp_ne_u16_sdwa s[8:9], v58, s39 src0_sel:BYTE_0 src1_sel:DWORD
	v_bfrev_b32_e32 v0, 1
	s_and_saveexec_b64 s[34:35], s[8:9]
	s_cbranch_execz .LBB384_421
; %bb.418:                              ;   in Loop: Header=BB384_13 Depth=1
	v_and_b32_e32 v1, 0x7f, v58
	v_cmp_ne_u32_e64 s[8:9], s40, v1
	v_mov_b32_e32 v0, 0x7f800001
	s_and_saveexec_b64 s[36:37], s[8:9]
	s_cbranch_execz .LBB384_420
; %bb.419:                              ;   in Loop: Header=BB384_13 Depth=1
	v_and_b32_e32 v3, 7, v58
	v_ffbh_u32_e32 v0, v3
	v_min_u32_e32 v5, 32, v0
	v_subrev_u32_e32 v0, 28, v5
	v_lshrrev_b32_e32 v4, 3, v1
	v_cmp_gt_u32_e64 s[8:9], 8, v1
	v_lshlrev_b64 v[0:1], v0, v[58:59]
	v_sub_u32_e32 v1, 29, v5
	v_and_b32_e32 v0, 7, v0
	v_cndmask_b32_e64 v1, v4, v1, s[8:9]
	v_cndmask_b32_e64 v0, v3, v0, s[8:9]
	v_lshlrev_b32_e32 v3, 24, v58
	v_bfrev_b32_e32 v2, 60
	v_lshlrev_b32_e32 v0, 20, v0
	v_and_b32_e32 v3, 0x80000000, v3
	v_lshl_add_u32 v1, v1, 23, v2
	v_or3_b32 v0, v3, v1, v0
.LBB384_420:                            ;   in Loop: Header=BB384_13 Depth=1
	s_or_b64 exec, exec, s[36:37]
.LBB384_421:                            ;   in Loop: Header=BB384_13 Depth=1
	s_or_b64 exec, exec, s[34:35]
.LBB384_422:                            ;   in Loop: Header=BB384_13 Depth=1
	s_or_b64 exec, exec, s[30:31]
	v_mul_f32_e32 v0, v14, v0
	v_and_b32_e32 v1, 0x7f800000, v0
	v_cmp_ne_u32_e64 s[8:9], s41, v1
                                        ; implicit-def: $agpr7
	s_and_saveexec_b64 s[30:31], s[8:9]
	s_xor_b64 s[8:9], exec, s[30:31]
; %bb.423:                              ;   in Loop: Header=BB384_13 Depth=1
	v_bfe_u32 v1, v0, 16, 1
	v_add3_u32 v0, v0, v1, s42
	v_accvgpr_write_b32 a7, v0
                                        ; implicit-def: $vgpr0
; %bb.424:                              ;   in Loop: Header=BB384_13 Depth=1
	s_andn2_saveexec_b64 s[30:31], s[8:9]
; %bb.425:                              ;   in Loop: Header=BB384_13 Depth=1
	v_or_b32_e32 v1, 0x10000, v0
	v_cmp_eq_u32_sdwa s[8:9], v0, v27 src0_sel:WORD_0 src1_sel:DWORD
	v_cndmask_b32_e64 v0, v1, v0, s[8:9]
	v_accvgpr_write_b32 a7, v0
; %bb.426:                              ;   in Loop: Header=BB384_13 Depth=1
	s_or_b64 exec, exec, s[30:31]
	v_lshrrev_b16_e32 v60, 8, v58
	v_cmp_ne_u16_e64 s[8:9], 0, v60
	v_mov_b32_e32 v0, 0
	s_and_saveexec_b64 s[30:31], s[8:9]
	s_cbranch_execz .LBB384_432
; %bb.427:                              ;   in Loop: Header=BB384_13 Depth=1
	v_cmp_ne_u16_e64 s[8:9], s39, v60
	v_bfrev_b32_e32 v0, 1
	s_and_saveexec_b64 s[34:35], s[8:9]
	s_cbranch_execz .LBB384_431
; %bb.428:                              ;   in Loop: Header=BB384_13 Depth=1
	v_and_b32_e32 v1, 0x7f, v60
	v_cmp_ne_u32_e64 s[8:9], s40, v1
	v_mov_b32_e32 v0, 0x7f800001
	s_and_saveexec_b64 s[36:37], s[8:9]
	s_cbranch_execz .LBB384_430
; %bb.429:                              ;   in Loop: Header=BB384_13 Depth=1
	v_and_b32_e32 v3, 7, v60
	v_ffbh_u32_e32 v0, v3
	v_min_u32_e32 v5, 32, v0
	v_subrev_u32_e32 v0, 28, v5
	v_lshrrev_b32_e32 v4, 3, v1
	v_cmp_gt_u32_e64 s[8:9], 8, v1
	v_lshlrev_b64 v[0:1], v0, v[60:61]
	v_sub_u32_e32 v1, 29, v5
	v_and_b32_e32 v0, 7, v0
	v_cndmask_b32_e64 v1, v4, v1, s[8:9]
	v_cndmask_b32_e64 v0, v3, v0, s[8:9]
	v_lshlrev_b32_e32 v3, 16, v58
	v_bfrev_b32_e32 v2, 60
	v_lshlrev_b32_e32 v0, 20, v0
	v_and_b32_e32 v3, 0x80000000, v3
	v_lshl_add_u32 v1, v1, 23, v2
	v_or3_b32 v0, v3, v1, v0
.LBB384_430:                            ;   in Loop: Header=BB384_13 Depth=1
	s_or_b64 exec, exec, s[36:37]
.LBB384_431:                            ;   in Loop: Header=BB384_13 Depth=1
	s_or_b64 exec, exec, s[34:35]
.LBB384_432:                            ;   in Loop: Header=BB384_13 Depth=1
	s_or_b64 exec, exec, s[30:31]
	v_mul_f32_e32 v0, v14, v0
	v_and_b32_e32 v1, 0x7f800000, v0
	v_cmp_ne_u32_e64 s[8:9], s41, v1
                                        ; implicit-def: $agpr9
	s_and_saveexec_b64 s[30:31], s[8:9]
	s_xor_b64 s[8:9], exec, s[30:31]
; %bb.433:                              ;   in Loop: Header=BB384_13 Depth=1
	v_bfe_u32 v1, v0, 16, 1
	v_add3_u32 v0, v0, v1, s42
	v_accvgpr_write_b32 a9, v0
                                        ; implicit-def: $vgpr0
; %bb.434:                              ;   in Loop: Header=BB384_13 Depth=1
	s_andn2_saveexec_b64 s[30:31], s[8:9]
; %bb.435:                              ;   in Loop: Header=BB384_13 Depth=1
	v_or_b32_e32 v1, 0x10000, v0
	v_cmp_eq_u32_sdwa s[8:9], v0, v27 src0_sel:WORD_0 src1_sel:DWORD
	v_cndmask_b32_e64 v0, v1, v0, s[8:9]
	v_accvgpr_write_b32 a9, v0
; %bb.436:                              ;   in Loop: Header=BB384_13 Depth=1
	s_or_b64 exec, exec, s[30:31]
	v_lshrrev_b32_e32 v60, 16, v58
	v_cmp_ne_u16_sdwa s[8:9], v60, v27 src0_sel:BYTE_0 src1_sel:DWORD
	v_mov_b32_e32 v0, 0
	s_and_saveexec_b64 s[30:31], s[8:9]
	s_cbranch_execz .LBB384_442
; %bb.437:                              ;   in Loop: Header=BB384_13 Depth=1
	v_cmp_ne_u16_sdwa s[8:9], v60, s39 src0_sel:BYTE_0 src1_sel:DWORD
	v_bfrev_b32_e32 v0, 1
	s_and_saveexec_b64 s[34:35], s[8:9]
	s_cbranch_execz .LBB384_441
; %bb.438:                              ;   in Loop: Header=BB384_13 Depth=1
	v_bfe_u32 v1, v58, 16, 7
	v_cmp_ne_u32_e64 s[8:9], s40, v1
	v_mov_b32_e32 v0, 0x7f800001
	s_and_saveexec_b64 s[36:37], s[8:9]
	s_cbranch_execz .LBB384_440
; %bb.439:                              ;   in Loop: Header=BB384_13 Depth=1
	v_and_b32_e32 v3, 7, v60
	v_ffbh_u32_e32 v0, v3
	v_min_u32_e32 v5, 32, v0
	v_subrev_u32_e32 v0, 28, v5
	v_lshrrev_b32_e32 v4, 3, v1
	v_cmp_gt_u32_e64 s[8:9], 8, v1
	v_lshlrev_b64 v[0:1], v0, v[60:61]
	v_sub_u32_e32 v1, 29, v5
	v_and_b32_e32 v0, 7, v0
	v_cndmask_b32_e64 v1, v4, v1, s[8:9]
	v_cndmask_b32_e64 v0, v3, v0, s[8:9]
	v_lshlrev_b32_e32 v3, 24, v60
	v_bfrev_b32_e32 v2, 60
	v_lshlrev_b32_e32 v0, 20, v0
	v_and_b32_e32 v3, 0x80000000, v3
	v_lshl_add_u32 v1, v1, 23, v2
	v_or3_b32 v0, v3, v1, v0
.LBB384_440:                            ;   in Loop: Header=BB384_13 Depth=1
	s_or_b64 exec, exec, s[36:37]
.LBB384_441:                            ;   in Loop: Header=BB384_13 Depth=1
	s_or_b64 exec, exec, s[34:35]
.LBB384_442:                            ;   in Loop: Header=BB384_13 Depth=1
	s_or_b64 exec, exec, s[30:31]
	v_mul_f32_e32 v0, v14, v0
	v_and_b32_e32 v1, 0x7f800000, v0
	v_cmp_ne_u32_e64 s[8:9], s41, v1
                                        ; implicit-def: $agpr11
	s_and_saveexec_b64 s[30:31], s[8:9]
	s_xor_b64 s[8:9], exec, s[30:31]
; %bb.443:                              ;   in Loop: Header=BB384_13 Depth=1
	v_bfe_u32 v1, v0, 16, 1
	v_add3_u32 v0, v0, v1, s42
	v_accvgpr_write_b32 a11, v0
                                        ; implicit-def: $vgpr0
; %bb.444:                              ;   in Loop: Header=BB384_13 Depth=1
	s_andn2_saveexec_b64 s[30:31], s[8:9]
; %bb.445:                              ;   in Loop: Header=BB384_13 Depth=1
	v_or_b32_e32 v1, 0x10000, v0
	v_cmp_eq_u32_sdwa s[8:9], v0, v27 src0_sel:WORD_0 src1_sel:DWORD
	v_cndmask_b32_e64 v0, v1, v0, s[8:9]
	v_accvgpr_write_b32 a11, v0
; %bb.446:                              ;   in Loop: Header=BB384_13 Depth=1
	s_or_b64 exec, exec, s[30:31]
	v_cmp_lt_u32_e64 s[8:9], s43, v58
	v_mov_b32_e32 v0, 0
	s_and_saveexec_b64 s[30:31], s[8:9]
	s_cbranch_execz .LBB384_452
; %bb.447:                              ;   in Loop: Header=BB384_13 Depth=1
	v_lshrrev_b32_e32 v60, 24, v58
	v_cmp_ne_u32_e64 s[8:9], s39, v60
	v_bfrev_b32_e32 v0, 1
	s_and_saveexec_b64 s[34:35], s[8:9]
	s_cbranch_execz .LBB384_451
; %bb.448:                              ;   in Loop: Header=BB384_13 Depth=1
	v_bfe_u32 v3, v58, 24, 7
	v_cmp_ne_u32_e64 s[8:9], s40, v3
	v_mov_b32_e32 v0, 0x7f800001
	s_and_saveexec_b64 s[36:37], s[8:9]
	s_cbranch_execz .LBB384_450
; %bb.449:                              ;   in Loop: Header=BB384_13 Depth=1
	v_and_b32_e32 v0, 7, v60
	v_lshrrev_b32_e32 v10, 3, v3
	v_cmp_gt_u32_e64 s[8:9], 8, v3
	v_ffbh_u32_e32 v3, v0
	v_min_u32_e32 v3, 32, v3
	v_subrev_u32_e32 v4, 28, v3
	v_lshlrev_b64 v[4:5], v4, v[60:61]
	v_sub_u32_e32 v3, 29, v3
	v_and_b32_e32 v4, 7, v4
	v_cndmask_b32_e64 v3, v10, v3, s[8:9]
	v_cndmask_b32_e64 v0, v0, v4, s[8:9]
	v_lshlrev_b32_e32 v4, 24, v60
	v_bfrev_b32_e32 v1, 60
	v_lshlrev_b32_e32 v0, 20, v0
	v_and_b32_e32 v4, 0x80000000, v4
	v_lshl_add_u32 v3, v3, 23, v1
	v_or3_b32 v0, v4, v3, v0
.LBB384_450:                            ;   in Loop: Header=BB384_13 Depth=1
	s_or_b64 exec, exec, s[36:37]
.LBB384_451:                            ;   in Loop: Header=BB384_13 Depth=1
	s_or_b64 exec, exec, s[34:35]
.LBB384_452:                            ;   in Loop: Header=BB384_13 Depth=1
	s_or_b64 exec, exec, s[30:31]
	v_mul_f32_e32 v0, v14, v0
	v_and_b32_e32 v3, 0x7f800000, v0
	v_cmp_ne_u32_e64 s[8:9], s41, v3
                                        ; implicit-def: $agpr6
	s_and_saveexec_b64 s[30:31], s[8:9]
	s_xor_b64 s[8:9], exec, s[30:31]
; %bb.453:                              ;   in Loop: Header=BB384_13 Depth=1
	v_bfe_u32 v3, v0, 16, 1
	v_add3_u32 v0, v0, v3, s42
	v_accvgpr_write_b32 a6, v0
                                        ; implicit-def: $vgpr0
; %bb.454:                              ;   in Loop: Header=BB384_13 Depth=1
	s_andn2_saveexec_b64 s[30:31], s[8:9]
; %bb.455:                              ;   in Loop: Header=BB384_13 Depth=1
	v_or_b32_e32 v3, 0x10000, v0
	v_cmp_eq_u32_sdwa s[8:9], v0, v27 src0_sel:WORD_0 src1_sel:DWORD
	v_cndmask_b32_e64 v0, v3, v0, s[8:9]
	v_accvgpr_write_b32 a6, v0
; %bb.456:                              ;   in Loop: Header=BB384_13 Depth=1
	s_or_b64 exec, exec, s[30:31]
	flat_load_dword v58, v[56:57] offset:2568
	v_mov_b32_e32 v0, 0
	s_waitcnt vmcnt(0) lgkmcnt(0)
	v_cmp_ne_u16_sdwa s[8:9], v58, v27 src0_sel:BYTE_0 src1_sel:DWORD
	s_and_saveexec_b64 s[30:31], s[8:9]
	s_cbranch_execz .LBB384_462
; %bb.457:                              ;   in Loop: Header=BB384_13 Depth=1
	v_cmp_ne_u16_sdwa s[8:9], v58, s39 src0_sel:BYTE_0 src1_sel:DWORD
	v_bfrev_b32_e32 v0, 1
	s_and_saveexec_b64 s[34:35], s[8:9]
	s_cbranch_execz .LBB384_461
; %bb.458:                              ;   in Loop: Header=BB384_13 Depth=1
	v_and_b32_e32 v3, 0x7f, v58
	v_cmp_ne_u32_e64 s[8:9], s40, v3
	v_mov_b32_e32 v0, 0x7f800001
	s_and_saveexec_b64 s[36:37], s[8:9]
	s_cbranch_execz .LBB384_460
; %bb.459:                              ;   in Loop: Header=BB384_13 Depth=1
	v_and_b32_e32 v0, 7, v58
	v_lshrrev_b32_e32 v10, 3, v3
	v_cmp_gt_u32_e64 s[8:9], 8, v3
	v_ffbh_u32_e32 v3, v0
	v_min_u32_e32 v3, 32, v3
	v_subrev_u32_e32 v4, 28, v3
	v_lshlrev_b64 v[4:5], v4, v[58:59]
	v_sub_u32_e32 v3, 29, v3
	v_and_b32_e32 v4, 7, v4
	v_cndmask_b32_e64 v3, v10, v3, s[8:9]
	v_cndmask_b32_e64 v0, v0, v4, s[8:9]
	v_lshlrev_b32_e32 v4, 24, v58
	v_bfrev_b32_e32 v1, 60
	v_lshlrev_b32_e32 v0, 20, v0
	v_and_b32_e32 v4, 0x80000000, v4
	v_lshl_add_u32 v3, v3, 23, v1
	v_or3_b32 v0, v4, v3, v0
.LBB384_460:                            ;   in Loop: Header=BB384_13 Depth=1
	s_or_b64 exec, exec, s[36:37]
.LBB384_461:                            ;   in Loop: Header=BB384_13 Depth=1
	s_or_b64 exec, exec, s[34:35]
.LBB384_462:                            ;   in Loop: Header=BB384_13 Depth=1
	s_or_b64 exec, exec, s[30:31]
	v_mul_f32_e32 v0, v14, v0
	v_and_b32_e32 v3, 0x7f800000, v0
	v_cmp_ne_u32_e64 s[8:9], s41, v3
                                        ; implicit-def: $agpr41
	s_and_saveexec_b64 s[30:31], s[8:9]
	s_xor_b64 s[8:9], exec, s[30:31]
; %bb.463:                              ;   in Loop: Header=BB384_13 Depth=1
	v_bfe_u32 v3, v0, 16, 1
	v_add3_u32 v0, v0, v3, s42
	v_accvgpr_write_b32 a41, v0
                                        ; implicit-def: $vgpr0
; %bb.464:                              ;   in Loop: Header=BB384_13 Depth=1
	s_andn2_saveexec_b64 s[30:31], s[8:9]
; %bb.465:                              ;   in Loop: Header=BB384_13 Depth=1
	v_or_b32_e32 v3, 0x10000, v0
	v_cmp_eq_u32_sdwa s[8:9], v0, v27 src0_sel:WORD_0 src1_sel:DWORD
	v_cndmask_b32_e64 v0, v3, v0, s[8:9]
	v_accvgpr_write_b32 a41, v0
; %bb.466:                              ;   in Loop: Header=BB384_13 Depth=1
	s_or_b64 exec, exec, s[30:31]
	v_lshrrev_b16_e32 v60, 8, v58
	v_cmp_ne_u16_e64 s[8:9], 0, v60
	v_mov_b32_e32 v0, 0
	s_and_saveexec_b64 s[30:31], s[8:9]
	s_cbranch_execz .LBB384_472
; %bb.467:                              ;   in Loop: Header=BB384_13 Depth=1
	v_cmp_ne_u16_e64 s[8:9], s39, v60
	v_bfrev_b32_e32 v0, 1
	s_and_saveexec_b64 s[34:35], s[8:9]
	s_cbranch_execz .LBB384_471
; %bb.468:                              ;   in Loop: Header=BB384_13 Depth=1
	v_and_b32_e32 v3, 0x7f, v60
	v_cmp_ne_u32_e64 s[8:9], s40, v3
	v_mov_b32_e32 v0, 0x7f800001
	s_and_saveexec_b64 s[36:37], s[8:9]
	s_cbranch_execz .LBB384_470
; %bb.469:                              ;   in Loop: Header=BB384_13 Depth=1
	v_and_b32_e32 v0, 7, v60
	v_lshrrev_b32_e32 v10, 3, v3
	v_cmp_gt_u32_e64 s[8:9], 8, v3
	v_ffbh_u32_e32 v3, v0
	v_min_u32_e32 v3, 32, v3
	v_subrev_u32_e32 v4, 28, v3
	v_lshlrev_b64 v[4:5], v4, v[60:61]
	v_sub_u32_e32 v3, 29, v3
	v_and_b32_e32 v4, 7, v4
	v_cndmask_b32_e64 v3, v10, v3, s[8:9]
	v_cndmask_b32_e64 v0, v0, v4, s[8:9]
	v_lshlrev_b32_e32 v4, 16, v58
	v_bfrev_b32_e32 v1, 60
	v_lshlrev_b32_e32 v0, 20, v0
	v_and_b32_e32 v4, 0x80000000, v4
	v_lshl_add_u32 v3, v3, 23, v1
	v_or3_b32 v0, v4, v3, v0
.LBB384_470:                            ;   in Loop: Header=BB384_13 Depth=1
	s_or_b64 exec, exec, s[36:37]
.LBB384_471:                            ;   in Loop: Header=BB384_13 Depth=1
	s_or_b64 exec, exec, s[34:35]
.LBB384_472:                            ;   in Loop: Header=BB384_13 Depth=1
	s_or_b64 exec, exec, s[30:31]
	v_mul_f32_e32 v0, v14, v0
	v_and_b32_e32 v3, 0x7f800000, v0
	v_cmp_ne_u32_e64 s[8:9], s41, v3
                                        ; implicit-def: $agpr38
	s_and_saveexec_b64 s[30:31], s[8:9]
	s_xor_b64 s[8:9], exec, s[30:31]
; %bb.473:                              ;   in Loop: Header=BB384_13 Depth=1
	v_bfe_u32 v3, v0, 16, 1
	v_add3_u32 v0, v0, v3, s42
	v_accvgpr_write_b32 a38, v0
                                        ; implicit-def: $vgpr0
; %bb.474:                              ;   in Loop: Header=BB384_13 Depth=1
	s_andn2_saveexec_b64 s[30:31], s[8:9]
; %bb.475:                              ;   in Loop: Header=BB384_13 Depth=1
	v_or_b32_e32 v3, 0x10000, v0
	v_cmp_eq_u32_sdwa s[8:9], v0, v27 src0_sel:WORD_0 src1_sel:DWORD
	v_cndmask_b32_e64 v0, v3, v0, s[8:9]
	v_accvgpr_write_b32 a38, v0
; %bb.476:                              ;   in Loop: Header=BB384_13 Depth=1
	s_or_b64 exec, exec, s[30:31]
	v_lshrrev_b32_e32 v60, 16, v58
	v_cmp_ne_u16_sdwa s[8:9], v60, v27 src0_sel:BYTE_0 src1_sel:DWORD
	v_mov_b32_e32 v0, 0
	s_and_saveexec_b64 s[30:31], s[8:9]
	s_cbranch_execz .LBB384_482
; %bb.477:                              ;   in Loop: Header=BB384_13 Depth=1
	v_cmp_ne_u16_sdwa s[8:9], v60, s39 src0_sel:BYTE_0 src1_sel:DWORD
	v_bfrev_b32_e32 v0, 1
	s_and_saveexec_b64 s[34:35], s[8:9]
	s_cbranch_execz .LBB384_481
; %bb.478:                              ;   in Loop: Header=BB384_13 Depth=1
	v_bfe_u32 v3, v58, 16, 7
	v_cmp_ne_u32_e64 s[8:9], s40, v3
	v_mov_b32_e32 v0, 0x7f800001
	s_and_saveexec_b64 s[36:37], s[8:9]
	s_cbranch_execz .LBB384_480
; %bb.479:                              ;   in Loop: Header=BB384_13 Depth=1
	v_and_b32_e32 v0, 7, v60
	v_lshrrev_b32_e32 v10, 3, v3
	v_cmp_gt_u32_e64 s[8:9], 8, v3
	v_ffbh_u32_e32 v3, v0
	v_min_u32_e32 v3, 32, v3
	v_subrev_u32_e32 v4, 28, v3
	v_lshlrev_b64 v[4:5], v4, v[60:61]
	v_sub_u32_e32 v3, 29, v3
	v_and_b32_e32 v4, 7, v4
	v_cndmask_b32_e64 v3, v10, v3, s[8:9]
	v_cndmask_b32_e64 v0, v0, v4, s[8:9]
	v_lshlrev_b32_e32 v4, 24, v60
	v_bfrev_b32_e32 v1, 60
	v_lshlrev_b32_e32 v0, 20, v0
	v_and_b32_e32 v4, 0x80000000, v4
	v_lshl_add_u32 v3, v3, 23, v1
	v_or3_b32 v0, v4, v3, v0
.LBB384_480:                            ;   in Loop: Header=BB384_13 Depth=1
	s_or_b64 exec, exec, s[36:37]
.LBB384_481:                            ;   in Loop: Header=BB384_13 Depth=1
	s_or_b64 exec, exec, s[34:35]
.LBB384_482:                            ;   in Loop: Header=BB384_13 Depth=1
	s_or_b64 exec, exec, s[30:31]
	v_mul_f32_e32 v0, v14, v0
	v_and_b32_e32 v3, 0x7f800000, v0
	v_cmp_ne_u32_e64 s[8:9], s41, v3
                                        ; implicit-def: $agpr39
	s_and_saveexec_b64 s[30:31], s[8:9]
	s_xor_b64 s[8:9], exec, s[30:31]
; %bb.483:                              ;   in Loop: Header=BB384_13 Depth=1
	v_bfe_u32 v3, v0, 16, 1
	v_add3_u32 v0, v0, v3, s42
	v_accvgpr_write_b32 a39, v0
                                        ; implicit-def: $vgpr0
; %bb.484:                              ;   in Loop: Header=BB384_13 Depth=1
	s_andn2_saveexec_b64 s[30:31], s[8:9]
; %bb.485:                              ;   in Loop: Header=BB384_13 Depth=1
	v_or_b32_e32 v3, 0x10000, v0
	v_cmp_eq_u32_sdwa s[8:9], v0, v27 src0_sel:WORD_0 src1_sel:DWORD
	v_cndmask_b32_e64 v0, v3, v0, s[8:9]
	v_accvgpr_write_b32 a39, v0
; %bb.486:                              ;   in Loop: Header=BB384_13 Depth=1
	s_or_b64 exec, exec, s[30:31]
	v_cmp_lt_u32_e64 s[8:9], s43, v58
	v_mov_b32_e32 v0, 0
	s_and_saveexec_b64 s[30:31], s[8:9]
	s_cbranch_execz .LBB384_492
; %bb.487:                              ;   in Loop: Header=BB384_13 Depth=1
	v_lshrrev_b32_e32 v60, 24, v58
	v_cmp_ne_u32_e64 s[8:9], s39, v60
	v_bfrev_b32_e32 v0, 1
	s_and_saveexec_b64 s[34:35], s[8:9]
	s_cbranch_execz .LBB384_491
; %bb.488:                              ;   in Loop: Header=BB384_13 Depth=1
	v_bfe_u32 v3, v58, 24, 7
	v_cmp_ne_u32_e64 s[8:9], s40, v3
	v_mov_b32_e32 v0, 0x7f800001
	s_and_saveexec_b64 s[36:37], s[8:9]
	s_cbranch_execz .LBB384_490
; %bb.489:                              ;   in Loop: Header=BB384_13 Depth=1
	v_and_b32_e32 v0, 7, v60
	v_lshrrev_b32_e32 v10, 3, v3
	v_cmp_gt_u32_e64 s[8:9], 8, v3
	v_ffbh_u32_e32 v3, v0
	v_min_u32_e32 v3, 32, v3
	v_subrev_u32_e32 v4, 28, v3
	v_lshlrev_b64 v[4:5], v4, v[60:61]
	v_sub_u32_e32 v3, 29, v3
	v_and_b32_e32 v4, 7, v4
	v_cndmask_b32_e64 v3, v10, v3, s[8:9]
	v_cndmask_b32_e64 v0, v0, v4, s[8:9]
	v_lshlrev_b32_e32 v4, 24, v60
	v_bfrev_b32_e32 v1, 60
	v_lshlrev_b32_e32 v0, 20, v0
	v_and_b32_e32 v4, 0x80000000, v4
	v_lshl_add_u32 v3, v3, 23, v1
	v_or3_b32 v0, v4, v3, v0
.LBB384_490:                            ;   in Loop: Header=BB384_13 Depth=1
	s_or_b64 exec, exec, s[36:37]
.LBB384_491:                            ;   in Loop: Header=BB384_13 Depth=1
	s_or_b64 exec, exec, s[34:35]
.LBB384_492:                            ;   in Loop: Header=BB384_13 Depth=1
	s_or_b64 exec, exec, s[30:31]
	v_mul_f32_e32 v0, v14, v0
	v_and_b32_e32 v3, 0x7f800000, v0
	v_cmp_ne_u32_e64 s[8:9], s41, v3
                                        ; implicit-def: $agpr40
	s_and_saveexec_b64 s[30:31], s[8:9]
	s_xor_b64 s[8:9], exec, s[30:31]
; %bb.493:                              ;   in Loop: Header=BB384_13 Depth=1
	v_bfe_u32 v3, v0, 16, 1
	v_add3_u32 v0, v0, v3, s42
	v_accvgpr_write_b32 a40, v0
                                        ; implicit-def: $vgpr0
; %bb.494:                              ;   in Loop: Header=BB384_13 Depth=1
	s_andn2_saveexec_b64 s[30:31], s[8:9]
; %bb.495:                              ;   in Loop: Header=BB384_13 Depth=1
	v_or_b32_e32 v3, 0x10000, v0
	v_cmp_eq_u32_sdwa s[8:9], v0, v27 src0_sel:WORD_0 src1_sel:DWORD
	v_cndmask_b32_e64 v0, v3, v0, s[8:9]
	v_accvgpr_write_b32 a40, v0
; %bb.496:                              ;   in Loop: Header=BB384_13 Depth=1
	s_or_b64 exec, exec, s[30:31]
	flat_load_dword v58, v[56:57] offset:3072
	v_mov_b32_e32 v0, 0
	s_waitcnt vmcnt(0) lgkmcnt(0)
	v_cmp_ne_u16_sdwa s[8:9], v58, v27 src0_sel:BYTE_0 src1_sel:DWORD
	s_and_saveexec_b64 s[30:31], s[8:9]
	s_cbranch_execz .LBB384_502
; %bb.497:                              ;   in Loop: Header=BB384_13 Depth=1
	v_cmp_ne_u16_sdwa s[8:9], v58, s39 src0_sel:BYTE_0 src1_sel:DWORD
	v_bfrev_b32_e32 v0, 1
	s_and_saveexec_b64 s[34:35], s[8:9]
	s_cbranch_execz .LBB384_501
; %bb.498:                              ;   in Loop: Header=BB384_13 Depth=1
	v_and_b32_e32 v3, 0x7f, v58
	v_cmp_ne_u32_e64 s[8:9], s40, v3
	v_mov_b32_e32 v0, 0x7f800001
	s_and_saveexec_b64 s[36:37], s[8:9]
	s_cbranch_execz .LBB384_500
; %bb.499:                              ;   in Loop: Header=BB384_13 Depth=1
	v_and_b32_e32 v0, 7, v58
	v_lshrrev_b32_e32 v10, 3, v3
	v_cmp_gt_u32_e64 s[8:9], 8, v3
	v_ffbh_u32_e32 v3, v0
	v_min_u32_e32 v3, 32, v3
	v_subrev_u32_e32 v4, 28, v3
	v_lshlrev_b64 v[4:5], v4, v[58:59]
	v_sub_u32_e32 v3, 29, v3
	v_and_b32_e32 v4, 7, v4
	v_cndmask_b32_e64 v3, v10, v3, s[8:9]
	v_cndmask_b32_e64 v0, v0, v4, s[8:9]
	v_lshlrev_b32_e32 v4, 24, v58
	v_bfrev_b32_e32 v1, 60
	v_lshlrev_b32_e32 v0, 20, v0
	v_and_b32_e32 v4, 0x80000000, v4
	v_lshl_add_u32 v3, v3, 23, v1
	v_or3_b32 v0, v4, v3, v0
.LBB384_500:                            ;   in Loop: Header=BB384_13 Depth=1
	s_or_b64 exec, exec, s[36:37]
.LBB384_501:                            ;   in Loop: Header=BB384_13 Depth=1
	s_or_b64 exec, exec, s[34:35]
.LBB384_502:                            ;   in Loop: Header=BB384_13 Depth=1
	s_or_b64 exec, exec, s[30:31]
	v_mul_f32_e32 v0, v14, v0
	v_and_b32_e32 v3, 0x7f800000, v0
	v_cmp_ne_u32_e64 s[8:9], s41, v3
                                        ; implicit-def: $agpr34
	s_and_saveexec_b64 s[30:31], s[8:9]
	s_xor_b64 s[8:9], exec, s[30:31]
; %bb.503:                              ;   in Loop: Header=BB384_13 Depth=1
	v_bfe_u32 v3, v0, 16, 1
	v_add3_u32 v0, v0, v3, s42
	v_accvgpr_write_b32 a34, v0
                                        ; implicit-def: $vgpr0
; %bb.504:                              ;   in Loop: Header=BB384_13 Depth=1
	s_andn2_saveexec_b64 s[30:31], s[8:9]
; %bb.505:                              ;   in Loop: Header=BB384_13 Depth=1
	v_or_b32_e32 v3, 0x10000, v0
	v_cmp_eq_u32_sdwa s[8:9], v0, v27 src0_sel:WORD_0 src1_sel:DWORD
	v_cndmask_b32_e64 v0, v3, v0, s[8:9]
	v_accvgpr_write_b32 a34, v0
; %bb.506:                              ;   in Loop: Header=BB384_13 Depth=1
	s_or_b64 exec, exec, s[30:31]
	v_lshrrev_b16_e32 v60, 8, v58
	v_cmp_ne_u16_e64 s[8:9], 0, v60
	v_mov_b32_e32 v0, 0
	s_and_saveexec_b64 s[30:31], s[8:9]
	s_cbranch_execz .LBB384_512
; %bb.507:                              ;   in Loop: Header=BB384_13 Depth=1
	v_cmp_ne_u16_e64 s[8:9], s39, v60
	v_bfrev_b32_e32 v0, 1
	s_and_saveexec_b64 s[34:35], s[8:9]
	s_cbranch_execz .LBB384_511
; %bb.508:                              ;   in Loop: Header=BB384_13 Depth=1
	v_and_b32_e32 v3, 0x7f, v60
	v_cmp_ne_u32_e64 s[8:9], s40, v3
	v_mov_b32_e32 v0, 0x7f800001
	s_and_saveexec_b64 s[36:37], s[8:9]
	s_cbranch_execz .LBB384_510
; %bb.509:                              ;   in Loop: Header=BB384_13 Depth=1
	v_and_b32_e32 v0, 7, v60
	v_lshrrev_b32_e32 v10, 3, v3
	v_cmp_gt_u32_e64 s[8:9], 8, v3
	v_ffbh_u32_e32 v3, v0
	v_min_u32_e32 v3, 32, v3
	v_subrev_u32_e32 v4, 28, v3
	v_lshlrev_b64 v[4:5], v4, v[60:61]
	v_sub_u32_e32 v3, 29, v3
	v_and_b32_e32 v4, 7, v4
	v_cndmask_b32_e64 v3, v10, v3, s[8:9]
	v_cndmask_b32_e64 v0, v0, v4, s[8:9]
	v_lshlrev_b32_e32 v4, 16, v58
	v_bfrev_b32_e32 v1, 60
	v_lshlrev_b32_e32 v0, 20, v0
	v_and_b32_e32 v4, 0x80000000, v4
	v_lshl_add_u32 v3, v3, 23, v1
	v_or3_b32 v0, v4, v3, v0
.LBB384_510:                            ;   in Loop: Header=BB384_13 Depth=1
	s_or_b64 exec, exec, s[36:37]
.LBB384_511:                            ;   in Loop: Header=BB384_13 Depth=1
	s_or_b64 exec, exec, s[34:35]
.LBB384_512:                            ;   in Loop: Header=BB384_13 Depth=1
	s_or_b64 exec, exec, s[30:31]
	v_mul_f32_e32 v0, v14, v0
	v_and_b32_e32 v3, 0x7f800000, v0
	v_cmp_ne_u32_e64 s[8:9], s41, v3
                                        ; implicit-def: $agpr35
	s_and_saveexec_b64 s[30:31], s[8:9]
	s_xor_b64 s[8:9], exec, s[30:31]
; %bb.513:                              ;   in Loop: Header=BB384_13 Depth=1
	v_bfe_u32 v3, v0, 16, 1
	v_add3_u32 v0, v0, v3, s42
	v_accvgpr_write_b32 a35, v0
                                        ; implicit-def: $vgpr0
; %bb.514:                              ;   in Loop: Header=BB384_13 Depth=1
	s_andn2_saveexec_b64 s[30:31], s[8:9]
; %bb.515:                              ;   in Loop: Header=BB384_13 Depth=1
	v_or_b32_e32 v3, 0x10000, v0
	v_cmp_eq_u32_sdwa s[8:9], v0, v27 src0_sel:WORD_0 src1_sel:DWORD
	v_cndmask_b32_e64 v0, v3, v0, s[8:9]
	v_accvgpr_write_b32 a35, v0
; %bb.516:                              ;   in Loop: Header=BB384_13 Depth=1
	s_or_b64 exec, exec, s[30:31]
	v_lshrrev_b32_e32 v60, 16, v58
	v_cmp_ne_u16_sdwa s[8:9], v60, v27 src0_sel:BYTE_0 src1_sel:DWORD
	v_mov_b32_e32 v0, 0
	s_and_saveexec_b64 s[30:31], s[8:9]
	s_cbranch_execz .LBB384_522
; %bb.517:                              ;   in Loop: Header=BB384_13 Depth=1
	v_cmp_ne_u16_sdwa s[8:9], v60, s39 src0_sel:BYTE_0 src1_sel:DWORD
	v_bfrev_b32_e32 v0, 1
	s_and_saveexec_b64 s[34:35], s[8:9]
	s_cbranch_execz .LBB384_521
; %bb.518:                              ;   in Loop: Header=BB384_13 Depth=1
	v_bfe_u32 v3, v58, 16, 7
	v_cmp_ne_u32_e64 s[8:9], s40, v3
	v_mov_b32_e32 v0, 0x7f800001
	s_and_saveexec_b64 s[36:37], s[8:9]
	s_cbranch_execz .LBB384_520
; %bb.519:                              ;   in Loop: Header=BB384_13 Depth=1
	v_and_b32_e32 v0, 7, v60
	v_lshrrev_b32_e32 v5, 3, v3
	v_cmp_gt_u32_e64 s[8:9], 8, v3
	v_ffbh_u32_e32 v3, v0
	v_min_u32_e32 v3, 32, v3
	v_subrev_u32_e32 v10, 28, v3
	v_lshlrev_b64 v[24:25], v10, v[60:61]
	v_sub_u32_e32 v3, 29, v3
	v_and_b32_e32 v10, 7, v24
	v_cndmask_b32_e64 v3, v5, v3, s[8:9]
	v_cndmask_b32_e64 v0, v0, v10, s[8:9]
	v_lshlrev_b32_e32 v5, 24, v60
	v_bfrev_b32_e32 v1, 60
	v_lshlrev_b32_e32 v0, 20, v0
	v_and_b32_e32 v5, 0x80000000, v5
	v_lshl_add_u32 v3, v3, 23, v1
	v_or3_b32 v0, v5, v3, v0
.LBB384_520:                            ;   in Loop: Header=BB384_13 Depth=1
	s_or_b64 exec, exec, s[36:37]
.LBB384_521:                            ;   in Loop: Header=BB384_13 Depth=1
	s_or_b64 exec, exec, s[34:35]
.LBB384_522:                            ;   in Loop: Header=BB384_13 Depth=1
	s_or_b64 exec, exec, s[30:31]
	v_mul_f32_e32 v0, v14, v0
	v_and_b32_e32 v3, 0x7f800000, v0
	v_cmp_ne_u32_e64 s[8:9], s41, v3
                                        ; implicit-def: $agpr10
	s_and_saveexec_b64 s[30:31], s[8:9]
	s_xor_b64 s[8:9], exec, s[30:31]
; %bb.523:                              ;   in Loop: Header=BB384_13 Depth=1
	v_bfe_u32 v3, v0, 16, 1
	v_add3_u32 v0, v0, v3, s42
	v_accvgpr_write_b32 a10, v0
                                        ; implicit-def: $vgpr0
; %bb.524:                              ;   in Loop: Header=BB384_13 Depth=1
	s_andn2_saveexec_b64 s[30:31], s[8:9]
; %bb.525:                              ;   in Loop: Header=BB384_13 Depth=1
	v_or_b32_e32 v3, 0x10000, v0
	v_cmp_eq_u32_sdwa s[8:9], v0, v27 src0_sel:WORD_0 src1_sel:DWORD
	v_cndmask_b32_e64 v0, v3, v0, s[8:9]
	v_accvgpr_write_b32 a10, v0
; %bb.526:                              ;   in Loop: Header=BB384_13 Depth=1
	s_or_b64 exec, exec, s[30:31]
	v_cmp_lt_u32_e64 s[8:9], s43, v58
	v_mov_b32_e32 v0, 0
	s_and_saveexec_b64 s[30:31], s[8:9]
	s_cbranch_execz .LBB384_532
; %bb.527:                              ;   in Loop: Header=BB384_13 Depth=1
	v_lshrrev_b32_e32 v60, 24, v58
	v_cmp_ne_u32_e64 s[8:9], s39, v60
	v_bfrev_b32_e32 v0, 1
	s_and_saveexec_b64 s[34:35], s[8:9]
	s_cbranch_execz .LBB384_531
; %bb.528:                              ;   in Loop: Header=BB384_13 Depth=1
	v_bfe_u32 v3, v58, 24, 7
	v_cmp_ne_u32_e64 s[8:9], s40, v3
	v_mov_b32_e32 v0, 0x7f800001
	s_and_saveexec_b64 s[36:37], s[8:9]
	s_cbranch_execz .LBB384_530
; %bb.529:                              ;   in Loop: Header=BB384_13 Depth=1
	v_and_b32_e32 v0, 7, v60
	v_lshrrev_b32_e32 v5, 3, v3
	v_cmp_gt_u32_e64 s[8:9], 8, v3
	v_ffbh_u32_e32 v3, v0
	v_min_u32_e32 v3, 32, v3
	v_subrev_u32_e32 v10, 28, v3
	v_lshlrev_b64 v[24:25], v10, v[60:61]
	v_sub_u32_e32 v3, 29, v3
	v_and_b32_e32 v10, 7, v24
	v_cndmask_b32_e64 v3, v5, v3, s[8:9]
	v_cndmask_b32_e64 v0, v0, v10, s[8:9]
	v_lshlrev_b32_e32 v5, 24, v60
	v_bfrev_b32_e32 v1, 60
	v_lshlrev_b32_e32 v0, 20, v0
	v_and_b32_e32 v5, 0x80000000, v5
	v_lshl_add_u32 v3, v3, 23, v1
	v_or3_b32 v0, v5, v3, v0
.LBB384_530:                            ;   in Loop: Header=BB384_13 Depth=1
	s_or_b64 exec, exec, s[36:37]
.LBB384_531:                            ;   in Loop: Header=BB384_13 Depth=1
	s_or_b64 exec, exec, s[34:35]
.LBB384_532:                            ;   in Loop: Header=BB384_13 Depth=1
	s_or_b64 exec, exec, s[30:31]
	v_mul_f32_e32 v0, v14, v0
	v_and_b32_e32 v3, 0x7f800000, v0
	v_cmp_ne_u32_e64 s[8:9], s41, v3
                                        ; implicit-def: $agpr3
	s_and_saveexec_b64 s[30:31], s[8:9]
	s_xor_b64 s[8:9], exec, s[30:31]
; %bb.533:                              ;   in Loop: Header=BB384_13 Depth=1
	v_bfe_u32 v3, v0, 16, 1
	v_add3_u32 v0, v0, v3, s42
	v_accvgpr_write_b32 a3, v0
                                        ; implicit-def: $vgpr0
; %bb.534:                              ;   in Loop: Header=BB384_13 Depth=1
	s_andn2_saveexec_b64 s[30:31], s[8:9]
; %bb.535:                              ;   in Loop: Header=BB384_13 Depth=1
	v_or_b32_e32 v3, 0x10000, v0
	v_cmp_eq_u32_sdwa s[8:9], v0, v27 src0_sel:WORD_0 src1_sel:DWORD
	v_cndmask_b32_e64 v0, v3, v0, s[8:9]
	v_accvgpr_write_b32 a3, v0
; %bb.536:                              ;   in Loop: Header=BB384_13 Depth=1
	s_or_b64 exec, exec, s[30:31]
	flat_load_dword v58, v[56:57] offset:3080
	v_mov_b32_e32 v0, 0
	s_waitcnt vmcnt(0) lgkmcnt(0)
	v_cmp_ne_u16_sdwa s[8:9], v58, v27 src0_sel:BYTE_0 src1_sel:DWORD
	s_and_saveexec_b64 s[30:31], s[8:9]
	s_cbranch_execz .LBB384_542
; %bb.537:                              ;   in Loop: Header=BB384_13 Depth=1
	v_cmp_ne_u16_sdwa s[8:9], v58, s39 src0_sel:BYTE_0 src1_sel:DWORD
	v_bfrev_b32_e32 v0, 1
	s_and_saveexec_b64 s[34:35], s[8:9]
	s_cbranch_execz .LBB384_541
; %bb.538:                              ;   in Loop: Header=BB384_13 Depth=1
	v_and_b32_e32 v3, 0x7f, v58
	v_cmp_ne_u32_e64 s[8:9], s40, v3
	v_mov_b32_e32 v0, 0x7f800001
	s_and_saveexec_b64 s[36:37], s[8:9]
	s_cbranch_execz .LBB384_540
; %bb.539:                              ;   in Loop: Header=BB384_13 Depth=1
	v_and_b32_e32 v0, 7, v58
	v_lshrrev_b32_e32 v5, 3, v3
	v_cmp_gt_u32_e64 s[8:9], 8, v3
	v_ffbh_u32_e32 v3, v0
	v_min_u32_e32 v3, 32, v3
	v_subrev_u32_e32 v10, 28, v3
	v_lshlrev_b64 v[24:25], v10, v[58:59]
	v_sub_u32_e32 v3, 29, v3
	v_and_b32_e32 v10, 7, v24
	v_cndmask_b32_e64 v3, v5, v3, s[8:9]
	v_cndmask_b32_e64 v0, v0, v10, s[8:9]
	v_lshlrev_b32_e32 v5, 24, v58
	v_bfrev_b32_e32 v1, 60
	v_lshlrev_b32_e32 v0, 20, v0
	v_and_b32_e32 v5, 0x80000000, v5
	v_lshl_add_u32 v3, v3, 23, v1
	v_or3_b32 v0, v5, v3, v0
.LBB384_540:                            ;   in Loop: Header=BB384_13 Depth=1
	s_or_b64 exec, exec, s[36:37]
.LBB384_541:                            ;   in Loop: Header=BB384_13 Depth=1
	s_or_b64 exec, exec, s[34:35]
.LBB384_542:                            ;   in Loop: Header=BB384_13 Depth=1
	s_or_b64 exec, exec, s[30:31]
	v_mul_f32_e32 v0, v14, v0
	v_and_b32_e32 v3, 0x7f800000, v0
	v_cmp_ne_u32_e64 s[8:9], s41, v3
                                        ; implicit-def: $agpr44
	s_and_saveexec_b64 s[30:31], s[8:9]
	s_xor_b64 s[8:9], exec, s[30:31]
; %bb.543:                              ;   in Loop: Header=BB384_13 Depth=1
	v_bfe_u32 v3, v0, 16, 1
	v_add3_u32 v0, v0, v3, s42
	v_accvgpr_write_b32 a44, v0
                                        ; implicit-def: $vgpr0
; %bb.544:                              ;   in Loop: Header=BB384_13 Depth=1
	s_andn2_saveexec_b64 s[30:31], s[8:9]
; %bb.545:                              ;   in Loop: Header=BB384_13 Depth=1
	v_or_b32_e32 v3, 0x10000, v0
	v_cmp_eq_u32_sdwa s[8:9], v0, v27 src0_sel:WORD_0 src1_sel:DWORD
	v_cndmask_b32_e64 v0, v3, v0, s[8:9]
	v_accvgpr_write_b32 a44, v0
; %bb.546:                              ;   in Loop: Header=BB384_13 Depth=1
	s_or_b64 exec, exec, s[30:31]
	v_lshrrev_b16_e32 v60, 8, v58
	v_cmp_ne_u16_e64 s[8:9], 0, v60
	v_mov_b32_e32 v0, 0
	s_and_saveexec_b64 s[30:31], s[8:9]
	s_cbranch_execz .LBB384_552
; %bb.547:                              ;   in Loop: Header=BB384_13 Depth=1
	v_cmp_ne_u16_e64 s[8:9], s39, v60
	v_bfrev_b32_e32 v0, 1
	s_and_saveexec_b64 s[34:35], s[8:9]
	s_cbranch_execz .LBB384_551
; %bb.548:                              ;   in Loop: Header=BB384_13 Depth=1
	v_and_b32_e32 v3, 0x7f, v60
	v_cmp_ne_u32_e64 s[8:9], s40, v3
	v_mov_b32_e32 v0, 0x7f800001
	s_and_saveexec_b64 s[36:37], s[8:9]
	s_cbranch_execz .LBB384_550
; %bb.549:                              ;   in Loop: Header=BB384_13 Depth=1
	v_and_b32_e32 v0, 7, v60
	v_lshrrev_b32_e32 v5, 3, v3
	v_cmp_gt_u32_e64 s[8:9], 8, v3
	v_ffbh_u32_e32 v3, v0
	v_min_u32_e32 v3, 32, v3
	v_subrev_u32_e32 v10, 28, v3
	v_lshlrev_b64 v[24:25], v10, v[60:61]
	v_sub_u32_e32 v3, 29, v3
	v_and_b32_e32 v10, 7, v24
	v_cndmask_b32_e64 v3, v5, v3, s[8:9]
	v_cndmask_b32_e64 v0, v0, v10, s[8:9]
	v_lshlrev_b32_e32 v5, 16, v58
	v_bfrev_b32_e32 v1, 60
	v_lshlrev_b32_e32 v0, 20, v0
	v_and_b32_e32 v5, 0x80000000, v5
	v_lshl_add_u32 v3, v3, 23, v1
	v_or3_b32 v0, v5, v3, v0
.LBB384_550:                            ;   in Loop: Header=BB384_13 Depth=1
	s_or_b64 exec, exec, s[36:37]
.LBB384_551:                            ;   in Loop: Header=BB384_13 Depth=1
	s_or_b64 exec, exec, s[34:35]
.LBB384_552:                            ;   in Loop: Header=BB384_13 Depth=1
	s_or_b64 exec, exec, s[30:31]
	v_mul_f32_e32 v3, v14, v0
	v_and_b32_e32 v0, 0x7f800000, v3
	v_cmp_ne_u32_e64 s[8:9], s41, v0
                                        ; implicit-def: $vgpr46
	s_and_saveexec_b64 s[30:31], s[8:9]
	s_xor_b64 s[8:9], exec, s[30:31]
; %bb.553:                              ;   in Loop: Header=BB384_13 Depth=1
	v_bfe_u32 v0, v3, 16, 1
	v_add3_u32 v46, v3, v0, s42
                                        ; implicit-def: $vgpr3
; %bb.554:                              ;   in Loop: Header=BB384_13 Depth=1
	s_andn2_saveexec_b64 s[30:31], s[8:9]
; %bb.555:                              ;   in Loop: Header=BB384_13 Depth=1
	v_or_b32_e32 v0, 0x10000, v3
	v_cmp_eq_u32_sdwa s[8:9], v3, v27 src0_sel:WORD_0 src1_sel:DWORD
	v_cndmask_b32_e64 v46, v0, v3, s[8:9]
; %bb.556:                              ;   in Loop: Header=BB384_13 Depth=1
	s_or_b64 exec, exec, s[30:31]
	v_lshrrev_b32_e32 v60, 16, v58
	v_cmp_ne_u16_sdwa s[8:9], v60, v27 src0_sel:BYTE_0 src1_sel:DWORD
	v_mov_b32_e32 v3, 0
	s_and_saveexec_b64 s[30:31], s[8:9]
	s_cbranch_execz .LBB384_562
; %bb.557:                              ;   in Loop: Header=BB384_13 Depth=1
	v_cmp_ne_u16_sdwa s[8:9], v60, s39 src0_sel:BYTE_0 src1_sel:DWORD
	v_bfrev_b32_e32 v3, 1
	s_and_saveexec_b64 s[34:35], s[8:9]
	s_cbranch_execz .LBB384_561
; %bb.558:                              ;   in Loop: Header=BB384_13 Depth=1
	v_bfe_u32 v5, v58, 16, 7
	v_cmp_ne_u32_e64 s[8:9], s40, v5
	v_mov_b32_e32 v3, 0x7f800001
	s_and_saveexec_b64 s[36:37], s[8:9]
	s_cbranch_execz .LBB384_560
; %bb.559:                              ;   in Loop: Header=BB384_13 Depth=1
	v_and_b32_e32 v3, 7, v60
	v_lshrrev_b32_e32 v10, 3, v5
	v_cmp_gt_u32_e64 s[8:9], 8, v5
	v_ffbh_u32_e32 v5, v3
	v_min_u32_e32 v5, 32, v5
	v_subrev_u32_e32 v24, 28, v5
	v_lshlrev_b64 v[24:25], v24, v[60:61]
	v_sub_u32_e32 v5, 29, v5
	v_and_b32_e32 v24, 7, v24
	v_cndmask_b32_e64 v5, v10, v5, s[8:9]
	v_cndmask_b32_e64 v3, v3, v24, s[8:9]
	v_lshlrev_b32_e32 v10, 24, v60
	v_bfrev_b32_e32 v0, 60
	v_lshlrev_b32_e32 v3, 20, v3
	v_and_b32_e32 v10, 0x80000000, v10
	v_lshl_add_u32 v5, v5, 23, v0
	v_or3_b32 v3, v10, v5, v3
.LBB384_560:                            ;   in Loop: Header=BB384_13 Depth=1
	s_or_b64 exec, exec, s[36:37]
.LBB384_561:                            ;   in Loop: Header=BB384_13 Depth=1
	s_or_b64 exec, exec, s[34:35]
.LBB384_562:                            ;   in Loop: Header=BB384_13 Depth=1
	s_or_b64 exec, exec, s[30:31]
	v_mul_f32_e32 v3, v14, v3
	v_and_b32_e32 v5, 0x7f800000, v3
	v_cmp_ne_u32_e64 s[8:9], s41, v5
                                        ; implicit-def: $agpr49
	s_and_saveexec_b64 s[30:31], s[8:9]
	s_xor_b64 s[8:9], exec, s[30:31]
; %bb.563:                              ;   in Loop: Header=BB384_13 Depth=1
	v_bfe_u32 v5, v3, 16, 1
	v_add3_u32 v0, v3, v5, s42
	v_accvgpr_write_b32 a49, v0
                                        ; implicit-def: $vgpr3
; %bb.564:                              ;   in Loop: Header=BB384_13 Depth=1
	s_andn2_saveexec_b64 s[30:31], s[8:9]
; %bb.565:                              ;   in Loop: Header=BB384_13 Depth=1
	v_or_b32_e32 v5, 0x10000, v3
	v_cmp_eq_u32_sdwa s[8:9], v3, v27 src0_sel:WORD_0 src1_sel:DWORD
	v_cndmask_b32_e64 v0, v5, v3, s[8:9]
	v_accvgpr_write_b32 a49, v0
; %bb.566:                              ;   in Loop: Header=BB384_13 Depth=1
	s_or_b64 exec, exec, s[30:31]
	v_cmp_lt_u32_e64 s[8:9], s43, v58
	v_mov_b32_e32 v3, 0
	s_and_saveexec_b64 s[30:31], s[8:9]
	s_cbranch_execz .LBB384_572
; %bb.567:                              ;   in Loop: Header=BB384_13 Depth=1
	v_lshrrev_b32_e32 v60, 24, v58
	v_cmp_ne_u32_e64 s[8:9], s39, v60
	v_bfrev_b32_e32 v3, 1
	s_and_saveexec_b64 s[34:35], s[8:9]
	s_cbranch_execz .LBB384_571
; %bb.568:                              ;   in Loop: Header=BB384_13 Depth=1
	v_bfe_u32 v5, v58, 24, 7
	v_cmp_ne_u32_e64 s[8:9], s40, v5
	v_mov_b32_e32 v3, 0x7f800001
	s_and_saveexec_b64 s[36:37], s[8:9]
	s_cbranch_execz .LBB384_570
; %bb.569:                              ;   in Loop: Header=BB384_13 Depth=1
	v_and_b32_e32 v3, 7, v60
	v_lshrrev_b32_e32 v10, 3, v5
	v_cmp_gt_u32_e64 s[8:9], 8, v5
	v_ffbh_u32_e32 v5, v3
	v_min_u32_e32 v5, 32, v5
	v_subrev_u32_e32 v24, 28, v5
	v_lshlrev_b64 v[24:25], v24, v[60:61]
	v_sub_u32_e32 v5, 29, v5
	v_and_b32_e32 v24, 7, v24
	v_cndmask_b32_e64 v5, v10, v5, s[8:9]
	v_cndmask_b32_e64 v3, v3, v24, s[8:9]
	v_lshlrev_b32_e32 v10, 24, v60
	v_bfrev_b32_e32 v0, 60
	v_lshlrev_b32_e32 v3, 20, v3
	v_and_b32_e32 v10, 0x80000000, v10
	v_lshl_add_u32 v5, v5, 23, v0
	v_or3_b32 v3, v10, v5, v3
.LBB384_570:                            ;   in Loop: Header=BB384_13 Depth=1
	s_or_b64 exec, exec, s[36:37]
.LBB384_571:                            ;   in Loop: Header=BB384_13 Depth=1
	s_or_b64 exec, exec, s[34:35]
.LBB384_572:                            ;   in Loop: Header=BB384_13 Depth=1
	s_or_b64 exec, exec, s[30:31]
	v_mul_f32_e32 v5, v14, v3
	v_and_b32_e32 v3, 0x7f800000, v5
	v_cmp_ne_u32_e64 s[8:9], s41, v3
                                        ; implicit-def: $agpr50
	s_and_saveexec_b64 s[30:31], s[8:9]
	s_xor_b64 s[8:9], exec, s[30:31]
; %bb.573:                              ;   in Loop: Header=BB384_13 Depth=1
	v_bfe_u32 v3, v5, 16, 1
	v_add3_u32 v0, v5, v3, s42
	v_accvgpr_write_b32 a50, v0
                                        ; implicit-def: $vgpr5
; %bb.574:                              ;   in Loop: Header=BB384_13 Depth=1
	s_andn2_saveexec_b64 s[30:31], s[8:9]
; %bb.575:                              ;   in Loop: Header=BB384_13 Depth=1
	v_or_b32_e32 v3, 0x10000, v5
	v_cmp_eq_u32_sdwa s[8:9], v5, v27 src0_sel:WORD_0 src1_sel:DWORD
	v_cndmask_b32_e64 v0, v3, v5, s[8:9]
	v_accvgpr_write_b32 a50, v0
; %bb.576:                              ;   in Loop: Header=BB384_13 Depth=1
	s_or_b64 exec, exec, s[30:31]
	flat_load_dword v58, v[56:57] offset:3584
	v_mov_b32_e32 v10, 0
	s_waitcnt vmcnt(0) lgkmcnt(0)
	v_cmp_ne_u16_sdwa s[8:9], v58, v27 src0_sel:BYTE_0 src1_sel:DWORD
	s_and_saveexec_b64 s[30:31], s[8:9]
	s_cbranch_execz .LBB384_582
; %bb.577:                              ;   in Loop: Header=BB384_13 Depth=1
	v_cmp_ne_u16_sdwa s[8:9], v58, s39 src0_sel:BYTE_0 src1_sel:DWORD
	v_bfrev_b32_e32 v10, 1
	s_and_saveexec_b64 s[34:35], s[8:9]
	s_cbranch_execz .LBB384_581
; %bb.578:                              ;   in Loop: Header=BB384_13 Depth=1
	v_and_b32_e32 v5, 0x7f, v58
	v_cmp_ne_u32_e64 s[8:9], s40, v5
	v_mov_b32_e32 v10, 0x7f800001
	s_and_saveexec_b64 s[36:37], s[8:9]
	s_cbranch_execz .LBB384_580
; %bb.579:                              ;   in Loop: Header=BB384_13 Depth=1
	v_and_b32_e32 v10, 7, v58
	v_lshrrev_b32_e32 v26, 3, v5
	v_cmp_gt_u32_e64 s[8:9], 8, v5
	v_ffbh_u32_e32 v5, v10
	v_min_u32_e32 v5, 32, v5
	v_subrev_u32_e32 v24, 28, v5
	v_lshlrev_b64 v[24:25], v24, v[58:59]
	v_sub_u32_e32 v5, 29, v5
	v_and_b32_e32 v24, 7, v24
	v_cndmask_b32_e64 v5, v26, v5, s[8:9]
	v_cndmask_b32_e64 v10, v10, v24, s[8:9]
	v_lshlrev_b32_e32 v24, 24, v58
	v_bfrev_b32_e32 v0, 60
	v_lshlrev_b32_e32 v10, 20, v10
	v_and_b32_e32 v24, 0x80000000, v24
	v_lshl_add_u32 v5, v5, 23, v0
	v_or3_b32 v10, v24, v5, v10
.LBB384_580:                            ;   in Loop: Header=BB384_13 Depth=1
	s_or_b64 exec, exec, s[36:37]
.LBB384_581:                            ;   in Loop: Header=BB384_13 Depth=1
	s_or_b64 exec, exec, s[34:35]
.LBB384_582:                            ;   in Loop: Header=BB384_13 Depth=1
	s_or_b64 exec, exec, s[30:31]
	v_mul_f32_e32 v5, v14, v10
	v_and_b32_e32 v10, 0x7f800000, v5
	v_cmp_ne_u32_e64 s[8:9], s41, v10
                                        ; implicit-def: $agpr53
	s_and_saveexec_b64 s[30:31], s[8:9]
	s_xor_b64 s[8:9], exec, s[30:31]
; %bb.583:                              ;   in Loop: Header=BB384_13 Depth=1
	v_bfe_u32 v10, v5, 16, 1
	v_add3_u32 v0, v5, v10, s42
	v_accvgpr_write_b32 a53, v0
                                        ; implicit-def: $vgpr5
; %bb.584:                              ;   in Loop: Header=BB384_13 Depth=1
	s_andn2_saveexec_b64 s[30:31], s[8:9]
; %bb.585:                              ;   in Loop: Header=BB384_13 Depth=1
	v_or_b32_e32 v10, 0x10000, v5
	v_cmp_eq_u32_sdwa s[8:9], v5, v27 src0_sel:WORD_0 src1_sel:DWORD
	v_cndmask_b32_e64 v0, v10, v5, s[8:9]
	v_accvgpr_write_b32 a53, v0
; %bb.586:                              ;   in Loop: Header=BB384_13 Depth=1
	s_or_b64 exec, exec, s[30:31]
	v_lshrrev_b16_e32 v60, 8, v58
	v_cmp_ne_u16_e64 s[8:9], 0, v60
	v_mov_b32_e32 v10, 0
	s_and_saveexec_b64 s[30:31], s[8:9]
	s_cbranch_execz .LBB384_592
; %bb.587:                              ;   in Loop: Header=BB384_13 Depth=1
	v_cmp_ne_u16_e64 s[8:9], s39, v60
	v_bfrev_b32_e32 v10, 1
	s_and_saveexec_b64 s[34:35], s[8:9]
	s_cbranch_execz .LBB384_591
; %bb.588:                              ;   in Loop: Header=BB384_13 Depth=1
	v_and_b32_e32 v5, 0x7f, v60
	v_cmp_ne_u32_e64 s[8:9], s40, v5
	v_mov_b32_e32 v10, 0x7f800001
	s_and_saveexec_b64 s[36:37], s[8:9]
	s_cbranch_execz .LBB384_590
; %bb.589:                              ;   in Loop: Header=BB384_13 Depth=1
	v_and_b32_e32 v10, 7, v60
	v_lshrrev_b32_e32 v26, 3, v5
	v_cmp_gt_u32_e64 s[8:9], 8, v5
	v_ffbh_u32_e32 v5, v10
	v_min_u32_e32 v5, 32, v5
	v_subrev_u32_e32 v24, 28, v5
	v_lshlrev_b64 v[24:25], v24, v[60:61]
	v_sub_u32_e32 v5, 29, v5
	v_and_b32_e32 v24, 7, v24
	v_cndmask_b32_e64 v5, v26, v5, s[8:9]
	v_cndmask_b32_e64 v10, v10, v24, s[8:9]
	v_lshlrev_b32_e32 v24, 16, v58
	v_bfrev_b32_e32 v0, 60
	v_lshlrev_b32_e32 v10, 20, v10
	v_and_b32_e32 v24, 0x80000000, v24
	v_lshl_add_u32 v5, v5, 23, v0
	v_or3_b32 v10, v24, v5, v10
.LBB384_590:                            ;   in Loop: Header=BB384_13 Depth=1
	s_or_b64 exec, exec, s[36:37]
.LBB384_591:                            ;   in Loop: Header=BB384_13 Depth=1
	s_or_b64 exec, exec, s[34:35]
.LBB384_592:                            ;   in Loop: Header=BB384_13 Depth=1
	s_or_b64 exec, exec, s[30:31]
	v_mul_f32_e32 v5, v14, v10
	v_and_b32_e32 v10, 0x7f800000, v5
	v_cmp_ne_u32_e64 s[8:9], s41, v10
                                        ; implicit-def: $vgpr25
	s_and_saveexec_b64 s[30:31], s[8:9]
	s_xor_b64 s[8:9], exec, s[30:31]
; %bb.593:                              ;   in Loop: Header=BB384_13 Depth=1
	v_bfe_u32 v10, v5, 16, 1
	v_add3_u32 v25, v5, v10, s42
                                        ; implicit-def: $vgpr5
; %bb.594:                              ;   in Loop: Header=BB384_13 Depth=1
	s_andn2_saveexec_b64 s[30:31], s[8:9]
; %bb.595:                              ;   in Loop: Header=BB384_13 Depth=1
	v_or_b32_e32 v10, 0x10000, v5
	v_cmp_eq_u32_sdwa s[8:9], v5, v27 src0_sel:WORD_0 src1_sel:DWORD
	v_cndmask_b32_e64 v25, v10, v5, s[8:9]
; %bb.596:                              ;   in Loop: Header=BB384_13 Depth=1
	s_or_b64 exec, exec, s[30:31]
	v_lshrrev_b32_e32 v60, 16, v58
	v_cmp_ne_u16_sdwa s[8:9], v60, v27 src0_sel:BYTE_0 src1_sel:DWORD
	v_mov_b32_e32 v10, 0
	s_and_saveexec_b64 s[30:31], s[8:9]
	s_cbranch_execz .LBB384_602
; %bb.597:                              ;   in Loop: Header=BB384_13 Depth=1
	v_cmp_ne_u16_sdwa s[8:9], v60, s39 src0_sel:BYTE_0 src1_sel:DWORD
	v_bfrev_b32_e32 v10, 1
	s_and_saveexec_b64 s[34:35], s[8:9]
	s_cbranch_execz .LBB384_601
; %bb.598:                              ;   in Loop: Header=BB384_13 Depth=1
	v_bfe_u32 v5, v58, 16, 7
	v_cmp_ne_u32_e64 s[8:9], s40, v5
	v_mov_b32_e32 v10, 0x7f800001
	s_and_saveexec_b64 s[36:37], s[8:9]
	s_cbranch_execz .LBB384_600
; %bb.599:                              ;   in Loop: Header=BB384_13 Depth=1
	v_and_b32_e32 v10, 7, v60
	v_lshrrev_b32_e32 v24, 3, v5
	v_cmp_gt_u32_e64 s[8:9], 8, v5
	v_ffbh_u32_e32 v5, v10
	v_min_u32_e32 v5, 32, v5
	v_subrev_u32_e32 v26, 28, v5
	v_lshlrev_b64 v[28:29], v26, v[60:61]
	v_sub_u32_e32 v5, 29, v5
	v_and_b32_e32 v26, 7, v28
	v_cndmask_b32_e64 v5, v24, v5, s[8:9]
	v_cndmask_b32_e64 v10, v10, v26, s[8:9]
	v_lshlrev_b32_e32 v24, 24, v60
	v_bfrev_b32_e32 v0, 60
	v_lshlrev_b32_e32 v10, 20, v10
	v_and_b32_e32 v24, 0x80000000, v24
	v_lshl_add_u32 v5, v5, 23, v0
	v_or3_b32 v10, v24, v5, v10
.LBB384_600:                            ;   in Loop: Header=BB384_13 Depth=1
	s_or_b64 exec, exec, s[36:37]
.LBB384_601:                            ;   in Loop: Header=BB384_13 Depth=1
	s_or_b64 exec, exec, s[34:35]
.LBB384_602:                            ;   in Loop: Header=BB384_13 Depth=1
	s_or_b64 exec, exec, s[30:31]
	v_mul_f32_e32 v5, v14, v10
	v_and_b32_e32 v10, 0x7f800000, v5
	v_cmp_ne_u32_e64 s[8:9], s41, v10
                                        ; implicit-def: $vgpr24
	s_and_saveexec_b64 s[30:31], s[8:9]
	s_xor_b64 s[8:9], exec, s[30:31]
; %bb.603:                              ;   in Loop: Header=BB384_13 Depth=1
	v_bfe_u32 v10, v5, 16, 1
	v_add3_u32 v24, v5, v10, s42
                                        ; implicit-def: $vgpr5
; %bb.604:                              ;   in Loop: Header=BB384_13 Depth=1
	s_andn2_saveexec_b64 s[30:31], s[8:9]
; %bb.605:                              ;   in Loop: Header=BB384_13 Depth=1
	v_or_b32_e32 v10, 0x10000, v5
	v_cmp_eq_u32_sdwa s[8:9], v5, v27 src0_sel:WORD_0 src1_sel:DWORD
	v_cndmask_b32_e64 v24, v10, v5, s[8:9]
; %bb.606:                              ;   in Loop: Header=BB384_13 Depth=1
	s_or_b64 exec, exec, s[30:31]
	v_cmp_lt_u32_e64 s[8:9], s43, v58
	v_mov_b32_e32 v10, 0
	s_and_saveexec_b64 s[30:31], s[8:9]
	s_cbranch_execz .LBB384_612
; %bb.607:                              ;   in Loop: Header=BB384_13 Depth=1
	v_lshrrev_b32_e32 v60, 24, v58
	v_cmp_ne_u32_e64 s[8:9], s39, v60
	v_bfrev_b32_e32 v10, 1
	s_and_saveexec_b64 s[34:35], s[8:9]
	s_cbranch_execz .LBB384_611
; %bb.608:                              ;   in Loop: Header=BB384_13 Depth=1
	v_bfe_u32 v5, v58, 24, 7
	v_cmp_ne_u32_e64 s[8:9], s40, v5
	v_mov_b32_e32 v10, 0x7f800001
	s_and_saveexec_b64 s[36:37], s[8:9]
	s_cbranch_execz .LBB384_610
; %bb.609:                              ;   in Loop: Header=BB384_13 Depth=1
	v_and_b32_e32 v10, 7, v60
	v_lshrrev_b32_e32 v26, 3, v5
	v_cmp_gt_u32_e64 s[8:9], 8, v5
	v_ffbh_u32_e32 v5, v10
	v_min_u32_e32 v5, 32, v5
	v_subrev_u32_e32 v28, 28, v5
	v_lshlrev_b64 v[28:29], v28, v[60:61]
	v_sub_u32_e32 v5, 29, v5
	v_and_b32_e32 v28, 7, v28
	v_cndmask_b32_e64 v5, v26, v5, s[8:9]
	v_cndmask_b32_e64 v10, v10, v28, s[8:9]
	v_lshlrev_b32_e32 v26, 24, v60
	v_bfrev_b32_e32 v0, 60
	v_lshlrev_b32_e32 v10, 20, v10
	v_and_b32_e32 v26, 0x80000000, v26
	v_lshl_add_u32 v5, v5, 23, v0
	v_or3_b32 v10, v26, v5, v10
.LBB384_610:                            ;   in Loop: Header=BB384_13 Depth=1
	s_or_b64 exec, exec, s[36:37]
.LBB384_611:                            ;   in Loop: Header=BB384_13 Depth=1
	s_or_b64 exec, exec, s[34:35]
.LBB384_612:                            ;   in Loop: Header=BB384_13 Depth=1
	s_or_b64 exec, exec, s[30:31]
	v_mul_f32_e32 v5, v14, v10
	v_and_b32_e32 v10, 0x7f800000, v5
	v_cmp_ne_u32_e64 s[8:9], s41, v10
                                        ; implicit-def: $vgpr60
	s_and_saveexec_b64 s[30:31], s[8:9]
	s_xor_b64 s[8:9], exec, s[30:31]
; %bb.613:                              ;   in Loop: Header=BB384_13 Depth=1
	v_bfe_u32 v10, v5, 16, 1
	v_add3_u32 v60, v5, v10, s42
                                        ; implicit-def: $vgpr5
; %bb.614:                              ;   in Loop: Header=BB384_13 Depth=1
	s_andn2_saveexec_b64 s[30:31], s[8:9]
; %bb.615:                              ;   in Loop: Header=BB384_13 Depth=1
	v_or_b32_e32 v10, 0x10000, v5
	v_cmp_eq_u32_sdwa s[8:9], v5, v27 src0_sel:WORD_0 src1_sel:DWORD
	v_cndmask_b32_e64 v60, v10, v5, s[8:9]
; %bb.616:                              ;   in Loop: Header=BB384_13 Depth=1
	s_or_b64 exec, exec, s[30:31]
	flat_load_dword v56, v[56:57] offset:3592
	v_mov_b32_e32 v10, 0
	s_waitcnt vmcnt(0) lgkmcnt(0)
	v_cmp_ne_u16_sdwa s[8:9], v56, v27 src0_sel:BYTE_0 src1_sel:DWORD
	s_and_saveexec_b64 s[30:31], s[8:9]
	s_cbranch_execz .LBB384_622
; %bb.617:                              ;   in Loop: Header=BB384_13 Depth=1
	v_cmp_ne_u16_sdwa s[8:9], v56, s39 src0_sel:BYTE_0 src1_sel:DWORD
	v_bfrev_b32_e32 v10, 1
	s_and_saveexec_b64 s[34:35], s[8:9]
	s_cbranch_execz .LBB384_621
; %bb.618:                              ;   in Loop: Header=BB384_13 Depth=1
	v_and_b32_e32 v5, 0x7f, v56
	v_cmp_ne_u32_e64 s[8:9], s40, v5
	v_mov_b32_e32 v10, 0x7f800001
	s_and_saveexec_b64 s[36:37], s[8:9]
	s_cbranch_execz .LBB384_620
; %bb.619:                              ;   in Loop: Header=BB384_13 Depth=1
	v_and_b32_e32 v10, 7, v56
	v_lshrrev_b32_e32 v26, 3, v5
	v_cmp_gt_u32_e64 s[8:9], 8, v5
	v_ffbh_u32_e32 v5, v10
	v_min_u32_e32 v5, 32, v5
	v_subrev_u32_e32 v28, 28, v5
	v_lshlrev_b64 v[28:29], v28, v[56:57]
	v_sub_u32_e32 v5, 29, v5
	v_and_b32_e32 v28, 7, v28
	v_cndmask_b32_e64 v5, v26, v5, s[8:9]
	v_cndmask_b32_e64 v10, v10, v28, s[8:9]
	v_lshlrev_b32_e32 v26, 24, v56
	v_bfrev_b32_e32 v0, 60
	v_lshlrev_b32_e32 v10, 20, v10
	v_and_b32_e32 v26, 0x80000000, v26
	v_lshl_add_u32 v5, v5, 23, v0
	v_or3_b32 v10, v26, v5, v10
.LBB384_620:                            ;   in Loop: Header=BB384_13 Depth=1
	s_or_b64 exec, exec, s[36:37]
.LBB384_621:                            ;   in Loop: Header=BB384_13 Depth=1
	s_or_b64 exec, exec, s[34:35]
.LBB384_622:                            ;   in Loop: Header=BB384_13 Depth=1
	s_or_b64 exec, exec, s[30:31]
	v_mul_f32_e32 v5, v14, v10
	v_and_b32_e32 v10, 0x7f800000, v5
	v_cmp_ne_u32_e64 s[8:9], s41, v10
                                        ; implicit-def: $vgpr57
	s_and_saveexec_b64 s[30:31], s[8:9]
	s_xor_b64 s[8:9], exec, s[30:31]
; %bb.623:                              ;   in Loop: Header=BB384_13 Depth=1
	v_bfe_u32 v10, v5, 16, 1
	v_add3_u32 v57, v5, v10, s42
                                        ; implicit-def: $vgpr5
; %bb.624:                              ;   in Loop: Header=BB384_13 Depth=1
	s_andn2_saveexec_b64 s[30:31], s[8:9]
; %bb.625:                              ;   in Loop: Header=BB384_13 Depth=1
	v_or_b32_e32 v10, 0x10000, v5
	v_cmp_eq_u32_sdwa s[8:9], v5, v27 src0_sel:WORD_0 src1_sel:DWORD
	v_cndmask_b32_e64 v57, v10, v5, s[8:9]
; %bb.626:                              ;   in Loop: Header=BB384_13 Depth=1
	s_or_b64 exec, exec, s[30:31]
	v_lshrrev_b16_e32 v58, 8, v56
	v_cmp_ne_u16_e64 s[8:9], 0, v58
	v_mov_b32_e32 v10, 0
	s_and_saveexec_b64 s[30:31], s[8:9]
	s_cbranch_execz .LBB384_632
; %bb.627:                              ;   in Loop: Header=BB384_13 Depth=1
	v_cmp_ne_u16_e64 s[8:9], s39, v58
	v_bfrev_b32_e32 v10, 1
	s_and_saveexec_b64 s[34:35], s[8:9]
	s_cbranch_execz .LBB384_631
; %bb.628:                              ;   in Loop: Header=BB384_13 Depth=1
	v_and_b32_e32 v5, 0x7f, v58
	v_cmp_ne_u32_e64 s[8:9], s40, v5
	v_mov_b32_e32 v10, 0x7f800001
	s_and_saveexec_b64 s[36:37], s[8:9]
	s_cbranch_execz .LBB384_630
; %bb.629:                              ;   in Loop: Header=BB384_13 Depth=1
	v_and_b32_e32 v10, 7, v58
	v_lshrrev_b32_e32 v26, 3, v5
	v_cmp_gt_u32_e64 s[8:9], 8, v5
	v_ffbh_u32_e32 v5, v10
	v_min_u32_e32 v5, 32, v5
	v_subrev_u32_e32 v28, 28, v5
	v_lshlrev_b64 v[28:29], v28, v[58:59]
	v_sub_u32_e32 v5, 29, v5
	v_and_b32_e32 v28, 7, v28
	v_cndmask_b32_e64 v5, v26, v5, s[8:9]
	v_cndmask_b32_e64 v10, v10, v28, s[8:9]
	v_lshlrev_b32_e32 v26, 16, v56
	v_bfrev_b32_e32 v0, 60
	v_lshlrev_b32_e32 v10, 20, v10
	v_and_b32_e32 v26, 0x80000000, v26
	v_lshl_add_u32 v5, v5, 23, v0
	v_or3_b32 v10, v26, v5, v10
.LBB384_630:                            ;   in Loop: Header=BB384_13 Depth=1
	s_or_b64 exec, exec, s[36:37]
.LBB384_631:                            ;   in Loop: Header=BB384_13 Depth=1
	s_or_b64 exec, exec, s[34:35]
.LBB384_632:                            ;   in Loop: Header=BB384_13 Depth=1
	s_or_b64 exec, exec, s[30:31]
	v_mul_f32_e32 v5, v14, v10
	v_and_b32_e32 v10, 0x7f800000, v5
	v_cmp_ne_u32_e64 s[8:9], s41, v10
                                        ; implicit-def: $vgpr10
	s_and_saveexec_b64 s[30:31], s[8:9]
	s_xor_b64 s[8:9], exec, s[30:31]
; %bb.633:                              ;   in Loop: Header=BB384_13 Depth=1
	v_bfe_u32 v10, v5, 16, 1
	v_add3_u32 v10, v5, v10, s42
                                        ; implicit-def: $vgpr5
; %bb.634:                              ;   in Loop: Header=BB384_13 Depth=1
	s_andn2_saveexec_b64 s[30:31], s[8:9]
; %bb.635:                              ;   in Loop: Header=BB384_13 Depth=1
	v_or_b32_e32 v10, 0x10000, v5
	v_cmp_eq_u32_sdwa s[8:9], v5, v27 src0_sel:WORD_0 src1_sel:DWORD
	v_cndmask_b32_e64 v10, v10, v5, s[8:9]
; %bb.636:                              ;   in Loop: Header=BB384_13 Depth=1
	s_or_b64 exec, exec, s[30:31]
	v_lshrrev_b32_e32 v58, 16, v56
	v_cmp_ne_u16_sdwa s[8:9], v58, v27 src0_sel:BYTE_0 src1_sel:DWORD
	v_mov_b32_e32 v26, 0
	s_and_saveexec_b64 s[30:31], s[8:9]
	s_cbranch_execz .LBB384_642
; %bb.637:                              ;   in Loop: Header=BB384_13 Depth=1
	v_cmp_ne_u16_sdwa s[8:9], v58, s39 src0_sel:BYTE_0 src1_sel:DWORD
	v_bfrev_b32_e32 v26, 1
	s_and_saveexec_b64 s[34:35], s[8:9]
	s_cbranch_execz .LBB384_641
; %bb.638:                              ;   in Loop: Header=BB384_13 Depth=1
	v_bfe_u32 v5, v56, 16, 7
	v_cmp_ne_u32_e64 s[8:9], s40, v5
	v_mov_b32_e32 v26, 0x7f800001
	s_and_saveexec_b64 s[36:37], s[8:9]
	s_cbranch_execz .LBB384_640
; %bb.639:                              ;   in Loop: Header=BB384_13 Depth=1
	v_and_b32_e32 v26, 7, v58
	v_lshrrev_b32_e32 v15, 3, v5
	v_cmp_gt_u32_e64 s[8:9], 8, v5
	v_ffbh_u32_e32 v5, v26
	v_min_u32_e32 v5, 32, v5
	v_subrev_u32_e32 v28, 28, v5
	v_lshlrev_b64 v[28:29], v28, v[58:59]
	v_sub_u32_e32 v5, 29, v5
	v_and_b32_e32 v28, 7, v28
	v_cndmask_b32_e64 v5, v15, v5, s[8:9]
	v_cndmask_b32_e64 v15, v26, v28, s[8:9]
	v_lshlrev_b32_e32 v26, 24, v58
	v_bfrev_b32_e32 v0, 60
	v_lshlrev_b32_e32 v15, 20, v15
	v_and_b32_e32 v26, 0x80000000, v26
	v_lshl_add_u32 v5, v5, 23, v0
	v_or3_b32 v26, v26, v5, v15
.LBB384_640:                            ;   in Loop: Header=BB384_13 Depth=1
	s_or_b64 exec, exec, s[36:37]
.LBB384_641:                            ;   in Loop: Header=BB384_13 Depth=1
	s_or_b64 exec, exec, s[34:35]
.LBB384_642:                            ;   in Loop: Header=BB384_13 Depth=1
	s_or_b64 exec, exec, s[30:31]
	v_mul_f32_e32 v5, v14, v26
	v_and_b32_e32 v15, 0x7f800000, v5
	v_cmp_ne_u32_e64 s[8:9], s41, v15
                                        ; implicit-def: $vgpr26
	s_and_saveexec_b64 s[30:31], s[8:9]
	s_xor_b64 s[8:9], exec, s[30:31]
; %bb.643:                              ;   in Loop: Header=BB384_13 Depth=1
	v_bfe_u32 v15, v5, 16, 1
	v_add3_u32 v26, v5, v15, s42
                                        ; implicit-def: $vgpr5
; %bb.644:                              ;   in Loop: Header=BB384_13 Depth=1
	s_andn2_saveexec_b64 s[30:31], s[8:9]
; %bb.645:                              ;   in Loop: Header=BB384_13 Depth=1
	v_or_b32_e32 v15, 0x10000, v5
	v_cmp_eq_u32_sdwa s[8:9], v5, v27 src0_sel:WORD_0 src1_sel:DWORD
	v_cndmask_b32_e64 v26, v15, v5, s[8:9]
; %bb.646:                              ;   in Loop: Header=BB384_13 Depth=1
	s_or_b64 exec, exec, s[30:31]
	v_cmp_lt_u32_e64 s[8:9], s43, v56
	v_mov_b32_e32 v5, 0
	s_and_saveexec_b64 s[30:31], s[8:9]
	s_cbranch_execz .LBB384_652
; %bb.647:                              ;   in Loop: Header=BB384_13 Depth=1
	v_lshrrev_b32_e32 v58, 24, v56
	v_cmp_ne_u32_e64 s[8:9], s39, v58
	v_bfrev_b32_e32 v5, 1
	s_and_saveexec_b64 s[34:35], s[8:9]
	s_cbranch_execz .LBB384_651
; %bb.648:                              ;   in Loop: Header=BB384_13 Depth=1
	v_bfe_u32 v56, v56, 24, 7
	v_cmp_ne_u32_e64 s[8:9], s40, v56
	v_mov_b32_e32 v5, 0x7f800001
	s_and_saveexec_b64 s[36:37], s[8:9]
	s_cbranch_execz .LBB384_650
; %bb.649:                              ;   in Loop: Header=BB384_13 Depth=1
	v_and_b32_e32 v5, 7, v58
	v_ffbh_u32_e32 v28, v5
	v_lshrrev_b32_e32 v15, 3, v56
	v_cmp_gt_u32_e64 s[8:9], 8, v56
	v_min_u32_e32 v56, 32, v28
	v_subrev_u32_e32 v28, 28, v56
	v_lshlrev_b64 v[28:29], v28, v[58:59]
	v_sub_u32_e32 v29, 29, v56
	v_and_b32_e32 v28, 7, v28
	v_cndmask_b32_e64 v15, v15, v29, s[8:9]
	v_cndmask_b32_e64 v5, v5, v28, s[8:9]
	v_lshlrev_b32_e32 v28, 24, v58
	v_bfrev_b32_e32 v0, 60
	v_lshlrev_b32_e32 v5, 20, v5
	v_and_b32_e32 v28, 0x80000000, v28
	v_lshl_add_u32 v15, v15, 23, v0
	v_or3_b32 v5, v28, v15, v5
.LBB384_650:                            ;   in Loop: Header=BB384_13 Depth=1
	s_or_b64 exec, exec, s[36:37]
.LBB384_651:                            ;   in Loop: Header=BB384_13 Depth=1
	s_or_b64 exec, exec, s[34:35]
.LBB384_652:                            ;   in Loop: Header=BB384_13 Depth=1
	s_or_b64 exec, exec, s[30:31]
	v_mul_f32_e32 v5, v14, v5
	v_and_b32_e32 v14, 0x7f800000, v5
	v_cmp_ne_u32_e64 s[8:9], s41, v14
                                        ; implicit-def: $vgpr14
	s_and_saveexec_b64 s[30:31], s[8:9]
	s_xor_b64 s[8:9], exec, s[30:31]
; %bb.653:                              ;   in Loop: Header=BB384_13 Depth=1
	v_bfe_u32 v14, v5, 16, 1
	v_add3_u32 v14, v5, v14, s42
                                        ; implicit-def: $vgpr5
; %bb.654:                              ;   in Loop: Header=BB384_13 Depth=1
	s_or_saveexec_b64 s[30:31], s[8:9]
	v_accvgpr_write_b32 a42, v11
	s_xor_b64 exec, exec, s[30:31]
; %bb.655:                              ;   in Loop: Header=BB384_13 Depth=1
	v_or_b32_e32 v14, 0x10000, v5
	v_cmp_eq_u32_sdwa s[8:9], v5, v27 src0_sel:WORD_0 src1_sel:DWORD
	v_cndmask_b32_e64 v14, v14, v5, s[8:9]
; %bb.656:                              ;   in Loop: Header=BB384_13 Depth=1
	s_or_b64 exec, exec, s[30:31]
	v_lshlrev_b32_e32 v28, 16, v54
	v_and_b32_e32 v61, 0xffff0000, v54
	v_lshlrev_b32_e32 v43, 16, v6
	v_lshlrev_b32_e32 v3, 16, v7
	;; [unrolled: 1-line block ×4, first 2 shown]
	v_and_b32_e32 v11, 0xffff0000, v6
	v_and_b32_e32 v41, 0xffff0000, v7
	;; [unrolled: 1-line block ×4, first 2 shown]
	buffer_load_dword v6, off, s[0:3], s32 offset:256 ; 4-byte Folded Reload
	buffer_load_dword v7, off, s[0:3], s32 offset:260 ; 4-byte Folded Reload
	;; [unrolled: 1-line block ×4, first 2 shown]
	v_lshlrev_b32_e32 v30, 16, v38
	v_and_b32_e32 v42, 0xffff0000, v38
	v_lshlrev_b32_e32 v5, 16, v52
	v_and_b32_e32 v58, 0xffff0000, v52
	v_lshlrev_b32_e32 v29, 16, v55
	v_lshlrev_b32_e32 v22, 16, v36
	;; [unrolled: 1-line block ×4, first 2 shown]
	v_and_b32_e32 v40, 0xffff0000, v36
	v_and_b32_e32 v44, 0xffff0000, v37
	;; [unrolled: 1-line block ×3, first 2 shown]
	v_lshlrev_b32_e32 v37, 16, v18
	v_lshlrev_b32_e32 v13, 16, v19
	v_and_b32_e32 v39, 0xffff0000, v18
	v_and_b32_e32 v36, 0xffff0000, v19
	v_lshlrev_b32_e32 v15, 16, v53
	v_and_b32_e32 v55, 0xffff0000, v55
	v_lshlrev_b32_e32 v31, 16, v48
	v_lshlrev_b32_e32 v12, 16, v49
	;; [unrolled: 1-line block ×3, first 2 shown]
	v_and_b32_e32 v21, 0xffff0000, v48
	v_and_b32_e32 v59, 0xffff0000, v49
	;; [unrolled: 1-line block ×3, first 2 shown]
	v_lshlrev_b32_e32 v51, 16, v16
	v_lshlrev_b32_e32 v49, 16, v17
	v_and_b32_e32 v52, 0xffff0000, v16
	v_and_b32_e32 v48, 0xffff0000, v17
	;; [unrolled: 1-line block ×3, first 2 shown]
	v_lshlrev_b32_e32 v1, 16, v50
	v_and_b32_e32 v50, 0xffff0000, v50
	v_and_b32_e32 v25, 0xffff0000, v25
	;; [unrolled: 1-line block ×3, first 2 shown]
	s_waitcnt vmcnt(3)
	v_lshlrev_b32_e32 v35, 16, v6
	v_and_b32_e32 v38, 0xffff0000, v6
	v_accvgpr_read_b32 v6, a58
	s_waitcnt vmcnt(2)
	v_lshlrev_b32_e32 v47, 16, v7
	v_and_b32_e32 v34, 0xffff0000, v7
	v_and_b32_e32 v6, 0xffff0000, v6
	v_accvgpr_read_b32 v7, a52
	v_mul_f32_e32 v6, v28, v6
	v_and_b32_e32 v7, 0xffff0000, v7
	v_fmac_f32_e32 v6, v5, v7
	v_accvgpr_read_b32 v5, a59
	v_and_b32_e32 v5, 0xffff0000, v5
	v_mul_f32_e32 v7, v61, v5
	v_accvgpr_read_b32 v5, a51
	v_and_b32_e32 v5, 0xffff0000, v5
	v_fmac_f32_e32 v7, v58, v5
	v_accvgpr_read_b32 v5, a60
	v_and_b32_e32 v5, 0xffff0000, v5
	s_waitcnt vmcnt(1)
	v_lshlrev_b32_e32 v18, 16, v8
	v_and_b32_e32 v19, 0xffff0000, v8
	v_mul_f32_e32 v8, v29, v5
	v_accvgpr_read_b32 v5, a56
	v_and_b32_e32 v5, 0xffff0000, v5
	v_fmac_f32_e32 v8, v15, v5
	buffer_load_dword v15, off, s[0:3], s32 offset:296 ; 4-byte Folded Reload
	v_accvgpr_read_b32 v5, a61
	v_and_b32_e32 v5, 0xffff0000, v5
	s_waitcnt vmcnt(1)
	v_lshlrev_b32_e32 v16, 16, v9
	v_and_b32_e32 v17, 0xffff0000, v9
	v_mul_f32_e32 v9, v55, v5
	v_accvgpr_read_b32 v5, a57
	v_and_b32_e32 v5, 0xffff0000, v5
	v_fmac_f32_e32 v9, v53, v5
	v_accvgpr_read_b32 v5, a62
	v_and_b32_e32 v5, 0xffff0000, v5
	v_fmac_f32_e32 v6, v31, v5
	;; [unrolled: 3-line block ×17, first 2 shown]
	v_accvgpr_read_b32 v0, a21
	v_accvgpr_read_b32 v1, a44
	v_and_b32_e32 v0, 0xffff0000, v0
	v_and_b32_e32 v42, 0xffff0000, v1
	v_accvgpr_read_b32 v1, a10
	v_fmac_f32_e32 v6, v43, v0
	v_and_b32_e32 v43, 0xffff0000, v1
	v_accvgpr_read_b32 v1, a3
	v_and_b32_e32 v40, 0xffff0000, v1
	v_accvgpr_read_b32 v1, a35
	v_accvgpr_read_b32 v0, a22
	v_and_b32_e32 v4, 0xffff0000, v1
	v_accvgpr_read_b32 v1, a34
	v_and_b32_e32 v0, 0xffff0000, v0
	v_and_b32_e32 v30, 0xffff0000, v1
	v_accvgpr_read_b32 v1, a39
	v_fmac_f32_e32 v7, v11, v0
	v_accvgpr_read_b32 v0, a19
	v_and_b32_e32 v44, 0xffff0000, v1
	v_accvgpr_read_b32 v1, a40
	v_and_b32_e32 v0, 0xffff0000, v0
	v_and_b32_e32 v20, 0xffff0000, v1
	v_accvgpr_read_b32 v1, a38
	v_fmac_f32_e32 v8, v3, v0
	;; [unrolled: 7-line block ×3, first 2 shown]
	v_accvgpr_read_b32 v0, a18
	v_and_b32_e32 v58, 0xffff0000, v1
	v_accvgpr_read_b32 v1, a6
	v_and_b32_e32 v0, 0xffff0000, v0
	v_and_b32_e32 v50, 0xffff0000, v57
	;; [unrolled: 1-line block ×3, first 2 shown]
	v_accvgpr_read_b32 v1, a9
	v_fmac_f32_e32 v6, v45, v0
	v_accvgpr_read_b32 v0, a17
	v_and_b32_e32 v59, 0xffff0000, v1
	v_accvgpr_read_b32 v1, a7
	v_and_b32_e32 v0, 0xffff0000, v0
	v_and_b32_e32 v53, 0xffff0000, v24
	;; [unrolled: 1-line block ×4, first 2 shown]
	v_accvgpr_read_b32 v1, a8
	v_fmac_f32_e32 v7, v2, v0
	v_and_b32_e32 v2, 0xffff0000, v1
	v_accvgpr_read_b32 v1, a14
	v_and_b32_e32 v5, 0xffff0000, v1
	v_accvgpr_read_b32 v1, a33
	;; [unrolled: 2-line block ×7, first 2 shown]
	v_accvgpr_read_b32 v0, a53
	v_and_b32_e32 v45, 0xffff0000, v1
	v_accvgpr_read_b32 v1, a16
	v_accvgpr_read_b32 v12, a2
	v_and_b32_e32 v55, 0xffff0000, v0
	v_accvgpr_read_b32 v0, a49
	v_and_b32_e32 v1, 0xffff0000, v1
	v_and_b32_e32 v61, 0xffff0000, v12
	s_waitcnt vmcnt(0)
	v_and_b32_e32 v12, 64, v15
	v_and_b32_e32 v41, 0xffff0000, v0
	v_accvgpr_read_b32 v0, a50
	v_fmac_f32_e32 v8, v56, v1
	v_xor_b32_e32 v1, 1, v15
	v_add_u32_e32 v12, 64, v12
	v_and_b32_e32 v3, 0xffff0000, v0
	v_and_b32_e32 v0, 0xffff0000, v46
	v_cmp_lt_i32_e64 s[8:9], v1, v12
	buffer_load_dword v46, off, s[0:3], s32 offset:248 ; 4-byte Folded Reload
	buffer_load_dword v12, off, s[0:3], s32 offset:252 ; 4-byte Folded Reload
	v_fmac_f32_e32 v9, v54, v61
	v_fmac_f32_e32 v6, v51, v45
	;; [unrolled: 1-line block ×13, first 2 shown]
	v_accvgpr_read_b32 v11, a42
	v_fmac_f32_e32 v6, v18, v21
	v_fmac_f32_e32 v7, v19, v22
	;; [unrolled: 1-line block ×4, first 2 shown]
	ds_read_b128 v[16:19], v11 offset:102
	ds_read_b64 v[20:21], v11 offset:118
	ds_read_u16 v2, v11 offset:126
	v_cndmask_b32_e64 v1, v15, v1, s[8:9]
	v_and_b32_e32 v15, 0xffff0000, v26
	s_waitcnt lgkmcnt(2)
	v_lshlrev_b32_e32 v5, 16, v17
	v_lshlrev_b32_e32 v1, 2, v1
	s_waitcnt lgkmcnt(0)
	v_lshlrev_b32_e32 v2, 16, v2
	s_waitcnt vmcnt(1)
	v_lshlrev_b32_e32 v56, 16, v46
	s_waitcnt vmcnt(0)
	v_lshlrev_b32_e32 v62, 16, v12
	v_and_b32_e32 v12, 0xffff0000, v14
	v_and_b32_e32 v14, 0xffff0000, v46
	v_fmac_f32_e32 v7, v14, v4
	v_lshlrev_b32_e32 v4, 16, v16
	v_fmac_f32_e32 v6, v56, v30
	v_fmac_f32_e32 v9, v4, v40
	v_and_b32_e32 v4, 0xffff0000, v16
	v_fmac_f32_e32 v8, v62, v43
	v_fmac_f32_e32 v6, v4, v42
	;; [unrolled: 1-line block ×3, first 2 shown]
	v_and_b32_e32 v0, 0xffff0000, v17
	v_lshlrev_b32_e32 v4, 16, v18
	v_fmac_f32_e32 v8, v0, v41
	v_fmac_f32_e32 v9, v4, v3
	v_and_b32_e32 v0, 0xffff0000, v18
	v_lshlrev_b32_e32 v3, 16, v19
	v_fmac_f32_e32 v6, v0, v55
	v_fmac_f32_e32 v7, v3, v25
	;; [unrolled: 4-line block ×4, first 2 shown]
	v_and_b32_e32 v0, 0xffff0000, v21
	v_fmac_f32_e32 v8, v0, v15
	v_add_f32_e32 v0, v6, v7
	v_fmac_f32_e32 v9, v2, v12
	v_add_f32_e32 v0, v0, v8
	v_add_f32_e32 v0, v9, v0
	ds_bpermute_b32 v1, v1, v0
	s_and_saveexec_b64 s[30:31], vcc
	s_cbranch_execz .LBB384_11
; %bb.657:                              ;   in Loop: Header=BB384_13 Depth=1
	buffer_load_dword v2, off, s[0:3], s32 offset:328 ; 4-byte Folded Reload
	buffer_load_dword v3, off, s[0:3], s32 offset:324 ; 4-byte Folded Reload
	v_accvgpr_read_b32 v4, a43
	s_waitcnt lgkmcnt(0)
	v_add_f32_e32 v0, v0, v1
	s_load_dword s8, s[26:27], 0x0
	buffer_load_dword v1, off, s[0:3], s32 offset:320 ; 4-byte Folded Reload
	s_waitcnt vmcnt(2)
	v_add_u32_e32 v2, v2, v4
	s_waitcnt vmcnt(1)
	v_add_u32_e32 v3, v3, v4
	buffer_load_dword v4, off, s[0:3], s32 offset:316 ; 4-byte Folded Reload
	v_cvt_f32_i32_e32 v2, v2
	s_waitcnt vmcnt(0)
	v_mul_f32_e32 v2, v4, v2
	v_cndmask_b32_e64 v2, 0, v2, s[6:7]
	v_fmac_f32_e32 v2, v0, v1
	buffer_load_dword v0, off, s[0:3], s32 offset:196 ; 4-byte Folded Reload
	buffer_load_dword v1, off, s[0:3], s32 offset:292 ; 4-byte Folded Reload
	v_accvgpr_read_b32 v4, a45
	s_waitcnt lgkmcnt(0)
	v_add_u32_e32 v4, s8, v4
	s_waitcnt vmcnt(1)
	v_cmp_lt_i32_e64 s[8:9], v3, v0
	v_cndmask_b32_e64 v0, 0, v2, s[8:9]
	ds_write_b32 v4, v0
	s_waitcnt vmcnt(0)
	v_max_f32_e32 v0, v1, v1
	v_max_f32_e32 v0, v0, v2
	v_cndmask_b32_e64 v1, v1, v0, s[8:9]
	buffer_store_dword v1, off, s[0:3], s32 offset:292 ; 4-byte Folded Spill
	s_branch .LBB384_11
.LBB384_658:
	s_or_b64 exec, exec, s[28:29]
	buffer_load_dword v15, off, s[0:3], s32 offset:408 ; 4-byte Folded Reload
	buffer_load_dword v14, off, s[0:3], s32 offset:404 ; 4-byte Folded Reload
	;; [unrolled: 1-line block ×18, first 2 shown]
	v_mbcnt_lo_u32_b32 v4, -1, 0
.LBB384_659:
	s_or_b64 exec, exec, s[24:25]
	v_mbcnt_hi_u32_b32 v0, -1, v4
	v_and_b32_e32 v1, 64, v0
	v_add_u32_e32 v1, 64, v1
	v_xor_b32_e32 v2, 32, v0
	v_cmp_lt_i32_e32 vcc, v2, v1
	v_cndmask_b32_e32 v2, v0, v2, vcc
	v_lshlrev_b32_e32 v2, 2, v2
	s_waitcnt vmcnt(0)
	ds_bpermute_b32 v3, v2, v13
	v_xor_b32_e32 v5, 16, v0
	v_max_f32_e32 v4, v13, v13
	v_cmp_lt_i32_e32 vcc, v5, v1
	v_xor_b32_e32 v6, 8, v0
	s_waitcnt lgkmcnt(0)
	v_max_f32_e32 v3, v3, v3
	v_max_f32_e32 v4, v4, v3
	v_cndmask_b32_e32 v3, v0, v5, vcc
	v_lshlrev_b32_e32 v3, 2, v3
	ds_bpermute_b32 v5, v3, v4
	v_cmp_lt_i32_e32 vcc, v6, v1
	v_xor_b32_e32 v7, 4, v0
	v_xor_b32_e32 v8, 2, v0
	s_lshr_b32 s28, s38, 16
	s_waitcnt lgkmcnt(0)
	v_max_f32_e32 v5, v5, v5
	v_max_f32_e32 v5, v4, v5
	v_cndmask_b32_e32 v4, v0, v6, vcc
	v_lshlrev_b32_e32 v4, 2, v4
	ds_bpermute_b32 v6, v4, v5
	v_cmp_lt_i32_e32 vcc, v7, v1
	s_waitcnt lgkmcnt(0)
	v_max_f32_e32 v6, v6, v6
	v_max_f32_e32 v6, v5, v6
	v_cndmask_b32_e32 v5, v0, v7, vcc
	v_lshlrev_b32_e32 v5, 2, v5
	ds_bpermute_b32 v7, v5, v6
	v_cmp_lt_i32_e32 vcc, v8, v1
	s_waitcnt lgkmcnt(0)
	v_max_f32_e32 v7, v7, v7
	v_max_f32_e32 v7, v6, v7
	v_cndmask_b32_e32 v6, v0, v8, vcc
	v_lshlrev_b32_e32 v20, 2, v6
	buffer_load_dword v6, off, s[0:3], s32 offset:272 ; 4-byte Folded Reload
	ds_bpermute_b32 v8, v20, v7
	s_waitcnt vmcnt(0)
	v_and_b32_e32 v45, 63, v6
	v_cmp_eq_u32_e32 vcc, 0, v45
	v_lshlrev_b32_e32 v6, 2, v28
	s_and_saveexec_b64 s[6:7], vcc
	s_cbranch_execz .LBB384_661
; %bb.660:
	s_waitcnt lgkmcnt(0)
	v_max_f32_e32 v8, v8, v8
	v_max_f32_e32 v7, v7, v7
	;; [unrolled: 1-line block ×3, first 2 shown]
	ds_write_b32 v6, v7 offset:256
.LBB384_661:
	s_or_b64 exec, exec, s[6:7]
	v_cmp_gt_u32_e64 s[6:7], 2, v45
	s_waitcnt lgkmcnt(0)
	v_mov_b32_e32 v8, 0xff7fffff
	v_lshlrev_b32_e32 v7, 2, v45
	s_barrier
	s_and_saveexec_b64 s[8:9], s[6:7]
	s_cbranch_execz .LBB384_663
; %bb.662:
	ds_read_b32 v8, v7 offset:256
.LBB384_663:
	s_or_b64 exec, exec, s[8:9]
	v_xor_b32_e32 v9, 1, v0
	v_cmp_lt_i32_e64 s[8:9], v9, v1
	v_cndmask_b32_e64 v1, v0, v9, s[8:9]
	buffer_load_dword v9, off, s[0:3], s32 offset:208 ; 4-byte Folded Reload
	v_lshlrev_b32_e32 v21, 2, v1
	s_waitcnt lgkmcnt(0)
	ds_bpermute_b32 v1, v21, v8
	v_max_f32_e32 v8, v8, v8
	v_lshlrev_b32_e32 v0, 2, v0
	s_waitcnt lgkmcnt(0)
	v_max_f32_e32 v1, v1, v1
	v_max_f32_e32 v1, v8, v1
	s_waitcnt vmcnt(0)
	v_subrev_u32_e32 v9, s21, v9
	v_lshl_add_u32 v10, v9, 5, s15
	v_and_b32_e32 v9, 0x100, v0
	ds_bpermute_b32 v0, v9, v1
	buffer_load_dword v1, off, s[0:3], s32 offset:196 ; 4-byte Folded Reload
	s_waitcnt vmcnt(0)
	v_min_i32_e32 v8, v10, v1
	buffer_load_dword v10, off, s[0:3], s32 offset:272 ; 4-byte Folded Reload
	v_subrev_u32_e32 v1, s15, v8
	s_waitcnt vmcnt(0)
	v_cmp_lt_i32_e64 s[8:9], v10, v1
	v_mov_b32_e32 v10, 0
	s_and_saveexec_b64 s[24:25], s[8:9]
	s_cbranch_execz .LBB384_667
; %bb.664:
	buffer_load_dword v12, off, s[0:3], s32 offset:272 ; 4-byte Folded Reload
	s_ashr_i32 s23, s22, 31
	s_lshl_b64 s[10:11], s[22:23], 2
	s_getpc_b64 s[26:27]
	s_add_u32 s26, s26, llvm.amdgcn.dynlds.offset.table@rel32@lo+4
	s_addc_u32 s27, s27, llvm.amdgcn.dynlds.offset.table@rel32@hi+12
	s_add_u32 s10, s10, s26
	s_addc_u32 s11, s11, s27
	s_load_dword s10, s[10:11], 0x0
	s_mov_b64 s[26:27], 0
	v_mov_b32_e32 v10, 0
	s_waitcnt vmcnt(0) lgkmcnt(0)
	v_lshl_add_u32 v11, v12, 2, s10
.LBB384_665:                            ; =>This Inner Loop Header: Depth=1
	ds_read_b32 v13, v11
	v_add_u32_e32 v12, 0x80, v12
	v_cmp_ge_i32_e64 s[10:11], v12, v1
	s_or_b64 s[26:27], s[10:11], s[26:27]
	s_waitcnt lgkmcnt(0)
	v_sub_f32_e32 v13, v13, v0
	v_mul_f32_e32 v13, 0x3fb8aa3b, v13
	v_exp_f32_e32 v13, v13
	ds_write_b32 v11, v13
	v_add_f32_e32 v10, v10, v13
	v_add_u32_e32 v11, 0x200, v11
	s_andn2_b64 exec, exec, s[26:27]
	s_cbranch_execnz .LBB384_665
; %bb.666:
	s_or_b64 exec, exec, s[26:27]
.LBB384_667:
	s_or_b64 exec, exec, s[24:25]
	ds_bpermute_b32 v2, v2, v10
	s_waitcnt lgkmcnt(0)
	v_add_f32_e32 v2, v10, v2
	ds_bpermute_b32 v3, v3, v2
	s_waitcnt lgkmcnt(0)
	v_add_f32_e32 v2, v2, v3
	;; [unrolled: 3-line block ×6, first 2 shown]
	s_and_saveexec_b64 s[10:11], vcc
	s_cbranch_execz .LBB384_669
; %bb.668:
	ds_write_b32 v6, v2 offset:264
.LBB384_669:
	s_or_b64 exec, exec, s[10:11]
	s_waitcnt lgkmcnt(0)
	s_barrier
	s_and_saveexec_b64 s[10:11], s[6:7]
	s_cbranch_execz .LBB384_671
; %bb.670:
	ds_read_b32 v2, v7 offset:264
.LBB384_671:
	s_or_b64 exec, exec, s[10:11]
	s_waitcnt lgkmcnt(0)
	ds_bpermute_b32 v3, v21, v2
	s_waitcnt lgkmcnt(0)
	v_add_f32_e32 v2, v2, v3
	ds_bpermute_b32 v2, v9, v2
	s_and_saveexec_b64 s[6:7], s[8:9]
	s_cbranch_execz .LBB384_684
; %bb.672:
	s_waitcnt lgkmcnt(0)
	v_add_f32_e32 v3, 0x358637bd, v2
	v_div_scale_f32 v4, s[8:9], v3, v3, 1.0
	v_rcp_f32_e32 v5, v4
	v_div_scale_f32 v6, vcc, 1.0, v3, 1.0
	s_movk_i32 s8, 0x7f
	v_fma_f32 v7, -v4, v5, 1.0
	v_fmac_f32_e32 v5, v7, v5
	v_mul_f32_e32 v7, v6, v5
	v_fma_f32 v9, -v4, v7, v6
	v_fmac_f32_e32 v7, v9, v5
	v_fma_f32 v4, -v4, v7, v6
	v_div_fmas_f32 v4, v4, v5, v7
	buffer_load_dword v5, off, s[0:3], s32 offset:272 ; 4-byte Folded Reload
	v_div_fixup_f32 v6, v4, v3, 1.0
	s_mov_b64 s[10:11], -1
	s_waitcnt vmcnt(0)
	v_xad_u32 v3, v5, -1, v8
	v_subrev_u32_e32 v4, s15, v3
	v_cmp_lt_u32_e32 vcc, s8, v4
	v_mov_b32_e32 v3, v5
	s_and_saveexec_b64 s[8:9], vcc
	s_cbranch_execz .LBB384_681
; %bb.673:
	v_lshrrev_b32_e32 v3, 7, v4
	v_add_u32_e32 v5, -1, v3
	v_lshrrev_b32_e32 v4, 1, v5
	v_mov_b32_e32 v7, v6
	v_add_u32_e32 v4, 1, v4
	v_cmp_lt_u32_e32 vcc, 13, v5
	v_mov_b32_e32 v9, 0
	s_and_saveexec_b64 s[10:11], vcc
	s_cbranch_execz .LBB384_677
; %bb.674:
	buffer_load_dword v8, off, s[0:3], s32 offset:272 ; 4-byte Folded Reload
	s_ashr_i32 s23, s22, 31
	s_lshl_b64 s[24:25], s[22:23], 2
	s_getpc_b64 s[26:27]
	s_add_u32 s26, s26, llvm.amdgcn.dynlds.offset.table@rel32@lo+4
	s_addc_u32 s27, s27, llvm.amdgcn.dynlds.offset.table@rel32@hi+12
	s_add_u32 s24, s24, s26
	s_addc_u32 s25, s25, s27
	s_load_dword s21, s[24:25], 0x0
	v_and_b32_e32 v5, -8, v4
	s_mov_b32 s15, 0
	s_mov_b64 s[24:25], 0
	s_waitcnt vmcnt(0) lgkmcnt(0)
	v_lshl_add_u32 v8, v8, 2, s21
.LBB384_675:                            ; =>This Inner Loop Header: Depth=1
	ds_read2st64_b32 v[10:11], v8 offset1:2
	ds_read2st64_b32 v[12:13], v8 offset0:4 offset1:6
	ds_read2st64_b32 v[18:19], v8 offset0:8 offset1:10
	;; [unrolled: 1-line block ×3, first 2 shown]
	v_add_u32_e32 v5, -8, v5
	s_waitcnt lgkmcnt(3)
	v_pk_mul_f32 v[10:11], v[6:7], v[10:11]
	s_waitcnt lgkmcnt(2)
	v_pk_mul_f32 v[12:13], v[6:7], v[12:13]
	ds_write2st64_b32 v8, v10, v11 offset1:2
	ds_write2st64_b32 v8, v12, v13 offset0:4 offset1:6
	ds_read2st64_b32 v[12:13], v8 offset0:16 offset1:18
	s_waitcnt lgkmcnt(4)
	v_pk_mul_f32 v[10:11], v[6:7], v[18:19]
	ds_write2st64_b32 v8, v10, v11 offset0:8 offset1:10
	s_waitcnt lgkmcnt(4)
	v_pk_mul_f32 v[10:11], v[6:7], v[16:17]
	ds_write2st64_b32 v8, v10, v11 offset0:12 offset1:14
	ds_read2st64_b32 v[10:11], v8 offset0:20 offset1:22
	s_waitcnt lgkmcnt(3)
	v_pk_mul_f32 v[12:13], v[6:7], v[12:13]
	ds_read2st64_b32 v[16:17], v8 offset0:24 offset1:26
	ds_write2st64_b32 v8, v12, v13 offset0:16 offset1:18
	ds_read2st64_b32 v[12:13], v8 offset0:28 offset1:30
	s_waitcnt lgkmcnt(3)
	v_pk_mul_f32 v[10:11], v[6:7], v[10:11]
	ds_write2st64_b32 v8, v10, v11 offset0:20 offset1:22
	s_waitcnt lgkmcnt(3)
	v_pk_mul_f32 v[10:11], v[6:7], v[16:17]
	ds_write2st64_b32 v8, v10, v11 offset0:24 offset1:26
	s_waitcnt lgkmcnt(2)
	v_pk_mul_f32 v[10:11], v[6:7], v[12:13]
	s_add_i32 s15, s15, 16
	v_cmp_eq_u32_e32 vcc, 0, v5
	ds_write2st64_b32 v8, v10, v11 offset0:28 offset1:30
	v_add_u32_e32 v8, 0x2000, v8
	s_or_b64 s[24:25], vcc, s[24:25]
	v_mov_b32_e32 v9, s15
	s_andn2_b64 exec, exec, s[24:25]
	s_cbranch_execnz .LBB384_675
; %bb.676:
	s_or_b64 exec, exec, s[24:25]
.LBB384_677:
	s_or_b64 exec, exec, s[10:11]
	v_and_b32_e32 v4, 7, v4
	v_cmp_ne_u32_e32 vcc, 0, v4
	s_and_saveexec_b64 s[10:11], vcc
	s_cbranch_execz .LBB384_680
; %bb.678:
	buffer_load_dword v8, off, s[0:3], s32 offset:272 ; 4-byte Folded Reload
	s_ashr_i32 s23, s22, 31
	s_lshl_b64 s[24:25], s[22:23], 2
	s_getpc_b64 s[26:27]
	s_add_u32 s26, s26, llvm.amdgcn.dynlds.offset.table@rel32@lo+4
	s_addc_u32 s27, s27, llvm.amdgcn.dynlds.offset.table@rel32@hi+12
	s_add_u32 s24, s24, s26
	s_addc_u32 s25, s25, s27
	s_load_dword s15, s[24:25], 0x0
	v_lshlrev_b32_e32 v5, 9, v9
	s_mov_b64 s[24:25], 0
	s_waitcnt vmcnt(0)
	v_lshlrev_b32_e32 v8, 2, v8
	s_waitcnt lgkmcnt(0)
	v_add3_u32 v5, v5, v8, s15
.LBB384_679:                            ; =>This Inner Loop Header: Depth=1
	ds_read2st64_b32 v[8:9], v5 offset1:2
	v_add_u32_e32 v4, -1, v4
	v_cmp_eq_u32_e32 vcc, 0, v4
	s_or_b64 s[24:25], vcc, s[24:25]
	s_waitcnt lgkmcnt(0)
	v_pk_mul_f32 v[8:9], v[6:7], v[8:9]
	ds_write2st64_b32 v5, v8, v9 offset1:2
	v_add_u32_e32 v5, 0x400, v5
	s_andn2_b64 exec, exec, s[24:25]
	s_cbranch_execnz .LBB384_679
.LBB384_680:
	s_or_b64 exec, exec, s[10:11]
	v_add_u32_e32 v4, 1, v3
	buffer_load_dword v3, off, s[0:3], s32 offset:272 ; 4-byte Folded Reload
	v_and_b32_e32 v5, 0x3fffffe, v4
	v_cmp_ne_u32_e32 vcc, v4, v5
	s_orn2_b64 s[10:11], vcc, exec
	s_waitcnt vmcnt(0)
	v_lshl_add_u32 v3, v5, 7, v3
.LBB384_681:
	s_or_b64 exec, exec, s[8:9]
	s_and_b64 exec, exec, s[10:11]
	s_cbranch_execz .LBB384_684
; %bb.682:
	s_ashr_i32 s23, s22, 31
	s_lshl_b64 s[8:9], s[22:23], 2
	s_getpc_b64 s[10:11]
	s_add_u32 s10, s10, llvm.amdgcn.dynlds.offset.table@rel32@lo+4
	s_addc_u32 s11, s11, llvm.amdgcn.dynlds.offset.table@rel32@hi+12
	s_add_u32 s8, s8, s10
	s_addc_u32 s9, s9, s11
	s_load_dword s8, s[8:9], 0x0
	s_waitcnt lgkmcnt(0)
	v_lshl_add_u32 v4, v3, 2, s8
	s_mov_b64 s[8:9], 0
.LBB384_683:                            ; =>This Inner Loop Header: Depth=1
	ds_read_b32 v5, v4
	v_add_u32_e32 v3, 0x80, v3
	v_cmp_ge_i32_e32 vcc, v3, v1
	s_or_b64 s[8:9], vcc, s[8:9]
	s_waitcnt lgkmcnt(0)
	v_mul_f32_e32 v5, v6, v5
	ds_write_b32 v4, v5
	v_add_u32_e32 v4, 0x200, v4
	s_andn2_b64 exec, exec, s[8:9]
	s_cbranch_execnz .LBB384_683
.LBB384_684:
	s_or_b64 exec, exec, s[6:7]
	s_waitcnt lgkmcnt(0)
	s_barrier
	buffer_load_dword v1, off, s[0:3], s32 offset:272 ; 4-byte Folded Reload
	v_cmp_ne_u16_e64 s[6:7], s28, 0
	s_cmp_lg_u64 s[6:7], 0
	s_addc_u32 s21, s13, 0
	s_waitcnt vmcnt(0)
	v_cmp_eq_u32_e32 vcc, 0, v1
	s_and_saveexec_b64 s[6:7], vcc
	s_cbranch_execz .LBB384_686
; %bb.685:
	s_mul_i32 s8, s21, s18
	s_mul_i32 s8, s8, s19
	;; [unrolled: 1-line block ×3, first 2 shown]
	s_ashr_i32 s9, s8, 31
	s_ashr_i32 s11, s10, 31
	;; [unrolled: 1-line block ×3, first 2 shown]
	s_lshl_b64 s[8:9], s[8:9], 2
	s_lshl_b64 s[10:11], s[10:11], 2
	;; [unrolled: 1-line block ×3, first 2 shown]
	s_add_u32 s10, s12, s10
	s_addc_u32 s11, s13, s11
	s_add_u32 s8, s10, s8
	s_addc_u32 s9, s11, s9
	v_mov_b32_e32 v1, s9
	v_add_co_u32_e32 v4, vcc, s8, v34
	v_addc_co_u32_e32 v5, vcc, v1, v25, vcc
	flat_store_dword v[4:5], v0
	v_add_co_u32_e32 v0, vcc, s8, v24
	v_addc_co_u32_e32 v1, vcc, v1, v22, vcc
	flat_store_dword v[0:1], v2
.LBB384_686:
	s_or_b64 exec, exec, s[6:7]
	buffer_load_dword v0, off, s[0:3], s32 offset:272 ; 4-byte Folded Reload
	s_ashr_i32 s23, s22, 31
	s_lshl_b64 s[6:7], s[22:23], 2
	s_getpc_b64 s[8:9]
	s_add_u32 s8, s8, llvm.amdgcn.dynlds.offset.table@rel32@lo+4
	s_addc_u32 s9, s9, llvm.amdgcn.dynlds.offset.table@rel32@hi+12
	s_add_u32 s6, s6, s8
	s_addc_u32 s7, s7, s9
	v_mov_b32_e32 v13, 0
	v_mov_b32_e32 v12, 0
	;; [unrolled: 1-line block ×8, first 2 shown]
	s_waitcnt vmcnt(0)
	v_and_b32_e32 v22, 3, v0
	s_and_saveexec_b64 s[8:9], s[4:5]
	s_cbranch_execz .LBB384_1636
; %bb.687:
	v_and_b32_e32 v0, 24, v31
	v_max_i32_e32 v39, v30, v36
	v_accvgpr_write_b32 a19, v0
	v_cvt_f32_u32_e32 v0, v39
	v_sub_u32_e32 v4, 0, v39
	v_add_co_u32_e32 v1, vcc, v27, v23
	v_rcp_iflag_f32_e32 v0, v0
	v_add_u32_e32 v3, -1, v35
	v_addc_co_u32_e32 v2, vcc, v26, v29, vcc
	v_mul_f32_e32 v0, 0x4f7ffffe, v0
	v_cvt_u32_f32_e32 v0, v0
	v_accvgpr_write_b32 a22, v3
	v_and_b32_e32 v3, 0x1f8, v31
	s_load_dword s4, s[6:7], 0x0
	v_mul_lo_u32 v4, v4, v0
	v_mul_hi_u32 v4, v0, v4
	v_add_u32_e32 v0, v0, v4
	v_accvgpr_write_b32 a24, v0
	v_add_co_u32_e32 v0, vcc, v1, v3
	v_addc_co_u32_e32 v1, vcc, 0, v2, vcc
	v_accvgpr_write_b32 a27, v1
	v_accvgpr_write_b32 a26, v0
	v_accvgpr_read_b32 v0, a12
	v_accvgpr_read_b32 v1, a13
	v_lshlrev_b64 v[0:1], 2, v[0:1]
	v_add_co_u32_e32 v0, vcc, v32, v0
	v_addc_co_u32_e32 v1, vcc, v33, v1, vcc
	v_add_co_u32_e32 v14, vcc, v14, v0
	v_lshlrev_b32_e32 v0, 5, v22
	v_addc_co_u32_e32 v15, vcc, v15, v1, vcc
	v_lshl_or_b32 v0, v28, 7, v0
	v_mov_b32_e32 v1, 0
	s_waitcnt lgkmcnt(0)
	v_add_u32_e32 v4, s4, v0
	v_mov_b32_e32 v0, 0
	v_accvgpr_write_b32 a21, v1
	v_accvgpr_write_b32 a20, v0
	buffer_load_dword v1, off, s[0:3], s32 offset:340 ; 4-byte Folded Reload
	s_mov_b32 s10, -1
	v_accvgpr_write_b32 a17, v21
	v_accvgpr_write_b32 a16, v20
	s_mov_b32 s11, 0xffffff
	v_mov_b32_e32 v11, 0
	v_accvgpr_write_b32 a18, v22
	s_mov_b64 s[12:13], 0
	s_mov_b32 s15, 0x7f800000
	s_movk_i32 s30, 0x7fff
	s_movk_i32 s31, 0x80
	;; [unrolled: 1-line block ×3, first 2 shown]
	v_bfrev_b32_e32 v28, 60
	v_mov_b32_e32 v24, 0
	v_mov_b32_e32 v25, 0
	;; [unrolled: 1-line block ×6, first 2 shown]
	s_branch .LBB384_690
.LBB384_688:                            ;   in Loop: Header=BB384_690 Depth=1
	s_or_b64 exec, exec, s[4:5]
	v_and_b32_e32 v13, 0xffff0000, v21
	v_and_b32_e32 v12, 0xffff0000, v6
	;; [unrolled: 1-line block ×4, first 2 shown]
	v_pk_add_f32 v[12:13], v[50:51], v[12:13]
	v_and_b32_e32 v9, 0xffff0000, v9
	v_and_b32_e32 v8, 0xffff0000, v8
	v_and_b32_e32 v21, 0xffff0000, v22
	v_and_b32_e32 v20, 0xffff0000, v20
	v_pk_add_f32 v[8:9], v[20:21], v[8:9]
	v_add_f32_e32 v3, v12, v13
	v_add_f32_e32 v3, v3, v8
	;; [unrolled: 1-line block ×3, first 2 shown]
	v_and_b32_e32 v9, 0xffff0000, v47
	v_and_b32_e32 v8, 0xffff0000, v44
	;; [unrolled: 1-line block ×4, first 2 shown]
	v_accvgpr_read_b32 v23, a21
	v_pk_add_f32 v[8:9], v[12:13], v[8:9]
	v_and_b32_e32 v13, 0xffff0000, v33
	v_and_b32_e32 v12, 0xffff0000, v62
	;; [unrolled: 1-line block ×4, first 2 shown]
	v_accvgpr_read_b32 v22, a20
	v_pk_add_f32 v[12:13], v[20:21], v[12:13]
	v_add_f32_e32 v22, v22, v3
	v_add_f32_e32 v3, v8, v9
	;; [unrolled: 1-line block ×3, first 2 shown]
	v_and_b32_e32 v21, 0xffff0000, v26
	v_and_b32_e32 v20, 0xffff0000, v30
	;; [unrolled: 1-line block ×4, first 2 shown]
	v_add_f32_e32 v3, v3, v13
	v_and_b32_e32 v9, 0xffff0000, v42
	v_and_b32_e32 v8, 0xffff0000, v61
	;; [unrolled: 1-line block ×4, first 2 shown]
	v_pk_add_f32 v[20:21], v[26:27], v[20:21]
	v_add_f32_e32 v17, v17, v3
	v_pk_add_f32 v[8:9], v[12:13], v[8:9]
	v_add_f32_e32 v3, v20, v21
	v_add_f32_e32 v3, v3, v8
	;; [unrolled: 1-line block ×4, first 2 shown]
	v_accvgpr_read_b32 v3, a61
	v_and_b32_e32 v8, 0xffff0000, v3
	v_accvgpr_read_b32 v3, a60
	v_and_b32_e32 v12, 0xffff0000, v3
	;; [unrolled: 2-line block ×6, first 2 shown]
	v_and_b32_e32 v9, 0xffff0000, v35
	v_and_b32_e32 v13, 0xffff0000, v48
	v_pk_add_f32 v[20:21], v[26:27], v[20:21]
	v_pk_add_f32 v[8:9], v[12:13], v[8:9]
	v_add_f32_e32 v3, v20, v21
	v_add_f32_e32 v3, v3, v8
	v_add_f32_e32 v3, v3, v9
	v_add_f32_e32 v19, v19, v3
	v_accvgpr_read_b32 v3, a55
	v_and_b32_e32 v9, 0xffff0000, v3
	v_accvgpr_read_b32 v3, a53
	v_and_b32_e32 v8, 0xffff0000, v3
	v_accvgpr_read_b32 v3, a54
	v_and_b32_e32 v13, 0xffff0000, v3
	v_accvgpr_read_b32 v3, a52
	v_and_b32_e32 v12, 0xffff0000, v3
	v_accvgpr_read_b32 v3, a51
	v_and_b32_e32 v21, 0xffff0000, v3
	v_accvgpr_read_b32 v3, a49
	v_and_b32_e32 v20, 0xffff0000, v3
	v_accvgpr_read_b32 v3, a50
	v_and_b32_e32 v27, 0xffff0000, v3
	v_accvgpr_read_b32 v3, a48
	v_and_b32_e32 v26, 0xffff0000, v3
	v_pk_add_f32 v[20:21], v[26:27], v[20:21]
	v_pk_add_f32 v[8:9], v[12:13], v[8:9]
	v_add_f32_e32 v3, v20, v21
	v_add_f32_e32 v3, v3, v8
	v_add_f32_e32 v3, v3, v9
	v_add_f32_e32 v18, v18, v3
	v_accvgpr_read_b32 v3, a47
	v_and_b32_e32 v9, 0xffff0000, v3
	v_accvgpr_read_b32 v3, a45
	v_and_b32_e32 v8, 0xffff0000, v3
	v_accvgpr_read_b32 v3, a46
	v_and_b32_e32 v13, 0xffff0000, v3
	v_accvgpr_read_b32 v3, a44
	v_and_b32_e32 v12, 0xffff0000, v3
	v_accvgpr_read_b32 v3, a43
	v_and_b32_e32 v21, 0xffff0000, v3
	v_accvgpr_read_b32 v3, a41
	v_and_b32_e32 v20, 0xffff0000, v3
	v_accvgpr_read_b32 v3, a42
	v_and_b32_e32 v27, 0xffff0000, v3
	v_accvgpr_read_b32 v3, a40
	;; [unrolled: 22-line block ×3, first 2 shown]
	v_and_b32_e32 v26, 0xffff0000, v3
	v_pk_add_f32 v[20:21], v[26:27], v[20:21]
	v_pk_add_f32 v[8:9], v[12:13], v[8:9]
	v_add_f32_e32 v3, v20, v21
	v_add_f32_e32 v3, v3, v8
	v_and_b32_e32 v7, 0xffff0000, v7
	v_and_b32_e32 v6, 0xffff0000, v1
	;; [unrolled: 1-line block ×4, first 2 shown]
	v_add_f32_e32 v3, v3, v9
	v_and_b32_e32 v9, 0xffff0000, v10
	v_and_b32_e32 v8, 0xffff0000, v34
	;; [unrolled: 1-line block ×4, first 2 shown]
	v_pk_add_f32 v[0:1], v[0:1], v[6:7]
	v_add_f32_e32 v24, v24, v3
	v_pk_add_f32 v[2:3], v[12:13], v[8:9]
	v_add_f32_e32 v0, v0, v1
	v_add_f32_e32 v0, v0, v2
	;; [unrolled: 1-line block ×4, first 2 shown]
	v_accvgpr_write_b32 a20, v22
	v_accvgpr_write_b32 a21, v23
.LBB384_689:                            ;   in Loop: Header=BB384_690 Depth=1
	s_or_b64 exec, exec, s[22:23]
	buffer_load_dword v0, off, s[0:3], s32 offset:208 ; 4-byte Folded Reload
	v_accvgpr_read_b32 v2, a12
	v_add_co_u32_e32 v14, vcc, 8, v14
	v_add_u32_e32 v2, 2, v2
	v_addc_co_u32_e32 v15, vcc, 0, v15, vcc
	v_accvgpr_read_b32 v1, a13
	v_add_u32_e32 v1, 64, v1
	v_accvgpr_write_b32 a12, v2
	v_add_u32_e32 v4, 0x100, v4
	s_waitcnt vmcnt(0)
	v_cmp_ge_i32_e32 vcc, v2, v0
	s_or_b64 s[12:13], vcc, s[12:13]
	s_andn2_b64 exec, exec, s[12:13]
	s_cbranch_execz .LBB384_1635
.LBB384_690:                            ; =>This Inner Loop Header: Depth=1
	s_waitcnt vmcnt(0)
	v_ashrrev_i32_e32 v0, 31, v1
	v_mov_b32_e32 v2, v1
	buffer_load_dword v1, off, s[0:3], s32 offset:204 ; 4-byte Folded Reload
	buffer_load_dword v5, off, s[0:3], s32 offset:200 ; 4-byte Folded Reload
	v_accvgpr_write_b32 a13, v2
	v_accvgpr_read_b32 v6, a24
	s_waitcnt vmcnt(1)
	v_xor_b32_e32 v0, v0, v1
	v_sub_u32_e32 v1, 0, v2
	v_max_i32_e32 v1, v2, v1
	buffer_load_dword v2, off, s[0:3], s32 offset:220 ; 4-byte Folded Reload
	s_waitcnt vmcnt(0)
	v_mul_hi_u32 v2, v1, v2
	v_mul_lo_u32 v3, v2, v5
	v_sub_u32_e32 v1, v1, v3
	v_add_u32_e32 v3, 1, v2
	v_cmp_ge_u32_e32 vcc, v1, v5
	v_cndmask_b32_e32 v2, v2, v3, vcc
	v_sub_u32_e32 v3, v1, v5
	v_cndmask_b32_e32 v1, v1, v3, vcc
	v_add_u32_e32 v3, 1, v2
	v_cmp_ge_u32_e32 vcc, v1, v5
	v_cndmask_b32_e32 v1, v2, v3, vcc
	buffer_load_dword v2, off, s[0:3], s32 offset:212 ; 4-byte Folded Reload
	buffer_load_dword v3, off, s[0:3], s32 offset:216 ; 4-byte Folded Reload
	v_xor_b32_e32 v1, v1, v0
	v_sub_u32_e32 v0, v1, v0
	s_waitcnt vmcnt(1)
	v_add_u32_e32 v1, v0, v2
	s_waitcnt vmcnt(0)
	v_sub_u32_e32 v3, 0, v1
	v_ashrrev_i32_e32 v2, 31, v1
	v_max_i32_e32 v1, v1, v3
	v_mul_hi_u32 v3, v1, v6
	v_mul_lo_u32 v3, v3, v39
	v_sub_u32_e32 v1, v1, v3
	v_sub_u32_e32 v3, v1, v39
	v_cmp_ge_u32_e32 vcc, v1, v39
	v_cndmask_b32_e32 v1, v1, v3, vcc
	v_sub_u32_e32 v3, v1, v39
	v_cmp_ge_u32_e32 vcc, v1, v39
	v_cndmask_b32_e32 v1, v1, v3, vcc
	v_xor_b32_e32 v1, v1, v2
	v_sub_u32_e32 v1, v1, v2
	v_cmp_eq_u32_e32 vcc, 0, v1
	buffer_load_dword v1, off, s[0:3], s32 offset:224 ; 4-byte Folded Reload
	s_waitcnt vmcnt(0)
	v_cmp_gt_i32_e64 s[4:5], v0, v1
	s_or_b64 s[4:5], vcc, s[4:5]
	s_and_saveexec_b64 s[22:23], s[4:5]
	s_cbranch_execz .LBB384_689
; %bb.691:                              ;   in Loop: Header=BB384_690 Depth=1
	flat_load_dword v5, v[14:15]
	ds_read2_b64 v[6:9], v4 offset1:1
	ds_read2_b64 v[0:3], v4 offset0:2 offset1:3
                                        ; implicit-def: $vgpr29
	s_waitcnt lgkmcnt(0)
	v_and_b32_e32 v10, 0x7f800000, v6
	v_cmp_ne_u32_e32 vcc, s15, v10
	s_and_saveexec_b64 s[4:5], vcc
	s_xor_b64 s[4:5], exec, s[4:5]
; %bb.692:                              ;   in Loop: Header=BB384_690 Depth=1
	v_bfe_u32 v10, v6, 16, 1
	v_add3_u32 v29, v6, v10, s30
; %bb.693:                              ;   in Loop: Header=BB384_690 Depth=1
	s_andn2_saveexec_b64 s[4:5], s[4:5]
; %bb.694:                              ;   in Loop: Header=BB384_690 Depth=1
	v_or_b32_e32 v10, 0x10000, v6
	v_cmp_eq_u32_sdwa vcc, v6, v11 src0_sel:WORD_0 src1_sel:DWORD
	v_cndmask_b32_e32 v29, v10, v6, vcc
; %bb.695:                              ;   in Loop: Header=BB384_690 Depth=1
	s_or_b64 exec, exec, s[4:5]
	v_and_b32_e32 v6, 0x7f800000, v7
	v_cmp_ne_u32_e32 vcc, s15, v6
                                        ; implicit-def: $vgpr27
	s_and_saveexec_b64 s[4:5], vcc
	s_xor_b64 s[4:5], exec, s[4:5]
; %bb.696:                              ;   in Loop: Header=BB384_690 Depth=1
	v_bfe_u32 v6, v7, 16, 1
	v_add3_u32 v27, v7, v6, s30
; %bb.697:                              ;   in Loop: Header=BB384_690 Depth=1
	s_andn2_saveexec_b64 s[4:5], s[4:5]
; %bb.698:                              ;   in Loop: Header=BB384_690 Depth=1
	v_or_b32_e32 v6, 0x10000, v7
	v_cmp_eq_u32_sdwa vcc, v7, v11 src0_sel:WORD_0 src1_sel:DWORD
	v_cndmask_b32_e32 v27, v6, v7, vcc
; %bb.699:                              ;   in Loop: Header=BB384_690 Depth=1
	s_or_b64 exec, exec, s[4:5]
	v_and_b32_e32 v6, 0x7f800000, v8
	v_cmp_ne_u32_e32 vcc, s15, v6
                                        ; implicit-def: $vgpr26
	s_and_saveexec_b64 s[4:5], vcc
	s_xor_b64 s[4:5], exec, s[4:5]
; %bb.700:                              ;   in Loop: Header=BB384_690 Depth=1
	v_bfe_u32 v6, v8, 16, 1
	v_add3_u32 v26, v8, v6, s30
; %bb.701:                              ;   in Loop: Header=BB384_690 Depth=1
	s_andn2_saveexec_b64 s[4:5], s[4:5]
; %bb.702:                              ;   in Loop: Header=BB384_690 Depth=1
	v_or_b32_e32 v6, 0x10000, v8
	v_cmp_eq_u32_sdwa vcc, v8, v11 src0_sel:WORD_0 src1_sel:DWORD
	v_cndmask_b32_e32 v26, v6, v8, vcc
; %bb.703:                              ;   in Loop: Header=BB384_690 Depth=1
	s_or_b64 exec, exec, s[4:5]
	v_and_b32_e32 v6, 0x7f800000, v9
	v_cmp_ne_u32_e32 vcc, s15, v6
                                        ; implicit-def: $vgpr22
	s_and_saveexec_b64 s[4:5], vcc
	s_xor_b64 s[4:5], exec, s[4:5]
; %bb.704:                              ;   in Loop: Header=BB384_690 Depth=1
	v_bfe_u32 v6, v9, 16, 1
	v_add3_u32 v22, v9, v6, s30
                                        ; implicit-def: $vgpr6_vgpr7_vgpr8_vgpr9
; %bb.705:                              ;   in Loop: Header=BB384_690 Depth=1
	s_andn2_saveexec_b64 s[4:5], s[4:5]
; %bb.706:                              ;   in Loop: Header=BB384_690 Depth=1
	v_or_b32_e32 v6, 0x10000, v9
	v_cmp_eq_u32_sdwa vcc, v9, v11 src0_sel:WORD_0 src1_sel:DWORD
	v_cndmask_b32_e32 v22, v6, v9, vcc
; %bb.707:                              ;   in Loop: Header=BB384_690 Depth=1
	s_or_b64 exec, exec, s[4:5]
	v_and_b32_e32 v6, 0x7f800000, v0
	v_cmp_ne_u32_e32 vcc, s15, v6
                                        ; implicit-def: $vgpr21
	s_and_saveexec_b64 s[4:5], vcc
	s_xor_b64 s[4:5], exec, s[4:5]
; %bb.708:                              ;   in Loop: Header=BB384_690 Depth=1
	v_bfe_u32 v6, v0, 16, 1
	v_add3_u32 v21, v0, v6, s30
; %bb.709:                              ;   in Loop: Header=BB384_690 Depth=1
	s_andn2_saveexec_b64 s[4:5], s[4:5]
; %bb.710:                              ;   in Loop: Header=BB384_690 Depth=1
	v_or_b32_e32 v6, 0x10000, v0
	v_cmp_eq_u32_sdwa vcc, v0, v11 src0_sel:WORD_0 src1_sel:DWORD
	v_cndmask_b32_e32 v21, v6, v0, vcc
; %bb.711:                              ;   in Loop: Header=BB384_690 Depth=1
	s_or_b64 exec, exec, s[4:5]
	v_and_b32_e32 v0, 0x7f800000, v1
	v_cmp_ne_u32_e32 vcc, s15, v0
                                        ; implicit-def: $vgpr20
	s_and_saveexec_b64 s[4:5], vcc
	s_xor_b64 s[4:5], exec, s[4:5]
; %bb.712:                              ;   in Loop: Header=BB384_690 Depth=1
	v_bfe_u32 v0, v1, 16, 1
	v_add3_u32 v20, v1, v0, s30
; %bb.713:                              ;   in Loop: Header=BB384_690 Depth=1
	s_andn2_saveexec_b64 s[4:5], s[4:5]
; %bb.714:                              ;   in Loop: Header=BB384_690 Depth=1
	v_or_b32_e32 v0, 0x10000, v1
	v_cmp_eq_u32_sdwa vcc, v1, v11 src0_sel:WORD_0 src1_sel:DWORD
	v_cndmask_b32_e32 v20, v0, v1, vcc
; %bb.715:                              ;   in Loop: Header=BB384_690 Depth=1
	s_or_b64 exec, exec, s[4:5]
	v_and_b32_e32 v0, 0x7f800000, v2
	v_cmp_ne_u32_e32 vcc, s15, v0
                                        ; implicit-def: $vgpr9
	s_and_saveexec_b64 s[4:5], vcc
	s_xor_b64 s[4:5], exec, s[4:5]
; %bb.716:                              ;   in Loop: Header=BB384_690 Depth=1
	v_bfe_u32 v0, v2, 16, 1
	v_add3_u32 v9, v2, v0, s30
; %bb.717:                              ;   in Loop: Header=BB384_690 Depth=1
	s_andn2_saveexec_b64 s[4:5], s[4:5]
; %bb.718:                              ;   in Loop: Header=BB384_690 Depth=1
	v_or_b32_e32 v0, 0x10000, v2
	v_cmp_eq_u32_sdwa vcc, v2, v11 src0_sel:WORD_0 src1_sel:DWORD
	v_cndmask_b32_e32 v9, v0, v2, vcc
; %bb.719:                              ;   in Loop: Header=BB384_690 Depth=1
	s_or_b64 exec, exec, s[4:5]
	v_and_b32_e32 v0, 0x7f800000, v3
	v_cmp_ne_u32_e32 vcc, s15, v0
                                        ; implicit-def: $vgpr8
	s_and_saveexec_b64 s[4:5], vcc
	s_xor_b64 s[4:5], exec, s[4:5]
; %bb.720:                              ;   in Loop: Header=BB384_690 Depth=1
	v_bfe_u32 v0, v3, 16, 1
	v_add3_u32 v8, v3, v0, s30
                                        ; implicit-def: $vgpr0_vgpr1_vgpr2_vgpr3
; %bb.721:                              ;   in Loop: Header=BB384_690 Depth=1
	s_andn2_saveexec_b64 s[4:5], s[4:5]
; %bb.722:                              ;   in Loop: Header=BB384_690 Depth=1
	v_or_b32_e32 v0, 0x10000, v3
	v_cmp_eq_u32_sdwa vcc, v3, v11 src0_sel:WORD_0 src1_sel:DWORD
	v_cndmask_b32_e32 v8, v0, v3, vcc
; %bb.723:                              ;   in Loop: Header=BB384_690 Depth=1
	s_or_b64 exec, exec, s[4:5]
	buffer_load_dword v0, off, s[0:3], s32 offset:228 ; 4-byte Folded Reload
	buffer_load_dword v1, off, s[0:3], s32 offset:232 ; 4-byte Folded Reload
	v_accvgpr_read_b32 v2, a26
	v_accvgpr_read_b32 v3, a27
	s_waitcnt vmcnt(0)
	v_mad_i64_i32 v[0:1], s[4:5], v5, v0, v[2:3]
	flat_load_dwordx2 v[2:3], v[0:1]
	buffer_load_dword v6, off, s[0:3], s32 offset:276 ; 4-byte Folded Reload
	buffer_load_dword v7, off, s[0:3], s32 offset:280 ; 4-byte Folded Reload
	v_mov_b32_e32 v5, 0
	s_waitcnt vmcnt(0) lgkmcnt(0)
	v_cmp_ne_u16_sdwa s[24:25], v2, v11 src0_sel:BYTE_0 src1_sel:DWORD
	flat_load_dword v7, v[6:7]
	s_and_saveexec_b64 s[4:5], s[24:25]
	s_cbranch_execz .LBB384_729
; %bb.724:                              ;   in Loop: Header=BB384_690 Depth=1
	v_cmp_ne_u16_sdwa s[26:27], v2, s31 src0_sel:BYTE_0 src1_sel:DWORD
	v_bfrev_b32_e32 v5, 1
	s_and_saveexec_b64 s[24:25], s[26:27]
	s_cbranch_execz .LBB384_728
; %bb.725:                              ;   in Loop: Header=BB384_690 Depth=1
	v_and_b32_e32 v6, 0x7f, v2
	v_cmp_ne_u32_e32 vcc, s34, v6
	v_mov_b32_e32 v5, 0x7f800001
	s_and_saveexec_b64 s[26:27], vcc
	s_cbranch_execz .LBB384_727
; %bb.726:                              ;   in Loop: Header=BB384_690 Depth=1
	v_and_b32_e32 v5, 7, v2
	v_ffbh_u32_e32 v5, v5
	v_min_u32_e32 v5, 32, v5
	v_subrev_u32_e32 v12, 28, v5
	v_cmp_gt_u32_e32 vcc, 8, v6
	v_lshrrev_b32_e32 v10, 3, v6
	v_cndmask_b32_e32 v6, 0, v12, vcc
	v_sub_u32_e32 v5, 29, v5
	v_lshlrev_b64 v[30:31], v6, v[2:3]
	v_cndmask_b32_e32 v5, v10, v5, vcc
	v_lshlrev_b32_e32 v6, 20, v30
	v_lshlrev_b32_e32 v10, 24, v2
	v_and_b32_e32 v6, 0x700000, v6
	v_and_b32_e32 v10, 0x80000000, v10
	v_lshl_add_u32 v5, v5, 23, v28
	v_or3_b32 v5, v10, v5, v6
.LBB384_727:                            ;   in Loop: Header=BB384_690 Depth=1
	s_or_b64 exec, exec, s[26:27]
.LBB384_728:                            ;   in Loop: Header=BB384_690 Depth=1
	s_or_b64 exec, exec, s[24:25]
.LBB384_729:                            ;   in Loop: Header=BB384_690 Depth=1
	s_or_b64 exec, exec, s[4:5]
	s_waitcnt vmcnt(0) lgkmcnt(0)
	v_mul_f32_e32 v5, v7, v5
	v_and_b32_e32 v6, 0x7f800000, v5
	v_cmp_ne_u32_e32 vcc, s15, v6
                                        ; implicit-def: $vgpr30
	s_and_saveexec_b64 s[4:5], vcc
	s_xor_b64 s[4:5], exec, s[4:5]
; %bb.730:                              ;   in Loop: Header=BB384_690 Depth=1
	v_bfe_u32 v6, v5, 16, 1
	v_add3_u32 v30, v5, v6, s30
                                        ; implicit-def: $vgpr5
; %bb.731:                              ;   in Loop: Header=BB384_690 Depth=1
	s_andn2_saveexec_b64 s[4:5], s[4:5]
; %bb.732:                              ;   in Loop: Header=BB384_690 Depth=1
	v_or_b32_e32 v6, 0x10000, v5
	v_cmp_eq_u32_sdwa vcc, v5, v11 src0_sel:WORD_0 src1_sel:DWORD
	v_cndmask_b32_e32 v30, v6, v5, vcc
; %bb.733:                              ;   in Loop: Header=BB384_690 Depth=1
	s_or_b64 exec, exec, s[4:5]
	v_lshrrev_b16_e32 v6, 8, v2
	v_cmp_ne_u16_e32 vcc, 0, v6
	v_mov_b32_e32 v5, 0
	s_and_saveexec_b64 s[4:5], vcc
	s_cbranch_execz .LBB384_739
; %bb.734:                              ;   in Loop: Header=BB384_690 Depth=1
	v_cmp_ne_u16_e32 vcc, s31, v6
	v_bfrev_b32_e32 v5, 1
	s_and_saveexec_b64 s[24:25], vcc
	s_cbranch_execz .LBB384_738
; %bb.735:                              ;   in Loop: Header=BB384_690 Depth=1
	v_and_b32_e32 v10, 0x7f, v6
	v_cmp_ne_u32_e32 vcc, s34, v10
	v_mov_b32_e32 v5, 0x7f800001
	s_and_saveexec_b64 s[26:27], vcc
	s_cbranch_execz .LBB384_737
; %bb.736:                              ;   in Loop: Header=BB384_690 Depth=1
	v_and_b32_e32 v5, 7, v6
	v_ffbh_u32_e32 v13, v5
	v_min_u32_e32 v13, 32, v13
	v_subrev_u32_e32 v23, 28, v13
	v_lshlrev_b64 v[32:33], v23, v[6:7]
	v_lshrrev_b32_e32 v12, 3, v10
	v_sub_u32_e32 v6, 29, v13
	v_and_b32_e32 v13, 7, v32
	v_cmp_gt_u32_e32 vcc, 8, v10
	v_cndmask_b32_e32 v6, v12, v6, vcc
	v_cndmask_b32_e32 v5, v5, v13, vcc
	v_lshlrev_b32_e32 v10, 16, v2
	v_lshlrev_b32_e32 v5, 20, v5
	v_and_b32_e32 v10, 0x80000000, v10
	v_lshl_add_u32 v6, v6, 23, v28
	v_or3_b32 v5, v10, v6, v5
.LBB384_737:                            ;   in Loop: Header=BB384_690 Depth=1
	s_or_b64 exec, exec, s[26:27]
.LBB384_738:                            ;   in Loop: Header=BB384_690 Depth=1
	s_or_b64 exec, exec, s[24:25]
.LBB384_739:                            ;   in Loop: Header=BB384_690 Depth=1
	s_or_b64 exec, exec, s[4:5]
	v_mul_f32_e32 v5, v7, v5
	v_and_b32_e32 v6, 0x7f800000, v5
	v_cmp_ne_u32_e32 vcc, s15, v6
                                        ; implicit-def: $vgpr31
	s_and_saveexec_b64 s[4:5], vcc
	s_xor_b64 s[4:5], exec, s[4:5]
; %bb.740:                              ;   in Loop: Header=BB384_690 Depth=1
	v_bfe_u32 v6, v5, 16, 1
	v_add3_u32 v31, v5, v6, s30
                                        ; implicit-def: $vgpr5
; %bb.741:                              ;   in Loop: Header=BB384_690 Depth=1
	s_andn2_saveexec_b64 s[4:5], s[4:5]
; %bb.742:                              ;   in Loop: Header=BB384_690 Depth=1
	v_or_b32_e32 v6, 0x10000, v5
	v_cmp_eq_u32_sdwa vcc, v5, v11 src0_sel:WORD_0 src1_sel:DWORD
	v_cndmask_b32_e32 v31, v6, v5, vcc
; %bb.743:                              ;   in Loop: Header=BB384_690 Depth=1
	s_or_b64 exec, exec, s[4:5]
	v_lshrrev_b32_e32 v6, 16, v2
	v_cmp_ne_u16_sdwa s[24:25], v6, v11 src0_sel:BYTE_0 src1_sel:DWORD
	v_mov_b32_e32 v5, 0
	s_and_saveexec_b64 s[4:5], s[24:25]
	s_cbranch_execz .LBB384_749
; %bb.744:                              ;   in Loop: Header=BB384_690 Depth=1
	v_cmp_ne_u16_sdwa s[26:27], v6, s31 src0_sel:BYTE_0 src1_sel:DWORD
	v_bfrev_b32_e32 v5, 1
	s_and_saveexec_b64 s[24:25], s[26:27]
	s_cbranch_execz .LBB384_748
; %bb.745:                              ;   in Loop: Header=BB384_690 Depth=1
	v_bfe_u32 v10, v2, 16, 7
	v_cmp_ne_u32_e32 vcc, s34, v10
	v_mov_b32_e32 v5, 0x7f800001
	s_and_saveexec_b64 s[26:27], vcc
	s_cbranch_execz .LBB384_747
; %bb.746:                              ;   in Loop: Header=BB384_690 Depth=1
	v_and_b32_e32 v5, 7, v6
	v_ffbh_u32_e32 v13, v5
	v_min_u32_e32 v13, 32, v13
	v_subrev_u32_e32 v23, 28, v13
	v_lshlrev_b64 v[32:33], v23, v[6:7]
	v_lshrrev_b32_e32 v12, 3, v10
	v_sub_u32_e32 v13, 29, v13
	v_and_b32_e32 v23, 7, v32
	v_cmp_gt_u32_e32 vcc, 8, v10
	v_cndmask_b32_e32 v10, v12, v13, vcc
	v_cndmask_b32_e32 v5, v5, v23, vcc
	v_lshlrev_b32_e32 v6, 24, v6
	v_lshlrev_b32_e32 v5, 20, v5
	v_and_b32_e32 v6, 0x80000000, v6
	v_lshl_add_u32 v10, v10, 23, v28
	v_or3_b32 v5, v6, v10, v5
.LBB384_747:                            ;   in Loop: Header=BB384_690 Depth=1
	s_or_b64 exec, exec, s[26:27]
.LBB384_748:                            ;   in Loop: Header=BB384_690 Depth=1
	s_or_b64 exec, exec, s[24:25]
.LBB384_749:                            ;   in Loop: Header=BB384_690 Depth=1
	s_or_b64 exec, exec, s[4:5]
	v_mul_f32_e32 v5, v7, v5
	v_and_b32_e32 v6, 0x7f800000, v5
	v_cmp_ne_u32_e32 vcc, s15, v6
                                        ; implicit-def: $vgpr32
	s_and_saveexec_b64 s[4:5], vcc
	s_xor_b64 s[4:5], exec, s[4:5]
; %bb.750:                              ;   in Loop: Header=BB384_690 Depth=1
	v_bfe_u32 v6, v5, 16, 1
	v_add3_u32 v32, v5, v6, s30
                                        ; implicit-def: $vgpr5
; %bb.751:                              ;   in Loop: Header=BB384_690 Depth=1
	s_andn2_saveexec_b64 s[4:5], s[4:5]
; %bb.752:                              ;   in Loop: Header=BB384_690 Depth=1
	v_or_b32_e32 v6, 0x10000, v5
	v_cmp_eq_u32_sdwa vcc, v5, v11 src0_sel:WORD_0 src1_sel:DWORD
	v_cndmask_b32_e32 v32, v6, v5, vcc
; %bb.753:                              ;   in Loop: Header=BB384_690 Depth=1
	s_or_b64 exec, exec, s[4:5]
	v_cmp_lt_u32_e32 vcc, s11, v2
	v_mov_b32_e32 v5, 0
	s_and_saveexec_b64 s[4:5], vcc
	s_cbranch_execz .LBB384_759
; %bb.754:                              ;   in Loop: Header=BB384_690 Depth=1
	v_lshrrev_b32_e32 v6, 24, v2
	v_cmp_ne_u32_e32 vcc, s31, v6
	v_bfrev_b32_e32 v5, 1
	s_and_saveexec_b64 s[24:25], vcc
	s_cbranch_execz .LBB384_758
; %bb.755:                              ;   in Loop: Header=BB384_690 Depth=1
	v_bfe_u32 v10, v2, 24, 7
	v_cmp_ne_u32_e32 vcc, s34, v10
	v_mov_b32_e32 v5, 0x7f800001
	s_and_saveexec_b64 s[26:27], vcc
	s_cbranch_execz .LBB384_757
; %bb.756:                              ;   in Loop: Header=BB384_690 Depth=1
	v_and_b32_e32 v5, 7, v6
	v_ffbh_u32_e32 v13, v5
	v_min_u32_e32 v13, 32, v13
	v_subrev_u32_e32 v23, 28, v13
	v_lshlrev_b64 v[34:35], v23, v[6:7]
	v_lshrrev_b32_e32 v12, 3, v10
	v_sub_u32_e32 v13, 29, v13
	v_and_b32_e32 v23, 7, v34
	v_cmp_gt_u32_e32 vcc, 8, v10
	v_cndmask_b32_e32 v10, v12, v13, vcc
	v_cndmask_b32_e32 v5, v5, v23, vcc
	v_lshlrev_b32_e32 v6, 24, v6
	v_lshlrev_b32_e32 v5, 20, v5
	v_and_b32_e32 v6, 0x80000000, v6
	v_lshl_add_u32 v10, v10, 23, v28
	v_or3_b32 v5, v6, v10, v5
.LBB384_757:                            ;   in Loop: Header=BB384_690 Depth=1
	s_or_b64 exec, exec, s[26:27]
.LBB384_758:                            ;   in Loop: Header=BB384_690 Depth=1
	s_or_b64 exec, exec, s[24:25]
.LBB384_759:                            ;   in Loop: Header=BB384_690 Depth=1
	s_or_b64 exec, exec, s[4:5]
	v_mul_f32_e32 v5, v7, v5
	v_and_b32_e32 v6, 0x7f800000, v5
	v_cmp_ne_u32_e32 vcc, s15, v6
                                        ; implicit-def: $vgpr33
	s_and_saveexec_b64 s[4:5], vcc
	s_xor_b64 s[4:5], exec, s[4:5]
; %bb.760:                              ;   in Loop: Header=BB384_690 Depth=1
	v_bfe_u32 v6, v5, 16, 1
	v_add3_u32 v33, v5, v6, s30
                                        ; implicit-def: $vgpr5
; %bb.761:                              ;   in Loop: Header=BB384_690 Depth=1
	s_andn2_saveexec_b64 s[4:5], s[4:5]
; %bb.762:                              ;   in Loop: Header=BB384_690 Depth=1
	v_or_b32_e32 v6, 0x10000, v5
	v_cmp_eq_u32_sdwa vcc, v5, v11 src0_sel:WORD_0 src1_sel:DWORD
	v_cndmask_b32_e32 v33, v6, v5, vcc
; %bb.763:                              ;   in Loop: Header=BB384_690 Depth=1
	s_or_b64 exec, exec, s[4:5]
	v_mov_b32_e32 v10, v3
	v_cmp_ne_u16_sdwa s[24:25], v3, v11 src0_sel:BYTE_0 src1_sel:DWORD
	v_mov_b32_e32 v5, 0
	s_and_saveexec_b64 s[4:5], s[24:25]
	s_cbranch_execz .LBB384_769
; %bb.764:                              ;   in Loop: Header=BB384_690 Depth=1
	v_cmp_ne_u16_sdwa s[26:27], v3, s31 src0_sel:BYTE_0 src1_sel:DWORD
	v_bfrev_b32_e32 v5, 1
	s_and_saveexec_b64 s[24:25], s[26:27]
	s_cbranch_execz .LBB384_768
; %bb.765:                              ;   in Loop: Header=BB384_690 Depth=1
	v_and_b32_e32 v6, 0x7f, v3
	v_cmp_ne_u32_e32 vcc, s34, v6
	v_mov_b32_e32 v5, 0x7f800001
	s_and_saveexec_b64 s[26:27], vcc
	s_cbranch_execz .LBB384_767
; %bb.766:                              ;   in Loop: Header=BB384_690 Depth=1
	v_and_b32_e32 v5, 7, v3
	v_ffbh_u32_e32 v5, v5
	v_min_u32_e32 v5, 32, v5
	v_subrev_u32_e32 v13, 28, v5
	v_cmp_gt_u32_e32 vcc, 8, v6
	v_lshrrev_b32_e32 v12, 3, v6
	v_cndmask_b32_e32 v6, 0, v13, vcc
	v_sub_u32_e32 v5, 29, v5
	v_lshlrev_b64 v[34:35], v6, v[10:11]
	v_cndmask_b32_e32 v5, v12, v5, vcc
	v_lshlrev_b32_e32 v6, 20, v34
	v_lshlrev_b32_e32 v12, 24, v10
	v_and_b32_e32 v6, 0x700000, v6
	v_and_b32_e32 v12, 0x80000000, v12
	v_lshl_add_u32 v5, v5, 23, v28
	v_or3_b32 v5, v12, v5, v6
.LBB384_767:                            ;   in Loop: Header=BB384_690 Depth=1
	s_or_b64 exec, exec, s[26:27]
.LBB384_768:                            ;   in Loop: Header=BB384_690 Depth=1
	s_or_b64 exec, exec, s[24:25]
.LBB384_769:                            ;   in Loop: Header=BB384_690 Depth=1
	s_or_b64 exec, exec, s[4:5]
	v_mul_f32_e32 v5, v7, v5
	v_and_b32_e32 v6, 0x7f800000, v5
	v_cmp_ne_u32_e32 vcc, s15, v6
                                        ; implicit-def: $vgpr34
	s_and_saveexec_b64 s[4:5], vcc
	s_xor_b64 s[4:5], exec, s[4:5]
; %bb.770:                              ;   in Loop: Header=BB384_690 Depth=1
	v_bfe_u32 v6, v5, 16, 1
	v_add3_u32 v34, v5, v6, s30
                                        ; implicit-def: $vgpr5
; %bb.771:                              ;   in Loop: Header=BB384_690 Depth=1
	s_andn2_saveexec_b64 s[4:5], s[4:5]
; %bb.772:                              ;   in Loop: Header=BB384_690 Depth=1
	v_or_b32_e32 v6, 0x10000, v5
	v_cmp_eq_u32_sdwa vcc, v5, v11 src0_sel:WORD_0 src1_sel:DWORD
	v_cndmask_b32_e32 v34, v6, v5, vcc
; %bb.773:                              ;   in Loop: Header=BB384_690 Depth=1
	s_or_b64 exec, exec, s[4:5]
	v_lshrrev_b16_e32 v6, 8, v10
	v_cmp_ne_u16_e32 vcc, 0, v6
	v_mov_b32_e32 v5, 0
	s_and_saveexec_b64 s[4:5], vcc
	s_cbranch_execz .LBB384_779
; %bb.774:                              ;   in Loop: Header=BB384_690 Depth=1
	v_cmp_ne_u16_e32 vcc, s31, v6
	v_bfrev_b32_e32 v5, 1
	s_and_saveexec_b64 s[24:25], vcc
	s_cbranch_execz .LBB384_778
; %bb.775:                              ;   in Loop: Header=BB384_690 Depth=1
	v_and_b32_e32 v35, 0x7f, v6
	v_cmp_ne_u32_e32 vcc, s34, v35
	v_mov_b32_e32 v5, 0x7f800001
	s_and_saveexec_b64 s[26:27], vcc
	s_cbranch_execz .LBB384_777
; %bb.776:                              ;   in Loop: Header=BB384_690 Depth=1
	v_and_b32_e32 v5, 7, v6
	v_ffbh_u32_e32 v13, v5
	v_min_u32_e32 v13, 32, v13
	v_subrev_u32_e32 v23, 28, v13
	v_lshlrev_b64 v[36:37], v23, v[6:7]
	v_lshrrev_b32_e32 v12, 3, v35
	v_sub_u32_e32 v6, 29, v13
	v_and_b32_e32 v13, 7, v36
	v_cmp_gt_u32_e32 vcc, 8, v35
	v_cndmask_b32_e32 v6, v12, v6, vcc
	v_cndmask_b32_e32 v5, v5, v13, vcc
	v_lshlrev_b32_e32 v10, 16, v10
	v_lshlrev_b32_e32 v5, 20, v5
	v_and_b32_e32 v10, 0x80000000, v10
	v_lshl_add_u32 v6, v6, 23, v28
	v_or3_b32 v5, v10, v6, v5
.LBB384_777:                            ;   in Loop: Header=BB384_690 Depth=1
	s_or_b64 exec, exec, s[26:27]
.LBB384_778:                            ;   in Loop: Header=BB384_690 Depth=1
	s_or_b64 exec, exec, s[24:25]
.LBB384_779:                            ;   in Loop: Header=BB384_690 Depth=1
	s_or_b64 exec, exec, s[4:5]
	v_mul_f32_e32 v6, v7, v5
	v_and_b32_e32 v5, 0x7f800000, v6
	v_cmp_ne_u32_e32 vcc, s15, v5
                                        ; implicit-def: $vgpr5
	s_and_saveexec_b64 s[4:5], vcc
	s_xor_b64 s[4:5], exec, s[4:5]
; %bb.780:                              ;   in Loop: Header=BB384_690 Depth=1
	v_bfe_u32 v5, v6, 16, 1
	v_add3_u32 v5, v6, v5, s30
                                        ; implicit-def: $vgpr6
; %bb.781:                              ;   in Loop: Header=BB384_690 Depth=1
	s_andn2_saveexec_b64 s[4:5], s[4:5]
; %bb.782:                              ;   in Loop: Header=BB384_690 Depth=1
	v_or_b32_e32 v5, 0x10000, v6
	v_cmp_eq_u32_sdwa vcc, v6, v11 src0_sel:WORD_0 src1_sel:DWORD
	v_cndmask_b32_e32 v5, v5, v6, vcc
; %bb.783:                              ;   in Loop: Header=BB384_690 Depth=1
	s_or_b64 exec, exec, s[4:5]
	v_lshrrev_b32_e32 v6, 16, v3
	v_cmp_ne_u16_sdwa s[24:25], v6, v11 src0_sel:BYTE_0 src1_sel:DWORD
	v_mov_b32_e32 v10, 0
	s_and_saveexec_b64 s[4:5], s[24:25]
	s_cbranch_execz .LBB384_789
; %bb.784:                              ;   in Loop: Header=BB384_690 Depth=1
	v_cmp_ne_u16_sdwa s[26:27], v6, s31 src0_sel:BYTE_0 src1_sel:DWORD
	v_bfrev_b32_e32 v10, 1
	s_and_saveexec_b64 s[24:25], s[26:27]
	s_cbranch_execz .LBB384_788
; %bb.785:                              ;   in Loop: Header=BB384_690 Depth=1
	v_bfe_u32 v35, v3, 16, 7
	v_cmp_ne_u32_e32 vcc, s34, v35
	v_mov_b32_e32 v10, 0x7f800001
	s_and_saveexec_b64 s[26:27], vcc
	s_cbranch_execz .LBB384_787
; %bb.786:                              ;   in Loop: Header=BB384_690 Depth=1
	v_and_b32_e32 v10, 7, v6
	v_ffbh_u32_e32 v13, v10
	v_min_u32_e32 v13, 32, v13
	v_subrev_u32_e32 v23, 28, v13
	v_lshlrev_b64 v[36:37], v23, v[6:7]
	v_lshrrev_b32_e32 v12, 3, v35
	v_sub_u32_e32 v13, 29, v13
	v_and_b32_e32 v23, 7, v36
	v_cmp_gt_u32_e32 vcc, 8, v35
	v_cndmask_b32_e32 v12, v12, v13, vcc
	v_cndmask_b32_e32 v10, v10, v23, vcc
	v_lshlrev_b32_e32 v6, 24, v6
	v_lshlrev_b32_e32 v10, 20, v10
	v_and_b32_e32 v6, 0x80000000, v6
	v_lshl_add_u32 v12, v12, 23, v28
	v_or3_b32 v10, v6, v12, v10
.LBB384_787:                            ;   in Loop: Header=BB384_690 Depth=1
	s_or_b64 exec, exec, s[26:27]
.LBB384_788:                            ;   in Loop: Header=BB384_690 Depth=1
	s_or_b64 exec, exec, s[24:25]
.LBB384_789:                            ;   in Loop: Header=BB384_690 Depth=1
	s_or_b64 exec, exec, s[4:5]
	v_mul_f32_e32 v6, v7, v10
	v_and_b32_e32 v10, 0x7f800000, v6
	v_cmp_ne_u32_e32 vcc, s15, v10
                                        ; implicit-def: $vgpr35
	s_and_saveexec_b64 s[4:5], vcc
	s_xor_b64 s[4:5], exec, s[4:5]
; %bb.790:                              ;   in Loop: Header=BB384_690 Depth=1
	v_bfe_u32 v10, v6, 16, 1
	v_add3_u32 v35, v6, v10, s30
                                        ; implicit-def: $vgpr6
; %bb.791:                              ;   in Loop: Header=BB384_690 Depth=1
	s_andn2_saveexec_b64 s[4:5], s[4:5]
; %bb.792:                              ;   in Loop: Header=BB384_690 Depth=1
	v_or_b32_e32 v10, 0x10000, v6
	v_cmp_eq_u32_sdwa vcc, v6, v11 src0_sel:WORD_0 src1_sel:DWORD
	v_cndmask_b32_e32 v35, v10, v6, vcc
; %bb.793:                              ;   in Loop: Header=BB384_690 Depth=1
	s_or_b64 exec, exec, s[4:5]
	v_cmp_lt_u64_e32 vcc, s[10:11], v[2:3]
	v_mov_b32_e32 v6, 0
	s_and_saveexec_b64 s[4:5], vcc
	s_cbranch_execz .LBB384_799
; %bb.794:                              ;   in Loop: Header=BB384_690 Depth=1
	v_lshrrev_b32_e32 v2, 24, v3
	v_cmp_ne_u32_e32 vcc, s31, v2
	v_bfrev_b32_e32 v6, 1
	s_and_saveexec_b64 s[24:25], vcc
	s_cbranch_execz .LBB384_798
; %bb.795:                              ;   in Loop: Header=BB384_690 Depth=1
	v_bfe_u32 v3, v3, 24, 7
	v_cmp_ne_u32_e32 vcc, s34, v3
	v_mov_b32_e32 v6, 0x7f800001
	s_and_saveexec_b64 s[26:27], vcc
	s_cbranch_execz .LBB384_797
; %bb.796:                              ;   in Loop: Header=BB384_690 Depth=1
	v_and_b32_e32 v6, 7, v2
	v_ffbh_u32_e32 v12, v6
	v_min_u32_e32 v12, 32, v12
	v_subrev_u32_e32 v13, 28, v12
	v_lshlrev_b64 v[36:37], v13, v[2:3]
	v_lshrrev_b32_e32 v10, 3, v3
	v_sub_u32_e32 v12, 29, v12
	v_and_b32_e32 v13, 7, v36
	v_cmp_gt_u32_e32 vcc, 8, v3
	v_cndmask_b32_e32 v3, v10, v12, vcc
	v_cndmask_b32_e32 v6, v6, v13, vcc
	v_lshlrev_b32_e32 v2, 24, v2
	v_lshlrev_b32_e32 v6, 20, v6
	v_and_b32_e32 v2, 0x80000000, v2
	v_lshl_add_u32 v3, v3, 23, v28
	v_or3_b32 v6, v2, v3, v6
.LBB384_797:                            ;   in Loop: Header=BB384_690 Depth=1
	s_or_b64 exec, exec, s[26:27]
.LBB384_798:                            ;   in Loop: Header=BB384_690 Depth=1
	s_or_b64 exec, exec, s[24:25]
.LBB384_799:                            ;   in Loop: Header=BB384_690 Depth=1
	s_or_b64 exec, exec, s[4:5]
	v_mul_f32_e32 v3, v7, v6
	v_and_b32_e32 v2, 0x7f800000, v3
	v_cmp_ne_u32_e32 vcc, s15, v2
                                        ; implicit-def: $vgpr2
	s_and_saveexec_b64 s[4:5], vcc
	s_xor_b64 s[4:5], exec, s[4:5]
; %bb.800:                              ;   in Loop: Header=BB384_690 Depth=1
	v_bfe_u32 v2, v3, 16, 1
	v_add3_u32 v2, v3, v2, s30
                                        ; implicit-def: $vgpr3
; %bb.801:                              ;   in Loop: Header=BB384_690 Depth=1
	s_andn2_saveexec_b64 s[4:5], s[4:5]
; %bb.802:                              ;   in Loop: Header=BB384_690 Depth=1
	v_or_b32_e32 v2, 0x10000, v3
	v_cmp_eq_u32_sdwa vcc, v3, v11 src0_sel:WORD_0 src1_sel:DWORD
	v_cndmask_b32_e32 v2, v2, v3, vcc
; %bb.803:                              ;   in Loop: Header=BB384_690 Depth=1
	s_or_b64 exec, exec, s[4:5]
	v_accvgpr_read_b32 v6, a12
	v_accvgpr_read_b32 v3, a22
	v_cmp_eq_u32_e32 vcc, v3, v6
	v_accvgpr_read_b32 v3, a13
	v_accvgpr_read_b32 v6, a19
	v_add_u32_e32 v54, v6, v3
	v_add_u32_e32 v12, 1, v54
	v_accvgpr_write_b32 a39, v12
	v_add_u32_e32 v12, 2, v54
	v_accvgpr_write_b32 a38, v12
	;; [unrolled: 2-line block ×5, first 2 shown]
	v_add_u32_e32 v12, 6, v54
	v_lshrrev_b32_e32 v5, 16, v5
	v_lshrrev_b32_e32 v6, 16, v34
	;; [unrolled: 1-line block ×8, first 2 shown]
	v_accvgpr_write_b32 a34, v12
	v_add_u32_e32 v23, 7, v54
	s_and_saveexec_b64 s[24:25], vcc
	s_cbranch_execz .LBB384_805
; %bb.804:                              ;   in Loop: Header=BB384_690 Depth=1
	buffer_load_dword v12, off, s[0:3], s32 offset:196 ; 4-byte Folded Reload
	v_accvgpr_read_b32 v13, a39
	s_waitcnt vmcnt(0)
	v_cmp_lt_i32_e64 s[4:5], v54, v12
	v_cndmask_b32_e64 v30, 0, v30, s[4:5]
	v_cmp_lt_i32_e64 s[4:5], v13, v12
	v_accvgpr_read_b32 v13, a38
	v_cndmask_b32_e64 v31, 0, v31, s[4:5]
	v_cmp_lt_i32_e64 s[4:5], v13, v12
	v_accvgpr_read_b32 v13, a37
	;; [unrolled: 3-line block ×5, first 2 shown]
	v_cndmask_b32_e64 v5, 0, v5, s[4:5]
	v_cmp_lt_i32_e64 s[4:5], v13, v12
	v_cndmask_b32_e64 v3, 0, v3, s[4:5]
	v_cmp_lt_i32_e64 s[4:5], v23, v12
	v_cndmask_b32_e64 v2, 0, v2, s[4:5]
.LBB384_805:                            ;   in Loop: Header=BB384_690 Depth=1
	s_or_b64 exec, exec, s[24:25]
	v_and_b32_e32 v57, 0xffff0000, v29
	v_lshlrev_b32_e32 v12, 16, v30
	v_mul_f32_e32 v29, v57, v12
	v_and_b32_e32 v12, 0x7f800000, v29
	v_cmp_ne_u32_e64 s[4:5], s15, v12
                                        ; implicit-def: $agpr15
	s_and_saveexec_b64 s[24:25], s[4:5]
	s_xor_b64 s[4:5], exec, s[24:25]
; %bb.806:                              ;   in Loop: Header=BB384_690 Depth=1
	v_bfe_u32 v12, v29, 16, 1
	v_add3_u32 v12, v29, v12, s30
	v_accvgpr_write_b32 a15, v12
                                        ; implicit-def: $vgpr29
; %bb.807:                              ;   in Loop: Header=BB384_690 Depth=1
	s_andn2_saveexec_b64 s[24:25], s[4:5]
; %bb.808:                              ;   in Loop: Header=BB384_690 Depth=1
	v_or_b32_e32 v12, 0x10000, v29
	v_cmp_eq_u32_sdwa s[4:5], v29, v11 src0_sel:WORD_0 src1_sel:DWORD
	v_cndmask_b32_e64 v12, v12, v29, s[4:5]
	v_accvgpr_write_b32 a15, v12
; %bb.809:                              ;   in Loop: Header=BB384_690 Depth=1
	s_or_b64 exec, exec, s[24:25]
	v_and_b32_e32 v58, 0xffff0000, v27
	v_lshlrev_b32_e32 v12, 16, v31
	v_mul_f32_e32 v27, v58, v12
	v_and_b32_e32 v12, 0x7f800000, v27
	v_cmp_ne_u32_e64 s[4:5], s15, v12
                                        ; implicit-def: $agpr23
	s_and_saveexec_b64 s[24:25], s[4:5]
	s_xor_b64 s[4:5], exec, s[24:25]
; %bb.810:                              ;   in Loop: Header=BB384_690 Depth=1
	v_bfe_u32 v12, v27, 16, 1
	v_add3_u32 v12, v27, v12, s30
	v_accvgpr_write_b32 a23, v12
                                        ; implicit-def: $vgpr27
; %bb.811:                              ;   in Loop: Header=BB384_690 Depth=1
	s_andn2_saveexec_b64 s[24:25], s[4:5]
; %bb.812:                              ;   in Loop: Header=BB384_690 Depth=1
	v_or_b32_e32 v12, 0x10000, v27
	v_cmp_eq_u32_sdwa s[4:5], v27, v11 src0_sel:WORD_0 src1_sel:DWORD
	v_cndmask_b32_e64 v12, v12, v27, s[4:5]
	v_accvgpr_write_b32 a23, v12
; %bb.813:                              ;   in Loop: Header=BB384_690 Depth=1
	s_or_b64 exec, exec, s[24:25]
	v_and_b32_e32 v60, 0xffff0000, v26
	v_lshlrev_b32_e32 v12, 16, v32
	v_mul_f32_e32 v26, v60, v12
	v_and_b32_e32 v12, 0x7f800000, v26
	v_cmp_ne_u32_e64 s[4:5], s15, v12
                                        ; implicit-def: $agpr25
	s_and_saveexec_b64 s[24:25], s[4:5]
	s_xor_b64 s[4:5], exec, s[24:25]
; %bb.814:                              ;   in Loop: Header=BB384_690 Depth=1
	v_bfe_u32 v12, v26, 16, 1
	v_add3_u32 v12, v26, v12, s30
	v_accvgpr_write_b32 a25, v12
                                        ; implicit-def: $vgpr26
; %bb.815:                              ;   in Loop: Header=BB384_690 Depth=1
	s_andn2_saveexec_b64 s[24:25], s[4:5]
; %bb.816:                              ;   in Loop: Header=BB384_690 Depth=1
	v_or_b32_e32 v12, 0x10000, v26
	v_cmp_eq_u32_sdwa s[4:5], v26, v11 src0_sel:WORD_0 src1_sel:DWORD
	v_cndmask_b32_e64 v12, v12, v26, s[4:5]
	v_accvgpr_write_b32 a25, v12
; %bb.817:                              ;   in Loop: Header=BB384_690 Depth=1
	s_or_b64 exec, exec, s[24:25]
	v_and_b32_e32 v37, 0xffff0000, v22
	v_lshlrev_b32_e32 v10, 16, v10
	v_mul_f32_e32 v10, v37, v10
	v_and_b32_e32 v12, 0x7f800000, v10
	v_cmp_ne_u32_e64 s[4:5], s15, v12
                                        ; implicit-def: $agpr28
	s_and_saveexec_b64 s[24:25], s[4:5]
	s_xor_b64 s[4:5], exec, s[24:25]
; %bb.818:                              ;   in Loop: Header=BB384_690 Depth=1
	v_bfe_u32 v12, v10, 16, 1
	v_add3_u32 v10, v10, v12, s30
	v_accvgpr_write_b32 a28, v10
                                        ; implicit-def: $vgpr10
; %bb.819:                              ;   in Loop: Header=BB384_690 Depth=1
	s_andn2_saveexec_b64 s[24:25], s[4:5]
; %bb.820:                              ;   in Loop: Header=BB384_690 Depth=1
	v_or_b32_e32 v12, 0x10000, v10
	v_cmp_eq_u32_sdwa s[4:5], v10, v11 src0_sel:WORD_0 src1_sel:DWORD
	v_cndmask_b32_e64 v10, v12, v10, s[4:5]
	v_accvgpr_write_b32 a28, v10
; %bb.821:                              ;   in Loop: Header=BB384_690 Depth=1
	s_or_b64 exec, exec, s[24:25]
	v_and_b32_e32 v41, 0xffff0000, v21
	v_lshlrev_b32_e32 v6, 16, v6
	v_mul_f32_e32 v6, v41, v6
	v_and_b32_e32 v10, 0x7f800000, v6
	v_cmp_ne_u32_e64 s[4:5], s15, v10
                                        ; implicit-def: $agpr29
	s_and_saveexec_b64 s[24:25], s[4:5]
	s_xor_b64 s[4:5], exec, s[24:25]
; %bb.822:                              ;   in Loop: Header=BB384_690 Depth=1
	v_bfe_u32 v10, v6, 16, 1
	v_add3_u32 v6, v6, v10, s30
	v_accvgpr_write_b32 a29, v6
                                        ; implicit-def: $vgpr6
; %bb.823:                              ;   in Loop: Header=BB384_690 Depth=1
	s_andn2_saveexec_b64 s[24:25], s[4:5]
; %bb.824:                              ;   in Loop: Header=BB384_690 Depth=1
	v_or_b32_e32 v10, 0x10000, v6
	v_cmp_eq_u32_sdwa s[4:5], v6, v11 src0_sel:WORD_0 src1_sel:DWORD
	v_cndmask_b32_e64 v6, v10, v6, s[4:5]
	v_accvgpr_write_b32 a29, v6
; %bb.825:                              ;   in Loop: Header=BB384_690 Depth=1
	s_or_b64 exec, exec, s[24:25]
	v_and_b32_e32 v34, 0xffff0000, v20
	v_lshlrev_b32_e32 v5, 16, v5
	v_mul_f32_e32 v5, v34, v5
	v_and_b32_e32 v6, 0x7f800000, v5
	v_cmp_ne_u32_e64 s[4:5], s15, v6
                                        ; implicit-def: $agpr30
	s_and_saveexec_b64 s[24:25], s[4:5]
	s_xor_b64 s[4:5], exec, s[24:25]
; %bb.826:                              ;   in Loop: Header=BB384_690 Depth=1
	v_bfe_u32 v6, v5, 16, 1
	v_add3_u32 v5, v5, v6, s30
	v_accvgpr_write_b32 a30, v5
                                        ; implicit-def: $vgpr5
; %bb.827:                              ;   in Loop: Header=BB384_690 Depth=1
	s_andn2_saveexec_b64 s[24:25], s[4:5]
; %bb.828:                              ;   in Loop: Header=BB384_690 Depth=1
	v_or_b32_e32 v6, 0x10000, v5
	v_cmp_eq_u32_sdwa s[4:5], v5, v11 src0_sel:WORD_0 src1_sel:DWORD
	v_cndmask_b32_e64 v5, v6, v5, s[4:5]
	v_accvgpr_write_b32 a30, v5
; %bb.829:                              ;   in Loop: Header=BB384_690 Depth=1
	s_or_b64 exec, exec, s[24:25]
	v_and_b32_e32 v31, 0xffff0000, v9
	v_lshlrev_b32_e32 v3, 16, v3
	v_mul_f32_e32 v3, v31, v3
	v_and_b32_e32 v5, 0x7f800000, v3
	v_cmp_ne_u32_e64 s[4:5], s15, v5
                                        ; implicit-def: $agpr31
	s_and_saveexec_b64 s[24:25], s[4:5]
	s_xor_b64 s[4:5], exec, s[24:25]
; %bb.830:                              ;   in Loop: Header=BB384_690 Depth=1
	v_bfe_u32 v5, v3, 16, 1
	v_add3_u32 v3, v3, v5, s30
	v_accvgpr_write_b32 a31, v3
                                        ; implicit-def: $vgpr3
; %bb.831:                              ;   in Loop: Header=BB384_690 Depth=1
	s_andn2_saveexec_b64 s[24:25], s[4:5]
; %bb.832:                              ;   in Loop: Header=BB384_690 Depth=1
	v_or_b32_e32 v5, 0x10000, v3
	v_cmp_eq_u32_sdwa s[4:5], v3, v11 src0_sel:WORD_0 src1_sel:DWORD
	v_cndmask_b32_e64 v3, v5, v3, s[4:5]
	v_accvgpr_write_b32 a31, v3
; %bb.833:                              ;   in Loop: Header=BB384_690 Depth=1
	s_or_b64 exec, exec, s[24:25]
	v_and_b32_e32 v38, 0xffff0000, v8
	v_lshlrev_b32_e32 v2, 16, v2
	v_mul_f32_e32 v2, v38, v2
	v_and_b32_e32 v3, 0x7f800000, v2
	v_cmp_ne_u32_e64 s[4:5], s15, v3
                                        ; implicit-def: $agpr32
	s_and_saveexec_b64 s[24:25], s[4:5]
	s_xor_b64 s[4:5], exec, s[24:25]
; %bb.834:                              ;   in Loop: Header=BB384_690 Depth=1
	v_bfe_u32 v3, v2, 16, 1
	v_add3_u32 v2, v2, v3, s30
	v_accvgpr_write_b32 a32, v2
                                        ; implicit-def: $vgpr2
; %bb.835:                              ;   in Loop: Header=BB384_690 Depth=1
	s_andn2_saveexec_b64 s[24:25], s[4:5]
; %bb.836:                              ;   in Loop: Header=BB384_690 Depth=1
	v_or_b32_e32 v3, 0x10000, v2
	v_cmp_eq_u32_sdwa s[4:5], v2, v11 src0_sel:WORD_0 src1_sel:DWORD
	v_cndmask_b32_e64 v2, v3, v2, s[4:5]
	v_accvgpr_write_b32 a32, v2
; %bb.837:                              ;   in Loop: Header=BB384_690 Depth=1
	s_or_b64 exec, exec, s[24:25]
	flat_load_dwordx2 v[2:3], v[0:1] offset:512
	v_mov_b32_e32 v5, 0
	s_waitcnt vmcnt(0) lgkmcnt(0)
	v_cmp_ne_u16_sdwa s[4:5], v2, v11 src0_sel:BYTE_0 src1_sel:DWORD
	s_and_saveexec_b64 s[24:25], s[4:5]
	s_cbranch_execz .LBB384_843
; %bb.838:                              ;   in Loop: Header=BB384_690 Depth=1
	v_cmp_ne_u16_sdwa s[4:5], v2, s31 src0_sel:BYTE_0 src1_sel:DWORD
	v_bfrev_b32_e32 v5, 1
	s_and_saveexec_b64 s[26:27], s[4:5]
	s_cbranch_execz .LBB384_842
; %bb.839:                              ;   in Loop: Header=BB384_690 Depth=1
	v_and_b32_e32 v6, 0x7f, v2
	v_cmp_ne_u32_e64 s[4:5], s34, v6
	v_mov_b32_e32 v5, 0x7f800001
	s_and_saveexec_b64 s[28:29], s[4:5]
	s_cbranch_execz .LBB384_841
; %bb.840:                              ;   in Loop: Header=BB384_690 Depth=1
	v_and_b32_e32 v5, 7, v2
	v_ffbh_u32_e32 v5, v5
	v_min_u32_e32 v5, 32, v5
	v_subrev_u32_e32 v9, 28, v5
	v_cmp_gt_u32_e64 s[4:5], 8, v6
	v_lshrrev_b32_e32 v8, 3, v6
	v_sub_u32_e32 v5, 29, v5
	v_cndmask_b32_e64 v6, 0, v9, s[4:5]
	v_cndmask_b32_e64 v5, v8, v5, s[4:5]
	v_lshlrev_b64 v[8:9], v6, v[2:3]
	v_lshlrev_b32_e32 v6, 20, v8
	v_lshlrev_b32_e32 v8, 24, v2
	v_and_b32_e32 v6, 0x700000, v6
	v_and_b32_e32 v8, 0x80000000, v8
	v_lshl_add_u32 v5, v5, 23, v28
	v_or3_b32 v5, v8, v5, v6
.LBB384_841:                            ;   in Loop: Header=BB384_690 Depth=1
	s_or_b64 exec, exec, s[28:29]
.LBB384_842:                            ;   in Loop: Header=BB384_690 Depth=1
	s_or_b64 exec, exec, s[26:27]
.LBB384_843:                            ;   in Loop: Header=BB384_690 Depth=1
	s_or_b64 exec, exec, s[24:25]
	v_mul_f32_e32 v5, v7, v5
	v_and_b32_e32 v6, 0x7f800000, v5
	v_cmp_ne_u32_e64 s[4:5], s15, v6
                                        ; implicit-def: $vgpr8
	s_and_saveexec_b64 s[24:25], s[4:5]
	s_xor_b64 s[4:5], exec, s[24:25]
; %bb.844:                              ;   in Loop: Header=BB384_690 Depth=1
	v_bfe_u32 v6, v5, 16, 1
	v_add3_u32 v8, v5, v6, s30
                                        ; implicit-def: $vgpr5
; %bb.845:                              ;   in Loop: Header=BB384_690 Depth=1
	s_andn2_saveexec_b64 s[24:25], s[4:5]
; %bb.846:                              ;   in Loop: Header=BB384_690 Depth=1
	v_or_b32_e32 v6, 0x10000, v5
	v_cmp_eq_u32_sdwa s[4:5], v5, v11 src0_sel:WORD_0 src1_sel:DWORD
	v_cndmask_b32_e64 v8, v6, v5, s[4:5]
; %bb.847:                              ;   in Loop: Header=BB384_690 Depth=1
	s_or_b64 exec, exec, s[24:25]
	v_lshrrev_b16_e32 v6, 8, v2
	v_cmp_ne_u16_e64 s[4:5], 0, v6
	v_mov_b32_e32 v5, 0
	s_and_saveexec_b64 s[24:25], s[4:5]
	s_cbranch_execz .LBB384_853
; %bb.848:                              ;   in Loop: Header=BB384_690 Depth=1
	v_cmp_ne_u16_e64 s[4:5], s31, v6
	v_bfrev_b32_e32 v5, 1
	s_and_saveexec_b64 s[26:27], s[4:5]
	s_cbranch_execz .LBB384_852
; %bb.849:                              ;   in Loop: Header=BB384_690 Depth=1
	v_and_b32_e32 v9, 0x7f, v6
	v_cmp_ne_u32_e64 s[4:5], s34, v9
	v_mov_b32_e32 v5, 0x7f800001
	s_and_saveexec_b64 s[28:29], s[4:5]
	s_cbranch_execz .LBB384_851
; %bb.850:                              ;   in Loop: Header=BB384_690 Depth=1
	v_and_b32_e32 v5, 7, v6
	v_ffbh_u32_e32 v12, v5
	v_min_u32_e32 v12, 32, v12
	v_subrev_u32_e32 v13, 28, v12
	v_lshlrev_b64 v[20:21], v13, v[6:7]
	v_lshrrev_b32_e32 v10, 3, v9
	v_sub_u32_e32 v6, 29, v12
	v_and_b32_e32 v12, 7, v20
	v_cmp_gt_u32_e64 s[4:5], 8, v9
	v_cndmask_b32_e64 v6, v10, v6, s[4:5]
	v_cndmask_b32_e64 v5, v5, v12, s[4:5]
	v_lshlrev_b32_e32 v9, 16, v2
	v_lshlrev_b32_e32 v5, 20, v5
	v_and_b32_e32 v9, 0x80000000, v9
	v_lshl_add_u32 v6, v6, 23, v28
	v_or3_b32 v5, v9, v6, v5
.LBB384_851:                            ;   in Loop: Header=BB384_690 Depth=1
	s_or_b64 exec, exec, s[28:29]
.LBB384_852:                            ;   in Loop: Header=BB384_690 Depth=1
	s_or_b64 exec, exec, s[26:27]
.LBB384_853:                            ;   in Loop: Header=BB384_690 Depth=1
	s_or_b64 exec, exec, s[24:25]
	v_mul_f32_e32 v5, v7, v5
	v_and_b32_e32 v6, 0x7f800000, v5
	v_cmp_ne_u32_e64 s[4:5], s15, v6
                                        ; implicit-def: $vgpr9
	s_and_saveexec_b64 s[24:25], s[4:5]
	s_xor_b64 s[4:5], exec, s[24:25]
; %bb.854:                              ;   in Loop: Header=BB384_690 Depth=1
	v_bfe_u32 v6, v5, 16, 1
	v_add3_u32 v9, v5, v6, s30
                                        ; implicit-def: $vgpr5
; %bb.855:                              ;   in Loop: Header=BB384_690 Depth=1
	s_andn2_saveexec_b64 s[24:25], s[4:5]
; %bb.856:                              ;   in Loop: Header=BB384_690 Depth=1
	v_or_b32_e32 v6, 0x10000, v5
	v_cmp_eq_u32_sdwa s[4:5], v5, v11 src0_sel:WORD_0 src1_sel:DWORD
	v_cndmask_b32_e64 v9, v6, v5, s[4:5]
; %bb.857:                              ;   in Loop: Header=BB384_690 Depth=1
	s_or_b64 exec, exec, s[24:25]
	v_lshrrev_b32_e32 v6, 16, v2
	v_cmp_ne_u16_sdwa s[4:5], v6, v11 src0_sel:BYTE_0 src1_sel:DWORD
	v_mov_b32_e32 v5, 0
	s_and_saveexec_b64 s[24:25], s[4:5]
	s_cbranch_execz .LBB384_863
; %bb.858:                              ;   in Loop: Header=BB384_690 Depth=1
	v_cmp_ne_u16_sdwa s[4:5], v6, s31 src0_sel:BYTE_0 src1_sel:DWORD
	v_bfrev_b32_e32 v5, 1
	s_and_saveexec_b64 s[26:27], s[4:5]
	s_cbranch_execz .LBB384_862
; %bb.859:                              ;   in Loop: Header=BB384_690 Depth=1
	v_bfe_u32 v10, v2, 16, 7
	v_cmp_ne_u32_e64 s[4:5], s34, v10
	v_mov_b32_e32 v5, 0x7f800001
	s_and_saveexec_b64 s[28:29], s[4:5]
	s_cbranch_execz .LBB384_861
; %bb.860:                              ;   in Loop: Header=BB384_690 Depth=1
	v_and_b32_e32 v5, 7, v6
	v_ffbh_u32_e32 v13, v5
	v_min_u32_e32 v13, 32, v13
	v_subrev_u32_e32 v20, 28, v13
	v_lshlrev_b64 v[20:21], v20, v[6:7]
	v_lshrrev_b32_e32 v12, 3, v10
	v_sub_u32_e32 v13, 29, v13
	v_and_b32_e32 v20, 7, v20
	v_cmp_gt_u32_e64 s[4:5], 8, v10
	v_cndmask_b32_e64 v10, v12, v13, s[4:5]
	v_cndmask_b32_e64 v5, v5, v20, s[4:5]
	v_lshlrev_b32_e32 v6, 24, v6
	v_lshlrev_b32_e32 v5, 20, v5
	v_and_b32_e32 v6, 0x80000000, v6
	v_lshl_add_u32 v10, v10, 23, v28
	v_or3_b32 v5, v6, v10, v5
.LBB384_861:                            ;   in Loop: Header=BB384_690 Depth=1
	s_or_b64 exec, exec, s[28:29]
.LBB384_862:                            ;   in Loop: Header=BB384_690 Depth=1
	s_or_b64 exec, exec, s[26:27]
.LBB384_863:                            ;   in Loop: Header=BB384_690 Depth=1
	s_or_b64 exec, exec, s[24:25]
	v_mul_f32_e32 v5, v7, v5
	v_and_b32_e32 v6, 0x7f800000, v5
	v_cmp_ne_u32_e64 s[4:5], s15, v6
                                        ; implicit-def: $vgpr20
	s_and_saveexec_b64 s[24:25], s[4:5]
	s_xor_b64 s[4:5], exec, s[24:25]
; %bb.864:                              ;   in Loop: Header=BB384_690 Depth=1
	v_bfe_u32 v6, v5, 16, 1
	v_add3_u32 v20, v5, v6, s30
                                        ; implicit-def: $vgpr5
; %bb.865:                              ;   in Loop: Header=BB384_690 Depth=1
	s_andn2_saveexec_b64 s[24:25], s[4:5]
; %bb.866:                              ;   in Loop: Header=BB384_690 Depth=1
	v_or_b32_e32 v6, 0x10000, v5
	v_cmp_eq_u32_sdwa s[4:5], v5, v11 src0_sel:WORD_0 src1_sel:DWORD
	v_cndmask_b32_e64 v20, v6, v5, s[4:5]
; %bb.867:                              ;   in Loop: Header=BB384_690 Depth=1
	s_or_b64 exec, exec, s[24:25]
	v_cmp_lt_u32_e64 s[4:5], s11, v2
	v_mov_b32_e32 v5, 0
	s_and_saveexec_b64 s[24:25], s[4:5]
	s_cbranch_execz .LBB384_873
; %bb.868:                              ;   in Loop: Header=BB384_690 Depth=1
	v_lshrrev_b32_e32 v6, 24, v2
	v_cmp_ne_u32_e64 s[4:5], s31, v6
	v_bfrev_b32_e32 v5, 1
	s_and_saveexec_b64 s[26:27], s[4:5]
	s_cbranch_execz .LBB384_872
; %bb.869:                              ;   in Loop: Header=BB384_690 Depth=1
	v_bfe_u32 v10, v2, 24, 7
	v_cmp_ne_u32_e64 s[4:5], s34, v10
	v_mov_b32_e32 v5, 0x7f800001
	s_and_saveexec_b64 s[28:29], s[4:5]
	s_cbranch_execz .LBB384_871
; %bb.870:                              ;   in Loop: Header=BB384_690 Depth=1
	v_and_b32_e32 v5, 7, v6
	v_ffbh_u32_e32 v13, v5
	v_min_u32_e32 v13, 32, v13
	v_subrev_u32_e32 v21, 28, v13
	v_lshlrev_b64 v[26:27], v21, v[6:7]
	v_lshrrev_b32_e32 v12, 3, v10
	v_sub_u32_e32 v13, 29, v13
	v_and_b32_e32 v21, 7, v26
	v_cmp_gt_u32_e64 s[4:5], 8, v10
	v_cndmask_b32_e64 v10, v12, v13, s[4:5]
	v_cndmask_b32_e64 v5, v5, v21, s[4:5]
	v_lshlrev_b32_e32 v6, 24, v6
	v_lshlrev_b32_e32 v5, 20, v5
	v_and_b32_e32 v6, 0x80000000, v6
	v_lshl_add_u32 v10, v10, 23, v28
	v_or3_b32 v5, v6, v10, v5
.LBB384_871:                            ;   in Loop: Header=BB384_690 Depth=1
	s_or_b64 exec, exec, s[28:29]
.LBB384_872:                            ;   in Loop: Header=BB384_690 Depth=1
	s_or_b64 exec, exec, s[26:27]
.LBB384_873:                            ;   in Loop: Header=BB384_690 Depth=1
	s_or_b64 exec, exec, s[24:25]
	v_mul_f32_e32 v5, v7, v5
	v_and_b32_e32 v6, 0x7f800000, v5
	v_cmp_ne_u32_e64 s[4:5], s15, v6
                                        ; implicit-def: $vgpr21
	s_and_saveexec_b64 s[24:25], s[4:5]
	s_xor_b64 s[4:5], exec, s[24:25]
; %bb.874:                              ;   in Loop: Header=BB384_690 Depth=1
	v_bfe_u32 v6, v5, 16, 1
	v_add3_u32 v21, v5, v6, s30
                                        ; implicit-def: $vgpr5
; %bb.875:                              ;   in Loop: Header=BB384_690 Depth=1
	s_andn2_saveexec_b64 s[24:25], s[4:5]
; %bb.876:                              ;   in Loop: Header=BB384_690 Depth=1
	v_or_b32_e32 v6, 0x10000, v5
	v_cmp_eq_u32_sdwa s[4:5], v5, v11 src0_sel:WORD_0 src1_sel:DWORD
	v_cndmask_b32_e64 v21, v6, v5, s[4:5]
; %bb.877:                              ;   in Loop: Header=BB384_690 Depth=1
	s_or_b64 exec, exec, s[24:25]
	v_mov_b32_e32 v10, v3
	v_cmp_ne_u16_sdwa s[4:5], v3, v11 src0_sel:BYTE_0 src1_sel:DWORD
	v_mov_b32_e32 v5, 0
	s_and_saveexec_b64 s[24:25], s[4:5]
	s_cbranch_execz .LBB384_883
; %bb.878:                              ;   in Loop: Header=BB384_690 Depth=1
	v_cmp_ne_u16_sdwa s[4:5], v3, s31 src0_sel:BYTE_0 src1_sel:DWORD
	v_bfrev_b32_e32 v5, 1
	s_and_saveexec_b64 s[26:27], s[4:5]
	s_cbranch_execz .LBB384_882
; %bb.879:                              ;   in Loop: Header=BB384_690 Depth=1
	v_and_b32_e32 v6, 0x7f, v3
	v_cmp_ne_u32_e64 s[4:5], s34, v6
	v_mov_b32_e32 v5, 0x7f800001
	s_and_saveexec_b64 s[28:29], s[4:5]
	s_cbranch_execz .LBB384_881
; %bb.880:                              ;   in Loop: Header=BB384_690 Depth=1
	v_and_b32_e32 v5, 7, v3
	v_ffbh_u32_e32 v5, v5
	v_min_u32_e32 v5, 32, v5
	v_subrev_u32_e32 v13, 28, v5
	v_cmp_gt_u32_e64 s[4:5], 8, v6
	v_lshrrev_b32_e32 v12, 3, v6
	v_cndmask_b32_e64 v6, 0, v13, s[4:5]
	v_sub_u32_e32 v5, 29, v5
	v_lshlrev_b64 v[26:27], v6, v[10:11]
	v_cndmask_b32_e64 v5, v12, v5, s[4:5]
	v_lshlrev_b32_e32 v6, 20, v26
	v_lshlrev_b32_e32 v12, 24, v10
	v_and_b32_e32 v6, 0x700000, v6
	v_and_b32_e32 v12, 0x80000000, v12
	v_lshl_add_u32 v5, v5, 23, v28
	v_or3_b32 v5, v12, v5, v6
.LBB384_881:                            ;   in Loop: Header=BB384_690 Depth=1
	s_or_b64 exec, exec, s[28:29]
.LBB384_882:                            ;   in Loop: Header=BB384_690 Depth=1
	s_or_b64 exec, exec, s[26:27]
.LBB384_883:                            ;   in Loop: Header=BB384_690 Depth=1
	s_or_b64 exec, exec, s[24:25]
	v_mul_f32_e32 v5, v7, v5
	v_and_b32_e32 v6, 0x7f800000, v5
	v_cmp_ne_u32_e64 s[4:5], s15, v6
                                        ; implicit-def: $vgpr22
	s_and_saveexec_b64 s[24:25], s[4:5]
	s_xor_b64 s[4:5], exec, s[24:25]
; %bb.884:                              ;   in Loop: Header=BB384_690 Depth=1
	v_bfe_u32 v6, v5, 16, 1
	v_add3_u32 v22, v5, v6, s30
                                        ; implicit-def: $vgpr5
; %bb.885:                              ;   in Loop: Header=BB384_690 Depth=1
	s_andn2_saveexec_b64 s[24:25], s[4:5]
; %bb.886:                              ;   in Loop: Header=BB384_690 Depth=1
	v_or_b32_e32 v6, 0x10000, v5
	v_cmp_eq_u32_sdwa s[4:5], v5, v11 src0_sel:WORD_0 src1_sel:DWORD
	v_cndmask_b32_e64 v22, v6, v5, s[4:5]
; %bb.887:                              ;   in Loop: Header=BB384_690 Depth=1
	s_or_b64 exec, exec, s[24:25]
	v_lshrrev_b16_e32 v6, 8, v10
	v_mov_b32_e32 v5, 0
	v_cmp_ne_u16_e64 s[4:5], 0, v6
	s_mov_b64 s[24:25], exec
	s_and_b64 s[4:5], s[24:25], s[4:5]
	v_accvgpr_write_b32 a33, v23
	s_mov_b64 exec, s[4:5]
	s_cbranch_execz .LBB384_893
; %bb.888:                              ;   in Loop: Header=BB384_690 Depth=1
	v_cmp_ne_u16_e64 s[4:5], s31, v6
	v_bfrev_b32_e32 v5, 1
	s_and_saveexec_b64 s[26:27], s[4:5]
	s_cbranch_execz .LBB384_892
; %bb.889:                              ;   in Loop: Header=BB384_690 Depth=1
	v_and_b32_e32 v26, 0x7f, v6
	v_cmp_ne_u32_e64 s[4:5], s34, v26
	v_mov_b32_e32 v5, 0x7f800001
	s_and_saveexec_b64 s[28:29], s[4:5]
	s_cbranch_execz .LBB384_891
; %bb.890:                              ;   in Loop: Header=BB384_690 Depth=1
	v_and_b32_e32 v5, 7, v6
	v_ffbh_u32_e32 v13, v5
	v_min_u32_e32 v13, 32, v13
	v_subrev_u32_e32 v23, 28, v13
	v_lshlrev_b64 v[28:29], v23, v[6:7]
	v_lshrrev_b32_e32 v12, 3, v26
	v_sub_u32_e32 v6, 29, v13
	v_and_b32_e32 v13, 7, v28
	v_cmp_gt_u32_e64 s[4:5], 8, v26
	v_bfrev_b32_e32 v28, 60
	v_cndmask_b32_e64 v6, v12, v6, s[4:5]
	v_cndmask_b32_e64 v5, v5, v13, s[4:5]
	v_lshlrev_b32_e32 v10, 16, v10
	v_lshlrev_b32_e32 v5, 20, v5
	v_and_b32_e32 v10, 0x80000000, v10
	v_lshl_add_u32 v6, v6, 23, v28
	v_accvgpr_read_b32 v23, a33
	v_or3_b32 v5, v10, v6, v5
.LBB384_891:                            ;   in Loop: Header=BB384_690 Depth=1
	s_or_b64 exec, exec, s[28:29]
.LBB384_892:                            ;   in Loop: Header=BB384_690 Depth=1
	s_or_b64 exec, exec, s[26:27]
.LBB384_893:                            ;   in Loop: Header=BB384_690 Depth=1
	s_or_b64 exec, exec, s[24:25]
	v_mul_f32_e32 v6, v7, v5
	v_and_b32_e32 v5, 0x7f800000, v6
	v_cmp_ne_u32_e64 s[4:5], s15, v5
                                        ; implicit-def: $vgpr5
	s_and_saveexec_b64 s[24:25], s[4:5]
	s_xor_b64 s[4:5], exec, s[24:25]
; %bb.894:                              ;   in Loop: Header=BB384_690 Depth=1
	v_bfe_u32 v5, v6, 16, 1
	v_add3_u32 v5, v6, v5, s30
                                        ; implicit-def: $vgpr6
; %bb.895:                              ;   in Loop: Header=BB384_690 Depth=1
	s_andn2_saveexec_b64 s[24:25], s[4:5]
; %bb.896:                              ;   in Loop: Header=BB384_690 Depth=1
	v_or_b32_e32 v5, 0x10000, v6
	v_cmp_eq_u32_sdwa s[4:5], v6, v11 src0_sel:WORD_0 src1_sel:DWORD
	v_cndmask_b32_e64 v5, v5, v6, s[4:5]
; %bb.897:                              ;   in Loop: Header=BB384_690 Depth=1
	s_or_b64 exec, exec, s[24:25]
	v_lshrrev_b32_e32 v6, 16, v3
	v_cmp_ne_u16_sdwa s[4:5], v6, v11 src0_sel:BYTE_0 src1_sel:DWORD
	v_mov_b32_e32 v10, 0
	s_and_saveexec_b64 s[24:25], s[4:5]
	s_cbranch_execz .LBB384_903
; %bb.898:                              ;   in Loop: Header=BB384_690 Depth=1
	v_cmp_ne_u16_sdwa s[4:5], v6, s31 src0_sel:BYTE_0 src1_sel:DWORD
	v_bfrev_b32_e32 v10, 1
	s_and_saveexec_b64 s[26:27], s[4:5]
	s_cbranch_execz .LBB384_902
; %bb.899:                              ;   in Loop: Header=BB384_690 Depth=1
	v_bfe_u32 v26, v3, 16, 7
	v_cmp_ne_u32_e64 s[4:5], s34, v26
	v_mov_b32_e32 v10, 0x7f800001
	s_and_saveexec_b64 s[28:29], s[4:5]
	s_cbranch_execz .LBB384_901
; %bb.900:                              ;   in Loop: Header=BB384_690 Depth=1
	v_and_b32_e32 v10, 7, v6
	v_ffbh_u32_e32 v13, v10
	v_min_u32_e32 v13, 32, v13
	v_subrev_u32_e32 v23, 28, v13
	v_lshlrev_b64 v[28:29], v23, v[6:7]
	v_lshrrev_b32_e32 v12, 3, v26
	v_sub_u32_e32 v13, 29, v13
	v_and_b32_e32 v23, 7, v28
	v_cmp_gt_u32_e64 s[4:5], 8, v26
	v_bfrev_b32_e32 v28, 60
	v_cndmask_b32_e64 v12, v12, v13, s[4:5]
	v_cndmask_b32_e64 v10, v10, v23, s[4:5]
	v_lshlrev_b32_e32 v6, 24, v6
	v_lshlrev_b32_e32 v10, 20, v10
	v_and_b32_e32 v6, 0x80000000, v6
	v_lshl_add_u32 v12, v12, 23, v28
	v_accvgpr_read_b32 v23, a33
	v_or3_b32 v10, v6, v12, v10
.LBB384_901:                            ;   in Loop: Header=BB384_690 Depth=1
	s_or_b64 exec, exec, s[28:29]
.LBB384_902:                            ;   in Loop: Header=BB384_690 Depth=1
	s_or_b64 exec, exec, s[26:27]
.LBB384_903:                            ;   in Loop: Header=BB384_690 Depth=1
	s_or_b64 exec, exec, s[24:25]
	v_mul_f32_e32 v6, v7, v10
	v_and_b32_e32 v10, 0x7f800000, v6
	v_cmp_ne_u32_e64 s[4:5], s15, v10
                                        ; implicit-def: $vgpr26
	s_and_saveexec_b64 s[24:25], s[4:5]
	s_xor_b64 s[4:5], exec, s[24:25]
; %bb.904:                              ;   in Loop: Header=BB384_690 Depth=1
	v_bfe_u32 v10, v6, 16, 1
	v_add3_u32 v26, v6, v10, s30
                                        ; implicit-def: $vgpr6
; %bb.905:                              ;   in Loop: Header=BB384_690 Depth=1
	s_andn2_saveexec_b64 s[24:25], s[4:5]
; %bb.906:                              ;   in Loop: Header=BB384_690 Depth=1
	v_or_b32_e32 v10, 0x10000, v6
	v_cmp_eq_u32_sdwa s[4:5], v6, v11 src0_sel:WORD_0 src1_sel:DWORD
	v_cndmask_b32_e64 v26, v10, v6, s[4:5]
; %bb.907:                              ;   in Loop: Header=BB384_690 Depth=1
	s_or_b64 exec, exec, s[24:25]
	v_cmp_lt_u64_e64 s[4:5], s[10:11], v[2:3]
	v_mov_b32_e32 v6, 0
	s_and_saveexec_b64 s[24:25], s[4:5]
	s_cbranch_execz .LBB384_913
; %bb.908:                              ;   in Loop: Header=BB384_690 Depth=1
	v_lshrrev_b32_e32 v2, 24, v3
	v_cmp_ne_u32_e64 s[4:5], s31, v2
	v_bfrev_b32_e32 v6, 1
	s_and_saveexec_b64 s[26:27], s[4:5]
	s_cbranch_execz .LBB384_912
; %bb.909:                              ;   in Loop: Header=BB384_690 Depth=1
	v_bfe_u32 v3, v3, 24, 7
	v_cmp_ne_u32_e64 s[4:5], s34, v3
	v_mov_b32_e32 v6, 0x7f800001
	s_and_saveexec_b64 s[28:29], s[4:5]
	s_cbranch_execz .LBB384_911
; %bb.910:                              ;   in Loop: Header=BB384_690 Depth=1
	v_and_b32_e32 v6, 7, v2
	v_ffbh_u32_e32 v12, v6
	v_min_u32_e32 v12, 32, v12
	v_subrev_u32_e32 v13, 28, v12
	v_lshlrev_b64 v[28:29], v13, v[2:3]
	v_lshrrev_b32_e32 v10, 3, v3
	v_sub_u32_e32 v12, 29, v12
	v_and_b32_e32 v13, 7, v28
	v_cmp_gt_u32_e64 s[4:5], 8, v3
	v_bfrev_b32_e32 v28, 60
	v_cndmask_b32_e64 v3, v10, v12, s[4:5]
	v_cndmask_b32_e64 v6, v6, v13, s[4:5]
	v_lshlrev_b32_e32 v2, 24, v2
	v_lshlrev_b32_e32 v6, 20, v6
	v_and_b32_e32 v2, 0x80000000, v2
	v_lshl_add_u32 v3, v3, 23, v28
	v_or3_b32 v6, v2, v3, v6
.LBB384_911:                            ;   in Loop: Header=BB384_690 Depth=1
	s_or_b64 exec, exec, s[28:29]
.LBB384_912:                            ;   in Loop: Header=BB384_690 Depth=1
	s_or_b64 exec, exec, s[26:27]
.LBB384_913:                            ;   in Loop: Header=BB384_690 Depth=1
	s_or_b64 exec, exec, s[24:25]
	v_mul_f32_e32 v3, v7, v6
	v_and_b32_e32 v2, 0x7f800000, v3
	v_cmp_ne_u32_e64 s[4:5], s15, v2
                                        ; implicit-def: $vgpr2
	s_and_saveexec_b64 s[24:25], s[4:5]
	s_xor_b64 s[4:5], exec, s[24:25]
; %bb.914:                              ;   in Loop: Header=BB384_690 Depth=1
	v_bfe_u32 v2, v3, 16, 1
	v_add3_u32 v2, v3, v2, s30
                                        ; implicit-def: $vgpr3
; %bb.915:                              ;   in Loop: Header=BB384_690 Depth=1
	s_andn2_saveexec_b64 s[24:25], s[4:5]
; %bb.916:                              ;   in Loop: Header=BB384_690 Depth=1
	v_or_b32_e32 v2, 0x10000, v3
	v_cmp_eq_u32_sdwa s[4:5], v3, v11 src0_sel:WORD_0 src1_sel:DWORD
	v_cndmask_b32_e64 v2, v2, v3, s[4:5]
; %bb.917:                              ;   in Loop: Header=BB384_690 Depth=1
	s_or_b64 exec, exec, s[24:25]
	v_lshrrev_b32_e32 v5, 16, v5
	v_lshrrev_b32_e32 v6, 16, v22
	;; [unrolled: 1-line block ×8, first 2 shown]
	s_and_saveexec_b64 s[24:25], vcc
	s_cbranch_execz .LBB384_919
; %bb.918:                              ;   in Loop: Header=BB384_690 Depth=1
	buffer_load_dword v12, off, s[0:3], s32 offset:196 ; 4-byte Folded Reload
	v_accvgpr_read_b32 v13, a39
	s_waitcnt vmcnt(0)
	v_cmp_lt_i32_e64 s[4:5], v54, v12
	v_cndmask_b32_e64 v8, 0, v8, s[4:5]
	v_cmp_lt_i32_e64 s[4:5], v13, v12
	v_accvgpr_read_b32 v13, a38
	v_cndmask_b32_e64 v9, 0, v9, s[4:5]
	v_cmp_lt_i32_e64 s[4:5], v13, v12
	v_accvgpr_read_b32 v13, a37
	;; [unrolled: 3-line block ×5, first 2 shown]
	v_cndmask_b32_e64 v5, 0, v5, s[4:5]
	v_cmp_lt_i32_e64 s[4:5], v13, v12
	v_cndmask_b32_e64 v3, 0, v3, s[4:5]
	v_cmp_lt_i32_e64 s[4:5], v23, v12
	v_cndmask_b32_e64 v2, 0, v2, s[4:5]
.LBB384_919:                            ;   in Loop: Header=BB384_690 Depth=1
	s_or_b64 exec, exec, s[24:25]
	v_lshlrev_b32_e32 v8, 16, v8
	v_mul_f32_e32 v8, v57, v8
	v_and_b32_e32 v12, 0x7f800000, v8
	v_cmp_ne_u32_e64 s[4:5], s15, v12
                                        ; implicit-def: $agpr40
	s_and_saveexec_b64 s[24:25], s[4:5]
	s_xor_b64 s[4:5], exec, s[24:25]
; %bb.920:                              ;   in Loop: Header=BB384_690 Depth=1
	v_bfe_u32 v12, v8, 16, 1
	v_add3_u32 v8, v8, v12, s30
	v_accvgpr_write_b32 a40, v8
                                        ; implicit-def: $vgpr8
; %bb.921:                              ;   in Loop: Header=BB384_690 Depth=1
	s_andn2_saveexec_b64 s[24:25], s[4:5]
; %bb.922:                              ;   in Loop: Header=BB384_690 Depth=1
	v_or_b32_e32 v12, 0x10000, v8
	v_cmp_eq_u32_sdwa s[4:5], v8, v11 src0_sel:WORD_0 src1_sel:DWORD
	v_cndmask_b32_e64 v8, v12, v8, s[4:5]
	v_accvgpr_write_b32 a40, v8
; %bb.923:                              ;   in Loop: Header=BB384_690 Depth=1
	s_or_b64 exec, exec, s[24:25]
	v_lshlrev_b32_e32 v8, 16, v9
	v_mul_f32_e32 v8, v58, v8
	v_and_b32_e32 v9, 0x7f800000, v8
	v_cmp_ne_u32_e64 s[4:5], s15, v9
                                        ; implicit-def: $agpr41
	s_and_saveexec_b64 s[24:25], s[4:5]
	s_xor_b64 s[4:5], exec, s[24:25]
; %bb.924:                              ;   in Loop: Header=BB384_690 Depth=1
	v_bfe_u32 v9, v8, 16, 1
	v_add3_u32 v8, v8, v9, s30
	v_accvgpr_write_b32 a41, v8
                                        ; implicit-def: $vgpr8
; %bb.925:                              ;   in Loop: Header=BB384_690 Depth=1
	s_andn2_saveexec_b64 s[24:25], s[4:5]
; %bb.926:                              ;   in Loop: Header=BB384_690 Depth=1
	v_or_b32_e32 v9, 0x10000, v8
	v_cmp_eq_u32_sdwa s[4:5], v8, v11 src0_sel:WORD_0 src1_sel:DWORD
	v_cndmask_b32_e64 v8, v9, v8, s[4:5]
	v_accvgpr_write_b32 a41, v8
; %bb.927:                              ;   in Loop: Header=BB384_690 Depth=1
	s_or_b64 exec, exec, s[24:25]
	v_lshlrev_b32_e32 v8, 16, v20
	v_mul_f32_e32 v8, v60, v8
	v_and_b32_e32 v9, 0x7f800000, v8
	v_cmp_ne_u32_e64 s[4:5], s15, v9
                                        ; implicit-def: $agpr42
	s_and_saveexec_b64 s[24:25], s[4:5]
	s_xor_b64 s[4:5], exec, s[24:25]
; %bb.928:                              ;   in Loop: Header=BB384_690 Depth=1
	v_bfe_u32 v9, v8, 16, 1
	v_add3_u32 v8, v8, v9, s30
	v_accvgpr_write_b32 a42, v8
                                        ; implicit-def: $vgpr8
; %bb.929:                              ;   in Loop: Header=BB384_690 Depth=1
	s_andn2_saveexec_b64 s[24:25], s[4:5]
; %bb.930:                              ;   in Loop: Header=BB384_690 Depth=1
	v_or_b32_e32 v9, 0x10000, v8
	v_cmp_eq_u32_sdwa s[4:5], v8, v11 src0_sel:WORD_0 src1_sel:DWORD
	v_cndmask_b32_e64 v8, v9, v8, s[4:5]
	v_accvgpr_write_b32 a42, v8
; %bb.931:                              ;   in Loop: Header=BB384_690 Depth=1
	s_or_b64 exec, exec, s[24:25]
	v_lshlrev_b32_e32 v8, 16, v10
	v_mul_f32_e32 v8, v37, v8
	v_and_b32_e32 v9, 0x7f800000, v8
	v_cmp_ne_u32_e64 s[4:5], s15, v9
                                        ; implicit-def: $agpr43
	s_and_saveexec_b64 s[24:25], s[4:5]
	s_xor_b64 s[4:5], exec, s[24:25]
; %bb.932:                              ;   in Loop: Header=BB384_690 Depth=1
	v_bfe_u32 v9, v8, 16, 1
	v_add3_u32 v8, v8, v9, s30
	v_accvgpr_write_b32 a43, v8
                                        ; implicit-def: $vgpr8
; %bb.933:                              ;   in Loop: Header=BB384_690 Depth=1
	s_andn2_saveexec_b64 s[24:25], s[4:5]
; %bb.934:                              ;   in Loop: Header=BB384_690 Depth=1
	v_or_b32_e32 v9, 0x10000, v8
	v_cmp_eq_u32_sdwa s[4:5], v8, v11 src0_sel:WORD_0 src1_sel:DWORD
	v_cndmask_b32_e64 v8, v9, v8, s[4:5]
	v_accvgpr_write_b32 a43, v8
; %bb.935:                              ;   in Loop: Header=BB384_690 Depth=1
	s_or_b64 exec, exec, s[24:25]
	v_lshlrev_b32_e32 v6, 16, v6
	v_mul_f32_e32 v6, v41, v6
	v_and_b32_e32 v8, 0x7f800000, v6
	v_cmp_ne_u32_e64 s[4:5], s15, v8
                                        ; implicit-def: $agpr44
	s_and_saveexec_b64 s[24:25], s[4:5]
	s_xor_b64 s[4:5], exec, s[24:25]
; %bb.936:                              ;   in Loop: Header=BB384_690 Depth=1
	v_bfe_u32 v8, v6, 16, 1
	v_add3_u32 v6, v6, v8, s30
	v_accvgpr_write_b32 a44, v6
                                        ; implicit-def: $vgpr6
; %bb.937:                              ;   in Loop: Header=BB384_690 Depth=1
	s_andn2_saveexec_b64 s[24:25], s[4:5]
; %bb.938:                              ;   in Loop: Header=BB384_690 Depth=1
	v_or_b32_e32 v8, 0x10000, v6
	v_cmp_eq_u32_sdwa s[4:5], v6, v11 src0_sel:WORD_0 src1_sel:DWORD
	v_cndmask_b32_e64 v6, v8, v6, s[4:5]
	v_accvgpr_write_b32 a44, v6
; %bb.939:                              ;   in Loop: Header=BB384_690 Depth=1
	s_or_b64 exec, exec, s[24:25]
	v_lshlrev_b32_e32 v5, 16, v5
	v_mul_f32_e32 v5, v34, v5
	v_and_b32_e32 v6, 0x7f800000, v5
	v_cmp_ne_u32_e64 s[4:5], s15, v6
                                        ; implicit-def: $agpr45
	s_and_saveexec_b64 s[24:25], s[4:5]
	s_xor_b64 s[4:5], exec, s[24:25]
; %bb.940:                              ;   in Loop: Header=BB384_690 Depth=1
	v_bfe_u32 v6, v5, 16, 1
	v_add3_u32 v5, v5, v6, s30
	v_accvgpr_write_b32 a45, v5
                                        ; implicit-def: $vgpr5
; %bb.941:                              ;   in Loop: Header=BB384_690 Depth=1
	s_andn2_saveexec_b64 s[24:25], s[4:5]
; %bb.942:                              ;   in Loop: Header=BB384_690 Depth=1
	v_or_b32_e32 v6, 0x10000, v5
	v_cmp_eq_u32_sdwa s[4:5], v5, v11 src0_sel:WORD_0 src1_sel:DWORD
	v_cndmask_b32_e64 v5, v6, v5, s[4:5]
	v_accvgpr_write_b32 a45, v5
; %bb.943:                              ;   in Loop: Header=BB384_690 Depth=1
	s_or_b64 exec, exec, s[24:25]
	v_lshlrev_b32_e32 v3, 16, v3
	v_mul_f32_e32 v3, v31, v3
	v_and_b32_e32 v5, 0x7f800000, v3
	v_cmp_ne_u32_e64 s[4:5], s15, v5
                                        ; implicit-def: $agpr46
	s_and_saveexec_b64 s[24:25], s[4:5]
	s_xor_b64 s[4:5], exec, s[24:25]
; %bb.944:                              ;   in Loop: Header=BB384_690 Depth=1
	v_bfe_u32 v5, v3, 16, 1
	v_add3_u32 v3, v3, v5, s30
	v_accvgpr_write_b32 a46, v3
                                        ; implicit-def: $vgpr3
; %bb.945:                              ;   in Loop: Header=BB384_690 Depth=1
	s_andn2_saveexec_b64 s[24:25], s[4:5]
; %bb.946:                              ;   in Loop: Header=BB384_690 Depth=1
	v_or_b32_e32 v5, 0x10000, v3
	v_cmp_eq_u32_sdwa s[4:5], v3, v11 src0_sel:WORD_0 src1_sel:DWORD
	v_cndmask_b32_e64 v3, v5, v3, s[4:5]
	v_accvgpr_write_b32 a46, v3
; %bb.947:                              ;   in Loop: Header=BB384_690 Depth=1
	s_or_b64 exec, exec, s[24:25]
	v_lshlrev_b32_e32 v2, 16, v2
	v_mul_f32_e32 v2, v38, v2
	v_and_b32_e32 v3, 0x7f800000, v2
	v_cmp_ne_u32_e64 s[4:5], s15, v3
                                        ; implicit-def: $agpr47
	s_and_saveexec_b64 s[24:25], s[4:5]
	s_xor_b64 s[4:5], exec, s[24:25]
; %bb.948:                              ;   in Loop: Header=BB384_690 Depth=1
	v_bfe_u32 v3, v2, 16, 1
	v_add3_u32 v2, v2, v3, s30
	v_accvgpr_write_b32 a47, v2
                                        ; implicit-def: $vgpr2
; %bb.949:                              ;   in Loop: Header=BB384_690 Depth=1
	s_andn2_saveexec_b64 s[24:25], s[4:5]
; %bb.950:                              ;   in Loop: Header=BB384_690 Depth=1
	v_or_b32_e32 v3, 0x10000, v2
	v_cmp_eq_u32_sdwa s[4:5], v2, v11 src0_sel:WORD_0 src1_sel:DWORD
	v_cndmask_b32_e64 v2, v3, v2, s[4:5]
	v_accvgpr_write_b32 a47, v2
; %bb.951:                              ;   in Loop: Header=BB384_690 Depth=1
	s_or_b64 exec, exec, s[24:25]
	flat_load_dwordx2 v[2:3], v[0:1] offset:1024
	v_mov_b32_e32 v5, 0
	s_waitcnt vmcnt(0) lgkmcnt(0)
	v_cmp_ne_u16_sdwa s[4:5], v2, v11 src0_sel:BYTE_0 src1_sel:DWORD
	s_and_saveexec_b64 s[24:25], s[4:5]
	s_cbranch_execz .LBB384_957
; %bb.952:                              ;   in Loop: Header=BB384_690 Depth=1
	v_cmp_ne_u16_sdwa s[4:5], v2, s31 src0_sel:BYTE_0 src1_sel:DWORD
	v_bfrev_b32_e32 v5, 1
	s_and_saveexec_b64 s[26:27], s[4:5]
	s_cbranch_execz .LBB384_956
; %bb.953:                              ;   in Loop: Header=BB384_690 Depth=1
	v_and_b32_e32 v6, 0x7f, v2
	v_cmp_ne_u32_e64 s[4:5], s34, v6
	v_mov_b32_e32 v5, 0x7f800001
	s_and_saveexec_b64 s[28:29], s[4:5]
	s_cbranch_execz .LBB384_955
; %bb.954:                              ;   in Loop: Header=BB384_690 Depth=1
	v_and_b32_e32 v5, 7, v2
	v_ffbh_u32_e32 v5, v5
	v_min_u32_e32 v5, 32, v5
	v_subrev_u32_e32 v9, 28, v5
	v_cmp_gt_u32_e64 s[4:5], 8, v6
	v_lshrrev_b32_e32 v8, 3, v6
	v_sub_u32_e32 v5, 29, v5
	v_cndmask_b32_e64 v6, 0, v9, s[4:5]
	v_cndmask_b32_e64 v5, v8, v5, s[4:5]
	v_lshlrev_b64 v[8:9], v6, v[2:3]
	v_lshlrev_b32_e32 v6, 20, v8
	v_lshlrev_b32_e32 v8, 24, v2
	v_and_b32_e32 v6, 0x700000, v6
	v_and_b32_e32 v8, 0x80000000, v8
	v_lshl_add_u32 v5, v5, 23, v28
	v_or3_b32 v5, v8, v5, v6
.LBB384_955:                            ;   in Loop: Header=BB384_690 Depth=1
	s_or_b64 exec, exec, s[28:29]
.LBB384_956:                            ;   in Loop: Header=BB384_690 Depth=1
	s_or_b64 exec, exec, s[26:27]
.LBB384_957:                            ;   in Loop: Header=BB384_690 Depth=1
	s_or_b64 exec, exec, s[24:25]
	v_mul_f32_e32 v5, v7, v5
	v_and_b32_e32 v6, 0x7f800000, v5
	v_cmp_ne_u32_e64 s[4:5], s15, v6
                                        ; implicit-def: $vgpr8
	s_and_saveexec_b64 s[24:25], s[4:5]
	s_xor_b64 s[4:5], exec, s[24:25]
; %bb.958:                              ;   in Loop: Header=BB384_690 Depth=1
	v_bfe_u32 v6, v5, 16, 1
	v_add3_u32 v8, v5, v6, s30
                                        ; implicit-def: $vgpr5
; %bb.959:                              ;   in Loop: Header=BB384_690 Depth=1
	s_andn2_saveexec_b64 s[24:25], s[4:5]
; %bb.960:                              ;   in Loop: Header=BB384_690 Depth=1
	v_or_b32_e32 v6, 0x10000, v5
	v_cmp_eq_u32_sdwa s[4:5], v5, v11 src0_sel:WORD_0 src1_sel:DWORD
	v_cndmask_b32_e64 v8, v6, v5, s[4:5]
; %bb.961:                              ;   in Loop: Header=BB384_690 Depth=1
	s_or_b64 exec, exec, s[24:25]
	v_lshrrev_b16_e32 v6, 8, v2
	v_cmp_ne_u16_e64 s[4:5], 0, v6
	v_mov_b32_e32 v5, 0
	s_and_saveexec_b64 s[24:25], s[4:5]
	s_cbranch_execz .LBB384_967
; %bb.962:                              ;   in Loop: Header=BB384_690 Depth=1
	v_cmp_ne_u16_e64 s[4:5], s31, v6
	v_bfrev_b32_e32 v5, 1
	s_and_saveexec_b64 s[26:27], s[4:5]
	s_cbranch_execz .LBB384_966
; %bb.963:                              ;   in Loop: Header=BB384_690 Depth=1
	v_and_b32_e32 v9, 0x7f, v6
	v_cmp_ne_u32_e64 s[4:5], s34, v9
	v_mov_b32_e32 v5, 0x7f800001
	s_and_saveexec_b64 s[28:29], s[4:5]
	s_cbranch_execz .LBB384_965
; %bb.964:                              ;   in Loop: Header=BB384_690 Depth=1
	v_and_b32_e32 v5, 7, v6
	v_ffbh_u32_e32 v12, v5
	v_min_u32_e32 v12, 32, v12
	v_subrev_u32_e32 v13, 28, v12
	v_lshlrev_b64 v[20:21], v13, v[6:7]
	v_lshrrev_b32_e32 v10, 3, v9
	v_sub_u32_e32 v6, 29, v12
	v_and_b32_e32 v12, 7, v20
	v_cmp_gt_u32_e64 s[4:5], 8, v9
	v_cndmask_b32_e64 v6, v10, v6, s[4:5]
	v_cndmask_b32_e64 v5, v5, v12, s[4:5]
	v_lshlrev_b32_e32 v9, 16, v2
	v_lshlrev_b32_e32 v5, 20, v5
	v_and_b32_e32 v9, 0x80000000, v9
	v_lshl_add_u32 v6, v6, 23, v28
	v_or3_b32 v5, v9, v6, v5
.LBB384_965:                            ;   in Loop: Header=BB384_690 Depth=1
	s_or_b64 exec, exec, s[28:29]
.LBB384_966:                            ;   in Loop: Header=BB384_690 Depth=1
	s_or_b64 exec, exec, s[26:27]
.LBB384_967:                            ;   in Loop: Header=BB384_690 Depth=1
	s_or_b64 exec, exec, s[24:25]
	v_mul_f32_e32 v5, v7, v5
	v_and_b32_e32 v6, 0x7f800000, v5
	v_cmp_ne_u32_e64 s[4:5], s15, v6
                                        ; implicit-def: $vgpr9
	s_and_saveexec_b64 s[24:25], s[4:5]
	s_xor_b64 s[4:5], exec, s[24:25]
; %bb.968:                              ;   in Loop: Header=BB384_690 Depth=1
	v_bfe_u32 v6, v5, 16, 1
	v_add3_u32 v9, v5, v6, s30
                                        ; implicit-def: $vgpr5
; %bb.969:                              ;   in Loop: Header=BB384_690 Depth=1
	s_andn2_saveexec_b64 s[24:25], s[4:5]
; %bb.970:                              ;   in Loop: Header=BB384_690 Depth=1
	v_or_b32_e32 v6, 0x10000, v5
	v_cmp_eq_u32_sdwa s[4:5], v5, v11 src0_sel:WORD_0 src1_sel:DWORD
	v_cndmask_b32_e64 v9, v6, v5, s[4:5]
; %bb.971:                              ;   in Loop: Header=BB384_690 Depth=1
	s_or_b64 exec, exec, s[24:25]
	v_lshrrev_b32_e32 v6, 16, v2
	v_cmp_ne_u16_sdwa s[4:5], v6, v11 src0_sel:BYTE_0 src1_sel:DWORD
	v_mov_b32_e32 v5, 0
	s_and_saveexec_b64 s[24:25], s[4:5]
	s_cbranch_execz .LBB384_977
; %bb.972:                              ;   in Loop: Header=BB384_690 Depth=1
	v_cmp_ne_u16_sdwa s[4:5], v6, s31 src0_sel:BYTE_0 src1_sel:DWORD
	v_bfrev_b32_e32 v5, 1
	s_and_saveexec_b64 s[26:27], s[4:5]
	s_cbranch_execz .LBB384_976
; %bb.973:                              ;   in Loop: Header=BB384_690 Depth=1
	v_bfe_u32 v10, v2, 16, 7
	v_cmp_ne_u32_e64 s[4:5], s34, v10
	v_mov_b32_e32 v5, 0x7f800001
	s_and_saveexec_b64 s[28:29], s[4:5]
	s_cbranch_execz .LBB384_975
; %bb.974:                              ;   in Loop: Header=BB384_690 Depth=1
	v_and_b32_e32 v5, 7, v6
	v_ffbh_u32_e32 v13, v5
	v_min_u32_e32 v13, 32, v13
	v_subrev_u32_e32 v20, 28, v13
	v_lshlrev_b64 v[20:21], v20, v[6:7]
	v_lshrrev_b32_e32 v12, 3, v10
	v_sub_u32_e32 v13, 29, v13
	v_and_b32_e32 v20, 7, v20
	v_cmp_gt_u32_e64 s[4:5], 8, v10
	v_cndmask_b32_e64 v10, v12, v13, s[4:5]
	v_cndmask_b32_e64 v5, v5, v20, s[4:5]
	v_lshlrev_b32_e32 v6, 24, v6
	v_lshlrev_b32_e32 v5, 20, v5
	v_and_b32_e32 v6, 0x80000000, v6
	v_lshl_add_u32 v10, v10, 23, v28
	v_or3_b32 v5, v6, v10, v5
.LBB384_975:                            ;   in Loop: Header=BB384_690 Depth=1
	s_or_b64 exec, exec, s[28:29]
.LBB384_976:                            ;   in Loop: Header=BB384_690 Depth=1
	s_or_b64 exec, exec, s[26:27]
.LBB384_977:                            ;   in Loop: Header=BB384_690 Depth=1
	s_or_b64 exec, exec, s[24:25]
	v_mul_f32_e32 v5, v7, v5
	v_and_b32_e32 v6, 0x7f800000, v5
	v_cmp_ne_u32_e64 s[4:5], s15, v6
                                        ; implicit-def: $vgpr20
	s_and_saveexec_b64 s[24:25], s[4:5]
	s_xor_b64 s[4:5], exec, s[24:25]
; %bb.978:                              ;   in Loop: Header=BB384_690 Depth=1
	v_bfe_u32 v6, v5, 16, 1
	v_add3_u32 v20, v5, v6, s30
                                        ; implicit-def: $vgpr5
; %bb.979:                              ;   in Loop: Header=BB384_690 Depth=1
	s_andn2_saveexec_b64 s[24:25], s[4:5]
; %bb.980:                              ;   in Loop: Header=BB384_690 Depth=1
	v_or_b32_e32 v6, 0x10000, v5
	v_cmp_eq_u32_sdwa s[4:5], v5, v11 src0_sel:WORD_0 src1_sel:DWORD
	v_cndmask_b32_e64 v20, v6, v5, s[4:5]
; %bb.981:                              ;   in Loop: Header=BB384_690 Depth=1
	s_or_b64 exec, exec, s[24:25]
	v_cmp_lt_u32_e64 s[4:5], s11, v2
	v_mov_b32_e32 v5, 0
	s_and_saveexec_b64 s[24:25], s[4:5]
	s_cbranch_execz .LBB384_987
; %bb.982:                              ;   in Loop: Header=BB384_690 Depth=1
	v_lshrrev_b32_e32 v6, 24, v2
	v_cmp_ne_u32_e64 s[4:5], s31, v6
	v_bfrev_b32_e32 v5, 1
	s_and_saveexec_b64 s[26:27], s[4:5]
	s_cbranch_execz .LBB384_986
; %bb.983:                              ;   in Loop: Header=BB384_690 Depth=1
	v_bfe_u32 v10, v2, 24, 7
	v_cmp_ne_u32_e64 s[4:5], s34, v10
	v_mov_b32_e32 v5, 0x7f800001
	s_and_saveexec_b64 s[28:29], s[4:5]
	s_cbranch_execz .LBB384_985
; %bb.984:                              ;   in Loop: Header=BB384_690 Depth=1
	v_and_b32_e32 v5, 7, v6
	v_ffbh_u32_e32 v13, v5
	v_min_u32_e32 v13, 32, v13
	v_subrev_u32_e32 v21, 28, v13
	v_lshlrev_b64 v[26:27], v21, v[6:7]
	v_lshrrev_b32_e32 v12, 3, v10
	v_sub_u32_e32 v13, 29, v13
	v_and_b32_e32 v21, 7, v26
	v_cmp_gt_u32_e64 s[4:5], 8, v10
	v_cndmask_b32_e64 v10, v12, v13, s[4:5]
	v_cndmask_b32_e64 v5, v5, v21, s[4:5]
	v_lshlrev_b32_e32 v6, 24, v6
	v_lshlrev_b32_e32 v5, 20, v5
	v_and_b32_e32 v6, 0x80000000, v6
	v_lshl_add_u32 v10, v10, 23, v28
	v_or3_b32 v5, v6, v10, v5
.LBB384_985:                            ;   in Loop: Header=BB384_690 Depth=1
	s_or_b64 exec, exec, s[28:29]
.LBB384_986:                            ;   in Loop: Header=BB384_690 Depth=1
	s_or_b64 exec, exec, s[26:27]
.LBB384_987:                            ;   in Loop: Header=BB384_690 Depth=1
	s_or_b64 exec, exec, s[24:25]
	v_mul_f32_e32 v5, v7, v5
	v_and_b32_e32 v6, 0x7f800000, v5
	v_cmp_ne_u32_e64 s[4:5], s15, v6
                                        ; implicit-def: $vgpr21
	s_and_saveexec_b64 s[24:25], s[4:5]
	s_xor_b64 s[4:5], exec, s[24:25]
; %bb.988:                              ;   in Loop: Header=BB384_690 Depth=1
	v_bfe_u32 v6, v5, 16, 1
	v_add3_u32 v21, v5, v6, s30
                                        ; implicit-def: $vgpr5
; %bb.989:                              ;   in Loop: Header=BB384_690 Depth=1
	s_andn2_saveexec_b64 s[24:25], s[4:5]
; %bb.990:                              ;   in Loop: Header=BB384_690 Depth=1
	v_or_b32_e32 v6, 0x10000, v5
	v_cmp_eq_u32_sdwa s[4:5], v5, v11 src0_sel:WORD_0 src1_sel:DWORD
	v_cndmask_b32_e64 v21, v6, v5, s[4:5]
; %bb.991:                              ;   in Loop: Header=BB384_690 Depth=1
	s_or_b64 exec, exec, s[24:25]
	v_mov_b32_e32 v10, v3
	v_cmp_ne_u16_sdwa s[4:5], v3, v11 src0_sel:BYTE_0 src1_sel:DWORD
	v_mov_b32_e32 v5, 0
	s_and_saveexec_b64 s[24:25], s[4:5]
	s_cbranch_execz .LBB384_997
; %bb.992:                              ;   in Loop: Header=BB384_690 Depth=1
	v_cmp_ne_u16_sdwa s[4:5], v3, s31 src0_sel:BYTE_0 src1_sel:DWORD
	v_bfrev_b32_e32 v5, 1
	s_and_saveexec_b64 s[26:27], s[4:5]
	s_cbranch_execz .LBB384_996
; %bb.993:                              ;   in Loop: Header=BB384_690 Depth=1
	v_and_b32_e32 v6, 0x7f, v3
	v_cmp_ne_u32_e64 s[4:5], s34, v6
	v_mov_b32_e32 v5, 0x7f800001
	s_and_saveexec_b64 s[28:29], s[4:5]
	s_cbranch_execz .LBB384_995
; %bb.994:                              ;   in Loop: Header=BB384_690 Depth=1
	v_and_b32_e32 v5, 7, v3
	v_ffbh_u32_e32 v5, v5
	v_min_u32_e32 v5, 32, v5
	v_subrev_u32_e32 v13, 28, v5
	v_cmp_gt_u32_e64 s[4:5], 8, v6
	v_lshrrev_b32_e32 v12, 3, v6
	v_cndmask_b32_e64 v6, 0, v13, s[4:5]
	v_sub_u32_e32 v5, 29, v5
	v_lshlrev_b64 v[26:27], v6, v[10:11]
	v_cndmask_b32_e64 v5, v12, v5, s[4:5]
	v_lshlrev_b32_e32 v6, 20, v26
	v_lshlrev_b32_e32 v12, 24, v10
	v_and_b32_e32 v6, 0x700000, v6
	v_and_b32_e32 v12, 0x80000000, v12
	v_lshl_add_u32 v5, v5, 23, v28
	v_or3_b32 v5, v12, v5, v6
.LBB384_995:                            ;   in Loop: Header=BB384_690 Depth=1
	s_or_b64 exec, exec, s[28:29]
.LBB384_996:                            ;   in Loop: Header=BB384_690 Depth=1
	s_or_b64 exec, exec, s[26:27]
.LBB384_997:                            ;   in Loop: Header=BB384_690 Depth=1
	s_or_b64 exec, exec, s[24:25]
	v_mul_f32_e32 v5, v7, v5
	v_and_b32_e32 v6, 0x7f800000, v5
	v_cmp_ne_u32_e64 s[4:5], s15, v6
                                        ; implicit-def: $vgpr22
	s_and_saveexec_b64 s[24:25], s[4:5]
	s_xor_b64 s[4:5], exec, s[24:25]
; %bb.998:                              ;   in Loop: Header=BB384_690 Depth=1
	v_bfe_u32 v6, v5, 16, 1
	v_add3_u32 v22, v5, v6, s30
                                        ; implicit-def: $vgpr5
; %bb.999:                              ;   in Loop: Header=BB384_690 Depth=1
	s_andn2_saveexec_b64 s[24:25], s[4:5]
; %bb.1000:                             ;   in Loop: Header=BB384_690 Depth=1
	v_or_b32_e32 v6, 0x10000, v5
	v_cmp_eq_u32_sdwa s[4:5], v5, v11 src0_sel:WORD_0 src1_sel:DWORD
	v_cndmask_b32_e64 v22, v6, v5, s[4:5]
; %bb.1001:                             ;   in Loop: Header=BB384_690 Depth=1
	s_or_b64 exec, exec, s[24:25]
	v_lshrrev_b16_e32 v6, 8, v10
	v_cmp_ne_u16_e64 s[4:5], 0, v6
	v_mov_b32_e32 v5, 0
	s_and_saveexec_b64 s[24:25], s[4:5]
	s_cbranch_execz .LBB384_1007
; %bb.1002:                             ;   in Loop: Header=BB384_690 Depth=1
	v_cmp_ne_u16_e64 s[4:5], s31, v6
	v_bfrev_b32_e32 v5, 1
	s_and_saveexec_b64 s[26:27], s[4:5]
	s_cbranch_execz .LBB384_1006
; %bb.1003:                             ;   in Loop: Header=BB384_690 Depth=1
	v_and_b32_e32 v26, 0x7f, v6
	v_cmp_ne_u32_e64 s[4:5], s34, v26
	v_mov_b32_e32 v5, 0x7f800001
	s_and_saveexec_b64 s[28:29], s[4:5]
	s_cbranch_execz .LBB384_1005
; %bb.1004:                             ;   in Loop: Header=BB384_690 Depth=1
	v_and_b32_e32 v5, 7, v6
	v_ffbh_u32_e32 v13, v5
	v_min_u32_e32 v13, 32, v13
	v_subrev_u32_e32 v23, 28, v13
	v_lshlrev_b64 v[28:29], v23, v[6:7]
	v_lshrrev_b32_e32 v12, 3, v26
	v_sub_u32_e32 v6, 29, v13
	v_and_b32_e32 v13, 7, v28
	v_cmp_gt_u32_e64 s[4:5], 8, v26
	v_bfrev_b32_e32 v28, 60
	v_cndmask_b32_e64 v6, v12, v6, s[4:5]
	v_cndmask_b32_e64 v5, v5, v13, s[4:5]
	v_lshlrev_b32_e32 v10, 16, v10
	v_lshlrev_b32_e32 v5, 20, v5
	v_and_b32_e32 v10, 0x80000000, v10
	v_lshl_add_u32 v6, v6, 23, v28
	v_accvgpr_read_b32 v23, a33
	v_or3_b32 v5, v10, v6, v5
.LBB384_1005:                           ;   in Loop: Header=BB384_690 Depth=1
	s_or_b64 exec, exec, s[28:29]
.LBB384_1006:                           ;   in Loop: Header=BB384_690 Depth=1
	s_or_b64 exec, exec, s[26:27]
.LBB384_1007:                           ;   in Loop: Header=BB384_690 Depth=1
	s_or_b64 exec, exec, s[24:25]
	v_mul_f32_e32 v6, v7, v5
	v_and_b32_e32 v5, 0x7f800000, v6
	v_cmp_ne_u32_e64 s[4:5], s15, v5
                                        ; implicit-def: $vgpr5
	s_and_saveexec_b64 s[24:25], s[4:5]
	s_xor_b64 s[4:5], exec, s[24:25]
; %bb.1008:                             ;   in Loop: Header=BB384_690 Depth=1
	v_bfe_u32 v5, v6, 16, 1
	v_add3_u32 v5, v6, v5, s30
                                        ; implicit-def: $vgpr6
; %bb.1009:                             ;   in Loop: Header=BB384_690 Depth=1
	s_andn2_saveexec_b64 s[24:25], s[4:5]
; %bb.1010:                             ;   in Loop: Header=BB384_690 Depth=1
	v_or_b32_e32 v5, 0x10000, v6
	v_cmp_eq_u32_sdwa s[4:5], v6, v11 src0_sel:WORD_0 src1_sel:DWORD
	v_cndmask_b32_e64 v5, v5, v6, s[4:5]
; %bb.1011:                             ;   in Loop: Header=BB384_690 Depth=1
	s_or_b64 exec, exec, s[24:25]
	v_lshrrev_b32_e32 v6, 16, v3
	v_cmp_ne_u16_sdwa s[4:5], v6, v11 src0_sel:BYTE_0 src1_sel:DWORD
	v_mov_b32_e32 v10, 0
	s_and_saveexec_b64 s[24:25], s[4:5]
	s_cbranch_execz .LBB384_1017
; %bb.1012:                             ;   in Loop: Header=BB384_690 Depth=1
	v_cmp_ne_u16_sdwa s[4:5], v6, s31 src0_sel:BYTE_0 src1_sel:DWORD
	v_bfrev_b32_e32 v10, 1
	s_and_saveexec_b64 s[26:27], s[4:5]
	s_cbranch_execz .LBB384_1016
; %bb.1013:                             ;   in Loop: Header=BB384_690 Depth=1
	v_bfe_u32 v26, v3, 16, 7
	v_cmp_ne_u32_e64 s[4:5], s34, v26
	v_mov_b32_e32 v10, 0x7f800001
	s_and_saveexec_b64 s[28:29], s[4:5]
	s_cbranch_execz .LBB384_1015
; %bb.1014:                             ;   in Loop: Header=BB384_690 Depth=1
	v_and_b32_e32 v10, 7, v6
	v_ffbh_u32_e32 v13, v10
	v_min_u32_e32 v13, 32, v13
	v_subrev_u32_e32 v23, 28, v13
	v_lshlrev_b64 v[28:29], v23, v[6:7]
	v_lshrrev_b32_e32 v12, 3, v26
	v_sub_u32_e32 v13, 29, v13
	v_and_b32_e32 v23, 7, v28
	v_cmp_gt_u32_e64 s[4:5], 8, v26
	v_bfrev_b32_e32 v28, 60
	v_cndmask_b32_e64 v12, v12, v13, s[4:5]
	v_cndmask_b32_e64 v10, v10, v23, s[4:5]
	v_lshlrev_b32_e32 v6, 24, v6
	v_lshlrev_b32_e32 v10, 20, v10
	v_and_b32_e32 v6, 0x80000000, v6
	v_lshl_add_u32 v12, v12, 23, v28
	v_accvgpr_read_b32 v23, a33
	v_or3_b32 v10, v6, v12, v10
.LBB384_1015:                           ;   in Loop: Header=BB384_690 Depth=1
	s_or_b64 exec, exec, s[28:29]
.LBB384_1016:                           ;   in Loop: Header=BB384_690 Depth=1
	s_or_b64 exec, exec, s[26:27]
.LBB384_1017:                           ;   in Loop: Header=BB384_690 Depth=1
	s_or_b64 exec, exec, s[24:25]
	v_mul_f32_e32 v6, v7, v10
	v_and_b32_e32 v10, 0x7f800000, v6
	v_cmp_ne_u32_e64 s[4:5], s15, v10
                                        ; implicit-def: $vgpr26
	s_and_saveexec_b64 s[24:25], s[4:5]
	s_xor_b64 s[4:5], exec, s[24:25]
; %bb.1018:                             ;   in Loop: Header=BB384_690 Depth=1
	v_bfe_u32 v10, v6, 16, 1
	v_add3_u32 v26, v6, v10, s30
                                        ; implicit-def: $vgpr6
; %bb.1019:                             ;   in Loop: Header=BB384_690 Depth=1
	s_andn2_saveexec_b64 s[24:25], s[4:5]
; %bb.1020:                             ;   in Loop: Header=BB384_690 Depth=1
	v_or_b32_e32 v10, 0x10000, v6
	v_cmp_eq_u32_sdwa s[4:5], v6, v11 src0_sel:WORD_0 src1_sel:DWORD
	v_cndmask_b32_e64 v26, v10, v6, s[4:5]
; %bb.1021:                             ;   in Loop: Header=BB384_690 Depth=1
	s_or_b64 exec, exec, s[24:25]
	v_cmp_lt_u64_e64 s[4:5], s[10:11], v[2:3]
	v_mov_b32_e32 v6, 0
	s_and_saveexec_b64 s[24:25], s[4:5]
	s_cbranch_execz .LBB384_1027
; %bb.1022:                             ;   in Loop: Header=BB384_690 Depth=1
	v_lshrrev_b32_e32 v2, 24, v3
	v_cmp_ne_u32_e64 s[4:5], s31, v2
	v_bfrev_b32_e32 v6, 1
	s_and_saveexec_b64 s[26:27], s[4:5]
	s_cbranch_execz .LBB384_1026
; %bb.1023:                             ;   in Loop: Header=BB384_690 Depth=1
	v_bfe_u32 v3, v3, 24, 7
	v_cmp_ne_u32_e64 s[4:5], s34, v3
	v_mov_b32_e32 v6, 0x7f800001
	s_and_saveexec_b64 s[28:29], s[4:5]
	s_cbranch_execz .LBB384_1025
; %bb.1024:                             ;   in Loop: Header=BB384_690 Depth=1
	v_and_b32_e32 v6, 7, v2
	v_ffbh_u32_e32 v12, v6
	v_min_u32_e32 v12, 32, v12
	v_subrev_u32_e32 v13, 28, v12
	v_lshlrev_b64 v[28:29], v13, v[2:3]
	v_lshrrev_b32_e32 v10, 3, v3
	v_sub_u32_e32 v12, 29, v12
	v_and_b32_e32 v13, 7, v28
	v_cmp_gt_u32_e64 s[4:5], 8, v3
	v_bfrev_b32_e32 v28, 60
	v_cndmask_b32_e64 v3, v10, v12, s[4:5]
	v_cndmask_b32_e64 v6, v6, v13, s[4:5]
	v_lshlrev_b32_e32 v2, 24, v2
	v_lshlrev_b32_e32 v6, 20, v6
	v_and_b32_e32 v2, 0x80000000, v2
	v_lshl_add_u32 v3, v3, 23, v28
	v_or3_b32 v6, v2, v3, v6
.LBB384_1025:                           ;   in Loop: Header=BB384_690 Depth=1
	s_or_b64 exec, exec, s[28:29]
.LBB384_1026:                           ;   in Loop: Header=BB384_690 Depth=1
	s_or_b64 exec, exec, s[26:27]
.LBB384_1027:                           ;   in Loop: Header=BB384_690 Depth=1
	s_or_b64 exec, exec, s[24:25]
	v_mul_f32_e32 v3, v7, v6
	v_and_b32_e32 v2, 0x7f800000, v3
	v_cmp_ne_u32_e64 s[4:5], s15, v2
                                        ; implicit-def: $vgpr2
	s_and_saveexec_b64 s[24:25], s[4:5]
	s_xor_b64 s[4:5], exec, s[24:25]
; %bb.1028:                             ;   in Loop: Header=BB384_690 Depth=1
	v_bfe_u32 v2, v3, 16, 1
	v_add3_u32 v2, v3, v2, s30
                                        ; implicit-def: $vgpr3
; %bb.1029:                             ;   in Loop: Header=BB384_690 Depth=1
	s_andn2_saveexec_b64 s[24:25], s[4:5]
; %bb.1030:                             ;   in Loop: Header=BB384_690 Depth=1
	v_or_b32_e32 v2, 0x10000, v3
	v_cmp_eq_u32_sdwa s[4:5], v3, v11 src0_sel:WORD_0 src1_sel:DWORD
	v_cndmask_b32_e64 v2, v2, v3, s[4:5]
; %bb.1031:                             ;   in Loop: Header=BB384_690 Depth=1
	s_or_b64 exec, exec, s[24:25]
	v_lshrrev_b32_e32 v5, 16, v5
	v_lshrrev_b32_e32 v6, 16, v22
	;; [unrolled: 1-line block ×8, first 2 shown]
	s_and_saveexec_b64 s[24:25], vcc
	s_cbranch_execz .LBB384_1033
; %bb.1032:                             ;   in Loop: Header=BB384_690 Depth=1
	buffer_load_dword v12, off, s[0:3], s32 offset:196 ; 4-byte Folded Reload
	v_accvgpr_read_b32 v13, a39
	s_waitcnt vmcnt(0)
	v_cmp_lt_i32_e64 s[4:5], v54, v12
	v_cndmask_b32_e64 v8, 0, v8, s[4:5]
	v_cmp_lt_i32_e64 s[4:5], v13, v12
	v_accvgpr_read_b32 v13, a38
	v_cndmask_b32_e64 v9, 0, v9, s[4:5]
	v_cmp_lt_i32_e64 s[4:5], v13, v12
	v_accvgpr_read_b32 v13, a37
	;; [unrolled: 3-line block ×5, first 2 shown]
	v_cndmask_b32_e64 v5, 0, v5, s[4:5]
	v_cmp_lt_i32_e64 s[4:5], v13, v12
	v_cndmask_b32_e64 v3, 0, v3, s[4:5]
	v_cmp_lt_i32_e64 s[4:5], v23, v12
	v_cndmask_b32_e64 v2, 0, v2, s[4:5]
.LBB384_1033:                           ;   in Loop: Header=BB384_690 Depth=1
	s_or_b64 exec, exec, s[24:25]
	v_lshlrev_b32_e32 v8, 16, v8
	v_mul_f32_e32 v8, v57, v8
	v_and_b32_e32 v12, 0x7f800000, v8
	v_cmp_ne_u32_e64 s[4:5], s15, v12
                                        ; implicit-def: $agpr48
	s_and_saveexec_b64 s[24:25], s[4:5]
	s_xor_b64 s[4:5], exec, s[24:25]
; %bb.1034:                             ;   in Loop: Header=BB384_690 Depth=1
	v_bfe_u32 v12, v8, 16, 1
	v_add3_u32 v8, v8, v12, s30
	v_accvgpr_write_b32 a48, v8
                                        ; implicit-def: $vgpr8
; %bb.1035:                             ;   in Loop: Header=BB384_690 Depth=1
	s_andn2_saveexec_b64 s[24:25], s[4:5]
; %bb.1036:                             ;   in Loop: Header=BB384_690 Depth=1
	v_or_b32_e32 v12, 0x10000, v8
	v_cmp_eq_u32_sdwa s[4:5], v8, v11 src0_sel:WORD_0 src1_sel:DWORD
	v_cndmask_b32_e64 v8, v12, v8, s[4:5]
	v_accvgpr_write_b32 a48, v8
; %bb.1037:                             ;   in Loop: Header=BB384_690 Depth=1
	s_or_b64 exec, exec, s[24:25]
	v_lshlrev_b32_e32 v8, 16, v9
	v_mul_f32_e32 v8, v58, v8
	v_and_b32_e32 v9, 0x7f800000, v8
	v_cmp_ne_u32_e64 s[4:5], s15, v9
                                        ; implicit-def: $agpr49
	s_and_saveexec_b64 s[24:25], s[4:5]
	s_xor_b64 s[4:5], exec, s[24:25]
; %bb.1038:                             ;   in Loop: Header=BB384_690 Depth=1
	v_bfe_u32 v9, v8, 16, 1
	v_add3_u32 v8, v8, v9, s30
	v_accvgpr_write_b32 a49, v8
                                        ; implicit-def: $vgpr8
; %bb.1039:                             ;   in Loop: Header=BB384_690 Depth=1
	s_andn2_saveexec_b64 s[24:25], s[4:5]
; %bb.1040:                             ;   in Loop: Header=BB384_690 Depth=1
	v_or_b32_e32 v9, 0x10000, v8
	v_cmp_eq_u32_sdwa s[4:5], v8, v11 src0_sel:WORD_0 src1_sel:DWORD
	v_cndmask_b32_e64 v8, v9, v8, s[4:5]
	v_accvgpr_write_b32 a49, v8
; %bb.1041:                             ;   in Loop: Header=BB384_690 Depth=1
	s_or_b64 exec, exec, s[24:25]
	v_lshlrev_b32_e32 v8, 16, v20
	v_mul_f32_e32 v8, v60, v8
	v_and_b32_e32 v9, 0x7f800000, v8
	v_cmp_ne_u32_e64 s[4:5], s15, v9
                                        ; implicit-def: $agpr50
	s_and_saveexec_b64 s[24:25], s[4:5]
	s_xor_b64 s[4:5], exec, s[24:25]
; %bb.1042:                             ;   in Loop: Header=BB384_690 Depth=1
	v_bfe_u32 v9, v8, 16, 1
	v_add3_u32 v8, v8, v9, s30
	v_accvgpr_write_b32 a50, v8
                                        ; implicit-def: $vgpr8
; %bb.1043:                             ;   in Loop: Header=BB384_690 Depth=1
	s_andn2_saveexec_b64 s[24:25], s[4:5]
; %bb.1044:                             ;   in Loop: Header=BB384_690 Depth=1
	v_or_b32_e32 v9, 0x10000, v8
	v_cmp_eq_u32_sdwa s[4:5], v8, v11 src0_sel:WORD_0 src1_sel:DWORD
	v_cndmask_b32_e64 v8, v9, v8, s[4:5]
	v_accvgpr_write_b32 a50, v8
; %bb.1045:                             ;   in Loop: Header=BB384_690 Depth=1
	s_or_b64 exec, exec, s[24:25]
	v_lshlrev_b32_e32 v8, 16, v10
	v_mul_f32_e32 v8, v37, v8
	v_and_b32_e32 v9, 0x7f800000, v8
	v_cmp_ne_u32_e64 s[4:5], s15, v9
                                        ; implicit-def: $agpr51
	s_and_saveexec_b64 s[24:25], s[4:5]
	s_xor_b64 s[4:5], exec, s[24:25]
; %bb.1046:                             ;   in Loop: Header=BB384_690 Depth=1
	v_bfe_u32 v9, v8, 16, 1
	v_add3_u32 v8, v8, v9, s30
	v_accvgpr_write_b32 a51, v8
                                        ; implicit-def: $vgpr8
; %bb.1047:                             ;   in Loop: Header=BB384_690 Depth=1
	s_andn2_saveexec_b64 s[24:25], s[4:5]
; %bb.1048:                             ;   in Loop: Header=BB384_690 Depth=1
	v_or_b32_e32 v9, 0x10000, v8
	v_cmp_eq_u32_sdwa s[4:5], v8, v11 src0_sel:WORD_0 src1_sel:DWORD
	v_cndmask_b32_e64 v8, v9, v8, s[4:5]
	v_accvgpr_write_b32 a51, v8
; %bb.1049:                             ;   in Loop: Header=BB384_690 Depth=1
	s_or_b64 exec, exec, s[24:25]
	v_lshlrev_b32_e32 v6, 16, v6
	v_mul_f32_e32 v6, v41, v6
	v_and_b32_e32 v8, 0x7f800000, v6
	v_cmp_ne_u32_e64 s[4:5], s15, v8
                                        ; implicit-def: $agpr52
	s_and_saveexec_b64 s[24:25], s[4:5]
	s_xor_b64 s[4:5], exec, s[24:25]
; %bb.1050:                             ;   in Loop: Header=BB384_690 Depth=1
	v_bfe_u32 v8, v6, 16, 1
	v_add3_u32 v6, v6, v8, s30
	v_accvgpr_write_b32 a52, v6
                                        ; implicit-def: $vgpr6
; %bb.1051:                             ;   in Loop: Header=BB384_690 Depth=1
	s_andn2_saveexec_b64 s[24:25], s[4:5]
; %bb.1052:                             ;   in Loop: Header=BB384_690 Depth=1
	v_or_b32_e32 v8, 0x10000, v6
	v_cmp_eq_u32_sdwa s[4:5], v6, v11 src0_sel:WORD_0 src1_sel:DWORD
	v_cndmask_b32_e64 v6, v8, v6, s[4:5]
	v_accvgpr_write_b32 a52, v6
; %bb.1053:                             ;   in Loop: Header=BB384_690 Depth=1
	s_or_b64 exec, exec, s[24:25]
	v_lshlrev_b32_e32 v5, 16, v5
	v_mul_f32_e32 v5, v34, v5
	v_and_b32_e32 v6, 0x7f800000, v5
	v_cmp_ne_u32_e64 s[4:5], s15, v6
                                        ; implicit-def: $agpr53
	s_and_saveexec_b64 s[24:25], s[4:5]
	s_xor_b64 s[4:5], exec, s[24:25]
; %bb.1054:                             ;   in Loop: Header=BB384_690 Depth=1
	v_bfe_u32 v6, v5, 16, 1
	v_add3_u32 v5, v5, v6, s30
	v_accvgpr_write_b32 a53, v5
                                        ; implicit-def: $vgpr5
; %bb.1055:                             ;   in Loop: Header=BB384_690 Depth=1
	s_andn2_saveexec_b64 s[24:25], s[4:5]
; %bb.1056:                             ;   in Loop: Header=BB384_690 Depth=1
	v_or_b32_e32 v6, 0x10000, v5
	v_cmp_eq_u32_sdwa s[4:5], v5, v11 src0_sel:WORD_0 src1_sel:DWORD
	v_cndmask_b32_e64 v5, v6, v5, s[4:5]
	v_accvgpr_write_b32 a53, v5
; %bb.1057:                             ;   in Loop: Header=BB384_690 Depth=1
	s_or_b64 exec, exec, s[24:25]
	v_lshlrev_b32_e32 v3, 16, v3
	v_mul_f32_e32 v3, v31, v3
	v_and_b32_e32 v5, 0x7f800000, v3
	v_cmp_ne_u32_e64 s[4:5], s15, v5
                                        ; implicit-def: $agpr54
	s_and_saveexec_b64 s[24:25], s[4:5]
	s_xor_b64 s[4:5], exec, s[24:25]
; %bb.1058:                             ;   in Loop: Header=BB384_690 Depth=1
	v_bfe_u32 v5, v3, 16, 1
	v_add3_u32 v3, v3, v5, s30
	v_accvgpr_write_b32 a54, v3
                                        ; implicit-def: $vgpr3
; %bb.1059:                             ;   in Loop: Header=BB384_690 Depth=1
	s_andn2_saveexec_b64 s[24:25], s[4:5]
; %bb.1060:                             ;   in Loop: Header=BB384_690 Depth=1
	v_or_b32_e32 v5, 0x10000, v3
	v_cmp_eq_u32_sdwa s[4:5], v3, v11 src0_sel:WORD_0 src1_sel:DWORD
	v_cndmask_b32_e64 v3, v5, v3, s[4:5]
	v_accvgpr_write_b32 a54, v3
; %bb.1061:                             ;   in Loop: Header=BB384_690 Depth=1
	s_or_b64 exec, exec, s[24:25]
	v_lshlrev_b32_e32 v2, 16, v2
	v_mul_f32_e32 v2, v38, v2
	v_and_b32_e32 v3, 0x7f800000, v2
	v_cmp_ne_u32_e64 s[4:5], s15, v3
                                        ; implicit-def: $agpr55
	s_and_saveexec_b64 s[24:25], s[4:5]
	s_xor_b64 s[4:5], exec, s[24:25]
; %bb.1062:                             ;   in Loop: Header=BB384_690 Depth=1
	v_bfe_u32 v3, v2, 16, 1
	v_add3_u32 v2, v2, v3, s30
	v_accvgpr_write_b32 a55, v2
                                        ; implicit-def: $vgpr2
; %bb.1063:                             ;   in Loop: Header=BB384_690 Depth=1
	s_andn2_saveexec_b64 s[24:25], s[4:5]
; %bb.1064:                             ;   in Loop: Header=BB384_690 Depth=1
	v_or_b32_e32 v3, 0x10000, v2
	v_cmp_eq_u32_sdwa s[4:5], v2, v11 src0_sel:WORD_0 src1_sel:DWORD
	v_cndmask_b32_e64 v2, v3, v2, s[4:5]
	v_accvgpr_write_b32 a55, v2
; %bb.1065:                             ;   in Loop: Header=BB384_690 Depth=1
	s_or_b64 exec, exec, s[24:25]
	flat_load_dwordx2 v[2:3], v[0:1] offset:1536
	v_mov_b32_e32 v5, 0
	s_waitcnt vmcnt(0) lgkmcnt(0)
	v_cmp_ne_u16_sdwa s[4:5], v2, v11 src0_sel:BYTE_0 src1_sel:DWORD
	s_and_saveexec_b64 s[24:25], s[4:5]
	s_cbranch_execz .LBB384_1071
; %bb.1066:                             ;   in Loop: Header=BB384_690 Depth=1
	v_cmp_ne_u16_sdwa s[4:5], v2, s31 src0_sel:BYTE_0 src1_sel:DWORD
	v_bfrev_b32_e32 v5, 1
	s_and_saveexec_b64 s[26:27], s[4:5]
	s_cbranch_execz .LBB384_1070
; %bb.1067:                             ;   in Loop: Header=BB384_690 Depth=1
	v_and_b32_e32 v6, 0x7f, v2
	v_cmp_ne_u32_e64 s[4:5], s34, v6
	v_mov_b32_e32 v5, 0x7f800001
	s_and_saveexec_b64 s[28:29], s[4:5]
	s_cbranch_execz .LBB384_1069
; %bb.1068:                             ;   in Loop: Header=BB384_690 Depth=1
	v_and_b32_e32 v5, 7, v2
	v_ffbh_u32_e32 v5, v5
	v_min_u32_e32 v5, 32, v5
	v_subrev_u32_e32 v9, 28, v5
	v_cmp_gt_u32_e64 s[4:5], 8, v6
	v_lshrrev_b32_e32 v8, 3, v6
	v_sub_u32_e32 v5, 29, v5
	v_cndmask_b32_e64 v6, 0, v9, s[4:5]
	v_cndmask_b32_e64 v5, v8, v5, s[4:5]
	v_lshlrev_b64 v[8:9], v6, v[2:3]
	v_lshlrev_b32_e32 v6, 20, v8
	v_lshlrev_b32_e32 v8, 24, v2
	v_and_b32_e32 v6, 0x700000, v6
	v_and_b32_e32 v8, 0x80000000, v8
	v_lshl_add_u32 v5, v5, 23, v28
	v_or3_b32 v5, v8, v5, v6
.LBB384_1069:                           ;   in Loop: Header=BB384_690 Depth=1
	s_or_b64 exec, exec, s[28:29]
.LBB384_1070:                           ;   in Loop: Header=BB384_690 Depth=1
	s_or_b64 exec, exec, s[26:27]
.LBB384_1071:                           ;   in Loop: Header=BB384_690 Depth=1
	s_or_b64 exec, exec, s[24:25]
	v_mul_f32_e32 v5, v7, v5
	v_and_b32_e32 v6, 0x7f800000, v5
	v_cmp_ne_u32_e64 s[4:5], s15, v6
                                        ; implicit-def: $vgpr8
	s_and_saveexec_b64 s[24:25], s[4:5]
	s_xor_b64 s[4:5], exec, s[24:25]
; %bb.1072:                             ;   in Loop: Header=BB384_690 Depth=1
	v_bfe_u32 v6, v5, 16, 1
	v_add3_u32 v8, v5, v6, s30
                                        ; implicit-def: $vgpr5
; %bb.1073:                             ;   in Loop: Header=BB384_690 Depth=1
	s_andn2_saveexec_b64 s[24:25], s[4:5]
; %bb.1074:                             ;   in Loop: Header=BB384_690 Depth=1
	v_or_b32_e32 v6, 0x10000, v5
	v_cmp_eq_u32_sdwa s[4:5], v5, v11 src0_sel:WORD_0 src1_sel:DWORD
	v_cndmask_b32_e64 v8, v6, v5, s[4:5]
; %bb.1075:                             ;   in Loop: Header=BB384_690 Depth=1
	s_or_b64 exec, exec, s[24:25]
	v_lshrrev_b16_e32 v6, 8, v2
	v_cmp_ne_u16_e64 s[4:5], 0, v6
	v_mov_b32_e32 v5, 0
	s_and_saveexec_b64 s[24:25], s[4:5]
	s_cbranch_execz .LBB384_1081
; %bb.1076:                             ;   in Loop: Header=BB384_690 Depth=1
	v_cmp_ne_u16_e64 s[4:5], s31, v6
	v_bfrev_b32_e32 v5, 1
	s_and_saveexec_b64 s[26:27], s[4:5]
	s_cbranch_execz .LBB384_1080
; %bb.1077:                             ;   in Loop: Header=BB384_690 Depth=1
	v_and_b32_e32 v9, 0x7f, v6
	v_cmp_ne_u32_e64 s[4:5], s34, v9
	v_mov_b32_e32 v5, 0x7f800001
	s_and_saveexec_b64 s[28:29], s[4:5]
	s_cbranch_execz .LBB384_1079
; %bb.1078:                             ;   in Loop: Header=BB384_690 Depth=1
	v_and_b32_e32 v5, 7, v6
	v_ffbh_u32_e32 v12, v5
	v_min_u32_e32 v12, 32, v12
	v_subrev_u32_e32 v13, 28, v12
	v_lshlrev_b64 v[20:21], v13, v[6:7]
	v_lshrrev_b32_e32 v10, 3, v9
	v_sub_u32_e32 v6, 29, v12
	v_and_b32_e32 v12, 7, v20
	v_cmp_gt_u32_e64 s[4:5], 8, v9
	v_cndmask_b32_e64 v6, v10, v6, s[4:5]
	v_cndmask_b32_e64 v5, v5, v12, s[4:5]
	v_lshlrev_b32_e32 v9, 16, v2
	v_lshlrev_b32_e32 v5, 20, v5
	v_and_b32_e32 v9, 0x80000000, v9
	v_lshl_add_u32 v6, v6, 23, v28
	v_or3_b32 v5, v9, v6, v5
.LBB384_1079:                           ;   in Loop: Header=BB384_690 Depth=1
	s_or_b64 exec, exec, s[28:29]
.LBB384_1080:                           ;   in Loop: Header=BB384_690 Depth=1
	s_or_b64 exec, exec, s[26:27]
.LBB384_1081:                           ;   in Loop: Header=BB384_690 Depth=1
	s_or_b64 exec, exec, s[24:25]
	v_mul_f32_e32 v5, v7, v5
	v_and_b32_e32 v6, 0x7f800000, v5
	v_cmp_ne_u32_e64 s[4:5], s15, v6
                                        ; implicit-def: $vgpr9
	s_and_saveexec_b64 s[24:25], s[4:5]
	s_xor_b64 s[4:5], exec, s[24:25]
; %bb.1082:                             ;   in Loop: Header=BB384_690 Depth=1
	v_bfe_u32 v6, v5, 16, 1
	v_add3_u32 v9, v5, v6, s30
                                        ; implicit-def: $vgpr5
; %bb.1083:                             ;   in Loop: Header=BB384_690 Depth=1
	s_andn2_saveexec_b64 s[24:25], s[4:5]
; %bb.1084:                             ;   in Loop: Header=BB384_690 Depth=1
	v_or_b32_e32 v6, 0x10000, v5
	v_cmp_eq_u32_sdwa s[4:5], v5, v11 src0_sel:WORD_0 src1_sel:DWORD
	v_cndmask_b32_e64 v9, v6, v5, s[4:5]
; %bb.1085:                             ;   in Loop: Header=BB384_690 Depth=1
	s_or_b64 exec, exec, s[24:25]
	v_lshrrev_b32_e32 v6, 16, v2
	v_cmp_ne_u16_sdwa s[4:5], v6, v11 src0_sel:BYTE_0 src1_sel:DWORD
	v_mov_b32_e32 v5, 0
	s_and_saveexec_b64 s[24:25], s[4:5]
	s_cbranch_execz .LBB384_1091
; %bb.1086:                             ;   in Loop: Header=BB384_690 Depth=1
	v_cmp_ne_u16_sdwa s[4:5], v6, s31 src0_sel:BYTE_0 src1_sel:DWORD
	v_bfrev_b32_e32 v5, 1
	s_and_saveexec_b64 s[26:27], s[4:5]
	s_cbranch_execz .LBB384_1090
; %bb.1087:                             ;   in Loop: Header=BB384_690 Depth=1
	v_bfe_u32 v10, v2, 16, 7
	v_cmp_ne_u32_e64 s[4:5], s34, v10
	v_mov_b32_e32 v5, 0x7f800001
	s_and_saveexec_b64 s[28:29], s[4:5]
	s_cbranch_execz .LBB384_1089
; %bb.1088:                             ;   in Loop: Header=BB384_690 Depth=1
	v_and_b32_e32 v5, 7, v6
	v_ffbh_u32_e32 v13, v5
	v_min_u32_e32 v13, 32, v13
	v_subrev_u32_e32 v20, 28, v13
	v_lshlrev_b64 v[20:21], v20, v[6:7]
	v_lshrrev_b32_e32 v12, 3, v10
	v_sub_u32_e32 v13, 29, v13
	v_and_b32_e32 v20, 7, v20
	v_cmp_gt_u32_e64 s[4:5], 8, v10
	v_cndmask_b32_e64 v10, v12, v13, s[4:5]
	v_cndmask_b32_e64 v5, v5, v20, s[4:5]
	v_lshlrev_b32_e32 v6, 24, v6
	v_lshlrev_b32_e32 v5, 20, v5
	v_and_b32_e32 v6, 0x80000000, v6
	v_lshl_add_u32 v10, v10, 23, v28
	v_or3_b32 v5, v6, v10, v5
.LBB384_1089:                           ;   in Loop: Header=BB384_690 Depth=1
	s_or_b64 exec, exec, s[28:29]
.LBB384_1090:                           ;   in Loop: Header=BB384_690 Depth=1
	s_or_b64 exec, exec, s[26:27]
.LBB384_1091:                           ;   in Loop: Header=BB384_690 Depth=1
	s_or_b64 exec, exec, s[24:25]
	v_mul_f32_e32 v5, v7, v5
	v_and_b32_e32 v6, 0x7f800000, v5
	v_cmp_ne_u32_e64 s[4:5], s15, v6
                                        ; implicit-def: $vgpr20
	s_and_saveexec_b64 s[24:25], s[4:5]
	s_xor_b64 s[4:5], exec, s[24:25]
; %bb.1092:                             ;   in Loop: Header=BB384_690 Depth=1
	v_bfe_u32 v6, v5, 16, 1
	v_add3_u32 v20, v5, v6, s30
                                        ; implicit-def: $vgpr5
; %bb.1093:                             ;   in Loop: Header=BB384_690 Depth=1
	s_andn2_saveexec_b64 s[24:25], s[4:5]
; %bb.1094:                             ;   in Loop: Header=BB384_690 Depth=1
	v_or_b32_e32 v6, 0x10000, v5
	v_cmp_eq_u32_sdwa s[4:5], v5, v11 src0_sel:WORD_0 src1_sel:DWORD
	v_cndmask_b32_e64 v20, v6, v5, s[4:5]
; %bb.1095:                             ;   in Loop: Header=BB384_690 Depth=1
	s_or_b64 exec, exec, s[24:25]
	v_cmp_lt_u32_e64 s[4:5], s11, v2
	v_mov_b32_e32 v5, 0
	s_and_saveexec_b64 s[24:25], s[4:5]
	s_cbranch_execz .LBB384_1101
; %bb.1096:                             ;   in Loop: Header=BB384_690 Depth=1
	v_lshrrev_b32_e32 v6, 24, v2
	v_cmp_ne_u32_e64 s[4:5], s31, v6
	v_bfrev_b32_e32 v5, 1
	s_and_saveexec_b64 s[26:27], s[4:5]
	s_cbranch_execz .LBB384_1100
; %bb.1097:                             ;   in Loop: Header=BB384_690 Depth=1
	v_bfe_u32 v10, v2, 24, 7
	v_cmp_ne_u32_e64 s[4:5], s34, v10
	v_mov_b32_e32 v5, 0x7f800001
	s_and_saveexec_b64 s[28:29], s[4:5]
	s_cbranch_execz .LBB384_1099
; %bb.1098:                             ;   in Loop: Header=BB384_690 Depth=1
	v_and_b32_e32 v5, 7, v6
	v_ffbh_u32_e32 v13, v5
	v_min_u32_e32 v13, 32, v13
	v_subrev_u32_e32 v21, 28, v13
	v_lshlrev_b64 v[26:27], v21, v[6:7]
	v_lshrrev_b32_e32 v12, 3, v10
	v_sub_u32_e32 v13, 29, v13
	v_and_b32_e32 v21, 7, v26
	v_cmp_gt_u32_e64 s[4:5], 8, v10
	v_cndmask_b32_e64 v10, v12, v13, s[4:5]
	v_cndmask_b32_e64 v5, v5, v21, s[4:5]
	v_lshlrev_b32_e32 v6, 24, v6
	v_lshlrev_b32_e32 v5, 20, v5
	v_and_b32_e32 v6, 0x80000000, v6
	v_lshl_add_u32 v10, v10, 23, v28
	v_or3_b32 v5, v6, v10, v5
.LBB384_1099:                           ;   in Loop: Header=BB384_690 Depth=1
	s_or_b64 exec, exec, s[28:29]
.LBB384_1100:                           ;   in Loop: Header=BB384_690 Depth=1
	s_or_b64 exec, exec, s[26:27]
.LBB384_1101:                           ;   in Loop: Header=BB384_690 Depth=1
	s_or_b64 exec, exec, s[24:25]
	v_mul_f32_e32 v5, v7, v5
	v_and_b32_e32 v6, 0x7f800000, v5
	v_cmp_ne_u32_e64 s[4:5], s15, v6
                                        ; implicit-def: $vgpr21
	s_and_saveexec_b64 s[24:25], s[4:5]
	s_xor_b64 s[4:5], exec, s[24:25]
; %bb.1102:                             ;   in Loop: Header=BB384_690 Depth=1
	v_bfe_u32 v6, v5, 16, 1
	v_add3_u32 v21, v5, v6, s30
                                        ; implicit-def: $vgpr5
; %bb.1103:                             ;   in Loop: Header=BB384_690 Depth=1
	s_andn2_saveexec_b64 s[24:25], s[4:5]
; %bb.1104:                             ;   in Loop: Header=BB384_690 Depth=1
	v_or_b32_e32 v6, 0x10000, v5
	v_cmp_eq_u32_sdwa s[4:5], v5, v11 src0_sel:WORD_0 src1_sel:DWORD
	v_cndmask_b32_e64 v21, v6, v5, s[4:5]
; %bb.1105:                             ;   in Loop: Header=BB384_690 Depth=1
	s_or_b64 exec, exec, s[24:25]
	v_mov_b32_e32 v10, v3
	v_cmp_ne_u16_sdwa s[4:5], v3, v11 src0_sel:BYTE_0 src1_sel:DWORD
	v_mov_b32_e32 v5, 0
	s_and_saveexec_b64 s[24:25], s[4:5]
	s_cbranch_execz .LBB384_1111
; %bb.1106:                             ;   in Loop: Header=BB384_690 Depth=1
	v_cmp_ne_u16_sdwa s[4:5], v3, s31 src0_sel:BYTE_0 src1_sel:DWORD
	v_bfrev_b32_e32 v5, 1
	s_and_saveexec_b64 s[26:27], s[4:5]
	s_cbranch_execz .LBB384_1110
; %bb.1107:                             ;   in Loop: Header=BB384_690 Depth=1
	v_and_b32_e32 v6, 0x7f, v3
	v_cmp_ne_u32_e64 s[4:5], s34, v6
	v_mov_b32_e32 v5, 0x7f800001
	s_and_saveexec_b64 s[28:29], s[4:5]
	s_cbranch_execz .LBB384_1109
; %bb.1108:                             ;   in Loop: Header=BB384_690 Depth=1
	v_and_b32_e32 v5, 7, v3
	v_ffbh_u32_e32 v5, v5
	v_min_u32_e32 v5, 32, v5
	v_subrev_u32_e32 v13, 28, v5
	v_cmp_gt_u32_e64 s[4:5], 8, v6
	v_lshrrev_b32_e32 v12, 3, v6
	v_cndmask_b32_e64 v6, 0, v13, s[4:5]
	v_sub_u32_e32 v5, 29, v5
	v_lshlrev_b64 v[26:27], v6, v[10:11]
	v_cndmask_b32_e64 v5, v12, v5, s[4:5]
	v_lshlrev_b32_e32 v6, 20, v26
	v_lshlrev_b32_e32 v12, 24, v10
	v_and_b32_e32 v6, 0x700000, v6
	v_and_b32_e32 v12, 0x80000000, v12
	v_lshl_add_u32 v5, v5, 23, v28
	v_or3_b32 v5, v12, v5, v6
.LBB384_1109:                           ;   in Loop: Header=BB384_690 Depth=1
	s_or_b64 exec, exec, s[28:29]
.LBB384_1110:                           ;   in Loop: Header=BB384_690 Depth=1
	s_or_b64 exec, exec, s[26:27]
.LBB384_1111:                           ;   in Loop: Header=BB384_690 Depth=1
	s_or_b64 exec, exec, s[24:25]
	v_mul_f32_e32 v5, v7, v5
	v_and_b32_e32 v6, 0x7f800000, v5
	v_cmp_ne_u32_e64 s[4:5], s15, v6
                                        ; implicit-def: $vgpr22
	s_and_saveexec_b64 s[24:25], s[4:5]
	s_xor_b64 s[4:5], exec, s[24:25]
; %bb.1112:                             ;   in Loop: Header=BB384_690 Depth=1
	v_bfe_u32 v6, v5, 16, 1
	v_add3_u32 v22, v5, v6, s30
                                        ; implicit-def: $vgpr5
; %bb.1113:                             ;   in Loop: Header=BB384_690 Depth=1
	s_andn2_saveexec_b64 s[24:25], s[4:5]
; %bb.1114:                             ;   in Loop: Header=BB384_690 Depth=1
	v_or_b32_e32 v6, 0x10000, v5
	v_cmp_eq_u32_sdwa s[4:5], v5, v11 src0_sel:WORD_0 src1_sel:DWORD
	v_cndmask_b32_e64 v22, v6, v5, s[4:5]
; %bb.1115:                             ;   in Loop: Header=BB384_690 Depth=1
	s_or_b64 exec, exec, s[24:25]
	v_lshrrev_b16_e32 v6, 8, v10
	v_cmp_ne_u16_e64 s[4:5], 0, v6
	v_mov_b32_e32 v5, 0
	s_and_saveexec_b64 s[24:25], s[4:5]
	s_cbranch_execz .LBB384_1121
; %bb.1116:                             ;   in Loop: Header=BB384_690 Depth=1
	v_cmp_ne_u16_e64 s[4:5], s31, v6
	v_bfrev_b32_e32 v5, 1
	s_and_saveexec_b64 s[26:27], s[4:5]
	s_cbranch_execz .LBB384_1120
; %bb.1117:                             ;   in Loop: Header=BB384_690 Depth=1
	v_and_b32_e32 v26, 0x7f, v6
	v_cmp_ne_u32_e64 s[4:5], s34, v26
	v_mov_b32_e32 v5, 0x7f800001
	s_and_saveexec_b64 s[28:29], s[4:5]
	s_cbranch_execz .LBB384_1119
; %bb.1118:                             ;   in Loop: Header=BB384_690 Depth=1
	v_and_b32_e32 v5, 7, v6
	v_ffbh_u32_e32 v13, v5
	v_min_u32_e32 v13, 32, v13
	v_subrev_u32_e32 v23, 28, v13
	v_lshlrev_b64 v[28:29], v23, v[6:7]
	v_lshrrev_b32_e32 v12, 3, v26
	v_sub_u32_e32 v6, 29, v13
	v_and_b32_e32 v13, 7, v28
	v_cmp_gt_u32_e64 s[4:5], 8, v26
	v_bfrev_b32_e32 v28, 60
	v_cndmask_b32_e64 v6, v12, v6, s[4:5]
	v_cndmask_b32_e64 v5, v5, v13, s[4:5]
	v_lshlrev_b32_e32 v10, 16, v10
	v_lshlrev_b32_e32 v5, 20, v5
	v_and_b32_e32 v10, 0x80000000, v10
	v_lshl_add_u32 v6, v6, 23, v28
	v_accvgpr_read_b32 v23, a33
	v_or3_b32 v5, v10, v6, v5
.LBB384_1119:                           ;   in Loop: Header=BB384_690 Depth=1
	s_or_b64 exec, exec, s[28:29]
.LBB384_1120:                           ;   in Loop: Header=BB384_690 Depth=1
	s_or_b64 exec, exec, s[26:27]
.LBB384_1121:                           ;   in Loop: Header=BB384_690 Depth=1
	s_or_b64 exec, exec, s[24:25]
	v_mul_f32_e32 v6, v7, v5
	v_and_b32_e32 v5, 0x7f800000, v6
	v_cmp_ne_u32_e64 s[4:5], s15, v5
                                        ; implicit-def: $vgpr5
	s_and_saveexec_b64 s[24:25], s[4:5]
	s_xor_b64 s[4:5], exec, s[24:25]
; %bb.1122:                             ;   in Loop: Header=BB384_690 Depth=1
	v_bfe_u32 v5, v6, 16, 1
	v_add3_u32 v5, v6, v5, s30
                                        ; implicit-def: $vgpr6
; %bb.1123:                             ;   in Loop: Header=BB384_690 Depth=1
	s_andn2_saveexec_b64 s[24:25], s[4:5]
; %bb.1124:                             ;   in Loop: Header=BB384_690 Depth=1
	v_or_b32_e32 v5, 0x10000, v6
	v_cmp_eq_u32_sdwa s[4:5], v6, v11 src0_sel:WORD_0 src1_sel:DWORD
	v_cndmask_b32_e64 v5, v5, v6, s[4:5]
; %bb.1125:                             ;   in Loop: Header=BB384_690 Depth=1
	s_or_b64 exec, exec, s[24:25]
	v_lshrrev_b32_e32 v6, 16, v3
	v_cmp_ne_u16_sdwa s[4:5], v6, v11 src0_sel:BYTE_0 src1_sel:DWORD
	v_mov_b32_e32 v10, 0
	s_and_saveexec_b64 s[24:25], s[4:5]
	s_cbranch_execz .LBB384_1131
; %bb.1126:                             ;   in Loop: Header=BB384_690 Depth=1
	v_cmp_ne_u16_sdwa s[4:5], v6, s31 src0_sel:BYTE_0 src1_sel:DWORD
	v_bfrev_b32_e32 v10, 1
	s_and_saveexec_b64 s[26:27], s[4:5]
	s_cbranch_execz .LBB384_1130
; %bb.1127:                             ;   in Loop: Header=BB384_690 Depth=1
	v_bfe_u32 v26, v3, 16, 7
	v_cmp_ne_u32_e64 s[4:5], s34, v26
	v_mov_b32_e32 v10, 0x7f800001
	s_and_saveexec_b64 s[28:29], s[4:5]
	s_cbranch_execz .LBB384_1129
; %bb.1128:                             ;   in Loop: Header=BB384_690 Depth=1
	v_and_b32_e32 v10, 7, v6
	v_ffbh_u32_e32 v13, v10
	v_min_u32_e32 v13, 32, v13
	v_subrev_u32_e32 v23, 28, v13
	v_lshlrev_b64 v[28:29], v23, v[6:7]
	v_lshrrev_b32_e32 v12, 3, v26
	v_sub_u32_e32 v13, 29, v13
	v_and_b32_e32 v23, 7, v28
	v_cmp_gt_u32_e64 s[4:5], 8, v26
	v_bfrev_b32_e32 v28, 60
	v_cndmask_b32_e64 v12, v12, v13, s[4:5]
	v_cndmask_b32_e64 v10, v10, v23, s[4:5]
	v_lshlrev_b32_e32 v6, 24, v6
	v_lshlrev_b32_e32 v10, 20, v10
	v_and_b32_e32 v6, 0x80000000, v6
	v_lshl_add_u32 v12, v12, 23, v28
	v_accvgpr_read_b32 v23, a33
	v_or3_b32 v10, v6, v12, v10
.LBB384_1129:                           ;   in Loop: Header=BB384_690 Depth=1
	s_or_b64 exec, exec, s[28:29]
.LBB384_1130:                           ;   in Loop: Header=BB384_690 Depth=1
	s_or_b64 exec, exec, s[26:27]
.LBB384_1131:                           ;   in Loop: Header=BB384_690 Depth=1
	s_or_b64 exec, exec, s[24:25]
	v_mul_f32_e32 v6, v7, v10
	v_and_b32_e32 v10, 0x7f800000, v6
	v_cmp_ne_u32_e64 s[4:5], s15, v10
                                        ; implicit-def: $vgpr26
	s_and_saveexec_b64 s[24:25], s[4:5]
	s_xor_b64 s[4:5], exec, s[24:25]
; %bb.1132:                             ;   in Loop: Header=BB384_690 Depth=1
	v_bfe_u32 v10, v6, 16, 1
	v_add3_u32 v26, v6, v10, s30
                                        ; implicit-def: $vgpr6
; %bb.1133:                             ;   in Loop: Header=BB384_690 Depth=1
	s_andn2_saveexec_b64 s[24:25], s[4:5]
; %bb.1134:                             ;   in Loop: Header=BB384_690 Depth=1
	v_or_b32_e32 v10, 0x10000, v6
	v_cmp_eq_u32_sdwa s[4:5], v6, v11 src0_sel:WORD_0 src1_sel:DWORD
	v_cndmask_b32_e64 v26, v10, v6, s[4:5]
; %bb.1135:                             ;   in Loop: Header=BB384_690 Depth=1
	s_or_b64 exec, exec, s[24:25]
	v_cmp_lt_u64_e64 s[4:5], s[10:11], v[2:3]
	v_mov_b32_e32 v6, 0
	s_and_saveexec_b64 s[24:25], s[4:5]
	s_cbranch_execz .LBB384_1141
; %bb.1136:                             ;   in Loop: Header=BB384_690 Depth=1
	v_lshrrev_b32_e32 v2, 24, v3
	v_cmp_ne_u32_e64 s[4:5], s31, v2
	v_bfrev_b32_e32 v6, 1
	s_and_saveexec_b64 s[26:27], s[4:5]
	s_cbranch_execz .LBB384_1140
; %bb.1137:                             ;   in Loop: Header=BB384_690 Depth=1
	v_bfe_u32 v3, v3, 24, 7
	v_cmp_ne_u32_e64 s[4:5], s34, v3
	v_mov_b32_e32 v6, 0x7f800001
	s_and_saveexec_b64 s[28:29], s[4:5]
	s_cbranch_execz .LBB384_1139
; %bb.1138:                             ;   in Loop: Header=BB384_690 Depth=1
	v_and_b32_e32 v6, 7, v2
	v_ffbh_u32_e32 v12, v6
	v_min_u32_e32 v12, 32, v12
	v_subrev_u32_e32 v13, 28, v12
	v_lshlrev_b64 v[28:29], v13, v[2:3]
	v_lshrrev_b32_e32 v10, 3, v3
	v_sub_u32_e32 v12, 29, v12
	v_and_b32_e32 v13, 7, v28
	v_cmp_gt_u32_e64 s[4:5], 8, v3
	v_bfrev_b32_e32 v28, 60
	v_cndmask_b32_e64 v3, v10, v12, s[4:5]
	v_cndmask_b32_e64 v6, v6, v13, s[4:5]
	v_lshlrev_b32_e32 v2, 24, v2
	v_lshlrev_b32_e32 v6, 20, v6
	v_and_b32_e32 v2, 0x80000000, v2
	v_lshl_add_u32 v3, v3, 23, v28
	v_or3_b32 v6, v2, v3, v6
.LBB384_1139:                           ;   in Loop: Header=BB384_690 Depth=1
	s_or_b64 exec, exec, s[28:29]
.LBB384_1140:                           ;   in Loop: Header=BB384_690 Depth=1
	s_or_b64 exec, exec, s[26:27]
.LBB384_1141:                           ;   in Loop: Header=BB384_690 Depth=1
	s_or_b64 exec, exec, s[24:25]
	v_mul_f32_e32 v3, v7, v6
	v_and_b32_e32 v2, 0x7f800000, v3
	v_cmp_ne_u32_e64 s[4:5], s15, v2
                                        ; implicit-def: $vgpr2
	s_and_saveexec_b64 s[24:25], s[4:5]
	s_xor_b64 s[4:5], exec, s[24:25]
; %bb.1142:                             ;   in Loop: Header=BB384_690 Depth=1
	v_bfe_u32 v2, v3, 16, 1
	v_add3_u32 v2, v3, v2, s30
                                        ; implicit-def: $vgpr3
; %bb.1143:                             ;   in Loop: Header=BB384_690 Depth=1
	s_andn2_saveexec_b64 s[24:25], s[4:5]
; %bb.1144:                             ;   in Loop: Header=BB384_690 Depth=1
	v_or_b32_e32 v2, 0x10000, v3
	v_cmp_eq_u32_sdwa s[4:5], v3, v11 src0_sel:WORD_0 src1_sel:DWORD
	v_cndmask_b32_e64 v2, v2, v3, s[4:5]
; %bb.1145:                             ;   in Loop: Header=BB384_690 Depth=1
	s_or_b64 exec, exec, s[24:25]
	v_lshrrev_b32_e32 v5, 16, v5
	v_lshrrev_b32_e32 v6, 16, v22
	v_lshrrev_b32_e32 v10, 16, v21
	v_lshrrev_b32_e32 v20, 16, v20
	v_lshrrev_b32_e32 v9, 16, v9
	v_lshrrev_b32_e32 v8, 16, v8
	v_lshrrev_b32_e32 v3, 16, v26
	v_lshrrev_b32_e32 v2, 16, v2
	s_and_saveexec_b64 s[24:25], vcc
	s_cbranch_execz .LBB384_1147
; %bb.1146:                             ;   in Loop: Header=BB384_690 Depth=1
	buffer_load_dword v12, off, s[0:3], s32 offset:196 ; 4-byte Folded Reload
	v_accvgpr_read_b32 v13, a39
	s_waitcnt vmcnt(0)
	v_cmp_lt_i32_e64 s[4:5], v54, v12
	v_cndmask_b32_e64 v8, 0, v8, s[4:5]
	v_cmp_lt_i32_e64 s[4:5], v13, v12
	v_accvgpr_read_b32 v13, a38
	v_cndmask_b32_e64 v9, 0, v9, s[4:5]
	v_cmp_lt_i32_e64 s[4:5], v13, v12
	v_accvgpr_read_b32 v13, a37
	;; [unrolled: 3-line block ×5, first 2 shown]
	v_cndmask_b32_e64 v5, 0, v5, s[4:5]
	v_cmp_lt_i32_e64 s[4:5], v13, v12
	v_cndmask_b32_e64 v3, 0, v3, s[4:5]
	v_cmp_lt_i32_e64 s[4:5], v23, v12
	v_cndmask_b32_e64 v2, 0, v2, s[4:5]
.LBB384_1147:                           ;   in Loop: Header=BB384_690 Depth=1
	s_or_b64 exec, exec, s[24:25]
	v_lshlrev_b32_e32 v8, 16, v8
	v_mul_f32_e32 v8, v57, v8
	v_and_b32_e32 v12, 0x7f800000, v8
	v_cmp_ne_u32_e64 s[4:5], s15, v12
                                        ; implicit-def: $agpr56
	s_and_saveexec_b64 s[24:25], s[4:5]
	s_xor_b64 s[4:5], exec, s[24:25]
; %bb.1148:                             ;   in Loop: Header=BB384_690 Depth=1
	v_bfe_u32 v12, v8, 16, 1
	v_add3_u32 v8, v8, v12, s30
	v_accvgpr_write_b32 a56, v8
                                        ; implicit-def: $vgpr8
; %bb.1149:                             ;   in Loop: Header=BB384_690 Depth=1
	s_andn2_saveexec_b64 s[24:25], s[4:5]
; %bb.1150:                             ;   in Loop: Header=BB384_690 Depth=1
	v_or_b32_e32 v12, 0x10000, v8
	v_cmp_eq_u32_sdwa s[4:5], v8, v11 src0_sel:WORD_0 src1_sel:DWORD
	v_cndmask_b32_e64 v8, v12, v8, s[4:5]
	v_accvgpr_write_b32 a56, v8
; %bb.1151:                             ;   in Loop: Header=BB384_690 Depth=1
	s_or_b64 exec, exec, s[24:25]
	v_lshlrev_b32_e32 v8, 16, v9
	v_mul_f32_e32 v8, v58, v8
	v_and_b32_e32 v9, 0x7f800000, v8
	v_cmp_ne_u32_e64 s[4:5], s15, v9
                                        ; implicit-def: $agpr57
	s_and_saveexec_b64 s[24:25], s[4:5]
	s_xor_b64 s[4:5], exec, s[24:25]
; %bb.1152:                             ;   in Loop: Header=BB384_690 Depth=1
	v_bfe_u32 v9, v8, 16, 1
	v_add3_u32 v8, v8, v9, s30
	v_accvgpr_write_b32 a57, v8
                                        ; implicit-def: $vgpr8
; %bb.1153:                             ;   in Loop: Header=BB384_690 Depth=1
	s_andn2_saveexec_b64 s[24:25], s[4:5]
; %bb.1154:                             ;   in Loop: Header=BB384_690 Depth=1
	v_or_b32_e32 v9, 0x10000, v8
	v_cmp_eq_u32_sdwa s[4:5], v8, v11 src0_sel:WORD_0 src1_sel:DWORD
	v_cndmask_b32_e64 v8, v9, v8, s[4:5]
	v_accvgpr_write_b32 a57, v8
; %bb.1155:                             ;   in Loop: Header=BB384_690 Depth=1
	s_or_b64 exec, exec, s[24:25]
	v_lshlrev_b32_e32 v8, 16, v20
	v_mul_f32_e32 v8, v60, v8
	v_and_b32_e32 v9, 0x7f800000, v8
	v_cmp_ne_u32_e64 s[4:5], s15, v9
                                        ; implicit-def: $agpr58
	s_and_saveexec_b64 s[24:25], s[4:5]
	s_xor_b64 s[4:5], exec, s[24:25]
; %bb.1156:                             ;   in Loop: Header=BB384_690 Depth=1
	v_bfe_u32 v9, v8, 16, 1
	v_add3_u32 v8, v8, v9, s30
	v_accvgpr_write_b32 a58, v8
                                        ; implicit-def: $vgpr8
; %bb.1157:                             ;   in Loop: Header=BB384_690 Depth=1
	s_andn2_saveexec_b64 s[24:25], s[4:5]
; %bb.1158:                             ;   in Loop: Header=BB384_690 Depth=1
	v_or_b32_e32 v9, 0x10000, v8
	v_cmp_eq_u32_sdwa s[4:5], v8, v11 src0_sel:WORD_0 src1_sel:DWORD
	v_cndmask_b32_e64 v8, v9, v8, s[4:5]
	v_accvgpr_write_b32 a58, v8
; %bb.1159:                             ;   in Loop: Header=BB384_690 Depth=1
	s_or_b64 exec, exec, s[24:25]
	v_lshlrev_b32_e32 v8, 16, v10
	v_mul_f32_e32 v8, v37, v8
	v_and_b32_e32 v9, 0x7f800000, v8
	v_cmp_ne_u32_e64 s[4:5], s15, v9
                                        ; implicit-def: $agpr59
	s_and_saveexec_b64 s[24:25], s[4:5]
	s_xor_b64 s[4:5], exec, s[24:25]
; %bb.1160:                             ;   in Loop: Header=BB384_690 Depth=1
	v_bfe_u32 v9, v8, 16, 1
	v_add3_u32 v8, v8, v9, s30
	v_accvgpr_write_b32 a59, v8
                                        ; implicit-def: $vgpr8
; %bb.1161:                             ;   in Loop: Header=BB384_690 Depth=1
	s_andn2_saveexec_b64 s[24:25], s[4:5]
; %bb.1162:                             ;   in Loop: Header=BB384_690 Depth=1
	v_or_b32_e32 v9, 0x10000, v8
	v_cmp_eq_u32_sdwa s[4:5], v8, v11 src0_sel:WORD_0 src1_sel:DWORD
	v_cndmask_b32_e64 v8, v9, v8, s[4:5]
	v_accvgpr_write_b32 a59, v8
; %bb.1163:                             ;   in Loop: Header=BB384_690 Depth=1
	s_or_b64 exec, exec, s[24:25]
	v_lshlrev_b32_e32 v6, 16, v6
	v_mul_f32_e32 v6, v41, v6
	v_and_b32_e32 v8, 0x7f800000, v6
	v_cmp_ne_u32_e64 s[4:5], s15, v8
                                        ; implicit-def: $agpr60
	s_and_saveexec_b64 s[24:25], s[4:5]
	s_xor_b64 s[4:5], exec, s[24:25]
; %bb.1164:                             ;   in Loop: Header=BB384_690 Depth=1
	v_bfe_u32 v8, v6, 16, 1
	v_add3_u32 v6, v6, v8, s30
	v_accvgpr_write_b32 a60, v6
                                        ; implicit-def: $vgpr6
; %bb.1165:                             ;   in Loop: Header=BB384_690 Depth=1
	s_andn2_saveexec_b64 s[24:25], s[4:5]
; %bb.1166:                             ;   in Loop: Header=BB384_690 Depth=1
	v_or_b32_e32 v8, 0x10000, v6
	v_cmp_eq_u32_sdwa s[4:5], v6, v11 src0_sel:WORD_0 src1_sel:DWORD
	v_cndmask_b32_e64 v6, v8, v6, s[4:5]
	v_accvgpr_write_b32 a60, v6
; %bb.1167:                             ;   in Loop: Header=BB384_690 Depth=1
	s_or_b64 exec, exec, s[24:25]
	v_lshlrev_b32_e32 v5, 16, v5
	v_mul_f32_e32 v5, v34, v5
	v_and_b32_e32 v6, 0x7f800000, v5
	v_cmp_ne_u32_e64 s[4:5], s15, v6
                                        ; implicit-def: $agpr61
	s_and_saveexec_b64 s[24:25], s[4:5]
	s_xor_b64 s[4:5], exec, s[24:25]
; %bb.1168:                             ;   in Loop: Header=BB384_690 Depth=1
	v_bfe_u32 v6, v5, 16, 1
	v_add3_u32 v5, v5, v6, s30
	v_accvgpr_write_b32 a61, v5
                                        ; implicit-def: $vgpr5
; %bb.1169:                             ;   in Loop: Header=BB384_690 Depth=1
	s_andn2_saveexec_b64 s[24:25], s[4:5]
; %bb.1170:                             ;   in Loop: Header=BB384_690 Depth=1
	v_or_b32_e32 v6, 0x10000, v5
	v_cmp_eq_u32_sdwa s[4:5], v5, v11 src0_sel:WORD_0 src1_sel:DWORD
	v_cndmask_b32_e64 v5, v6, v5, s[4:5]
	v_accvgpr_write_b32 a61, v5
; %bb.1171:                             ;   in Loop: Header=BB384_690 Depth=1
	s_or_b64 exec, exec, s[24:25]
	v_lshlrev_b32_e32 v3, 16, v3
	v_mul_f32_e32 v3, v31, v3
	v_and_b32_e32 v5, 0x7f800000, v3
	v_cmp_ne_u32_e64 s[4:5], s15, v5
                                        ; implicit-def: $vgpr48
	s_and_saveexec_b64 s[24:25], s[4:5]
	s_xor_b64 s[4:5], exec, s[24:25]
; %bb.1172:                             ;   in Loop: Header=BB384_690 Depth=1
	v_bfe_u32 v5, v3, 16, 1
	v_add3_u32 v48, v3, v5, s30
                                        ; implicit-def: $vgpr3
; %bb.1173:                             ;   in Loop: Header=BB384_690 Depth=1
	s_andn2_saveexec_b64 s[24:25], s[4:5]
; %bb.1174:                             ;   in Loop: Header=BB384_690 Depth=1
	v_or_b32_e32 v5, 0x10000, v3
	v_cmp_eq_u32_sdwa s[4:5], v3, v11 src0_sel:WORD_0 src1_sel:DWORD
	v_cndmask_b32_e64 v48, v5, v3, s[4:5]
; %bb.1175:                             ;   in Loop: Header=BB384_690 Depth=1
	s_or_b64 exec, exec, s[24:25]
	v_lshlrev_b32_e32 v2, 16, v2
	v_mul_f32_e32 v2, v38, v2
	v_and_b32_e32 v3, 0x7f800000, v2
	v_cmp_ne_u32_e64 s[4:5], s15, v3
                                        ; implicit-def: $vgpr35
	s_and_saveexec_b64 s[24:25], s[4:5]
	s_xor_b64 s[4:5], exec, s[24:25]
; %bb.1176:                             ;   in Loop: Header=BB384_690 Depth=1
	v_bfe_u32 v3, v2, 16, 1
	v_add3_u32 v35, v2, v3, s30
                                        ; implicit-def: $vgpr2
; %bb.1177:                             ;   in Loop: Header=BB384_690 Depth=1
	s_andn2_saveexec_b64 s[24:25], s[4:5]
; %bb.1178:                             ;   in Loop: Header=BB384_690 Depth=1
	v_or_b32_e32 v3, 0x10000, v2
	v_cmp_eq_u32_sdwa s[4:5], v2, v11 src0_sel:WORD_0 src1_sel:DWORD
	v_cndmask_b32_e64 v35, v3, v2, s[4:5]
; %bb.1179:                             ;   in Loop: Header=BB384_690 Depth=1
	s_or_b64 exec, exec, s[24:25]
	flat_load_dwordx2 v[2:3], v[0:1] offset:2048
	v_mov_b32_e32 v5, 0
	s_waitcnt vmcnt(0) lgkmcnt(0)
	v_cmp_ne_u16_sdwa s[4:5], v2, v11 src0_sel:BYTE_0 src1_sel:DWORD
	s_and_saveexec_b64 s[24:25], s[4:5]
	s_cbranch_execz .LBB384_1185
; %bb.1180:                             ;   in Loop: Header=BB384_690 Depth=1
	v_cmp_ne_u16_sdwa s[4:5], v2, s31 src0_sel:BYTE_0 src1_sel:DWORD
	v_bfrev_b32_e32 v5, 1
	s_and_saveexec_b64 s[26:27], s[4:5]
	s_cbranch_execz .LBB384_1184
; %bb.1181:                             ;   in Loop: Header=BB384_690 Depth=1
	v_and_b32_e32 v6, 0x7f, v2
	v_cmp_ne_u32_e64 s[4:5], s34, v6
	v_mov_b32_e32 v5, 0x7f800001
	s_and_saveexec_b64 s[28:29], s[4:5]
	s_cbranch_execz .LBB384_1183
; %bb.1182:                             ;   in Loop: Header=BB384_690 Depth=1
	v_and_b32_e32 v5, 7, v2
	v_ffbh_u32_e32 v5, v5
	v_min_u32_e32 v5, 32, v5
	v_subrev_u32_e32 v9, 28, v5
	v_cmp_gt_u32_e64 s[4:5], 8, v6
	v_lshrrev_b32_e32 v8, 3, v6
	v_sub_u32_e32 v5, 29, v5
	v_cndmask_b32_e64 v6, 0, v9, s[4:5]
	v_cndmask_b32_e64 v5, v8, v5, s[4:5]
	v_lshlrev_b64 v[8:9], v6, v[2:3]
	v_lshlrev_b32_e32 v6, 20, v8
	v_lshlrev_b32_e32 v8, 24, v2
	v_and_b32_e32 v6, 0x700000, v6
	v_and_b32_e32 v8, 0x80000000, v8
	v_lshl_add_u32 v5, v5, 23, v28
	v_or3_b32 v5, v8, v5, v6
.LBB384_1183:                           ;   in Loop: Header=BB384_690 Depth=1
	s_or_b64 exec, exec, s[28:29]
.LBB384_1184:                           ;   in Loop: Header=BB384_690 Depth=1
	s_or_b64 exec, exec, s[26:27]
.LBB384_1185:                           ;   in Loop: Header=BB384_690 Depth=1
	s_or_b64 exec, exec, s[24:25]
	v_mul_f32_e32 v5, v7, v5
	v_and_b32_e32 v6, 0x7f800000, v5
	v_cmp_ne_u32_e64 s[4:5], s15, v6
                                        ; implicit-def: $vgpr8
	s_and_saveexec_b64 s[24:25], s[4:5]
	s_xor_b64 s[4:5], exec, s[24:25]
; %bb.1186:                             ;   in Loop: Header=BB384_690 Depth=1
	v_bfe_u32 v6, v5, 16, 1
	v_add3_u32 v8, v5, v6, s30
                                        ; implicit-def: $vgpr5
; %bb.1187:                             ;   in Loop: Header=BB384_690 Depth=1
	s_andn2_saveexec_b64 s[24:25], s[4:5]
; %bb.1188:                             ;   in Loop: Header=BB384_690 Depth=1
	v_or_b32_e32 v6, 0x10000, v5
	v_cmp_eq_u32_sdwa s[4:5], v5, v11 src0_sel:WORD_0 src1_sel:DWORD
	v_cndmask_b32_e64 v8, v6, v5, s[4:5]
; %bb.1189:                             ;   in Loop: Header=BB384_690 Depth=1
	s_or_b64 exec, exec, s[24:25]
	v_lshrrev_b16_e32 v6, 8, v2
	v_cmp_ne_u16_e64 s[4:5], 0, v6
	v_mov_b32_e32 v5, 0
	s_and_saveexec_b64 s[24:25], s[4:5]
	s_cbranch_execz .LBB384_1195
; %bb.1190:                             ;   in Loop: Header=BB384_690 Depth=1
	v_cmp_ne_u16_e64 s[4:5], s31, v6
	v_bfrev_b32_e32 v5, 1
	s_and_saveexec_b64 s[26:27], s[4:5]
	s_cbranch_execz .LBB384_1194
; %bb.1191:                             ;   in Loop: Header=BB384_690 Depth=1
	v_and_b32_e32 v9, 0x7f, v6
	v_cmp_ne_u32_e64 s[4:5], s34, v9
	v_mov_b32_e32 v5, 0x7f800001
	s_and_saveexec_b64 s[28:29], s[4:5]
	s_cbranch_execz .LBB384_1193
; %bb.1192:                             ;   in Loop: Header=BB384_690 Depth=1
	v_and_b32_e32 v5, 7, v6
	v_ffbh_u32_e32 v12, v5
	v_min_u32_e32 v12, 32, v12
	v_subrev_u32_e32 v13, 28, v12
	v_lshlrev_b64 v[20:21], v13, v[6:7]
	v_lshrrev_b32_e32 v10, 3, v9
	v_sub_u32_e32 v6, 29, v12
	v_and_b32_e32 v12, 7, v20
	v_cmp_gt_u32_e64 s[4:5], 8, v9
	v_cndmask_b32_e64 v6, v10, v6, s[4:5]
	v_cndmask_b32_e64 v5, v5, v12, s[4:5]
	v_lshlrev_b32_e32 v9, 16, v2
	v_lshlrev_b32_e32 v5, 20, v5
	v_and_b32_e32 v9, 0x80000000, v9
	v_lshl_add_u32 v6, v6, 23, v28
	v_or3_b32 v5, v9, v6, v5
.LBB384_1193:                           ;   in Loop: Header=BB384_690 Depth=1
	s_or_b64 exec, exec, s[28:29]
.LBB384_1194:                           ;   in Loop: Header=BB384_690 Depth=1
	s_or_b64 exec, exec, s[26:27]
.LBB384_1195:                           ;   in Loop: Header=BB384_690 Depth=1
	s_or_b64 exec, exec, s[24:25]
	v_mul_f32_e32 v5, v7, v5
	v_and_b32_e32 v6, 0x7f800000, v5
	v_cmp_ne_u32_e64 s[4:5], s15, v6
                                        ; implicit-def: $vgpr9
	s_and_saveexec_b64 s[24:25], s[4:5]
	s_xor_b64 s[4:5], exec, s[24:25]
; %bb.1196:                             ;   in Loop: Header=BB384_690 Depth=1
	v_bfe_u32 v6, v5, 16, 1
	v_add3_u32 v9, v5, v6, s30
                                        ; implicit-def: $vgpr5
; %bb.1197:                             ;   in Loop: Header=BB384_690 Depth=1
	s_andn2_saveexec_b64 s[24:25], s[4:5]
; %bb.1198:                             ;   in Loop: Header=BB384_690 Depth=1
	v_or_b32_e32 v6, 0x10000, v5
	v_cmp_eq_u32_sdwa s[4:5], v5, v11 src0_sel:WORD_0 src1_sel:DWORD
	v_cndmask_b32_e64 v9, v6, v5, s[4:5]
; %bb.1199:                             ;   in Loop: Header=BB384_690 Depth=1
	s_or_b64 exec, exec, s[24:25]
	v_lshrrev_b32_e32 v6, 16, v2
	v_cmp_ne_u16_sdwa s[4:5], v6, v11 src0_sel:BYTE_0 src1_sel:DWORD
	v_mov_b32_e32 v5, 0
	s_and_saveexec_b64 s[24:25], s[4:5]
	s_cbranch_execz .LBB384_1205
; %bb.1200:                             ;   in Loop: Header=BB384_690 Depth=1
	v_cmp_ne_u16_sdwa s[4:5], v6, s31 src0_sel:BYTE_0 src1_sel:DWORD
	v_bfrev_b32_e32 v5, 1
	s_and_saveexec_b64 s[26:27], s[4:5]
	s_cbranch_execz .LBB384_1204
; %bb.1201:                             ;   in Loop: Header=BB384_690 Depth=1
	v_bfe_u32 v10, v2, 16, 7
	v_cmp_ne_u32_e64 s[4:5], s34, v10
	v_mov_b32_e32 v5, 0x7f800001
	s_and_saveexec_b64 s[28:29], s[4:5]
	s_cbranch_execz .LBB384_1203
; %bb.1202:                             ;   in Loop: Header=BB384_690 Depth=1
	v_and_b32_e32 v5, 7, v6
	v_ffbh_u32_e32 v13, v5
	v_min_u32_e32 v13, 32, v13
	v_subrev_u32_e32 v20, 28, v13
	v_lshlrev_b64 v[20:21], v20, v[6:7]
	v_lshrrev_b32_e32 v12, 3, v10
	v_sub_u32_e32 v13, 29, v13
	v_and_b32_e32 v20, 7, v20
	v_cmp_gt_u32_e64 s[4:5], 8, v10
	v_cndmask_b32_e64 v10, v12, v13, s[4:5]
	v_cndmask_b32_e64 v5, v5, v20, s[4:5]
	v_lshlrev_b32_e32 v6, 24, v6
	v_lshlrev_b32_e32 v5, 20, v5
	v_and_b32_e32 v6, 0x80000000, v6
	v_lshl_add_u32 v10, v10, 23, v28
	v_or3_b32 v5, v6, v10, v5
.LBB384_1203:                           ;   in Loop: Header=BB384_690 Depth=1
	s_or_b64 exec, exec, s[28:29]
.LBB384_1204:                           ;   in Loop: Header=BB384_690 Depth=1
	s_or_b64 exec, exec, s[26:27]
.LBB384_1205:                           ;   in Loop: Header=BB384_690 Depth=1
	s_or_b64 exec, exec, s[24:25]
	v_mul_f32_e32 v5, v7, v5
	v_and_b32_e32 v6, 0x7f800000, v5
	v_cmp_ne_u32_e64 s[4:5], s15, v6
                                        ; implicit-def: $vgpr20
	s_and_saveexec_b64 s[24:25], s[4:5]
	s_xor_b64 s[4:5], exec, s[24:25]
; %bb.1206:                             ;   in Loop: Header=BB384_690 Depth=1
	v_bfe_u32 v6, v5, 16, 1
	v_add3_u32 v20, v5, v6, s30
                                        ; implicit-def: $vgpr5
; %bb.1207:                             ;   in Loop: Header=BB384_690 Depth=1
	s_andn2_saveexec_b64 s[24:25], s[4:5]
; %bb.1208:                             ;   in Loop: Header=BB384_690 Depth=1
	v_or_b32_e32 v6, 0x10000, v5
	v_cmp_eq_u32_sdwa s[4:5], v5, v11 src0_sel:WORD_0 src1_sel:DWORD
	v_cndmask_b32_e64 v20, v6, v5, s[4:5]
; %bb.1209:                             ;   in Loop: Header=BB384_690 Depth=1
	s_or_b64 exec, exec, s[24:25]
	v_cmp_lt_u32_e64 s[4:5], s11, v2
	v_mov_b32_e32 v5, 0
	s_and_saveexec_b64 s[24:25], s[4:5]
	s_cbranch_execz .LBB384_1215
; %bb.1210:                             ;   in Loop: Header=BB384_690 Depth=1
	v_lshrrev_b32_e32 v6, 24, v2
	v_cmp_ne_u32_e64 s[4:5], s31, v6
	v_bfrev_b32_e32 v5, 1
	s_and_saveexec_b64 s[26:27], s[4:5]
	s_cbranch_execz .LBB384_1214
; %bb.1211:                             ;   in Loop: Header=BB384_690 Depth=1
	v_bfe_u32 v10, v2, 24, 7
	v_cmp_ne_u32_e64 s[4:5], s34, v10
	v_mov_b32_e32 v5, 0x7f800001
	s_and_saveexec_b64 s[28:29], s[4:5]
	s_cbranch_execz .LBB384_1213
; %bb.1212:                             ;   in Loop: Header=BB384_690 Depth=1
	v_and_b32_e32 v5, 7, v6
	v_ffbh_u32_e32 v13, v5
	v_min_u32_e32 v13, 32, v13
	v_subrev_u32_e32 v21, 28, v13
	v_lshlrev_b64 v[26:27], v21, v[6:7]
	v_lshrrev_b32_e32 v12, 3, v10
	v_sub_u32_e32 v13, 29, v13
	v_and_b32_e32 v21, 7, v26
	v_cmp_gt_u32_e64 s[4:5], 8, v10
	v_cndmask_b32_e64 v10, v12, v13, s[4:5]
	v_cndmask_b32_e64 v5, v5, v21, s[4:5]
	v_lshlrev_b32_e32 v6, 24, v6
	v_lshlrev_b32_e32 v5, 20, v5
	v_and_b32_e32 v6, 0x80000000, v6
	v_lshl_add_u32 v10, v10, 23, v28
	v_or3_b32 v5, v6, v10, v5
.LBB384_1213:                           ;   in Loop: Header=BB384_690 Depth=1
	s_or_b64 exec, exec, s[28:29]
.LBB384_1214:                           ;   in Loop: Header=BB384_690 Depth=1
	s_or_b64 exec, exec, s[26:27]
.LBB384_1215:                           ;   in Loop: Header=BB384_690 Depth=1
	s_or_b64 exec, exec, s[24:25]
	v_mul_f32_e32 v5, v7, v5
	v_and_b32_e32 v6, 0x7f800000, v5
	v_cmp_ne_u32_e64 s[4:5], s15, v6
                                        ; implicit-def: $vgpr21
	s_and_saveexec_b64 s[24:25], s[4:5]
	s_xor_b64 s[4:5], exec, s[24:25]
; %bb.1216:                             ;   in Loop: Header=BB384_690 Depth=1
	v_bfe_u32 v6, v5, 16, 1
	v_add3_u32 v21, v5, v6, s30
                                        ; implicit-def: $vgpr5
; %bb.1217:                             ;   in Loop: Header=BB384_690 Depth=1
	s_andn2_saveexec_b64 s[24:25], s[4:5]
; %bb.1218:                             ;   in Loop: Header=BB384_690 Depth=1
	v_or_b32_e32 v6, 0x10000, v5
	v_cmp_eq_u32_sdwa s[4:5], v5, v11 src0_sel:WORD_0 src1_sel:DWORD
	v_cndmask_b32_e64 v21, v6, v5, s[4:5]
; %bb.1219:                             ;   in Loop: Header=BB384_690 Depth=1
	s_or_b64 exec, exec, s[24:25]
	v_mov_b32_e32 v10, v3
	v_cmp_ne_u16_sdwa s[4:5], v3, v11 src0_sel:BYTE_0 src1_sel:DWORD
	v_mov_b32_e32 v5, 0
	s_and_saveexec_b64 s[24:25], s[4:5]
	s_cbranch_execz .LBB384_1225
; %bb.1220:                             ;   in Loop: Header=BB384_690 Depth=1
	v_cmp_ne_u16_sdwa s[4:5], v3, s31 src0_sel:BYTE_0 src1_sel:DWORD
	v_bfrev_b32_e32 v5, 1
	s_and_saveexec_b64 s[26:27], s[4:5]
	s_cbranch_execz .LBB384_1224
; %bb.1221:                             ;   in Loop: Header=BB384_690 Depth=1
	v_and_b32_e32 v6, 0x7f, v3
	v_cmp_ne_u32_e64 s[4:5], s34, v6
	v_mov_b32_e32 v5, 0x7f800001
	s_and_saveexec_b64 s[28:29], s[4:5]
	s_cbranch_execz .LBB384_1223
; %bb.1222:                             ;   in Loop: Header=BB384_690 Depth=1
	v_and_b32_e32 v5, 7, v3
	v_ffbh_u32_e32 v5, v5
	v_min_u32_e32 v5, 32, v5
	v_subrev_u32_e32 v13, 28, v5
	v_cmp_gt_u32_e64 s[4:5], 8, v6
	v_lshrrev_b32_e32 v12, 3, v6
	v_cndmask_b32_e64 v6, 0, v13, s[4:5]
	v_sub_u32_e32 v5, 29, v5
	v_lshlrev_b64 v[26:27], v6, v[10:11]
	v_cndmask_b32_e64 v5, v12, v5, s[4:5]
	v_lshlrev_b32_e32 v6, 20, v26
	v_lshlrev_b32_e32 v12, 24, v10
	v_and_b32_e32 v6, 0x700000, v6
	v_and_b32_e32 v12, 0x80000000, v12
	v_lshl_add_u32 v5, v5, 23, v28
	v_or3_b32 v5, v12, v5, v6
.LBB384_1223:                           ;   in Loop: Header=BB384_690 Depth=1
	s_or_b64 exec, exec, s[28:29]
.LBB384_1224:                           ;   in Loop: Header=BB384_690 Depth=1
	s_or_b64 exec, exec, s[26:27]
.LBB384_1225:                           ;   in Loop: Header=BB384_690 Depth=1
	s_or_b64 exec, exec, s[24:25]
	v_mul_f32_e32 v5, v7, v5
	v_and_b32_e32 v6, 0x7f800000, v5
	v_cmp_ne_u32_e64 s[4:5], s15, v6
                                        ; implicit-def: $vgpr22
	s_and_saveexec_b64 s[24:25], s[4:5]
	s_xor_b64 s[4:5], exec, s[24:25]
; %bb.1226:                             ;   in Loop: Header=BB384_690 Depth=1
	v_bfe_u32 v6, v5, 16, 1
	v_add3_u32 v22, v5, v6, s30
                                        ; implicit-def: $vgpr5
; %bb.1227:                             ;   in Loop: Header=BB384_690 Depth=1
	s_andn2_saveexec_b64 s[24:25], s[4:5]
; %bb.1228:                             ;   in Loop: Header=BB384_690 Depth=1
	v_or_b32_e32 v6, 0x10000, v5
	v_cmp_eq_u32_sdwa s[4:5], v5, v11 src0_sel:WORD_0 src1_sel:DWORD
	v_cndmask_b32_e64 v22, v6, v5, s[4:5]
; %bb.1229:                             ;   in Loop: Header=BB384_690 Depth=1
	s_or_b64 exec, exec, s[24:25]
	v_lshrrev_b16_e32 v6, 8, v10
	v_cmp_ne_u16_e64 s[4:5], 0, v6
	v_mov_b32_e32 v5, 0
	s_and_saveexec_b64 s[24:25], s[4:5]
	s_cbranch_execz .LBB384_1235
; %bb.1230:                             ;   in Loop: Header=BB384_690 Depth=1
	v_cmp_ne_u16_e64 s[4:5], s31, v6
	v_bfrev_b32_e32 v5, 1
	s_and_saveexec_b64 s[26:27], s[4:5]
	s_cbranch_execz .LBB384_1234
; %bb.1231:                             ;   in Loop: Header=BB384_690 Depth=1
	v_and_b32_e32 v26, 0x7f, v6
	v_cmp_ne_u32_e64 s[4:5], s34, v26
	v_mov_b32_e32 v5, 0x7f800001
	s_and_saveexec_b64 s[28:29], s[4:5]
	s_cbranch_execz .LBB384_1233
; %bb.1232:                             ;   in Loop: Header=BB384_690 Depth=1
	v_and_b32_e32 v5, 7, v6
	v_ffbh_u32_e32 v13, v5
	v_min_u32_e32 v13, 32, v13
	v_subrev_u32_e32 v23, 28, v13
	v_lshlrev_b64 v[28:29], v23, v[6:7]
	v_lshrrev_b32_e32 v12, 3, v26
	v_sub_u32_e32 v6, 29, v13
	v_and_b32_e32 v13, 7, v28
	v_cmp_gt_u32_e64 s[4:5], 8, v26
	v_bfrev_b32_e32 v28, 60
	v_cndmask_b32_e64 v6, v12, v6, s[4:5]
	v_cndmask_b32_e64 v5, v5, v13, s[4:5]
	v_lshlrev_b32_e32 v10, 16, v10
	v_lshlrev_b32_e32 v5, 20, v5
	v_and_b32_e32 v10, 0x80000000, v10
	v_lshl_add_u32 v6, v6, 23, v28
	v_accvgpr_read_b32 v23, a33
	v_or3_b32 v5, v10, v6, v5
.LBB384_1233:                           ;   in Loop: Header=BB384_690 Depth=1
	s_or_b64 exec, exec, s[28:29]
.LBB384_1234:                           ;   in Loop: Header=BB384_690 Depth=1
	s_or_b64 exec, exec, s[26:27]
.LBB384_1235:                           ;   in Loop: Header=BB384_690 Depth=1
	s_or_b64 exec, exec, s[24:25]
	v_mul_f32_e32 v6, v7, v5
	v_and_b32_e32 v5, 0x7f800000, v6
	v_cmp_ne_u32_e64 s[4:5], s15, v5
                                        ; implicit-def: $vgpr5
	s_and_saveexec_b64 s[24:25], s[4:5]
	s_xor_b64 s[4:5], exec, s[24:25]
; %bb.1236:                             ;   in Loop: Header=BB384_690 Depth=1
	v_bfe_u32 v5, v6, 16, 1
	v_add3_u32 v5, v6, v5, s30
                                        ; implicit-def: $vgpr6
; %bb.1237:                             ;   in Loop: Header=BB384_690 Depth=1
	s_andn2_saveexec_b64 s[24:25], s[4:5]
; %bb.1238:                             ;   in Loop: Header=BB384_690 Depth=1
	v_or_b32_e32 v5, 0x10000, v6
	v_cmp_eq_u32_sdwa s[4:5], v6, v11 src0_sel:WORD_0 src1_sel:DWORD
	v_cndmask_b32_e64 v5, v5, v6, s[4:5]
; %bb.1239:                             ;   in Loop: Header=BB384_690 Depth=1
	s_or_b64 exec, exec, s[24:25]
	v_lshrrev_b32_e32 v6, 16, v3
	v_cmp_ne_u16_sdwa s[4:5], v6, v11 src0_sel:BYTE_0 src1_sel:DWORD
	v_mov_b32_e32 v10, 0
	s_and_saveexec_b64 s[24:25], s[4:5]
	s_cbranch_execz .LBB384_1245
; %bb.1240:                             ;   in Loop: Header=BB384_690 Depth=1
	v_cmp_ne_u16_sdwa s[4:5], v6, s31 src0_sel:BYTE_0 src1_sel:DWORD
	v_bfrev_b32_e32 v10, 1
	s_and_saveexec_b64 s[26:27], s[4:5]
	s_cbranch_execz .LBB384_1244
; %bb.1241:                             ;   in Loop: Header=BB384_690 Depth=1
	v_bfe_u32 v26, v3, 16, 7
	v_cmp_ne_u32_e64 s[4:5], s34, v26
	v_mov_b32_e32 v10, 0x7f800001
	s_and_saveexec_b64 s[28:29], s[4:5]
	s_cbranch_execz .LBB384_1243
; %bb.1242:                             ;   in Loop: Header=BB384_690 Depth=1
	v_and_b32_e32 v10, 7, v6
	v_ffbh_u32_e32 v13, v10
	v_min_u32_e32 v13, 32, v13
	v_subrev_u32_e32 v23, 28, v13
	v_lshlrev_b64 v[28:29], v23, v[6:7]
	v_lshrrev_b32_e32 v12, 3, v26
	v_sub_u32_e32 v13, 29, v13
	v_and_b32_e32 v23, 7, v28
	v_cmp_gt_u32_e64 s[4:5], 8, v26
	v_bfrev_b32_e32 v28, 60
	v_cndmask_b32_e64 v12, v12, v13, s[4:5]
	v_cndmask_b32_e64 v10, v10, v23, s[4:5]
	v_lshlrev_b32_e32 v6, 24, v6
	v_lshlrev_b32_e32 v10, 20, v10
	v_and_b32_e32 v6, 0x80000000, v6
	v_lshl_add_u32 v12, v12, 23, v28
	v_accvgpr_read_b32 v23, a33
	v_or3_b32 v10, v6, v12, v10
.LBB384_1243:                           ;   in Loop: Header=BB384_690 Depth=1
	s_or_b64 exec, exec, s[28:29]
.LBB384_1244:                           ;   in Loop: Header=BB384_690 Depth=1
	s_or_b64 exec, exec, s[26:27]
.LBB384_1245:                           ;   in Loop: Header=BB384_690 Depth=1
	s_or_b64 exec, exec, s[24:25]
	v_mul_f32_e32 v6, v7, v10
	v_and_b32_e32 v10, 0x7f800000, v6
	v_cmp_ne_u32_e64 s[4:5], s15, v10
                                        ; implicit-def: $vgpr26
	s_and_saveexec_b64 s[24:25], s[4:5]
	s_xor_b64 s[4:5], exec, s[24:25]
; %bb.1246:                             ;   in Loop: Header=BB384_690 Depth=1
	v_bfe_u32 v10, v6, 16, 1
	v_add3_u32 v26, v6, v10, s30
                                        ; implicit-def: $vgpr6
; %bb.1247:                             ;   in Loop: Header=BB384_690 Depth=1
	s_andn2_saveexec_b64 s[24:25], s[4:5]
; %bb.1248:                             ;   in Loop: Header=BB384_690 Depth=1
	v_or_b32_e32 v10, 0x10000, v6
	v_cmp_eq_u32_sdwa s[4:5], v6, v11 src0_sel:WORD_0 src1_sel:DWORD
	v_cndmask_b32_e64 v26, v10, v6, s[4:5]
; %bb.1249:                             ;   in Loop: Header=BB384_690 Depth=1
	s_or_b64 exec, exec, s[24:25]
	v_cmp_lt_u64_e64 s[4:5], s[10:11], v[2:3]
	v_mov_b32_e32 v6, 0
	s_and_saveexec_b64 s[24:25], s[4:5]
	s_cbranch_execz .LBB384_1255
; %bb.1250:                             ;   in Loop: Header=BB384_690 Depth=1
	v_lshrrev_b32_e32 v2, 24, v3
	v_cmp_ne_u32_e64 s[4:5], s31, v2
	v_bfrev_b32_e32 v6, 1
	s_and_saveexec_b64 s[26:27], s[4:5]
	s_cbranch_execz .LBB384_1254
; %bb.1251:                             ;   in Loop: Header=BB384_690 Depth=1
	v_bfe_u32 v3, v3, 24, 7
	v_cmp_ne_u32_e64 s[4:5], s34, v3
	v_mov_b32_e32 v6, 0x7f800001
	s_and_saveexec_b64 s[28:29], s[4:5]
	s_cbranch_execz .LBB384_1253
; %bb.1252:                             ;   in Loop: Header=BB384_690 Depth=1
	v_and_b32_e32 v6, 7, v2
	v_ffbh_u32_e32 v12, v6
	v_min_u32_e32 v12, 32, v12
	v_subrev_u32_e32 v13, 28, v12
	v_lshlrev_b64 v[28:29], v13, v[2:3]
	v_lshrrev_b32_e32 v10, 3, v3
	v_sub_u32_e32 v12, 29, v12
	v_and_b32_e32 v13, 7, v28
	v_cmp_gt_u32_e64 s[4:5], 8, v3
	v_bfrev_b32_e32 v28, 60
	v_cndmask_b32_e64 v3, v10, v12, s[4:5]
	v_cndmask_b32_e64 v6, v6, v13, s[4:5]
	v_lshlrev_b32_e32 v2, 24, v2
	v_lshlrev_b32_e32 v6, 20, v6
	v_and_b32_e32 v2, 0x80000000, v2
	v_lshl_add_u32 v3, v3, 23, v28
	v_or3_b32 v6, v2, v3, v6
.LBB384_1253:                           ;   in Loop: Header=BB384_690 Depth=1
	s_or_b64 exec, exec, s[28:29]
.LBB384_1254:                           ;   in Loop: Header=BB384_690 Depth=1
	s_or_b64 exec, exec, s[26:27]
.LBB384_1255:                           ;   in Loop: Header=BB384_690 Depth=1
	s_or_b64 exec, exec, s[24:25]
	v_mul_f32_e32 v3, v7, v6
	v_and_b32_e32 v2, 0x7f800000, v3
	v_cmp_ne_u32_e64 s[4:5], s15, v2
                                        ; implicit-def: $vgpr2
	s_and_saveexec_b64 s[24:25], s[4:5]
	s_xor_b64 s[4:5], exec, s[24:25]
; %bb.1256:                             ;   in Loop: Header=BB384_690 Depth=1
	v_bfe_u32 v2, v3, 16, 1
	v_add3_u32 v2, v3, v2, s30
                                        ; implicit-def: $vgpr3
; %bb.1257:                             ;   in Loop: Header=BB384_690 Depth=1
	s_andn2_saveexec_b64 s[24:25], s[4:5]
; %bb.1258:                             ;   in Loop: Header=BB384_690 Depth=1
	v_or_b32_e32 v2, 0x10000, v3
	v_cmp_eq_u32_sdwa s[4:5], v3, v11 src0_sel:WORD_0 src1_sel:DWORD
	v_cndmask_b32_e64 v2, v2, v3, s[4:5]
; %bb.1259:                             ;   in Loop: Header=BB384_690 Depth=1
	s_or_b64 exec, exec, s[24:25]
	v_lshrrev_b32_e32 v5, 16, v5
	v_lshrrev_b32_e32 v6, 16, v22
	;; [unrolled: 1-line block ×8, first 2 shown]
	s_and_saveexec_b64 s[24:25], vcc
	s_cbranch_execz .LBB384_1261
; %bb.1260:                             ;   in Loop: Header=BB384_690 Depth=1
	buffer_load_dword v12, off, s[0:3], s32 offset:196 ; 4-byte Folded Reload
	v_accvgpr_read_b32 v13, a39
	s_waitcnt vmcnt(0)
	v_cmp_lt_i32_e64 s[4:5], v54, v12
	v_cndmask_b32_e64 v8, 0, v8, s[4:5]
	v_cmp_lt_i32_e64 s[4:5], v13, v12
	v_accvgpr_read_b32 v13, a38
	v_cndmask_b32_e64 v9, 0, v9, s[4:5]
	v_cmp_lt_i32_e64 s[4:5], v13, v12
	v_accvgpr_read_b32 v13, a37
	;; [unrolled: 3-line block ×5, first 2 shown]
	v_cndmask_b32_e64 v5, 0, v5, s[4:5]
	v_cmp_lt_i32_e64 s[4:5], v13, v12
	v_cndmask_b32_e64 v3, 0, v3, s[4:5]
	v_cmp_lt_i32_e64 s[4:5], v23, v12
	v_cndmask_b32_e64 v2, 0, v2, s[4:5]
.LBB384_1261:                           ;   in Loop: Header=BB384_690 Depth=1
	s_or_b64 exec, exec, s[24:25]
	v_lshlrev_b32_e32 v8, 16, v8
	v_mul_f32_e32 v8, v57, v8
	v_and_b32_e32 v12, 0x7f800000, v8
	v_cmp_ne_u32_e64 s[4:5], s15, v12
                                        ; implicit-def: $vgpr36
	s_and_saveexec_b64 s[24:25], s[4:5]
	s_xor_b64 s[4:5], exec, s[24:25]
; %bb.1262:                             ;   in Loop: Header=BB384_690 Depth=1
	v_bfe_u32 v12, v8, 16, 1
	v_add3_u32 v36, v8, v12, s30
                                        ; implicit-def: $vgpr8
; %bb.1263:                             ;   in Loop: Header=BB384_690 Depth=1
	s_andn2_saveexec_b64 s[24:25], s[4:5]
; %bb.1264:                             ;   in Loop: Header=BB384_690 Depth=1
	v_or_b32_e32 v12, 0x10000, v8
	v_cmp_eq_u32_sdwa s[4:5], v8, v11 src0_sel:WORD_0 src1_sel:DWORD
	v_cndmask_b32_e64 v36, v12, v8, s[4:5]
; %bb.1265:                             ;   in Loop: Header=BB384_690 Depth=1
	s_or_b64 exec, exec, s[24:25]
	v_lshlrev_b32_e32 v8, 16, v9
	v_mul_f32_e32 v8, v58, v8
	v_and_b32_e32 v9, 0x7f800000, v8
	v_cmp_ne_u32_e64 s[4:5], s15, v9
                                        ; implicit-def: $vgpr30
	s_and_saveexec_b64 s[24:25], s[4:5]
	s_xor_b64 s[4:5], exec, s[24:25]
; %bb.1266:                             ;   in Loop: Header=BB384_690 Depth=1
	v_bfe_u32 v9, v8, 16, 1
	v_add3_u32 v30, v8, v9, s30
                                        ; implicit-def: $vgpr8
; %bb.1267:                             ;   in Loop: Header=BB384_690 Depth=1
	s_andn2_saveexec_b64 s[24:25], s[4:5]
; %bb.1268:                             ;   in Loop: Header=BB384_690 Depth=1
	v_or_b32_e32 v9, 0x10000, v8
	v_cmp_eq_u32_sdwa s[4:5], v8, v11 src0_sel:WORD_0 src1_sel:DWORD
	v_cndmask_b32_e64 v30, v9, v8, s[4:5]
; %bb.1269:                             ;   in Loop: Header=BB384_690 Depth=1
	s_or_b64 exec, exec, s[24:25]
	v_lshlrev_b32_e32 v8, 16, v20
	v_mul_f32_e32 v8, v60, v8
	v_and_b32_e32 v9, 0x7f800000, v8
	v_cmp_ne_u32_e64 s[4:5], s15, v9
                                        ; implicit-def: $vgpr27
	s_and_saveexec_b64 s[24:25], s[4:5]
	s_xor_b64 s[4:5], exec, s[24:25]
; %bb.1270:                             ;   in Loop: Header=BB384_690 Depth=1
	v_bfe_u32 v9, v8, 16, 1
	v_add3_u32 v27, v8, v9, s30
                                        ; implicit-def: $vgpr8
; %bb.1271:                             ;   in Loop: Header=BB384_690 Depth=1
	s_andn2_saveexec_b64 s[24:25], s[4:5]
; %bb.1272:                             ;   in Loop: Header=BB384_690 Depth=1
	v_or_b32_e32 v9, 0x10000, v8
	v_cmp_eq_u32_sdwa s[4:5], v8, v11 src0_sel:WORD_0 src1_sel:DWORD
	v_cndmask_b32_e64 v27, v9, v8, s[4:5]
; %bb.1273:                             ;   in Loop: Header=BB384_690 Depth=1
	s_or_b64 exec, exec, s[24:25]
	v_lshlrev_b32_e32 v8, 16, v10
	v_mul_f32_e32 v8, v37, v8
	v_and_b32_e32 v9, 0x7f800000, v8
	v_cmp_ne_u32_e64 s[4:5], s15, v9
                                        ; implicit-def: $vgpr26
	s_and_saveexec_b64 s[24:25], s[4:5]
	s_xor_b64 s[4:5], exec, s[24:25]
; %bb.1274:                             ;   in Loop: Header=BB384_690 Depth=1
	v_bfe_u32 v9, v8, 16, 1
	v_add3_u32 v26, v8, v9, s30
                                        ; implicit-def: $vgpr8
; %bb.1275:                             ;   in Loop: Header=BB384_690 Depth=1
	s_andn2_saveexec_b64 s[24:25], s[4:5]
; %bb.1276:                             ;   in Loop: Header=BB384_690 Depth=1
	v_or_b32_e32 v9, 0x10000, v8
	v_cmp_eq_u32_sdwa s[4:5], v8, v11 src0_sel:WORD_0 src1_sel:DWORD
	v_cndmask_b32_e64 v26, v9, v8, s[4:5]
; %bb.1277:                             ;   in Loop: Header=BB384_690 Depth=1
	s_or_b64 exec, exec, s[24:25]
	v_lshlrev_b32_e32 v6, 16, v6
	v_mul_f32_e32 v6, v41, v6
	v_and_b32_e32 v8, 0x7f800000, v6
	v_cmp_ne_u32_e64 s[4:5], s15, v8
                                        ; implicit-def: $vgpr40
	s_and_saveexec_b64 s[24:25], s[4:5]
	s_xor_b64 s[4:5], exec, s[24:25]
; %bb.1278:                             ;   in Loop: Header=BB384_690 Depth=1
	v_bfe_u32 v8, v6, 16, 1
	v_add3_u32 v40, v6, v8, s30
                                        ; implicit-def: $vgpr6
; %bb.1279:                             ;   in Loop: Header=BB384_690 Depth=1
	s_andn2_saveexec_b64 s[24:25], s[4:5]
; %bb.1280:                             ;   in Loop: Header=BB384_690 Depth=1
	v_or_b32_e32 v8, 0x10000, v6
	v_cmp_eq_u32_sdwa s[4:5], v6, v11 src0_sel:WORD_0 src1_sel:DWORD
	v_cndmask_b32_e64 v40, v8, v6, s[4:5]
; %bb.1281:                             ;   in Loop: Header=BB384_690 Depth=1
	s_or_b64 exec, exec, s[24:25]
	v_lshlrev_b32_e32 v5, 16, v5
	v_mul_f32_e32 v5, v34, v5
	v_and_b32_e32 v6, 0x7f800000, v5
	v_cmp_ne_u32_e64 s[4:5], s15, v6
                                        ; implicit-def: $vgpr61
	s_and_saveexec_b64 s[24:25], s[4:5]
	s_xor_b64 s[4:5], exec, s[24:25]
; %bb.1282:                             ;   in Loop: Header=BB384_690 Depth=1
	v_bfe_u32 v6, v5, 16, 1
	v_add3_u32 v61, v5, v6, s30
                                        ; implicit-def: $vgpr5
; %bb.1283:                             ;   in Loop: Header=BB384_690 Depth=1
	s_andn2_saveexec_b64 s[24:25], s[4:5]
; %bb.1284:                             ;   in Loop: Header=BB384_690 Depth=1
	v_or_b32_e32 v6, 0x10000, v5
	v_cmp_eq_u32_sdwa s[4:5], v5, v11 src0_sel:WORD_0 src1_sel:DWORD
	v_cndmask_b32_e64 v61, v6, v5, s[4:5]
; %bb.1285:                             ;   in Loop: Header=BB384_690 Depth=1
	s_or_b64 exec, exec, s[24:25]
	v_lshlrev_b32_e32 v3, 16, v3
	v_mul_f32_e32 v3, v31, v3
	v_and_b32_e32 v5, 0x7f800000, v3
	v_cmp_ne_u32_e64 s[4:5], s15, v5
                                        ; implicit-def: $vgpr55
	s_and_saveexec_b64 s[24:25], s[4:5]
	s_xor_b64 s[4:5], exec, s[24:25]
; %bb.1286:                             ;   in Loop: Header=BB384_690 Depth=1
	v_bfe_u32 v5, v3, 16, 1
	v_add3_u32 v55, v3, v5, s30
                                        ; implicit-def: $vgpr3
; %bb.1287:                             ;   in Loop: Header=BB384_690 Depth=1
	s_andn2_saveexec_b64 s[24:25], s[4:5]
; %bb.1288:                             ;   in Loop: Header=BB384_690 Depth=1
	v_or_b32_e32 v5, 0x10000, v3
	v_cmp_eq_u32_sdwa s[4:5], v3, v11 src0_sel:WORD_0 src1_sel:DWORD
	v_cndmask_b32_e64 v55, v5, v3, s[4:5]
; %bb.1289:                             ;   in Loop: Header=BB384_690 Depth=1
	s_or_b64 exec, exec, s[24:25]
	v_lshlrev_b32_e32 v2, 16, v2
	v_mul_f32_e32 v2, v38, v2
	v_and_b32_e32 v3, 0x7f800000, v2
	v_cmp_ne_u32_e64 s[4:5], s15, v3
                                        ; implicit-def: $vgpr42
	s_and_saveexec_b64 s[24:25], s[4:5]
	s_xor_b64 s[4:5], exec, s[24:25]
; %bb.1290:                             ;   in Loop: Header=BB384_690 Depth=1
	v_bfe_u32 v3, v2, 16, 1
	v_add3_u32 v42, v2, v3, s30
                                        ; implicit-def: $vgpr2
; %bb.1291:                             ;   in Loop: Header=BB384_690 Depth=1
	s_andn2_saveexec_b64 s[24:25], s[4:5]
; %bb.1292:                             ;   in Loop: Header=BB384_690 Depth=1
	v_or_b32_e32 v3, 0x10000, v2
	v_cmp_eq_u32_sdwa s[4:5], v2, v11 src0_sel:WORD_0 src1_sel:DWORD
	v_cndmask_b32_e64 v42, v3, v2, s[4:5]
; %bb.1293:                             ;   in Loop: Header=BB384_690 Depth=1
	s_or_b64 exec, exec, s[24:25]
	flat_load_dwordx2 v[2:3], v[0:1] offset:2560
	v_mov_b32_e32 v5, 0
	s_waitcnt vmcnt(0) lgkmcnt(0)
	v_cmp_ne_u16_sdwa s[4:5], v2, v11 src0_sel:BYTE_0 src1_sel:DWORD
	s_and_saveexec_b64 s[24:25], s[4:5]
	s_cbranch_execz .LBB384_1299
; %bb.1294:                             ;   in Loop: Header=BB384_690 Depth=1
	v_cmp_ne_u16_sdwa s[4:5], v2, s31 src0_sel:BYTE_0 src1_sel:DWORD
	v_bfrev_b32_e32 v5, 1
	s_and_saveexec_b64 s[26:27], s[4:5]
	s_cbranch_execz .LBB384_1298
; %bb.1295:                             ;   in Loop: Header=BB384_690 Depth=1
	v_and_b32_e32 v6, 0x7f, v2
	v_cmp_ne_u32_e64 s[4:5], s34, v6
	v_mov_b32_e32 v5, 0x7f800001
	s_and_saveexec_b64 s[28:29], s[4:5]
	s_cbranch_execz .LBB384_1297
; %bb.1296:                             ;   in Loop: Header=BB384_690 Depth=1
	v_and_b32_e32 v5, 7, v2
	v_ffbh_u32_e32 v5, v5
	v_min_u32_e32 v5, 32, v5
	v_subrev_u32_e32 v9, 28, v5
	v_cmp_gt_u32_e64 s[4:5], 8, v6
	v_lshrrev_b32_e32 v8, 3, v6
	v_sub_u32_e32 v5, 29, v5
	v_cndmask_b32_e64 v6, 0, v9, s[4:5]
	v_cndmask_b32_e64 v5, v8, v5, s[4:5]
	v_lshlrev_b64 v[8:9], v6, v[2:3]
	v_lshlrev_b32_e32 v6, 20, v8
	v_lshlrev_b32_e32 v8, 24, v2
	v_and_b32_e32 v6, 0x700000, v6
	v_and_b32_e32 v8, 0x80000000, v8
	v_lshl_add_u32 v5, v5, 23, v28
	v_or3_b32 v5, v8, v5, v6
.LBB384_1297:                           ;   in Loop: Header=BB384_690 Depth=1
	s_or_b64 exec, exec, s[28:29]
.LBB384_1298:                           ;   in Loop: Header=BB384_690 Depth=1
	s_or_b64 exec, exec, s[26:27]
.LBB384_1299:                           ;   in Loop: Header=BB384_690 Depth=1
	s_or_b64 exec, exec, s[24:25]
	v_mul_f32_e32 v5, v7, v5
	v_and_b32_e32 v6, 0x7f800000, v5
	v_cmp_ne_u32_e64 s[4:5], s15, v6
                                        ; implicit-def: $vgpr8
	s_and_saveexec_b64 s[24:25], s[4:5]
	s_xor_b64 s[4:5], exec, s[24:25]
; %bb.1300:                             ;   in Loop: Header=BB384_690 Depth=1
	v_bfe_u32 v6, v5, 16, 1
	v_add3_u32 v8, v5, v6, s30
                                        ; implicit-def: $vgpr5
; %bb.1301:                             ;   in Loop: Header=BB384_690 Depth=1
	s_andn2_saveexec_b64 s[24:25], s[4:5]
; %bb.1302:                             ;   in Loop: Header=BB384_690 Depth=1
	v_or_b32_e32 v6, 0x10000, v5
	v_cmp_eq_u32_sdwa s[4:5], v5, v11 src0_sel:WORD_0 src1_sel:DWORD
	v_cndmask_b32_e64 v8, v6, v5, s[4:5]
; %bb.1303:                             ;   in Loop: Header=BB384_690 Depth=1
	s_or_b64 exec, exec, s[24:25]
	v_lshrrev_b16_e32 v6, 8, v2
	v_cmp_ne_u16_e64 s[4:5], 0, v6
	v_mov_b32_e32 v5, 0
	s_and_saveexec_b64 s[24:25], s[4:5]
	s_cbranch_execz .LBB384_1309
; %bb.1304:                             ;   in Loop: Header=BB384_690 Depth=1
	v_cmp_ne_u16_e64 s[4:5], s31, v6
	v_bfrev_b32_e32 v5, 1
	s_and_saveexec_b64 s[26:27], s[4:5]
	s_cbranch_execz .LBB384_1308
; %bb.1305:                             ;   in Loop: Header=BB384_690 Depth=1
	v_and_b32_e32 v9, 0x7f, v6
	v_cmp_ne_u32_e64 s[4:5], s34, v9
	v_mov_b32_e32 v5, 0x7f800001
	s_and_saveexec_b64 s[28:29], s[4:5]
	s_cbranch_execz .LBB384_1307
; %bb.1306:                             ;   in Loop: Header=BB384_690 Depth=1
	v_and_b32_e32 v5, 7, v6
	v_ffbh_u32_e32 v12, v5
	v_min_u32_e32 v12, 32, v12
	v_subrev_u32_e32 v13, 28, v12
	v_lshlrev_b64 v[20:21], v13, v[6:7]
	v_lshrrev_b32_e32 v10, 3, v9
	v_sub_u32_e32 v6, 29, v12
	v_and_b32_e32 v12, 7, v20
	v_cmp_gt_u32_e64 s[4:5], 8, v9
	v_cndmask_b32_e64 v6, v10, v6, s[4:5]
	v_cndmask_b32_e64 v5, v5, v12, s[4:5]
	v_lshlrev_b32_e32 v9, 16, v2
	v_lshlrev_b32_e32 v5, 20, v5
	v_and_b32_e32 v9, 0x80000000, v9
	v_lshl_add_u32 v6, v6, 23, v28
	v_or3_b32 v5, v9, v6, v5
.LBB384_1307:                           ;   in Loop: Header=BB384_690 Depth=1
	s_or_b64 exec, exec, s[28:29]
.LBB384_1308:                           ;   in Loop: Header=BB384_690 Depth=1
	s_or_b64 exec, exec, s[26:27]
.LBB384_1309:                           ;   in Loop: Header=BB384_690 Depth=1
	s_or_b64 exec, exec, s[24:25]
	v_mul_f32_e32 v5, v7, v5
	v_and_b32_e32 v6, 0x7f800000, v5
	v_cmp_ne_u32_e64 s[4:5], s15, v6
                                        ; implicit-def: $vgpr9
	s_and_saveexec_b64 s[24:25], s[4:5]
	s_xor_b64 s[4:5], exec, s[24:25]
; %bb.1310:                             ;   in Loop: Header=BB384_690 Depth=1
	v_bfe_u32 v6, v5, 16, 1
	v_add3_u32 v9, v5, v6, s30
                                        ; implicit-def: $vgpr5
; %bb.1311:                             ;   in Loop: Header=BB384_690 Depth=1
	s_andn2_saveexec_b64 s[24:25], s[4:5]
; %bb.1312:                             ;   in Loop: Header=BB384_690 Depth=1
	v_or_b32_e32 v6, 0x10000, v5
	v_cmp_eq_u32_sdwa s[4:5], v5, v11 src0_sel:WORD_0 src1_sel:DWORD
	v_cndmask_b32_e64 v9, v6, v5, s[4:5]
; %bb.1313:                             ;   in Loop: Header=BB384_690 Depth=1
	s_or_b64 exec, exec, s[24:25]
	v_lshrrev_b32_e32 v6, 16, v2
	v_cmp_ne_u16_sdwa s[4:5], v6, v11 src0_sel:BYTE_0 src1_sel:DWORD
	v_mov_b32_e32 v5, 0
	s_and_saveexec_b64 s[24:25], s[4:5]
	s_cbranch_execz .LBB384_1319
; %bb.1314:                             ;   in Loop: Header=BB384_690 Depth=1
	v_cmp_ne_u16_sdwa s[4:5], v6, s31 src0_sel:BYTE_0 src1_sel:DWORD
	v_bfrev_b32_e32 v5, 1
	s_and_saveexec_b64 s[26:27], s[4:5]
	s_cbranch_execz .LBB384_1318
; %bb.1315:                             ;   in Loop: Header=BB384_690 Depth=1
	v_bfe_u32 v10, v2, 16, 7
	v_cmp_ne_u32_e64 s[4:5], s34, v10
	v_mov_b32_e32 v5, 0x7f800001
	s_and_saveexec_b64 s[28:29], s[4:5]
	s_cbranch_execz .LBB384_1317
; %bb.1316:                             ;   in Loop: Header=BB384_690 Depth=1
	v_and_b32_e32 v5, 7, v6
	v_ffbh_u32_e32 v13, v5
	v_min_u32_e32 v13, 32, v13
	v_subrev_u32_e32 v20, 28, v13
	v_lshlrev_b64 v[20:21], v20, v[6:7]
	v_lshrrev_b32_e32 v12, 3, v10
	v_sub_u32_e32 v13, 29, v13
	v_and_b32_e32 v20, 7, v20
	v_cmp_gt_u32_e64 s[4:5], 8, v10
	v_cndmask_b32_e64 v10, v12, v13, s[4:5]
	v_cndmask_b32_e64 v5, v5, v20, s[4:5]
	v_lshlrev_b32_e32 v6, 24, v6
	v_lshlrev_b32_e32 v5, 20, v5
	v_and_b32_e32 v6, 0x80000000, v6
	v_lshl_add_u32 v10, v10, 23, v28
	v_or3_b32 v5, v6, v10, v5
.LBB384_1317:                           ;   in Loop: Header=BB384_690 Depth=1
	s_or_b64 exec, exec, s[28:29]
.LBB384_1318:                           ;   in Loop: Header=BB384_690 Depth=1
	s_or_b64 exec, exec, s[26:27]
.LBB384_1319:                           ;   in Loop: Header=BB384_690 Depth=1
	s_or_b64 exec, exec, s[24:25]
	v_mul_f32_e32 v5, v7, v5
	v_and_b32_e32 v6, 0x7f800000, v5
	v_cmp_ne_u32_e64 s[4:5], s15, v6
                                        ; implicit-def: $vgpr20
	s_and_saveexec_b64 s[24:25], s[4:5]
	s_xor_b64 s[4:5], exec, s[24:25]
; %bb.1320:                             ;   in Loop: Header=BB384_690 Depth=1
	v_bfe_u32 v6, v5, 16, 1
	v_add3_u32 v20, v5, v6, s30
                                        ; implicit-def: $vgpr5
; %bb.1321:                             ;   in Loop: Header=BB384_690 Depth=1
	s_andn2_saveexec_b64 s[24:25], s[4:5]
; %bb.1322:                             ;   in Loop: Header=BB384_690 Depth=1
	v_or_b32_e32 v6, 0x10000, v5
	v_cmp_eq_u32_sdwa s[4:5], v5, v11 src0_sel:WORD_0 src1_sel:DWORD
	v_cndmask_b32_e64 v20, v6, v5, s[4:5]
; %bb.1323:                             ;   in Loop: Header=BB384_690 Depth=1
	s_or_b64 exec, exec, s[24:25]
	v_cmp_lt_u32_e64 s[4:5], s11, v2
	v_mov_b32_e32 v5, 0
	s_and_saveexec_b64 s[24:25], s[4:5]
	s_cbranch_execz .LBB384_1329
; %bb.1324:                             ;   in Loop: Header=BB384_690 Depth=1
	v_lshrrev_b32_e32 v6, 24, v2
	v_cmp_ne_u32_e64 s[4:5], s31, v6
	v_bfrev_b32_e32 v5, 1
	s_and_saveexec_b64 s[26:27], s[4:5]
	s_cbranch_execz .LBB384_1328
; %bb.1325:                             ;   in Loop: Header=BB384_690 Depth=1
	v_bfe_u32 v10, v2, 24, 7
	v_cmp_ne_u32_e64 s[4:5], s34, v10
	v_mov_b32_e32 v5, 0x7f800001
	s_and_saveexec_b64 s[28:29], s[4:5]
	s_cbranch_execz .LBB384_1327
; %bb.1326:                             ;   in Loop: Header=BB384_690 Depth=1
	v_and_b32_e32 v5, 7, v6
	v_ffbh_u32_e32 v13, v5
	v_min_u32_e32 v13, 32, v13
	v_subrev_u32_e32 v21, 28, v13
	v_lshlrev_b64 v[28:29], v21, v[6:7]
	v_lshrrev_b32_e32 v12, 3, v10
	v_sub_u32_e32 v13, 29, v13
	v_and_b32_e32 v21, 7, v28
	v_cmp_gt_u32_e64 s[4:5], 8, v10
	v_bfrev_b32_e32 v28, 60
	v_cndmask_b32_e64 v10, v12, v13, s[4:5]
	v_cndmask_b32_e64 v5, v5, v21, s[4:5]
	v_lshlrev_b32_e32 v6, 24, v6
	v_lshlrev_b32_e32 v5, 20, v5
	v_and_b32_e32 v6, 0x80000000, v6
	v_lshl_add_u32 v10, v10, 23, v28
	v_or3_b32 v5, v6, v10, v5
.LBB384_1327:                           ;   in Loop: Header=BB384_690 Depth=1
	s_or_b64 exec, exec, s[28:29]
.LBB384_1328:                           ;   in Loop: Header=BB384_690 Depth=1
	s_or_b64 exec, exec, s[26:27]
.LBB384_1329:                           ;   in Loop: Header=BB384_690 Depth=1
	s_or_b64 exec, exec, s[24:25]
	v_mul_f32_e32 v5, v7, v5
	v_and_b32_e32 v6, 0x7f800000, v5
	v_cmp_ne_u32_e64 s[4:5], s15, v6
                                        ; implicit-def: $vgpr21
	s_and_saveexec_b64 s[24:25], s[4:5]
	s_xor_b64 s[4:5], exec, s[24:25]
; %bb.1330:                             ;   in Loop: Header=BB384_690 Depth=1
	v_bfe_u32 v6, v5, 16, 1
	v_add3_u32 v21, v5, v6, s30
                                        ; implicit-def: $vgpr5
; %bb.1331:                             ;   in Loop: Header=BB384_690 Depth=1
	s_andn2_saveexec_b64 s[24:25], s[4:5]
; %bb.1332:                             ;   in Loop: Header=BB384_690 Depth=1
	v_or_b32_e32 v6, 0x10000, v5
	v_cmp_eq_u32_sdwa s[4:5], v5, v11 src0_sel:WORD_0 src1_sel:DWORD
	v_cndmask_b32_e64 v21, v6, v5, s[4:5]
; %bb.1333:                             ;   in Loop: Header=BB384_690 Depth=1
	s_or_b64 exec, exec, s[24:25]
	v_mov_b32_e32 v10, v3
	v_cmp_ne_u16_sdwa s[4:5], v3, v11 src0_sel:BYTE_0 src1_sel:DWORD
	v_mov_b32_e32 v5, 0
	s_and_saveexec_b64 s[24:25], s[4:5]
	s_cbranch_execz .LBB384_1339
; %bb.1334:                             ;   in Loop: Header=BB384_690 Depth=1
	v_cmp_ne_u16_sdwa s[4:5], v3, s31 src0_sel:BYTE_0 src1_sel:DWORD
	v_bfrev_b32_e32 v5, 1
	s_and_saveexec_b64 s[26:27], s[4:5]
	s_cbranch_execz .LBB384_1338
; %bb.1335:                             ;   in Loop: Header=BB384_690 Depth=1
	v_and_b32_e32 v6, 0x7f, v3
	v_cmp_ne_u32_e64 s[4:5], s34, v6
	v_mov_b32_e32 v5, 0x7f800001
	s_and_saveexec_b64 s[28:29], s[4:5]
	s_cbranch_execz .LBB384_1337
; %bb.1336:                             ;   in Loop: Header=BB384_690 Depth=1
	v_and_b32_e32 v5, 7, v3
	v_ffbh_u32_e32 v5, v5
	v_min_u32_e32 v5, 32, v5
	v_subrev_u32_e32 v13, 28, v5
	v_cmp_gt_u32_e64 s[4:5], 8, v6
	v_lshrrev_b32_e32 v12, 3, v6
	v_cndmask_b32_e64 v6, 0, v13, s[4:5]
	v_sub_u32_e32 v5, 29, v5
	v_lshlrev_b64 v[28:29], v6, v[10:11]
	v_cndmask_b32_e64 v5, v12, v5, s[4:5]
	v_lshlrev_b32_e32 v6, 20, v28
	v_bfrev_b32_e32 v28, 60
	v_lshlrev_b32_e32 v12, 24, v10
	v_and_b32_e32 v6, 0x700000, v6
	v_and_b32_e32 v12, 0x80000000, v12
	v_lshl_add_u32 v5, v5, 23, v28
	v_or3_b32 v5, v12, v5, v6
.LBB384_1337:                           ;   in Loop: Header=BB384_690 Depth=1
	s_or_b64 exec, exec, s[28:29]
.LBB384_1338:                           ;   in Loop: Header=BB384_690 Depth=1
	s_or_b64 exec, exec, s[26:27]
.LBB384_1339:                           ;   in Loop: Header=BB384_690 Depth=1
	s_or_b64 exec, exec, s[24:25]
	v_mul_f32_e32 v5, v7, v5
	v_and_b32_e32 v6, 0x7f800000, v5
	v_cmp_ne_u32_e64 s[4:5], s15, v6
                                        ; implicit-def: $vgpr22
	s_and_saveexec_b64 s[24:25], s[4:5]
	s_xor_b64 s[4:5], exec, s[24:25]
; %bb.1340:                             ;   in Loop: Header=BB384_690 Depth=1
	v_bfe_u32 v6, v5, 16, 1
	v_add3_u32 v22, v5, v6, s30
                                        ; implicit-def: $vgpr5
; %bb.1341:                             ;   in Loop: Header=BB384_690 Depth=1
	s_andn2_saveexec_b64 s[24:25], s[4:5]
; %bb.1342:                             ;   in Loop: Header=BB384_690 Depth=1
	v_or_b32_e32 v6, 0x10000, v5
	v_cmp_eq_u32_sdwa s[4:5], v5, v11 src0_sel:WORD_0 src1_sel:DWORD
	v_cndmask_b32_e64 v22, v6, v5, s[4:5]
; %bb.1343:                             ;   in Loop: Header=BB384_690 Depth=1
	s_or_b64 exec, exec, s[24:25]
	v_lshrrev_b16_e32 v6, 8, v10
	v_cmp_ne_u16_e64 s[4:5], 0, v6
	v_mov_b32_e32 v5, 0
	s_and_saveexec_b64 s[24:25], s[4:5]
	s_cbranch_execz .LBB384_1349
; %bb.1344:                             ;   in Loop: Header=BB384_690 Depth=1
	v_cmp_ne_u16_e64 s[4:5], s31, v6
	v_bfrev_b32_e32 v5, 1
	s_and_saveexec_b64 s[26:27], s[4:5]
	s_cbranch_execz .LBB384_1348
; %bb.1345:                             ;   in Loop: Header=BB384_690 Depth=1
	v_and_b32_e32 v29, 0x7f, v6
	v_cmp_ne_u32_e64 s[4:5], s34, v29
	v_mov_b32_e32 v5, 0x7f800001
	s_and_saveexec_b64 s[28:29], s[4:5]
	s_cbranch_execz .LBB384_1347
; %bb.1346:                             ;   in Loop: Header=BB384_690 Depth=1
	v_and_b32_e32 v5, 7, v6
	v_ffbh_u32_e32 v13, v5
	v_min_u32_e32 v13, 32, v13
	v_subrev_u32_e32 v23, 28, v13
	v_lshlrev_b64 v[32:33], v23, v[6:7]
	v_lshrrev_b32_e32 v12, 3, v29
	v_sub_u32_e32 v6, 29, v13
	v_and_b32_e32 v13, 7, v32
	v_cmp_gt_u32_e64 s[4:5], 8, v29
	v_cndmask_b32_e64 v6, v12, v6, s[4:5]
	v_cndmask_b32_e64 v5, v5, v13, s[4:5]
	v_lshlrev_b32_e32 v10, 16, v10
	v_lshlrev_b32_e32 v5, 20, v5
	v_and_b32_e32 v10, 0x80000000, v10
	v_lshl_add_u32 v6, v6, 23, v28
	v_accvgpr_read_b32 v23, a33
	v_or3_b32 v5, v10, v6, v5
.LBB384_1347:                           ;   in Loop: Header=BB384_690 Depth=1
	s_or_b64 exec, exec, s[28:29]
.LBB384_1348:                           ;   in Loop: Header=BB384_690 Depth=1
	s_or_b64 exec, exec, s[26:27]
.LBB384_1349:                           ;   in Loop: Header=BB384_690 Depth=1
	s_or_b64 exec, exec, s[24:25]
	v_mul_f32_e32 v6, v7, v5
	v_and_b32_e32 v5, 0x7f800000, v6
	v_cmp_ne_u32_e64 s[4:5], s15, v5
                                        ; implicit-def: $vgpr5
	s_and_saveexec_b64 s[24:25], s[4:5]
	s_xor_b64 s[4:5], exec, s[24:25]
; %bb.1350:                             ;   in Loop: Header=BB384_690 Depth=1
	v_bfe_u32 v5, v6, 16, 1
	v_add3_u32 v5, v6, v5, s30
                                        ; implicit-def: $vgpr6
; %bb.1351:                             ;   in Loop: Header=BB384_690 Depth=1
	s_andn2_saveexec_b64 s[24:25], s[4:5]
; %bb.1352:                             ;   in Loop: Header=BB384_690 Depth=1
	v_or_b32_e32 v5, 0x10000, v6
	v_cmp_eq_u32_sdwa s[4:5], v6, v11 src0_sel:WORD_0 src1_sel:DWORD
	v_cndmask_b32_e64 v5, v5, v6, s[4:5]
; %bb.1353:                             ;   in Loop: Header=BB384_690 Depth=1
	s_or_b64 exec, exec, s[24:25]
	v_lshrrev_b32_e32 v6, 16, v3
	v_cmp_ne_u16_sdwa s[4:5], v6, v11 src0_sel:BYTE_0 src1_sel:DWORD
	v_mov_b32_e32 v10, 0
	s_and_saveexec_b64 s[24:25], s[4:5]
	s_cbranch_execz .LBB384_1359
; %bb.1354:                             ;   in Loop: Header=BB384_690 Depth=1
	v_cmp_ne_u16_sdwa s[4:5], v6, s31 src0_sel:BYTE_0 src1_sel:DWORD
	v_bfrev_b32_e32 v10, 1
	s_and_saveexec_b64 s[26:27], s[4:5]
	s_cbranch_execz .LBB384_1358
; %bb.1355:                             ;   in Loop: Header=BB384_690 Depth=1
	v_bfe_u32 v29, v3, 16, 7
	v_cmp_ne_u32_e64 s[4:5], s34, v29
	v_mov_b32_e32 v10, 0x7f800001
	s_and_saveexec_b64 s[28:29], s[4:5]
	s_cbranch_execz .LBB384_1357
; %bb.1356:                             ;   in Loop: Header=BB384_690 Depth=1
	v_and_b32_e32 v10, 7, v6
	v_ffbh_u32_e32 v13, v10
	v_min_u32_e32 v13, 32, v13
	v_subrev_u32_e32 v23, 28, v13
	v_lshlrev_b64 v[32:33], v23, v[6:7]
	v_lshrrev_b32_e32 v12, 3, v29
	v_sub_u32_e32 v13, 29, v13
	v_and_b32_e32 v23, 7, v32
	v_cmp_gt_u32_e64 s[4:5], 8, v29
	v_cndmask_b32_e64 v12, v12, v13, s[4:5]
	v_cndmask_b32_e64 v10, v10, v23, s[4:5]
	v_lshlrev_b32_e32 v6, 24, v6
	v_lshlrev_b32_e32 v10, 20, v10
	v_and_b32_e32 v6, 0x80000000, v6
	v_lshl_add_u32 v12, v12, 23, v28
	v_accvgpr_read_b32 v23, a33
	v_or3_b32 v10, v6, v12, v10
.LBB384_1357:                           ;   in Loop: Header=BB384_690 Depth=1
	s_or_b64 exec, exec, s[28:29]
.LBB384_1358:                           ;   in Loop: Header=BB384_690 Depth=1
	s_or_b64 exec, exec, s[26:27]
.LBB384_1359:                           ;   in Loop: Header=BB384_690 Depth=1
	s_or_b64 exec, exec, s[24:25]
	v_mul_f32_e32 v6, v7, v10
	v_and_b32_e32 v10, 0x7f800000, v6
	v_cmp_ne_u32_e64 s[4:5], s15, v10
                                        ; implicit-def: $vgpr29
	s_and_saveexec_b64 s[24:25], s[4:5]
	s_xor_b64 s[4:5], exec, s[24:25]
; %bb.1360:                             ;   in Loop: Header=BB384_690 Depth=1
	v_bfe_u32 v10, v6, 16, 1
	v_add3_u32 v29, v6, v10, s30
                                        ; implicit-def: $vgpr6
; %bb.1361:                             ;   in Loop: Header=BB384_690 Depth=1
	s_andn2_saveexec_b64 s[24:25], s[4:5]
; %bb.1362:                             ;   in Loop: Header=BB384_690 Depth=1
	v_or_b32_e32 v10, 0x10000, v6
	v_cmp_eq_u32_sdwa s[4:5], v6, v11 src0_sel:WORD_0 src1_sel:DWORD
	v_cndmask_b32_e64 v29, v10, v6, s[4:5]
; %bb.1363:                             ;   in Loop: Header=BB384_690 Depth=1
	s_or_b64 exec, exec, s[24:25]
	v_cmp_lt_u64_e64 s[4:5], s[10:11], v[2:3]
	v_mov_b32_e32 v6, 0
	s_and_saveexec_b64 s[24:25], s[4:5]
	s_cbranch_execz .LBB384_1369
; %bb.1364:                             ;   in Loop: Header=BB384_690 Depth=1
	v_lshrrev_b32_e32 v2, 24, v3
	v_cmp_ne_u32_e64 s[4:5], s31, v2
	v_bfrev_b32_e32 v6, 1
	s_and_saveexec_b64 s[26:27], s[4:5]
	s_cbranch_execz .LBB384_1368
; %bb.1365:                             ;   in Loop: Header=BB384_690 Depth=1
	v_bfe_u32 v3, v3, 24, 7
	v_cmp_ne_u32_e64 s[4:5], s34, v3
	v_mov_b32_e32 v6, 0x7f800001
	s_and_saveexec_b64 s[28:29], s[4:5]
	s_cbranch_execz .LBB384_1367
; %bb.1366:                             ;   in Loop: Header=BB384_690 Depth=1
	v_and_b32_e32 v6, 7, v2
	v_ffbh_u32_e32 v12, v6
	v_min_u32_e32 v12, 32, v12
	v_subrev_u32_e32 v13, 28, v12
	v_lshlrev_b64 v[32:33], v13, v[2:3]
	v_lshrrev_b32_e32 v10, 3, v3
	v_sub_u32_e32 v12, 29, v12
	v_and_b32_e32 v13, 7, v32
	v_cmp_gt_u32_e64 s[4:5], 8, v3
	v_cndmask_b32_e64 v3, v10, v12, s[4:5]
	v_cndmask_b32_e64 v6, v6, v13, s[4:5]
	v_lshlrev_b32_e32 v2, 24, v2
	v_lshlrev_b32_e32 v6, 20, v6
	v_and_b32_e32 v2, 0x80000000, v2
	v_lshl_add_u32 v3, v3, 23, v28
	v_or3_b32 v6, v2, v3, v6
.LBB384_1367:                           ;   in Loop: Header=BB384_690 Depth=1
	s_or_b64 exec, exec, s[28:29]
.LBB384_1368:                           ;   in Loop: Header=BB384_690 Depth=1
	s_or_b64 exec, exec, s[26:27]
.LBB384_1369:                           ;   in Loop: Header=BB384_690 Depth=1
	s_or_b64 exec, exec, s[24:25]
	v_mul_f32_e32 v3, v7, v6
	v_and_b32_e32 v2, 0x7f800000, v3
	v_cmp_ne_u32_e64 s[4:5], s15, v2
                                        ; implicit-def: $vgpr2
	s_and_saveexec_b64 s[24:25], s[4:5]
	s_xor_b64 s[4:5], exec, s[24:25]
; %bb.1370:                             ;   in Loop: Header=BB384_690 Depth=1
	v_bfe_u32 v2, v3, 16, 1
	v_add3_u32 v2, v3, v2, s30
                                        ; implicit-def: $vgpr3
; %bb.1371:                             ;   in Loop: Header=BB384_690 Depth=1
	s_andn2_saveexec_b64 s[24:25], s[4:5]
; %bb.1372:                             ;   in Loop: Header=BB384_690 Depth=1
	v_or_b32_e32 v2, 0x10000, v3
	v_cmp_eq_u32_sdwa s[4:5], v3, v11 src0_sel:WORD_0 src1_sel:DWORD
	v_cndmask_b32_e64 v2, v2, v3, s[4:5]
; %bb.1373:                             ;   in Loop: Header=BB384_690 Depth=1
	s_or_b64 exec, exec, s[24:25]
	v_lshrrev_b32_e32 v5, 16, v5
	v_lshrrev_b32_e32 v6, 16, v22
	;; [unrolled: 1-line block ×8, first 2 shown]
	s_and_saveexec_b64 s[24:25], vcc
	s_cbranch_execz .LBB384_1375
; %bb.1374:                             ;   in Loop: Header=BB384_690 Depth=1
	buffer_load_dword v12, off, s[0:3], s32 offset:196 ; 4-byte Folded Reload
	v_accvgpr_read_b32 v13, a39
	s_waitcnt vmcnt(0)
	v_cmp_lt_i32_e64 s[4:5], v54, v12
	v_cndmask_b32_e64 v8, 0, v8, s[4:5]
	v_cmp_lt_i32_e64 s[4:5], v13, v12
	v_accvgpr_read_b32 v13, a38
	v_cndmask_b32_e64 v9, 0, v9, s[4:5]
	v_cmp_lt_i32_e64 s[4:5], v13, v12
	v_accvgpr_read_b32 v13, a37
	;; [unrolled: 3-line block ×5, first 2 shown]
	v_cndmask_b32_e64 v5, 0, v5, s[4:5]
	v_cmp_lt_i32_e64 s[4:5], v13, v12
	v_cndmask_b32_e64 v3, 0, v3, s[4:5]
	v_cmp_lt_i32_e64 s[4:5], v23, v12
	v_cndmask_b32_e64 v2, 0, v2, s[4:5]
.LBB384_1375:                           ;   in Loop: Header=BB384_690 Depth=1
	s_or_b64 exec, exec, s[24:25]
	v_lshlrev_b32_e32 v8, 16, v8
	v_mul_f32_e32 v8, v57, v8
	v_and_b32_e32 v12, 0x7f800000, v8
	v_cmp_ne_u32_e64 s[4:5], s15, v12
                                        ; implicit-def: $vgpr43
	s_and_saveexec_b64 s[24:25], s[4:5]
	s_xor_b64 s[4:5], exec, s[24:25]
; %bb.1376:                             ;   in Loop: Header=BB384_690 Depth=1
	v_bfe_u32 v12, v8, 16, 1
	v_add3_u32 v43, v8, v12, s30
                                        ; implicit-def: $vgpr8
; %bb.1377:                             ;   in Loop: Header=BB384_690 Depth=1
	s_andn2_saveexec_b64 s[24:25], s[4:5]
; %bb.1378:                             ;   in Loop: Header=BB384_690 Depth=1
	v_or_b32_e32 v12, 0x10000, v8
	v_cmp_eq_u32_sdwa s[4:5], v8, v11 src0_sel:WORD_0 src1_sel:DWORD
	v_cndmask_b32_e64 v43, v12, v8, s[4:5]
; %bb.1379:                             ;   in Loop: Header=BB384_690 Depth=1
	s_or_b64 exec, exec, s[24:25]
	v_lshlrev_b32_e32 v8, 16, v9
	v_mul_f32_e32 v8, v58, v8
	v_and_b32_e32 v9, 0x7f800000, v8
	v_cmp_ne_u32_e64 s[4:5], s15, v9
                                        ; implicit-def: $vgpr44
	s_and_saveexec_b64 s[24:25], s[4:5]
	s_xor_b64 s[4:5], exec, s[24:25]
; %bb.1380:                             ;   in Loop: Header=BB384_690 Depth=1
	v_bfe_u32 v9, v8, 16, 1
	v_add3_u32 v44, v8, v9, s30
                                        ; implicit-def: $vgpr8
; %bb.1381:                             ;   in Loop: Header=BB384_690 Depth=1
	s_andn2_saveexec_b64 s[24:25], s[4:5]
; %bb.1382:                             ;   in Loop: Header=BB384_690 Depth=1
	v_or_b32_e32 v9, 0x10000, v8
	v_cmp_eq_u32_sdwa s[4:5], v8, v11 src0_sel:WORD_0 src1_sel:DWORD
	v_cndmask_b32_e64 v44, v9, v8, s[4:5]
; %bb.1383:                             ;   in Loop: Header=BB384_690 Depth=1
	s_or_b64 exec, exec, s[24:25]
	v_lshlrev_b32_e32 v8, 16, v20
	v_mul_f32_e32 v8, v60, v8
	v_and_b32_e32 v9, 0x7f800000, v8
	v_cmp_ne_u32_e64 s[4:5], s15, v9
                                        ; implicit-def: $vgpr46
	s_and_saveexec_b64 s[24:25], s[4:5]
	s_xor_b64 s[4:5], exec, s[24:25]
; %bb.1384:                             ;   in Loop: Header=BB384_690 Depth=1
	v_bfe_u32 v9, v8, 16, 1
	v_add3_u32 v46, v8, v9, s30
                                        ; implicit-def: $vgpr8
; %bb.1385:                             ;   in Loop: Header=BB384_690 Depth=1
	s_andn2_saveexec_b64 s[24:25], s[4:5]
; %bb.1386:                             ;   in Loop: Header=BB384_690 Depth=1
	v_or_b32_e32 v9, 0x10000, v8
	v_cmp_eq_u32_sdwa s[4:5], v8, v11 src0_sel:WORD_0 src1_sel:DWORD
	v_cndmask_b32_e64 v46, v9, v8, s[4:5]
; %bb.1387:                             ;   in Loop: Header=BB384_690 Depth=1
	s_or_b64 exec, exec, s[24:25]
	v_lshlrev_b32_e32 v8, 16, v10
	v_mul_f32_e32 v8, v37, v8
	v_and_b32_e32 v9, 0x7f800000, v8
	v_cmp_ne_u32_e64 s[4:5], s15, v9
                                        ; implicit-def: $vgpr47
	s_and_saveexec_b64 s[24:25], s[4:5]
	s_xor_b64 s[4:5], exec, s[24:25]
; %bb.1388:                             ;   in Loop: Header=BB384_690 Depth=1
	v_bfe_u32 v9, v8, 16, 1
	v_add3_u32 v47, v8, v9, s30
                                        ; implicit-def: $vgpr8
; %bb.1389:                             ;   in Loop: Header=BB384_690 Depth=1
	s_andn2_saveexec_b64 s[24:25], s[4:5]
; %bb.1390:                             ;   in Loop: Header=BB384_690 Depth=1
	v_or_b32_e32 v9, 0x10000, v8
	v_cmp_eq_u32_sdwa s[4:5], v8, v11 src0_sel:WORD_0 src1_sel:DWORD
	v_cndmask_b32_e64 v47, v9, v8, s[4:5]
; %bb.1391:                             ;   in Loop: Header=BB384_690 Depth=1
	s_or_b64 exec, exec, s[24:25]
	v_lshlrev_b32_e32 v6, 16, v6
	v_mul_f32_e32 v6, v41, v6
	v_and_b32_e32 v8, 0x7f800000, v6
	v_cmp_ne_u32_e64 s[4:5], s15, v8
                                        ; implicit-def: $vgpr56
	s_and_saveexec_b64 s[24:25], s[4:5]
	s_xor_b64 s[4:5], exec, s[24:25]
; %bb.1392:                             ;   in Loop: Header=BB384_690 Depth=1
	v_bfe_u32 v8, v6, 16, 1
	v_add3_u32 v56, v6, v8, s30
                                        ; implicit-def: $vgpr6
; %bb.1393:                             ;   in Loop: Header=BB384_690 Depth=1
	s_andn2_saveexec_b64 s[24:25], s[4:5]
; %bb.1394:                             ;   in Loop: Header=BB384_690 Depth=1
	v_or_b32_e32 v8, 0x10000, v6
	v_cmp_eq_u32_sdwa s[4:5], v6, v11 src0_sel:WORD_0 src1_sel:DWORD
	v_cndmask_b32_e64 v56, v8, v6, s[4:5]
; %bb.1395:                             ;   in Loop: Header=BB384_690 Depth=1
	s_or_b64 exec, exec, s[24:25]
	v_lshlrev_b32_e32 v5, 16, v5
	v_mul_f32_e32 v5, v34, v5
	v_and_b32_e32 v6, 0x7f800000, v5
	v_cmp_ne_u32_e64 s[4:5], s15, v6
                                        ; implicit-def: $vgpr62
	s_and_saveexec_b64 s[24:25], s[4:5]
	s_xor_b64 s[4:5], exec, s[24:25]
; %bb.1396:                             ;   in Loop: Header=BB384_690 Depth=1
	v_bfe_u32 v6, v5, 16, 1
	v_add3_u32 v62, v5, v6, s30
                                        ; implicit-def: $vgpr5
; %bb.1397:                             ;   in Loop: Header=BB384_690 Depth=1
	s_andn2_saveexec_b64 s[24:25], s[4:5]
; %bb.1398:                             ;   in Loop: Header=BB384_690 Depth=1
	v_or_b32_e32 v6, 0x10000, v5
	v_cmp_eq_u32_sdwa s[4:5], v5, v11 src0_sel:WORD_0 src1_sel:DWORD
	v_cndmask_b32_e64 v62, v6, v5, s[4:5]
; %bb.1399:                             ;   in Loop: Header=BB384_690 Depth=1
	s_or_b64 exec, exec, s[24:25]
	v_lshlrev_b32_e32 v3, 16, v3
	v_mul_f32_e32 v3, v31, v3
	v_and_b32_e32 v5, 0x7f800000, v3
	v_cmp_ne_u32_e64 s[4:5], s15, v5
                                        ; implicit-def: $vgpr32
	s_and_saveexec_b64 s[24:25], s[4:5]
	s_xor_b64 s[4:5], exec, s[24:25]
; %bb.1400:                             ;   in Loop: Header=BB384_690 Depth=1
	v_bfe_u32 v5, v3, 16, 1
	v_add3_u32 v32, v3, v5, s30
                                        ; implicit-def: $vgpr3
; %bb.1401:                             ;   in Loop: Header=BB384_690 Depth=1
	s_andn2_saveexec_b64 s[24:25], s[4:5]
; %bb.1402:                             ;   in Loop: Header=BB384_690 Depth=1
	v_or_b32_e32 v5, 0x10000, v3
	v_cmp_eq_u32_sdwa s[4:5], v3, v11 src0_sel:WORD_0 src1_sel:DWORD
	v_cndmask_b32_e64 v32, v5, v3, s[4:5]
; %bb.1403:                             ;   in Loop: Header=BB384_690 Depth=1
	s_or_b64 exec, exec, s[24:25]
	v_lshlrev_b32_e32 v2, 16, v2
	v_mul_f32_e32 v2, v38, v2
	v_and_b32_e32 v3, 0x7f800000, v2
	v_cmp_ne_u32_e64 s[4:5], s15, v3
                                        ; implicit-def: $vgpr33
	s_and_saveexec_b64 s[24:25], s[4:5]
	s_xor_b64 s[4:5], exec, s[24:25]
; %bb.1404:                             ;   in Loop: Header=BB384_690 Depth=1
	v_bfe_u32 v3, v2, 16, 1
	v_add3_u32 v33, v2, v3, s30
                                        ; implicit-def: $vgpr2
; %bb.1405:                             ;   in Loop: Header=BB384_690 Depth=1
	s_andn2_saveexec_b64 s[24:25], s[4:5]
; %bb.1406:                             ;   in Loop: Header=BB384_690 Depth=1
	v_or_b32_e32 v3, 0x10000, v2
	v_cmp_eq_u32_sdwa s[4:5], v2, v11 src0_sel:WORD_0 src1_sel:DWORD
	v_cndmask_b32_e64 v33, v3, v2, s[4:5]
; %bb.1407:                             ;   in Loop: Header=BB384_690 Depth=1
	s_or_b64 exec, exec, s[24:25]
	flat_load_dwordx2 v[2:3], v[0:1] offset:3072
	v_mov_b32_e32 v5, 0
	s_waitcnt vmcnt(0) lgkmcnt(0)
	v_cmp_ne_u16_sdwa s[4:5], v2, v11 src0_sel:BYTE_0 src1_sel:DWORD
	s_and_saveexec_b64 s[24:25], s[4:5]
	s_cbranch_execz .LBB384_1413
; %bb.1408:                             ;   in Loop: Header=BB384_690 Depth=1
	v_cmp_ne_u16_sdwa s[4:5], v2, s31 src0_sel:BYTE_0 src1_sel:DWORD
	v_bfrev_b32_e32 v5, 1
	s_and_saveexec_b64 s[26:27], s[4:5]
	s_cbranch_execz .LBB384_1412
; %bb.1409:                             ;   in Loop: Header=BB384_690 Depth=1
	v_and_b32_e32 v6, 0x7f, v2
	v_cmp_ne_u32_e64 s[4:5], s34, v6
	v_mov_b32_e32 v5, 0x7f800001
	s_and_saveexec_b64 s[28:29], s[4:5]
	s_cbranch_execz .LBB384_1411
; %bb.1410:                             ;   in Loop: Header=BB384_690 Depth=1
	v_and_b32_e32 v5, 7, v2
	v_ffbh_u32_e32 v5, v5
	v_min_u32_e32 v5, 32, v5
	v_subrev_u32_e32 v9, 28, v5
	v_cmp_gt_u32_e64 s[4:5], 8, v6
	v_lshrrev_b32_e32 v8, 3, v6
	v_sub_u32_e32 v5, 29, v5
	v_cndmask_b32_e64 v6, 0, v9, s[4:5]
	v_cndmask_b32_e64 v5, v8, v5, s[4:5]
	v_lshlrev_b64 v[8:9], v6, v[2:3]
	v_lshlrev_b32_e32 v6, 20, v8
	v_lshlrev_b32_e32 v8, 24, v2
	v_and_b32_e32 v6, 0x700000, v6
	v_and_b32_e32 v8, 0x80000000, v8
	v_lshl_add_u32 v5, v5, 23, v28
	v_or3_b32 v5, v8, v5, v6
.LBB384_1411:                           ;   in Loop: Header=BB384_690 Depth=1
	s_or_b64 exec, exec, s[28:29]
.LBB384_1412:                           ;   in Loop: Header=BB384_690 Depth=1
	s_or_b64 exec, exec, s[26:27]
.LBB384_1413:                           ;   in Loop: Header=BB384_690 Depth=1
	s_or_b64 exec, exec, s[24:25]
	v_mul_f32_e32 v5, v7, v5
	v_and_b32_e32 v6, 0x7f800000, v5
	v_cmp_ne_u32_e64 s[4:5], s15, v6
                                        ; implicit-def: $vgpr8
	s_and_saveexec_b64 s[24:25], s[4:5]
	s_xor_b64 s[4:5], exec, s[24:25]
; %bb.1414:                             ;   in Loop: Header=BB384_690 Depth=1
	v_bfe_u32 v6, v5, 16, 1
	v_add3_u32 v8, v5, v6, s30
                                        ; implicit-def: $vgpr5
; %bb.1415:                             ;   in Loop: Header=BB384_690 Depth=1
	s_andn2_saveexec_b64 s[24:25], s[4:5]
; %bb.1416:                             ;   in Loop: Header=BB384_690 Depth=1
	v_or_b32_e32 v6, 0x10000, v5
	v_cmp_eq_u32_sdwa s[4:5], v5, v11 src0_sel:WORD_0 src1_sel:DWORD
	v_cndmask_b32_e64 v8, v6, v5, s[4:5]
; %bb.1417:                             ;   in Loop: Header=BB384_690 Depth=1
	s_or_b64 exec, exec, s[24:25]
	v_lshrrev_b16_e32 v6, 8, v2
	v_cmp_ne_u16_e64 s[4:5], 0, v6
	v_mov_b32_e32 v5, 0
	s_and_saveexec_b64 s[24:25], s[4:5]
	s_cbranch_execz .LBB384_1423
; %bb.1418:                             ;   in Loop: Header=BB384_690 Depth=1
	v_cmp_ne_u16_e64 s[4:5], s31, v6
	v_bfrev_b32_e32 v5, 1
	s_and_saveexec_b64 s[26:27], s[4:5]
	s_cbranch_execz .LBB384_1422
; %bb.1419:                             ;   in Loop: Header=BB384_690 Depth=1
	v_and_b32_e32 v9, 0x7f, v6
	v_cmp_ne_u32_e64 s[4:5], s34, v9
	v_mov_b32_e32 v5, 0x7f800001
	s_and_saveexec_b64 s[28:29], s[4:5]
	s_cbranch_execz .LBB384_1421
; %bb.1420:                             ;   in Loop: Header=BB384_690 Depth=1
	v_and_b32_e32 v5, 7, v6
	v_ffbh_u32_e32 v12, v5
	v_min_u32_e32 v12, 32, v12
	v_subrev_u32_e32 v13, 28, v12
	v_lshlrev_b64 v[20:21], v13, v[6:7]
	v_lshrrev_b32_e32 v10, 3, v9
	v_sub_u32_e32 v6, 29, v12
	v_and_b32_e32 v12, 7, v20
	v_cmp_gt_u32_e64 s[4:5], 8, v9
	v_cndmask_b32_e64 v6, v10, v6, s[4:5]
	v_cndmask_b32_e64 v5, v5, v12, s[4:5]
	v_lshlrev_b32_e32 v9, 16, v2
	v_lshlrev_b32_e32 v5, 20, v5
	v_and_b32_e32 v9, 0x80000000, v9
	v_lshl_add_u32 v6, v6, 23, v28
	v_or3_b32 v5, v9, v6, v5
.LBB384_1421:                           ;   in Loop: Header=BB384_690 Depth=1
	s_or_b64 exec, exec, s[28:29]
.LBB384_1422:                           ;   in Loop: Header=BB384_690 Depth=1
	s_or_b64 exec, exec, s[26:27]
.LBB384_1423:                           ;   in Loop: Header=BB384_690 Depth=1
	s_or_b64 exec, exec, s[24:25]
	v_mul_f32_e32 v5, v7, v5
	v_and_b32_e32 v6, 0x7f800000, v5
	v_cmp_ne_u32_e64 s[4:5], s15, v6
                                        ; implicit-def: $vgpr9
	s_and_saveexec_b64 s[24:25], s[4:5]
	s_xor_b64 s[4:5], exec, s[24:25]
; %bb.1424:                             ;   in Loop: Header=BB384_690 Depth=1
	v_bfe_u32 v6, v5, 16, 1
	v_add3_u32 v9, v5, v6, s30
                                        ; implicit-def: $vgpr5
; %bb.1425:                             ;   in Loop: Header=BB384_690 Depth=1
	s_andn2_saveexec_b64 s[24:25], s[4:5]
; %bb.1426:                             ;   in Loop: Header=BB384_690 Depth=1
	v_or_b32_e32 v6, 0x10000, v5
	v_cmp_eq_u32_sdwa s[4:5], v5, v11 src0_sel:WORD_0 src1_sel:DWORD
	v_cndmask_b32_e64 v9, v6, v5, s[4:5]
; %bb.1427:                             ;   in Loop: Header=BB384_690 Depth=1
	s_or_b64 exec, exec, s[24:25]
	v_lshrrev_b32_e32 v6, 16, v2
	v_cmp_ne_u16_sdwa s[4:5], v6, v11 src0_sel:BYTE_0 src1_sel:DWORD
	v_mov_b32_e32 v5, 0
	s_and_saveexec_b64 s[24:25], s[4:5]
	s_cbranch_execz .LBB384_1433
; %bb.1428:                             ;   in Loop: Header=BB384_690 Depth=1
	v_cmp_ne_u16_sdwa s[4:5], v6, s31 src0_sel:BYTE_0 src1_sel:DWORD
	v_bfrev_b32_e32 v5, 1
	s_and_saveexec_b64 s[26:27], s[4:5]
	s_cbranch_execz .LBB384_1432
; %bb.1429:                             ;   in Loop: Header=BB384_690 Depth=1
	v_bfe_u32 v10, v2, 16, 7
	v_cmp_ne_u32_e64 s[4:5], s34, v10
	v_mov_b32_e32 v5, 0x7f800001
	s_and_saveexec_b64 s[28:29], s[4:5]
	s_cbranch_execz .LBB384_1431
; %bb.1430:                             ;   in Loop: Header=BB384_690 Depth=1
	v_and_b32_e32 v5, 7, v6
	v_ffbh_u32_e32 v13, v5
	v_min_u32_e32 v13, 32, v13
	v_subrev_u32_e32 v20, 28, v13
	v_lshlrev_b64 v[20:21], v20, v[6:7]
	v_lshrrev_b32_e32 v12, 3, v10
	v_sub_u32_e32 v13, 29, v13
	v_and_b32_e32 v20, 7, v20
	v_cmp_gt_u32_e64 s[4:5], 8, v10
	v_cndmask_b32_e64 v10, v12, v13, s[4:5]
	v_cndmask_b32_e64 v5, v5, v20, s[4:5]
	v_lshlrev_b32_e32 v6, 24, v6
	v_lshlrev_b32_e32 v5, 20, v5
	v_and_b32_e32 v6, 0x80000000, v6
	v_lshl_add_u32 v10, v10, 23, v28
	v_or3_b32 v5, v6, v10, v5
.LBB384_1431:                           ;   in Loop: Header=BB384_690 Depth=1
	s_or_b64 exec, exec, s[28:29]
.LBB384_1432:                           ;   in Loop: Header=BB384_690 Depth=1
	s_or_b64 exec, exec, s[26:27]
.LBB384_1433:                           ;   in Loop: Header=BB384_690 Depth=1
	s_or_b64 exec, exec, s[24:25]
	v_mul_f32_e32 v5, v7, v5
	v_and_b32_e32 v6, 0x7f800000, v5
	v_cmp_ne_u32_e64 s[4:5], s15, v6
                                        ; implicit-def: $vgpr20
	s_and_saveexec_b64 s[24:25], s[4:5]
	s_xor_b64 s[4:5], exec, s[24:25]
; %bb.1434:                             ;   in Loop: Header=BB384_690 Depth=1
	v_bfe_u32 v6, v5, 16, 1
	v_add3_u32 v20, v5, v6, s30
                                        ; implicit-def: $vgpr5
; %bb.1435:                             ;   in Loop: Header=BB384_690 Depth=1
	s_andn2_saveexec_b64 s[24:25], s[4:5]
; %bb.1436:                             ;   in Loop: Header=BB384_690 Depth=1
	v_or_b32_e32 v6, 0x10000, v5
	v_cmp_eq_u32_sdwa s[4:5], v5, v11 src0_sel:WORD_0 src1_sel:DWORD
	v_cndmask_b32_e64 v20, v6, v5, s[4:5]
; %bb.1437:                             ;   in Loop: Header=BB384_690 Depth=1
	s_or_b64 exec, exec, s[24:25]
	v_cmp_lt_u32_e64 s[4:5], s11, v2
	v_mov_b32_e32 v5, 0
	s_and_saveexec_b64 s[24:25], s[4:5]
	s_cbranch_execz .LBB384_1443
; %bb.1438:                             ;   in Loop: Header=BB384_690 Depth=1
	v_lshrrev_b32_e32 v6, 24, v2
	v_cmp_ne_u32_e64 s[4:5], s31, v6
	v_bfrev_b32_e32 v5, 1
	s_and_saveexec_b64 s[26:27], s[4:5]
	s_cbranch_execz .LBB384_1442
; %bb.1439:                             ;   in Loop: Header=BB384_690 Depth=1
	v_bfe_u32 v10, v2, 24, 7
	v_cmp_ne_u32_e64 s[4:5], s34, v10
	v_mov_b32_e32 v5, 0x7f800001
	s_and_saveexec_b64 s[28:29], s[4:5]
	s_cbranch_execz .LBB384_1441
; %bb.1440:                             ;   in Loop: Header=BB384_690 Depth=1
	v_and_b32_e32 v5, 7, v6
	v_ffbh_u32_e32 v13, v5
	v_min_u32_e32 v13, 32, v13
	v_subrev_u32_e32 v21, 28, v13
	v_lshlrev_b64 v[28:29], v21, v[6:7]
	v_lshrrev_b32_e32 v12, 3, v10
	v_sub_u32_e32 v13, 29, v13
	v_and_b32_e32 v21, 7, v28
	v_cmp_gt_u32_e64 s[4:5], 8, v10
	v_bfrev_b32_e32 v28, 60
	v_cndmask_b32_e64 v10, v12, v13, s[4:5]
	v_cndmask_b32_e64 v5, v5, v21, s[4:5]
	v_lshlrev_b32_e32 v6, 24, v6
	v_lshlrev_b32_e32 v5, 20, v5
	v_and_b32_e32 v6, 0x80000000, v6
	v_lshl_add_u32 v10, v10, 23, v28
	v_or3_b32 v5, v6, v10, v5
.LBB384_1441:                           ;   in Loop: Header=BB384_690 Depth=1
	s_or_b64 exec, exec, s[28:29]
.LBB384_1442:                           ;   in Loop: Header=BB384_690 Depth=1
	s_or_b64 exec, exec, s[26:27]
.LBB384_1443:                           ;   in Loop: Header=BB384_690 Depth=1
	s_or_b64 exec, exec, s[24:25]
	v_mul_f32_e32 v5, v7, v5
	v_and_b32_e32 v6, 0x7f800000, v5
	v_cmp_ne_u32_e64 s[4:5], s15, v6
                                        ; implicit-def: $vgpr21
	s_and_saveexec_b64 s[24:25], s[4:5]
	s_xor_b64 s[4:5], exec, s[24:25]
; %bb.1444:                             ;   in Loop: Header=BB384_690 Depth=1
	v_bfe_u32 v6, v5, 16, 1
	v_add3_u32 v21, v5, v6, s30
                                        ; implicit-def: $vgpr5
; %bb.1445:                             ;   in Loop: Header=BB384_690 Depth=1
	s_andn2_saveexec_b64 s[24:25], s[4:5]
; %bb.1446:                             ;   in Loop: Header=BB384_690 Depth=1
	v_or_b32_e32 v6, 0x10000, v5
	v_cmp_eq_u32_sdwa s[4:5], v5, v11 src0_sel:WORD_0 src1_sel:DWORD
	v_cndmask_b32_e64 v21, v6, v5, s[4:5]
; %bb.1447:                             ;   in Loop: Header=BB384_690 Depth=1
	s_or_b64 exec, exec, s[24:25]
	v_mov_b32_e32 v10, v3
	v_cmp_ne_u16_sdwa s[4:5], v3, v11 src0_sel:BYTE_0 src1_sel:DWORD
	v_mov_b32_e32 v5, 0
	s_and_saveexec_b64 s[24:25], s[4:5]
	s_cbranch_execz .LBB384_1453
; %bb.1448:                             ;   in Loop: Header=BB384_690 Depth=1
	v_cmp_ne_u16_sdwa s[4:5], v3, s31 src0_sel:BYTE_0 src1_sel:DWORD
	v_bfrev_b32_e32 v5, 1
	s_and_saveexec_b64 s[26:27], s[4:5]
	s_cbranch_execz .LBB384_1452
; %bb.1449:                             ;   in Loop: Header=BB384_690 Depth=1
	v_and_b32_e32 v6, 0x7f, v3
	v_cmp_ne_u32_e64 s[4:5], s34, v6
	v_mov_b32_e32 v5, 0x7f800001
	s_and_saveexec_b64 s[28:29], s[4:5]
	s_cbranch_execz .LBB384_1451
; %bb.1450:                             ;   in Loop: Header=BB384_690 Depth=1
	v_and_b32_e32 v5, 7, v3
	v_ffbh_u32_e32 v5, v5
	v_min_u32_e32 v5, 32, v5
	v_subrev_u32_e32 v13, 28, v5
	v_cmp_gt_u32_e64 s[4:5], 8, v6
	v_lshrrev_b32_e32 v12, 3, v6
	v_cndmask_b32_e64 v6, 0, v13, s[4:5]
	v_sub_u32_e32 v5, 29, v5
	v_lshlrev_b64 v[28:29], v6, v[10:11]
	v_cndmask_b32_e64 v5, v12, v5, s[4:5]
	v_lshlrev_b32_e32 v6, 20, v28
	v_bfrev_b32_e32 v28, 60
	v_lshlrev_b32_e32 v12, 24, v10
	v_and_b32_e32 v6, 0x700000, v6
	v_and_b32_e32 v12, 0x80000000, v12
	v_lshl_add_u32 v5, v5, 23, v28
	v_or3_b32 v5, v12, v5, v6
.LBB384_1451:                           ;   in Loop: Header=BB384_690 Depth=1
	s_or_b64 exec, exec, s[28:29]
.LBB384_1452:                           ;   in Loop: Header=BB384_690 Depth=1
	s_or_b64 exec, exec, s[26:27]
.LBB384_1453:                           ;   in Loop: Header=BB384_690 Depth=1
	s_or_b64 exec, exec, s[24:25]
	v_mul_f32_e32 v5, v7, v5
	v_and_b32_e32 v6, 0x7f800000, v5
	v_cmp_ne_u32_e64 s[4:5], s15, v6
                                        ; implicit-def: $vgpr22
	s_and_saveexec_b64 s[24:25], s[4:5]
	s_xor_b64 s[4:5], exec, s[24:25]
; %bb.1454:                             ;   in Loop: Header=BB384_690 Depth=1
	v_bfe_u32 v6, v5, 16, 1
	v_add3_u32 v22, v5, v6, s30
                                        ; implicit-def: $vgpr5
; %bb.1455:                             ;   in Loop: Header=BB384_690 Depth=1
	s_andn2_saveexec_b64 s[24:25], s[4:5]
; %bb.1456:                             ;   in Loop: Header=BB384_690 Depth=1
	v_or_b32_e32 v6, 0x10000, v5
	v_cmp_eq_u32_sdwa s[4:5], v5, v11 src0_sel:WORD_0 src1_sel:DWORD
	v_cndmask_b32_e64 v22, v6, v5, s[4:5]
; %bb.1457:                             ;   in Loop: Header=BB384_690 Depth=1
	s_or_b64 exec, exec, s[24:25]
	v_lshrrev_b16_e32 v6, 8, v10
	v_cmp_ne_u16_e64 s[4:5], 0, v6
	v_mov_b32_e32 v5, 0
	s_and_saveexec_b64 s[24:25], s[4:5]
	s_cbranch_execz .LBB384_1463
; %bb.1458:                             ;   in Loop: Header=BB384_690 Depth=1
	v_cmp_ne_u16_e64 s[4:5], s31, v6
	v_bfrev_b32_e32 v5, 1
	s_and_saveexec_b64 s[26:27], s[4:5]
	s_cbranch_execz .LBB384_1462
; %bb.1459:                             ;   in Loop: Header=BB384_690 Depth=1
	v_and_b32_e32 v29, 0x7f, v6
	v_cmp_ne_u32_e64 s[4:5], s34, v29
	v_mov_b32_e32 v5, 0x7f800001
	s_and_saveexec_b64 s[28:29], s[4:5]
	s_cbranch_execz .LBB384_1461
; %bb.1460:                             ;   in Loop: Header=BB384_690 Depth=1
	v_and_b32_e32 v5, 7, v6
	v_ffbh_u32_e32 v13, v5
	v_min_u32_e32 v13, 32, v13
	v_subrev_u32_e32 v23, 28, v13
	v_lshlrev_b64 v[50:51], v23, v[6:7]
	v_lshrrev_b32_e32 v12, 3, v29
	v_sub_u32_e32 v6, 29, v13
	v_and_b32_e32 v13, 7, v50
	v_cmp_gt_u32_e64 s[4:5], 8, v29
	v_cndmask_b32_e64 v6, v12, v6, s[4:5]
	v_cndmask_b32_e64 v5, v5, v13, s[4:5]
	v_lshlrev_b32_e32 v10, 16, v10
	v_lshlrev_b32_e32 v5, 20, v5
	v_and_b32_e32 v10, 0x80000000, v10
	v_lshl_add_u32 v6, v6, 23, v28
	v_accvgpr_read_b32 v23, a33
	v_or3_b32 v5, v10, v6, v5
.LBB384_1461:                           ;   in Loop: Header=BB384_690 Depth=1
	s_or_b64 exec, exec, s[28:29]
.LBB384_1462:                           ;   in Loop: Header=BB384_690 Depth=1
	s_or_b64 exec, exec, s[26:27]
.LBB384_1463:                           ;   in Loop: Header=BB384_690 Depth=1
	s_or_b64 exec, exec, s[24:25]
	v_mul_f32_e32 v6, v7, v5
	v_and_b32_e32 v5, 0x7f800000, v6
	v_cmp_ne_u32_e64 s[4:5], s15, v5
                                        ; implicit-def: $vgpr5
	s_and_saveexec_b64 s[24:25], s[4:5]
	s_xor_b64 s[4:5], exec, s[24:25]
; %bb.1464:                             ;   in Loop: Header=BB384_690 Depth=1
	v_bfe_u32 v5, v6, 16, 1
	v_add3_u32 v5, v6, v5, s30
                                        ; implicit-def: $vgpr6
; %bb.1465:                             ;   in Loop: Header=BB384_690 Depth=1
	s_andn2_saveexec_b64 s[24:25], s[4:5]
; %bb.1466:                             ;   in Loop: Header=BB384_690 Depth=1
	v_or_b32_e32 v5, 0x10000, v6
	v_cmp_eq_u32_sdwa s[4:5], v6, v11 src0_sel:WORD_0 src1_sel:DWORD
	v_cndmask_b32_e64 v5, v5, v6, s[4:5]
; %bb.1467:                             ;   in Loop: Header=BB384_690 Depth=1
	s_or_b64 exec, exec, s[24:25]
	v_lshrrev_b32_e32 v6, 16, v3
	v_cmp_ne_u16_sdwa s[4:5], v6, v11 src0_sel:BYTE_0 src1_sel:DWORD
	v_mov_b32_e32 v10, 0
	s_and_saveexec_b64 s[24:25], s[4:5]
	s_cbranch_execz .LBB384_1473
; %bb.1468:                             ;   in Loop: Header=BB384_690 Depth=1
	v_cmp_ne_u16_sdwa s[4:5], v6, s31 src0_sel:BYTE_0 src1_sel:DWORD
	v_bfrev_b32_e32 v10, 1
	s_and_saveexec_b64 s[26:27], s[4:5]
	s_cbranch_execz .LBB384_1472
; %bb.1469:                             ;   in Loop: Header=BB384_690 Depth=1
	v_bfe_u32 v29, v3, 16, 7
	v_cmp_ne_u32_e64 s[4:5], s34, v29
	v_mov_b32_e32 v10, 0x7f800001
	s_and_saveexec_b64 s[28:29], s[4:5]
	s_cbranch_execz .LBB384_1471
; %bb.1470:                             ;   in Loop: Header=BB384_690 Depth=1
	v_and_b32_e32 v10, 7, v6
	v_ffbh_u32_e32 v13, v10
	v_min_u32_e32 v13, 32, v13
	v_subrev_u32_e32 v23, 28, v13
	v_lshlrev_b64 v[50:51], v23, v[6:7]
	v_lshrrev_b32_e32 v12, 3, v29
	v_sub_u32_e32 v13, 29, v13
	v_and_b32_e32 v23, 7, v50
	v_cmp_gt_u32_e64 s[4:5], 8, v29
	v_cndmask_b32_e64 v12, v12, v13, s[4:5]
	v_cndmask_b32_e64 v10, v10, v23, s[4:5]
	v_lshlrev_b32_e32 v6, 24, v6
	v_lshlrev_b32_e32 v10, 20, v10
	v_and_b32_e32 v6, 0x80000000, v6
	v_lshl_add_u32 v12, v12, 23, v28
	v_accvgpr_read_b32 v23, a33
	v_or3_b32 v10, v6, v12, v10
.LBB384_1471:                           ;   in Loop: Header=BB384_690 Depth=1
	s_or_b64 exec, exec, s[28:29]
.LBB384_1472:                           ;   in Loop: Header=BB384_690 Depth=1
	s_or_b64 exec, exec, s[26:27]
.LBB384_1473:                           ;   in Loop: Header=BB384_690 Depth=1
	s_or_b64 exec, exec, s[24:25]
	v_mul_f32_e32 v10, v7, v10
	v_and_b32_e32 v6, 0x7f800000, v10
	v_cmp_ne_u32_e64 s[4:5], s15, v6
                                        ; implicit-def: $vgpr6
	s_and_saveexec_b64 s[24:25], s[4:5]
	s_xor_b64 s[4:5], exec, s[24:25]
; %bb.1474:                             ;   in Loop: Header=BB384_690 Depth=1
	v_bfe_u32 v6, v10, 16, 1
	v_add3_u32 v6, v10, v6, s30
                                        ; implicit-def: $vgpr10
; %bb.1475:                             ;   in Loop: Header=BB384_690 Depth=1
	s_andn2_saveexec_b64 s[24:25], s[4:5]
; %bb.1476:                             ;   in Loop: Header=BB384_690 Depth=1
	v_or_b32_e32 v6, 0x10000, v10
	v_cmp_eq_u32_sdwa s[4:5], v10, v11 src0_sel:WORD_0 src1_sel:DWORD
	v_cndmask_b32_e64 v6, v6, v10, s[4:5]
; %bb.1477:                             ;   in Loop: Header=BB384_690 Depth=1
	s_or_b64 exec, exec, s[24:25]
	v_cmp_lt_u64_e64 s[4:5], s[10:11], v[2:3]
	v_mov_b32_e32 v10, 0
	s_and_saveexec_b64 s[24:25], s[4:5]
	s_cbranch_execz .LBB384_1483
; %bb.1478:                             ;   in Loop: Header=BB384_690 Depth=1
	v_lshrrev_b32_e32 v2, 24, v3
	v_cmp_ne_u32_e64 s[4:5], s31, v2
	v_bfrev_b32_e32 v10, 1
	s_and_saveexec_b64 s[26:27], s[4:5]
	s_cbranch_execz .LBB384_1482
; %bb.1479:                             ;   in Loop: Header=BB384_690 Depth=1
	v_bfe_u32 v3, v3, 24, 7
	v_cmp_ne_u32_e64 s[4:5], s34, v3
	v_mov_b32_e32 v10, 0x7f800001
	s_and_saveexec_b64 s[28:29], s[4:5]
	s_cbranch_execz .LBB384_1481
; %bb.1480:                             ;   in Loop: Header=BB384_690 Depth=1
	v_and_b32_e32 v10, 7, v2
	v_ffbh_u32_e32 v13, v10
	v_min_u32_e32 v13, 32, v13
	v_subrev_u32_e32 v23, 28, v13
	v_lshlrev_b64 v[28:29], v23, v[2:3]
	v_lshrrev_b32_e32 v12, 3, v3
	v_sub_u32_e32 v13, 29, v13
	v_and_b32_e32 v23, 7, v28
	v_cmp_gt_u32_e64 s[4:5], 8, v3
	v_bfrev_b32_e32 v28, 60
	v_cndmask_b32_e64 v3, v12, v13, s[4:5]
	v_cndmask_b32_e64 v10, v10, v23, s[4:5]
	v_lshlrev_b32_e32 v2, 24, v2
	v_lshlrev_b32_e32 v10, 20, v10
	v_and_b32_e32 v2, 0x80000000, v2
	v_lshl_add_u32 v3, v3, 23, v28
	v_accvgpr_read_b32 v23, a33
	v_or3_b32 v10, v2, v3, v10
.LBB384_1481:                           ;   in Loop: Header=BB384_690 Depth=1
	s_or_b64 exec, exec, s[28:29]
.LBB384_1482:                           ;   in Loop: Header=BB384_690 Depth=1
	s_or_b64 exec, exec, s[26:27]
.LBB384_1483:                           ;   in Loop: Header=BB384_690 Depth=1
	s_or_b64 exec, exec, s[24:25]
	v_mul_f32_e32 v3, v7, v10
	v_and_b32_e32 v2, 0x7f800000, v3
	v_cmp_ne_u32_e64 s[4:5], s15, v2
                                        ; implicit-def: $vgpr2
	s_and_saveexec_b64 s[24:25], s[4:5]
	s_xor_b64 s[4:5], exec, s[24:25]
; %bb.1484:                             ;   in Loop: Header=BB384_690 Depth=1
	v_bfe_u32 v2, v3, 16, 1
	v_add3_u32 v2, v3, v2, s30
                                        ; implicit-def: $vgpr3
; %bb.1485:                             ;   in Loop: Header=BB384_690 Depth=1
	s_andn2_saveexec_b64 s[24:25], s[4:5]
; %bb.1486:                             ;   in Loop: Header=BB384_690 Depth=1
	v_or_b32_e32 v2, 0x10000, v3
	v_cmp_eq_u32_sdwa s[4:5], v3, v11 src0_sel:WORD_0 src1_sel:DWORD
	v_cndmask_b32_e64 v2, v2, v3, s[4:5]
; %bb.1487:                             ;   in Loop: Header=BB384_690 Depth=1
	s_or_b64 exec, exec, s[24:25]
	v_lshrrev_b32_e32 v10, 16, v5
	v_lshrrev_b32_e32 v22, 16, v22
	;; [unrolled: 1-line block ×8, first 2 shown]
	s_and_saveexec_b64 s[24:25], vcc
	s_cbranch_execz .LBB384_1489
; %bb.1488:                             ;   in Loop: Header=BB384_690 Depth=1
	buffer_load_dword v6, off, s[0:3], s32 offset:196 ; 4-byte Folded Reload
	v_accvgpr_read_b32 v8, a39
	s_waitcnt vmcnt(0)
	v_cmp_lt_i32_e64 s[4:5], v54, v6
	v_cndmask_b32_e64 v3, 0, v3, s[4:5]
	v_cmp_lt_i32_e64 s[4:5], v8, v6
	v_accvgpr_read_b32 v8, a38
	v_cndmask_b32_e64 v9, 0, v9, s[4:5]
	v_cmp_lt_i32_e64 s[4:5], v8, v6
	v_accvgpr_read_b32 v8, a37
	;; [unrolled: 3-line block ×5, first 2 shown]
	v_cndmask_b32_e64 v10, 0, v10, s[4:5]
	v_cmp_lt_i32_e64 s[4:5], v8, v6
	v_cndmask_b32_e64 v5, 0, v5, s[4:5]
	v_cmp_lt_i32_e64 s[4:5], v23, v6
	v_cndmask_b32_e64 v2, 0, v2, s[4:5]
.LBB384_1489:                           ;   in Loop: Header=BB384_690 Depth=1
	s_or_b64 exec, exec, s[24:25]
	v_lshlrev_b32_e32 v3, 16, v3
	v_mul_f32_e32 v6, v57, v3
	v_and_b32_e32 v3, 0x7f800000, v6
	v_cmp_ne_u32_e64 s[4:5], s15, v3
                                        ; implicit-def: $vgpr3
	s_and_saveexec_b64 s[24:25], s[4:5]
	s_xor_b64 s[4:5], exec, s[24:25]
; %bb.1490:                             ;   in Loop: Header=BB384_690 Depth=1
	v_bfe_u32 v3, v6, 16, 1
	v_add3_u32 v3, v6, v3, s30
                                        ; implicit-def: $vgpr6
; %bb.1491:                             ;   in Loop: Header=BB384_690 Depth=1
	s_andn2_saveexec_b64 s[24:25], s[4:5]
; %bb.1492:                             ;   in Loop: Header=BB384_690 Depth=1
	v_or_b32_e32 v3, 0x10000, v6
	v_cmp_eq_u32_sdwa s[4:5], v6, v11 src0_sel:WORD_0 src1_sel:DWORD
	v_cndmask_b32_e64 v3, v3, v6, s[4:5]
; %bb.1493:                             ;   in Loop: Header=BB384_690 Depth=1
	s_or_b64 exec, exec, s[24:25]
	v_lshlrev_b32_e32 v6, 16, v9
	v_mul_f32_e32 v8, v58, v6
	v_and_b32_e32 v6, 0x7f800000, v8
	v_cmp_ne_u32_e64 s[4:5], s15, v6
                                        ; implicit-def: $vgpr6
	s_and_saveexec_b64 s[24:25], s[4:5]
	s_xor_b64 s[4:5], exec, s[24:25]
; %bb.1494:                             ;   in Loop: Header=BB384_690 Depth=1
	v_bfe_u32 v6, v8, 16, 1
	v_add3_u32 v6, v8, v6, s30
                                        ; implicit-def: $vgpr8
; %bb.1495:                             ;   in Loop: Header=BB384_690 Depth=1
	s_andn2_saveexec_b64 s[24:25], s[4:5]
; %bb.1496:                             ;   in Loop: Header=BB384_690 Depth=1
	v_or_b32_e32 v6, 0x10000, v8
	v_cmp_eq_u32_sdwa s[4:5], v8, v11 src0_sel:WORD_0 src1_sel:DWORD
	v_cndmask_b32_e64 v6, v6, v8, s[4:5]
; %bb.1497:                             ;   in Loop: Header=BB384_690 Depth=1
	s_or_b64 exec, exec, s[24:25]
	v_lshlrev_b32_e32 v8, 16, v20
	v_mul_f32_e32 v8, v60, v8
	v_and_b32_e32 v9, 0x7f800000, v8
	v_cmp_ne_u32_e64 s[4:5], s15, v9
                                        ; implicit-def: $vgpr59
	s_and_saveexec_b64 s[24:25], s[4:5]
	s_xor_b64 s[4:5], exec, s[24:25]
; %bb.1498:                             ;   in Loop: Header=BB384_690 Depth=1
	v_bfe_u32 v9, v8, 16, 1
	v_add3_u32 v59, v8, v9, s30
                                        ; implicit-def: $vgpr8
; %bb.1499:                             ;   in Loop: Header=BB384_690 Depth=1
	s_andn2_saveexec_b64 s[24:25], s[4:5]
; %bb.1500:                             ;   in Loop: Header=BB384_690 Depth=1
	v_or_b32_e32 v9, 0x10000, v8
	v_cmp_eq_u32_sdwa s[4:5], v8, v11 src0_sel:WORD_0 src1_sel:DWORD
	v_cndmask_b32_e64 v59, v9, v8, s[4:5]
; %bb.1501:                             ;   in Loop: Header=BB384_690 Depth=1
	s_or_b64 exec, exec, s[24:25]
	v_lshlrev_b32_e32 v8, 16, v21
	v_mul_f32_e32 v8, v37, v8
	v_and_b32_e32 v9, 0x7f800000, v8
	v_cmp_ne_u32_e64 s[4:5], s15, v9
                                        ; implicit-def: $vgpr21
	s_and_saveexec_b64 s[24:25], s[4:5]
	s_xor_b64 s[4:5], exec, s[24:25]
; %bb.1502:                             ;   in Loop: Header=BB384_690 Depth=1
	v_bfe_u32 v9, v8, 16, 1
	v_add3_u32 v21, v8, v9, s30
                                        ; implicit-def: $vgpr8
; %bb.1503:                             ;   in Loop: Header=BB384_690 Depth=1
	s_andn2_saveexec_b64 s[24:25], s[4:5]
; %bb.1504:                             ;   in Loop: Header=BB384_690 Depth=1
	v_or_b32_e32 v9, 0x10000, v8
	v_cmp_eq_u32_sdwa s[4:5], v8, v11 src0_sel:WORD_0 src1_sel:DWORD
	v_cndmask_b32_e64 v21, v9, v8, s[4:5]
; %bb.1505:                             ;   in Loop: Header=BB384_690 Depth=1
	s_or_b64 exec, exec, s[24:25]
	v_lshlrev_b32_e32 v8, 16, v22
	v_mul_f32_e32 v8, v41, v8
	v_and_b32_e32 v9, 0x7f800000, v8
	v_cmp_ne_u32_e64 s[4:5], s15, v9
                                        ; implicit-def: $vgpr20
	s_and_saveexec_b64 s[24:25], s[4:5]
	s_xor_b64 s[4:5], exec, s[24:25]
; %bb.1506:                             ;   in Loop: Header=BB384_690 Depth=1
	v_bfe_u32 v9, v8, 16, 1
	v_add3_u32 v20, v8, v9, s30
                                        ; implicit-def: $vgpr8
; %bb.1507:                             ;   in Loop: Header=BB384_690 Depth=1
	s_andn2_saveexec_b64 s[24:25], s[4:5]
; %bb.1508:                             ;   in Loop: Header=BB384_690 Depth=1
	v_or_b32_e32 v9, 0x10000, v8
	v_cmp_eq_u32_sdwa s[4:5], v8, v11 src0_sel:WORD_0 src1_sel:DWORD
	v_cndmask_b32_e64 v20, v9, v8, s[4:5]
; %bb.1509:                             ;   in Loop: Header=BB384_690 Depth=1
	s_or_b64 exec, exec, s[24:25]
	v_lshlrev_b32_e32 v8, 16, v10
	v_mul_f32_e32 v9, v34, v8
	v_and_b32_e32 v8, 0x7f800000, v9
	v_cmp_ne_u32_e64 s[4:5], s15, v8
                                        ; implicit-def: $vgpr8
	s_and_saveexec_b64 s[24:25], s[4:5]
	s_xor_b64 s[4:5], exec, s[24:25]
; %bb.1510:                             ;   in Loop: Header=BB384_690 Depth=1
	v_bfe_u32 v8, v9, 16, 1
	v_add3_u32 v8, v9, v8, s30
                                        ; implicit-def: $vgpr9
; %bb.1511:                             ;   in Loop: Header=BB384_690 Depth=1
	s_andn2_saveexec_b64 s[24:25], s[4:5]
; %bb.1512:                             ;   in Loop: Header=BB384_690 Depth=1
	v_or_b32_e32 v8, 0x10000, v9
	v_cmp_eq_u32_sdwa s[4:5], v9, v11 src0_sel:WORD_0 src1_sel:DWORD
	v_cndmask_b32_e64 v8, v8, v9, s[4:5]
; %bb.1513:                             ;   in Loop: Header=BB384_690 Depth=1
	s_or_b64 exec, exec, s[24:25]
	v_lshlrev_b32_e32 v5, 16, v5
	v_mul_f32_e32 v5, v31, v5
	v_and_b32_e32 v9, 0x7f800000, v5
	v_cmp_ne_u32_e64 s[4:5], s15, v9
                                        ; implicit-def: $vgpr22
	s_and_saveexec_b64 s[24:25], s[4:5]
	s_xor_b64 s[4:5], exec, s[24:25]
; %bb.1514:                             ;   in Loop: Header=BB384_690 Depth=1
	v_bfe_u32 v9, v5, 16, 1
	v_add3_u32 v22, v5, v9, s30
                                        ; implicit-def: $vgpr5
; %bb.1515:                             ;   in Loop: Header=BB384_690 Depth=1
	s_andn2_saveexec_b64 s[24:25], s[4:5]
; %bb.1516:                             ;   in Loop: Header=BB384_690 Depth=1
	v_or_b32_e32 v9, 0x10000, v5
	v_cmp_eq_u32_sdwa s[4:5], v5, v11 src0_sel:WORD_0 src1_sel:DWORD
	v_cndmask_b32_e64 v22, v9, v5, s[4:5]
; %bb.1517:                             ;   in Loop: Header=BB384_690 Depth=1
	s_or_b64 exec, exec, s[24:25]
	v_lshlrev_b32_e32 v2, 16, v2
	v_mul_f32_e32 v2, v38, v2
	v_and_b32_e32 v5, 0x7f800000, v2
	v_cmp_ne_u32_e64 s[4:5], s15, v5
                                        ; implicit-def: $vgpr9
	s_and_saveexec_b64 s[24:25], s[4:5]
	s_xor_b64 s[4:5], exec, s[24:25]
; %bb.1518:                             ;   in Loop: Header=BB384_690 Depth=1
	v_bfe_u32 v5, v2, 16, 1
	v_add3_u32 v9, v2, v5, s30
                                        ; implicit-def: $vgpr2
; %bb.1519:                             ;   in Loop: Header=BB384_690 Depth=1
	s_andn2_saveexec_b64 s[24:25], s[4:5]
; %bb.1520:                             ;   in Loop: Header=BB384_690 Depth=1
	v_or_b32_e32 v5, 0x10000, v2
	v_cmp_eq_u32_sdwa s[4:5], v2, v11 src0_sel:WORD_0 src1_sel:DWORD
	v_cndmask_b32_e64 v9, v5, v2, s[4:5]
; %bb.1521:                             ;   in Loop: Header=BB384_690 Depth=1
	s_or_b64 exec, exec, s[24:25]
	flat_load_dwordx2 v[0:1], v[0:1] offset:3584
	v_mov_b32_e32 v2, 0
	s_waitcnt vmcnt(0) lgkmcnt(0)
	v_cmp_ne_u16_sdwa s[4:5], v0, v11 src0_sel:BYTE_0 src1_sel:DWORD
	s_and_saveexec_b64 s[24:25], s[4:5]
	s_cbranch_execz .LBB384_1527
; %bb.1522:                             ;   in Loop: Header=BB384_690 Depth=1
	v_cmp_ne_u16_sdwa s[4:5], v0, s31 src0_sel:BYTE_0 src1_sel:DWORD
	v_bfrev_b32_e32 v2, 1
	s_and_saveexec_b64 s[26:27], s[4:5]
	s_cbranch_execz .LBB384_1526
; %bb.1523:                             ;   in Loop: Header=BB384_690 Depth=1
	v_and_b32_e32 v5, 0x7f, v0
	v_cmp_ne_u32_e64 s[4:5], s34, v5
	v_mov_b32_e32 v2, 0x7f800001
	s_and_saveexec_b64 s[28:29], s[4:5]
	s_cbranch_execz .LBB384_1525
; %bb.1524:                             ;   in Loop: Header=BB384_690 Depth=1
	v_and_b32_e32 v2, 7, v0
	v_ffbh_u32_e32 v2, v2
	v_min_u32_e32 v2, 32, v2
	v_subrev_u32_e32 v12, 28, v2
	v_cmp_gt_u32_e64 s[4:5], 8, v5
	v_lshrrev_b32_e32 v10, 3, v5
	v_cndmask_b32_e64 v5, 0, v12, s[4:5]
	v_sub_u32_e32 v2, 29, v2
	v_lshlrev_b64 v[28:29], v5, v[0:1]
	v_cndmask_b32_e64 v2, v10, v2, s[4:5]
	v_lshlrev_b32_e32 v5, 20, v28
	v_bfrev_b32_e32 v28, 60
	v_lshlrev_b32_e32 v10, 24, v0
	v_and_b32_e32 v5, 0x700000, v5
	v_and_b32_e32 v10, 0x80000000, v10
	v_lshl_add_u32 v2, v2, 23, v28
	v_or3_b32 v2, v10, v2, v5
.LBB384_1525:                           ;   in Loop: Header=BB384_690 Depth=1
	s_or_b64 exec, exec, s[28:29]
.LBB384_1526:                           ;   in Loop: Header=BB384_690 Depth=1
	s_or_b64 exec, exec, s[26:27]
.LBB384_1527:                           ;   in Loop: Header=BB384_690 Depth=1
	s_or_b64 exec, exec, s[24:25]
	v_mul_f32_e32 v2, v7, v2
	v_and_b32_e32 v5, 0x7f800000, v2
	v_cmp_ne_u32_e64 s[4:5], s15, v5
                                        ; implicit-def: $vgpr29
	s_and_saveexec_b64 s[24:25], s[4:5]
	s_xor_b64 s[4:5], exec, s[24:25]
; %bb.1528:                             ;   in Loop: Header=BB384_690 Depth=1
	v_bfe_u32 v5, v2, 16, 1
	v_add3_u32 v29, v2, v5, s30
                                        ; implicit-def: $vgpr2
; %bb.1529:                             ;   in Loop: Header=BB384_690 Depth=1
	s_andn2_saveexec_b64 s[24:25], s[4:5]
; %bb.1530:                             ;   in Loop: Header=BB384_690 Depth=1
	v_or_b32_e32 v5, 0x10000, v2
	v_cmp_eq_u32_sdwa s[4:5], v2, v11 src0_sel:WORD_0 src1_sel:DWORD
	v_cndmask_b32_e64 v29, v5, v2, s[4:5]
; %bb.1531:                             ;   in Loop: Header=BB384_690 Depth=1
	s_or_b64 exec, exec, s[24:25]
	v_lshrrev_b16_e32 v2, 8, v0
	v_cmp_ne_u16_e64 s[4:5], 0, v2
	v_mov_b32_e32 v5, 0
	s_and_saveexec_b64 s[24:25], s[4:5]
	s_cbranch_execz .LBB384_1537
; %bb.1532:                             ;   in Loop: Header=BB384_690 Depth=1
	v_cmp_ne_u16_e64 s[4:5], s31, v2
	v_bfrev_b32_e32 v5, 1
	s_and_saveexec_b64 s[26:27], s[4:5]
	s_cbranch_execz .LBB384_1536
; %bb.1533:                             ;   in Loop: Header=BB384_690 Depth=1
	v_and_b32_e32 v10, 0x7f, v2
	v_cmp_ne_u32_e64 s[4:5], s34, v10
	v_mov_b32_e32 v5, 0x7f800001
	s_and_saveexec_b64 s[28:29], s[4:5]
	s_cbranch_execz .LBB384_1535
; %bb.1534:                             ;   in Loop: Header=BB384_690 Depth=1
	v_and_b32_e32 v5, 7, v2
	v_ffbh_u32_e32 v13, v5
	v_min_u32_e32 v13, 32, v13
	v_subrev_u32_e32 v23, 28, v13
	v_lshlrev_b64 v[50:51], v23, v[2:3]
	v_lshrrev_b32_e32 v12, 3, v10
	v_sub_u32_e32 v2, 29, v13
	v_and_b32_e32 v13, 7, v50
	v_cmp_gt_u32_e64 s[4:5], 8, v10
	v_cndmask_b32_e64 v2, v12, v2, s[4:5]
	v_cndmask_b32_e64 v5, v5, v13, s[4:5]
	v_lshlrev_b32_e32 v10, 16, v0
	v_lshlrev_b32_e32 v5, 20, v5
	v_and_b32_e32 v10, 0x80000000, v10
	v_lshl_add_u32 v2, v2, 23, v28
	v_accvgpr_read_b32 v23, a33
	v_or3_b32 v5, v10, v2, v5
.LBB384_1535:                           ;   in Loop: Header=BB384_690 Depth=1
	s_or_b64 exec, exec, s[28:29]
.LBB384_1536:                           ;   in Loop: Header=BB384_690 Depth=1
	s_or_b64 exec, exec, s[26:27]
.LBB384_1537:                           ;   in Loop: Header=BB384_690 Depth=1
	s_or_b64 exec, exec, s[24:25]
	v_mul_f32_e32 v2, v7, v5
	v_and_b32_e32 v5, 0x7f800000, v2
	v_cmp_ne_u32_e64 s[4:5], s15, v5
                                        ; implicit-def: $vgpr49
	s_and_saveexec_b64 s[24:25], s[4:5]
	s_xor_b64 s[4:5], exec, s[24:25]
; %bb.1538:                             ;   in Loop: Header=BB384_690 Depth=1
	v_bfe_u32 v5, v2, 16, 1
	v_add3_u32 v49, v2, v5, s30
                                        ; implicit-def: $vgpr2
; %bb.1539:                             ;   in Loop: Header=BB384_690 Depth=1
	s_andn2_saveexec_b64 s[24:25], s[4:5]
; %bb.1540:                             ;   in Loop: Header=BB384_690 Depth=1
	v_or_b32_e32 v5, 0x10000, v2
	v_cmp_eq_u32_sdwa s[4:5], v2, v11 src0_sel:WORD_0 src1_sel:DWORD
	v_cndmask_b32_e64 v49, v5, v2, s[4:5]
; %bb.1541:                             ;   in Loop: Header=BB384_690 Depth=1
	s_or_b64 exec, exec, s[24:25]
	v_lshrrev_b32_e32 v2, 16, v0
	v_cmp_ne_u16_sdwa s[4:5], v2, v11 src0_sel:BYTE_0 src1_sel:DWORD
	v_mov_b32_e32 v5, 0
	s_and_saveexec_b64 s[24:25], s[4:5]
	s_cbranch_execz .LBB384_1547
; %bb.1542:                             ;   in Loop: Header=BB384_690 Depth=1
	v_cmp_ne_u16_sdwa s[4:5], v2, s31 src0_sel:BYTE_0 src1_sel:DWORD
	v_bfrev_b32_e32 v5, 1
	s_and_saveexec_b64 s[26:27], s[4:5]
	s_cbranch_execz .LBB384_1546
; %bb.1543:                             ;   in Loop: Header=BB384_690 Depth=1
	v_bfe_u32 v10, v0, 16, 7
	v_cmp_ne_u32_e64 s[4:5], s34, v10
	v_mov_b32_e32 v5, 0x7f800001
	s_and_saveexec_b64 s[28:29], s[4:5]
	s_cbranch_execz .LBB384_1545
; %bb.1544:                             ;   in Loop: Header=BB384_690 Depth=1
	v_and_b32_e32 v5, 7, v2
	v_ffbh_u32_e32 v13, v5
	v_min_u32_e32 v13, 32, v13
	v_subrev_u32_e32 v23, 28, v13
	v_lshlrev_b64 v[50:51], v23, v[2:3]
	v_lshrrev_b32_e32 v12, 3, v10
	v_sub_u32_e32 v13, 29, v13
	v_and_b32_e32 v23, 7, v50
	v_cmp_gt_u32_e64 s[4:5], 8, v10
	v_cndmask_b32_e64 v10, v12, v13, s[4:5]
	v_cndmask_b32_e64 v5, v5, v23, s[4:5]
	v_lshlrev_b32_e32 v2, 24, v2
	v_lshlrev_b32_e32 v5, 20, v5
	v_and_b32_e32 v2, 0x80000000, v2
	v_lshl_add_u32 v10, v10, 23, v28
	v_accvgpr_read_b32 v23, a33
	v_or3_b32 v5, v2, v10, v5
.LBB384_1545:                           ;   in Loop: Header=BB384_690 Depth=1
	s_or_b64 exec, exec, s[28:29]
.LBB384_1546:                           ;   in Loop: Header=BB384_690 Depth=1
	s_or_b64 exec, exec, s[26:27]
.LBB384_1547:                           ;   in Loop: Header=BB384_690 Depth=1
	s_or_b64 exec, exec, s[24:25]
	v_mul_f32_e32 v2, v7, v5
	v_and_b32_e32 v5, 0x7f800000, v2
	v_cmp_ne_u32_e64 s[4:5], s15, v5
                                        ; implicit-def: $vgpr50
	s_and_saveexec_b64 s[24:25], s[4:5]
	s_xor_b64 s[4:5], exec, s[24:25]
; %bb.1548:                             ;   in Loop: Header=BB384_690 Depth=1
	v_bfe_u32 v5, v2, 16, 1
	v_add3_u32 v50, v2, v5, s30
                                        ; implicit-def: $vgpr2
; %bb.1549:                             ;   in Loop: Header=BB384_690 Depth=1
	s_andn2_saveexec_b64 s[24:25], s[4:5]
; %bb.1550:                             ;   in Loop: Header=BB384_690 Depth=1
	v_or_b32_e32 v5, 0x10000, v2
	v_cmp_eq_u32_sdwa s[4:5], v2, v11 src0_sel:WORD_0 src1_sel:DWORD
	v_cndmask_b32_e64 v50, v5, v2, s[4:5]
; %bb.1551:                             ;   in Loop: Header=BB384_690 Depth=1
	s_or_b64 exec, exec, s[24:25]
	v_cmp_lt_u32_e64 s[4:5], s11, v0
	v_mov_b32_e32 v5, 0
	s_and_saveexec_b64 s[24:25], s[4:5]
	s_cbranch_execz .LBB384_1557
; %bb.1552:                             ;   in Loop: Header=BB384_690 Depth=1
	v_lshrrev_b32_e32 v2, 24, v0
	v_cmp_ne_u32_e64 s[4:5], s31, v2
	v_bfrev_b32_e32 v5, 1
	s_and_saveexec_b64 s[26:27], s[4:5]
	s_cbranch_execz .LBB384_1556
; %bb.1553:                             ;   in Loop: Header=BB384_690 Depth=1
	v_bfe_u32 v10, v0, 24, 7
	v_cmp_ne_u32_e64 s[4:5], s34, v10
	v_mov_b32_e32 v5, 0x7f800001
	s_and_saveexec_b64 s[28:29], s[4:5]
	s_cbranch_execz .LBB384_1555
; %bb.1554:                             ;   in Loop: Header=BB384_690 Depth=1
	v_and_b32_e32 v5, 7, v2
	v_ffbh_u32_e32 v13, v5
	v_min_u32_e32 v13, 32, v13
	v_subrev_u32_e32 v23, 28, v13
	v_lshlrev_b64 v[52:53], v23, v[2:3]
	v_lshrrev_b32_e32 v12, 3, v10
	v_sub_u32_e32 v13, 29, v13
	v_and_b32_e32 v23, 7, v52
	v_cmp_gt_u32_e64 s[4:5], 8, v10
	v_cndmask_b32_e64 v10, v12, v13, s[4:5]
	v_cndmask_b32_e64 v5, v5, v23, s[4:5]
	v_lshlrev_b32_e32 v2, 24, v2
	v_lshlrev_b32_e32 v5, 20, v5
	v_and_b32_e32 v2, 0x80000000, v2
	v_lshl_add_u32 v10, v10, 23, v28
	v_accvgpr_read_b32 v23, a33
	v_or3_b32 v5, v2, v10, v5
.LBB384_1555:                           ;   in Loop: Header=BB384_690 Depth=1
	s_or_b64 exec, exec, s[28:29]
.LBB384_1556:                           ;   in Loop: Header=BB384_690 Depth=1
	s_or_b64 exec, exec, s[26:27]
.LBB384_1557:                           ;   in Loop: Header=BB384_690 Depth=1
	s_or_b64 exec, exec, s[24:25]
	v_mul_f32_e32 v2, v7, v5
	v_and_b32_e32 v5, 0x7f800000, v2
	v_cmp_ne_u32_e64 s[4:5], s15, v5
                                        ; implicit-def: $vgpr51
	s_and_saveexec_b64 s[24:25], s[4:5]
	s_xor_b64 s[4:5], exec, s[24:25]
; %bb.1558:                             ;   in Loop: Header=BB384_690 Depth=1
	v_bfe_u32 v5, v2, 16, 1
	v_add3_u32 v51, v2, v5, s30
                                        ; implicit-def: $vgpr2
; %bb.1559:                             ;   in Loop: Header=BB384_690 Depth=1
	s_andn2_saveexec_b64 s[24:25], s[4:5]
; %bb.1560:                             ;   in Loop: Header=BB384_690 Depth=1
	v_or_b32_e32 v5, 0x10000, v2
	v_cmp_eq_u32_sdwa s[4:5], v2, v11 src0_sel:WORD_0 src1_sel:DWORD
	v_cndmask_b32_e64 v51, v5, v2, s[4:5]
; %bb.1561:                             ;   in Loop: Header=BB384_690 Depth=1
	s_or_b64 exec, exec, s[24:25]
	v_mov_b32_e32 v10, v1
	v_cmp_ne_u16_sdwa s[4:5], v1, v11 src0_sel:BYTE_0 src1_sel:DWORD
	v_mov_b32_e32 v2, 0
	s_and_saveexec_b64 s[24:25], s[4:5]
	s_cbranch_execz .LBB384_1567
; %bb.1562:                             ;   in Loop: Header=BB384_690 Depth=1
	v_cmp_ne_u16_sdwa s[4:5], v1, s31 src0_sel:BYTE_0 src1_sel:DWORD
	v_bfrev_b32_e32 v2, 1
	s_and_saveexec_b64 s[26:27], s[4:5]
	s_cbranch_execz .LBB384_1566
; %bb.1563:                             ;   in Loop: Header=BB384_690 Depth=1
	v_and_b32_e32 v5, 0x7f, v1
	v_cmp_ne_u32_e64 s[4:5], s34, v5
	v_mov_b32_e32 v2, 0x7f800001
	s_and_saveexec_b64 s[28:29], s[4:5]
	s_cbranch_execz .LBB384_1565
; %bb.1564:                             ;   in Loop: Header=BB384_690 Depth=1
	v_and_b32_e32 v2, 7, v1
	v_ffbh_u32_e32 v2, v2
	v_min_u32_e32 v2, 32, v2
	v_subrev_u32_e32 v13, 28, v2
	v_cmp_gt_u32_e64 s[4:5], 8, v5
	v_lshrrev_b32_e32 v12, 3, v5
	v_cndmask_b32_e64 v5, 0, v13, s[4:5]
	v_sub_u32_e32 v2, 29, v2
	v_lshlrev_b64 v[52:53], v5, v[10:11]
	v_cndmask_b32_e64 v2, v12, v2, s[4:5]
	v_lshlrev_b32_e32 v5, 20, v52
	v_lshlrev_b32_e32 v12, 24, v10
	v_and_b32_e32 v5, 0x700000, v5
	v_and_b32_e32 v12, 0x80000000, v12
	v_lshl_add_u32 v2, v2, 23, v28
	v_or3_b32 v2, v12, v2, v5
.LBB384_1565:                           ;   in Loop: Header=BB384_690 Depth=1
	s_or_b64 exec, exec, s[28:29]
.LBB384_1566:                           ;   in Loop: Header=BB384_690 Depth=1
	s_or_b64 exec, exec, s[26:27]
.LBB384_1567:                           ;   in Loop: Header=BB384_690 Depth=1
	s_or_b64 exec, exec, s[24:25]
	v_mul_f32_e32 v2, v7, v2
	v_and_b32_e32 v5, 0x7f800000, v2
	v_cmp_ne_u32_e64 s[4:5], s15, v5
                                        ; implicit-def: $vgpr5
	s_and_saveexec_b64 s[24:25], s[4:5]
	s_xor_b64 s[4:5], exec, s[24:25]
; %bb.1568:                             ;   in Loop: Header=BB384_690 Depth=1
	v_bfe_u32 v5, v2, 16, 1
	v_add3_u32 v5, v2, v5, s30
                                        ; implicit-def: $vgpr2
; %bb.1569:                             ;   in Loop: Header=BB384_690 Depth=1
	s_andn2_saveexec_b64 s[24:25], s[4:5]
; %bb.1570:                             ;   in Loop: Header=BB384_690 Depth=1
	v_or_b32_e32 v5, 0x10000, v2
	v_cmp_eq_u32_sdwa s[4:5], v2, v11 src0_sel:WORD_0 src1_sel:DWORD
	v_cndmask_b32_e64 v5, v5, v2, s[4:5]
; %bb.1571:                             ;   in Loop: Header=BB384_690 Depth=1
	s_or_b64 exec, exec, s[24:25]
	v_lshrrev_b16_e32 v2, 8, v10
	v_cmp_ne_u16_e64 s[4:5], 0, v2
	v_mov_b32_e32 v52, 0
	s_and_saveexec_b64 s[24:25], s[4:5]
	s_cbranch_execz .LBB384_1577
; %bb.1572:                             ;   in Loop: Header=BB384_690 Depth=1
	v_cmp_ne_u16_e64 s[4:5], s31, v2
	v_bfrev_b32_e32 v52, 1
	s_and_saveexec_b64 s[26:27], s[4:5]
	s_cbranch_execz .LBB384_1576
; %bb.1573:                             ;   in Loop: Header=BB384_690 Depth=1
	v_and_b32_e32 v53, 0x7f, v2
	v_cmp_ne_u32_e64 s[4:5], s34, v53
	v_mov_b32_e32 v52, 0x7f800001
	s_and_saveexec_b64 s[28:29], s[4:5]
	s_cbranch_execz .LBB384_1575
; %bb.1574:                             ;   in Loop: Header=BB384_690 Depth=1
	v_and_b32_e32 v23, 7, v2
	v_ffbh_u32_e32 v12, v23
	v_min_u32_e32 v52, 32, v12
	v_subrev_u32_e32 v12, 28, v52
	v_lshlrev_b64 v[12:13], v12, v[2:3]
	v_lshrrev_b32_e32 v28, 3, v53
	v_sub_u32_e32 v2, 29, v52
	v_and_b32_e32 v12, 7, v12
	v_cmp_gt_u32_e64 s[4:5], 8, v53
	v_cndmask_b32_e64 v2, v28, v2, s[4:5]
	v_bfrev_b32_e32 v28, 60
	v_cndmask_b32_e64 v12, v23, v12, s[4:5]
	v_lshlrev_b32_e32 v10, 16, v10
	v_lshlrev_b32_e32 v12, 20, v12
	v_and_b32_e32 v10, 0x80000000, v10
	v_lshl_add_u32 v2, v2, 23, v28
	v_accvgpr_read_b32 v23, a33
	v_or3_b32 v52, v10, v2, v12
.LBB384_1575:                           ;   in Loop: Header=BB384_690 Depth=1
	s_or_b64 exec, exec, s[28:29]
.LBB384_1576:                           ;   in Loop: Header=BB384_690 Depth=1
	s_or_b64 exec, exec, s[26:27]
.LBB384_1577:                           ;   in Loop: Header=BB384_690 Depth=1
	s_or_b64 exec, exec, s[24:25]
	v_mul_f32_e32 v2, v7, v52
	v_and_b32_e32 v10, 0x7f800000, v2
	v_cmp_ne_u32_e64 s[4:5], s15, v10
                                        ; implicit-def: $vgpr10
	s_and_saveexec_b64 s[24:25], s[4:5]
	s_xor_b64 s[4:5], exec, s[24:25]
; %bb.1578:                             ;   in Loop: Header=BB384_690 Depth=1
	v_bfe_u32 v10, v2, 16, 1
	v_add3_u32 v10, v2, v10, s30
                                        ; implicit-def: $vgpr2
; %bb.1579:                             ;   in Loop: Header=BB384_690 Depth=1
	s_andn2_saveexec_b64 s[24:25], s[4:5]
; %bb.1580:                             ;   in Loop: Header=BB384_690 Depth=1
	v_or_b32_e32 v10, 0x10000, v2
	v_cmp_eq_u32_sdwa s[4:5], v2, v11 src0_sel:WORD_0 src1_sel:DWORD
	v_cndmask_b32_e64 v10, v10, v2, s[4:5]
; %bb.1581:                             ;   in Loop: Header=BB384_690 Depth=1
	s_or_b64 exec, exec, s[24:25]
	v_lshrrev_b32_e32 v2, 16, v1
	v_cmp_ne_u16_sdwa s[4:5], v2, v11 src0_sel:BYTE_0 src1_sel:DWORD
	v_mov_b32_e32 v52, 0
	s_and_saveexec_b64 s[24:25], s[4:5]
	s_cbranch_execz .LBB384_1587
; %bb.1582:                             ;   in Loop: Header=BB384_690 Depth=1
	v_cmp_ne_u16_sdwa s[4:5], v2, s31 src0_sel:BYTE_0 src1_sel:DWORD
	v_bfrev_b32_e32 v52, 1
	s_and_saveexec_b64 s[26:27], s[4:5]
	s_cbranch_execz .LBB384_1586
; %bb.1583:                             ;   in Loop: Header=BB384_690 Depth=1
	v_bfe_u32 v53, v1, 16, 7
	v_cmp_ne_u32_e64 s[4:5], s34, v53
	v_mov_b32_e32 v52, 0x7f800001
	s_and_saveexec_b64 s[28:29], s[4:5]
	s_cbranch_execz .LBB384_1585
; %bb.1584:                             ;   in Loop: Header=BB384_690 Depth=1
	v_and_b32_e32 v23, 7, v2
	v_ffbh_u32_e32 v12, v23
	v_min_u32_e32 v52, 32, v12
	v_subrev_u32_e32 v12, 28, v52
	v_lshlrev_b64 v[12:13], v12, v[2:3]
	v_lshrrev_b32_e32 v28, 3, v53
	v_sub_u32_e32 v13, 29, v52
	v_and_b32_e32 v12, 7, v12
	v_cmp_gt_u32_e64 s[4:5], 8, v53
	v_cndmask_b32_e64 v13, v28, v13, s[4:5]
	v_bfrev_b32_e32 v28, 60
	v_cndmask_b32_e64 v12, v23, v12, s[4:5]
	v_lshlrev_b32_e32 v2, 24, v2
	v_lshlrev_b32_e32 v12, 20, v12
	v_and_b32_e32 v2, 0x80000000, v2
	v_lshl_add_u32 v13, v13, 23, v28
	v_accvgpr_read_b32 v23, a33
	v_or3_b32 v52, v2, v13, v12
.LBB384_1585:                           ;   in Loop: Header=BB384_690 Depth=1
	s_or_b64 exec, exec, s[28:29]
.LBB384_1586:                           ;   in Loop: Header=BB384_690 Depth=1
	s_or_b64 exec, exec, s[26:27]
.LBB384_1587:                           ;   in Loop: Header=BB384_690 Depth=1
	s_or_b64 exec, exec, s[24:25]
	v_mul_f32_e32 v52, v7, v52
	v_and_b32_e32 v2, 0x7f800000, v52
	v_cmp_ne_u32_e64 s[4:5], s15, v2
                                        ; implicit-def: $vgpr2
	s_and_saveexec_b64 s[24:25], s[4:5]
	s_xor_b64 s[4:5], exec, s[24:25]
; %bb.1588:                             ;   in Loop: Header=BB384_690 Depth=1
	v_bfe_u32 v2, v52, 16, 1
	v_add3_u32 v2, v52, v2, s30
                                        ; implicit-def: $vgpr52
; %bb.1589:                             ;   in Loop: Header=BB384_690 Depth=1
	s_andn2_saveexec_b64 s[24:25], s[4:5]
; %bb.1590:                             ;   in Loop: Header=BB384_690 Depth=1
	v_or_b32_e32 v2, 0x10000, v52
	v_cmp_eq_u32_sdwa s[4:5], v52, v11 src0_sel:WORD_0 src1_sel:DWORD
	v_cndmask_b32_e64 v2, v2, v52, s[4:5]
; %bb.1591:                             ;   in Loop: Header=BB384_690 Depth=1
	s_or_b64 exec, exec, s[24:25]
	v_cmp_lt_u64_e64 s[4:5], s[10:11], v[0:1]
	v_mov_b32_e32 v52, 0
	s_and_saveexec_b64 s[24:25], s[4:5]
	s_cbranch_execz .LBB384_1597
; %bb.1592:                             ;   in Loop: Header=BB384_690 Depth=1
	v_lshrrev_b32_e32 v0, 24, v1
	v_cmp_ne_u32_e64 s[4:5], s31, v0
	v_bfrev_b32_e32 v52, 1
	s_and_saveexec_b64 s[26:27], s[4:5]
	s_cbranch_execz .LBB384_1596
; %bb.1593:                             ;   in Loop: Header=BB384_690 Depth=1
	v_bfe_u32 v1, v1, 24, 7
	v_cmp_ne_u32_e64 s[4:5], s34, v1
	v_mov_b32_e32 v52, 0x7f800001
	s_and_saveexec_b64 s[28:29], s[4:5]
	s_cbranch_execz .LBB384_1595
; %bb.1594:                             ;   in Loop: Header=BB384_690 Depth=1
	v_and_b32_e32 v23, 7, v0
	v_ffbh_u32_e32 v12, v23
	v_min_u32_e32 v52, 32, v12
	v_subrev_u32_e32 v12, 28, v52
	v_lshlrev_b64 v[12:13], v12, v[0:1]
	v_lshrrev_b32_e32 v28, 3, v1
	v_sub_u32_e32 v13, 29, v52
	v_and_b32_e32 v12, 7, v12
	v_cmp_gt_u32_e64 s[4:5], 8, v1
	v_cndmask_b32_e64 v1, v28, v13, s[4:5]
	v_bfrev_b32_e32 v28, 60
	v_cndmask_b32_e64 v12, v23, v12, s[4:5]
	v_lshlrev_b32_e32 v0, 24, v0
	v_lshlrev_b32_e32 v12, 20, v12
	v_and_b32_e32 v0, 0x80000000, v0
	v_lshl_add_u32 v1, v1, 23, v28
	v_accvgpr_read_b32 v23, a33
	v_or3_b32 v52, v0, v1, v12
.LBB384_1595:                           ;   in Loop: Header=BB384_690 Depth=1
	s_or_b64 exec, exec, s[28:29]
.LBB384_1596:                           ;   in Loop: Header=BB384_690 Depth=1
	s_or_b64 exec, exec, s[26:27]
.LBB384_1597:                           ;   in Loop: Header=BB384_690 Depth=1
	s_or_b64 exec, exec, s[24:25]
	v_mul_f32_e32 v0, v7, v52
	v_and_b32_e32 v1, 0x7f800000, v0
	v_cmp_ne_u32_e64 s[4:5], s15, v1
                                        ; implicit-def: $vgpr53
	s_and_saveexec_b64 s[24:25], s[4:5]
	s_xor_b64 s[4:5], exec, s[24:25]
; %bb.1598:                             ;   in Loop: Header=BB384_690 Depth=1
	v_bfe_u32 v1, v0, 16, 1
	v_add3_u32 v53, v0, v1, s30
                                        ; implicit-def: $vgpr0
; %bb.1599:                             ;   in Loop: Header=BB384_690 Depth=1
	s_andn2_saveexec_b64 s[24:25], s[4:5]
; %bb.1600:                             ;   in Loop: Header=BB384_690 Depth=1
	v_or_b32_e32 v1, 0x10000, v0
	v_cmp_eq_u32_sdwa s[4:5], v0, v11 src0_sel:WORD_0 src1_sel:DWORD
	v_cndmask_b32_e64 v53, v1, v0, s[4:5]
; %bb.1601:                             ;   in Loop: Header=BB384_690 Depth=1
	s_or_b64 exec, exec, s[24:25]
	v_lshrrev_b32_e32 v52, 16, v10
	v_lshrrev_b32_e32 v5, 16, v5
	;; [unrolled: 1-line block ×8, first 2 shown]
	s_and_saveexec_b64 s[4:5], vcc
	s_cbranch_execz .LBB384_1603
; %bb.1602:                             ;   in Loop: Header=BB384_690 Depth=1
	buffer_load_dword v2, off, s[0:3], s32 offset:196 ; 4-byte Folded Reload
	v_accvgpr_read_b32 v12, a39
	s_waitcnt vmcnt(0)
	v_cmp_lt_i32_e32 vcc, v54, v2
	v_cndmask_b32_e32 v0, 0, v0, vcc
	v_cmp_lt_i32_e32 vcc, v12, v2
	v_accvgpr_read_b32 v12, a38
	v_cndmask_b32_e32 v1, 0, v1, vcc
	v_cmp_lt_i32_e32 vcc, v12, v2
	v_accvgpr_read_b32 v12, a37
	;; [unrolled: 3-line block ×5, first 2 shown]
	v_cndmask_b32_e32 v52, 0, v52, vcc
	v_cmp_lt_i32_e32 vcc, v12, v2
	v_cndmask_b32_e32 v29, 0, v29, vcc
	v_cmp_lt_i32_e32 vcc, v23, v2
	v_cndmask_b32_e32 v10, 0, v10, vcc
.LBB384_1603:                           ;   in Loop: Header=BB384_690 Depth=1
	s_or_b64 exec, exec, s[4:5]
	v_lshlrev_b32_e32 v0, 16, v0
	v_mul_f32_e32 v2, v57, v0
	v_and_b32_e32 v0, 0x7f800000, v2
	v_cmp_ne_u32_e32 vcc, s15, v0
                                        ; implicit-def: $vgpr0
	s_and_saveexec_b64 s[4:5], vcc
	s_xor_b64 s[4:5], exec, s[4:5]
; %bb.1604:                             ;   in Loop: Header=BB384_690 Depth=1
	v_bfe_u32 v0, v2, 16, 1
	v_add3_u32 v0, v2, v0, s30
                                        ; implicit-def: $vgpr2
; %bb.1605:                             ;   in Loop: Header=BB384_690 Depth=1
	s_andn2_saveexec_b64 s[4:5], s[4:5]
; %bb.1606:                             ;   in Loop: Header=BB384_690 Depth=1
	v_or_b32_e32 v0, 0x10000, v2
	v_cmp_eq_u32_sdwa vcc, v2, v11 src0_sel:WORD_0 src1_sel:DWORD
	v_cndmask_b32_e32 v0, v0, v2, vcc
; %bb.1607:                             ;   in Loop: Header=BB384_690 Depth=1
	s_or_b64 exec, exec, s[4:5]
	v_lshlrev_b32_e32 v1, 16, v1
	v_mul_f32_e32 v2, v58, v1
	v_and_b32_e32 v1, 0x7f800000, v2
	v_cmp_ne_u32_e32 vcc, s15, v1
                                        ; implicit-def: $vgpr1
	s_and_saveexec_b64 s[4:5], vcc
	s_xor_b64 s[4:5], exec, s[4:5]
; %bb.1608:                             ;   in Loop: Header=BB384_690 Depth=1
	v_bfe_u32 v1, v2, 16, 1
	v_add3_u32 v1, v2, v1, s30
                                        ; implicit-def: $vgpr2
; %bb.1609:                             ;   in Loop: Header=BB384_690 Depth=1
	s_andn2_saveexec_b64 s[4:5], s[4:5]
; %bb.1610:                             ;   in Loop: Header=BB384_690 Depth=1
	v_or_b32_e32 v1, 0x10000, v2
	v_cmp_eq_u32_sdwa vcc, v2, v11 src0_sel:WORD_0 src1_sel:DWORD
	v_cndmask_b32_e32 v1, v1, v2, vcc
; %bb.1611:                             ;   in Loop: Header=BB384_690 Depth=1
	s_or_b64 exec, exec, s[4:5]
	v_lshlrev_b32_e32 v2, 16, v50
	v_mul_f32_e32 v49, v60, v2
	v_and_b32_e32 v2, 0x7f800000, v49
	v_cmp_ne_u32_e32 vcc, s15, v2
                                        ; implicit-def: $vgpr2
	s_and_saveexec_b64 s[4:5], vcc
	s_xor_b64 s[4:5], exec, s[4:5]
; %bb.1612:                             ;   in Loop: Header=BB384_690 Depth=1
	v_bfe_u32 v2, v49, 16, 1
	v_add3_u32 v2, v49, v2, s30
                                        ; implicit-def: $vgpr49
; %bb.1613:                             ;   in Loop: Header=BB384_690 Depth=1
	s_andn2_saveexec_b64 s[4:5], s[4:5]
; %bb.1614:                             ;   in Loop: Header=BB384_690 Depth=1
	v_or_b32_e32 v2, 0x10000, v49
	v_cmp_eq_u32_sdwa vcc, v49, v11 src0_sel:WORD_0 src1_sel:DWORD
	v_cndmask_b32_e32 v2, v2, v49, vcc
; %bb.1615:                             ;   in Loop: Header=BB384_690 Depth=1
	s_or_b64 exec, exec, s[4:5]
	v_lshlrev_b32_e32 v7, 16, v7
	v_mul_f32_e32 v37, v37, v7
	v_and_b32_e32 v7, 0x7f800000, v37
	v_cmp_ne_u32_e32 vcc, s15, v7
                                        ; implicit-def: $vgpr7
	s_and_saveexec_b64 s[4:5], vcc
	s_xor_b64 s[4:5], exec, s[4:5]
; %bb.1616:                             ;   in Loop: Header=BB384_690 Depth=1
	v_bfe_u32 v7, v37, 16, 1
	v_add3_u32 v7, v37, v7, s30
                                        ; implicit-def: $vgpr37
; %bb.1617:                             ;   in Loop: Header=BB384_690 Depth=1
	s_andn2_saveexec_b64 s[4:5], s[4:5]
; %bb.1618:                             ;   in Loop: Header=BB384_690 Depth=1
	v_or_b32_e32 v7, 0x10000, v37
	v_cmp_eq_u32_sdwa vcc, v37, v11 src0_sel:WORD_0 src1_sel:DWORD
	v_cndmask_b32_e32 v7, v7, v37, vcc
; %bb.1619:                             ;   in Loop: Header=BB384_690 Depth=1
	s_or_b64 exec, exec, s[4:5]
	v_lshlrev_b32_e32 v5, 16, v5
	v_mul_f32_e32 v37, v41, v5
	v_and_b32_e32 v5, 0x7f800000, v37
	v_cmp_ne_u32_e32 vcc, s15, v5
                                        ; implicit-def: $vgpr5
	s_and_saveexec_b64 s[4:5], vcc
	s_xor_b64 s[4:5], exec, s[4:5]
; %bb.1620:                             ;   in Loop: Header=BB384_690 Depth=1
	v_bfe_u32 v5, v37, 16, 1
	v_add3_u32 v5, v37, v5, s30
                                        ; implicit-def: $vgpr37
; %bb.1621:                             ;   in Loop: Header=BB384_690 Depth=1
	s_andn2_saveexec_b64 s[4:5], s[4:5]
; %bb.1622:                             ;   in Loop: Header=BB384_690 Depth=1
	v_or_b32_e32 v5, 0x10000, v37
	v_cmp_eq_u32_sdwa vcc, v37, v11 src0_sel:WORD_0 src1_sel:DWORD
	v_cndmask_b32_e32 v5, v5, v37, vcc
; %bb.1623:                             ;   in Loop: Header=BB384_690 Depth=1
	s_or_b64 exec, exec, s[4:5]
	v_lshlrev_b32_e32 v12, 16, v52
	v_mul_f32_e32 v37, v34, v12
	v_and_b32_e32 v12, 0x7f800000, v37
	v_cmp_ne_u32_e32 vcc, s15, v12
                                        ; implicit-def: $vgpr34
	s_and_saveexec_b64 s[4:5], vcc
	s_xor_b64 s[4:5], exec, s[4:5]
; %bb.1624:                             ;   in Loop: Header=BB384_690 Depth=1
	v_bfe_u32 v12, v37, 16, 1
	v_add3_u32 v34, v37, v12, s30
                                        ; implicit-def: $vgpr37
; %bb.1625:                             ;   in Loop: Header=BB384_690 Depth=1
	s_andn2_saveexec_b64 s[4:5], s[4:5]
; %bb.1626:                             ;   in Loop: Header=BB384_690 Depth=1
	v_or_b32_e32 v12, 0x10000, v37
	v_cmp_eq_u32_sdwa vcc, v37, v11 src0_sel:WORD_0 src1_sel:DWORD
	v_cndmask_b32_e32 v34, v12, v37, vcc
; %bb.1627:                             ;   in Loop: Header=BB384_690 Depth=1
	s_or_b64 exec, exec, s[4:5]
	v_lshlrev_b32_e32 v12, 16, v29
	v_mul_f32_e32 v31, v31, v12
	v_and_b32_e32 v12, 0x7f800000, v31
	v_cmp_ne_u32_e32 vcc, s15, v12
                                        ; implicit-def: $vgpr29
	s_and_saveexec_b64 s[4:5], vcc
	s_xor_b64 s[4:5], exec, s[4:5]
; %bb.1628:                             ;   in Loop: Header=BB384_690 Depth=1
	v_bfe_u32 v12, v31, 16, 1
	v_add3_u32 v29, v31, v12, s30
                                        ; implicit-def: $vgpr31
; %bb.1629:                             ;   in Loop: Header=BB384_690 Depth=1
	s_andn2_saveexec_b64 s[4:5], s[4:5]
; %bb.1630:                             ;   in Loop: Header=BB384_690 Depth=1
	v_or_b32_e32 v12, 0x10000, v31
	v_cmp_eq_u32_sdwa vcc, v31, v11 src0_sel:WORD_0 src1_sel:DWORD
	v_cndmask_b32_e32 v29, v12, v31, vcc
; %bb.1631:                             ;   in Loop: Header=BB384_690 Depth=1
	s_or_b64 exec, exec, s[4:5]
	v_lshlrev_b32_e32 v10, 16, v10
	v_mul_f32_e32 v31, v38, v10
	v_and_b32_e32 v10, 0x7f800000, v31
	v_cmp_ne_u32_e32 vcc, s15, v10
                                        ; implicit-def: $vgpr10
	s_and_saveexec_b64 s[4:5], vcc
	s_xor_b64 s[4:5], exec, s[4:5]
; %bb.1632:                             ;   in Loop: Header=BB384_690 Depth=1
	v_bfe_u32 v10, v31, 16, 1
	v_add3_u32 v10, v31, v10, s30
                                        ; implicit-def: $vgpr31
; %bb.1633:                             ;   in Loop: Header=BB384_690 Depth=1
	s_andn2_saveexec_b64 s[4:5], s[4:5]
	s_cbranch_execz .LBB384_688
; %bb.1634:                             ;   in Loop: Header=BB384_690 Depth=1
	v_or_b32_e32 v10, 0x10000, v31
	v_cmp_eq_u32_sdwa vcc, v31, v11 src0_sel:WORD_0 src1_sel:DWORD
	v_cndmask_b32_e32 v10, v10, v31, vcc
	s_branch .LBB384_688
.LBB384_1635:
	s_or_b64 exec, exec, s[12:13]
	v_accvgpr_read_b32 v12, a20
	v_accvgpr_read_b32 v20, a16
	;; [unrolled: 1-line block ×5, first 2 shown]
.LBB384_1636:
	s_or_b64 exec, exec, s[8:9]
	ds_bpermute_b32 v0, v20, v24
	ds_bpermute_b32 v1, v20, v25
	;; [unrolled: 1-line block ×4, first 2 shown]
	s_waitcnt lgkmcnt(0)
	s_barrier
	v_pk_add_f32 v[0:1], v[24:25], v[0:1]
	ds_bpermute_b32 v4, v21, v0
	ds_bpermute_b32 v5, v21, v1
	v_pk_add_f32 v[12:13], v[12:13], v[8:9]
	s_waitcnt lgkmcnt(0)
	ds_bpermute_b32 v2, v20, v18
	ds_bpermute_b32 v3, v20, v19
	v_pk_add_f32 v[8:9], v[0:1], v[4:5]
	buffer_load_dword v4, off, s[0:3], s32 offset:272 ; 4-byte Folded Reload
	ds_bpermute_b32 v6, v20, v16
	ds_bpermute_b32 v7, v20, v17
	s_waitcnt lgkmcnt(2)
	v_pk_add_f32 v[2:3], v[18:19], v[2:3]
	ds_bpermute_b32 v10, v21, v2
	ds_bpermute_b32 v11, v21, v3
	s_waitcnt lgkmcnt(2)
	v_pk_add_f32 v[6:7], v[16:17], v[6:7]
	ds_bpermute_b32 v14, v21, v6
	ds_bpermute_b32 v15, v21, v7
	;; [unrolled: 1-line block ×4, first 2 shown]
	s_waitcnt lgkmcnt(4)
	v_pk_add_f32 v[2:3], v[2:3], v[10:11]
	s_waitcnt lgkmcnt(2)
	v_pk_add_f32 v[0:1], v[6:7], v[14:15]
	s_waitcnt lgkmcnt(0)
	v_pk_add_f32 v[6:7], v[12:13], v[16:17]
	s_waitcnt vmcnt(0)
	v_and_b32_e32 v4, 0x3c3, v4
	v_cmp_eq_u32_e32 vcc, 64, v4
	s_and_saveexec_b64 s[4:5], vcc
	s_cbranch_execz .LBB384_1638
; %bb.1637:
	s_load_dword s8, s[6:7], 0x0
	s_waitcnt lgkmcnt(0)
	v_add_u32_e32 v4, s8, v45
	ds_write2_b32 v4, v8, v9 offset1:16
	ds_write2_b32 v4, v2, v3 offset0:32 offset1:48
	ds_write2_b32 v4, v0, v1 offset0:64 offset1:80
	;; [unrolled: 1-line block ×3, first 2 shown]
.LBB384_1638:
	s_or_b64 exec, exec, s[4:5]
	s_waitcnt lgkmcnt(0)
	s_barrier
	buffer_load_dword v4, off, s[0:3], s32 offset:272 ; 4-byte Folded Reload
	s_waitcnt vmcnt(0)
	v_cmp_gt_u32_e32 vcc, 64, v4
	s_mov_b64 s[8:9], exec
	buffer_load_dword v10, off, s[0:3], s32 offset:336 ; 4-byte Folded Reload
	s_and_b64 s[4:5], s[8:9], vcc
	s_mov_b64 exec, s[4:5]
	s_cbranch_execz .LBB384_1649
; %bb.1639:
	buffer_load_dword v4, off, s[0:3], s32 offset:272 ; 4-byte Folded Reload
	v_cmp_eq_u32_e64 s[4:5], 0, v22
	s_waitcnt vmcnt(0)
	v_lshrrev_b32_e32 v4, 2, v4
	s_and_saveexec_b64 s[10:11], s[4:5]
	s_cbranch_execnz .LBB384_1685
; %bb.1640:
	s_or_b64 exec, exec, s[10:11]
	s_and_saveexec_b64 s[10:11], s[4:5]
	s_cbranch_execnz .LBB384_1686
.LBB384_1641:
	s_or_b64 exec, exec, s[10:11]
	s_and_saveexec_b64 s[10:11], s[4:5]
	s_cbranch_execnz .LBB384_1687
.LBB384_1642:
	s_or_b64 exec, exec, s[10:11]
	s_and_saveexec_b64 s[10:11], s[4:5]
	s_cbranch_execnz .LBB384_1688
.LBB384_1643:
	s_or_b64 exec, exec, s[10:11]
	s_and_saveexec_b64 s[10:11], s[4:5]
	s_cbranch_execnz .LBB384_1689
.LBB384_1644:
	s_or_b64 exec, exec, s[10:11]
	s_and_saveexec_b64 s[10:11], s[4:5]
	s_cbranch_execnz .LBB384_1690
.LBB384_1645:
	s_or_b64 exec, exec, s[10:11]
	s_and_saveexec_b64 s[10:11], s[4:5]
	s_cbranch_execnz .LBB384_1691
.LBB384_1646:
	s_or_b64 exec, exec, s[10:11]
	s_and_saveexec_b64 s[10:11], s[4:5]
	s_cbranch_execz .LBB384_1648
.LBB384_1647:
	s_load_dword s4, s[6:7], 0x0
	s_waitcnt lgkmcnt(0)
	v_lshl_add_u32 v4, v4, 2, s4
	ds_read_b32 v4, v4 offset:448
	s_waitcnt lgkmcnt(0)
	v_add_f32_e32 v7, v7, v4
.LBB384_1648:
	s_or_b64 exec, exec, s[10:11]
.LBB384_1649:
	s_or_b64 exec, exec, s[8:9]
	s_barrier
	s_and_b64 exec, exec, vcc
	s_cbranch_execz .LBB384_1684
; %bb.1650:
	v_cmp_eq_u32_e32 vcc, 0, v22
	s_and_b64 exec, exec, vcc
	s_cbranch_execz .LBB384_1684
; %bb.1651:
	s_mov_b32 s4, 0x7f800000
	v_and_b32_e32 v4, 0x7f800000, v8
	v_cmp_ne_u32_e32 vcc, s4, v4
                                        ; implicit-def: $vgpr4
	s_and_saveexec_b64 s[4:5], vcc
	s_xor_b64 s[4:5], exec, s[4:5]
; %bb.1652:
	v_bfe_u32 v4, v8, 16, 1
	s_movk_i32 s6, 0x7fff
	v_add3_u32 v4, v8, v4, s6
; %bb.1653:
	s_andn2_saveexec_b64 s[4:5], s[4:5]
; %bb.1654:
	v_mov_b32_e32 v4, 0
	v_or_b32_e32 v5, 0x10000, v8
	v_cmp_eq_u32_sdwa vcc, v8, v4 src0_sel:WORD_0 src1_sel:DWORD
	v_cndmask_b32_e32 v4, v5, v8, vcc
; %bb.1655:
	s_or_b64 exec, exec, s[4:5]
	buffer_load_dword v8, off, s[0:3], s32 offset:332 ; 4-byte Folded Reload
	s_mul_i32 s4, s21, s18
	s_mul_i32 s4, s4, s19
	s_lshl_b32 s4, s4, 7
	s_mul_i32 s6, s20, s21
	s_lshl_b32 s8, s14, 7
	s_ashr_i32 s5, s4, 31
	s_ashr_i32 s7, s6, 31
	;; [unrolled: 1-line block ×3, first 2 shown]
	s_lshl_b64 s[4:5], s[4:5], 1
	s_lshl_b64 s[6:7], s[6:7], 1
	;; [unrolled: 1-line block ×3, first 2 shown]
	s_add_u32 s6, s8, s6
	s_addc_u32 s7, s9, s7
	s_add_u32 s4, s6, s4
	s_addc_u32 s5, s7, s5
	v_mov_b32_e32 v5, s5
	s_waitcnt vmcnt(0)
	v_add_co_u32_e32 v8, vcc, s4, v8
	v_addc_co_u32_e32 v5, vcc, v5, v10, vcc
	buffer_load_dword v10, off, s[0:3], s32 offset:272 ; 4-byte Folded Reload
	s_mov_b32 s4, 0x7f800000
	s_waitcnt vmcnt(0)
	v_lshrrev_b32_e32 v10, 1, v10
	v_and_b32_e32 v10, 0x1fe, v10
	v_add_co_u32_e32 v10, vcc, v8, v10
	v_addc_co_u32_e32 v11, vcc, 0, v5, vcc
	flat_store_short_d16_hi v[10:11], v4
	v_and_b32_e32 v4, 0x7f800000, v9
	v_cmp_ne_u32_e32 vcc, s4, v4
                                        ; implicit-def: $vgpr4
	s_and_saveexec_b64 s[4:5], vcc
	s_xor_b64 s[4:5], exec, s[4:5]
; %bb.1656:
	v_bfe_u32 v4, v9, 16, 1
	s_movk_i32 s6, 0x7fff
	v_add3_u32 v4, v9, v4, s6
; %bb.1657:
	s_andn2_saveexec_b64 s[4:5], s[4:5]
; %bb.1658:
	v_mov_b32_e32 v4, 0
	v_or_b32_e32 v5, 0x10000, v9
	v_cmp_eq_u32_sdwa vcc, v9, v4 src0_sel:WORD_0 src1_sel:DWORD
	v_cndmask_b32_e32 v4, v5, v9, vcc
; %bb.1659:
	s_or_b64 exec, exec, s[4:5]
	flat_store_short_d16_hi v[10:11], v4 offset:32
	s_mov_b32 s4, 0x7f800000
	v_and_b32_e32 v4, 0x7f800000, v2
	v_cmp_ne_u32_e32 vcc, s4, v4
                                        ; implicit-def: $vgpr4
	s_and_saveexec_b64 s[4:5], vcc
	s_xor_b64 s[4:5], exec, s[4:5]
; %bb.1660:
	v_bfe_u32 v4, v2, 16, 1
	s_movk_i32 s6, 0x7fff
	v_add3_u32 v4, v2, v4, s6
; %bb.1661:
	s_andn2_saveexec_b64 s[4:5], s[4:5]
; %bb.1662:
	v_mov_b32_e32 v4, 0
	v_or_b32_e32 v5, 0x10000, v2
	v_cmp_eq_u32_sdwa vcc, v2, v4 src0_sel:WORD_0 src1_sel:DWORD
	v_cndmask_b32_e32 v4, v5, v2, vcc
; %bb.1663:
	s_or_b64 exec, exec, s[4:5]
	s_mov_b32 s4, 0x7f800000
	v_and_b32_e32 v2, 0x7f800000, v3
	v_cmp_ne_u32_e32 vcc, s4, v2
	flat_store_short_d16_hi v[10:11], v4 offset:64
                                        ; implicit-def: $vgpr2
	s_and_saveexec_b64 s[4:5], vcc
	s_xor_b64 s[4:5], exec, s[4:5]
; %bb.1664:
	v_bfe_u32 v2, v3, 16, 1
	s_movk_i32 s6, 0x7fff
	v_add3_u32 v2, v3, v2, s6
; %bb.1665:
	s_andn2_saveexec_b64 s[4:5], s[4:5]
; %bb.1666:
	v_mov_b32_e32 v2, 0
	v_or_b32_e32 v4, 0x10000, v3
	v_cmp_eq_u32_sdwa vcc, v3, v2 src0_sel:WORD_0 src1_sel:DWORD
	v_cndmask_b32_e32 v2, v4, v3, vcc
; %bb.1667:
	s_or_b64 exec, exec, s[4:5]
	flat_store_short_d16_hi v[10:11], v2 offset:96
	s_mov_b32 s4, 0x7f800000
	v_and_b32_e32 v2, 0x7f800000, v0
	v_cmp_ne_u32_e32 vcc, s4, v2
                                        ; implicit-def: $vgpr2
	s_and_saveexec_b64 s[4:5], vcc
	s_xor_b64 s[4:5], exec, s[4:5]
; %bb.1668:
	v_bfe_u32 v2, v0, 16, 1
	s_movk_i32 s6, 0x7fff
	v_add3_u32 v2, v0, v2, s6
; %bb.1669:
	s_andn2_saveexec_b64 s[4:5], s[4:5]
; %bb.1670:
	v_mov_b32_e32 v2, 0
	v_or_b32_e32 v3, 0x10000, v0
	v_cmp_eq_u32_sdwa vcc, v0, v2 src0_sel:WORD_0 src1_sel:DWORD
	v_cndmask_b32_e32 v2, v3, v0, vcc
; %bb.1671:
	s_or_b64 exec, exec, s[4:5]
	s_mov_b32 s4, 0x7f800000
	v_and_b32_e32 v0, 0x7f800000, v1
	v_cmp_ne_u32_e32 vcc, s4, v0
	flat_store_short_d16_hi v[10:11], v2 offset:128
                                        ; implicit-def: $vgpr0
	s_and_saveexec_b64 s[4:5], vcc
	s_xor_b64 s[4:5], exec, s[4:5]
; %bb.1672:
	v_bfe_u32 v0, v1, 16, 1
	s_movk_i32 s6, 0x7fff
	v_add3_u32 v0, v1, v0, s6
; %bb.1673:
	s_andn2_saveexec_b64 s[4:5], s[4:5]
; %bb.1674:
	v_mov_b32_e32 v0, 0
	v_or_b32_e32 v2, 0x10000, v1
	v_cmp_eq_u32_sdwa vcc, v1, v0 src0_sel:WORD_0 src1_sel:DWORD
	v_cndmask_b32_e32 v0, v2, v1, vcc
; %bb.1675:
	s_or_b64 exec, exec, s[4:5]
	flat_store_short_d16_hi v[10:11], v0 offset:160
	s_mov_b32 s4, 0x7f800000
	v_and_b32_e32 v0, 0x7f800000, v6
	v_cmp_ne_u32_e32 vcc, s4, v0
                                        ; implicit-def: $vgpr0
	s_and_saveexec_b64 s[4:5], vcc
	s_xor_b64 s[4:5], exec, s[4:5]
; %bb.1676:
	v_bfe_u32 v0, v6, 16, 1
	s_movk_i32 s6, 0x7fff
	v_add3_u32 v0, v6, v0, s6
; %bb.1677:
	s_andn2_saveexec_b64 s[4:5], s[4:5]
; %bb.1678:
	v_mov_b32_e32 v0, 0
	v_or_b32_e32 v1, 0x10000, v6
	v_cmp_eq_u32_sdwa vcc, v6, v0 src0_sel:WORD_0 src1_sel:DWORD
	v_cndmask_b32_e32 v0, v1, v6, vcc
; %bb.1679:
	s_or_b64 exec, exec, s[4:5]
	flat_store_short_d16_hi v[10:11], v0 offset:192
	s_mov_b32 s4, 0x7f800000
	v_and_b32_e32 v0, 0x7f800000, v7
	v_cmp_ne_u32_e32 vcc, s4, v0
                                        ; implicit-def: $vgpr8
	s_and_saveexec_b64 s[4:5], vcc
	s_xor_b64 s[4:5], exec, s[4:5]
; %bb.1680:
	v_bfe_u32 v0, v7, 16, 1
	s_movk_i32 s6, 0x7fff
	v_add3_u32 v8, v7, v0, s6
                                        ; implicit-def: $vgpr0_vgpr1_vgpr2_vgpr3_vgpr4_vgpr5_vgpr6_vgpr7
; %bb.1681:
	s_andn2_saveexec_b64 s[4:5], s[4:5]
; %bb.1682:
	v_mov_b32_e32 v0, 0
	v_or_b32_e32 v1, 0x10000, v7
	v_cmp_eq_u32_sdwa vcc, v7, v0 src0_sel:WORD_0 src1_sel:DWORD
	v_cndmask_b32_e32 v8, v1, v7, vcc
; %bb.1683:
	s_or_b64 exec, exec, s[4:5]
	flat_store_short_d16_hi v[10:11], v8 offset:224
.LBB384_1684:
	s_or_b64 exec, exec, s[16:17]
	buffer_load_dword a63, off, s[0:3], s32 offset:8 ; 4-byte Folded Reload
	buffer_load_dword a62, off, s[0:3], s32 offset:12 ; 4-byte Folded Reload
	;; [unrolled: 1-line block ×47, first 2 shown]
	v_readlane_b32 s30, v63, 10
	v_readlane_b32 s31, v63, 11
	;; [unrolled: 1-line block ×12, first 2 shown]
	s_or_saveexec_b64 s[4:5], -1
	buffer_load_dword v63, off, s[0:3], s32 offset:412 ; 4-byte Folded Reload
	s_mov_b64 exec, s[4:5]
	s_waitcnt vmcnt(0) lgkmcnt(0)
	s_setpc_b64 s[30:31]
.LBB384_1685:
	s_load_dword s12, s[6:7], 0x0
	s_waitcnt lgkmcnt(0)
	v_lshl_add_u32 v5, v4, 2, s12
	ds_read_b32 v5, v5
	s_waitcnt lgkmcnt(0)
	v_add_f32_e32 v8, v8, v5
	s_or_b64 exec, exec, s[10:11]
	s_and_saveexec_b64 s[10:11], s[4:5]
	s_cbranch_execz .LBB384_1641
.LBB384_1686:
	s_load_dword s12, s[6:7], 0x0
	s_waitcnt lgkmcnt(0)
	v_lshl_add_u32 v5, v4, 2, s12
	ds_read_b32 v5, v5 offset:64
	s_waitcnt lgkmcnt(0)
	v_add_f32_e32 v9, v9, v5
	s_or_b64 exec, exec, s[10:11]
	s_and_saveexec_b64 s[10:11], s[4:5]
	s_cbranch_execz .LBB384_1642
.LBB384_1687:
	s_load_dword s12, s[6:7], 0x0
	s_waitcnt lgkmcnt(0)
	v_lshl_add_u32 v5, v4, 2, s12
	ds_read_b32 v5, v5 offset:128
	s_waitcnt lgkmcnt(0)
	v_add_f32_e32 v2, v2, v5
	s_or_b64 exec, exec, s[10:11]
	s_and_saveexec_b64 s[10:11], s[4:5]
	s_cbranch_execz .LBB384_1643
.LBB384_1688:
	s_load_dword s12, s[6:7], 0x0
	s_waitcnt lgkmcnt(0)
	v_lshl_add_u32 v5, v4, 2, s12
	ds_read_b32 v5, v5 offset:192
	s_waitcnt lgkmcnt(0)
	v_add_f32_e32 v3, v3, v5
	s_or_b64 exec, exec, s[10:11]
	s_and_saveexec_b64 s[10:11], s[4:5]
	s_cbranch_execz .LBB384_1644
.LBB384_1689:
	s_load_dword s12, s[6:7], 0x0
	s_waitcnt lgkmcnt(0)
	v_lshl_add_u32 v5, v4, 2, s12
	ds_read_b32 v5, v5 offset:256
	s_waitcnt lgkmcnt(0)
	v_add_f32_e32 v0, v0, v5
	s_or_b64 exec, exec, s[10:11]
	s_and_saveexec_b64 s[10:11], s[4:5]
	s_cbranch_execz .LBB384_1645
.LBB384_1690:
	s_load_dword s12, s[6:7], 0x0
	s_waitcnt lgkmcnt(0)
	v_lshl_add_u32 v5, v4, 2, s12
	ds_read_b32 v5, v5 offset:320
	s_waitcnt lgkmcnt(0)
	v_add_f32_e32 v1, v1, v5
	s_or_b64 exec, exec, s[10:11]
	s_and_saveexec_b64 s[10:11], s[4:5]
	s_cbranch_execz .LBB384_1646
.LBB384_1691:
	s_load_dword s12, s[6:7], 0x0
	s_waitcnt lgkmcnt(0)
	v_lshl_add_u32 v5, v4, 2, s12
	ds_read_b32 v5, v5 offset:384
	s_waitcnt lgkmcnt(0)
	v_add_f32_e32 v6, v6, v5
	s_or_b64 exec, exec, s[10:11]
	s_and_saveexec_b64 s[10:11], s[4:5]
	s_cbranch_execnz .LBB384_1647
	s_branch .LBB384_1648
.Lfunc_end384:
	.size	_ZN4vllm22paged_attention_kernelI14__hip_bfloat16hLi128ELi32ELi128ELNS_18Fp8KVCacheDataTypeE1ELb1ELi512EEEvPfS3_PT_PKS4_PKT0_SA_ifPKiSC_iPKfiiiSE_SE_iiiii, .Lfunc_end384-_ZN4vllm22paged_attention_kernelI14__hip_bfloat16hLi128ELi32ELi128ELNS_18Fp8KVCacheDataTypeE1ELb1ELi512EEEvPfS3_PT_PKS4_PKT0_SA_ifPKiSC_iPKfiiiSE_SE_iiiii
                                        ; -- End function
	.section	.AMDGPU.csdata,"",@progbits
; Function info:
; codeLenInByte = 53336
; NumSgprs: 48
; NumVgprs: 64
; NumAgprs: 64
; TotalNumVgprs: 128
; ScratchSize: 420
; MemoryBound: 0
	.section	.text._ZN4vllm25paged_attention_v2_kernelI14__hip_bfloat16hLi128ELi32ELi128ELNS_18Fp8KVCacheDataTypeE1ELb1ELi512EEEvPfS3_PT_PKS4_PKT0_SA_ifPKiSC_iPKfiiiSE_SE_iiiii,"axG",@progbits,_ZN4vllm25paged_attention_v2_kernelI14__hip_bfloat16hLi128ELi32ELi128ELNS_18Fp8KVCacheDataTypeE1ELb1ELi512EEEvPfS3_PT_PKS4_PKT0_SA_ifPKiSC_iPKfiiiSE_SE_iiiii,comdat
	.protected	_ZN4vllm25paged_attention_v2_kernelI14__hip_bfloat16hLi128ELi32ELi128ELNS_18Fp8KVCacheDataTypeE1ELb1ELi512EEEvPfS3_PT_PKS4_PKT0_SA_ifPKiSC_iPKfiiiSE_SE_iiiii ; -- Begin function _ZN4vllm25paged_attention_v2_kernelI14__hip_bfloat16hLi128ELi32ELi128ELNS_18Fp8KVCacheDataTypeE1ELb1ELi512EEEvPfS3_PT_PKS4_PKT0_SA_ifPKiSC_iPKfiiiSE_SE_iiiii
	.globl	_ZN4vllm25paged_attention_v2_kernelI14__hip_bfloat16hLi128ELi32ELi128ELNS_18Fp8KVCacheDataTypeE1ELb1ELi512EEEvPfS3_PT_PKS4_PKT0_SA_ifPKiSC_iPKfiiiSE_SE_iiiii
	.p2align	8
	.type	_ZN4vllm25paged_attention_v2_kernelI14__hip_bfloat16hLi128ELi32ELi128ELNS_18Fp8KVCacheDataTypeE1ELb1ELi512EEEvPfS3_PT_PKS4_PKT0_SA_ifPKiSC_iPKfiiiSE_SE_iiiii,@function
_ZN4vllm25paged_attention_v2_kernelI14__hip_bfloat16hLi128ELi32ELi128ELNS_18Fp8KVCacheDataTypeE1ELb1ELi512EEEvPfS3_PT_PKS4_PKT0_SA_ifPKiSC_iPKfiiiSE_SE_iiiii: ; @_ZN4vllm25paged_attention_v2_kernelI14__hip_bfloat16hLi128ELi32ELi128ELNS_18Fp8KVCacheDataTypeE1ELb1ELi512EEEvPfS3_PT_PKS4_PKT0_SA_ifPKiSC_iPKfiiiSE_SE_iiiii
; %bb.0:
	s_add_u32 flat_scratch_lo, s6, s11
	s_addc_u32 flat_scratch_hi, s7, 0
	s_add_u32 s0, s0, s11
	s_mov_b32 s12, s8
	s_load_dwordx8 s[24:31], s[4:5], 0x0
	s_load_dwordx8 s[16:23], s[4:5], 0x20
	s_load_dwordx2 s[6:7], s[4:5], 0x40
	s_load_dwordx4 s[44:47], s[4:5], 0x78
	s_load_dwordx2 s[34:35], s[4:5], 0x50
	s_load_dword s11, s[4:5], 0x48
	s_load_dword s8, s[4:5], 0x88
	s_load_dwordx8 s[36:43], s[4:5], 0x58
	s_mov_b32 s32, 0
	s_addc_u32 s1, s1, 0
	s_waitcnt lgkmcnt(0)
	v_mov_b32_e32 v1, s47
	buffer_store_dword v1, off, s[0:3], s32
	v_mov_b32_e32 v1, s8
	s_add_u32 s8, s4, 0x90
	s_mov_b32 s13, s9
	buffer_store_dword v1, off, s[0:3], s32 offset:4
	s_addc_u32 s9, s5, 0
	s_mov_b32 s14, s10
	s_mov_b32 s15, 11
	v_mov_b32_e32 v31, v0
	v_mov_b32_e32 v0, s24
	;; [unrolled: 1-line block ×32, first 2 shown]
	s_getpc_b64 s[4:5]
	s_add_u32 s4, s4, _ZN4vllm22paged_attention_kernelI14__hip_bfloat16hLi128ELi32ELi128ELNS_18Fp8KVCacheDataTypeE1ELb1ELi512EEEvPfS3_PT_PKS4_PKT0_SA_ifPKiSC_iPKfiiiSE_SE_iiiii@rel32@lo+4
	s_addc_u32 s5, s5, _ZN4vllm22paged_attention_kernelI14__hip_bfloat16hLi128ELi32ELi128ELNS_18Fp8KVCacheDataTypeE1ELb1ELi512EEEvPfS3_PT_PKS4_PKT0_SA_ifPKiSC_iPKfiiiSE_SE_iiiii@rel32@hi+12
	s_swappc_b64 s[30:31], s[4:5]
	s_endpgm
	.section	.rodata,"a",@progbits
	.p2align	6, 0x0
	.amdhsa_kernel _ZN4vllm25paged_attention_v2_kernelI14__hip_bfloat16hLi128ELi32ELi128ELNS_18Fp8KVCacheDataTypeE1ELb1ELi512EEEvPfS3_PT_PKS4_PKT0_SA_ifPKiSC_iPKfiiiSE_SE_iiiii
		.amdhsa_group_segment_fixed_size 272
		.amdhsa_private_segment_fixed_size 420
		.amdhsa_kernarg_size 400
		.amdhsa_user_sgpr_count 8
		.amdhsa_user_sgpr_private_segment_buffer 1
		.amdhsa_user_sgpr_dispatch_ptr 0
		.amdhsa_user_sgpr_queue_ptr 0
		.amdhsa_user_sgpr_kernarg_segment_ptr 1
		.amdhsa_user_sgpr_dispatch_id 0
		.amdhsa_user_sgpr_flat_scratch_init 1
		.amdhsa_user_sgpr_kernarg_preload_length 0
		.amdhsa_user_sgpr_kernarg_preload_offset 0
		.amdhsa_user_sgpr_private_segment_size 0
		.amdhsa_uses_dynamic_stack 0
		.amdhsa_system_sgpr_private_segment_wavefront_offset 1
		.amdhsa_system_sgpr_workgroup_id_x 1
		.amdhsa_system_sgpr_workgroup_id_y 1
		.amdhsa_system_sgpr_workgroup_id_z 1
		.amdhsa_system_sgpr_workgroup_info 0
		.amdhsa_system_vgpr_workitem_id 0
		.amdhsa_next_free_vgpr 128
		.amdhsa_next_free_sgpr 48
		.amdhsa_accum_offset 64
		.amdhsa_reserve_vcc 1
		.amdhsa_reserve_flat_scratch 1
		.amdhsa_float_round_mode_32 0
		.amdhsa_float_round_mode_16_64 0
		.amdhsa_float_denorm_mode_32 3
		.amdhsa_float_denorm_mode_16_64 3
		.amdhsa_dx10_clamp 1
		.amdhsa_ieee_mode 1
		.amdhsa_fp16_overflow 0
		.amdhsa_tg_split 0
		.amdhsa_exception_fp_ieee_invalid_op 0
		.amdhsa_exception_fp_denorm_src 0
		.amdhsa_exception_fp_ieee_div_zero 0
		.amdhsa_exception_fp_ieee_overflow 0
		.amdhsa_exception_fp_ieee_underflow 0
		.amdhsa_exception_fp_ieee_inexact 0
		.amdhsa_exception_int_div_zero 0
	.end_amdhsa_kernel
	.section	.text._ZN4vllm25paged_attention_v2_kernelI14__hip_bfloat16hLi128ELi32ELi128ELNS_18Fp8KVCacheDataTypeE1ELb1ELi512EEEvPfS3_PT_PKS4_PKT0_SA_ifPKiSC_iPKfiiiSE_SE_iiiii,"axG",@progbits,_ZN4vllm25paged_attention_v2_kernelI14__hip_bfloat16hLi128ELi32ELi128ELNS_18Fp8KVCacheDataTypeE1ELb1ELi512EEEvPfS3_PT_PKS4_PKT0_SA_ifPKiSC_iPKfiiiSE_SE_iiiii,comdat
.Lfunc_end385:
	.size	_ZN4vllm25paged_attention_v2_kernelI14__hip_bfloat16hLi128ELi32ELi128ELNS_18Fp8KVCacheDataTypeE1ELb1ELi512EEEvPfS3_PT_PKS4_PKT0_SA_ifPKiSC_iPKfiiiSE_SE_iiiii, .Lfunc_end385-_ZN4vllm25paged_attention_v2_kernelI14__hip_bfloat16hLi128ELi32ELi128ELNS_18Fp8KVCacheDataTypeE1ELb1ELi512EEEvPfS3_PT_PKS4_PKT0_SA_ifPKiSC_iPKfiiiSE_SE_iiiii
                                        ; -- End function
	.section	.AMDGPU.csdata,"",@progbits
; Kernel info:
; codeLenInByte = 296
; NumSgprs: 54
; NumVgprs: 64
; NumAgprs: 64
; TotalNumVgprs: 128
; ScratchSize: 420
; MemoryBound: 0
; FloatMode: 240
; IeeeMode: 1
; LDSByteSize: 272 bytes/workgroup (compile time only)
; SGPRBlocks: 6
; VGPRBlocks: 15
; NumSGPRsForWavesPerEU: 54
; NumVGPRsForWavesPerEU: 128
; AccumOffset: 64
; Occupancy: 4
; WaveLimiterHint : 1
; COMPUTE_PGM_RSRC2:SCRATCH_EN: 1
; COMPUTE_PGM_RSRC2:USER_SGPR: 8
; COMPUTE_PGM_RSRC2:TRAP_HANDLER: 0
; COMPUTE_PGM_RSRC2:TGID_X_EN: 1
; COMPUTE_PGM_RSRC2:TGID_Y_EN: 1
; COMPUTE_PGM_RSRC2:TGID_Z_EN: 1
; COMPUTE_PGM_RSRC2:TIDIG_COMP_CNT: 0
; COMPUTE_PGM_RSRC3_GFX90A:ACCUM_OFFSET: 15
; COMPUTE_PGM_RSRC3_GFX90A:TG_SPLIT: 0
	.text
	.p2align	2                               ; -- Begin function _ZN4vllm22paged_attention_kernelI14__hip_bfloat16hLi192ELi32ELi128ELNS_18Fp8KVCacheDataTypeE1ELb1ELi512EEEvPfS3_PT_PKS4_PKT0_SA_ifPKiSC_iPKfiiiSE_SE_iiiii
	.type	_ZN4vllm22paged_attention_kernelI14__hip_bfloat16hLi192ELi32ELi128ELNS_18Fp8KVCacheDataTypeE1ELb1ELi512EEEvPfS3_PT_PKS4_PKT0_SA_ifPKiSC_iPKfiiiSE_SE_iiiii,@function
_ZN4vllm22paged_attention_kernelI14__hip_bfloat16hLi192ELi32ELi128ELNS_18Fp8KVCacheDataTypeE1ELb1ELi512EEEvPfS3_PT_PKS4_PKT0_SA_ifPKiSC_iPKfiiiSE_SE_iiiii: ; @_ZN4vllm22paged_attention_kernelI14__hip_bfloat16hLi192ELi32ELi128ELNS_18Fp8KVCacheDataTypeE1ELb1ELi512EEEvPfS3_PT_PKS4_PKT0_SA_ifPKiSC_iPKfiiiSE_SE_iiiii
; %bb.0:
	s_waitcnt vmcnt(0) expcnt(0) lgkmcnt(0)
	s_or_saveexec_b64 s[4:5], -1
	buffer_store_dword v63, off, s[0:3], s32 offset:600 ; 4-byte Folded Spill
	s_mov_b64 exec, s[4:5]
	buffer_store_dword v40, off, s[0:3], s32 offset:192 ; 4-byte Folded Spill
	buffer_store_dword v41, off, s[0:3], s32 offset:188 ; 4-byte Folded Spill
	;; [unrolled: 1-line block ×47, first 2 shown]
	v_writelane_b32 v63, s34, 0
	v_writelane_b32 v63, s35, 1
	;; [unrolled: 1-line block ×12, first 2 shown]
	s_mov_b32 s18, s13
	s_ashr_i32 s19, s13, 31
	buffer_store_dword v26, off, s[0:3], s32 offset:464 ; 4-byte Folded Spill
	s_nop 0
	buffer_store_dword v27, off, s[0:3], s32 offset:468 ; 4-byte Folded Spill
	buffer_store_dword v24, off, s[0:3], s32 offset:472 ; 4-byte Folded Spill
	s_nop 0
	buffer_store_dword v25, off, s[0:3], s32 offset:476 ; 4-byte Folded Spill
	;; [unrolled: 3-line block ×3, first 2 shown]
	s_lshl_b64 s[4:5], s[18:19], 2
	v_mov_b32_e32 v24, v1
	v_mov_b32_e32 v26, v0
	;; [unrolled: 1-line block ×3, first 2 shown]
	v_add_co_u32_e32 v0, vcc, s4, v16
	buffer_store_dword v13, off, s[0:3], s32 offset:508 ; 4-byte Folded Spill
	buffer_store_dword v5, off, s[0:3], s32 offset:520 ; 4-byte Folded Spill
	;; [unrolled: 1-line block ×3, first 2 shown]
	v_addc_co_u32_e32 v1, vcc, v17, v1, vcc
	v_mov_b32_e32 v34, v2
	flat_load_dword v2, v[0:1]
	s_nop 0
	buffer_load_dword v0, off, s[0:3], s32 offset:4
	buffer_load_dword v1, off, s[0:3], s32
	s_mov_b32 s22, s15
	s_lshl_b32 s15, s14, 9
	v_mov_b32_e32 v33, v20
	v_mov_b32_e32 v32, v19
	;; [unrolled: 1-line block ×5, first 2 shown]
	s_waitcnt vmcnt(0) lgkmcnt(0)
	v_cmp_lt_i32_e32 vcc, s15, v2
	buffer_store_dword v2, off, s[0:3], s32 offset:196 ; 4-byte Folded Spill
	s_and_saveexec_b64 s[16:17], vcc
	s_cbranch_execz .LBB386_2482
; %bb.1:
	v_sub_u32_e32 v2, 0, v12
	v_max_i32_e32 v2, v12, v2
	v_cvt_f32_u32_e32 v3, v2
	s_load_dword s4, s[8:9], 0x10
	s_load_dword s6, s[8:9], 0x0
	v_sub_u32_e32 v5, 0, v2
	v_rcp_iflag_f32_e32 v3, v3
	s_waitcnt lgkmcnt(0)
	s_lshr_b32 s4, s4, 16
	s_cmp_lg_u32 s4, 0
	s_cselect_b64 s[4:5], -1, 0
	v_mul_f32_e32 v3, 0x4f7ffffe, v3
	v_cvt_u32_f32_e32 v3, v3
	s_cmp_lg_u64 s[4:5], 0
	s_addc_u32 s19, s6, 0
	s_abs_i32 s4, s19
	v_mul_lo_u32 v5, v5, v3
	v_mul_hi_u32 v5, v3, v5
	v_add_u32_e32 v3, v3, v5
	v_mul_hi_u32 v3, s4, v3
	v_mul_lo_u32 v5, v3, v2
	v_sub_u32_e32 v5, s4, v5
	v_add_u32_e32 v10, 1, v3
	v_cmp_ge_u32_e32 vcc, v5, v2
	v_cndmask_b32_e32 v3, v3, v10, vcc
	v_sub_u32_e32 v10, v5, v2
	v_cndmask_b32_e32 v5, v5, v10, vcc
	v_xor_b32_e32 v4, s19, v12
	v_add_u32_e32 v10, 1, v3
	v_cmp_ge_u32_e32 vcc, v5, v2
	v_ashrrev_i32_e32 v4, 31, v4
	v_cndmask_b32_e32 v2, v3, v10, vcc
	v_xor_b32_e32 v2, v2, v4
	v_sub_u32_e32 v2, v2, v4
	v_sub_u32_e32 v3, 0, v2
	v_max_i32_e32 v3, v2, v3
	v_cvt_f32_u32_e32 v4, v3
	v_sub_u32_e32 v5, 0, v3
	s_abs_i32 s6, s12
	v_cmp_ne_u64_e32 vcc, 0, v[32:33]
	v_rcp_iflag_f32_e32 v4, v4
	v_mul_f32_e32 v4, 0x4f7ffffe, v4
	v_cvt_u32_f32_e32 v4, v4
	v_mul_lo_u32 v5, v5, v4
	v_mul_hi_u32 v5, v4, v5
	v_add_u32_e32 v4, v4, v5
	v_mad_u64_u32 v[16:17], s[4:5], s6, v4, 0
	v_mov_b32_e32 v4, 0
	buffer_store_dword v4, off, s[0:3], s32 offset:504 ; 4-byte Folded Spill
	s_and_saveexec_b64 s[4:5], vcc
	s_cbranch_execz .LBB386_3
; %bb.2:
	s_ashr_i32 s13, s12, 31
	s_lshl_b64 s[10:11], s[12:13], 2
	v_mov_b32_e32 v5, s11
	v_add_co_u32_e32 v4, vcc, s10, v32
	v_addc_co_u32_e32 v5, vcc, v33, v5, vcc
	flat_load_dword v4, v[4:5]
	s_waitcnt vmcnt(0) lgkmcnt(0)
	buffer_store_dword v4, off, s[0:3], s32 offset:504 ; 4-byte Folded Spill
.LBB386_3:
	s_or_b64 exec, exec, s[4:5]
	v_and_b32_e32 v5, 0x3ff, v31
	s_ashr_i32 s7, s12, 31
	v_ashrrev_i32_e32 v4, 31, v2
	v_and_b32_e32 v2, 1, v5
	s_movk_i32 s10, 0xc0
	s_mul_i32 s20, s12, 0xc0
	v_cmp_gt_u32_e32 vcc, 48, v5
	v_lshlrev_b32_e32 v31, 3, v5
	buffer_store_dword v5, off, s[0:3], s32 offset:460 ; 4-byte Folded Spill
	s_and_saveexec_b64 s[4:5], vcc
	s_cbranch_execz .LBB386_5
; %bb.4:
	v_mul_lo_u32 v10, s18, v21
	v_ashrrev_i32_e32 v11, 31, v10
	v_lshlrev_b64 v[10:11], 1, v[10:11]
	v_add_co_u32_e32 v5, vcc, v6, v10
	s_ashr_i32 s21, s20, 31
	v_addc_co_u32_e32 v6, vcc, v7, v11, vcc
	s_lshl_b64 s[24:25], s[20:21], 1
	v_mov_b32_e32 v7, s25
	v_add_co_u32_e32 v5, vcc, s24, v5
	v_addc_co_u32_e32 v7, vcc, v6, v7, vcc
	v_add_co_u32_e32 v6, vcc, v5, v31
	buffer_load_dword v5, off, s[0:3], s32 offset:460 ; 4-byte Folded Reload
	v_addc_co_u32_e32 v7, vcc, 0, v7, vcc
	flat_load_dwordx2 v[6:7], v[6:7]
	s_waitcnt vmcnt(0)
	v_lshlrev_b32_e32 v5, 2, v5
	v_and_b32_e32 v5, 0xff8, v5
	v_mad_u32_u24 v5, v2, s10, v5
	s_waitcnt lgkmcnt(0)
	ds_write_b64 v5, v[6:7]
.LBB386_5:
	s_or_b64 exec, exec, s[4:5]
	v_mul_lo_u32 v5, v17, v3
	v_sub_u32_e32 v5, s6, v5
	v_add_u32_e32 v6, 1, v17
	v_cmp_ge_u32_e32 vcc, v5, v3
	v_sub_u32_e32 v7, v5, v3
	v_cndmask_b32_e32 v6, v17, v6, vcc
	v_cndmask_b32_e32 v5, v5, v7, vcc
	v_add_u32_e32 v7, 1, v6
	v_cmp_ge_u32_e32 vcc, v5, v3
	v_xor_b32_e32 v4, s7, v4
	v_cndmask_b32_e32 v3, v6, v7, vcc
	v_xor_b32_e32 v3, v3, v4
	v_sub_u32_e32 v6, v3, v4
	s_waitcnt lgkmcnt(0)
	s_barrier
	buffer_load_dword v4, off, s[0:3], s32 offset:196 ; 4-byte Folded Reload
	v_sub_u32_e32 v5, 0, v1
	v_max_i32_e32 v7, v1, v5
	v_cvt_f32_u32_e32 v5, v7
	buffer_store_dword v7, off, s[0:3], s32 offset:200 ; 4-byte Folded Spill
	v_sub_u32_e32 v7, 0, v7
	v_cmp_gt_i32_e32 vcc, 0, v0
	v_rcp_iflag_f32_e32 v3, v5
                                        ; implicit-def: $vgpr10
	v_mul_f32_e32 v3, 0x4f7ffffe, v3
	v_cvt_u32_f32_e32 v5, v3
	v_mul_lo_u32 v7, v7, v5
	v_mul_hi_u32 v7, v5, v7
	v_add_u32_e32 v5, v5, v7
	buffer_store_dword v5, off, s[0:3], s32 offset:220 ; 4-byte Folded Spill
	buffer_store_dword v10, off, s[0:3], s32 offset:212 ; 4-byte Folded Spill
	s_nop 0
	buffer_store_dword v11, off, s[0:3], s32 offset:216 ; 4-byte Folded Spill
	s_waitcnt vmcnt(4)
	v_add_u32_e32 v4, -1, v4
	v_sub_u32_e32 v3, 0, v4
	v_max_i32_e32 v3, v4, v3
	v_mad_u64_u32 v[16:17], s[4:5], v3, v5, 0
	s_and_saveexec_b64 s[4:5], vcc
	s_xor_b64 s[4:5], exec, s[4:5]
	s_cbranch_execz .LBB386_7
; %bb.6:
	v_mad_u64_u32 v[10:11], s[6:7], v28, v12, v[6:7]
	v_mul_lo_u32 v0, v10, v0
	v_sub_u32_e32 v0, 1, v0
	buffer_store_dword v0, off, s[0:3], s32 offset:212 ; 4-byte Folded Spill
	s_nop 0
	buffer_store_dword v1, off, s[0:3], s32 offset:216 ; 4-byte Folded Spill
                                        ; implicit-def: $vgpr28
                                        ; implicit-def: $vgpr0
.LBB386_7:
	s_or_saveexec_b64 s[4:5], s[4:5]
	v_ashrrev_i32_e32 v4, 31, v4
	v_ashrrev_i32_e32 v1, 31, v1
	buffer_store_dword v1, off, s[0:3], s32 offset:204 ; 4-byte Folded Spill
	s_xor_b64 exec, exec, s[4:5]
	s_cbranch_execz .LBB386_9
; %bb.8:
	v_mul_lo_u32 v1, s19, v28
	v_add_u32_e32 v1, s12, v1
	v_mad_u64_u32 v[0:1], s[6:7], v1, v0, 1
	buffer_store_dword v0, off, s[0:3], s32 offset:212 ; 4-byte Folded Spill
	s_nop 0
	buffer_store_dword v1, off, s[0:3], s32 offset:216 ; 4-byte Folded Spill
.LBB386_9:
	s_or_b64 exec, exec, s[4:5]
	s_load_dword s38, s[8:9], 0x14
	s_load_dword s13, s[8:9], 0x8
	buffer_load_dword v5, off, s[0:3], s32 offset:204 ; 4-byte Folded Reload
	buffer_load_dword v10, off, s[0:3], s32 offset:200 ; 4-byte Folded Reload
	s_lshl_b32 s21, s14, 4
	s_add_i32 s4, s21, 16
	v_mul_lo_u32 v0, s18, v18
	v_ashrrev_i32_e32 v1, 31, v0
	v_mul_lo_u32 v37, v6, v23
	v_ashrrev_i32_e32 v38, 31, v37
	v_lshlrev_b64 v[32:33], 2, v[0:1]
	s_waitcnt vmcnt(1)
	v_xor_b32_e32 v4, v4, v5
	s_waitcnt vmcnt(0)
	v_mul_lo_u32 v5, v17, v10
	v_sub_u32_e32 v3, v3, v5
	v_add_u32_e32 v5, 1, v17
	v_cmp_ge_u32_e32 vcc, v3, v10
	v_sub_u32_e32 v7, v3, v10
	v_cndmask_b32_e32 v5, v17, v5, vcc
	v_cndmask_b32_e32 v3, v3, v7, vcc
	v_add_u32_e32 v7, 1, v5
	v_cmp_ge_u32_e32 vcc, v3, v10
	v_cndmask_b32_e32 v3, v5, v7, vcc
	v_xor_b32_e32 v3, v3, v4
	v_sub_u32_e32 v3, v3, v4
	buffer_load_dword v4, off, s[0:3], s32 offset:196 ; 4-byte Folded Reload
	v_mov_b32_e32 v7, 0xff7fffff
	v_sub_u32_e32 v3, v3, v29
	v_sub_u32_e32 v29, 0, v30
	buffer_store_dword v3, off, s[0:3], s32 offset:224 ; 4-byte Folded Spill
	s_waitcnt vmcnt(1)
	v_add_u32_e32 v4, 31, v4
	v_ashrrev_i32_e32 v5, 31, v4
	v_lshrrev_b32_e32 v5, 27, v5
	v_add_u32_e32 v4, v4, v5
	v_ashrrev_i32_e32 v36, 5, v4
	buffer_load_dword v4, off, s[0:3], s32 offset:460 ; 4-byte Folded Reload
	v_min_i32_e32 v5, s4, v36
	buffer_store_dword v5, off, s[0:3], s32 offset:208 ; 4-byte Folded Spill
	s_waitcnt vmcnt(1)
	v_lshrrev_b32_e32 v28, 6, v4
	v_or_b32_e32 v4, s21, v28
	v_cmp_lt_i32_e64 s[4:5], v4, v5
	v_ashrrev_i32_e32 v5, 31, v4
	v_accvgpr_write_b32 a13, v5
	v_accvgpr_write_b32 a12, v4
	v_lshl_add_u32 v0, v28, 5, s15
	v_mbcnt_lo_u32_b32 v4, -1, 0
	buffer_store_dword v0, off, s[0:3], s32 offset:528 ; 4-byte Folded Spill
	s_and_saveexec_b64 s[24:25], s[4:5]
	s_cbranch_execz .LBB386_979
; %bb.10:
	buffer_store_dword v36, off, s[0:3], s32 offset:532 ; 4-byte Folded Spill
	buffer_store_dword v31, off, s[0:3], s32 offset:536 ; 4-byte Folded Spill
	;; [unrolled: 1-line block ×8, first 2 shown]
	buffer_load_dword v0, off, s[0:3], s32 offset:460 ; 4-byte Folded Reload
	s_ashr_i32 s23, s22, 31
	buffer_store_dword v37, off, s[0:3], s32 offset:540 ; 4-byte Folded Spill
	buffer_store_dword v38, off, s[0:3], s32 offset:544 ; 4-byte Folded Spill
	s_lshl_b64 s[10:11], s[22:23], 2
	s_getpc_b64 s[26:27]
	s_add_u32 s26, s26, llvm.amdgcn.dynlds.offset.table@rel32@lo+4
	s_addc_u32 s27, s27, llvm.amdgcn.dynlds.offset.table@rel32@hi+12
	s_add_u32 s26, s10, s26
	v_cmp_eq_u32_e64 s[6:7], 0, v2
	s_addc_u32 s27, s11, s27
	v_mov_b32_e32 v62, 0
	s_mov_b64 s[28:29], 0
	s_movk_i32 s39, 0x80
	s_movk_i32 s40, 0x7f
	s_mov_b32 s41, 0x7f800000
	s_movk_i32 s42, 0x7fff
	s_mov_b32 s43, 0xffffff
	s_waitcnt vmcnt(2)
	v_bfe_u32 v5, v0, 1, 5
	v_add_co_u32_e32 v0, vcc, v8, v37
	v_addc_co_u32_e32 v1, vcc, v9, v38, vcc
	v_lshlrev_b32_e32 v3, 4, v5
	v_add_co_u32_e32 v0, vcc, v0, v3
	v_addc_co_u32_e32 v1, vcc, 0, v1, vcc
	buffer_store_dword v0, off, s[0:3], s32 offset:488 ; 4-byte Folded Spill
	s_nop 0
	buffer_store_dword v1, off, s[0:3], s32 offset:492 ; 4-byte Folded Spill
	v_lshlrev_b32_e32 v0, 2, v2
	v_max_i32_e32 v3, v30, v29
	buffer_store_dword v0, off, s[0:3], s32 offset:496 ; 4-byte Folded Spill
	s_nop 0
	buffer_store_dword v1, off, s[0:3], s32 offset:500 ; 4-byte Folded Spill
	buffer_store_dword v30, off, s[0:3], s32 offset:588 ; 4-byte Folded Spill
	buffer_store_dword v29, off, s[0:3], s32 offset:548 ; 4-byte Folded Spill
	v_mul_u32_u24_e32 v1, 0xc0, v2
	buffer_store_dword v1, off, s[0:3], s32 offset:236 ; 4-byte Folded Spill
	buffer_load_dword v1, off, s[0:3], s32 offset:504 ; 4-byte Folded Reload
	v_cvt_f32_u32_e32 v0, v3
	buffer_store_dword v3, off, s[0:3], s32 offset:244 ; 4-byte Folded Spill
	s_load_dword s23, s[26:27], 0x0
	v_rcp_iflag_f32_e32 v0, v0
	v_mul_f32_e32 v0, 0x4f7ffffe, v0
	v_cvt_u32_f32_e32 v0, v0
	s_waitcnt vmcnt(1)
	v_cmp_neq_f32_e64 s[8:9], 0, v1
	v_sub_u32_e32 v1, 0, v3
	v_mul_lo_u32 v1, v1, v0
	v_mul_hi_u32 v1, v0, v1
	v_add_u32_e32 v0, v0, v1
	v_accvgpr_read_b32 v2, a12
	buffer_store_dword v0, off, s[0:3], s32 offset:252 ; 4-byte Folded Spill
	s_nop 0
	buffer_store_dword v1, off, s[0:3], s32 offset:256 ; 4-byte Folded Spill
	v_accvgpr_read_b32 v3, a13
	v_lshlrev_b64 v[0:1], 2, v[2:3]
	v_add_co_u32_e32 v0, vcc, v32, v0
	buffer_store_dword v32, off, s[0:3], s32 offset:552 ; 4-byte Folded Spill
	s_nop 0
	buffer_store_dword v33, off, s[0:3], s32 offset:556 ; 4-byte Folded Spill
	buffer_store_dword v14, off, s[0:3], s32 offset:592 ; 4-byte Folded Spill
	;; [unrolled: 1-line block ×5, first 2 shown]
	v_addc_co_u32_e32 v1, vcc, v33, v1, vcc
	v_add_co_u32_e32 v46, vcc, v14, v0
	v_lshlrev_b32_e32 v0, 2, v5
	v_lshl_or_b32 v0, v28, 7, v0
	v_accvgpr_write_b32 a42, v0
	buffer_load_dword v0, off, s[0:3], s32 offset:196 ; 4-byte Folded Reload
	v_addc_co_u32_e32 v47, vcc, v15, v1, vcc
	v_lshl_add_u32 v1, v28, 5, s15
	s_waitcnt vmcnt(0)
	v_sub_u32_e32 v0, v5, v0
	v_add_u32_e32 v0, 1, v0
	buffer_store_dword v0, off, s[0:3], s32 offset:516 ; 4-byte Folded Spill
	v_mbcnt_hi_u32_b32 v0, -1, v4
	buffer_store_dword v0, off, s[0:3], s32 offset:484 ; 4-byte Folded Spill
	v_mov_b32_e32 v0, 0xff7fffff
	buffer_store_dword v0, off, s[0:3], s32 offset:480 ; 4-byte Folded Spill
	s_branch .LBB386_13
.LBB386_11:                             ;   in Loop: Header=BB386_13 Depth=1
	s_or_b64 exec, exec, s[30:31]
.LBB386_12:                             ;   in Loop: Header=BB386_13 Depth=1
	s_or_b64 exec, exec, s[10:11]
	buffer_load_dword v0, off, s[0:3], s32 offset:208 ; 4-byte Folded Reload
	v_accvgpr_read_b32 v2, a45
	v_add_co_u32_e32 v46, vcc, 8, v46
	v_add_u32_e32 v2, 2, v2
	v_addc_co_u32_e32 v47, vcc, 0, v47, vcc
	s_waitcnt lgkmcnt(0)
	v_accvgpr_read_b32 v1, a41
	v_add_u32_e32 v1, 64, v1
	s_waitcnt vmcnt(0)
	v_cmp_ge_i32_e32 vcc, v2, v0
	v_accvgpr_read_b32 v0, a42
	v_add_u32_e32 v0, 0x100, v0
	s_or_b64 s[28:29], vcc, s[28:29]
	v_accvgpr_write_b32 a42, v0
	s_andn2_b64 exec, exec, s[28:29]
	s_cbranch_execz .LBB386_978
.LBB386_13:                             ; =>This Inner Loop Header: Depth=1
	v_accvgpr_write_b32 a45, v2
	v_ashrrev_i32_e32 v0, 31, v1
	v_mov_b32_e32 v2, v1
	buffer_load_dword v1, off, s[0:3], s32 offset:204 ; 4-byte Folded Reload
	buffer_load_dword v4, off, s[0:3], s32 offset:200 ; 4-byte Folded Reload
	v_accvgpr_write_b32 a41, v2
	s_waitcnt vmcnt(1)
	v_xor_b32_e32 v0, v0, v1
	v_sub_u32_e32 v1, 0, v2
	v_max_i32_e32 v1, v2, v1
	buffer_load_dword v2, off, s[0:3], s32 offset:220 ; 4-byte Folded Reload
	s_waitcnt vmcnt(0)
	v_mul_hi_u32 v2, v1, v2
	v_mul_lo_u32 v3, v2, v4
	v_sub_u32_e32 v1, v1, v3
	v_add_u32_e32 v3, 1, v2
	v_cmp_ge_u32_e32 vcc, v1, v4
	v_cndmask_b32_e32 v2, v2, v3, vcc
	v_sub_u32_e32 v3, v1, v4
	v_cndmask_b32_e32 v1, v1, v3, vcc
	v_add_u32_e32 v3, 1, v2
	v_cmp_ge_u32_e32 vcc, v1, v4
	v_cndmask_b32_e32 v1, v2, v3, vcc
	buffer_load_dword v2, off, s[0:3], s32 offset:212 ; 4-byte Folded Reload
	buffer_load_dword v3, off, s[0:3], s32 offset:216 ; 4-byte Folded Reload
	;; [unrolled: 1-line block ×4, first 2 shown]
	v_xor_b32_e32 v1, v1, v0
	v_sub_u32_e32 v0, v1, v0
	s_waitcnt vmcnt(3)
	v_add_u32_e32 v1, v0, v2
	s_waitcnt vmcnt(2)
	v_sub_u32_e32 v3, 0, v1
	v_ashrrev_i32_e32 v2, 31, v1
	v_max_i32_e32 v1, v1, v3
	s_waitcnt vmcnt(1)
	v_mul_hi_u32 v3, v1, v4
	buffer_load_dword v4, off, s[0:3], s32 offset:244 ; 4-byte Folded Reload
	s_waitcnt vmcnt(0)
	v_mul_lo_u32 v3, v3, v4
	v_sub_u32_e32 v1, v1, v3
	v_sub_u32_e32 v3, v1, v4
	v_cmp_ge_u32_e32 vcc, v1, v4
	v_cndmask_b32_e32 v1, v1, v3, vcc
	v_sub_u32_e32 v3, v1, v4
	v_cmp_ge_u32_e32 vcc, v1, v4
	v_cndmask_b32_e32 v1, v1, v3, vcc
	v_xor_b32_e32 v1, v1, v2
	v_sub_u32_e32 v1, v1, v2
	v_cmp_ne_u32_e32 vcc, 0, v1
	buffer_load_dword v1, off, s[0:3], s32 offset:224 ; 4-byte Folded Reload
	s_waitcnt vmcnt(0)
	v_cmp_le_i32_e64 s[10:11], v0, v1
	s_and_b64 s[10:11], vcc, s[10:11]
	s_and_b64 s[30:31], s[6:7], s[10:11]
	s_and_saveexec_b64 vcc, s[30:31]
	s_cbranch_execz .LBB386_15
; %bb.14:                               ;   in Loop: Header=BB386_13 Depth=1
	v_accvgpr_read_b32 v0, a42
	s_waitcnt lgkmcnt(0)
	v_add_u32_e32 v0, s23, v0
	v_mov_b32_e32 v1, 0xff7fffff
	ds_write_b32 v0, v1
.LBB386_15:                             ;   in Loop: Header=BB386_13 Depth=1
	s_or_b64 exec, exec, vcc
	s_xor_b64 vcc, s[10:11], -1
	s_and_saveexec_b64 s[10:11], vcc
	s_cbranch_execz .LBB386_12
; %bb.16:                               ;   in Loop: Header=BB386_13 Depth=1
	flat_load_dword v0, v[46:47]
	buffer_load_dword v2, off, s[0:3], s32 offset:228 ; 4-byte Folded Reload
	buffer_load_dword v3, off, s[0:3], s32 offset:232 ; 4-byte Folded Reload
	;; [unrolled: 1-line block ×4, first 2 shown]
	s_waitcnt vmcnt(0) lgkmcnt(0)
	v_mad_i64_i32 v[0:1], vcc, v0, v2, v[4:5]
	buffer_load_dword v2, off, s[0:3], s32 offset:496 ; 4-byte Folded Reload
	buffer_load_dword v3, off, s[0:3], s32 offset:500 ; 4-byte Folded Reload
	s_waitcnt vmcnt(1)
	v_add_co_u32_e32 v56, vcc, v0, v2
	v_addc_co_u32_e32 v57, vcc, 0, v1, vcc
	flat_load_dword v58, v[56:57]
	buffer_load_dword v0, off, s[0:3], s32 offset:472 ; 4-byte Folded Reload
	buffer_load_dword v1, off, s[0:3], s32 offset:476 ; 4-byte Folded Reload
	s_waitcnt vmcnt(0) lgkmcnt(0)
	v_cmp_ne_u16_sdwa vcc, v58, v62 src0_sel:BYTE_0 src1_sel:DWORD
	flat_load_dword v3, v[0:1]
	s_nop 0
	buffer_load_dword v0, off, s[0:3], s32 offset:236 ; 4-byte Folded Reload
	s_waitcnt vmcnt(0)
	ds_read_b128 v[52:55], v0
	ds_read_b128 v[48:51], v0 offset:16
	ds_read_b128 v[36:39], v0 offset:32
	;; [unrolled: 1-line block ×4, first 2 shown]
	s_waitcnt lgkmcnt(0)
	buffer_store_dword v4, off, s[0:3], s32 offset:292 ; 4-byte Folded Spill
	s_nop 0
	buffer_store_dword v5, off, s[0:3], s32 offset:296 ; 4-byte Folded Spill
	buffer_store_dword v6, off, s[0:3], s32 offset:300 ; 4-byte Folded Spill
	;; [unrolled: 1-line block ×3, first 2 shown]
	ds_read_b128 v[4:7], v0 offset:80
	s_waitcnt lgkmcnt(0)
	buffer_store_dword v4, off, s[0:3], s32 offset:276 ; 4-byte Folded Spill
	s_nop 0
	buffer_store_dword v5, off, s[0:3], s32 offset:280 ; 4-byte Folded Spill
	buffer_store_dword v6, off, s[0:3], s32 offset:284 ; 4-byte Folded Spill
	;; [unrolled: 1-line block ×3, first 2 shown]
	ds_read_b32 v1, v0 offset:96
	ds_read_u16 v0, v0 offset:100
	s_waitcnt lgkmcnt(1)
	buffer_store_dword v1, off, s[0:3], s32 offset:260 ; 4-byte Folded Spill
	s_waitcnt lgkmcnt(0)
	buffer_store_dword v0, off, s[0:3], s32 offset:268 ; 4-byte Folded Spill
	v_mov_b32_e32 v0, 0
	s_and_saveexec_b64 s[30:31], vcc
	s_cbranch_execz .LBB386_22
; %bb.17:                               ;   in Loop: Header=BB386_13 Depth=1
	v_cmp_ne_u16_sdwa vcc, v58, s39 src0_sel:BYTE_0 src1_sel:DWORD
	v_bfrev_b32_e32 v0, 1
	s_and_saveexec_b64 s[34:35], vcc
	s_cbranch_execz .LBB386_21
; %bb.18:                               ;   in Loop: Header=BB386_13 Depth=1
	v_and_b32_e32 v1, 0x7f, v58
	v_cmp_ne_u32_e32 vcc, s40, v1
	v_mov_b32_e32 v0, 0x7f800001
	s_and_saveexec_b64 s[36:37], vcc
	s_cbranch_execz .LBB386_20
; %bb.19:                               ;   in Loop: Header=BB386_13 Depth=1
	v_and_b32_e32 v0, 7, v58
	v_ffbh_u32_e32 v4, v0
	v_min_u32_e32 v10, 32, v4
	v_subrev_u32_e32 v4, 28, v10
	v_lshlrev_b64 v[4:5], v4, v[58:59]
	v_lshrrev_b32_e32 v2, 3, v1
	v_sub_u32_e32 v5, 29, v10
	v_and_b32_e32 v4, 7, v4
	v_cmp_gt_u32_e32 vcc, 8, v1
	v_cndmask_b32_e32 v1, v2, v5, vcc
	v_cndmask_b32_e32 v0, v0, v4, vcc
	v_lshlrev_b32_e32 v2, 24, v58
	v_bfrev_b32_e32 v4, 60
	v_lshlrev_b32_e32 v0, 20, v0
	v_and_b32_e32 v2, 0x80000000, v2
	v_lshl_add_u32 v1, v1, 23, v4
	v_or3_b32 v0, v2, v1, v0
.LBB386_20:                             ;   in Loop: Header=BB386_13 Depth=1
	s_or_b64 exec, exec, s[36:37]
.LBB386_21:                             ;   in Loop: Header=BB386_13 Depth=1
	s_or_b64 exec, exec, s[34:35]
.LBB386_22:                             ;   in Loop: Header=BB386_13 Depth=1
	s_or_b64 exec, exec, s[30:31]
	v_mul_f32_e32 v0, v3, v0
	v_and_b32_e32 v1, 0x7f800000, v0
	v_cmp_ne_u32_e32 vcc, s41, v1
                                        ; implicit-def: $vgpr1
                                        ; kill: killed $vgpr1
	s_and_saveexec_b64 s[30:31], vcc
	s_xor_b64 vcc, exec, s[30:31]
	s_cbranch_execz .LBB386_24
; %bb.23:                               ;   in Loop: Header=BB386_13 Depth=1
	v_bfe_u32 v1, v0, 16, 1
	v_add3_u32 v0, v0, v1, s42
	buffer_store_dword v0, off, s[0:3], s32 offset:308 ; 4-byte Folded Spill
                                        ; implicit-def: $vgpr0
.LBB386_24:                             ;   in Loop: Header=BB386_13 Depth=1
	s_andn2_saveexec_b64 s[30:31], vcc
	s_cbranch_execz .LBB386_26
; %bb.25:                               ;   in Loop: Header=BB386_13 Depth=1
	v_or_b32_e32 v1, 0x10000, v0
	v_cmp_eq_u32_sdwa vcc, v0, v62 src0_sel:WORD_0 src1_sel:DWORD
	v_cndmask_b32_e32 v0, v1, v0, vcc
	buffer_store_dword v0, off, s[0:3], s32 offset:308 ; 4-byte Folded Spill
.LBB386_26:                             ;   in Loop: Header=BB386_13 Depth=1
	s_or_b64 exec, exec, s[30:31]
	v_lshrrev_b16_e32 v60, 8, v58
	v_cmp_ne_u16_e32 vcc, 0, v60
	v_mov_b32_e32 v0, 0
	s_and_saveexec_b64 s[30:31], vcc
	s_cbranch_execz .LBB386_32
; %bb.27:                               ;   in Loop: Header=BB386_13 Depth=1
	v_cmp_ne_u16_e32 vcc, s39, v60
	v_bfrev_b32_e32 v0, 1
	s_and_saveexec_b64 s[34:35], vcc
	s_cbranch_execz .LBB386_31
; %bb.28:                               ;   in Loop: Header=BB386_13 Depth=1
	v_and_b32_e32 v1, 0x7f, v60
	v_cmp_ne_u32_e32 vcc, s40, v1
	v_mov_b32_e32 v0, 0x7f800001
	s_and_saveexec_b64 s[36:37], vcc
	s_cbranch_execz .LBB386_30
; %bb.29:                               ;   in Loop: Header=BB386_13 Depth=1
	v_and_b32_e32 v0, 7, v60
	v_ffbh_u32_e32 v4, v0
	v_min_u32_e32 v10, 32, v4
	v_subrev_u32_e32 v4, 28, v10
	v_lshlrev_b64 v[4:5], v4, v[60:61]
	v_lshrrev_b32_e32 v2, 3, v1
	v_sub_u32_e32 v5, 29, v10
	v_and_b32_e32 v4, 7, v4
	v_cmp_gt_u32_e32 vcc, 8, v1
	v_cndmask_b32_e32 v1, v2, v5, vcc
	v_cndmask_b32_e32 v0, v0, v4, vcc
	v_lshlrev_b32_e32 v2, 16, v58
	v_bfrev_b32_e32 v4, 60
	v_lshlrev_b32_e32 v0, 20, v0
	v_and_b32_e32 v2, 0x80000000, v2
	v_lshl_add_u32 v1, v1, 23, v4
	v_or3_b32 v0, v2, v1, v0
.LBB386_30:                             ;   in Loop: Header=BB386_13 Depth=1
	s_or_b64 exec, exec, s[36:37]
.LBB386_31:                             ;   in Loop: Header=BB386_13 Depth=1
	s_or_b64 exec, exec, s[34:35]
.LBB386_32:                             ;   in Loop: Header=BB386_13 Depth=1
	s_or_b64 exec, exec, s[30:31]
	v_mul_f32_e32 v0, v3, v0
	v_and_b32_e32 v1, 0x7f800000, v0
	v_cmp_ne_u32_e32 vcc, s41, v1
                                        ; implicit-def: $vgpr1
                                        ; kill: killed $vgpr1
	s_and_saveexec_b64 s[30:31], vcc
	s_xor_b64 vcc, exec, s[30:31]
	s_cbranch_execz .LBB386_34
; %bb.33:                               ;   in Loop: Header=BB386_13 Depth=1
	v_bfe_u32 v1, v0, 16, 1
	v_add3_u32 v0, v0, v1, s42
	buffer_store_dword v0, off, s[0:3], s32 offset:312 ; 4-byte Folded Spill
                                        ; implicit-def: $vgpr0
.LBB386_34:                             ;   in Loop: Header=BB386_13 Depth=1
	s_andn2_saveexec_b64 s[30:31], vcc
	s_cbranch_execz .LBB386_36
; %bb.35:                               ;   in Loop: Header=BB386_13 Depth=1
	v_or_b32_e32 v1, 0x10000, v0
	v_cmp_eq_u32_sdwa vcc, v0, v62 src0_sel:WORD_0 src1_sel:DWORD
	v_cndmask_b32_e32 v0, v1, v0, vcc
	buffer_store_dword v0, off, s[0:3], s32 offset:312 ; 4-byte Folded Spill
.LBB386_36:                             ;   in Loop: Header=BB386_13 Depth=1
	s_or_b64 exec, exec, s[30:31]
	v_lshrrev_b32_e32 v60, 16, v58
	v_cmp_ne_u16_sdwa vcc, v60, v62 src0_sel:BYTE_0 src1_sel:DWORD
	v_mov_b32_e32 v0, 0
	s_and_saveexec_b64 s[30:31], vcc
	s_cbranch_execz .LBB386_42
; %bb.37:                               ;   in Loop: Header=BB386_13 Depth=1
	v_cmp_ne_u16_sdwa vcc, v60, s39 src0_sel:BYTE_0 src1_sel:DWORD
	v_bfrev_b32_e32 v0, 1
	s_and_saveexec_b64 s[34:35], vcc
	s_cbranch_execz .LBB386_41
; %bb.38:                               ;   in Loop: Header=BB386_13 Depth=1
	v_bfe_u32 v1, v58, 16, 7
	v_cmp_ne_u32_e32 vcc, s40, v1
	v_mov_b32_e32 v0, 0x7f800001
	s_and_saveexec_b64 s[36:37], vcc
	s_cbranch_execz .LBB386_40
; %bb.39:                               ;   in Loop: Header=BB386_13 Depth=1
	v_and_b32_e32 v0, 7, v60
	v_ffbh_u32_e32 v4, v0
	v_min_u32_e32 v10, 32, v4
	v_subrev_u32_e32 v4, 28, v10
	v_lshlrev_b64 v[4:5], v4, v[60:61]
	v_lshrrev_b32_e32 v2, 3, v1
	v_sub_u32_e32 v5, 29, v10
	v_and_b32_e32 v4, 7, v4
	v_cmp_gt_u32_e32 vcc, 8, v1
	v_cndmask_b32_e32 v1, v2, v5, vcc
	v_cndmask_b32_e32 v0, v0, v4, vcc
	v_lshlrev_b32_e32 v2, 24, v60
	v_bfrev_b32_e32 v4, 60
	v_lshlrev_b32_e32 v0, 20, v0
	v_and_b32_e32 v2, 0x80000000, v2
	v_lshl_add_u32 v1, v1, 23, v4
	v_or3_b32 v0, v2, v1, v0
.LBB386_40:                             ;   in Loop: Header=BB386_13 Depth=1
	s_or_b64 exec, exec, s[36:37]
.LBB386_41:                             ;   in Loop: Header=BB386_13 Depth=1
	s_or_b64 exec, exec, s[34:35]
.LBB386_42:                             ;   in Loop: Header=BB386_13 Depth=1
	s_or_b64 exec, exec, s[30:31]
	v_mul_f32_e32 v0, v3, v0
	v_and_b32_e32 v1, 0x7f800000, v0
	v_cmp_ne_u32_e32 vcc, s41, v1
                                        ; implicit-def: $vgpr1
                                        ; kill: killed $vgpr1
	s_and_saveexec_b64 s[30:31], vcc
	s_xor_b64 vcc, exec, s[30:31]
	s_cbranch_execz .LBB386_44
; %bb.43:                               ;   in Loop: Header=BB386_13 Depth=1
	v_bfe_u32 v1, v0, 16, 1
	v_add3_u32 v0, v0, v1, s42
	buffer_store_dword v0, off, s[0:3], s32 offset:316 ; 4-byte Folded Spill
                                        ; implicit-def: $vgpr0
.LBB386_44:                             ;   in Loop: Header=BB386_13 Depth=1
	s_andn2_saveexec_b64 s[30:31], vcc
	s_cbranch_execz .LBB386_46
; %bb.45:                               ;   in Loop: Header=BB386_13 Depth=1
	v_or_b32_e32 v1, 0x10000, v0
	v_cmp_eq_u32_sdwa vcc, v0, v62 src0_sel:WORD_0 src1_sel:DWORD
	v_cndmask_b32_e32 v0, v1, v0, vcc
	buffer_store_dword v0, off, s[0:3], s32 offset:316 ; 4-byte Folded Spill
.LBB386_46:                             ;   in Loop: Header=BB386_13 Depth=1
	s_or_b64 exec, exec, s[30:31]
	v_cmp_lt_u32_e32 vcc, s43, v58
	v_mov_b32_e32 v0, 0
	s_and_saveexec_b64 s[30:31], vcc
	s_cbranch_execz .LBB386_52
; %bb.47:                               ;   in Loop: Header=BB386_13 Depth=1
	v_lshrrev_b32_e32 v60, 24, v58
	v_cmp_ne_u32_e32 vcc, s39, v60
	v_bfrev_b32_e32 v0, 1
	s_and_saveexec_b64 s[34:35], vcc
	s_cbranch_execz .LBB386_51
; %bb.48:                               ;   in Loop: Header=BB386_13 Depth=1
	v_bfe_u32 v1, v58, 24, 7
	v_cmp_ne_u32_e32 vcc, s40, v1
	v_mov_b32_e32 v0, 0x7f800001
	s_and_saveexec_b64 s[36:37], vcc
	s_cbranch_execz .LBB386_50
; %bb.49:                               ;   in Loop: Header=BB386_13 Depth=1
	v_and_b32_e32 v0, 7, v60
	v_ffbh_u32_e32 v4, v0
	v_min_u32_e32 v10, 32, v4
	v_subrev_u32_e32 v4, 28, v10
	v_lshlrev_b64 v[4:5], v4, v[60:61]
	v_lshrrev_b32_e32 v2, 3, v1
	v_sub_u32_e32 v5, 29, v10
	v_and_b32_e32 v4, 7, v4
	v_cmp_gt_u32_e32 vcc, 8, v1
	v_cndmask_b32_e32 v1, v2, v5, vcc
	v_cndmask_b32_e32 v0, v0, v4, vcc
	v_lshlrev_b32_e32 v2, 24, v60
	v_bfrev_b32_e32 v4, 60
	v_lshlrev_b32_e32 v0, 20, v0
	v_and_b32_e32 v2, 0x80000000, v2
	v_lshl_add_u32 v1, v1, 23, v4
	v_or3_b32 v0, v2, v1, v0
.LBB386_50:                             ;   in Loop: Header=BB386_13 Depth=1
	s_or_b64 exec, exec, s[36:37]
.LBB386_51:                             ;   in Loop: Header=BB386_13 Depth=1
	s_or_b64 exec, exec, s[34:35]
.LBB386_52:                             ;   in Loop: Header=BB386_13 Depth=1
	s_or_b64 exec, exec, s[30:31]
	v_mul_f32_e32 v0, v3, v0
	v_and_b32_e32 v1, 0x7f800000, v0
	v_cmp_ne_u32_e32 vcc, s41, v1
                                        ; implicit-def: $vgpr1
                                        ; kill: killed $vgpr1
	s_and_saveexec_b64 s[30:31], vcc
	s_xor_b64 vcc, exec, s[30:31]
	s_cbranch_execz .LBB386_54
; %bb.53:                               ;   in Loop: Header=BB386_13 Depth=1
	v_bfe_u32 v1, v0, 16, 1
	v_add3_u32 v0, v0, v1, s42
	buffer_store_dword v0, off, s[0:3], s32 offset:320 ; 4-byte Folded Spill
                                        ; implicit-def: $vgpr0
.LBB386_54:                             ;   in Loop: Header=BB386_13 Depth=1
	s_andn2_saveexec_b64 s[30:31], vcc
	s_cbranch_execz .LBB386_56
; %bb.55:                               ;   in Loop: Header=BB386_13 Depth=1
	v_or_b32_e32 v1, 0x10000, v0
	v_cmp_eq_u32_sdwa vcc, v0, v62 src0_sel:WORD_0 src1_sel:DWORD
	v_cndmask_b32_e32 v0, v1, v0, vcc
	buffer_store_dword v0, off, s[0:3], s32 offset:320 ; 4-byte Folded Spill
.LBB386_56:                             ;   in Loop: Header=BB386_13 Depth=1
	s_or_b64 exec, exec, s[30:31]
	flat_load_dword v58, v[56:57] offset:8
	v_mov_b32_e32 v0, 0
	s_waitcnt vmcnt(0) lgkmcnt(0)
	v_cmp_ne_u16_sdwa vcc, v58, v62 src0_sel:BYTE_0 src1_sel:DWORD
	s_and_saveexec_b64 s[30:31], vcc
	s_cbranch_execz .LBB386_62
; %bb.57:                               ;   in Loop: Header=BB386_13 Depth=1
	v_cmp_ne_u16_sdwa vcc, v58, s39 src0_sel:BYTE_0 src1_sel:DWORD
	v_bfrev_b32_e32 v0, 1
	s_and_saveexec_b64 s[34:35], vcc
	s_cbranch_execz .LBB386_61
; %bb.58:                               ;   in Loop: Header=BB386_13 Depth=1
	v_and_b32_e32 v1, 0x7f, v58
	v_cmp_ne_u32_e32 vcc, s40, v1
	v_mov_b32_e32 v0, 0x7f800001
	s_and_saveexec_b64 s[36:37], vcc
	s_cbranch_execz .LBB386_60
; %bb.59:                               ;   in Loop: Header=BB386_13 Depth=1
	v_and_b32_e32 v2, 7, v58
	v_ffbh_u32_e32 v0, v2
	v_min_u32_e32 v5, 32, v0
	v_subrev_u32_e32 v0, 28, v5
	v_lshrrev_b32_e32 v4, 3, v1
	v_cmp_gt_u32_e32 vcc, 8, v1
	v_lshlrev_b64 v[0:1], v0, v[58:59]
	v_sub_u32_e32 v1, 29, v5
	v_and_b32_e32 v0, 7, v0
	v_cndmask_b32_e32 v1, v4, v1, vcc
	v_cndmask_b32_e32 v0, v2, v0, vcc
	v_lshlrev_b32_e32 v2, 24, v58
	v_bfrev_b32_e32 v4, 60
	v_lshlrev_b32_e32 v0, 20, v0
	v_and_b32_e32 v2, 0x80000000, v2
	v_lshl_add_u32 v1, v1, 23, v4
	v_or3_b32 v0, v2, v1, v0
.LBB386_60:                             ;   in Loop: Header=BB386_13 Depth=1
	s_or_b64 exec, exec, s[36:37]
.LBB386_61:                             ;   in Loop: Header=BB386_13 Depth=1
	s_or_b64 exec, exec, s[34:35]
.LBB386_62:                             ;   in Loop: Header=BB386_13 Depth=1
	s_or_b64 exec, exec, s[30:31]
	v_mul_f32_e32 v0, v3, v0
	v_and_b32_e32 v1, 0x7f800000, v0
	v_cmp_ne_u32_e32 vcc, s41, v1
                                        ; implicit-def: $vgpr1
                                        ; kill: killed $vgpr1
	s_and_saveexec_b64 s[30:31], vcc
	s_xor_b64 vcc, exec, s[30:31]
	s_cbranch_execz .LBB386_64
; %bb.63:                               ;   in Loop: Header=BB386_13 Depth=1
	v_bfe_u32 v1, v0, 16, 1
	v_add3_u32 v0, v0, v1, s42
	buffer_store_dword v0, off, s[0:3], s32 offset:324 ; 4-byte Folded Spill
                                        ; implicit-def: $vgpr0
.LBB386_64:                             ;   in Loop: Header=BB386_13 Depth=1
	s_andn2_saveexec_b64 s[30:31], vcc
	s_cbranch_execz .LBB386_66
; %bb.65:                               ;   in Loop: Header=BB386_13 Depth=1
	v_or_b32_e32 v1, 0x10000, v0
	v_cmp_eq_u32_sdwa vcc, v0, v62 src0_sel:WORD_0 src1_sel:DWORD
	v_cndmask_b32_e32 v0, v1, v0, vcc
	buffer_store_dword v0, off, s[0:3], s32 offset:324 ; 4-byte Folded Spill
.LBB386_66:                             ;   in Loop: Header=BB386_13 Depth=1
	s_or_b64 exec, exec, s[30:31]
	v_lshrrev_b16_e32 v60, 8, v58
	v_cmp_ne_u16_e32 vcc, 0, v60
	v_mov_b32_e32 v0, 0
	s_and_saveexec_b64 s[30:31], vcc
	s_cbranch_execz .LBB386_72
; %bb.67:                               ;   in Loop: Header=BB386_13 Depth=1
	v_cmp_ne_u16_e32 vcc, s39, v60
	v_bfrev_b32_e32 v0, 1
	s_and_saveexec_b64 s[34:35], vcc
	s_cbranch_execz .LBB386_71
; %bb.68:                               ;   in Loop: Header=BB386_13 Depth=1
	v_and_b32_e32 v1, 0x7f, v60
	v_cmp_ne_u32_e32 vcc, s40, v1
	v_mov_b32_e32 v0, 0x7f800001
	s_and_saveexec_b64 s[36:37], vcc
	s_cbranch_execz .LBB386_70
; %bb.69:                               ;   in Loop: Header=BB386_13 Depth=1
	v_and_b32_e32 v0, 7, v60
	v_ffbh_u32_e32 v4, v0
	v_min_u32_e32 v10, 32, v4
	v_subrev_u32_e32 v4, 28, v10
	v_lshlrev_b64 v[4:5], v4, v[60:61]
	v_lshrrev_b32_e32 v2, 3, v1
	v_sub_u32_e32 v5, 29, v10
	v_and_b32_e32 v4, 7, v4
	v_cmp_gt_u32_e32 vcc, 8, v1
	v_cndmask_b32_e32 v1, v2, v5, vcc
	v_cndmask_b32_e32 v0, v0, v4, vcc
	v_lshlrev_b32_e32 v2, 16, v58
	v_bfrev_b32_e32 v4, 60
	v_lshlrev_b32_e32 v0, 20, v0
	v_and_b32_e32 v2, 0x80000000, v2
	v_lshl_add_u32 v1, v1, 23, v4
	v_or3_b32 v0, v2, v1, v0
.LBB386_70:                             ;   in Loop: Header=BB386_13 Depth=1
	s_or_b64 exec, exec, s[36:37]
.LBB386_71:                             ;   in Loop: Header=BB386_13 Depth=1
	s_or_b64 exec, exec, s[34:35]
.LBB386_72:                             ;   in Loop: Header=BB386_13 Depth=1
	s_or_b64 exec, exec, s[30:31]
	v_mul_f32_e32 v0, v3, v0
	v_and_b32_e32 v1, 0x7f800000, v0
	v_cmp_ne_u32_e32 vcc, s41, v1
                                        ; implicit-def: $vgpr1
                                        ; kill: killed $vgpr1
	s_and_saveexec_b64 s[30:31], vcc
	s_xor_b64 vcc, exec, s[30:31]
	s_cbranch_execz .LBB386_74
; %bb.73:                               ;   in Loop: Header=BB386_13 Depth=1
	v_bfe_u32 v1, v0, 16, 1
	v_add3_u32 v0, v0, v1, s42
	buffer_store_dword v0, off, s[0:3], s32 offset:328 ; 4-byte Folded Spill
                                        ; implicit-def: $vgpr0
.LBB386_74:                             ;   in Loop: Header=BB386_13 Depth=1
	s_andn2_saveexec_b64 s[30:31], vcc
	s_cbranch_execz .LBB386_76
; %bb.75:                               ;   in Loop: Header=BB386_13 Depth=1
	v_or_b32_e32 v1, 0x10000, v0
	v_cmp_eq_u32_sdwa vcc, v0, v62 src0_sel:WORD_0 src1_sel:DWORD
	v_cndmask_b32_e32 v0, v1, v0, vcc
	buffer_store_dword v0, off, s[0:3], s32 offset:328 ; 4-byte Folded Spill
.LBB386_76:                             ;   in Loop: Header=BB386_13 Depth=1
	s_or_b64 exec, exec, s[30:31]
	v_lshrrev_b32_e32 v60, 16, v58
	v_cmp_ne_u16_sdwa vcc, v60, v62 src0_sel:BYTE_0 src1_sel:DWORD
	v_mov_b32_e32 v0, 0
	s_and_saveexec_b64 s[30:31], vcc
	s_cbranch_execz .LBB386_82
; %bb.77:                               ;   in Loop: Header=BB386_13 Depth=1
	v_cmp_ne_u16_sdwa vcc, v60, s39 src0_sel:BYTE_0 src1_sel:DWORD
	v_bfrev_b32_e32 v0, 1
	s_and_saveexec_b64 s[34:35], vcc
	s_cbranch_execz .LBB386_81
; %bb.78:                               ;   in Loop: Header=BB386_13 Depth=1
	v_bfe_u32 v1, v58, 16, 7
	v_cmp_ne_u32_e32 vcc, s40, v1
	v_mov_b32_e32 v0, 0x7f800001
	s_and_saveexec_b64 s[36:37], vcc
	s_cbranch_execz .LBB386_80
; %bb.79:                               ;   in Loop: Header=BB386_13 Depth=1
	v_and_b32_e32 v0, 7, v60
	v_ffbh_u32_e32 v4, v0
	v_min_u32_e32 v10, 32, v4
	v_subrev_u32_e32 v4, 28, v10
	v_lshlrev_b64 v[4:5], v4, v[60:61]
	v_lshrrev_b32_e32 v2, 3, v1
	v_sub_u32_e32 v5, 29, v10
	v_and_b32_e32 v4, 7, v4
	v_cmp_gt_u32_e32 vcc, 8, v1
	v_cndmask_b32_e32 v1, v2, v5, vcc
	v_cndmask_b32_e32 v0, v0, v4, vcc
	v_lshlrev_b32_e32 v2, 24, v60
	v_bfrev_b32_e32 v4, 60
	v_lshlrev_b32_e32 v0, 20, v0
	v_and_b32_e32 v2, 0x80000000, v2
	v_lshl_add_u32 v1, v1, 23, v4
	v_or3_b32 v0, v2, v1, v0
.LBB386_80:                             ;   in Loop: Header=BB386_13 Depth=1
	s_or_b64 exec, exec, s[36:37]
.LBB386_81:                             ;   in Loop: Header=BB386_13 Depth=1
	s_or_b64 exec, exec, s[34:35]
.LBB386_82:                             ;   in Loop: Header=BB386_13 Depth=1
	s_or_b64 exec, exec, s[30:31]
	v_mul_f32_e32 v0, v3, v0
	v_and_b32_e32 v1, 0x7f800000, v0
	v_cmp_ne_u32_e32 vcc, s41, v1
                                        ; implicit-def: $vgpr1
                                        ; kill: killed $vgpr1
	s_and_saveexec_b64 s[30:31], vcc
	s_xor_b64 vcc, exec, s[30:31]
	s_cbranch_execz .LBB386_84
; %bb.83:                               ;   in Loop: Header=BB386_13 Depth=1
	v_bfe_u32 v1, v0, 16, 1
	v_add3_u32 v0, v0, v1, s42
	buffer_store_dword v0, off, s[0:3], s32 offset:336 ; 4-byte Folded Spill
                                        ; implicit-def: $vgpr0
.LBB386_84:                             ;   in Loop: Header=BB386_13 Depth=1
	s_andn2_saveexec_b64 s[30:31], vcc
	s_cbranch_execz .LBB386_86
; %bb.85:                               ;   in Loop: Header=BB386_13 Depth=1
	v_or_b32_e32 v1, 0x10000, v0
	v_cmp_eq_u32_sdwa vcc, v0, v62 src0_sel:WORD_0 src1_sel:DWORD
	v_cndmask_b32_e32 v0, v1, v0, vcc
	buffer_store_dword v0, off, s[0:3], s32 offset:336 ; 4-byte Folded Spill
.LBB386_86:                             ;   in Loop: Header=BB386_13 Depth=1
	s_or_b64 exec, exec, s[30:31]
	v_cmp_lt_u32_e32 vcc, s43, v58
	v_mov_b32_e32 v0, 0
	s_and_saveexec_b64 s[30:31], vcc
	s_cbranch_execz .LBB386_92
; %bb.87:                               ;   in Loop: Header=BB386_13 Depth=1
	v_lshrrev_b32_e32 v60, 24, v58
	v_cmp_ne_u32_e32 vcc, s39, v60
	v_bfrev_b32_e32 v0, 1
	s_and_saveexec_b64 s[34:35], vcc
	s_cbranch_execz .LBB386_91
; %bb.88:                               ;   in Loop: Header=BB386_13 Depth=1
	v_bfe_u32 v1, v58, 24, 7
	v_cmp_ne_u32_e32 vcc, s40, v1
	v_mov_b32_e32 v0, 0x7f800001
	s_and_saveexec_b64 s[36:37], vcc
	s_cbranch_execz .LBB386_90
; %bb.89:                               ;   in Loop: Header=BB386_13 Depth=1
	v_and_b32_e32 v0, 7, v60
	v_ffbh_u32_e32 v4, v0
	v_min_u32_e32 v10, 32, v4
	v_subrev_u32_e32 v4, 28, v10
	v_lshlrev_b64 v[4:5], v4, v[60:61]
	v_lshrrev_b32_e32 v2, 3, v1
	v_sub_u32_e32 v5, 29, v10
	v_and_b32_e32 v4, 7, v4
	v_cmp_gt_u32_e32 vcc, 8, v1
	v_cndmask_b32_e32 v1, v2, v5, vcc
	v_cndmask_b32_e32 v0, v0, v4, vcc
	v_lshlrev_b32_e32 v2, 24, v60
	v_bfrev_b32_e32 v4, 60
	v_lshlrev_b32_e32 v0, 20, v0
	v_and_b32_e32 v2, 0x80000000, v2
	v_lshl_add_u32 v1, v1, 23, v4
	v_or3_b32 v0, v2, v1, v0
.LBB386_90:                             ;   in Loop: Header=BB386_13 Depth=1
	s_or_b64 exec, exec, s[36:37]
.LBB386_91:                             ;   in Loop: Header=BB386_13 Depth=1
	s_or_b64 exec, exec, s[34:35]
.LBB386_92:                             ;   in Loop: Header=BB386_13 Depth=1
	s_or_b64 exec, exec, s[30:31]
	v_mul_f32_e32 v0, v3, v0
	v_and_b32_e32 v1, 0x7f800000, v0
	v_cmp_ne_u32_e32 vcc, s41, v1
                                        ; implicit-def: $vgpr1
                                        ; kill: killed $vgpr1
	s_and_saveexec_b64 s[30:31], vcc
	s_xor_b64 vcc, exec, s[30:31]
	s_cbranch_execz .LBB386_94
; %bb.93:                               ;   in Loop: Header=BB386_13 Depth=1
	v_bfe_u32 v1, v0, 16, 1
	v_add3_u32 v0, v0, v1, s42
	buffer_store_dword v0, off, s[0:3], s32 offset:344 ; 4-byte Folded Spill
                                        ; implicit-def: $vgpr0
.LBB386_94:                             ;   in Loop: Header=BB386_13 Depth=1
	s_andn2_saveexec_b64 s[30:31], vcc
	s_cbranch_execz .LBB386_96
; %bb.95:                               ;   in Loop: Header=BB386_13 Depth=1
	v_or_b32_e32 v1, 0x10000, v0
	v_cmp_eq_u32_sdwa vcc, v0, v62 src0_sel:WORD_0 src1_sel:DWORD
	v_cndmask_b32_e32 v0, v1, v0, vcc
	buffer_store_dword v0, off, s[0:3], s32 offset:344 ; 4-byte Folded Spill
.LBB386_96:                             ;   in Loop: Header=BB386_13 Depth=1
	s_or_b64 exec, exec, s[30:31]
	flat_load_dword v58, v[56:57] offset:512
	v_mov_b32_e32 v0, 0
	s_waitcnt vmcnt(0) lgkmcnt(0)
	v_cmp_ne_u16_sdwa vcc, v58, v62 src0_sel:BYTE_0 src1_sel:DWORD
	s_and_saveexec_b64 s[30:31], vcc
	s_cbranch_execz .LBB386_102
; %bb.97:                               ;   in Loop: Header=BB386_13 Depth=1
	v_cmp_ne_u16_sdwa vcc, v58, s39 src0_sel:BYTE_0 src1_sel:DWORD
	v_bfrev_b32_e32 v0, 1
	s_and_saveexec_b64 s[34:35], vcc
	s_cbranch_execz .LBB386_101
; %bb.98:                               ;   in Loop: Header=BB386_13 Depth=1
	v_and_b32_e32 v1, 0x7f, v58
	v_cmp_ne_u32_e32 vcc, s40, v1
	v_mov_b32_e32 v0, 0x7f800001
	s_and_saveexec_b64 s[36:37], vcc
	s_cbranch_execz .LBB386_100
; %bb.99:                               ;   in Loop: Header=BB386_13 Depth=1
	v_and_b32_e32 v0, 7, v58
	v_ffbh_u32_e32 v4, v0
	v_min_u32_e32 v10, 32, v4
	v_subrev_u32_e32 v4, 28, v10
	v_lshlrev_b64 v[4:5], v4, v[58:59]
	v_lshrrev_b32_e32 v2, 3, v1
	v_sub_u32_e32 v5, 29, v10
	v_and_b32_e32 v4, 7, v4
	v_cmp_gt_u32_e32 vcc, 8, v1
	v_cndmask_b32_e32 v1, v2, v5, vcc
	v_cndmask_b32_e32 v0, v0, v4, vcc
	v_lshlrev_b32_e32 v2, 24, v58
	v_bfrev_b32_e32 v4, 60
	v_lshlrev_b32_e32 v0, 20, v0
	v_and_b32_e32 v2, 0x80000000, v2
	v_lshl_add_u32 v1, v1, 23, v4
	v_or3_b32 v0, v2, v1, v0
.LBB386_100:                            ;   in Loop: Header=BB386_13 Depth=1
	s_or_b64 exec, exec, s[36:37]
.LBB386_101:                            ;   in Loop: Header=BB386_13 Depth=1
	s_or_b64 exec, exec, s[34:35]
.LBB386_102:                            ;   in Loop: Header=BB386_13 Depth=1
	s_or_b64 exec, exec, s[30:31]
	v_mul_f32_e32 v0, v3, v0
	v_and_b32_e32 v1, 0x7f800000, v0
	v_cmp_ne_u32_e32 vcc, s41, v1
                                        ; implicit-def: $vgpr1
                                        ; kill: killed $vgpr1
	s_and_saveexec_b64 s[30:31], vcc
	s_xor_b64 vcc, exec, s[30:31]
	s_cbranch_execz .LBB386_104
; %bb.103:                              ;   in Loop: Header=BB386_13 Depth=1
	v_bfe_u32 v1, v0, 16, 1
	v_add3_u32 v0, v0, v1, s42
	buffer_store_dword v0, off, s[0:3], s32 offset:352 ; 4-byte Folded Spill
                                        ; implicit-def: $vgpr0
.LBB386_104:                            ;   in Loop: Header=BB386_13 Depth=1
	s_andn2_saveexec_b64 s[30:31], vcc
	s_cbranch_execz .LBB386_106
; %bb.105:                              ;   in Loop: Header=BB386_13 Depth=1
	v_or_b32_e32 v1, 0x10000, v0
	v_cmp_eq_u32_sdwa vcc, v0, v62 src0_sel:WORD_0 src1_sel:DWORD
	v_cndmask_b32_e32 v0, v1, v0, vcc
	buffer_store_dword v0, off, s[0:3], s32 offset:352 ; 4-byte Folded Spill
.LBB386_106:                            ;   in Loop: Header=BB386_13 Depth=1
	s_or_b64 exec, exec, s[30:31]
	v_lshrrev_b16_e32 v60, 8, v58
	v_cmp_ne_u16_e32 vcc, 0, v60
	v_mov_b32_e32 v0, 0
	s_and_saveexec_b64 s[30:31], vcc
	s_cbranch_execz .LBB386_112
; %bb.107:                              ;   in Loop: Header=BB386_13 Depth=1
	v_cmp_ne_u16_e32 vcc, s39, v60
	v_bfrev_b32_e32 v0, 1
	s_and_saveexec_b64 s[34:35], vcc
	s_cbranch_execz .LBB386_111
; %bb.108:                              ;   in Loop: Header=BB386_13 Depth=1
	v_and_b32_e32 v1, 0x7f, v60
	v_cmp_ne_u32_e32 vcc, s40, v1
	v_mov_b32_e32 v0, 0x7f800001
	s_and_saveexec_b64 s[36:37], vcc
	s_cbranch_execz .LBB386_110
; %bb.109:                              ;   in Loop: Header=BB386_13 Depth=1
	v_and_b32_e32 v0, 7, v60
	v_ffbh_u32_e32 v4, v0
	v_min_u32_e32 v10, 32, v4
	v_subrev_u32_e32 v4, 28, v10
	v_lshlrev_b64 v[4:5], v4, v[60:61]
	v_lshrrev_b32_e32 v2, 3, v1
	v_sub_u32_e32 v5, 29, v10
	v_and_b32_e32 v4, 7, v4
	v_cmp_gt_u32_e32 vcc, 8, v1
	v_cndmask_b32_e32 v1, v2, v5, vcc
	v_cndmask_b32_e32 v0, v0, v4, vcc
	v_lshlrev_b32_e32 v2, 16, v58
	v_bfrev_b32_e32 v4, 60
	v_lshlrev_b32_e32 v0, 20, v0
	v_and_b32_e32 v2, 0x80000000, v2
	v_lshl_add_u32 v1, v1, 23, v4
	v_or3_b32 v0, v2, v1, v0
.LBB386_110:                            ;   in Loop: Header=BB386_13 Depth=1
	s_or_b64 exec, exec, s[36:37]
.LBB386_111:                            ;   in Loop: Header=BB386_13 Depth=1
	s_or_b64 exec, exec, s[34:35]
.LBB386_112:                            ;   in Loop: Header=BB386_13 Depth=1
	s_or_b64 exec, exec, s[30:31]
	v_mul_f32_e32 v0, v3, v0
	v_and_b32_e32 v1, 0x7f800000, v0
	v_cmp_ne_u32_e32 vcc, s41, v1
                                        ; implicit-def: $vgpr1
                                        ; kill: killed $vgpr1
	s_and_saveexec_b64 s[30:31], vcc
	s_xor_b64 vcc, exec, s[30:31]
	s_cbranch_execz .LBB386_114
; %bb.113:                              ;   in Loop: Header=BB386_13 Depth=1
	v_bfe_u32 v1, v0, 16, 1
	v_add3_u32 v0, v0, v1, s42
	buffer_store_dword v0, off, s[0:3], s32 offset:360 ; 4-byte Folded Spill
                                        ; implicit-def: $vgpr0
.LBB386_114:                            ;   in Loop: Header=BB386_13 Depth=1
	s_andn2_saveexec_b64 s[30:31], vcc
	s_cbranch_execz .LBB386_116
; %bb.115:                              ;   in Loop: Header=BB386_13 Depth=1
	v_or_b32_e32 v1, 0x10000, v0
	v_cmp_eq_u32_sdwa vcc, v0, v62 src0_sel:WORD_0 src1_sel:DWORD
	v_cndmask_b32_e32 v0, v1, v0, vcc
	buffer_store_dword v0, off, s[0:3], s32 offset:360 ; 4-byte Folded Spill
.LBB386_116:                            ;   in Loop: Header=BB386_13 Depth=1
	s_or_b64 exec, exec, s[30:31]
	v_lshrrev_b32_e32 v60, 16, v58
	v_cmp_ne_u16_sdwa vcc, v60, v62 src0_sel:BYTE_0 src1_sel:DWORD
	v_mov_b32_e32 v0, 0
	s_and_saveexec_b64 s[30:31], vcc
	s_cbranch_execz .LBB386_122
; %bb.117:                              ;   in Loop: Header=BB386_13 Depth=1
	v_cmp_ne_u16_sdwa vcc, v60, s39 src0_sel:BYTE_0 src1_sel:DWORD
	v_bfrev_b32_e32 v0, 1
	s_and_saveexec_b64 s[34:35], vcc
	s_cbranch_execz .LBB386_121
; %bb.118:                              ;   in Loop: Header=BB386_13 Depth=1
	v_bfe_u32 v1, v58, 16, 7
	v_cmp_ne_u32_e32 vcc, s40, v1
	v_mov_b32_e32 v0, 0x7f800001
	s_and_saveexec_b64 s[36:37], vcc
	s_cbranch_execz .LBB386_120
; %bb.119:                              ;   in Loop: Header=BB386_13 Depth=1
	v_and_b32_e32 v0, 7, v60
	v_ffbh_u32_e32 v4, v0
	v_min_u32_e32 v10, 32, v4
	v_subrev_u32_e32 v4, 28, v10
	v_lshlrev_b64 v[4:5], v4, v[60:61]
	v_lshrrev_b32_e32 v2, 3, v1
	v_sub_u32_e32 v5, 29, v10
	v_and_b32_e32 v4, 7, v4
	v_cmp_gt_u32_e32 vcc, 8, v1
	v_cndmask_b32_e32 v1, v2, v5, vcc
	v_cndmask_b32_e32 v0, v0, v4, vcc
	v_lshlrev_b32_e32 v2, 24, v60
	v_bfrev_b32_e32 v4, 60
	v_lshlrev_b32_e32 v0, 20, v0
	v_and_b32_e32 v2, 0x80000000, v2
	v_lshl_add_u32 v1, v1, 23, v4
	v_or3_b32 v0, v2, v1, v0
.LBB386_120:                            ;   in Loop: Header=BB386_13 Depth=1
	s_or_b64 exec, exec, s[36:37]
.LBB386_121:                            ;   in Loop: Header=BB386_13 Depth=1
	s_or_b64 exec, exec, s[34:35]
.LBB386_122:                            ;   in Loop: Header=BB386_13 Depth=1
	s_or_b64 exec, exec, s[30:31]
	v_mul_f32_e32 v0, v3, v0
	v_and_b32_e32 v1, 0x7f800000, v0
	v_cmp_ne_u32_e32 vcc, s41, v1
                                        ; implicit-def: $vgpr1
                                        ; kill: killed $vgpr1
	s_and_saveexec_b64 s[30:31], vcc
	s_xor_b64 vcc, exec, s[30:31]
	s_cbranch_execz .LBB386_124
; %bb.123:                              ;   in Loop: Header=BB386_13 Depth=1
	v_bfe_u32 v1, v0, 16, 1
	v_add3_u32 v0, v0, v1, s42
	buffer_store_dword v0, off, s[0:3], s32 offset:368 ; 4-byte Folded Spill
                                        ; implicit-def: $vgpr0
.LBB386_124:                            ;   in Loop: Header=BB386_13 Depth=1
	s_andn2_saveexec_b64 s[30:31], vcc
	s_cbranch_execz .LBB386_126
; %bb.125:                              ;   in Loop: Header=BB386_13 Depth=1
	v_or_b32_e32 v1, 0x10000, v0
	v_cmp_eq_u32_sdwa vcc, v0, v62 src0_sel:WORD_0 src1_sel:DWORD
	v_cndmask_b32_e32 v0, v1, v0, vcc
	buffer_store_dword v0, off, s[0:3], s32 offset:368 ; 4-byte Folded Spill
.LBB386_126:                            ;   in Loop: Header=BB386_13 Depth=1
	s_or_b64 exec, exec, s[30:31]
	v_cmp_lt_u32_e32 vcc, s43, v58
	v_mov_b32_e32 v0, 0
	s_and_saveexec_b64 s[30:31], vcc
	s_cbranch_execz .LBB386_132
; %bb.127:                              ;   in Loop: Header=BB386_13 Depth=1
	v_lshrrev_b32_e32 v60, 24, v58
	v_cmp_ne_u32_e32 vcc, s39, v60
	v_bfrev_b32_e32 v0, 1
	s_and_saveexec_b64 s[34:35], vcc
	s_cbranch_execz .LBB386_131
; %bb.128:                              ;   in Loop: Header=BB386_13 Depth=1
	v_bfe_u32 v1, v58, 24, 7
	v_cmp_ne_u32_e32 vcc, s40, v1
	v_mov_b32_e32 v0, 0x7f800001
	s_and_saveexec_b64 s[36:37], vcc
	s_cbranch_execz .LBB386_130
; %bb.129:                              ;   in Loop: Header=BB386_13 Depth=1
	v_and_b32_e32 v0, 7, v60
	v_ffbh_u32_e32 v4, v0
	v_min_u32_e32 v10, 32, v4
	v_subrev_u32_e32 v4, 28, v10
	v_lshlrev_b64 v[4:5], v4, v[60:61]
	v_lshrrev_b32_e32 v2, 3, v1
	v_sub_u32_e32 v5, 29, v10
	v_and_b32_e32 v4, 7, v4
	v_cmp_gt_u32_e32 vcc, 8, v1
	v_cndmask_b32_e32 v1, v2, v5, vcc
	v_cndmask_b32_e32 v0, v0, v4, vcc
	v_lshlrev_b32_e32 v2, 24, v60
	v_bfrev_b32_e32 v4, 60
	v_lshlrev_b32_e32 v0, 20, v0
	v_and_b32_e32 v2, 0x80000000, v2
	v_lshl_add_u32 v1, v1, 23, v4
	v_or3_b32 v0, v2, v1, v0
.LBB386_130:                            ;   in Loop: Header=BB386_13 Depth=1
	s_or_b64 exec, exec, s[36:37]
.LBB386_131:                            ;   in Loop: Header=BB386_13 Depth=1
	s_or_b64 exec, exec, s[34:35]
.LBB386_132:                            ;   in Loop: Header=BB386_13 Depth=1
	s_or_b64 exec, exec, s[30:31]
	v_mul_f32_e32 v0, v3, v0
	v_and_b32_e32 v1, 0x7f800000, v0
	v_cmp_ne_u32_e32 vcc, s41, v1
                                        ; implicit-def: $vgpr1
                                        ; kill: killed $vgpr1
	s_and_saveexec_b64 s[30:31], vcc
	s_xor_b64 vcc, exec, s[30:31]
	s_cbranch_execz .LBB386_134
; %bb.133:                              ;   in Loop: Header=BB386_13 Depth=1
	v_bfe_u32 v1, v0, 16, 1
	v_add3_u32 v0, v0, v1, s42
	buffer_store_dword v0, off, s[0:3], s32 offset:376 ; 4-byte Folded Spill
                                        ; implicit-def: $vgpr0
.LBB386_134:                            ;   in Loop: Header=BB386_13 Depth=1
	s_andn2_saveexec_b64 s[30:31], vcc
	s_cbranch_execz .LBB386_136
; %bb.135:                              ;   in Loop: Header=BB386_13 Depth=1
	v_or_b32_e32 v1, 0x10000, v0
	v_cmp_eq_u32_sdwa vcc, v0, v62 src0_sel:WORD_0 src1_sel:DWORD
	v_cndmask_b32_e32 v0, v1, v0, vcc
	buffer_store_dword v0, off, s[0:3], s32 offset:376 ; 4-byte Folded Spill
.LBB386_136:                            ;   in Loop: Header=BB386_13 Depth=1
	s_or_b64 exec, exec, s[30:31]
	flat_load_dword v58, v[56:57] offset:520
	v_mov_b32_e32 v0, 0
	s_waitcnt vmcnt(0) lgkmcnt(0)
	v_cmp_ne_u16_sdwa vcc, v58, v62 src0_sel:BYTE_0 src1_sel:DWORD
	s_and_saveexec_b64 s[30:31], vcc
	s_cbranch_execz .LBB386_142
; %bb.137:                              ;   in Loop: Header=BB386_13 Depth=1
	v_cmp_ne_u16_sdwa vcc, v58, s39 src0_sel:BYTE_0 src1_sel:DWORD
	v_bfrev_b32_e32 v0, 1
	s_and_saveexec_b64 s[34:35], vcc
	s_cbranch_execz .LBB386_141
; %bb.138:                              ;   in Loop: Header=BB386_13 Depth=1
	v_and_b32_e32 v1, 0x7f, v58
	v_cmp_ne_u32_e32 vcc, s40, v1
	v_mov_b32_e32 v0, 0x7f800001
	s_and_saveexec_b64 s[36:37], vcc
	s_cbranch_execz .LBB386_140
; %bb.139:                              ;   in Loop: Header=BB386_13 Depth=1
	v_and_b32_e32 v0, 7, v58
	v_ffbh_u32_e32 v4, v0
	v_min_u32_e32 v10, 32, v4
	v_subrev_u32_e32 v4, 28, v10
	v_lshlrev_b64 v[4:5], v4, v[58:59]
	v_lshrrev_b32_e32 v2, 3, v1
	v_sub_u32_e32 v5, 29, v10
	v_and_b32_e32 v4, 7, v4
	v_cmp_gt_u32_e32 vcc, 8, v1
	v_cndmask_b32_e32 v1, v2, v5, vcc
	v_cndmask_b32_e32 v0, v0, v4, vcc
	v_lshlrev_b32_e32 v2, 24, v58
	v_bfrev_b32_e32 v4, 60
	v_lshlrev_b32_e32 v0, 20, v0
	v_and_b32_e32 v2, 0x80000000, v2
	v_lshl_add_u32 v1, v1, 23, v4
	v_or3_b32 v0, v2, v1, v0
.LBB386_140:                            ;   in Loop: Header=BB386_13 Depth=1
	s_or_b64 exec, exec, s[36:37]
.LBB386_141:                            ;   in Loop: Header=BB386_13 Depth=1
	s_or_b64 exec, exec, s[34:35]
.LBB386_142:                            ;   in Loop: Header=BB386_13 Depth=1
	s_or_b64 exec, exec, s[30:31]
	v_mul_f32_e32 v0, v3, v0
	v_and_b32_e32 v1, 0x7f800000, v0
	v_cmp_ne_u32_e32 vcc, s41, v1
                                        ; implicit-def: $vgpr1
                                        ; kill: killed $vgpr1
	s_and_saveexec_b64 s[30:31], vcc
	s_xor_b64 vcc, exec, s[30:31]
	s_cbranch_execz .LBB386_144
; %bb.143:                              ;   in Loop: Header=BB386_13 Depth=1
	v_bfe_u32 v1, v0, 16, 1
	v_add3_u32 v0, v0, v1, s42
	buffer_store_dword v0, off, s[0:3], s32 offset:380 ; 4-byte Folded Spill
                                        ; implicit-def: $vgpr0
.LBB386_144:                            ;   in Loop: Header=BB386_13 Depth=1
	s_andn2_saveexec_b64 s[30:31], vcc
	s_cbranch_execz .LBB386_146
; %bb.145:                              ;   in Loop: Header=BB386_13 Depth=1
	v_or_b32_e32 v1, 0x10000, v0
	v_cmp_eq_u32_sdwa vcc, v0, v62 src0_sel:WORD_0 src1_sel:DWORD
	v_cndmask_b32_e32 v0, v1, v0, vcc
	buffer_store_dword v0, off, s[0:3], s32 offset:380 ; 4-byte Folded Spill
.LBB386_146:                            ;   in Loop: Header=BB386_13 Depth=1
	s_or_b64 exec, exec, s[30:31]
	v_lshrrev_b16_e32 v60, 8, v58
	v_cmp_ne_u16_e32 vcc, 0, v60
	v_mov_b32_e32 v0, 0
	s_and_saveexec_b64 s[30:31], vcc
	s_cbranch_execz .LBB386_152
; %bb.147:                              ;   in Loop: Header=BB386_13 Depth=1
	v_cmp_ne_u16_e32 vcc, s39, v60
	v_bfrev_b32_e32 v0, 1
	s_and_saveexec_b64 s[34:35], vcc
	s_cbranch_execz .LBB386_151
; %bb.148:                              ;   in Loop: Header=BB386_13 Depth=1
	v_and_b32_e32 v1, 0x7f, v60
	v_cmp_ne_u32_e32 vcc, s40, v1
	v_mov_b32_e32 v0, 0x7f800001
	s_and_saveexec_b64 s[36:37], vcc
	s_cbranch_execz .LBB386_150
; %bb.149:                              ;   in Loop: Header=BB386_13 Depth=1
	v_and_b32_e32 v0, 7, v60
	v_ffbh_u32_e32 v4, v0
	v_min_u32_e32 v10, 32, v4
	v_subrev_u32_e32 v4, 28, v10
	v_lshlrev_b64 v[4:5], v4, v[60:61]
	v_lshrrev_b32_e32 v2, 3, v1
	v_sub_u32_e32 v5, 29, v10
	v_and_b32_e32 v4, 7, v4
	v_cmp_gt_u32_e32 vcc, 8, v1
	v_cndmask_b32_e32 v1, v2, v5, vcc
	v_cndmask_b32_e32 v0, v0, v4, vcc
	v_lshlrev_b32_e32 v2, 16, v58
	v_bfrev_b32_e32 v4, 60
	v_lshlrev_b32_e32 v0, 20, v0
	v_and_b32_e32 v2, 0x80000000, v2
	v_lshl_add_u32 v1, v1, 23, v4
	v_or3_b32 v0, v2, v1, v0
.LBB386_150:                            ;   in Loop: Header=BB386_13 Depth=1
	s_or_b64 exec, exec, s[36:37]
.LBB386_151:                            ;   in Loop: Header=BB386_13 Depth=1
	s_or_b64 exec, exec, s[34:35]
.LBB386_152:                            ;   in Loop: Header=BB386_13 Depth=1
	s_or_b64 exec, exec, s[30:31]
	v_mul_f32_e32 v0, v3, v0
	v_and_b32_e32 v1, 0x7f800000, v0
	v_cmp_ne_u32_e32 vcc, s41, v1
                                        ; implicit-def: $vgpr1
                                        ; kill: killed $vgpr1
	s_and_saveexec_b64 s[30:31], vcc
	s_xor_b64 vcc, exec, s[30:31]
	s_cbranch_execz .LBB386_154
; %bb.153:                              ;   in Loop: Header=BB386_13 Depth=1
	v_bfe_u32 v1, v0, 16, 1
	v_add3_u32 v0, v0, v1, s42
	buffer_store_dword v0, off, s[0:3], s32 offset:384 ; 4-byte Folded Spill
                                        ; implicit-def: $vgpr0
.LBB386_154:                            ;   in Loop: Header=BB386_13 Depth=1
	s_andn2_saveexec_b64 s[30:31], vcc
	s_cbranch_execz .LBB386_156
; %bb.155:                              ;   in Loop: Header=BB386_13 Depth=1
	v_or_b32_e32 v1, 0x10000, v0
	v_cmp_eq_u32_sdwa vcc, v0, v62 src0_sel:WORD_0 src1_sel:DWORD
	v_cndmask_b32_e32 v0, v1, v0, vcc
	buffer_store_dword v0, off, s[0:3], s32 offset:384 ; 4-byte Folded Spill
.LBB386_156:                            ;   in Loop: Header=BB386_13 Depth=1
	s_or_b64 exec, exec, s[30:31]
	v_lshrrev_b32_e32 v60, 16, v58
	v_cmp_ne_u16_sdwa vcc, v60, v62 src0_sel:BYTE_0 src1_sel:DWORD
	v_mov_b32_e32 v0, 0
	s_and_saveexec_b64 s[30:31], vcc
	s_cbranch_execz .LBB386_162
; %bb.157:                              ;   in Loop: Header=BB386_13 Depth=1
	v_cmp_ne_u16_sdwa vcc, v60, s39 src0_sel:BYTE_0 src1_sel:DWORD
	v_bfrev_b32_e32 v0, 1
	s_and_saveexec_b64 s[34:35], vcc
	s_cbranch_execz .LBB386_161
; %bb.158:                              ;   in Loop: Header=BB386_13 Depth=1
	v_bfe_u32 v1, v58, 16, 7
	v_cmp_ne_u32_e32 vcc, s40, v1
	v_mov_b32_e32 v0, 0x7f800001
	s_and_saveexec_b64 s[36:37], vcc
	s_cbranch_execz .LBB386_160
; %bb.159:                              ;   in Loop: Header=BB386_13 Depth=1
	v_and_b32_e32 v0, 7, v60
	v_ffbh_u32_e32 v4, v0
	v_min_u32_e32 v10, 32, v4
	v_subrev_u32_e32 v4, 28, v10
	v_lshlrev_b64 v[4:5], v4, v[60:61]
	v_lshrrev_b32_e32 v2, 3, v1
	v_sub_u32_e32 v5, 29, v10
	v_and_b32_e32 v4, 7, v4
	v_cmp_gt_u32_e32 vcc, 8, v1
	v_cndmask_b32_e32 v1, v2, v5, vcc
	v_cndmask_b32_e32 v0, v0, v4, vcc
	v_lshlrev_b32_e32 v2, 24, v60
	v_bfrev_b32_e32 v4, 60
	v_lshlrev_b32_e32 v0, 20, v0
	v_and_b32_e32 v2, 0x80000000, v2
	v_lshl_add_u32 v1, v1, 23, v4
	v_or3_b32 v0, v2, v1, v0
.LBB386_160:                            ;   in Loop: Header=BB386_13 Depth=1
	s_or_b64 exec, exec, s[36:37]
.LBB386_161:                            ;   in Loop: Header=BB386_13 Depth=1
	s_or_b64 exec, exec, s[34:35]
.LBB386_162:                            ;   in Loop: Header=BB386_13 Depth=1
	s_or_b64 exec, exec, s[30:31]
	v_mul_f32_e32 v0, v3, v0
	v_and_b32_e32 v1, 0x7f800000, v0
	v_cmp_ne_u32_e32 vcc, s41, v1
                                        ; implicit-def: $vgpr1
                                        ; kill: killed $vgpr1
	s_and_saveexec_b64 s[30:31], vcc
	s_xor_b64 vcc, exec, s[30:31]
	s_cbranch_execz .LBB386_164
; %bb.163:                              ;   in Loop: Header=BB386_13 Depth=1
	v_bfe_u32 v1, v0, 16, 1
	v_add3_u32 v0, v0, v1, s42
	buffer_store_dword v0, off, s[0:3], s32 offset:388 ; 4-byte Folded Spill
                                        ; implicit-def: $vgpr0
.LBB386_164:                            ;   in Loop: Header=BB386_13 Depth=1
	s_andn2_saveexec_b64 s[30:31], vcc
	s_cbranch_execz .LBB386_166
; %bb.165:                              ;   in Loop: Header=BB386_13 Depth=1
	v_or_b32_e32 v1, 0x10000, v0
	v_cmp_eq_u32_sdwa vcc, v0, v62 src0_sel:WORD_0 src1_sel:DWORD
	v_cndmask_b32_e32 v0, v1, v0, vcc
	buffer_store_dword v0, off, s[0:3], s32 offset:388 ; 4-byte Folded Spill
.LBB386_166:                            ;   in Loop: Header=BB386_13 Depth=1
	s_or_b64 exec, exec, s[30:31]
	v_cmp_lt_u32_e32 vcc, s43, v58
	v_mov_b32_e32 v0, 0
	s_and_saveexec_b64 s[30:31], vcc
	s_cbranch_execz .LBB386_172
; %bb.167:                              ;   in Loop: Header=BB386_13 Depth=1
	v_lshrrev_b32_e32 v60, 24, v58
	v_cmp_ne_u32_e32 vcc, s39, v60
	v_bfrev_b32_e32 v0, 1
	s_and_saveexec_b64 s[34:35], vcc
	s_cbranch_execz .LBB386_171
; %bb.168:                              ;   in Loop: Header=BB386_13 Depth=1
	v_bfe_u32 v1, v58, 24, 7
	v_cmp_ne_u32_e32 vcc, s40, v1
	v_mov_b32_e32 v0, 0x7f800001
	s_and_saveexec_b64 s[36:37], vcc
	s_cbranch_execz .LBB386_170
; %bb.169:                              ;   in Loop: Header=BB386_13 Depth=1
	v_and_b32_e32 v0, 7, v60
	v_ffbh_u32_e32 v4, v0
	v_min_u32_e32 v10, 32, v4
	v_subrev_u32_e32 v4, 28, v10
	v_lshlrev_b64 v[4:5], v4, v[60:61]
	v_lshrrev_b32_e32 v2, 3, v1
	v_sub_u32_e32 v5, 29, v10
	v_and_b32_e32 v4, 7, v4
	v_cmp_gt_u32_e32 vcc, 8, v1
	v_cndmask_b32_e32 v1, v2, v5, vcc
	v_cndmask_b32_e32 v0, v0, v4, vcc
	v_lshlrev_b32_e32 v2, 24, v60
	v_bfrev_b32_e32 v4, 60
	v_lshlrev_b32_e32 v0, 20, v0
	v_and_b32_e32 v2, 0x80000000, v2
	v_lshl_add_u32 v1, v1, 23, v4
	v_or3_b32 v0, v2, v1, v0
.LBB386_170:                            ;   in Loop: Header=BB386_13 Depth=1
	s_or_b64 exec, exec, s[36:37]
.LBB386_171:                            ;   in Loop: Header=BB386_13 Depth=1
	s_or_b64 exec, exec, s[34:35]
.LBB386_172:                            ;   in Loop: Header=BB386_13 Depth=1
	s_or_b64 exec, exec, s[30:31]
	v_mul_f32_e32 v0, v3, v0
	v_and_b32_e32 v1, 0x7f800000, v0
	v_cmp_ne_u32_e32 vcc, s41, v1
                                        ; implicit-def: $vgpr1
                                        ; kill: killed $vgpr1
	s_and_saveexec_b64 s[30:31], vcc
	s_xor_b64 vcc, exec, s[30:31]
	s_cbranch_execz .LBB386_174
; %bb.173:                              ;   in Loop: Header=BB386_13 Depth=1
	v_bfe_u32 v1, v0, 16, 1
	v_add3_u32 v0, v0, v1, s42
	buffer_store_dword v0, off, s[0:3], s32 offset:392 ; 4-byte Folded Spill
                                        ; implicit-def: $vgpr0
.LBB386_174:                            ;   in Loop: Header=BB386_13 Depth=1
	s_andn2_saveexec_b64 s[30:31], vcc
	s_cbranch_execz .LBB386_176
; %bb.175:                              ;   in Loop: Header=BB386_13 Depth=1
	v_or_b32_e32 v1, 0x10000, v0
	v_cmp_eq_u32_sdwa vcc, v0, v62 src0_sel:WORD_0 src1_sel:DWORD
	v_cndmask_b32_e32 v0, v1, v0, vcc
	buffer_store_dword v0, off, s[0:3], s32 offset:392 ; 4-byte Folded Spill
.LBB386_176:                            ;   in Loop: Header=BB386_13 Depth=1
	s_or_b64 exec, exec, s[30:31]
	flat_load_dword v58, v[56:57] offset:1024
	v_mov_b32_e32 v0, 0
	s_waitcnt vmcnt(0) lgkmcnt(0)
	v_cmp_ne_u16_sdwa vcc, v58, v62 src0_sel:BYTE_0 src1_sel:DWORD
	s_and_saveexec_b64 s[30:31], vcc
	s_cbranch_execz .LBB386_182
; %bb.177:                              ;   in Loop: Header=BB386_13 Depth=1
	v_cmp_ne_u16_sdwa vcc, v58, s39 src0_sel:BYTE_0 src1_sel:DWORD
	v_bfrev_b32_e32 v0, 1
	s_and_saveexec_b64 s[34:35], vcc
	s_cbranch_execz .LBB386_181
; %bb.178:                              ;   in Loop: Header=BB386_13 Depth=1
	v_and_b32_e32 v1, 0x7f, v58
	v_cmp_ne_u32_e32 vcc, s40, v1
	v_mov_b32_e32 v0, 0x7f800001
	s_and_saveexec_b64 s[36:37], vcc
	s_cbranch_execz .LBB386_180
; %bb.179:                              ;   in Loop: Header=BB386_13 Depth=1
	v_and_b32_e32 v0, 7, v58
	v_ffbh_u32_e32 v4, v0
	v_min_u32_e32 v10, 32, v4
	v_subrev_u32_e32 v4, 28, v10
	v_lshlrev_b64 v[4:5], v4, v[58:59]
	v_lshrrev_b32_e32 v2, 3, v1
	v_sub_u32_e32 v5, 29, v10
	v_and_b32_e32 v4, 7, v4
	v_cmp_gt_u32_e32 vcc, 8, v1
	v_cndmask_b32_e32 v1, v2, v5, vcc
	v_cndmask_b32_e32 v0, v0, v4, vcc
	v_lshlrev_b32_e32 v2, 24, v58
	v_bfrev_b32_e32 v4, 60
	v_lshlrev_b32_e32 v0, 20, v0
	v_and_b32_e32 v2, 0x80000000, v2
	v_lshl_add_u32 v1, v1, 23, v4
	v_or3_b32 v0, v2, v1, v0
.LBB386_180:                            ;   in Loop: Header=BB386_13 Depth=1
	s_or_b64 exec, exec, s[36:37]
.LBB386_181:                            ;   in Loop: Header=BB386_13 Depth=1
	s_or_b64 exec, exec, s[34:35]
.LBB386_182:                            ;   in Loop: Header=BB386_13 Depth=1
	s_or_b64 exec, exec, s[30:31]
	v_mul_f32_e32 v0, v3, v0
	v_and_b32_e32 v1, 0x7f800000, v0
	v_cmp_ne_u32_e32 vcc, s41, v1
                                        ; implicit-def: $vgpr1
                                        ; kill: killed $vgpr1
	s_and_saveexec_b64 s[30:31], vcc
	s_xor_b64 vcc, exec, s[30:31]
	s_cbranch_execz .LBB386_184
; %bb.183:                              ;   in Loop: Header=BB386_13 Depth=1
	v_bfe_u32 v1, v0, 16, 1
	v_add3_u32 v0, v0, v1, s42
	buffer_store_dword v0, off, s[0:3], s32 offset:396 ; 4-byte Folded Spill
                                        ; implicit-def: $vgpr0
.LBB386_184:                            ;   in Loop: Header=BB386_13 Depth=1
	s_andn2_saveexec_b64 s[30:31], vcc
	s_cbranch_execz .LBB386_186
; %bb.185:                              ;   in Loop: Header=BB386_13 Depth=1
	v_or_b32_e32 v1, 0x10000, v0
	v_cmp_eq_u32_sdwa vcc, v0, v62 src0_sel:WORD_0 src1_sel:DWORD
	v_cndmask_b32_e32 v0, v1, v0, vcc
	buffer_store_dword v0, off, s[0:3], s32 offset:396 ; 4-byte Folded Spill
.LBB386_186:                            ;   in Loop: Header=BB386_13 Depth=1
	s_or_b64 exec, exec, s[30:31]
	v_lshrrev_b16_e32 v60, 8, v58
	v_cmp_ne_u16_e32 vcc, 0, v60
	v_mov_b32_e32 v0, 0
	s_and_saveexec_b64 s[30:31], vcc
	s_cbranch_execz .LBB386_192
; %bb.187:                              ;   in Loop: Header=BB386_13 Depth=1
	v_cmp_ne_u16_e32 vcc, s39, v60
	v_bfrev_b32_e32 v0, 1
	s_and_saveexec_b64 s[34:35], vcc
	s_cbranch_execz .LBB386_191
; %bb.188:                              ;   in Loop: Header=BB386_13 Depth=1
	v_and_b32_e32 v1, 0x7f, v60
	v_cmp_ne_u32_e32 vcc, s40, v1
	v_mov_b32_e32 v0, 0x7f800001
	s_and_saveexec_b64 s[36:37], vcc
	s_cbranch_execz .LBB386_190
; %bb.189:                              ;   in Loop: Header=BB386_13 Depth=1
	v_and_b32_e32 v0, 7, v60
	v_ffbh_u32_e32 v4, v0
	v_min_u32_e32 v10, 32, v4
	v_subrev_u32_e32 v4, 28, v10
	v_lshlrev_b64 v[4:5], v4, v[60:61]
	v_lshrrev_b32_e32 v2, 3, v1
	v_sub_u32_e32 v5, 29, v10
	v_and_b32_e32 v4, 7, v4
	v_cmp_gt_u32_e32 vcc, 8, v1
	v_cndmask_b32_e32 v1, v2, v5, vcc
	v_cndmask_b32_e32 v0, v0, v4, vcc
	v_lshlrev_b32_e32 v2, 16, v58
	v_bfrev_b32_e32 v4, 60
	v_lshlrev_b32_e32 v0, 20, v0
	v_and_b32_e32 v2, 0x80000000, v2
	v_lshl_add_u32 v1, v1, 23, v4
	v_or3_b32 v0, v2, v1, v0
.LBB386_190:                            ;   in Loop: Header=BB386_13 Depth=1
	s_or_b64 exec, exec, s[36:37]
.LBB386_191:                            ;   in Loop: Header=BB386_13 Depth=1
	s_or_b64 exec, exec, s[34:35]
.LBB386_192:                            ;   in Loop: Header=BB386_13 Depth=1
	s_or_b64 exec, exec, s[30:31]
	v_mul_f32_e32 v0, v3, v0
	v_and_b32_e32 v1, 0x7f800000, v0
	v_cmp_ne_u32_e32 vcc, s41, v1
                                        ; implicit-def: $vgpr1
                                        ; kill: killed $vgpr1
	s_and_saveexec_b64 s[30:31], vcc
	s_xor_b64 vcc, exec, s[30:31]
	s_cbranch_execz .LBB386_194
; %bb.193:                              ;   in Loop: Header=BB386_13 Depth=1
	v_bfe_u32 v1, v0, 16, 1
	v_add3_u32 v0, v0, v1, s42
	buffer_store_dword v0, off, s[0:3], s32 offset:400 ; 4-byte Folded Spill
                                        ; implicit-def: $vgpr0
.LBB386_194:                            ;   in Loop: Header=BB386_13 Depth=1
	s_andn2_saveexec_b64 s[30:31], vcc
	s_cbranch_execz .LBB386_196
; %bb.195:                              ;   in Loop: Header=BB386_13 Depth=1
	v_or_b32_e32 v1, 0x10000, v0
	v_cmp_eq_u32_sdwa vcc, v0, v62 src0_sel:WORD_0 src1_sel:DWORD
	v_cndmask_b32_e32 v0, v1, v0, vcc
	buffer_store_dword v0, off, s[0:3], s32 offset:400 ; 4-byte Folded Spill
.LBB386_196:                            ;   in Loop: Header=BB386_13 Depth=1
	s_or_b64 exec, exec, s[30:31]
	v_lshrrev_b32_e32 v60, 16, v58
	v_cmp_ne_u16_sdwa vcc, v60, v62 src0_sel:BYTE_0 src1_sel:DWORD
	v_mov_b32_e32 v0, 0
	s_and_saveexec_b64 s[30:31], vcc
	s_cbranch_execz .LBB386_202
; %bb.197:                              ;   in Loop: Header=BB386_13 Depth=1
	v_cmp_ne_u16_sdwa vcc, v60, s39 src0_sel:BYTE_0 src1_sel:DWORD
	v_bfrev_b32_e32 v0, 1
	s_and_saveexec_b64 s[34:35], vcc
	s_cbranch_execz .LBB386_201
; %bb.198:                              ;   in Loop: Header=BB386_13 Depth=1
	v_bfe_u32 v1, v58, 16, 7
	v_cmp_ne_u32_e32 vcc, s40, v1
	v_mov_b32_e32 v0, 0x7f800001
	s_and_saveexec_b64 s[36:37], vcc
	s_cbranch_execz .LBB386_200
; %bb.199:                              ;   in Loop: Header=BB386_13 Depth=1
	v_and_b32_e32 v0, 7, v60
	v_ffbh_u32_e32 v4, v0
	v_min_u32_e32 v10, 32, v4
	v_subrev_u32_e32 v4, 28, v10
	v_lshlrev_b64 v[4:5], v4, v[60:61]
	v_lshrrev_b32_e32 v2, 3, v1
	v_sub_u32_e32 v5, 29, v10
	v_and_b32_e32 v4, 7, v4
	v_cmp_gt_u32_e32 vcc, 8, v1
	v_cndmask_b32_e32 v1, v2, v5, vcc
	v_cndmask_b32_e32 v0, v0, v4, vcc
	v_lshlrev_b32_e32 v2, 24, v60
	v_bfrev_b32_e32 v4, 60
	v_lshlrev_b32_e32 v0, 20, v0
	v_and_b32_e32 v2, 0x80000000, v2
	v_lshl_add_u32 v1, v1, 23, v4
	v_or3_b32 v0, v2, v1, v0
.LBB386_200:                            ;   in Loop: Header=BB386_13 Depth=1
	s_or_b64 exec, exec, s[36:37]
.LBB386_201:                            ;   in Loop: Header=BB386_13 Depth=1
	s_or_b64 exec, exec, s[34:35]
.LBB386_202:                            ;   in Loop: Header=BB386_13 Depth=1
	s_or_b64 exec, exec, s[30:31]
	v_mul_f32_e32 v0, v3, v0
	v_and_b32_e32 v1, 0x7f800000, v0
	v_cmp_ne_u32_e32 vcc, s41, v1
                                        ; implicit-def: $vgpr1
                                        ; kill: killed $vgpr1
	s_and_saveexec_b64 s[30:31], vcc
	s_xor_b64 vcc, exec, s[30:31]
	s_cbranch_execz .LBB386_204
; %bb.203:                              ;   in Loop: Header=BB386_13 Depth=1
	v_bfe_u32 v1, v0, 16, 1
	v_add3_u32 v0, v0, v1, s42
	buffer_store_dword v0, off, s[0:3], s32 offset:404 ; 4-byte Folded Spill
                                        ; implicit-def: $vgpr0
.LBB386_204:                            ;   in Loop: Header=BB386_13 Depth=1
	s_andn2_saveexec_b64 s[30:31], vcc
	s_cbranch_execz .LBB386_206
; %bb.205:                              ;   in Loop: Header=BB386_13 Depth=1
	v_or_b32_e32 v1, 0x10000, v0
	v_cmp_eq_u32_sdwa vcc, v0, v62 src0_sel:WORD_0 src1_sel:DWORD
	v_cndmask_b32_e32 v0, v1, v0, vcc
	buffer_store_dword v0, off, s[0:3], s32 offset:404 ; 4-byte Folded Spill
.LBB386_206:                            ;   in Loop: Header=BB386_13 Depth=1
	s_or_b64 exec, exec, s[30:31]
	v_cmp_lt_u32_e32 vcc, s43, v58
	v_mov_b32_e32 v0, 0
	s_and_saveexec_b64 s[30:31], vcc
	s_cbranch_execz .LBB386_212
; %bb.207:                              ;   in Loop: Header=BB386_13 Depth=1
	v_lshrrev_b32_e32 v60, 24, v58
	v_cmp_ne_u32_e32 vcc, s39, v60
	v_bfrev_b32_e32 v0, 1
	s_and_saveexec_b64 s[34:35], vcc
	s_cbranch_execz .LBB386_211
; %bb.208:                              ;   in Loop: Header=BB386_13 Depth=1
	v_bfe_u32 v1, v58, 24, 7
	v_cmp_ne_u32_e32 vcc, s40, v1
	v_mov_b32_e32 v0, 0x7f800001
	s_and_saveexec_b64 s[36:37], vcc
	s_cbranch_execz .LBB386_210
; %bb.209:                              ;   in Loop: Header=BB386_13 Depth=1
	v_and_b32_e32 v0, 7, v60
	v_ffbh_u32_e32 v4, v0
	v_min_u32_e32 v10, 32, v4
	v_subrev_u32_e32 v4, 28, v10
	v_lshlrev_b64 v[4:5], v4, v[60:61]
	v_lshrrev_b32_e32 v2, 3, v1
	v_sub_u32_e32 v5, 29, v10
	v_and_b32_e32 v4, 7, v4
	v_cmp_gt_u32_e32 vcc, 8, v1
	v_cndmask_b32_e32 v1, v2, v5, vcc
	v_cndmask_b32_e32 v0, v0, v4, vcc
	v_lshlrev_b32_e32 v2, 24, v60
	v_bfrev_b32_e32 v4, 60
	v_lshlrev_b32_e32 v0, 20, v0
	v_and_b32_e32 v2, 0x80000000, v2
	v_lshl_add_u32 v1, v1, 23, v4
	v_or3_b32 v0, v2, v1, v0
.LBB386_210:                            ;   in Loop: Header=BB386_13 Depth=1
	s_or_b64 exec, exec, s[36:37]
.LBB386_211:                            ;   in Loop: Header=BB386_13 Depth=1
	s_or_b64 exec, exec, s[34:35]
.LBB386_212:                            ;   in Loop: Header=BB386_13 Depth=1
	s_or_b64 exec, exec, s[30:31]
	v_mul_f32_e32 v0, v3, v0
	v_and_b32_e32 v1, 0x7f800000, v0
	v_cmp_ne_u32_e32 vcc, s41, v1
                                        ; implicit-def: $vgpr1
                                        ; kill: killed $vgpr1
	s_and_saveexec_b64 s[30:31], vcc
	s_xor_b64 vcc, exec, s[30:31]
	s_cbranch_execz .LBB386_214
; %bb.213:                              ;   in Loop: Header=BB386_13 Depth=1
	v_bfe_u32 v1, v0, 16, 1
	v_add3_u32 v0, v0, v1, s42
	buffer_store_dword v0, off, s[0:3], s32 offset:408 ; 4-byte Folded Spill
                                        ; implicit-def: $vgpr0
.LBB386_214:                            ;   in Loop: Header=BB386_13 Depth=1
	s_andn2_saveexec_b64 s[30:31], vcc
	s_cbranch_execz .LBB386_216
; %bb.215:                              ;   in Loop: Header=BB386_13 Depth=1
	v_or_b32_e32 v1, 0x10000, v0
	v_cmp_eq_u32_sdwa vcc, v0, v62 src0_sel:WORD_0 src1_sel:DWORD
	v_cndmask_b32_e32 v0, v1, v0, vcc
	buffer_store_dword v0, off, s[0:3], s32 offset:408 ; 4-byte Folded Spill
.LBB386_216:                            ;   in Loop: Header=BB386_13 Depth=1
	s_or_b64 exec, exec, s[30:31]
	flat_load_dword v58, v[56:57] offset:1032
	v_mov_b32_e32 v0, 0
	s_waitcnt vmcnt(0) lgkmcnt(0)
	v_cmp_ne_u16_sdwa vcc, v58, v62 src0_sel:BYTE_0 src1_sel:DWORD
	s_and_saveexec_b64 s[30:31], vcc
	s_cbranch_execz .LBB386_222
; %bb.217:                              ;   in Loop: Header=BB386_13 Depth=1
	v_cmp_ne_u16_sdwa vcc, v58, s39 src0_sel:BYTE_0 src1_sel:DWORD
	v_bfrev_b32_e32 v0, 1
	s_and_saveexec_b64 s[34:35], vcc
	s_cbranch_execz .LBB386_221
; %bb.218:                              ;   in Loop: Header=BB386_13 Depth=1
	v_and_b32_e32 v1, 0x7f, v58
	v_cmp_ne_u32_e32 vcc, s40, v1
	v_mov_b32_e32 v0, 0x7f800001
	s_and_saveexec_b64 s[36:37], vcc
	s_cbranch_execz .LBB386_220
; %bb.219:                              ;   in Loop: Header=BB386_13 Depth=1
	v_and_b32_e32 v0, 7, v58
	v_ffbh_u32_e32 v4, v0
	v_min_u32_e32 v10, 32, v4
	v_subrev_u32_e32 v4, 28, v10
	v_lshlrev_b64 v[4:5], v4, v[58:59]
	v_lshrrev_b32_e32 v2, 3, v1
	v_sub_u32_e32 v5, 29, v10
	v_and_b32_e32 v4, 7, v4
	v_cmp_gt_u32_e32 vcc, 8, v1
	v_cndmask_b32_e32 v1, v2, v5, vcc
	v_cndmask_b32_e32 v0, v0, v4, vcc
	v_lshlrev_b32_e32 v2, 24, v58
	v_bfrev_b32_e32 v4, 60
	v_lshlrev_b32_e32 v0, 20, v0
	v_and_b32_e32 v2, 0x80000000, v2
	v_lshl_add_u32 v1, v1, 23, v4
	v_or3_b32 v0, v2, v1, v0
.LBB386_220:                            ;   in Loop: Header=BB386_13 Depth=1
	s_or_b64 exec, exec, s[36:37]
.LBB386_221:                            ;   in Loop: Header=BB386_13 Depth=1
	s_or_b64 exec, exec, s[34:35]
.LBB386_222:                            ;   in Loop: Header=BB386_13 Depth=1
	s_or_b64 exec, exec, s[30:31]
	v_mul_f32_e32 v0, v3, v0
	v_and_b32_e32 v1, 0x7f800000, v0
	v_cmp_ne_u32_e32 vcc, s41, v1
                                        ; implicit-def: $vgpr1
                                        ; kill: killed $vgpr1
	s_and_saveexec_b64 s[30:31], vcc
	s_xor_b64 vcc, exec, s[30:31]
	s_cbranch_execz .LBB386_224
; %bb.223:                              ;   in Loop: Header=BB386_13 Depth=1
	v_bfe_u32 v1, v0, 16, 1
	v_add3_u32 v0, v0, v1, s42
	buffer_store_dword v0, off, s[0:3], s32 offset:412 ; 4-byte Folded Spill
                                        ; implicit-def: $vgpr0
.LBB386_224:                            ;   in Loop: Header=BB386_13 Depth=1
	s_andn2_saveexec_b64 s[30:31], vcc
	s_cbranch_execz .LBB386_226
; %bb.225:                              ;   in Loop: Header=BB386_13 Depth=1
	v_or_b32_e32 v1, 0x10000, v0
	v_cmp_eq_u32_sdwa vcc, v0, v62 src0_sel:WORD_0 src1_sel:DWORD
	v_cndmask_b32_e32 v0, v1, v0, vcc
	buffer_store_dword v0, off, s[0:3], s32 offset:412 ; 4-byte Folded Spill
.LBB386_226:                            ;   in Loop: Header=BB386_13 Depth=1
	s_or_b64 exec, exec, s[30:31]
	v_lshrrev_b16_e32 v60, 8, v58
	v_cmp_ne_u16_e32 vcc, 0, v60
	v_mov_b32_e32 v0, 0
	s_and_saveexec_b64 s[30:31], vcc
	s_cbranch_execz .LBB386_232
; %bb.227:                              ;   in Loop: Header=BB386_13 Depth=1
	v_cmp_ne_u16_e32 vcc, s39, v60
	v_bfrev_b32_e32 v0, 1
	s_and_saveexec_b64 s[34:35], vcc
	s_cbranch_execz .LBB386_231
; %bb.228:                              ;   in Loop: Header=BB386_13 Depth=1
	v_and_b32_e32 v1, 0x7f, v60
	v_cmp_ne_u32_e32 vcc, s40, v1
	v_mov_b32_e32 v0, 0x7f800001
	s_and_saveexec_b64 s[36:37], vcc
	s_cbranch_execz .LBB386_230
; %bb.229:                              ;   in Loop: Header=BB386_13 Depth=1
	v_and_b32_e32 v0, 7, v60
	v_ffbh_u32_e32 v4, v0
	v_min_u32_e32 v10, 32, v4
	v_subrev_u32_e32 v4, 28, v10
	v_lshlrev_b64 v[4:5], v4, v[60:61]
	v_lshrrev_b32_e32 v2, 3, v1
	v_sub_u32_e32 v5, 29, v10
	v_and_b32_e32 v4, 7, v4
	v_cmp_gt_u32_e32 vcc, 8, v1
	v_cndmask_b32_e32 v1, v2, v5, vcc
	v_cndmask_b32_e32 v0, v0, v4, vcc
	v_lshlrev_b32_e32 v2, 16, v58
	v_bfrev_b32_e32 v4, 60
	v_lshlrev_b32_e32 v0, 20, v0
	v_and_b32_e32 v2, 0x80000000, v2
	v_lshl_add_u32 v1, v1, 23, v4
	v_or3_b32 v0, v2, v1, v0
.LBB386_230:                            ;   in Loop: Header=BB386_13 Depth=1
	s_or_b64 exec, exec, s[36:37]
.LBB386_231:                            ;   in Loop: Header=BB386_13 Depth=1
	s_or_b64 exec, exec, s[34:35]
.LBB386_232:                            ;   in Loop: Header=BB386_13 Depth=1
	s_or_b64 exec, exec, s[30:31]
	v_mul_f32_e32 v0, v3, v0
	v_and_b32_e32 v1, 0x7f800000, v0
	v_cmp_ne_u32_e32 vcc, s41, v1
                                        ; implicit-def: $vgpr1
                                        ; kill: killed $vgpr1
	s_and_saveexec_b64 s[30:31], vcc
	s_xor_b64 vcc, exec, s[30:31]
	s_cbranch_execz .LBB386_234
; %bb.233:                              ;   in Loop: Header=BB386_13 Depth=1
	v_bfe_u32 v1, v0, 16, 1
	v_add3_u32 v0, v0, v1, s42
	buffer_store_dword v0, off, s[0:3], s32 offset:416 ; 4-byte Folded Spill
                                        ; implicit-def: $vgpr0
.LBB386_234:                            ;   in Loop: Header=BB386_13 Depth=1
	s_andn2_saveexec_b64 s[30:31], vcc
	s_cbranch_execz .LBB386_236
; %bb.235:                              ;   in Loop: Header=BB386_13 Depth=1
	v_or_b32_e32 v1, 0x10000, v0
	v_cmp_eq_u32_sdwa vcc, v0, v62 src0_sel:WORD_0 src1_sel:DWORD
	v_cndmask_b32_e32 v0, v1, v0, vcc
	buffer_store_dword v0, off, s[0:3], s32 offset:416 ; 4-byte Folded Spill
.LBB386_236:                            ;   in Loop: Header=BB386_13 Depth=1
	s_or_b64 exec, exec, s[30:31]
	v_lshrrev_b32_e32 v60, 16, v58
	v_cmp_ne_u16_sdwa vcc, v60, v62 src0_sel:BYTE_0 src1_sel:DWORD
	v_mov_b32_e32 v0, 0
	s_and_saveexec_b64 s[30:31], vcc
	s_cbranch_execz .LBB386_242
; %bb.237:                              ;   in Loop: Header=BB386_13 Depth=1
	v_cmp_ne_u16_sdwa vcc, v60, s39 src0_sel:BYTE_0 src1_sel:DWORD
	v_bfrev_b32_e32 v0, 1
	s_and_saveexec_b64 s[34:35], vcc
	s_cbranch_execz .LBB386_241
; %bb.238:                              ;   in Loop: Header=BB386_13 Depth=1
	v_bfe_u32 v1, v58, 16, 7
	v_cmp_ne_u32_e32 vcc, s40, v1
	v_mov_b32_e32 v0, 0x7f800001
	s_and_saveexec_b64 s[36:37], vcc
	s_cbranch_execz .LBB386_240
; %bb.239:                              ;   in Loop: Header=BB386_13 Depth=1
	v_and_b32_e32 v0, 7, v60
	v_ffbh_u32_e32 v4, v0
	v_min_u32_e32 v10, 32, v4
	v_subrev_u32_e32 v4, 28, v10
	v_lshlrev_b64 v[4:5], v4, v[60:61]
	v_lshrrev_b32_e32 v2, 3, v1
	v_sub_u32_e32 v5, 29, v10
	v_and_b32_e32 v4, 7, v4
	v_cmp_gt_u32_e32 vcc, 8, v1
	v_cndmask_b32_e32 v1, v2, v5, vcc
	v_cndmask_b32_e32 v0, v0, v4, vcc
	v_lshlrev_b32_e32 v2, 24, v60
	v_bfrev_b32_e32 v4, 60
	v_lshlrev_b32_e32 v0, 20, v0
	v_and_b32_e32 v2, 0x80000000, v2
	v_lshl_add_u32 v1, v1, 23, v4
	v_or3_b32 v0, v2, v1, v0
.LBB386_240:                            ;   in Loop: Header=BB386_13 Depth=1
	s_or_b64 exec, exec, s[36:37]
.LBB386_241:                            ;   in Loop: Header=BB386_13 Depth=1
	s_or_b64 exec, exec, s[34:35]
.LBB386_242:                            ;   in Loop: Header=BB386_13 Depth=1
	s_or_b64 exec, exec, s[30:31]
	v_mul_f32_e32 v0, v3, v0
	v_and_b32_e32 v1, 0x7f800000, v0
	v_cmp_ne_u32_e32 vcc, s41, v1
                                        ; implicit-def: $vgpr1
                                        ; kill: killed $vgpr1
	s_and_saveexec_b64 s[30:31], vcc
	s_xor_b64 vcc, exec, s[30:31]
	s_cbranch_execz .LBB386_244
; %bb.243:                              ;   in Loop: Header=BB386_13 Depth=1
	v_bfe_u32 v1, v0, 16, 1
	v_add3_u32 v0, v0, v1, s42
	buffer_store_dword v0, off, s[0:3], s32 offset:420 ; 4-byte Folded Spill
                                        ; implicit-def: $vgpr0
.LBB386_244:                            ;   in Loop: Header=BB386_13 Depth=1
	s_andn2_saveexec_b64 s[30:31], vcc
	s_cbranch_execz .LBB386_246
; %bb.245:                              ;   in Loop: Header=BB386_13 Depth=1
	v_or_b32_e32 v1, 0x10000, v0
	v_cmp_eq_u32_sdwa vcc, v0, v62 src0_sel:WORD_0 src1_sel:DWORD
	v_cndmask_b32_e32 v0, v1, v0, vcc
	buffer_store_dword v0, off, s[0:3], s32 offset:420 ; 4-byte Folded Spill
.LBB386_246:                            ;   in Loop: Header=BB386_13 Depth=1
	s_or_b64 exec, exec, s[30:31]
	v_cmp_lt_u32_e32 vcc, s43, v58
	v_mov_b32_e32 v0, 0
	s_and_saveexec_b64 s[30:31], vcc
	s_cbranch_execz .LBB386_252
; %bb.247:                              ;   in Loop: Header=BB386_13 Depth=1
	v_lshrrev_b32_e32 v60, 24, v58
	v_cmp_ne_u32_e32 vcc, s39, v60
	v_bfrev_b32_e32 v0, 1
	s_and_saveexec_b64 s[34:35], vcc
	s_cbranch_execz .LBB386_251
; %bb.248:                              ;   in Loop: Header=BB386_13 Depth=1
	v_bfe_u32 v1, v58, 24, 7
	v_cmp_ne_u32_e32 vcc, s40, v1
	v_mov_b32_e32 v0, 0x7f800001
	s_and_saveexec_b64 s[36:37], vcc
	s_cbranch_execz .LBB386_250
; %bb.249:                              ;   in Loop: Header=BB386_13 Depth=1
	v_and_b32_e32 v0, 7, v60
	v_ffbh_u32_e32 v4, v0
	v_min_u32_e32 v10, 32, v4
	v_subrev_u32_e32 v4, 28, v10
	v_lshlrev_b64 v[4:5], v4, v[60:61]
	v_lshrrev_b32_e32 v2, 3, v1
	v_sub_u32_e32 v5, 29, v10
	v_and_b32_e32 v4, 7, v4
	v_cmp_gt_u32_e32 vcc, 8, v1
	v_cndmask_b32_e32 v1, v2, v5, vcc
	v_cndmask_b32_e32 v0, v0, v4, vcc
	v_lshlrev_b32_e32 v2, 24, v60
	v_bfrev_b32_e32 v4, 60
	v_lshlrev_b32_e32 v0, 20, v0
	v_and_b32_e32 v2, 0x80000000, v2
	v_lshl_add_u32 v1, v1, 23, v4
	v_or3_b32 v0, v2, v1, v0
.LBB386_250:                            ;   in Loop: Header=BB386_13 Depth=1
	s_or_b64 exec, exec, s[36:37]
.LBB386_251:                            ;   in Loop: Header=BB386_13 Depth=1
	s_or_b64 exec, exec, s[34:35]
.LBB386_252:                            ;   in Loop: Header=BB386_13 Depth=1
	s_or_b64 exec, exec, s[30:31]
	v_mul_f32_e32 v0, v3, v0
	v_and_b32_e32 v1, 0x7f800000, v0
	v_cmp_ne_u32_e32 vcc, s41, v1
                                        ; implicit-def: $vgpr1
                                        ; kill: killed $vgpr1
	s_and_saveexec_b64 s[30:31], vcc
	s_xor_b64 vcc, exec, s[30:31]
	s_cbranch_execz .LBB386_254
; %bb.253:                              ;   in Loop: Header=BB386_13 Depth=1
	v_bfe_u32 v1, v0, 16, 1
	v_add3_u32 v0, v0, v1, s42
	buffer_store_dword v0, off, s[0:3], s32 offset:424 ; 4-byte Folded Spill
                                        ; implicit-def: $vgpr0
.LBB386_254:                            ;   in Loop: Header=BB386_13 Depth=1
	s_andn2_saveexec_b64 s[30:31], vcc
	s_cbranch_execz .LBB386_256
; %bb.255:                              ;   in Loop: Header=BB386_13 Depth=1
	v_or_b32_e32 v1, 0x10000, v0
	v_cmp_eq_u32_sdwa vcc, v0, v62 src0_sel:WORD_0 src1_sel:DWORD
	v_cndmask_b32_e32 v0, v1, v0, vcc
	buffer_store_dword v0, off, s[0:3], s32 offset:424 ; 4-byte Folded Spill
.LBB386_256:                            ;   in Loop: Header=BB386_13 Depth=1
	s_or_b64 exec, exec, s[30:31]
	flat_load_dword v58, v[56:57] offset:1536
	v_mov_b32_e32 v0, 0
	s_waitcnt vmcnt(0) lgkmcnt(0)
	v_cmp_ne_u16_sdwa vcc, v58, v62 src0_sel:BYTE_0 src1_sel:DWORD
	s_and_saveexec_b64 s[30:31], vcc
	s_cbranch_execz .LBB386_262
; %bb.257:                              ;   in Loop: Header=BB386_13 Depth=1
	v_cmp_ne_u16_sdwa vcc, v58, s39 src0_sel:BYTE_0 src1_sel:DWORD
	v_bfrev_b32_e32 v0, 1
	s_and_saveexec_b64 s[34:35], vcc
	s_cbranch_execz .LBB386_261
; %bb.258:                              ;   in Loop: Header=BB386_13 Depth=1
	v_and_b32_e32 v1, 0x7f, v58
	v_cmp_ne_u32_e32 vcc, s40, v1
	v_mov_b32_e32 v0, 0x7f800001
	s_and_saveexec_b64 s[36:37], vcc
	s_cbranch_execz .LBB386_260
; %bb.259:                              ;   in Loop: Header=BB386_13 Depth=1
	v_and_b32_e32 v0, 7, v58
	v_ffbh_u32_e32 v4, v0
	v_min_u32_e32 v10, 32, v4
	v_subrev_u32_e32 v4, 28, v10
	v_lshlrev_b64 v[4:5], v4, v[58:59]
	v_lshrrev_b32_e32 v2, 3, v1
	v_sub_u32_e32 v5, 29, v10
	v_and_b32_e32 v4, 7, v4
	v_cmp_gt_u32_e32 vcc, 8, v1
	v_cndmask_b32_e32 v1, v2, v5, vcc
	v_cndmask_b32_e32 v0, v0, v4, vcc
	v_lshlrev_b32_e32 v2, 24, v58
	v_bfrev_b32_e32 v4, 60
	v_lshlrev_b32_e32 v0, 20, v0
	v_and_b32_e32 v2, 0x80000000, v2
	v_lshl_add_u32 v1, v1, 23, v4
	v_or3_b32 v0, v2, v1, v0
.LBB386_260:                            ;   in Loop: Header=BB386_13 Depth=1
	s_or_b64 exec, exec, s[36:37]
.LBB386_261:                            ;   in Loop: Header=BB386_13 Depth=1
	s_or_b64 exec, exec, s[34:35]
.LBB386_262:                            ;   in Loop: Header=BB386_13 Depth=1
	s_or_b64 exec, exec, s[30:31]
	v_mul_f32_e32 v0, v3, v0
	v_and_b32_e32 v1, 0x7f800000, v0
	v_cmp_ne_u32_e32 vcc, s41, v1
                                        ; implicit-def: $vgpr1
                                        ; kill: killed $vgpr1
	s_and_saveexec_b64 s[30:31], vcc
	s_xor_b64 vcc, exec, s[30:31]
	s_cbranch_execz .LBB386_264
; %bb.263:                              ;   in Loop: Header=BB386_13 Depth=1
	v_bfe_u32 v1, v0, 16, 1
	v_add3_u32 v0, v0, v1, s42
	buffer_store_dword v0, off, s[0:3], s32 offset:428 ; 4-byte Folded Spill
                                        ; implicit-def: $vgpr0
.LBB386_264:                            ;   in Loop: Header=BB386_13 Depth=1
	s_andn2_saveexec_b64 s[30:31], vcc
	s_cbranch_execz .LBB386_266
; %bb.265:                              ;   in Loop: Header=BB386_13 Depth=1
	v_or_b32_e32 v1, 0x10000, v0
	v_cmp_eq_u32_sdwa vcc, v0, v62 src0_sel:WORD_0 src1_sel:DWORD
	v_cndmask_b32_e32 v0, v1, v0, vcc
	buffer_store_dword v0, off, s[0:3], s32 offset:428 ; 4-byte Folded Spill
.LBB386_266:                            ;   in Loop: Header=BB386_13 Depth=1
	s_or_b64 exec, exec, s[30:31]
	v_lshrrev_b16_e32 v60, 8, v58
	v_cmp_ne_u16_e32 vcc, 0, v60
	v_mov_b32_e32 v0, 0
	s_and_saveexec_b64 s[30:31], vcc
	s_cbranch_execz .LBB386_272
; %bb.267:                              ;   in Loop: Header=BB386_13 Depth=1
	v_cmp_ne_u16_e32 vcc, s39, v60
	v_bfrev_b32_e32 v0, 1
	s_and_saveexec_b64 s[34:35], vcc
	s_cbranch_execz .LBB386_271
; %bb.268:                              ;   in Loop: Header=BB386_13 Depth=1
	v_and_b32_e32 v1, 0x7f, v60
	v_cmp_ne_u32_e32 vcc, s40, v1
	v_mov_b32_e32 v0, 0x7f800001
	s_and_saveexec_b64 s[36:37], vcc
	s_cbranch_execz .LBB386_270
; %bb.269:                              ;   in Loop: Header=BB386_13 Depth=1
	v_and_b32_e32 v0, 7, v60
	v_ffbh_u32_e32 v4, v0
	v_min_u32_e32 v10, 32, v4
	v_subrev_u32_e32 v4, 28, v10
	v_lshlrev_b64 v[4:5], v4, v[60:61]
	v_lshrrev_b32_e32 v2, 3, v1
	v_sub_u32_e32 v5, 29, v10
	v_and_b32_e32 v4, 7, v4
	v_cmp_gt_u32_e32 vcc, 8, v1
	v_cndmask_b32_e32 v1, v2, v5, vcc
	v_cndmask_b32_e32 v0, v0, v4, vcc
	v_lshlrev_b32_e32 v2, 16, v58
	v_bfrev_b32_e32 v4, 60
	v_lshlrev_b32_e32 v0, 20, v0
	v_and_b32_e32 v2, 0x80000000, v2
	v_lshl_add_u32 v1, v1, 23, v4
	v_or3_b32 v0, v2, v1, v0
.LBB386_270:                            ;   in Loop: Header=BB386_13 Depth=1
	s_or_b64 exec, exec, s[36:37]
.LBB386_271:                            ;   in Loop: Header=BB386_13 Depth=1
	s_or_b64 exec, exec, s[34:35]
.LBB386_272:                            ;   in Loop: Header=BB386_13 Depth=1
	s_or_b64 exec, exec, s[30:31]
	v_mul_f32_e32 v0, v3, v0
	v_and_b32_e32 v1, 0x7f800000, v0
	v_cmp_ne_u32_e32 vcc, s41, v1
                                        ; implicit-def: $vgpr1
                                        ; kill: killed $vgpr1
	s_and_saveexec_b64 s[30:31], vcc
	s_xor_b64 vcc, exec, s[30:31]
	s_cbranch_execz .LBB386_274
; %bb.273:                              ;   in Loop: Header=BB386_13 Depth=1
	v_bfe_u32 v1, v0, 16, 1
	v_add3_u32 v0, v0, v1, s42
	buffer_store_dword v0, off, s[0:3], s32 offset:432 ; 4-byte Folded Spill
                                        ; implicit-def: $vgpr0
.LBB386_274:                            ;   in Loop: Header=BB386_13 Depth=1
	s_andn2_saveexec_b64 s[30:31], vcc
	s_cbranch_execz .LBB386_276
; %bb.275:                              ;   in Loop: Header=BB386_13 Depth=1
	v_or_b32_e32 v1, 0x10000, v0
	v_cmp_eq_u32_sdwa vcc, v0, v62 src0_sel:WORD_0 src1_sel:DWORD
	v_cndmask_b32_e32 v0, v1, v0, vcc
	buffer_store_dword v0, off, s[0:3], s32 offset:432 ; 4-byte Folded Spill
.LBB386_276:                            ;   in Loop: Header=BB386_13 Depth=1
	s_or_b64 exec, exec, s[30:31]
	v_lshrrev_b32_e32 v60, 16, v58
	v_cmp_ne_u16_sdwa vcc, v60, v62 src0_sel:BYTE_0 src1_sel:DWORD
	v_mov_b32_e32 v0, 0
	s_and_saveexec_b64 s[30:31], vcc
	s_cbranch_execz .LBB386_282
; %bb.277:                              ;   in Loop: Header=BB386_13 Depth=1
	v_cmp_ne_u16_sdwa vcc, v60, s39 src0_sel:BYTE_0 src1_sel:DWORD
	v_bfrev_b32_e32 v0, 1
	s_and_saveexec_b64 s[34:35], vcc
	s_cbranch_execz .LBB386_281
; %bb.278:                              ;   in Loop: Header=BB386_13 Depth=1
	v_bfe_u32 v1, v58, 16, 7
	v_cmp_ne_u32_e32 vcc, s40, v1
	v_mov_b32_e32 v0, 0x7f800001
	s_and_saveexec_b64 s[36:37], vcc
	s_cbranch_execz .LBB386_280
; %bb.279:                              ;   in Loop: Header=BB386_13 Depth=1
	v_and_b32_e32 v0, 7, v60
	v_ffbh_u32_e32 v4, v0
	v_min_u32_e32 v10, 32, v4
	v_subrev_u32_e32 v4, 28, v10
	v_lshlrev_b64 v[4:5], v4, v[60:61]
	v_lshrrev_b32_e32 v2, 3, v1
	v_sub_u32_e32 v5, 29, v10
	v_and_b32_e32 v4, 7, v4
	v_cmp_gt_u32_e32 vcc, 8, v1
	v_cndmask_b32_e32 v1, v2, v5, vcc
	v_cndmask_b32_e32 v0, v0, v4, vcc
	v_lshlrev_b32_e32 v2, 24, v60
	v_bfrev_b32_e32 v4, 60
	v_lshlrev_b32_e32 v0, 20, v0
	v_and_b32_e32 v2, 0x80000000, v2
	v_lshl_add_u32 v1, v1, 23, v4
	v_or3_b32 v0, v2, v1, v0
.LBB386_280:                            ;   in Loop: Header=BB386_13 Depth=1
	s_or_b64 exec, exec, s[36:37]
.LBB386_281:                            ;   in Loop: Header=BB386_13 Depth=1
	s_or_b64 exec, exec, s[34:35]
.LBB386_282:                            ;   in Loop: Header=BB386_13 Depth=1
	s_or_b64 exec, exec, s[30:31]
	v_mul_f32_e32 v0, v3, v0
	v_and_b32_e32 v1, 0x7f800000, v0
	v_cmp_ne_u32_e32 vcc, s41, v1
                                        ; implicit-def: $vgpr1
                                        ; kill: killed $vgpr1
	s_and_saveexec_b64 s[30:31], vcc
	s_xor_b64 vcc, exec, s[30:31]
	s_cbranch_execz .LBB386_284
; %bb.283:                              ;   in Loop: Header=BB386_13 Depth=1
	v_bfe_u32 v1, v0, 16, 1
	v_add3_u32 v0, v0, v1, s42
	buffer_store_dword v0, off, s[0:3], s32 offset:436 ; 4-byte Folded Spill
                                        ; implicit-def: $vgpr0
.LBB386_284:                            ;   in Loop: Header=BB386_13 Depth=1
	s_andn2_saveexec_b64 s[30:31], vcc
	s_cbranch_execz .LBB386_286
; %bb.285:                              ;   in Loop: Header=BB386_13 Depth=1
	v_or_b32_e32 v1, 0x10000, v0
	v_cmp_eq_u32_sdwa vcc, v0, v62 src0_sel:WORD_0 src1_sel:DWORD
	v_cndmask_b32_e32 v0, v1, v0, vcc
	buffer_store_dword v0, off, s[0:3], s32 offset:436 ; 4-byte Folded Spill
.LBB386_286:                            ;   in Loop: Header=BB386_13 Depth=1
	s_or_b64 exec, exec, s[30:31]
	v_cmp_lt_u32_e32 vcc, s43, v58
	v_mov_b32_e32 v0, 0
	s_and_saveexec_b64 s[30:31], vcc
	s_cbranch_execz .LBB386_292
; %bb.287:                              ;   in Loop: Header=BB386_13 Depth=1
	v_lshrrev_b32_e32 v60, 24, v58
	v_cmp_ne_u32_e32 vcc, s39, v60
	v_bfrev_b32_e32 v0, 1
	s_and_saveexec_b64 s[34:35], vcc
	s_cbranch_execz .LBB386_291
; %bb.288:                              ;   in Loop: Header=BB386_13 Depth=1
	v_bfe_u32 v1, v58, 24, 7
	v_cmp_ne_u32_e32 vcc, s40, v1
	v_mov_b32_e32 v0, 0x7f800001
	s_and_saveexec_b64 s[36:37], vcc
	s_cbranch_execz .LBB386_290
; %bb.289:                              ;   in Loop: Header=BB386_13 Depth=1
	v_and_b32_e32 v0, 7, v60
	v_ffbh_u32_e32 v4, v0
	v_min_u32_e32 v10, 32, v4
	v_subrev_u32_e32 v4, 28, v10
	v_lshlrev_b64 v[4:5], v4, v[60:61]
	v_lshrrev_b32_e32 v2, 3, v1
	v_sub_u32_e32 v5, 29, v10
	v_and_b32_e32 v4, 7, v4
	v_cmp_gt_u32_e32 vcc, 8, v1
	v_cndmask_b32_e32 v1, v2, v5, vcc
	v_cndmask_b32_e32 v0, v0, v4, vcc
	v_lshlrev_b32_e32 v2, 24, v60
	v_bfrev_b32_e32 v4, 60
	v_lshlrev_b32_e32 v0, 20, v0
	v_and_b32_e32 v2, 0x80000000, v2
	v_lshl_add_u32 v1, v1, 23, v4
	v_or3_b32 v0, v2, v1, v0
.LBB386_290:                            ;   in Loop: Header=BB386_13 Depth=1
	s_or_b64 exec, exec, s[36:37]
.LBB386_291:                            ;   in Loop: Header=BB386_13 Depth=1
	s_or_b64 exec, exec, s[34:35]
.LBB386_292:                            ;   in Loop: Header=BB386_13 Depth=1
	s_or_b64 exec, exec, s[30:31]
	v_mul_f32_e32 v0, v3, v0
	v_and_b32_e32 v1, 0x7f800000, v0
	v_cmp_ne_u32_e32 vcc, s41, v1
                                        ; implicit-def: $vgpr1
                                        ; kill: killed $vgpr1
	s_and_saveexec_b64 s[30:31], vcc
	s_xor_b64 vcc, exec, s[30:31]
	s_cbranch_execz .LBB386_294
; %bb.293:                              ;   in Loop: Header=BB386_13 Depth=1
	v_bfe_u32 v1, v0, 16, 1
	v_add3_u32 v0, v0, v1, s42
	buffer_store_dword v0, off, s[0:3], s32 offset:440 ; 4-byte Folded Spill
                                        ; implicit-def: $vgpr0
.LBB386_294:                            ;   in Loop: Header=BB386_13 Depth=1
	s_andn2_saveexec_b64 s[30:31], vcc
	s_cbranch_execz .LBB386_296
; %bb.295:                              ;   in Loop: Header=BB386_13 Depth=1
	v_or_b32_e32 v1, 0x10000, v0
	v_cmp_eq_u32_sdwa vcc, v0, v62 src0_sel:WORD_0 src1_sel:DWORD
	v_cndmask_b32_e32 v0, v1, v0, vcc
	buffer_store_dword v0, off, s[0:3], s32 offset:440 ; 4-byte Folded Spill
.LBB386_296:                            ;   in Loop: Header=BB386_13 Depth=1
	s_or_b64 exec, exec, s[30:31]
	flat_load_dword v58, v[56:57] offset:1544
	v_mov_b32_e32 v0, 0
	s_waitcnt vmcnt(0) lgkmcnt(0)
	v_cmp_ne_u16_sdwa vcc, v58, v62 src0_sel:BYTE_0 src1_sel:DWORD
	s_and_saveexec_b64 s[30:31], vcc
	s_cbranch_execz .LBB386_302
; %bb.297:                              ;   in Loop: Header=BB386_13 Depth=1
	v_cmp_ne_u16_sdwa vcc, v58, s39 src0_sel:BYTE_0 src1_sel:DWORD
	v_bfrev_b32_e32 v0, 1
	s_and_saveexec_b64 s[34:35], vcc
	s_cbranch_execz .LBB386_301
; %bb.298:                              ;   in Loop: Header=BB386_13 Depth=1
	v_and_b32_e32 v1, 0x7f, v58
	v_cmp_ne_u32_e32 vcc, s40, v1
	v_mov_b32_e32 v0, 0x7f800001
	s_and_saveexec_b64 s[36:37], vcc
	s_cbranch_execz .LBB386_300
; %bb.299:                              ;   in Loop: Header=BB386_13 Depth=1
	v_and_b32_e32 v0, 7, v58
	v_ffbh_u32_e32 v4, v0
	v_min_u32_e32 v10, 32, v4
	v_subrev_u32_e32 v4, 28, v10
	v_lshlrev_b64 v[4:5], v4, v[58:59]
	v_lshrrev_b32_e32 v2, 3, v1
	v_sub_u32_e32 v5, 29, v10
	v_and_b32_e32 v4, 7, v4
	v_cmp_gt_u32_e32 vcc, 8, v1
	v_cndmask_b32_e32 v1, v2, v5, vcc
	v_cndmask_b32_e32 v0, v0, v4, vcc
	v_lshlrev_b32_e32 v2, 24, v58
	v_bfrev_b32_e32 v4, 60
	v_lshlrev_b32_e32 v0, 20, v0
	v_and_b32_e32 v2, 0x80000000, v2
	v_lshl_add_u32 v1, v1, 23, v4
	v_or3_b32 v0, v2, v1, v0
.LBB386_300:                            ;   in Loop: Header=BB386_13 Depth=1
	s_or_b64 exec, exec, s[36:37]
.LBB386_301:                            ;   in Loop: Header=BB386_13 Depth=1
	s_or_b64 exec, exec, s[34:35]
.LBB386_302:                            ;   in Loop: Header=BB386_13 Depth=1
	s_or_b64 exec, exec, s[30:31]
	v_mul_f32_e32 v0, v3, v0
	v_and_b32_e32 v1, 0x7f800000, v0
	v_cmp_ne_u32_e32 vcc, s41, v1
                                        ; implicit-def: $vgpr1
                                        ; kill: killed $vgpr1
	s_and_saveexec_b64 s[30:31], vcc
	s_xor_b64 vcc, exec, s[30:31]
	s_cbranch_execz .LBB386_304
; %bb.303:                              ;   in Loop: Header=BB386_13 Depth=1
	v_bfe_u32 v1, v0, 16, 1
	v_add3_u32 v0, v0, v1, s42
	buffer_store_dword v0, off, s[0:3], s32 offset:444 ; 4-byte Folded Spill
                                        ; implicit-def: $vgpr0
.LBB386_304:                            ;   in Loop: Header=BB386_13 Depth=1
	s_andn2_saveexec_b64 s[30:31], vcc
	s_cbranch_execz .LBB386_306
; %bb.305:                              ;   in Loop: Header=BB386_13 Depth=1
	v_or_b32_e32 v1, 0x10000, v0
	v_cmp_eq_u32_sdwa vcc, v0, v62 src0_sel:WORD_0 src1_sel:DWORD
	v_cndmask_b32_e32 v0, v1, v0, vcc
	buffer_store_dword v0, off, s[0:3], s32 offset:444 ; 4-byte Folded Spill
.LBB386_306:                            ;   in Loop: Header=BB386_13 Depth=1
	s_or_b64 exec, exec, s[30:31]
	v_lshrrev_b16_e32 v60, 8, v58
	v_cmp_ne_u16_e32 vcc, 0, v60
	v_mov_b32_e32 v0, 0
	s_and_saveexec_b64 s[30:31], vcc
	s_cbranch_execz .LBB386_312
; %bb.307:                              ;   in Loop: Header=BB386_13 Depth=1
	v_cmp_ne_u16_e32 vcc, s39, v60
	v_bfrev_b32_e32 v0, 1
	s_and_saveexec_b64 s[34:35], vcc
	s_cbranch_execz .LBB386_311
; %bb.308:                              ;   in Loop: Header=BB386_13 Depth=1
	v_and_b32_e32 v1, 0x7f, v60
	v_cmp_ne_u32_e32 vcc, s40, v1
	v_mov_b32_e32 v0, 0x7f800001
	s_and_saveexec_b64 s[36:37], vcc
	s_cbranch_execz .LBB386_310
; %bb.309:                              ;   in Loop: Header=BB386_13 Depth=1
	v_and_b32_e32 v0, 7, v60
	v_ffbh_u32_e32 v4, v0
	v_min_u32_e32 v10, 32, v4
	v_subrev_u32_e32 v4, 28, v10
	v_lshlrev_b64 v[4:5], v4, v[60:61]
	v_lshrrev_b32_e32 v2, 3, v1
	v_sub_u32_e32 v5, 29, v10
	v_and_b32_e32 v4, 7, v4
	v_cmp_gt_u32_e32 vcc, 8, v1
	v_cndmask_b32_e32 v1, v2, v5, vcc
	v_cndmask_b32_e32 v0, v0, v4, vcc
	v_lshlrev_b32_e32 v2, 16, v58
	v_bfrev_b32_e32 v4, 60
	v_lshlrev_b32_e32 v0, 20, v0
	v_and_b32_e32 v2, 0x80000000, v2
	v_lshl_add_u32 v1, v1, 23, v4
	v_or3_b32 v0, v2, v1, v0
.LBB386_310:                            ;   in Loop: Header=BB386_13 Depth=1
	s_or_b64 exec, exec, s[36:37]
.LBB386_311:                            ;   in Loop: Header=BB386_13 Depth=1
	s_or_b64 exec, exec, s[34:35]
.LBB386_312:                            ;   in Loop: Header=BB386_13 Depth=1
	s_or_b64 exec, exec, s[30:31]
	v_mul_f32_e32 v0, v3, v0
	v_and_b32_e32 v1, 0x7f800000, v0
	v_cmp_ne_u32_e32 vcc, s41, v1
                                        ; implicit-def: $vgpr1
                                        ; kill: killed $vgpr1
	s_and_saveexec_b64 s[30:31], vcc
	s_xor_b64 vcc, exec, s[30:31]
	s_cbranch_execz .LBB386_314
; %bb.313:                              ;   in Loop: Header=BB386_13 Depth=1
	v_bfe_u32 v1, v0, 16, 1
	v_add3_u32 v0, v0, v1, s42
	buffer_store_dword v0, off, s[0:3], s32 offset:448 ; 4-byte Folded Spill
                                        ; implicit-def: $vgpr0
.LBB386_314:                            ;   in Loop: Header=BB386_13 Depth=1
	s_andn2_saveexec_b64 s[30:31], vcc
	s_cbranch_execz .LBB386_316
; %bb.315:                              ;   in Loop: Header=BB386_13 Depth=1
	v_or_b32_e32 v1, 0x10000, v0
	v_cmp_eq_u32_sdwa vcc, v0, v62 src0_sel:WORD_0 src1_sel:DWORD
	v_cndmask_b32_e32 v0, v1, v0, vcc
	buffer_store_dword v0, off, s[0:3], s32 offset:448 ; 4-byte Folded Spill
.LBB386_316:                            ;   in Loop: Header=BB386_13 Depth=1
	s_or_b64 exec, exec, s[30:31]
	v_lshrrev_b32_e32 v60, 16, v58
	v_cmp_ne_u16_sdwa vcc, v60, v62 src0_sel:BYTE_0 src1_sel:DWORD
	v_mov_b32_e32 v0, 0
	s_and_saveexec_b64 s[30:31], vcc
	s_cbranch_execz .LBB386_322
; %bb.317:                              ;   in Loop: Header=BB386_13 Depth=1
	v_cmp_ne_u16_sdwa vcc, v60, s39 src0_sel:BYTE_0 src1_sel:DWORD
	v_bfrev_b32_e32 v0, 1
	s_and_saveexec_b64 s[34:35], vcc
	s_cbranch_execz .LBB386_321
; %bb.318:                              ;   in Loop: Header=BB386_13 Depth=1
	v_bfe_u32 v1, v58, 16, 7
	v_cmp_ne_u32_e32 vcc, s40, v1
	v_mov_b32_e32 v0, 0x7f800001
	s_and_saveexec_b64 s[36:37], vcc
	s_cbranch_execz .LBB386_320
; %bb.319:                              ;   in Loop: Header=BB386_13 Depth=1
	v_and_b32_e32 v0, 7, v60
	v_ffbh_u32_e32 v4, v0
	v_min_u32_e32 v10, 32, v4
	v_subrev_u32_e32 v4, 28, v10
	v_lshlrev_b64 v[4:5], v4, v[60:61]
	v_lshrrev_b32_e32 v2, 3, v1
	v_sub_u32_e32 v5, 29, v10
	v_and_b32_e32 v4, 7, v4
	v_cmp_gt_u32_e32 vcc, 8, v1
	v_cndmask_b32_e32 v1, v2, v5, vcc
	v_cndmask_b32_e32 v0, v0, v4, vcc
	v_lshlrev_b32_e32 v2, 24, v60
	v_bfrev_b32_e32 v4, 60
	v_lshlrev_b32_e32 v0, 20, v0
	v_and_b32_e32 v2, 0x80000000, v2
	v_lshl_add_u32 v1, v1, 23, v4
	v_or3_b32 v0, v2, v1, v0
.LBB386_320:                            ;   in Loop: Header=BB386_13 Depth=1
	s_or_b64 exec, exec, s[36:37]
.LBB386_321:                            ;   in Loop: Header=BB386_13 Depth=1
	s_or_b64 exec, exec, s[34:35]
.LBB386_322:                            ;   in Loop: Header=BB386_13 Depth=1
	s_or_b64 exec, exec, s[30:31]
	v_mul_f32_e32 v0, v3, v0
	v_and_b32_e32 v1, 0x7f800000, v0
	v_cmp_ne_u32_e32 vcc, s41, v1
                                        ; implicit-def: $vgpr1
                                        ; kill: killed $vgpr1
	s_and_saveexec_b64 s[30:31], vcc
	s_xor_b64 vcc, exec, s[30:31]
	s_cbranch_execz .LBB386_324
; %bb.323:                              ;   in Loop: Header=BB386_13 Depth=1
	v_bfe_u32 v1, v0, 16, 1
	v_add3_u32 v0, v0, v1, s42
	buffer_store_dword v0, off, s[0:3], s32 offset:452 ; 4-byte Folded Spill
                                        ; implicit-def: $vgpr0
.LBB386_324:                            ;   in Loop: Header=BB386_13 Depth=1
	s_andn2_saveexec_b64 s[30:31], vcc
	s_cbranch_execz .LBB386_326
; %bb.325:                              ;   in Loop: Header=BB386_13 Depth=1
	v_or_b32_e32 v1, 0x10000, v0
	v_cmp_eq_u32_sdwa vcc, v0, v62 src0_sel:WORD_0 src1_sel:DWORD
	v_cndmask_b32_e32 v0, v1, v0, vcc
	buffer_store_dword v0, off, s[0:3], s32 offset:452 ; 4-byte Folded Spill
.LBB386_326:                            ;   in Loop: Header=BB386_13 Depth=1
	s_or_b64 exec, exec, s[30:31]
	v_cmp_lt_u32_e32 vcc, s43, v58
	v_mov_b32_e32 v0, 0
	s_and_saveexec_b64 s[30:31], vcc
	s_cbranch_execz .LBB386_332
; %bb.327:                              ;   in Loop: Header=BB386_13 Depth=1
	v_lshrrev_b32_e32 v60, 24, v58
	v_cmp_ne_u32_e32 vcc, s39, v60
	v_bfrev_b32_e32 v0, 1
	s_and_saveexec_b64 s[34:35], vcc
	s_cbranch_execz .LBB386_331
; %bb.328:                              ;   in Loop: Header=BB386_13 Depth=1
	v_bfe_u32 v1, v58, 24, 7
	v_cmp_ne_u32_e32 vcc, s40, v1
	v_mov_b32_e32 v0, 0x7f800001
	s_and_saveexec_b64 s[36:37], vcc
	s_cbranch_execz .LBB386_330
; %bb.329:                              ;   in Loop: Header=BB386_13 Depth=1
	v_and_b32_e32 v0, 7, v60
	v_ffbh_u32_e32 v4, v0
	v_min_u32_e32 v10, 32, v4
	v_subrev_u32_e32 v4, 28, v10
	v_lshlrev_b64 v[4:5], v4, v[60:61]
	v_lshrrev_b32_e32 v2, 3, v1
	v_sub_u32_e32 v5, 29, v10
	v_and_b32_e32 v4, 7, v4
	v_cmp_gt_u32_e32 vcc, 8, v1
	v_cndmask_b32_e32 v1, v2, v5, vcc
	v_cndmask_b32_e32 v0, v0, v4, vcc
	v_lshlrev_b32_e32 v2, 24, v60
	v_bfrev_b32_e32 v4, 60
	v_lshlrev_b32_e32 v0, 20, v0
	v_and_b32_e32 v2, 0x80000000, v2
	v_lshl_add_u32 v1, v1, 23, v4
	v_or3_b32 v0, v2, v1, v0
.LBB386_330:                            ;   in Loop: Header=BB386_13 Depth=1
	s_or_b64 exec, exec, s[36:37]
.LBB386_331:                            ;   in Loop: Header=BB386_13 Depth=1
	s_or_b64 exec, exec, s[34:35]
.LBB386_332:                            ;   in Loop: Header=BB386_13 Depth=1
	s_or_b64 exec, exec, s[30:31]
	v_mul_f32_e32 v0, v3, v0
	v_and_b32_e32 v1, 0x7f800000, v0
	v_cmp_ne_u32_e32 vcc, s41, v1
                                        ; implicit-def: $vgpr1
                                        ; kill: killed $vgpr1
	s_and_saveexec_b64 s[30:31], vcc
	s_xor_b64 vcc, exec, s[30:31]
	s_cbranch_execz .LBB386_334
; %bb.333:                              ;   in Loop: Header=BB386_13 Depth=1
	v_bfe_u32 v1, v0, 16, 1
	v_add3_u32 v0, v0, v1, s42
	buffer_store_dword v0, off, s[0:3], s32 offset:456 ; 4-byte Folded Spill
                                        ; implicit-def: $vgpr0
.LBB386_334:                            ;   in Loop: Header=BB386_13 Depth=1
	s_andn2_saveexec_b64 s[30:31], vcc
	s_cbranch_execz .LBB386_336
; %bb.335:                              ;   in Loop: Header=BB386_13 Depth=1
	v_or_b32_e32 v1, 0x10000, v0
	v_cmp_eq_u32_sdwa vcc, v0, v62 src0_sel:WORD_0 src1_sel:DWORD
	v_cndmask_b32_e32 v0, v1, v0, vcc
	buffer_store_dword v0, off, s[0:3], s32 offset:456 ; 4-byte Folded Spill
.LBB386_336:                            ;   in Loop: Header=BB386_13 Depth=1
	s_or_b64 exec, exec, s[30:31]
	flat_load_dword v58, v[56:57] offset:2048
	v_mov_b32_e32 v0, 0
	s_waitcnt vmcnt(0) lgkmcnt(0)
	v_cmp_ne_u16_sdwa vcc, v58, v62 src0_sel:BYTE_0 src1_sel:DWORD
	s_and_saveexec_b64 s[30:31], vcc
	s_cbranch_execz .LBB386_342
; %bb.337:                              ;   in Loop: Header=BB386_13 Depth=1
	v_cmp_ne_u16_sdwa vcc, v58, s39 src0_sel:BYTE_0 src1_sel:DWORD
	v_bfrev_b32_e32 v0, 1
	s_and_saveexec_b64 s[34:35], vcc
	s_cbranch_execz .LBB386_341
; %bb.338:                              ;   in Loop: Header=BB386_13 Depth=1
	v_and_b32_e32 v1, 0x7f, v58
	v_cmp_ne_u32_e32 vcc, s40, v1
	v_mov_b32_e32 v0, 0x7f800001
	s_and_saveexec_b64 s[36:37], vcc
	s_cbranch_execz .LBB386_340
; %bb.339:                              ;   in Loop: Header=BB386_13 Depth=1
	v_and_b32_e32 v0, 7, v58
	v_ffbh_u32_e32 v4, v0
	v_min_u32_e32 v10, 32, v4
	v_subrev_u32_e32 v4, 28, v10
	v_lshlrev_b64 v[4:5], v4, v[58:59]
	v_lshrrev_b32_e32 v2, 3, v1
	v_sub_u32_e32 v5, 29, v10
	v_and_b32_e32 v4, 7, v4
	v_cmp_gt_u32_e32 vcc, 8, v1
	v_cndmask_b32_e32 v1, v2, v5, vcc
	v_cndmask_b32_e32 v0, v0, v4, vcc
	v_lshlrev_b32_e32 v2, 24, v58
	v_bfrev_b32_e32 v4, 60
	v_lshlrev_b32_e32 v0, 20, v0
	v_and_b32_e32 v2, 0x80000000, v2
	v_lshl_add_u32 v1, v1, 23, v4
	v_or3_b32 v0, v2, v1, v0
.LBB386_340:                            ;   in Loop: Header=BB386_13 Depth=1
	s_or_b64 exec, exec, s[36:37]
.LBB386_341:                            ;   in Loop: Header=BB386_13 Depth=1
	s_or_b64 exec, exec, s[34:35]
.LBB386_342:                            ;   in Loop: Header=BB386_13 Depth=1
	s_or_b64 exec, exec, s[30:31]
	v_mul_f32_e32 v0, v3, v0
	v_and_b32_e32 v1, 0x7f800000, v0
	v_cmp_ne_u32_e32 vcc, s41, v1
                                        ; implicit-def: $agpr17
	s_and_saveexec_b64 s[30:31], vcc
	s_xor_b64 vcc, exec, s[30:31]
; %bb.343:                              ;   in Loop: Header=BB386_13 Depth=1
	v_bfe_u32 v1, v0, 16, 1
	v_add3_u32 v0, v0, v1, s42
	v_accvgpr_write_b32 a17, v0
                                        ; implicit-def: $vgpr0
; %bb.344:                              ;   in Loop: Header=BB386_13 Depth=1
	s_andn2_saveexec_b64 s[30:31], vcc
; %bb.345:                              ;   in Loop: Header=BB386_13 Depth=1
	v_or_b32_e32 v1, 0x10000, v0
	v_cmp_eq_u32_sdwa vcc, v0, v62 src0_sel:WORD_0 src1_sel:DWORD
	v_cndmask_b32_e32 v0, v1, v0, vcc
	v_accvgpr_write_b32 a17, v0
; %bb.346:                              ;   in Loop: Header=BB386_13 Depth=1
	s_or_b64 exec, exec, s[30:31]
	v_lshrrev_b16_e32 v60, 8, v58
	v_cmp_ne_u16_e32 vcc, 0, v60
	v_mov_b32_e32 v0, 0
	s_and_saveexec_b64 s[30:31], vcc
	s_cbranch_execz .LBB386_352
; %bb.347:                              ;   in Loop: Header=BB386_13 Depth=1
	v_cmp_ne_u16_e32 vcc, s39, v60
	v_bfrev_b32_e32 v0, 1
	s_and_saveexec_b64 s[34:35], vcc
	s_cbranch_execz .LBB386_351
; %bb.348:                              ;   in Loop: Header=BB386_13 Depth=1
	v_and_b32_e32 v1, 0x7f, v60
	v_cmp_ne_u32_e32 vcc, s40, v1
	v_mov_b32_e32 v0, 0x7f800001
	s_and_saveexec_b64 s[36:37], vcc
	s_cbranch_execz .LBB386_350
; %bb.349:                              ;   in Loop: Header=BB386_13 Depth=1
	v_and_b32_e32 v0, 7, v60
	v_ffbh_u32_e32 v4, v0
	v_min_u32_e32 v10, 32, v4
	v_subrev_u32_e32 v4, 28, v10
	v_lshlrev_b64 v[4:5], v4, v[60:61]
	v_lshrrev_b32_e32 v2, 3, v1
	v_sub_u32_e32 v5, 29, v10
	v_and_b32_e32 v4, 7, v4
	v_cmp_gt_u32_e32 vcc, 8, v1
	v_cndmask_b32_e32 v1, v2, v5, vcc
	v_cndmask_b32_e32 v0, v0, v4, vcc
	v_lshlrev_b32_e32 v2, 16, v58
	v_bfrev_b32_e32 v4, 60
	v_lshlrev_b32_e32 v0, 20, v0
	v_and_b32_e32 v2, 0x80000000, v2
	v_lshl_add_u32 v1, v1, 23, v4
	v_or3_b32 v0, v2, v1, v0
.LBB386_350:                            ;   in Loop: Header=BB386_13 Depth=1
	s_or_b64 exec, exec, s[36:37]
.LBB386_351:                            ;   in Loop: Header=BB386_13 Depth=1
	s_or_b64 exec, exec, s[34:35]
.LBB386_352:                            ;   in Loop: Header=BB386_13 Depth=1
	s_or_b64 exec, exec, s[30:31]
	v_mul_f32_e32 v0, v3, v0
	v_and_b32_e32 v1, 0x7f800000, v0
	v_cmp_ne_u32_e32 vcc, s41, v1
                                        ; implicit-def: $agpr16
	s_and_saveexec_b64 s[30:31], vcc
	s_xor_b64 vcc, exec, s[30:31]
; %bb.353:                              ;   in Loop: Header=BB386_13 Depth=1
	v_bfe_u32 v1, v0, 16, 1
	v_add3_u32 v0, v0, v1, s42
	v_accvgpr_write_b32 a16, v0
                                        ; implicit-def: $vgpr0
; %bb.354:                              ;   in Loop: Header=BB386_13 Depth=1
	s_andn2_saveexec_b64 s[30:31], vcc
; %bb.355:                              ;   in Loop: Header=BB386_13 Depth=1
	v_or_b32_e32 v1, 0x10000, v0
	v_cmp_eq_u32_sdwa vcc, v0, v62 src0_sel:WORD_0 src1_sel:DWORD
	v_cndmask_b32_e32 v0, v1, v0, vcc
	v_accvgpr_write_b32 a16, v0
; %bb.356:                              ;   in Loop: Header=BB386_13 Depth=1
	s_or_b64 exec, exec, s[30:31]
	v_lshrrev_b32_e32 v60, 16, v58
	v_cmp_ne_u16_sdwa vcc, v60, v62 src0_sel:BYTE_0 src1_sel:DWORD
	v_mov_b32_e32 v0, 0
	s_and_saveexec_b64 s[30:31], vcc
	s_cbranch_execz .LBB386_362
; %bb.357:                              ;   in Loop: Header=BB386_13 Depth=1
	v_cmp_ne_u16_sdwa vcc, v60, s39 src0_sel:BYTE_0 src1_sel:DWORD
	v_bfrev_b32_e32 v0, 1
	s_and_saveexec_b64 s[34:35], vcc
	s_cbranch_execz .LBB386_361
; %bb.358:                              ;   in Loop: Header=BB386_13 Depth=1
	v_bfe_u32 v1, v58, 16, 7
	v_cmp_ne_u32_e32 vcc, s40, v1
	v_mov_b32_e32 v0, 0x7f800001
	s_and_saveexec_b64 s[36:37], vcc
	s_cbranch_execz .LBB386_360
; %bb.359:                              ;   in Loop: Header=BB386_13 Depth=1
	v_and_b32_e32 v0, 7, v60
	v_ffbh_u32_e32 v4, v0
	v_min_u32_e32 v10, 32, v4
	v_subrev_u32_e32 v4, 28, v10
	v_lshlrev_b64 v[4:5], v4, v[60:61]
	v_lshrrev_b32_e32 v2, 3, v1
	v_sub_u32_e32 v5, 29, v10
	v_and_b32_e32 v4, 7, v4
	v_cmp_gt_u32_e32 vcc, 8, v1
	v_cndmask_b32_e32 v1, v2, v5, vcc
	v_cndmask_b32_e32 v0, v0, v4, vcc
	v_lshlrev_b32_e32 v2, 24, v60
	v_bfrev_b32_e32 v4, 60
	v_lshlrev_b32_e32 v0, 20, v0
	v_and_b32_e32 v2, 0x80000000, v2
	v_lshl_add_u32 v1, v1, 23, v4
	v_or3_b32 v0, v2, v1, v0
.LBB386_360:                            ;   in Loop: Header=BB386_13 Depth=1
	s_or_b64 exec, exec, s[36:37]
.LBB386_361:                            ;   in Loop: Header=BB386_13 Depth=1
	s_or_b64 exec, exec, s[34:35]
.LBB386_362:                            ;   in Loop: Header=BB386_13 Depth=1
	s_or_b64 exec, exec, s[30:31]
	v_mul_f32_e32 v0, v3, v0
	v_and_b32_e32 v1, 0x7f800000, v0
	v_cmp_ne_u32_e32 vcc, s41, v1
                                        ; implicit-def: $agpr15
	s_and_saveexec_b64 s[30:31], vcc
	s_xor_b64 vcc, exec, s[30:31]
; %bb.363:                              ;   in Loop: Header=BB386_13 Depth=1
	v_bfe_u32 v1, v0, 16, 1
	v_add3_u32 v0, v0, v1, s42
	v_accvgpr_write_b32 a15, v0
                                        ; implicit-def: $vgpr0
; %bb.364:                              ;   in Loop: Header=BB386_13 Depth=1
	s_andn2_saveexec_b64 s[30:31], vcc
; %bb.365:                              ;   in Loop: Header=BB386_13 Depth=1
	v_or_b32_e32 v1, 0x10000, v0
	v_cmp_eq_u32_sdwa vcc, v0, v62 src0_sel:WORD_0 src1_sel:DWORD
	v_cndmask_b32_e32 v0, v1, v0, vcc
	v_accvgpr_write_b32 a15, v0
; %bb.366:                              ;   in Loop: Header=BB386_13 Depth=1
	s_or_b64 exec, exec, s[30:31]
	v_cmp_lt_u32_e32 vcc, s43, v58
	v_mov_b32_e32 v0, 0
	s_and_saveexec_b64 s[30:31], vcc
	s_cbranch_execz .LBB386_372
; %bb.367:                              ;   in Loop: Header=BB386_13 Depth=1
	v_lshrrev_b32_e32 v60, 24, v58
	v_cmp_ne_u32_e32 vcc, s39, v60
	v_bfrev_b32_e32 v0, 1
	s_and_saveexec_b64 s[34:35], vcc
	s_cbranch_execz .LBB386_371
; %bb.368:                              ;   in Loop: Header=BB386_13 Depth=1
	v_bfe_u32 v1, v58, 24, 7
	v_cmp_ne_u32_e32 vcc, s40, v1
	v_mov_b32_e32 v0, 0x7f800001
	s_and_saveexec_b64 s[36:37], vcc
	s_cbranch_execz .LBB386_370
; %bb.369:                              ;   in Loop: Header=BB386_13 Depth=1
	v_and_b32_e32 v0, 7, v60
	v_ffbh_u32_e32 v4, v0
	v_min_u32_e32 v10, 32, v4
	v_subrev_u32_e32 v4, 28, v10
	v_lshlrev_b64 v[4:5], v4, v[60:61]
	v_lshrrev_b32_e32 v2, 3, v1
	v_sub_u32_e32 v5, 29, v10
	v_and_b32_e32 v4, 7, v4
	v_cmp_gt_u32_e32 vcc, 8, v1
	v_cndmask_b32_e32 v1, v2, v5, vcc
	v_cndmask_b32_e32 v0, v0, v4, vcc
	v_lshlrev_b32_e32 v2, 24, v60
	v_bfrev_b32_e32 v4, 60
	v_lshlrev_b32_e32 v0, 20, v0
	v_and_b32_e32 v2, 0x80000000, v2
	v_lshl_add_u32 v1, v1, 23, v4
	v_or3_b32 v0, v2, v1, v0
.LBB386_370:                            ;   in Loop: Header=BB386_13 Depth=1
	s_or_b64 exec, exec, s[36:37]
.LBB386_371:                            ;   in Loop: Header=BB386_13 Depth=1
	s_or_b64 exec, exec, s[34:35]
.LBB386_372:                            ;   in Loop: Header=BB386_13 Depth=1
	s_or_b64 exec, exec, s[30:31]
	v_mul_f32_e32 v0, v3, v0
	v_and_b32_e32 v1, 0x7f800000, v0
	v_cmp_ne_u32_e32 vcc, s41, v1
                                        ; implicit-def: $agpr1
	s_and_saveexec_b64 s[30:31], vcc
	s_xor_b64 vcc, exec, s[30:31]
; %bb.373:                              ;   in Loop: Header=BB386_13 Depth=1
	v_bfe_u32 v1, v0, 16, 1
	v_add3_u32 v0, v0, v1, s42
	v_accvgpr_write_b32 a1, v0
                                        ; implicit-def: $vgpr0
; %bb.374:                              ;   in Loop: Header=BB386_13 Depth=1
	s_andn2_saveexec_b64 s[30:31], vcc
; %bb.375:                              ;   in Loop: Header=BB386_13 Depth=1
	v_or_b32_e32 v1, 0x10000, v0
	v_cmp_eq_u32_sdwa vcc, v0, v62 src0_sel:WORD_0 src1_sel:DWORD
	v_cndmask_b32_e32 v0, v1, v0, vcc
	v_accvgpr_write_b32 a1, v0
; %bb.376:                              ;   in Loop: Header=BB386_13 Depth=1
	s_or_b64 exec, exec, s[30:31]
	flat_load_dword v58, v[56:57] offset:2056
	v_mov_b32_e32 v0, 0
	s_waitcnt vmcnt(0) lgkmcnt(0)
	v_cmp_ne_u16_sdwa vcc, v58, v62 src0_sel:BYTE_0 src1_sel:DWORD
	s_and_saveexec_b64 s[30:31], vcc
	s_cbranch_execz .LBB386_382
; %bb.377:                              ;   in Loop: Header=BB386_13 Depth=1
	v_cmp_ne_u16_sdwa vcc, v58, s39 src0_sel:BYTE_0 src1_sel:DWORD
	v_bfrev_b32_e32 v0, 1
	s_and_saveexec_b64 s[34:35], vcc
	s_cbranch_execz .LBB386_381
; %bb.378:                              ;   in Loop: Header=BB386_13 Depth=1
	v_and_b32_e32 v1, 0x7f, v58
	v_cmp_ne_u32_e32 vcc, s40, v1
	v_mov_b32_e32 v0, 0x7f800001
	s_and_saveexec_b64 s[36:37], vcc
	s_cbranch_execz .LBB386_380
; %bb.379:                              ;   in Loop: Header=BB386_13 Depth=1
	v_and_b32_e32 v2, 7, v58
	v_ffbh_u32_e32 v0, v2
	v_min_u32_e32 v5, 32, v0
	v_subrev_u32_e32 v0, 28, v5
	v_lshrrev_b32_e32 v4, 3, v1
	v_cmp_gt_u32_e32 vcc, 8, v1
	v_lshlrev_b64 v[0:1], v0, v[58:59]
	v_sub_u32_e32 v1, 29, v5
	v_and_b32_e32 v0, 7, v0
	v_cndmask_b32_e32 v1, v4, v1, vcc
	v_cndmask_b32_e32 v0, v2, v0, vcc
	v_lshlrev_b32_e32 v2, 24, v58
	v_bfrev_b32_e32 v4, 60
	v_lshlrev_b32_e32 v0, 20, v0
	v_and_b32_e32 v2, 0x80000000, v2
	v_lshl_add_u32 v1, v1, 23, v4
	v_or3_b32 v0, v2, v1, v0
.LBB386_380:                            ;   in Loop: Header=BB386_13 Depth=1
	s_or_b64 exec, exec, s[36:37]
.LBB386_381:                            ;   in Loop: Header=BB386_13 Depth=1
	s_or_b64 exec, exec, s[34:35]
.LBB386_382:                            ;   in Loop: Header=BB386_13 Depth=1
	s_or_b64 exec, exec, s[30:31]
	v_mul_f32_e32 v0, v3, v0
	v_and_b32_e32 v1, 0x7f800000, v0
	v_cmp_ne_u32_e32 vcc, s41, v1
                                        ; implicit-def: $agpr43
	s_and_saveexec_b64 s[30:31], vcc
	s_xor_b64 vcc, exec, s[30:31]
; %bb.383:                              ;   in Loop: Header=BB386_13 Depth=1
	v_bfe_u32 v1, v0, 16, 1
	v_add3_u32 v0, v0, v1, s42
	v_accvgpr_write_b32 a43, v0
                                        ; implicit-def: $vgpr0
; %bb.384:                              ;   in Loop: Header=BB386_13 Depth=1
	s_andn2_saveexec_b64 s[30:31], vcc
; %bb.385:                              ;   in Loop: Header=BB386_13 Depth=1
	v_or_b32_e32 v1, 0x10000, v0
	v_cmp_eq_u32_sdwa vcc, v0, v62 src0_sel:WORD_0 src1_sel:DWORD
	v_cndmask_b32_e32 v0, v1, v0, vcc
	v_accvgpr_write_b32 a43, v0
; %bb.386:                              ;   in Loop: Header=BB386_13 Depth=1
	s_or_b64 exec, exec, s[30:31]
	v_lshrrev_b16_e32 v60, 8, v58
	v_cmp_ne_u16_e32 vcc, 0, v60
	v_mov_b32_e32 v0, 0
	s_and_saveexec_b64 s[30:31], vcc
	s_cbranch_execz .LBB386_392
; %bb.387:                              ;   in Loop: Header=BB386_13 Depth=1
	v_cmp_ne_u16_e32 vcc, s39, v60
	v_bfrev_b32_e32 v0, 1
	s_and_saveexec_b64 s[34:35], vcc
	s_cbranch_execz .LBB386_391
; %bb.388:                              ;   in Loop: Header=BB386_13 Depth=1
	v_and_b32_e32 v1, 0x7f, v60
	v_cmp_ne_u32_e32 vcc, s40, v1
	v_mov_b32_e32 v0, 0x7f800001
	s_and_saveexec_b64 s[36:37], vcc
	s_cbranch_execz .LBB386_390
; %bb.389:                              ;   in Loop: Header=BB386_13 Depth=1
	v_and_b32_e32 v2, 7, v60
	v_ffbh_u32_e32 v0, v2
	v_min_u32_e32 v5, 32, v0
	v_subrev_u32_e32 v0, 28, v5
	v_lshrrev_b32_e32 v4, 3, v1
	v_cmp_gt_u32_e32 vcc, 8, v1
	v_lshlrev_b64 v[0:1], v0, v[60:61]
	v_sub_u32_e32 v1, 29, v5
	v_and_b32_e32 v0, 7, v0
	v_cndmask_b32_e32 v1, v4, v1, vcc
	v_cndmask_b32_e32 v0, v2, v0, vcc
	v_lshlrev_b32_e32 v2, 16, v58
	v_bfrev_b32_e32 v4, 60
	v_lshlrev_b32_e32 v0, 20, v0
	v_and_b32_e32 v2, 0x80000000, v2
	v_lshl_add_u32 v1, v1, 23, v4
	v_or3_b32 v0, v2, v1, v0
.LBB386_390:                            ;   in Loop: Header=BB386_13 Depth=1
	s_or_b64 exec, exec, s[36:37]
.LBB386_391:                            ;   in Loop: Header=BB386_13 Depth=1
	s_or_b64 exec, exec, s[34:35]
.LBB386_392:                            ;   in Loop: Header=BB386_13 Depth=1
	s_or_b64 exec, exec, s[30:31]
	v_mul_f32_e32 v0, v3, v0
	v_and_b32_e32 v1, 0x7f800000, v0
	v_cmp_ne_u32_e32 vcc, s41, v1
                                        ; implicit-def: $agpr44
	s_and_saveexec_b64 s[30:31], vcc
	s_xor_b64 vcc, exec, s[30:31]
; %bb.393:                              ;   in Loop: Header=BB386_13 Depth=1
	v_bfe_u32 v1, v0, 16, 1
	v_add3_u32 v0, v0, v1, s42
	v_accvgpr_write_b32 a44, v0
                                        ; implicit-def: $vgpr0
; %bb.394:                              ;   in Loop: Header=BB386_13 Depth=1
	s_andn2_saveexec_b64 s[30:31], vcc
; %bb.395:                              ;   in Loop: Header=BB386_13 Depth=1
	v_or_b32_e32 v1, 0x10000, v0
	v_cmp_eq_u32_sdwa vcc, v0, v62 src0_sel:WORD_0 src1_sel:DWORD
	v_cndmask_b32_e32 v0, v1, v0, vcc
	v_accvgpr_write_b32 a44, v0
; %bb.396:                              ;   in Loop: Header=BB386_13 Depth=1
	s_or_b64 exec, exec, s[30:31]
	v_lshrrev_b32_e32 v60, 16, v58
	v_cmp_ne_u16_sdwa vcc, v60, v62 src0_sel:BYTE_0 src1_sel:DWORD
	v_mov_b32_e32 v0, 0
	s_and_saveexec_b64 s[30:31], vcc
	s_cbranch_execz .LBB386_402
; %bb.397:                              ;   in Loop: Header=BB386_13 Depth=1
	v_cmp_ne_u16_sdwa vcc, v60, s39 src0_sel:BYTE_0 src1_sel:DWORD
	v_bfrev_b32_e32 v0, 1
	s_and_saveexec_b64 s[34:35], vcc
	s_cbranch_execz .LBB386_401
; %bb.398:                              ;   in Loop: Header=BB386_13 Depth=1
	v_bfe_u32 v1, v58, 16, 7
	v_cmp_ne_u32_e32 vcc, s40, v1
	v_mov_b32_e32 v0, 0x7f800001
	s_and_saveexec_b64 s[36:37], vcc
	s_cbranch_execz .LBB386_400
; %bb.399:                              ;   in Loop: Header=BB386_13 Depth=1
	v_and_b32_e32 v2, 7, v60
	v_ffbh_u32_e32 v0, v2
	v_min_u32_e32 v5, 32, v0
	v_subrev_u32_e32 v0, 28, v5
	v_lshrrev_b32_e32 v4, 3, v1
	v_cmp_gt_u32_e32 vcc, 8, v1
	v_lshlrev_b64 v[0:1], v0, v[60:61]
	v_sub_u32_e32 v1, 29, v5
	v_and_b32_e32 v0, 7, v0
	v_cndmask_b32_e32 v1, v4, v1, vcc
	v_cndmask_b32_e32 v0, v2, v0, vcc
	v_lshlrev_b32_e32 v2, 24, v60
	v_bfrev_b32_e32 v4, 60
	v_lshlrev_b32_e32 v0, 20, v0
	v_and_b32_e32 v2, 0x80000000, v2
	v_lshl_add_u32 v1, v1, 23, v4
	v_or3_b32 v0, v2, v1, v0
.LBB386_400:                            ;   in Loop: Header=BB386_13 Depth=1
	s_or_b64 exec, exec, s[36:37]
.LBB386_401:                            ;   in Loop: Header=BB386_13 Depth=1
	s_or_b64 exec, exec, s[34:35]
.LBB386_402:                            ;   in Loop: Header=BB386_13 Depth=1
	s_or_b64 exec, exec, s[30:31]
	v_mul_f32_e32 v0, v3, v0
	v_and_b32_e32 v1, 0x7f800000, v0
	v_cmp_ne_u32_e32 vcc, s41, v1
                                        ; implicit-def: $agpr34
	s_and_saveexec_b64 s[30:31], vcc
	s_xor_b64 vcc, exec, s[30:31]
; %bb.403:                              ;   in Loop: Header=BB386_13 Depth=1
	v_bfe_u32 v1, v0, 16, 1
	v_add3_u32 v0, v0, v1, s42
	v_accvgpr_write_b32 a34, v0
                                        ; implicit-def: $vgpr0
; %bb.404:                              ;   in Loop: Header=BB386_13 Depth=1
	s_andn2_saveexec_b64 s[30:31], vcc
; %bb.405:                              ;   in Loop: Header=BB386_13 Depth=1
	v_or_b32_e32 v1, 0x10000, v0
	v_cmp_eq_u32_sdwa vcc, v0, v62 src0_sel:WORD_0 src1_sel:DWORD
	v_cndmask_b32_e32 v0, v1, v0, vcc
	v_accvgpr_write_b32 a34, v0
; %bb.406:                              ;   in Loop: Header=BB386_13 Depth=1
	s_or_b64 exec, exec, s[30:31]
	v_cmp_lt_u32_e32 vcc, s43, v58
	v_mov_b32_e32 v0, 0
	s_and_saveexec_b64 s[30:31], vcc
	s_cbranch_execz .LBB386_412
; %bb.407:                              ;   in Loop: Header=BB386_13 Depth=1
	v_lshrrev_b32_e32 v60, 24, v58
	v_cmp_ne_u32_e32 vcc, s39, v60
	v_bfrev_b32_e32 v0, 1
	s_and_saveexec_b64 s[34:35], vcc
	s_cbranch_execz .LBB386_411
; %bb.408:                              ;   in Loop: Header=BB386_13 Depth=1
	v_bfe_u32 v1, v58, 24, 7
	v_cmp_ne_u32_e32 vcc, s40, v1
	v_mov_b32_e32 v0, 0x7f800001
	s_and_saveexec_b64 s[36:37], vcc
	s_cbranch_execz .LBB386_410
; %bb.409:                              ;   in Loop: Header=BB386_13 Depth=1
	v_and_b32_e32 v2, 7, v60
	v_ffbh_u32_e32 v0, v2
	v_min_u32_e32 v5, 32, v0
	v_subrev_u32_e32 v0, 28, v5
	v_lshrrev_b32_e32 v4, 3, v1
	v_cmp_gt_u32_e32 vcc, 8, v1
	v_lshlrev_b64 v[0:1], v0, v[60:61]
	v_sub_u32_e32 v1, 29, v5
	v_and_b32_e32 v0, 7, v0
	v_cndmask_b32_e32 v1, v4, v1, vcc
	v_cndmask_b32_e32 v0, v2, v0, vcc
	v_lshlrev_b32_e32 v2, 24, v60
	v_bfrev_b32_e32 v4, 60
	v_lshlrev_b32_e32 v0, 20, v0
	v_and_b32_e32 v2, 0x80000000, v2
	v_lshl_add_u32 v1, v1, 23, v4
	v_or3_b32 v0, v2, v1, v0
.LBB386_410:                            ;   in Loop: Header=BB386_13 Depth=1
	s_or_b64 exec, exec, s[36:37]
.LBB386_411:                            ;   in Loop: Header=BB386_13 Depth=1
	s_or_b64 exec, exec, s[34:35]
.LBB386_412:                            ;   in Loop: Header=BB386_13 Depth=1
	s_or_b64 exec, exec, s[30:31]
	v_mul_f32_e32 v0, v3, v0
	v_and_b32_e32 v1, 0x7f800000, v0
	v_cmp_ne_u32_e32 vcc, s41, v1
                                        ; implicit-def: $agpr38
	s_and_saveexec_b64 s[30:31], vcc
	s_xor_b64 vcc, exec, s[30:31]
; %bb.413:                              ;   in Loop: Header=BB386_13 Depth=1
	v_bfe_u32 v1, v0, 16, 1
	v_add3_u32 v0, v0, v1, s42
	v_accvgpr_write_b32 a38, v0
                                        ; implicit-def: $vgpr0
; %bb.414:                              ;   in Loop: Header=BB386_13 Depth=1
	s_andn2_saveexec_b64 s[30:31], vcc
; %bb.415:                              ;   in Loop: Header=BB386_13 Depth=1
	v_or_b32_e32 v1, 0x10000, v0
	v_cmp_eq_u32_sdwa vcc, v0, v62 src0_sel:WORD_0 src1_sel:DWORD
	v_cndmask_b32_e32 v0, v1, v0, vcc
	v_accvgpr_write_b32 a38, v0
; %bb.416:                              ;   in Loop: Header=BB386_13 Depth=1
	s_or_b64 exec, exec, s[30:31]
	flat_load_dword v58, v[56:57] offset:2560
	v_mov_b32_e32 v0, 0
	s_waitcnt vmcnt(0) lgkmcnt(0)
	v_cmp_ne_u16_sdwa vcc, v58, v62 src0_sel:BYTE_0 src1_sel:DWORD
	s_and_saveexec_b64 s[30:31], vcc
	s_cbranch_execz .LBB386_422
; %bb.417:                              ;   in Loop: Header=BB386_13 Depth=1
	v_cmp_ne_u16_sdwa vcc, v58, s39 src0_sel:BYTE_0 src1_sel:DWORD
	v_bfrev_b32_e32 v0, 1
	s_and_saveexec_b64 s[34:35], vcc
	s_cbranch_execz .LBB386_421
; %bb.418:                              ;   in Loop: Header=BB386_13 Depth=1
	v_and_b32_e32 v1, 0x7f, v58
	v_cmp_ne_u32_e32 vcc, s40, v1
	v_mov_b32_e32 v0, 0x7f800001
	s_and_saveexec_b64 s[36:37], vcc
	s_cbranch_execz .LBB386_420
; %bb.419:                              ;   in Loop: Header=BB386_13 Depth=1
	v_and_b32_e32 v2, 7, v58
	v_ffbh_u32_e32 v0, v2
	v_min_u32_e32 v5, 32, v0
	v_subrev_u32_e32 v0, 28, v5
	v_lshrrev_b32_e32 v4, 3, v1
	v_cmp_gt_u32_e32 vcc, 8, v1
	v_lshlrev_b64 v[0:1], v0, v[58:59]
	v_sub_u32_e32 v1, 29, v5
	v_and_b32_e32 v0, 7, v0
	v_cndmask_b32_e32 v1, v4, v1, vcc
	v_cndmask_b32_e32 v0, v2, v0, vcc
	v_lshlrev_b32_e32 v2, 24, v58
	v_bfrev_b32_e32 v4, 60
	v_lshlrev_b32_e32 v0, 20, v0
	v_and_b32_e32 v2, 0x80000000, v2
	v_lshl_add_u32 v1, v1, 23, v4
	v_or3_b32 v0, v2, v1, v0
.LBB386_420:                            ;   in Loop: Header=BB386_13 Depth=1
	s_or_b64 exec, exec, s[36:37]
.LBB386_421:                            ;   in Loop: Header=BB386_13 Depth=1
	s_or_b64 exec, exec, s[34:35]
.LBB386_422:                            ;   in Loop: Header=BB386_13 Depth=1
	s_or_b64 exec, exec, s[30:31]
	v_mul_f32_e32 v0, v3, v0
	v_and_b32_e32 v1, 0x7f800000, v0
	v_cmp_ne_u32_e32 vcc, s41, v1
                                        ; implicit-def: $agpr35
	s_and_saveexec_b64 s[30:31], vcc
	s_xor_b64 vcc, exec, s[30:31]
; %bb.423:                              ;   in Loop: Header=BB386_13 Depth=1
	v_bfe_u32 v1, v0, 16, 1
	v_add3_u32 v0, v0, v1, s42
	v_accvgpr_write_b32 a35, v0
                                        ; implicit-def: $vgpr0
; %bb.424:                              ;   in Loop: Header=BB386_13 Depth=1
	s_andn2_saveexec_b64 s[30:31], vcc
; %bb.425:                              ;   in Loop: Header=BB386_13 Depth=1
	v_or_b32_e32 v1, 0x10000, v0
	v_cmp_eq_u32_sdwa vcc, v0, v62 src0_sel:WORD_0 src1_sel:DWORD
	v_cndmask_b32_e32 v0, v1, v0, vcc
	v_accvgpr_write_b32 a35, v0
; %bb.426:                              ;   in Loop: Header=BB386_13 Depth=1
	s_or_b64 exec, exec, s[30:31]
	v_lshrrev_b16_e32 v60, 8, v58
	v_cmp_ne_u16_e32 vcc, 0, v60
	v_mov_b32_e32 v0, 0
	s_and_saveexec_b64 s[30:31], vcc
	s_cbranch_execz .LBB386_432
; %bb.427:                              ;   in Loop: Header=BB386_13 Depth=1
	v_cmp_ne_u16_e32 vcc, s39, v60
	v_bfrev_b32_e32 v0, 1
	s_and_saveexec_b64 s[34:35], vcc
	s_cbranch_execz .LBB386_431
; %bb.428:                              ;   in Loop: Header=BB386_13 Depth=1
	v_and_b32_e32 v1, 0x7f, v60
	v_cmp_ne_u32_e32 vcc, s40, v1
	v_mov_b32_e32 v0, 0x7f800001
	s_and_saveexec_b64 s[36:37], vcc
	s_cbranch_execz .LBB386_430
; %bb.429:                              ;   in Loop: Header=BB386_13 Depth=1
	v_and_b32_e32 v2, 7, v60
	v_ffbh_u32_e32 v0, v2
	v_min_u32_e32 v5, 32, v0
	v_subrev_u32_e32 v0, 28, v5
	v_lshrrev_b32_e32 v4, 3, v1
	v_cmp_gt_u32_e32 vcc, 8, v1
	v_lshlrev_b64 v[0:1], v0, v[60:61]
	v_sub_u32_e32 v1, 29, v5
	v_and_b32_e32 v0, 7, v0
	v_cndmask_b32_e32 v1, v4, v1, vcc
	v_cndmask_b32_e32 v0, v2, v0, vcc
	v_lshlrev_b32_e32 v2, 16, v58
	v_bfrev_b32_e32 v4, 60
	v_lshlrev_b32_e32 v0, 20, v0
	v_and_b32_e32 v2, 0x80000000, v2
	v_lshl_add_u32 v1, v1, 23, v4
	v_or3_b32 v0, v2, v1, v0
.LBB386_430:                            ;   in Loop: Header=BB386_13 Depth=1
	s_or_b64 exec, exec, s[36:37]
.LBB386_431:                            ;   in Loop: Header=BB386_13 Depth=1
	s_or_b64 exec, exec, s[34:35]
.LBB386_432:                            ;   in Loop: Header=BB386_13 Depth=1
	s_or_b64 exec, exec, s[30:31]
	v_mul_f32_e32 v0, v3, v0
	v_and_b32_e32 v1, 0x7f800000, v0
	v_cmp_ne_u32_e32 vcc, s41, v1
                                        ; implicit-def: $agpr36
	s_and_saveexec_b64 s[30:31], vcc
	s_xor_b64 vcc, exec, s[30:31]
; %bb.433:                              ;   in Loop: Header=BB386_13 Depth=1
	v_bfe_u32 v1, v0, 16, 1
	v_add3_u32 v0, v0, v1, s42
	v_accvgpr_write_b32 a36, v0
                                        ; implicit-def: $vgpr0
; %bb.434:                              ;   in Loop: Header=BB386_13 Depth=1
	s_andn2_saveexec_b64 s[30:31], vcc
; %bb.435:                              ;   in Loop: Header=BB386_13 Depth=1
	v_or_b32_e32 v1, 0x10000, v0
	v_cmp_eq_u32_sdwa vcc, v0, v62 src0_sel:WORD_0 src1_sel:DWORD
	v_cndmask_b32_e32 v0, v1, v0, vcc
	v_accvgpr_write_b32 a36, v0
; %bb.436:                              ;   in Loop: Header=BB386_13 Depth=1
	s_or_b64 exec, exec, s[30:31]
	v_lshrrev_b32_e32 v60, 16, v58
	v_cmp_ne_u16_sdwa vcc, v60, v62 src0_sel:BYTE_0 src1_sel:DWORD
	v_mov_b32_e32 v0, 0
	s_and_saveexec_b64 s[30:31], vcc
	s_cbranch_execz .LBB386_442
; %bb.437:                              ;   in Loop: Header=BB386_13 Depth=1
	v_cmp_ne_u16_sdwa vcc, v60, s39 src0_sel:BYTE_0 src1_sel:DWORD
	v_bfrev_b32_e32 v0, 1
	s_and_saveexec_b64 s[34:35], vcc
	s_cbranch_execz .LBB386_441
; %bb.438:                              ;   in Loop: Header=BB386_13 Depth=1
	v_bfe_u32 v1, v58, 16, 7
	v_cmp_ne_u32_e32 vcc, s40, v1
	v_mov_b32_e32 v0, 0x7f800001
	s_and_saveexec_b64 s[36:37], vcc
	s_cbranch_execz .LBB386_440
; %bb.439:                              ;   in Loop: Header=BB386_13 Depth=1
	v_and_b32_e32 v2, 7, v60
	v_ffbh_u32_e32 v0, v2
	v_min_u32_e32 v5, 32, v0
	v_subrev_u32_e32 v0, 28, v5
	v_lshrrev_b32_e32 v4, 3, v1
	v_cmp_gt_u32_e32 vcc, 8, v1
	v_lshlrev_b64 v[0:1], v0, v[60:61]
	v_sub_u32_e32 v1, 29, v5
	v_and_b32_e32 v0, 7, v0
	v_cndmask_b32_e32 v1, v4, v1, vcc
	v_cndmask_b32_e32 v0, v2, v0, vcc
	v_lshlrev_b32_e32 v2, 24, v60
	v_bfrev_b32_e32 v4, 60
	v_lshlrev_b32_e32 v0, 20, v0
	v_and_b32_e32 v2, 0x80000000, v2
	v_lshl_add_u32 v1, v1, 23, v4
	v_or3_b32 v0, v2, v1, v0
.LBB386_440:                            ;   in Loop: Header=BB386_13 Depth=1
	s_or_b64 exec, exec, s[36:37]
.LBB386_441:                            ;   in Loop: Header=BB386_13 Depth=1
	s_or_b64 exec, exec, s[34:35]
.LBB386_442:                            ;   in Loop: Header=BB386_13 Depth=1
	s_or_b64 exec, exec, s[30:31]
	v_mul_f32_e32 v0, v3, v0
	v_and_b32_e32 v1, 0x7f800000, v0
	v_cmp_ne_u32_e32 vcc, s41, v1
                                        ; implicit-def: $agpr37
	s_and_saveexec_b64 s[30:31], vcc
	s_xor_b64 vcc, exec, s[30:31]
; %bb.443:                              ;   in Loop: Header=BB386_13 Depth=1
	v_bfe_u32 v1, v0, 16, 1
	v_add3_u32 v0, v0, v1, s42
	v_accvgpr_write_b32 a37, v0
                                        ; implicit-def: $vgpr0
; %bb.444:                              ;   in Loop: Header=BB386_13 Depth=1
	s_andn2_saveexec_b64 s[30:31], vcc
; %bb.445:                              ;   in Loop: Header=BB386_13 Depth=1
	v_or_b32_e32 v1, 0x10000, v0
	v_cmp_eq_u32_sdwa vcc, v0, v62 src0_sel:WORD_0 src1_sel:DWORD
	v_cndmask_b32_e32 v0, v1, v0, vcc
	v_accvgpr_write_b32 a37, v0
; %bb.446:                              ;   in Loop: Header=BB386_13 Depth=1
	s_or_b64 exec, exec, s[30:31]
	v_cmp_lt_u32_e32 vcc, s43, v58
	v_mov_b32_e32 v0, 0
	s_and_saveexec_b64 s[30:31], vcc
	s_cbranch_execz .LBB386_452
; %bb.447:                              ;   in Loop: Header=BB386_13 Depth=1
	v_lshrrev_b32_e32 v60, 24, v58
	v_cmp_ne_u32_e32 vcc, s39, v60
	v_bfrev_b32_e32 v0, 1
	s_and_saveexec_b64 s[34:35], vcc
	s_cbranch_execz .LBB386_451
; %bb.448:                              ;   in Loop: Header=BB386_13 Depth=1
	v_bfe_u32 v1, v58, 24, 7
	v_cmp_ne_u32_e32 vcc, s40, v1
	v_mov_b32_e32 v0, 0x7f800001
	s_and_saveexec_b64 s[36:37], vcc
	s_cbranch_execz .LBB386_450
; %bb.449:                              ;   in Loop: Header=BB386_13 Depth=1
	v_and_b32_e32 v2, 7, v60
	v_ffbh_u32_e32 v0, v2
	v_min_u32_e32 v5, 32, v0
	v_subrev_u32_e32 v0, 28, v5
	v_lshrrev_b32_e32 v4, 3, v1
	v_cmp_gt_u32_e32 vcc, 8, v1
	v_lshlrev_b64 v[0:1], v0, v[60:61]
	v_sub_u32_e32 v1, 29, v5
	v_and_b32_e32 v0, 7, v0
	v_cndmask_b32_e32 v1, v4, v1, vcc
	v_cndmask_b32_e32 v0, v2, v0, vcc
	v_lshlrev_b32_e32 v2, 24, v60
	v_bfrev_b32_e32 v4, 60
	v_lshlrev_b32_e32 v0, 20, v0
	v_and_b32_e32 v2, 0x80000000, v2
	v_lshl_add_u32 v1, v1, 23, v4
	v_or3_b32 v0, v2, v1, v0
.LBB386_450:                            ;   in Loop: Header=BB386_13 Depth=1
	s_or_b64 exec, exec, s[36:37]
.LBB386_451:                            ;   in Loop: Header=BB386_13 Depth=1
	s_or_b64 exec, exec, s[34:35]
.LBB386_452:                            ;   in Loop: Header=BB386_13 Depth=1
	s_or_b64 exec, exec, s[30:31]
	v_mul_f32_e32 v0, v3, v0
	v_and_b32_e32 v1, 0x7f800000, v0
	v_cmp_ne_u32_e32 vcc, s41, v1
                                        ; implicit-def: $agpr2
	s_and_saveexec_b64 s[30:31], vcc
	s_xor_b64 vcc, exec, s[30:31]
; %bb.453:                              ;   in Loop: Header=BB386_13 Depth=1
	v_bfe_u32 v1, v0, 16, 1
	v_add3_u32 v0, v0, v1, s42
	v_accvgpr_write_b32 a2, v0
                                        ; implicit-def: $vgpr0
; %bb.454:                              ;   in Loop: Header=BB386_13 Depth=1
	s_andn2_saveexec_b64 s[30:31], vcc
; %bb.455:                              ;   in Loop: Header=BB386_13 Depth=1
	v_or_b32_e32 v1, 0x10000, v0
	v_cmp_eq_u32_sdwa vcc, v0, v62 src0_sel:WORD_0 src1_sel:DWORD
	v_cndmask_b32_e32 v0, v1, v0, vcc
	v_accvgpr_write_b32 a2, v0
; %bb.456:                              ;   in Loop: Header=BB386_13 Depth=1
	s_or_b64 exec, exec, s[30:31]
	flat_load_dword v58, v[56:57] offset:2568
	v_mov_b32_e32 v0, 0
	s_waitcnt vmcnt(0) lgkmcnt(0)
	v_cmp_ne_u16_sdwa vcc, v58, v62 src0_sel:BYTE_0 src1_sel:DWORD
	s_and_saveexec_b64 s[30:31], vcc
	s_cbranch_execz .LBB386_462
; %bb.457:                              ;   in Loop: Header=BB386_13 Depth=1
	v_cmp_ne_u16_sdwa vcc, v58, s39 src0_sel:BYTE_0 src1_sel:DWORD
	v_bfrev_b32_e32 v0, 1
	s_and_saveexec_b64 s[34:35], vcc
	s_cbranch_execz .LBB386_461
; %bb.458:                              ;   in Loop: Header=BB386_13 Depth=1
	v_and_b32_e32 v1, 0x7f, v58
	v_cmp_ne_u32_e32 vcc, s40, v1
	v_mov_b32_e32 v0, 0x7f800001
	s_and_saveexec_b64 s[36:37], vcc
	s_cbranch_execz .LBB386_460
; %bb.459:                              ;   in Loop: Header=BB386_13 Depth=1
	v_and_b32_e32 v2, 7, v58
	v_ffbh_u32_e32 v0, v2
	v_min_u32_e32 v5, 32, v0
	v_subrev_u32_e32 v0, 28, v5
	v_lshrrev_b32_e32 v4, 3, v1
	v_cmp_gt_u32_e32 vcc, 8, v1
	v_lshlrev_b64 v[0:1], v0, v[58:59]
	v_sub_u32_e32 v1, 29, v5
	v_and_b32_e32 v0, 7, v0
	v_cndmask_b32_e32 v1, v4, v1, vcc
	v_cndmask_b32_e32 v0, v2, v0, vcc
	v_lshlrev_b32_e32 v2, 24, v58
	v_bfrev_b32_e32 v4, 60
	v_lshlrev_b32_e32 v0, 20, v0
	v_and_b32_e32 v2, 0x80000000, v2
	v_lshl_add_u32 v1, v1, 23, v4
	v_or3_b32 v0, v2, v1, v0
.LBB386_460:                            ;   in Loop: Header=BB386_13 Depth=1
	s_or_b64 exec, exec, s[36:37]
.LBB386_461:                            ;   in Loop: Header=BB386_13 Depth=1
	s_or_b64 exec, exec, s[34:35]
.LBB386_462:                            ;   in Loop: Header=BB386_13 Depth=1
	s_or_b64 exec, exec, s[30:31]
	v_mul_f32_e32 v0, v3, v0
	v_and_b32_e32 v1, 0x7f800000, v0
	v_cmp_ne_u32_e32 vcc, s41, v1
                                        ; implicit-def: $agpr32
	s_and_saveexec_b64 s[30:31], vcc
	s_xor_b64 vcc, exec, s[30:31]
; %bb.463:                              ;   in Loop: Header=BB386_13 Depth=1
	v_bfe_u32 v1, v0, 16, 1
	v_add3_u32 v0, v0, v1, s42
	v_accvgpr_write_b32 a32, v0
                                        ; implicit-def: $vgpr0
; %bb.464:                              ;   in Loop: Header=BB386_13 Depth=1
	s_andn2_saveexec_b64 s[30:31], vcc
; %bb.465:                              ;   in Loop: Header=BB386_13 Depth=1
	v_or_b32_e32 v1, 0x10000, v0
	v_cmp_eq_u32_sdwa vcc, v0, v62 src0_sel:WORD_0 src1_sel:DWORD
	v_cndmask_b32_e32 v0, v1, v0, vcc
	v_accvgpr_write_b32 a32, v0
; %bb.466:                              ;   in Loop: Header=BB386_13 Depth=1
	s_or_b64 exec, exec, s[30:31]
	v_lshrrev_b16_e32 v60, 8, v58
	v_cmp_ne_u16_e32 vcc, 0, v60
	v_mov_b32_e32 v0, 0
	s_and_saveexec_b64 s[30:31], vcc
	s_cbranch_execz .LBB386_472
; %bb.467:                              ;   in Loop: Header=BB386_13 Depth=1
	v_cmp_ne_u16_e32 vcc, s39, v60
	v_bfrev_b32_e32 v0, 1
	s_and_saveexec_b64 s[34:35], vcc
	s_cbranch_execz .LBB386_471
; %bb.468:                              ;   in Loop: Header=BB386_13 Depth=1
	v_and_b32_e32 v1, 0x7f, v60
	v_cmp_ne_u32_e32 vcc, s40, v1
	v_mov_b32_e32 v0, 0x7f800001
	s_and_saveexec_b64 s[36:37], vcc
	s_cbranch_execz .LBB386_470
; %bb.469:                              ;   in Loop: Header=BB386_13 Depth=1
	v_and_b32_e32 v2, 7, v60
	v_ffbh_u32_e32 v0, v2
	v_min_u32_e32 v5, 32, v0
	v_subrev_u32_e32 v0, 28, v5
	v_lshrrev_b32_e32 v4, 3, v1
	v_cmp_gt_u32_e32 vcc, 8, v1
	v_lshlrev_b64 v[0:1], v0, v[60:61]
	v_sub_u32_e32 v1, 29, v5
	v_and_b32_e32 v0, 7, v0
	v_cndmask_b32_e32 v1, v4, v1, vcc
	v_cndmask_b32_e32 v0, v2, v0, vcc
	v_lshlrev_b32_e32 v2, 16, v58
	v_bfrev_b32_e32 v4, 60
	v_lshlrev_b32_e32 v0, 20, v0
	v_and_b32_e32 v2, 0x80000000, v2
	v_lshl_add_u32 v1, v1, 23, v4
	v_or3_b32 v0, v2, v1, v0
.LBB386_470:                            ;   in Loop: Header=BB386_13 Depth=1
	s_or_b64 exec, exec, s[36:37]
.LBB386_471:                            ;   in Loop: Header=BB386_13 Depth=1
	s_or_b64 exec, exec, s[34:35]
.LBB386_472:                            ;   in Loop: Header=BB386_13 Depth=1
	s_or_b64 exec, exec, s[30:31]
	v_mul_f32_e32 v0, v3, v0
	v_and_b32_e32 v1, 0x7f800000, v0
	v_cmp_ne_u32_e32 vcc, s41, v1
                                        ; implicit-def: $agpr33
	s_and_saveexec_b64 s[30:31], vcc
	s_xor_b64 vcc, exec, s[30:31]
; %bb.473:                              ;   in Loop: Header=BB386_13 Depth=1
	v_bfe_u32 v1, v0, 16, 1
	v_add3_u32 v0, v0, v1, s42
	v_accvgpr_write_b32 a33, v0
                                        ; implicit-def: $vgpr0
; %bb.474:                              ;   in Loop: Header=BB386_13 Depth=1
	s_andn2_saveexec_b64 s[30:31], vcc
; %bb.475:                              ;   in Loop: Header=BB386_13 Depth=1
	v_or_b32_e32 v1, 0x10000, v0
	v_cmp_eq_u32_sdwa vcc, v0, v62 src0_sel:WORD_0 src1_sel:DWORD
	v_cndmask_b32_e32 v0, v1, v0, vcc
	v_accvgpr_write_b32 a33, v0
; %bb.476:                              ;   in Loop: Header=BB386_13 Depth=1
	s_or_b64 exec, exec, s[30:31]
	v_lshrrev_b32_e32 v60, 16, v58
	v_cmp_ne_u16_sdwa vcc, v60, v62 src0_sel:BYTE_0 src1_sel:DWORD
	v_mov_b32_e32 v0, 0
	s_and_saveexec_b64 s[30:31], vcc
	s_cbranch_execz .LBB386_482
; %bb.477:                              ;   in Loop: Header=BB386_13 Depth=1
	v_cmp_ne_u16_sdwa vcc, v60, s39 src0_sel:BYTE_0 src1_sel:DWORD
	v_bfrev_b32_e32 v0, 1
	s_and_saveexec_b64 s[34:35], vcc
	s_cbranch_execz .LBB386_481
; %bb.478:                              ;   in Loop: Header=BB386_13 Depth=1
	v_bfe_u32 v1, v58, 16, 7
	v_cmp_ne_u32_e32 vcc, s40, v1
	v_mov_b32_e32 v0, 0x7f800001
	s_and_saveexec_b64 s[36:37], vcc
	s_cbranch_execz .LBB386_480
; %bb.479:                              ;   in Loop: Header=BB386_13 Depth=1
	v_and_b32_e32 v2, 7, v60
	v_ffbh_u32_e32 v0, v2
	v_min_u32_e32 v5, 32, v0
	v_subrev_u32_e32 v0, 28, v5
	v_lshrrev_b32_e32 v4, 3, v1
	v_cmp_gt_u32_e32 vcc, 8, v1
	v_lshlrev_b64 v[0:1], v0, v[60:61]
	v_sub_u32_e32 v1, 29, v5
	v_and_b32_e32 v0, 7, v0
	v_cndmask_b32_e32 v1, v4, v1, vcc
	v_cndmask_b32_e32 v0, v2, v0, vcc
	v_lshlrev_b32_e32 v2, 24, v60
	v_bfrev_b32_e32 v4, 60
	v_lshlrev_b32_e32 v0, 20, v0
	v_and_b32_e32 v2, 0x80000000, v2
	v_lshl_add_u32 v1, v1, 23, v4
	v_or3_b32 v0, v2, v1, v0
.LBB386_480:                            ;   in Loop: Header=BB386_13 Depth=1
	s_or_b64 exec, exec, s[36:37]
.LBB386_481:                            ;   in Loop: Header=BB386_13 Depth=1
	s_or_b64 exec, exec, s[34:35]
.LBB386_482:                            ;   in Loop: Header=BB386_13 Depth=1
	s_or_b64 exec, exec, s[30:31]
	v_mul_f32_e32 v0, v3, v0
	v_and_b32_e32 v1, 0x7f800000, v0
	v_cmp_ne_u32_e32 vcc, s41, v1
                                        ; implicit-def: $agpr8
	s_and_saveexec_b64 s[30:31], vcc
	s_xor_b64 vcc, exec, s[30:31]
; %bb.483:                              ;   in Loop: Header=BB386_13 Depth=1
	v_bfe_u32 v1, v0, 16, 1
	v_add3_u32 v0, v0, v1, s42
	v_accvgpr_write_b32 a8, v0
                                        ; implicit-def: $vgpr0
; %bb.484:                              ;   in Loop: Header=BB386_13 Depth=1
	s_andn2_saveexec_b64 s[30:31], vcc
; %bb.485:                              ;   in Loop: Header=BB386_13 Depth=1
	v_or_b32_e32 v1, 0x10000, v0
	v_cmp_eq_u32_sdwa vcc, v0, v62 src0_sel:WORD_0 src1_sel:DWORD
	v_cndmask_b32_e32 v0, v1, v0, vcc
	v_accvgpr_write_b32 a8, v0
; %bb.486:                              ;   in Loop: Header=BB386_13 Depth=1
	s_or_b64 exec, exec, s[30:31]
	v_cmp_lt_u32_e32 vcc, s43, v58
	v_mov_b32_e32 v0, 0
	s_and_saveexec_b64 s[30:31], vcc
	s_cbranch_execz .LBB386_492
; %bb.487:                              ;   in Loop: Header=BB386_13 Depth=1
	v_lshrrev_b32_e32 v60, 24, v58
	v_cmp_ne_u32_e32 vcc, s39, v60
	v_bfrev_b32_e32 v0, 1
	s_and_saveexec_b64 s[34:35], vcc
	s_cbranch_execz .LBB386_491
; %bb.488:                              ;   in Loop: Header=BB386_13 Depth=1
	v_bfe_u32 v1, v58, 24, 7
	v_cmp_ne_u32_e32 vcc, s40, v1
	v_mov_b32_e32 v0, 0x7f800001
	s_and_saveexec_b64 s[36:37], vcc
	s_cbranch_execz .LBB386_490
; %bb.489:                              ;   in Loop: Header=BB386_13 Depth=1
	v_and_b32_e32 v2, 7, v60
	v_ffbh_u32_e32 v0, v2
	v_min_u32_e32 v5, 32, v0
	v_subrev_u32_e32 v0, 28, v5
	v_lshrrev_b32_e32 v4, 3, v1
	v_cmp_gt_u32_e32 vcc, 8, v1
	v_lshlrev_b64 v[0:1], v0, v[60:61]
	v_sub_u32_e32 v1, 29, v5
	v_and_b32_e32 v0, 7, v0
	v_cndmask_b32_e32 v1, v4, v1, vcc
	v_cndmask_b32_e32 v0, v2, v0, vcc
	v_lshlrev_b32_e32 v2, 24, v60
	v_bfrev_b32_e32 v4, 60
	v_lshlrev_b32_e32 v0, 20, v0
	v_and_b32_e32 v2, 0x80000000, v2
	v_lshl_add_u32 v1, v1, 23, v4
	v_or3_b32 v0, v2, v1, v0
.LBB386_490:                            ;   in Loop: Header=BB386_13 Depth=1
	s_or_b64 exec, exec, s[36:37]
.LBB386_491:                            ;   in Loop: Header=BB386_13 Depth=1
	s_or_b64 exec, exec, s[34:35]
.LBB386_492:                            ;   in Loop: Header=BB386_13 Depth=1
	s_or_b64 exec, exec, s[30:31]
	v_mul_f32_e32 v0, v3, v0
	v_and_b32_e32 v1, 0x7f800000, v0
	v_cmp_ne_u32_e32 vcc, s41, v1
                                        ; implicit-def: $agpr40
	s_and_saveexec_b64 s[30:31], vcc
	s_xor_b64 vcc, exec, s[30:31]
; %bb.493:                              ;   in Loop: Header=BB386_13 Depth=1
	v_bfe_u32 v1, v0, 16, 1
	v_add3_u32 v0, v0, v1, s42
	v_accvgpr_write_b32 a40, v0
                                        ; implicit-def: $vgpr0
; %bb.494:                              ;   in Loop: Header=BB386_13 Depth=1
	s_andn2_saveexec_b64 s[30:31], vcc
; %bb.495:                              ;   in Loop: Header=BB386_13 Depth=1
	v_or_b32_e32 v1, 0x10000, v0
	v_cmp_eq_u32_sdwa vcc, v0, v62 src0_sel:WORD_0 src1_sel:DWORD
	v_cndmask_b32_e32 v0, v1, v0, vcc
	v_accvgpr_write_b32 a40, v0
; %bb.496:                              ;   in Loop: Header=BB386_13 Depth=1
	s_or_b64 exec, exec, s[30:31]
	flat_load_dword v58, v[56:57] offset:3072
	v_mov_b32_e32 v0, 0
	s_waitcnt vmcnt(0) lgkmcnt(0)
	v_cmp_ne_u16_sdwa vcc, v58, v62 src0_sel:BYTE_0 src1_sel:DWORD
	s_and_saveexec_b64 s[30:31], vcc
	s_cbranch_execz .LBB386_502
; %bb.497:                              ;   in Loop: Header=BB386_13 Depth=1
	v_cmp_ne_u16_sdwa vcc, v58, s39 src0_sel:BYTE_0 src1_sel:DWORD
	v_bfrev_b32_e32 v0, 1
	s_and_saveexec_b64 s[34:35], vcc
	s_cbranch_execz .LBB386_501
; %bb.498:                              ;   in Loop: Header=BB386_13 Depth=1
	v_and_b32_e32 v1, 0x7f, v58
	v_cmp_ne_u32_e32 vcc, s40, v1
	v_mov_b32_e32 v0, 0x7f800001
	s_and_saveexec_b64 s[36:37], vcc
	s_cbranch_execz .LBB386_500
; %bb.499:                              ;   in Loop: Header=BB386_13 Depth=1
	v_and_b32_e32 v2, 7, v58
	v_ffbh_u32_e32 v0, v2
	v_min_u32_e32 v5, 32, v0
	v_subrev_u32_e32 v0, 28, v5
	v_lshrrev_b32_e32 v4, 3, v1
	v_cmp_gt_u32_e32 vcc, 8, v1
	v_lshlrev_b64 v[0:1], v0, v[58:59]
	v_sub_u32_e32 v1, 29, v5
	v_and_b32_e32 v0, 7, v0
	v_cndmask_b32_e32 v1, v4, v1, vcc
	v_cndmask_b32_e32 v0, v2, v0, vcc
	v_lshlrev_b32_e32 v2, 24, v58
	v_bfrev_b32_e32 v4, 60
	v_lshlrev_b32_e32 v0, 20, v0
	v_and_b32_e32 v2, 0x80000000, v2
	v_lshl_add_u32 v1, v1, 23, v4
	v_or3_b32 v0, v2, v1, v0
.LBB386_500:                            ;   in Loop: Header=BB386_13 Depth=1
	s_or_b64 exec, exec, s[36:37]
.LBB386_501:                            ;   in Loop: Header=BB386_13 Depth=1
	s_or_b64 exec, exec, s[34:35]
.LBB386_502:                            ;   in Loop: Header=BB386_13 Depth=1
	s_or_b64 exec, exec, s[30:31]
	v_mul_f32_e32 v0, v3, v0
	v_and_b32_e32 v1, 0x7f800000, v0
	v_cmp_ne_u32_e32 vcc, s41, v1
                                        ; implicit-def: $agpr56
	s_and_saveexec_b64 s[30:31], vcc
	s_xor_b64 vcc, exec, s[30:31]
; %bb.503:                              ;   in Loop: Header=BB386_13 Depth=1
	v_bfe_u32 v1, v0, 16, 1
	v_add3_u32 v0, v0, v1, s42
	v_accvgpr_write_b32 a56, v0
                                        ; implicit-def: $vgpr0
; %bb.504:                              ;   in Loop: Header=BB386_13 Depth=1
	s_andn2_saveexec_b64 s[30:31], vcc
; %bb.505:                              ;   in Loop: Header=BB386_13 Depth=1
	v_or_b32_e32 v1, 0x10000, v0
	v_cmp_eq_u32_sdwa vcc, v0, v62 src0_sel:WORD_0 src1_sel:DWORD
	v_cndmask_b32_e32 v0, v1, v0, vcc
	v_accvgpr_write_b32 a56, v0
; %bb.506:                              ;   in Loop: Header=BB386_13 Depth=1
	s_or_b64 exec, exec, s[30:31]
	v_lshrrev_b16_e32 v60, 8, v58
	v_cmp_ne_u16_e32 vcc, 0, v60
	v_mov_b32_e32 v0, 0
	s_and_saveexec_b64 s[30:31], vcc
	s_cbranch_execz .LBB386_512
; %bb.507:                              ;   in Loop: Header=BB386_13 Depth=1
	v_cmp_ne_u16_e32 vcc, s39, v60
	v_bfrev_b32_e32 v0, 1
	s_and_saveexec_b64 s[34:35], vcc
	s_cbranch_execz .LBB386_511
; %bb.508:                              ;   in Loop: Header=BB386_13 Depth=1
	v_and_b32_e32 v1, 0x7f, v60
	v_cmp_ne_u32_e32 vcc, s40, v1
	v_mov_b32_e32 v0, 0x7f800001
	s_and_saveexec_b64 s[36:37], vcc
	s_cbranch_execz .LBB386_510
; %bb.509:                              ;   in Loop: Header=BB386_13 Depth=1
	v_and_b32_e32 v2, 7, v60
	v_ffbh_u32_e32 v0, v2
	v_min_u32_e32 v5, 32, v0
	v_subrev_u32_e32 v0, 28, v5
	v_lshrrev_b32_e32 v4, 3, v1
	v_cmp_gt_u32_e32 vcc, 8, v1
	v_lshlrev_b64 v[0:1], v0, v[60:61]
	v_sub_u32_e32 v1, 29, v5
	v_and_b32_e32 v0, 7, v0
	v_cndmask_b32_e32 v1, v4, v1, vcc
	v_cndmask_b32_e32 v0, v2, v0, vcc
	v_lshlrev_b32_e32 v2, 16, v58
	v_bfrev_b32_e32 v4, 60
	v_lshlrev_b32_e32 v0, 20, v0
	v_and_b32_e32 v2, 0x80000000, v2
	v_lshl_add_u32 v1, v1, 23, v4
	v_or3_b32 v0, v2, v1, v0
.LBB386_510:                            ;   in Loop: Header=BB386_13 Depth=1
	s_or_b64 exec, exec, s[36:37]
.LBB386_511:                            ;   in Loop: Header=BB386_13 Depth=1
	s_or_b64 exec, exec, s[34:35]
.LBB386_512:                            ;   in Loop: Header=BB386_13 Depth=1
	s_or_b64 exec, exec, s[30:31]
	v_mul_f32_e32 v0, v3, v0
	v_and_b32_e32 v1, 0x7f800000, v0
	v_cmp_ne_u32_e32 vcc, s41, v1
                                        ; implicit-def: $agpr47
	s_and_saveexec_b64 s[30:31], vcc
	s_xor_b64 vcc, exec, s[30:31]
; %bb.513:                              ;   in Loop: Header=BB386_13 Depth=1
	v_bfe_u32 v1, v0, 16, 1
	v_add3_u32 v0, v0, v1, s42
	v_accvgpr_write_b32 a47, v0
                                        ; implicit-def: $vgpr0
; %bb.514:                              ;   in Loop: Header=BB386_13 Depth=1
	s_andn2_saveexec_b64 s[30:31], vcc
; %bb.515:                              ;   in Loop: Header=BB386_13 Depth=1
	v_or_b32_e32 v1, 0x10000, v0
	v_cmp_eq_u32_sdwa vcc, v0, v62 src0_sel:WORD_0 src1_sel:DWORD
	v_cndmask_b32_e32 v0, v1, v0, vcc
	v_accvgpr_write_b32 a47, v0
; %bb.516:                              ;   in Loop: Header=BB386_13 Depth=1
	s_or_b64 exec, exec, s[30:31]
	v_lshrrev_b32_e32 v60, 16, v58
	v_cmp_ne_u16_sdwa vcc, v60, v62 src0_sel:BYTE_0 src1_sel:DWORD
	v_mov_b32_e32 v0, 0
	s_and_saveexec_b64 s[30:31], vcc
	s_cbranch_execz .LBB386_522
; %bb.517:                              ;   in Loop: Header=BB386_13 Depth=1
	v_cmp_ne_u16_sdwa vcc, v60, s39 src0_sel:BYTE_0 src1_sel:DWORD
	v_bfrev_b32_e32 v0, 1
	s_and_saveexec_b64 s[34:35], vcc
	s_cbranch_execz .LBB386_521
; %bb.518:                              ;   in Loop: Header=BB386_13 Depth=1
	v_bfe_u32 v1, v58, 16, 7
	v_cmp_ne_u32_e32 vcc, s40, v1
	v_mov_b32_e32 v0, 0x7f800001
	s_and_saveexec_b64 s[36:37], vcc
	s_cbranch_execz .LBB386_520
; %bb.519:                              ;   in Loop: Header=BB386_13 Depth=1
	v_and_b32_e32 v2, 7, v60
	v_ffbh_u32_e32 v0, v2
	v_min_u32_e32 v5, 32, v0
	v_subrev_u32_e32 v0, 28, v5
	v_lshrrev_b32_e32 v4, 3, v1
	v_cmp_gt_u32_e32 vcc, 8, v1
	v_lshlrev_b64 v[0:1], v0, v[60:61]
	v_sub_u32_e32 v1, 29, v5
	v_and_b32_e32 v0, 7, v0
	v_cndmask_b32_e32 v1, v4, v1, vcc
	v_cndmask_b32_e32 v0, v2, v0, vcc
	v_lshlrev_b32_e32 v2, 24, v60
	v_bfrev_b32_e32 v4, 60
	v_lshlrev_b32_e32 v0, 20, v0
	v_and_b32_e32 v2, 0x80000000, v2
	v_lshl_add_u32 v1, v1, 23, v4
	v_or3_b32 v0, v2, v1, v0
.LBB386_520:                            ;   in Loop: Header=BB386_13 Depth=1
	s_or_b64 exec, exec, s[36:37]
.LBB386_521:                            ;   in Loop: Header=BB386_13 Depth=1
	s_or_b64 exec, exec, s[34:35]
.LBB386_522:                            ;   in Loop: Header=BB386_13 Depth=1
	s_or_b64 exec, exec, s[30:31]
	v_mul_f32_e32 v0, v3, v0
	v_and_b32_e32 v1, 0x7f800000, v0
	v_cmp_ne_u32_e32 vcc, s41, v1
                                        ; implicit-def: $agpr46
	s_and_saveexec_b64 s[30:31], vcc
	s_xor_b64 vcc, exec, s[30:31]
; %bb.523:                              ;   in Loop: Header=BB386_13 Depth=1
	v_bfe_u32 v1, v0, 16, 1
	v_add3_u32 v0, v0, v1, s42
	v_accvgpr_write_b32 a46, v0
                                        ; implicit-def: $vgpr0
; %bb.524:                              ;   in Loop: Header=BB386_13 Depth=1
	s_andn2_saveexec_b64 s[30:31], vcc
; %bb.525:                              ;   in Loop: Header=BB386_13 Depth=1
	v_or_b32_e32 v1, 0x10000, v0
	v_cmp_eq_u32_sdwa vcc, v0, v62 src0_sel:WORD_0 src1_sel:DWORD
	v_cndmask_b32_e32 v0, v1, v0, vcc
	v_accvgpr_write_b32 a46, v0
; %bb.526:                              ;   in Loop: Header=BB386_13 Depth=1
	s_or_b64 exec, exec, s[30:31]
	v_cmp_lt_u32_e32 vcc, s43, v58
	v_mov_b32_e32 v0, 0
	s_and_saveexec_b64 s[30:31], vcc
	s_cbranch_execz .LBB386_532
; %bb.527:                              ;   in Loop: Header=BB386_13 Depth=1
	v_lshrrev_b32_e32 v60, 24, v58
	v_cmp_ne_u32_e32 vcc, s39, v60
	v_bfrev_b32_e32 v0, 1
	s_and_saveexec_b64 s[34:35], vcc
	s_cbranch_execz .LBB386_531
; %bb.528:                              ;   in Loop: Header=BB386_13 Depth=1
	v_bfe_u32 v1, v58, 24, 7
	v_cmp_ne_u32_e32 vcc, s40, v1
	v_mov_b32_e32 v0, 0x7f800001
	s_and_saveexec_b64 s[36:37], vcc
	s_cbranch_execz .LBB386_530
; %bb.529:                              ;   in Loop: Header=BB386_13 Depth=1
	v_and_b32_e32 v2, 7, v60
	v_ffbh_u32_e32 v0, v2
	v_min_u32_e32 v5, 32, v0
	v_subrev_u32_e32 v0, 28, v5
	v_lshrrev_b32_e32 v4, 3, v1
	v_cmp_gt_u32_e32 vcc, 8, v1
	v_lshlrev_b64 v[0:1], v0, v[60:61]
	v_sub_u32_e32 v1, 29, v5
	v_and_b32_e32 v0, 7, v0
	v_cndmask_b32_e32 v1, v4, v1, vcc
	v_cndmask_b32_e32 v0, v2, v0, vcc
	v_lshlrev_b32_e32 v2, 24, v60
	v_bfrev_b32_e32 v4, 60
	v_lshlrev_b32_e32 v0, 20, v0
	v_and_b32_e32 v2, 0x80000000, v2
	v_lshl_add_u32 v1, v1, 23, v4
	v_or3_b32 v0, v2, v1, v0
.LBB386_530:                            ;   in Loop: Header=BB386_13 Depth=1
	s_or_b64 exec, exec, s[36:37]
.LBB386_531:                            ;   in Loop: Header=BB386_13 Depth=1
	s_or_b64 exec, exec, s[34:35]
.LBB386_532:                            ;   in Loop: Header=BB386_13 Depth=1
	s_or_b64 exec, exec, s[30:31]
	v_mul_f32_e32 v0, v3, v0
	v_and_b32_e32 v1, 0x7f800000, v0
	v_cmp_ne_u32_e32 vcc, s41, v1
                                        ; implicit-def: $agpr49
	s_and_saveexec_b64 s[30:31], vcc
	s_xor_b64 vcc, exec, s[30:31]
; %bb.533:                              ;   in Loop: Header=BB386_13 Depth=1
	v_bfe_u32 v1, v0, 16, 1
	v_add3_u32 v0, v0, v1, s42
	v_accvgpr_write_b32 a49, v0
                                        ; implicit-def: $vgpr0
; %bb.534:                              ;   in Loop: Header=BB386_13 Depth=1
	s_andn2_saveexec_b64 s[30:31], vcc
; %bb.535:                              ;   in Loop: Header=BB386_13 Depth=1
	v_or_b32_e32 v1, 0x10000, v0
	v_cmp_eq_u32_sdwa vcc, v0, v62 src0_sel:WORD_0 src1_sel:DWORD
	v_cndmask_b32_e32 v0, v1, v0, vcc
	v_accvgpr_write_b32 a49, v0
; %bb.536:                              ;   in Loop: Header=BB386_13 Depth=1
	s_or_b64 exec, exec, s[30:31]
	flat_load_dword v58, v[56:57] offset:3080
	v_mov_b32_e32 v0, 0
	s_waitcnt vmcnt(0) lgkmcnt(0)
	v_cmp_ne_u16_sdwa vcc, v58, v62 src0_sel:BYTE_0 src1_sel:DWORD
	s_and_saveexec_b64 s[30:31], vcc
	s_cbranch_execz .LBB386_542
; %bb.537:                              ;   in Loop: Header=BB386_13 Depth=1
	v_cmp_ne_u16_sdwa vcc, v58, s39 src0_sel:BYTE_0 src1_sel:DWORD
	v_bfrev_b32_e32 v0, 1
	s_and_saveexec_b64 s[34:35], vcc
	s_cbranch_execz .LBB386_541
; %bb.538:                              ;   in Loop: Header=BB386_13 Depth=1
	v_and_b32_e32 v1, 0x7f, v58
	v_cmp_ne_u32_e32 vcc, s40, v1
	v_mov_b32_e32 v0, 0x7f800001
	s_and_saveexec_b64 s[36:37], vcc
	s_cbranch_execz .LBB386_540
; %bb.539:                              ;   in Loop: Header=BB386_13 Depth=1
	v_and_b32_e32 v2, 7, v58
	v_ffbh_u32_e32 v0, v2
	v_min_u32_e32 v5, 32, v0
	v_subrev_u32_e32 v0, 28, v5
	v_lshrrev_b32_e32 v4, 3, v1
	v_cmp_gt_u32_e32 vcc, 8, v1
	v_lshlrev_b64 v[0:1], v0, v[58:59]
	v_sub_u32_e32 v1, 29, v5
	v_and_b32_e32 v0, 7, v0
	v_cndmask_b32_e32 v1, v4, v1, vcc
	v_cndmask_b32_e32 v0, v2, v0, vcc
	v_lshlrev_b32_e32 v2, 24, v58
	v_bfrev_b32_e32 v4, 60
	v_lshlrev_b32_e32 v0, 20, v0
	v_and_b32_e32 v2, 0x80000000, v2
	v_lshl_add_u32 v1, v1, 23, v4
	v_or3_b32 v0, v2, v1, v0
.LBB386_540:                            ;   in Loop: Header=BB386_13 Depth=1
	s_or_b64 exec, exec, s[36:37]
.LBB386_541:                            ;   in Loop: Header=BB386_13 Depth=1
	s_or_b64 exec, exec, s[34:35]
.LBB386_542:                            ;   in Loop: Header=BB386_13 Depth=1
	s_or_b64 exec, exec, s[30:31]
	v_mul_f32_e32 v0, v3, v0
	v_and_b32_e32 v1, 0x7f800000, v0
	v_cmp_ne_u32_e32 vcc, s41, v1
                                        ; implicit-def: $agpr50
	s_and_saveexec_b64 s[30:31], vcc
	s_xor_b64 vcc, exec, s[30:31]
; %bb.543:                              ;   in Loop: Header=BB386_13 Depth=1
	v_bfe_u32 v1, v0, 16, 1
	v_add3_u32 v0, v0, v1, s42
	v_accvgpr_write_b32 a50, v0
                                        ; implicit-def: $vgpr0
; %bb.544:                              ;   in Loop: Header=BB386_13 Depth=1
	s_andn2_saveexec_b64 s[30:31], vcc
; %bb.545:                              ;   in Loop: Header=BB386_13 Depth=1
	v_or_b32_e32 v1, 0x10000, v0
	v_cmp_eq_u32_sdwa vcc, v0, v62 src0_sel:WORD_0 src1_sel:DWORD
	v_cndmask_b32_e32 v0, v1, v0, vcc
	v_accvgpr_write_b32 a50, v0
; %bb.546:                              ;   in Loop: Header=BB386_13 Depth=1
	s_or_b64 exec, exec, s[30:31]
	v_lshrrev_b16_e32 v60, 8, v58
	v_cmp_ne_u16_e32 vcc, 0, v60
	v_mov_b32_e32 v0, 0
	s_and_saveexec_b64 s[30:31], vcc
	s_cbranch_execz .LBB386_552
; %bb.547:                              ;   in Loop: Header=BB386_13 Depth=1
	v_cmp_ne_u16_e32 vcc, s39, v60
	v_bfrev_b32_e32 v0, 1
	s_and_saveexec_b64 s[34:35], vcc
	s_cbranch_execz .LBB386_551
; %bb.548:                              ;   in Loop: Header=BB386_13 Depth=1
	v_and_b32_e32 v1, 0x7f, v60
	v_cmp_ne_u32_e32 vcc, s40, v1
	v_mov_b32_e32 v0, 0x7f800001
	s_and_saveexec_b64 s[36:37], vcc
	s_cbranch_execz .LBB386_550
; %bb.549:                              ;   in Loop: Header=BB386_13 Depth=1
	v_and_b32_e32 v2, 7, v60
	v_ffbh_u32_e32 v0, v2
	v_min_u32_e32 v5, 32, v0
	v_subrev_u32_e32 v0, 28, v5
	v_lshrrev_b32_e32 v4, 3, v1
	v_cmp_gt_u32_e32 vcc, 8, v1
	v_lshlrev_b64 v[0:1], v0, v[60:61]
	v_sub_u32_e32 v1, 29, v5
	v_and_b32_e32 v0, 7, v0
	v_cndmask_b32_e32 v1, v4, v1, vcc
	v_cndmask_b32_e32 v0, v2, v0, vcc
	v_lshlrev_b32_e32 v2, 16, v58
	v_bfrev_b32_e32 v4, 60
	v_lshlrev_b32_e32 v0, 20, v0
	v_and_b32_e32 v2, 0x80000000, v2
	v_lshl_add_u32 v1, v1, 23, v4
	v_or3_b32 v0, v2, v1, v0
.LBB386_550:                            ;   in Loop: Header=BB386_13 Depth=1
	s_or_b64 exec, exec, s[36:37]
.LBB386_551:                            ;   in Loop: Header=BB386_13 Depth=1
	s_or_b64 exec, exec, s[34:35]
.LBB386_552:                            ;   in Loop: Header=BB386_13 Depth=1
	s_or_b64 exec, exec, s[30:31]
	v_mul_f32_e32 v0, v3, v0
	v_and_b32_e32 v1, 0x7f800000, v0
	v_cmp_ne_u32_e32 vcc, s41, v1
                                        ; implicit-def: $agpr51
	s_and_saveexec_b64 s[30:31], vcc
	s_xor_b64 vcc, exec, s[30:31]
; %bb.553:                              ;   in Loop: Header=BB386_13 Depth=1
	v_bfe_u32 v1, v0, 16, 1
	v_add3_u32 v0, v0, v1, s42
	v_accvgpr_write_b32 a51, v0
                                        ; implicit-def: $vgpr0
; %bb.554:                              ;   in Loop: Header=BB386_13 Depth=1
	s_andn2_saveexec_b64 s[30:31], vcc
; %bb.555:                              ;   in Loop: Header=BB386_13 Depth=1
	v_or_b32_e32 v1, 0x10000, v0
	v_cmp_eq_u32_sdwa vcc, v0, v62 src0_sel:WORD_0 src1_sel:DWORD
	v_cndmask_b32_e32 v0, v1, v0, vcc
	v_accvgpr_write_b32 a51, v0
; %bb.556:                              ;   in Loop: Header=BB386_13 Depth=1
	s_or_b64 exec, exec, s[30:31]
	v_lshrrev_b32_e32 v60, 16, v58
	v_cmp_ne_u16_sdwa vcc, v60, v62 src0_sel:BYTE_0 src1_sel:DWORD
	v_mov_b32_e32 v0, 0
	s_and_saveexec_b64 s[30:31], vcc
	s_cbranch_execz .LBB386_562
; %bb.557:                              ;   in Loop: Header=BB386_13 Depth=1
	v_cmp_ne_u16_sdwa vcc, v60, s39 src0_sel:BYTE_0 src1_sel:DWORD
	v_bfrev_b32_e32 v0, 1
	s_and_saveexec_b64 s[34:35], vcc
	s_cbranch_execz .LBB386_561
; %bb.558:                              ;   in Loop: Header=BB386_13 Depth=1
	v_bfe_u32 v1, v58, 16, 7
	v_cmp_ne_u32_e32 vcc, s40, v1
	v_mov_b32_e32 v0, 0x7f800001
	s_and_saveexec_b64 s[36:37], vcc
	s_cbranch_execz .LBB386_560
; %bb.559:                              ;   in Loop: Header=BB386_13 Depth=1
	v_and_b32_e32 v2, 7, v60
	v_ffbh_u32_e32 v0, v2
	v_min_u32_e32 v5, 32, v0
	v_subrev_u32_e32 v0, 28, v5
	v_lshrrev_b32_e32 v4, 3, v1
	v_cmp_gt_u32_e32 vcc, 8, v1
	v_lshlrev_b64 v[0:1], v0, v[60:61]
	v_sub_u32_e32 v1, 29, v5
	v_and_b32_e32 v0, 7, v0
	v_cndmask_b32_e32 v1, v4, v1, vcc
	v_cndmask_b32_e32 v0, v2, v0, vcc
	v_lshlrev_b32_e32 v2, 24, v60
	v_bfrev_b32_e32 v4, 60
	v_lshlrev_b32_e32 v0, 20, v0
	v_and_b32_e32 v2, 0x80000000, v2
	v_lshl_add_u32 v1, v1, 23, v4
	v_or3_b32 v0, v2, v1, v0
.LBB386_560:                            ;   in Loop: Header=BB386_13 Depth=1
	s_or_b64 exec, exec, s[36:37]
.LBB386_561:                            ;   in Loop: Header=BB386_13 Depth=1
	s_or_b64 exec, exec, s[34:35]
.LBB386_562:                            ;   in Loop: Header=BB386_13 Depth=1
	s_or_b64 exec, exec, s[30:31]
	v_mul_f32_e32 v0, v3, v0
	v_and_b32_e32 v1, 0x7f800000, v0
	v_cmp_ne_u32_e32 vcc, s41, v1
                                        ; implicit-def: $agpr48
	s_and_saveexec_b64 s[30:31], vcc
	s_xor_b64 vcc, exec, s[30:31]
; %bb.563:                              ;   in Loop: Header=BB386_13 Depth=1
	v_bfe_u32 v1, v0, 16, 1
	v_add3_u32 v0, v0, v1, s42
	v_accvgpr_write_b32 a48, v0
                                        ; implicit-def: $vgpr0
; %bb.564:                              ;   in Loop: Header=BB386_13 Depth=1
	s_andn2_saveexec_b64 s[30:31], vcc
; %bb.565:                              ;   in Loop: Header=BB386_13 Depth=1
	v_or_b32_e32 v1, 0x10000, v0
	v_cmp_eq_u32_sdwa vcc, v0, v62 src0_sel:WORD_0 src1_sel:DWORD
	v_cndmask_b32_e32 v0, v1, v0, vcc
	v_accvgpr_write_b32 a48, v0
; %bb.566:                              ;   in Loop: Header=BB386_13 Depth=1
	s_or_b64 exec, exec, s[30:31]
	v_cmp_lt_u32_e32 vcc, s43, v58
	v_mov_b32_e32 v0, 0
	s_and_saveexec_b64 s[30:31], vcc
	s_cbranch_execz .LBB386_572
; %bb.567:                              ;   in Loop: Header=BB386_13 Depth=1
	v_lshrrev_b32_e32 v60, 24, v58
	v_cmp_ne_u32_e32 vcc, s39, v60
	v_bfrev_b32_e32 v0, 1
	s_and_saveexec_b64 s[34:35], vcc
	s_cbranch_execz .LBB386_571
; %bb.568:                              ;   in Loop: Header=BB386_13 Depth=1
	v_bfe_u32 v1, v58, 24, 7
	v_cmp_ne_u32_e32 vcc, s40, v1
	v_mov_b32_e32 v0, 0x7f800001
	s_and_saveexec_b64 s[36:37], vcc
	s_cbranch_execz .LBB386_570
; %bb.569:                              ;   in Loop: Header=BB386_13 Depth=1
	v_and_b32_e32 v2, 7, v60
	v_ffbh_u32_e32 v0, v2
	v_min_u32_e32 v5, 32, v0
	v_subrev_u32_e32 v0, 28, v5
	v_lshrrev_b32_e32 v4, 3, v1
	v_cmp_gt_u32_e32 vcc, 8, v1
	v_lshlrev_b64 v[0:1], v0, v[60:61]
	v_sub_u32_e32 v1, 29, v5
	v_and_b32_e32 v0, 7, v0
	v_cndmask_b32_e32 v1, v4, v1, vcc
	v_cndmask_b32_e32 v0, v2, v0, vcc
	v_lshlrev_b32_e32 v2, 24, v60
	v_bfrev_b32_e32 v4, 60
	v_lshlrev_b32_e32 v0, 20, v0
	v_and_b32_e32 v2, 0x80000000, v2
	v_lshl_add_u32 v1, v1, 23, v4
	v_or3_b32 v0, v2, v1, v0
.LBB386_570:                            ;   in Loop: Header=BB386_13 Depth=1
	s_or_b64 exec, exec, s[36:37]
.LBB386_571:                            ;   in Loop: Header=BB386_13 Depth=1
	s_or_b64 exec, exec, s[34:35]
.LBB386_572:                            ;   in Loop: Header=BB386_13 Depth=1
	s_or_b64 exec, exec, s[30:31]
	v_mul_f32_e32 v0, v3, v0
	v_and_b32_e32 v1, 0x7f800000, v0
	v_cmp_ne_u32_e32 vcc, s41, v1
                                        ; implicit-def: $agpr53
	s_and_saveexec_b64 s[30:31], vcc
	s_xor_b64 vcc, exec, s[30:31]
; %bb.573:                              ;   in Loop: Header=BB386_13 Depth=1
	v_bfe_u32 v1, v0, 16, 1
	v_add3_u32 v0, v0, v1, s42
	v_accvgpr_write_b32 a53, v0
                                        ; implicit-def: $vgpr0
; %bb.574:                              ;   in Loop: Header=BB386_13 Depth=1
	s_andn2_saveexec_b64 s[30:31], vcc
; %bb.575:                              ;   in Loop: Header=BB386_13 Depth=1
	v_or_b32_e32 v1, 0x10000, v0
	v_cmp_eq_u32_sdwa vcc, v0, v62 src0_sel:WORD_0 src1_sel:DWORD
	v_cndmask_b32_e32 v0, v1, v0, vcc
	v_accvgpr_write_b32 a53, v0
; %bb.576:                              ;   in Loop: Header=BB386_13 Depth=1
	s_or_b64 exec, exec, s[30:31]
	flat_load_dword v58, v[56:57] offset:3584
	v_mov_b32_e32 v0, 0
	s_waitcnt vmcnt(0) lgkmcnt(0)
	v_cmp_ne_u16_sdwa vcc, v58, v62 src0_sel:BYTE_0 src1_sel:DWORD
	s_and_saveexec_b64 s[30:31], vcc
	s_cbranch_execz .LBB386_582
; %bb.577:                              ;   in Loop: Header=BB386_13 Depth=1
	v_cmp_ne_u16_sdwa vcc, v58, s39 src0_sel:BYTE_0 src1_sel:DWORD
	v_bfrev_b32_e32 v0, 1
	s_and_saveexec_b64 s[34:35], vcc
	s_cbranch_execz .LBB386_581
; %bb.578:                              ;   in Loop: Header=BB386_13 Depth=1
	v_and_b32_e32 v1, 0x7f, v58
	v_cmp_ne_u32_e32 vcc, s40, v1
	v_mov_b32_e32 v0, 0x7f800001
	s_and_saveexec_b64 s[36:37], vcc
	s_cbranch_execz .LBB386_580
; %bb.579:                              ;   in Loop: Header=BB386_13 Depth=1
	v_and_b32_e32 v2, 7, v58
	v_ffbh_u32_e32 v0, v2
	v_min_u32_e32 v5, 32, v0
	v_subrev_u32_e32 v0, 28, v5
	v_lshrrev_b32_e32 v4, 3, v1
	v_cmp_gt_u32_e32 vcc, 8, v1
	v_lshlrev_b64 v[0:1], v0, v[58:59]
	v_sub_u32_e32 v1, 29, v5
	v_and_b32_e32 v0, 7, v0
	v_cndmask_b32_e32 v1, v4, v1, vcc
	v_cndmask_b32_e32 v0, v2, v0, vcc
	v_lshlrev_b32_e32 v2, 24, v58
	v_bfrev_b32_e32 v4, 60
	v_lshlrev_b32_e32 v0, 20, v0
	v_and_b32_e32 v2, 0x80000000, v2
	v_lshl_add_u32 v1, v1, 23, v4
	v_or3_b32 v0, v2, v1, v0
.LBB386_580:                            ;   in Loop: Header=BB386_13 Depth=1
	s_or_b64 exec, exec, s[36:37]
.LBB386_581:                            ;   in Loop: Header=BB386_13 Depth=1
	s_or_b64 exec, exec, s[34:35]
.LBB386_582:                            ;   in Loop: Header=BB386_13 Depth=1
	s_or_b64 exec, exec, s[30:31]
	v_mul_f32_e32 v0, v3, v0
	v_and_b32_e32 v1, 0x7f800000, v0
	v_cmp_ne_u32_e32 vcc, s41, v1
                                        ; implicit-def: $agpr54
	s_and_saveexec_b64 s[30:31], vcc
	s_xor_b64 vcc, exec, s[30:31]
; %bb.583:                              ;   in Loop: Header=BB386_13 Depth=1
	v_bfe_u32 v1, v0, 16, 1
	v_add3_u32 v0, v0, v1, s42
	v_accvgpr_write_b32 a54, v0
                                        ; implicit-def: $vgpr0
; %bb.584:                              ;   in Loop: Header=BB386_13 Depth=1
	s_andn2_saveexec_b64 s[30:31], vcc
; %bb.585:                              ;   in Loop: Header=BB386_13 Depth=1
	v_or_b32_e32 v1, 0x10000, v0
	v_cmp_eq_u32_sdwa vcc, v0, v62 src0_sel:WORD_0 src1_sel:DWORD
	v_cndmask_b32_e32 v0, v1, v0, vcc
	v_accvgpr_write_b32 a54, v0
; %bb.586:                              ;   in Loop: Header=BB386_13 Depth=1
	s_or_b64 exec, exec, s[30:31]
	v_lshrrev_b16_e32 v60, 8, v58
	v_cmp_ne_u16_e32 vcc, 0, v60
	v_mov_b32_e32 v0, 0
	s_and_saveexec_b64 s[30:31], vcc
	s_cbranch_execz .LBB386_592
; %bb.587:                              ;   in Loop: Header=BB386_13 Depth=1
	v_cmp_ne_u16_e32 vcc, s39, v60
	v_bfrev_b32_e32 v0, 1
	s_and_saveexec_b64 s[34:35], vcc
	s_cbranch_execz .LBB386_591
; %bb.588:                              ;   in Loop: Header=BB386_13 Depth=1
	v_and_b32_e32 v1, 0x7f, v60
	v_cmp_ne_u32_e32 vcc, s40, v1
	v_mov_b32_e32 v0, 0x7f800001
	s_and_saveexec_b64 s[36:37], vcc
	s_cbranch_execz .LBB386_590
; %bb.589:                              ;   in Loop: Header=BB386_13 Depth=1
	v_and_b32_e32 v2, 7, v60
	v_ffbh_u32_e32 v0, v2
	v_min_u32_e32 v5, 32, v0
	v_subrev_u32_e32 v0, 28, v5
	v_lshrrev_b32_e32 v4, 3, v1
	v_cmp_gt_u32_e32 vcc, 8, v1
	v_lshlrev_b64 v[0:1], v0, v[60:61]
	v_sub_u32_e32 v1, 29, v5
	v_and_b32_e32 v0, 7, v0
	v_cndmask_b32_e32 v1, v4, v1, vcc
	v_cndmask_b32_e32 v0, v2, v0, vcc
	v_lshlrev_b32_e32 v2, 16, v58
	v_bfrev_b32_e32 v4, 60
	v_lshlrev_b32_e32 v0, 20, v0
	v_and_b32_e32 v2, 0x80000000, v2
	v_lshl_add_u32 v1, v1, 23, v4
	v_or3_b32 v0, v2, v1, v0
.LBB386_590:                            ;   in Loop: Header=BB386_13 Depth=1
	s_or_b64 exec, exec, s[36:37]
.LBB386_591:                            ;   in Loop: Header=BB386_13 Depth=1
	s_or_b64 exec, exec, s[34:35]
.LBB386_592:                            ;   in Loop: Header=BB386_13 Depth=1
	s_or_b64 exec, exec, s[30:31]
	v_mul_f32_e32 v0, v3, v0
	v_and_b32_e32 v1, 0x7f800000, v0
	v_cmp_ne_u32_e32 vcc, s41, v1
                                        ; implicit-def: $agpr55
	s_and_saveexec_b64 s[30:31], vcc
	s_xor_b64 vcc, exec, s[30:31]
; %bb.593:                              ;   in Loop: Header=BB386_13 Depth=1
	v_bfe_u32 v1, v0, 16, 1
	v_add3_u32 v0, v0, v1, s42
	v_accvgpr_write_b32 a55, v0
                                        ; implicit-def: $vgpr0
; %bb.594:                              ;   in Loop: Header=BB386_13 Depth=1
	s_andn2_saveexec_b64 s[30:31], vcc
; %bb.595:                              ;   in Loop: Header=BB386_13 Depth=1
	v_or_b32_e32 v1, 0x10000, v0
	v_cmp_eq_u32_sdwa vcc, v0, v62 src0_sel:WORD_0 src1_sel:DWORD
	v_cndmask_b32_e32 v0, v1, v0, vcc
	v_accvgpr_write_b32 a55, v0
; %bb.596:                              ;   in Loop: Header=BB386_13 Depth=1
	s_or_b64 exec, exec, s[30:31]
	v_lshrrev_b32_e32 v60, 16, v58
	v_cmp_ne_u16_sdwa vcc, v60, v62 src0_sel:BYTE_0 src1_sel:DWORD
	v_mov_b32_e32 v0, 0
	s_and_saveexec_b64 s[30:31], vcc
	s_cbranch_execz .LBB386_602
; %bb.597:                              ;   in Loop: Header=BB386_13 Depth=1
	v_cmp_ne_u16_sdwa vcc, v60, s39 src0_sel:BYTE_0 src1_sel:DWORD
	v_bfrev_b32_e32 v0, 1
	s_and_saveexec_b64 s[34:35], vcc
	s_cbranch_execz .LBB386_601
; %bb.598:                              ;   in Loop: Header=BB386_13 Depth=1
	v_bfe_u32 v1, v58, 16, 7
	v_cmp_ne_u32_e32 vcc, s40, v1
	v_mov_b32_e32 v0, 0x7f800001
	s_and_saveexec_b64 s[36:37], vcc
	s_cbranch_execz .LBB386_600
; %bb.599:                              ;   in Loop: Header=BB386_13 Depth=1
	v_and_b32_e32 v2, 7, v60
	v_ffbh_u32_e32 v0, v2
	v_min_u32_e32 v5, 32, v0
	v_subrev_u32_e32 v0, 28, v5
	v_lshrrev_b32_e32 v4, 3, v1
	v_cmp_gt_u32_e32 vcc, 8, v1
	v_lshlrev_b64 v[0:1], v0, v[60:61]
	v_sub_u32_e32 v1, 29, v5
	v_and_b32_e32 v0, 7, v0
	v_cndmask_b32_e32 v1, v4, v1, vcc
	v_cndmask_b32_e32 v0, v2, v0, vcc
	v_lshlrev_b32_e32 v2, 24, v60
	v_bfrev_b32_e32 v4, 60
	v_lshlrev_b32_e32 v0, 20, v0
	v_and_b32_e32 v2, 0x80000000, v2
	v_lshl_add_u32 v1, v1, 23, v4
	v_or3_b32 v0, v2, v1, v0
.LBB386_600:                            ;   in Loop: Header=BB386_13 Depth=1
	s_or_b64 exec, exec, s[36:37]
.LBB386_601:                            ;   in Loop: Header=BB386_13 Depth=1
	s_or_b64 exec, exec, s[34:35]
.LBB386_602:                            ;   in Loop: Header=BB386_13 Depth=1
	s_or_b64 exec, exec, s[30:31]
	v_mul_f32_e32 v0, v3, v0
	v_and_b32_e32 v1, 0x7f800000, v0
	v_cmp_ne_u32_e32 vcc, s41, v1
                                        ; implicit-def: $agpr52
	s_and_saveexec_b64 s[30:31], vcc
	s_xor_b64 vcc, exec, s[30:31]
; %bb.603:                              ;   in Loop: Header=BB386_13 Depth=1
	v_bfe_u32 v1, v0, 16, 1
	v_add3_u32 v0, v0, v1, s42
	v_accvgpr_write_b32 a52, v0
                                        ; implicit-def: $vgpr0
; %bb.604:                              ;   in Loop: Header=BB386_13 Depth=1
	s_andn2_saveexec_b64 s[30:31], vcc
; %bb.605:                              ;   in Loop: Header=BB386_13 Depth=1
	v_or_b32_e32 v1, 0x10000, v0
	v_cmp_eq_u32_sdwa vcc, v0, v62 src0_sel:WORD_0 src1_sel:DWORD
	v_cndmask_b32_e32 v0, v1, v0, vcc
	v_accvgpr_write_b32 a52, v0
; %bb.606:                              ;   in Loop: Header=BB386_13 Depth=1
	s_or_b64 exec, exec, s[30:31]
	v_cmp_lt_u32_e32 vcc, s43, v58
	v_mov_b32_e32 v0, 0
	s_and_saveexec_b64 s[30:31], vcc
	s_cbranch_execz .LBB386_612
; %bb.607:                              ;   in Loop: Header=BB386_13 Depth=1
	v_lshrrev_b32_e32 v60, 24, v58
	v_cmp_ne_u32_e32 vcc, s39, v60
	v_bfrev_b32_e32 v0, 1
	s_and_saveexec_b64 s[34:35], vcc
	s_cbranch_execz .LBB386_611
; %bb.608:                              ;   in Loop: Header=BB386_13 Depth=1
	v_bfe_u32 v1, v58, 24, 7
	v_cmp_ne_u32_e32 vcc, s40, v1
	v_mov_b32_e32 v0, 0x7f800001
	s_and_saveexec_b64 s[36:37], vcc
	s_cbranch_execz .LBB386_610
; %bb.609:                              ;   in Loop: Header=BB386_13 Depth=1
	v_and_b32_e32 v2, 7, v60
	v_ffbh_u32_e32 v0, v2
	v_min_u32_e32 v5, 32, v0
	v_subrev_u32_e32 v0, 28, v5
	v_lshrrev_b32_e32 v4, 3, v1
	v_cmp_gt_u32_e32 vcc, 8, v1
	v_lshlrev_b64 v[0:1], v0, v[60:61]
	v_sub_u32_e32 v1, 29, v5
	v_and_b32_e32 v0, 7, v0
	v_cndmask_b32_e32 v1, v4, v1, vcc
	v_cndmask_b32_e32 v0, v2, v0, vcc
	v_lshlrev_b32_e32 v2, 24, v60
	v_bfrev_b32_e32 v4, 60
	v_lshlrev_b32_e32 v0, 20, v0
	v_and_b32_e32 v2, 0x80000000, v2
	v_lshl_add_u32 v1, v1, 23, v4
	v_or3_b32 v0, v2, v1, v0
.LBB386_610:                            ;   in Loop: Header=BB386_13 Depth=1
	s_or_b64 exec, exec, s[36:37]
.LBB386_611:                            ;   in Loop: Header=BB386_13 Depth=1
	s_or_b64 exec, exec, s[34:35]
.LBB386_612:                            ;   in Loop: Header=BB386_13 Depth=1
	s_or_b64 exec, exec, s[30:31]
	v_mul_f32_e32 v0, v3, v0
	v_and_b32_e32 v1, 0x7f800000, v0
	v_cmp_ne_u32_e32 vcc, s41, v1
                                        ; implicit-def: $agpr57
	s_and_saveexec_b64 s[30:31], vcc
	s_xor_b64 vcc, exec, s[30:31]
; %bb.613:                              ;   in Loop: Header=BB386_13 Depth=1
	v_bfe_u32 v1, v0, 16, 1
	v_add3_u32 v0, v0, v1, s42
	v_accvgpr_write_b32 a57, v0
                                        ; implicit-def: $vgpr0
; %bb.614:                              ;   in Loop: Header=BB386_13 Depth=1
	s_andn2_saveexec_b64 s[30:31], vcc
; %bb.615:                              ;   in Loop: Header=BB386_13 Depth=1
	v_or_b32_e32 v1, 0x10000, v0
	v_cmp_eq_u32_sdwa vcc, v0, v62 src0_sel:WORD_0 src1_sel:DWORD
	v_cndmask_b32_e32 v0, v1, v0, vcc
	v_accvgpr_write_b32 a57, v0
; %bb.616:                              ;   in Loop: Header=BB386_13 Depth=1
	s_or_b64 exec, exec, s[30:31]
	flat_load_dword v58, v[56:57] offset:3592
	v_mov_b32_e32 v0, 0
	s_waitcnt vmcnt(0) lgkmcnt(0)
	v_cmp_ne_u16_sdwa vcc, v58, v62 src0_sel:BYTE_0 src1_sel:DWORD
	s_and_saveexec_b64 s[30:31], vcc
	s_cbranch_execz .LBB386_622
; %bb.617:                              ;   in Loop: Header=BB386_13 Depth=1
	v_cmp_ne_u16_sdwa vcc, v58, s39 src0_sel:BYTE_0 src1_sel:DWORD
	v_bfrev_b32_e32 v0, 1
	s_and_saveexec_b64 s[34:35], vcc
	s_cbranch_execz .LBB386_621
; %bb.618:                              ;   in Loop: Header=BB386_13 Depth=1
	v_and_b32_e32 v1, 0x7f, v58
	v_cmp_ne_u32_e32 vcc, s40, v1
	v_mov_b32_e32 v0, 0x7f800001
	s_and_saveexec_b64 s[36:37], vcc
	s_cbranch_execz .LBB386_620
; %bb.619:                              ;   in Loop: Header=BB386_13 Depth=1
	v_and_b32_e32 v2, 7, v58
	v_ffbh_u32_e32 v0, v2
	v_min_u32_e32 v5, 32, v0
	v_subrev_u32_e32 v0, 28, v5
	v_lshrrev_b32_e32 v4, 3, v1
	v_cmp_gt_u32_e32 vcc, 8, v1
	v_lshlrev_b64 v[0:1], v0, v[58:59]
	v_sub_u32_e32 v1, 29, v5
	v_and_b32_e32 v0, 7, v0
	v_cndmask_b32_e32 v1, v4, v1, vcc
	v_cndmask_b32_e32 v0, v2, v0, vcc
	v_lshlrev_b32_e32 v2, 24, v58
	v_bfrev_b32_e32 v4, 60
	v_lshlrev_b32_e32 v0, 20, v0
	v_and_b32_e32 v2, 0x80000000, v2
	v_lshl_add_u32 v1, v1, 23, v4
	v_or3_b32 v0, v2, v1, v0
.LBB386_620:                            ;   in Loop: Header=BB386_13 Depth=1
	s_or_b64 exec, exec, s[36:37]
.LBB386_621:                            ;   in Loop: Header=BB386_13 Depth=1
	s_or_b64 exec, exec, s[34:35]
.LBB386_622:                            ;   in Loop: Header=BB386_13 Depth=1
	s_or_b64 exec, exec, s[30:31]
	v_mul_f32_e32 v0, v3, v0
	v_and_b32_e32 v1, 0x7f800000, v0
	v_cmp_ne_u32_e32 vcc, s41, v1
                                        ; implicit-def: $agpr4
	s_and_saveexec_b64 s[30:31], vcc
	s_xor_b64 vcc, exec, s[30:31]
; %bb.623:                              ;   in Loop: Header=BB386_13 Depth=1
	v_bfe_u32 v1, v0, 16, 1
	v_add3_u32 v0, v0, v1, s42
	v_accvgpr_write_b32 a4, v0
                                        ; implicit-def: $vgpr0
; %bb.624:                              ;   in Loop: Header=BB386_13 Depth=1
	s_andn2_saveexec_b64 s[30:31], vcc
; %bb.625:                              ;   in Loop: Header=BB386_13 Depth=1
	v_or_b32_e32 v1, 0x10000, v0
	v_cmp_eq_u32_sdwa vcc, v0, v62 src0_sel:WORD_0 src1_sel:DWORD
	v_cndmask_b32_e32 v0, v1, v0, vcc
	v_accvgpr_write_b32 a4, v0
; %bb.626:                              ;   in Loop: Header=BB386_13 Depth=1
	s_or_b64 exec, exec, s[30:31]
	v_lshrrev_b16_e32 v60, 8, v58
	v_cmp_ne_u16_e32 vcc, 0, v60
	v_mov_b32_e32 v0, 0
	s_and_saveexec_b64 s[30:31], vcc
	s_cbranch_execz .LBB386_632
; %bb.627:                              ;   in Loop: Header=BB386_13 Depth=1
	v_cmp_ne_u16_e32 vcc, s39, v60
	v_bfrev_b32_e32 v0, 1
	s_and_saveexec_b64 s[34:35], vcc
	s_cbranch_execz .LBB386_631
; %bb.628:                              ;   in Loop: Header=BB386_13 Depth=1
	v_and_b32_e32 v1, 0x7f, v60
	v_cmp_ne_u32_e32 vcc, s40, v1
	v_mov_b32_e32 v0, 0x7f800001
	s_and_saveexec_b64 s[36:37], vcc
	s_cbranch_execz .LBB386_630
; %bb.629:                              ;   in Loop: Header=BB386_13 Depth=1
	v_and_b32_e32 v2, 7, v60
	v_ffbh_u32_e32 v0, v2
	v_min_u32_e32 v5, 32, v0
	v_subrev_u32_e32 v0, 28, v5
	v_lshrrev_b32_e32 v4, 3, v1
	v_cmp_gt_u32_e32 vcc, 8, v1
	v_lshlrev_b64 v[0:1], v0, v[60:61]
	v_sub_u32_e32 v1, 29, v5
	v_and_b32_e32 v0, 7, v0
	v_cndmask_b32_e32 v1, v4, v1, vcc
	v_cndmask_b32_e32 v0, v2, v0, vcc
	v_lshlrev_b32_e32 v2, 16, v58
	v_bfrev_b32_e32 v4, 60
	v_lshlrev_b32_e32 v0, 20, v0
	v_and_b32_e32 v2, 0x80000000, v2
	v_lshl_add_u32 v1, v1, 23, v4
	v_or3_b32 v0, v2, v1, v0
.LBB386_630:                            ;   in Loop: Header=BB386_13 Depth=1
	s_or_b64 exec, exec, s[36:37]
.LBB386_631:                            ;   in Loop: Header=BB386_13 Depth=1
	s_or_b64 exec, exec, s[34:35]
.LBB386_632:                            ;   in Loop: Header=BB386_13 Depth=1
	s_or_b64 exec, exec, s[30:31]
	v_mul_f32_e32 v0, v3, v0
	v_and_b32_e32 v1, 0x7f800000, v0
	v_cmp_ne_u32_e32 vcc, s41, v1
                                        ; implicit-def: $agpr5
	s_and_saveexec_b64 s[30:31], vcc
	s_xor_b64 vcc, exec, s[30:31]
; %bb.633:                              ;   in Loop: Header=BB386_13 Depth=1
	v_bfe_u32 v1, v0, 16, 1
	v_add3_u32 v0, v0, v1, s42
	v_accvgpr_write_b32 a5, v0
                                        ; implicit-def: $vgpr0
; %bb.634:                              ;   in Loop: Header=BB386_13 Depth=1
	s_andn2_saveexec_b64 s[30:31], vcc
; %bb.635:                              ;   in Loop: Header=BB386_13 Depth=1
	v_or_b32_e32 v1, 0x10000, v0
	v_cmp_eq_u32_sdwa vcc, v0, v62 src0_sel:WORD_0 src1_sel:DWORD
	v_cndmask_b32_e32 v0, v1, v0, vcc
	v_accvgpr_write_b32 a5, v0
; %bb.636:                              ;   in Loop: Header=BB386_13 Depth=1
	s_or_b64 exec, exec, s[30:31]
	v_lshrrev_b32_e32 v60, 16, v58
	v_cmp_ne_u16_sdwa vcc, v60, v62 src0_sel:BYTE_0 src1_sel:DWORD
	v_mov_b32_e32 v0, 0
	s_and_saveexec_b64 s[30:31], vcc
	s_cbranch_execz .LBB386_642
; %bb.637:                              ;   in Loop: Header=BB386_13 Depth=1
	v_cmp_ne_u16_sdwa vcc, v60, s39 src0_sel:BYTE_0 src1_sel:DWORD
	v_bfrev_b32_e32 v0, 1
	s_and_saveexec_b64 s[34:35], vcc
	s_cbranch_execz .LBB386_641
; %bb.638:                              ;   in Loop: Header=BB386_13 Depth=1
	v_bfe_u32 v1, v58, 16, 7
	v_cmp_ne_u32_e32 vcc, s40, v1
	v_mov_b32_e32 v0, 0x7f800001
	s_and_saveexec_b64 s[36:37], vcc
	s_cbranch_execz .LBB386_640
; %bb.639:                              ;   in Loop: Header=BB386_13 Depth=1
	v_and_b32_e32 v2, 7, v60
	v_ffbh_u32_e32 v0, v2
	v_min_u32_e32 v5, 32, v0
	v_subrev_u32_e32 v0, 28, v5
	v_lshrrev_b32_e32 v4, 3, v1
	v_cmp_gt_u32_e32 vcc, 8, v1
	v_lshlrev_b64 v[0:1], v0, v[60:61]
	v_sub_u32_e32 v1, 29, v5
	v_and_b32_e32 v0, 7, v0
	v_cndmask_b32_e32 v1, v4, v1, vcc
	v_cndmask_b32_e32 v0, v2, v0, vcc
	v_lshlrev_b32_e32 v2, 24, v60
	v_bfrev_b32_e32 v4, 60
	v_lshlrev_b32_e32 v0, 20, v0
	v_and_b32_e32 v2, 0x80000000, v2
	v_lshl_add_u32 v1, v1, 23, v4
	v_or3_b32 v0, v2, v1, v0
.LBB386_640:                            ;   in Loop: Header=BB386_13 Depth=1
	s_or_b64 exec, exec, s[36:37]
.LBB386_641:                            ;   in Loop: Header=BB386_13 Depth=1
	s_or_b64 exec, exec, s[34:35]
.LBB386_642:                            ;   in Loop: Header=BB386_13 Depth=1
	s_or_b64 exec, exec, s[30:31]
	v_mul_f32_e32 v0, v3, v0
	v_and_b32_e32 v1, 0x7f800000, v0
	v_cmp_ne_u32_e32 vcc, s41, v1
                                        ; implicit-def: $agpr58
	s_and_saveexec_b64 s[30:31], vcc
	s_xor_b64 vcc, exec, s[30:31]
; %bb.643:                              ;   in Loop: Header=BB386_13 Depth=1
	v_bfe_u32 v1, v0, 16, 1
	v_add3_u32 v0, v0, v1, s42
	v_accvgpr_write_b32 a58, v0
                                        ; implicit-def: $vgpr0
; %bb.644:                              ;   in Loop: Header=BB386_13 Depth=1
	s_andn2_saveexec_b64 s[30:31], vcc
; %bb.645:                              ;   in Loop: Header=BB386_13 Depth=1
	v_or_b32_e32 v1, 0x10000, v0
	v_cmp_eq_u32_sdwa vcc, v0, v62 src0_sel:WORD_0 src1_sel:DWORD
	v_cndmask_b32_e32 v0, v1, v0, vcc
	v_accvgpr_write_b32 a58, v0
; %bb.646:                              ;   in Loop: Header=BB386_13 Depth=1
	s_or_b64 exec, exec, s[30:31]
	v_cmp_lt_u32_e32 vcc, s43, v58
	v_mov_b32_e32 v0, 0
	s_and_saveexec_b64 s[30:31], vcc
	s_cbranch_execz .LBB386_652
; %bb.647:                              ;   in Loop: Header=BB386_13 Depth=1
	v_lshrrev_b32_e32 v60, 24, v58
	v_cmp_ne_u32_e32 vcc, s39, v60
	v_bfrev_b32_e32 v0, 1
	s_and_saveexec_b64 s[34:35], vcc
	s_cbranch_execz .LBB386_651
; %bb.648:                              ;   in Loop: Header=BB386_13 Depth=1
	v_bfe_u32 v1, v58, 24, 7
	v_cmp_ne_u32_e32 vcc, s40, v1
	v_mov_b32_e32 v0, 0x7f800001
	s_and_saveexec_b64 s[36:37], vcc
	s_cbranch_execz .LBB386_650
; %bb.649:                              ;   in Loop: Header=BB386_13 Depth=1
	v_and_b32_e32 v2, 7, v60
	v_ffbh_u32_e32 v0, v2
	v_min_u32_e32 v5, 32, v0
	v_subrev_u32_e32 v0, 28, v5
	v_lshrrev_b32_e32 v4, 3, v1
	v_cmp_gt_u32_e32 vcc, 8, v1
	v_lshlrev_b64 v[0:1], v0, v[60:61]
	v_sub_u32_e32 v1, 29, v5
	v_and_b32_e32 v0, 7, v0
	v_cndmask_b32_e32 v1, v4, v1, vcc
	v_cndmask_b32_e32 v0, v2, v0, vcc
	v_lshlrev_b32_e32 v2, 24, v60
	v_bfrev_b32_e32 v4, 60
	v_lshlrev_b32_e32 v0, 20, v0
	v_and_b32_e32 v2, 0x80000000, v2
	v_lshl_add_u32 v1, v1, 23, v4
	v_or3_b32 v0, v2, v1, v0
.LBB386_650:                            ;   in Loop: Header=BB386_13 Depth=1
	s_or_b64 exec, exec, s[36:37]
.LBB386_651:                            ;   in Loop: Header=BB386_13 Depth=1
	s_or_b64 exec, exec, s[34:35]
.LBB386_652:                            ;   in Loop: Header=BB386_13 Depth=1
	s_or_b64 exec, exec, s[30:31]
	v_mul_f32_e32 v0, v3, v0
	v_and_b32_e32 v1, 0x7f800000, v0
	v_cmp_ne_u32_e32 vcc, s41, v1
                                        ; implicit-def: $agpr59
	s_and_saveexec_b64 s[30:31], vcc
	s_xor_b64 vcc, exec, s[30:31]
; %bb.653:                              ;   in Loop: Header=BB386_13 Depth=1
	v_bfe_u32 v1, v0, 16, 1
	v_add3_u32 v0, v0, v1, s42
	v_accvgpr_write_b32 a59, v0
                                        ; implicit-def: $vgpr0
; %bb.654:                              ;   in Loop: Header=BB386_13 Depth=1
	s_andn2_saveexec_b64 s[30:31], vcc
; %bb.655:                              ;   in Loop: Header=BB386_13 Depth=1
	v_or_b32_e32 v1, 0x10000, v0
	v_cmp_eq_u32_sdwa vcc, v0, v62 src0_sel:WORD_0 src1_sel:DWORD
	v_cndmask_b32_e32 v0, v1, v0, vcc
	v_accvgpr_write_b32 a59, v0
; %bb.656:                              ;   in Loop: Header=BB386_13 Depth=1
	s_or_b64 exec, exec, s[30:31]
	v_add_co_u32_e32 v0, vcc, 0x1000, v56
	v_addc_co_u32_e32 v1, vcc, 0, v57, vcc
	flat_load_dword v58, v[0:1]
	v_mov_b32_e32 v0, 0
	s_waitcnt vmcnt(0) lgkmcnt(0)
	v_cmp_ne_u16_sdwa vcc, v58, v62 src0_sel:BYTE_0 src1_sel:DWORD
	s_and_saveexec_b64 s[30:31], vcc
	s_cbranch_execz .LBB386_662
; %bb.657:                              ;   in Loop: Header=BB386_13 Depth=1
	v_cmp_ne_u16_sdwa vcc, v58, s39 src0_sel:BYTE_0 src1_sel:DWORD
	v_bfrev_b32_e32 v0, 1
	s_and_saveexec_b64 s[34:35], vcc
	s_cbranch_execz .LBB386_661
; %bb.658:                              ;   in Loop: Header=BB386_13 Depth=1
	v_and_b32_e32 v1, 0x7f, v58
	v_cmp_ne_u32_e32 vcc, s40, v1
	v_mov_b32_e32 v0, 0x7f800001
	s_and_saveexec_b64 s[36:37], vcc
	s_cbranch_execz .LBB386_660
; %bb.659:                              ;   in Loop: Header=BB386_13 Depth=1
	v_and_b32_e32 v2, 7, v58
	v_ffbh_u32_e32 v0, v2
	v_min_u32_e32 v5, 32, v0
	v_subrev_u32_e32 v0, 28, v5
	v_lshrrev_b32_e32 v4, 3, v1
	v_cmp_gt_u32_e32 vcc, 8, v1
	v_lshlrev_b64 v[0:1], v0, v[58:59]
	v_sub_u32_e32 v1, 29, v5
	v_and_b32_e32 v0, 7, v0
	v_cndmask_b32_e32 v1, v4, v1, vcc
	v_cndmask_b32_e32 v0, v2, v0, vcc
	v_lshlrev_b32_e32 v2, 24, v58
	v_bfrev_b32_e32 v4, 60
	v_lshlrev_b32_e32 v0, 20, v0
	v_and_b32_e32 v2, 0x80000000, v2
	v_lshl_add_u32 v1, v1, 23, v4
	v_or3_b32 v0, v2, v1, v0
.LBB386_660:                            ;   in Loop: Header=BB386_13 Depth=1
	s_or_b64 exec, exec, s[36:37]
.LBB386_661:                            ;   in Loop: Header=BB386_13 Depth=1
	s_or_b64 exec, exec, s[34:35]
.LBB386_662:                            ;   in Loop: Header=BB386_13 Depth=1
	s_or_b64 exec, exec, s[30:31]
	v_mul_f32_e32 v0, v3, v0
	v_and_b32_e32 v1, 0x7f800000, v0
	v_cmp_ne_u32_e32 vcc, s41, v1
                                        ; implicit-def: $agpr60
	s_and_saveexec_b64 s[30:31], vcc
	s_xor_b64 vcc, exec, s[30:31]
; %bb.663:                              ;   in Loop: Header=BB386_13 Depth=1
	v_bfe_u32 v1, v0, 16, 1
	v_add3_u32 v0, v0, v1, s42
	v_accvgpr_write_b32 a60, v0
                                        ; implicit-def: $vgpr0
; %bb.664:                              ;   in Loop: Header=BB386_13 Depth=1
	s_andn2_saveexec_b64 s[30:31], vcc
; %bb.665:                              ;   in Loop: Header=BB386_13 Depth=1
	v_or_b32_e32 v1, 0x10000, v0
	v_cmp_eq_u32_sdwa vcc, v0, v62 src0_sel:WORD_0 src1_sel:DWORD
	v_cndmask_b32_e32 v0, v1, v0, vcc
	v_accvgpr_write_b32 a60, v0
; %bb.666:                              ;   in Loop: Header=BB386_13 Depth=1
	s_or_b64 exec, exec, s[30:31]
	v_lshrrev_b16_e32 v60, 8, v58
	v_cmp_ne_u16_e32 vcc, 0, v60
	v_mov_b32_e32 v0, 0
	s_and_saveexec_b64 s[30:31], vcc
	s_cbranch_execz .LBB386_672
; %bb.667:                              ;   in Loop: Header=BB386_13 Depth=1
	v_cmp_ne_u16_e32 vcc, s39, v60
	v_bfrev_b32_e32 v0, 1
	s_and_saveexec_b64 s[34:35], vcc
	s_cbranch_execz .LBB386_671
; %bb.668:                              ;   in Loop: Header=BB386_13 Depth=1
	v_and_b32_e32 v1, 0x7f, v60
	v_cmp_ne_u32_e32 vcc, s40, v1
	v_mov_b32_e32 v0, 0x7f800001
	s_and_saveexec_b64 s[36:37], vcc
	s_cbranch_execz .LBB386_670
; %bb.669:                              ;   in Loop: Header=BB386_13 Depth=1
	v_and_b32_e32 v2, 7, v60
	v_ffbh_u32_e32 v0, v2
	v_min_u32_e32 v5, 32, v0
	v_subrev_u32_e32 v0, 28, v5
	v_lshrrev_b32_e32 v4, 3, v1
	v_cmp_gt_u32_e32 vcc, 8, v1
	v_lshlrev_b64 v[0:1], v0, v[60:61]
	v_sub_u32_e32 v1, 29, v5
	v_and_b32_e32 v0, 7, v0
	v_cndmask_b32_e32 v1, v4, v1, vcc
	v_cndmask_b32_e32 v0, v2, v0, vcc
	v_lshlrev_b32_e32 v2, 16, v58
	v_bfrev_b32_e32 v4, 60
	v_lshlrev_b32_e32 v0, 20, v0
	v_and_b32_e32 v2, 0x80000000, v2
	v_lshl_add_u32 v1, v1, 23, v4
	v_or3_b32 v0, v2, v1, v0
.LBB386_670:                            ;   in Loop: Header=BB386_13 Depth=1
	s_or_b64 exec, exec, s[36:37]
.LBB386_671:                            ;   in Loop: Header=BB386_13 Depth=1
	s_or_b64 exec, exec, s[34:35]
.LBB386_672:                            ;   in Loop: Header=BB386_13 Depth=1
	s_or_b64 exec, exec, s[30:31]
	v_mul_f32_e32 v0, v3, v0
	v_and_b32_e32 v1, 0x7f800000, v0
	v_cmp_ne_u32_e32 vcc, s41, v1
                                        ; implicit-def: $agpr61
	s_and_saveexec_b64 s[30:31], vcc
	s_xor_b64 vcc, exec, s[30:31]
; %bb.673:                              ;   in Loop: Header=BB386_13 Depth=1
	v_bfe_u32 v1, v0, 16, 1
	v_add3_u32 v0, v0, v1, s42
	v_accvgpr_write_b32 a61, v0
                                        ; implicit-def: $vgpr0
; %bb.674:                              ;   in Loop: Header=BB386_13 Depth=1
	s_andn2_saveexec_b64 s[30:31], vcc
; %bb.675:                              ;   in Loop: Header=BB386_13 Depth=1
	v_or_b32_e32 v1, 0x10000, v0
	v_cmp_eq_u32_sdwa vcc, v0, v62 src0_sel:WORD_0 src1_sel:DWORD
	v_cndmask_b32_e32 v0, v1, v0, vcc
	v_accvgpr_write_b32 a61, v0
; %bb.676:                              ;   in Loop: Header=BB386_13 Depth=1
	s_or_b64 exec, exec, s[30:31]
	v_lshrrev_b32_e32 v60, 16, v58
	v_cmp_ne_u16_sdwa vcc, v60, v62 src0_sel:BYTE_0 src1_sel:DWORD
	v_mov_b32_e32 v0, 0
	s_and_saveexec_b64 s[30:31], vcc
	s_cbranch_execz .LBB386_682
; %bb.677:                              ;   in Loop: Header=BB386_13 Depth=1
	v_cmp_ne_u16_sdwa vcc, v60, s39 src0_sel:BYTE_0 src1_sel:DWORD
	v_bfrev_b32_e32 v0, 1
	s_and_saveexec_b64 s[34:35], vcc
	s_cbranch_execz .LBB386_681
; %bb.678:                              ;   in Loop: Header=BB386_13 Depth=1
	v_bfe_u32 v1, v58, 16, 7
	v_cmp_ne_u32_e32 vcc, s40, v1
	v_mov_b32_e32 v0, 0x7f800001
	s_and_saveexec_b64 s[36:37], vcc
	s_cbranch_execz .LBB386_680
; %bb.679:                              ;   in Loop: Header=BB386_13 Depth=1
	v_and_b32_e32 v2, 7, v60
	v_ffbh_u32_e32 v0, v2
	v_min_u32_e32 v5, 32, v0
	v_subrev_u32_e32 v0, 28, v5
	v_lshrrev_b32_e32 v4, 3, v1
	v_cmp_gt_u32_e32 vcc, 8, v1
	v_lshlrev_b64 v[0:1], v0, v[60:61]
	v_sub_u32_e32 v1, 29, v5
	v_and_b32_e32 v0, 7, v0
	v_cndmask_b32_e32 v1, v4, v1, vcc
	v_cndmask_b32_e32 v0, v2, v0, vcc
	v_lshlrev_b32_e32 v2, 24, v60
	v_bfrev_b32_e32 v4, 60
	v_lshlrev_b32_e32 v0, 20, v0
	v_and_b32_e32 v2, 0x80000000, v2
	v_lshl_add_u32 v1, v1, 23, v4
	v_or3_b32 v0, v2, v1, v0
.LBB386_680:                            ;   in Loop: Header=BB386_13 Depth=1
	s_or_b64 exec, exec, s[36:37]
.LBB386_681:                            ;   in Loop: Header=BB386_13 Depth=1
	s_or_b64 exec, exec, s[34:35]
.LBB386_682:                            ;   in Loop: Header=BB386_13 Depth=1
	s_or_b64 exec, exec, s[30:31]
	v_mul_f32_e32 v0, v3, v0
	v_and_b32_e32 v1, 0x7f800000, v0
	v_cmp_ne_u32_e32 vcc, s41, v1
                                        ; implicit-def: $agpr62
	s_and_saveexec_b64 s[30:31], vcc
	s_xor_b64 vcc, exec, s[30:31]
; %bb.683:                              ;   in Loop: Header=BB386_13 Depth=1
	v_bfe_u32 v1, v0, 16, 1
	v_add3_u32 v0, v0, v1, s42
	v_accvgpr_write_b32 a62, v0
                                        ; implicit-def: $vgpr0
; %bb.684:                              ;   in Loop: Header=BB386_13 Depth=1
	s_andn2_saveexec_b64 s[30:31], vcc
; %bb.685:                              ;   in Loop: Header=BB386_13 Depth=1
	v_or_b32_e32 v1, 0x10000, v0
	v_cmp_eq_u32_sdwa vcc, v0, v62 src0_sel:WORD_0 src1_sel:DWORD
	v_cndmask_b32_e32 v0, v1, v0, vcc
	v_accvgpr_write_b32 a62, v0
; %bb.686:                              ;   in Loop: Header=BB386_13 Depth=1
	s_or_b64 exec, exec, s[30:31]
	v_cmp_lt_u32_e32 vcc, s43, v58
	v_mov_b32_e32 v0, 0
	s_and_saveexec_b64 s[30:31], vcc
	s_cbranch_execz .LBB386_692
; %bb.687:                              ;   in Loop: Header=BB386_13 Depth=1
	v_lshrrev_b32_e32 v60, 24, v58
	v_cmp_ne_u32_e32 vcc, s39, v60
	v_bfrev_b32_e32 v0, 1
	s_and_saveexec_b64 s[34:35], vcc
	s_cbranch_execz .LBB386_691
; %bb.688:                              ;   in Loop: Header=BB386_13 Depth=1
	v_bfe_u32 v1, v58, 24, 7
	v_cmp_ne_u32_e32 vcc, s40, v1
	v_mov_b32_e32 v0, 0x7f800001
	s_and_saveexec_b64 s[36:37], vcc
	s_cbranch_execz .LBB386_690
; %bb.689:                              ;   in Loop: Header=BB386_13 Depth=1
	v_and_b32_e32 v2, 7, v60
	v_ffbh_u32_e32 v0, v2
	v_min_u32_e32 v5, 32, v0
	v_subrev_u32_e32 v0, 28, v5
	v_lshrrev_b32_e32 v4, 3, v1
	v_cmp_gt_u32_e32 vcc, 8, v1
	v_lshlrev_b64 v[0:1], v0, v[60:61]
	v_sub_u32_e32 v1, 29, v5
	v_and_b32_e32 v0, 7, v0
	v_cndmask_b32_e32 v1, v4, v1, vcc
	v_cndmask_b32_e32 v0, v2, v0, vcc
	v_lshlrev_b32_e32 v2, 24, v60
	v_bfrev_b32_e32 v4, 60
	v_lshlrev_b32_e32 v0, 20, v0
	v_and_b32_e32 v2, 0x80000000, v2
	v_lshl_add_u32 v1, v1, 23, v4
	v_or3_b32 v0, v2, v1, v0
.LBB386_690:                            ;   in Loop: Header=BB386_13 Depth=1
	s_or_b64 exec, exec, s[36:37]
.LBB386_691:                            ;   in Loop: Header=BB386_13 Depth=1
	s_or_b64 exec, exec, s[34:35]
.LBB386_692:                            ;   in Loop: Header=BB386_13 Depth=1
	s_or_b64 exec, exec, s[30:31]
	v_mul_f32_e32 v0, v3, v0
	v_and_b32_e32 v1, 0x7f800000, v0
	v_cmp_ne_u32_e32 vcc, s41, v1
                                        ; implicit-def: $agpr63
	s_and_saveexec_b64 s[30:31], vcc
	s_xor_b64 vcc, exec, s[30:31]
; %bb.693:                              ;   in Loop: Header=BB386_13 Depth=1
	v_bfe_u32 v1, v0, 16, 1
	v_add3_u32 v0, v0, v1, s42
	v_accvgpr_write_b32 a63, v0
                                        ; implicit-def: $vgpr0
; %bb.694:                              ;   in Loop: Header=BB386_13 Depth=1
	s_andn2_saveexec_b64 s[30:31], vcc
; %bb.695:                              ;   in Loop: Header=BB386_13 Depth=1
	v_or_b32_e32 v1, 0x10000, v0
	v_cmp_eq_u32_sdwa vcc, v0, v62 src0_sel:WORD_0 src1_sel:DWORD
	v_cndmask_b32_e32 v0, v1, v0, vcc
	v_accvgpr_write_b32 a63, v0
; %bb.696:                              ;   in Loop: Header=BB386_13 Depth=1
	s_or_b64 exec, exec, s[30:31]
	v_add_co_u32_e32 v0, vcc, 0x1000, v56
	v_addc_co_u32_e32 v1, vcc, 0, v57, vcc
	flat_load_dword v58, v[0:1] offset:8
	v_mov_b32_e32 v0, 0
	s_waitcnt vmcnt(0) lgkmcnt(0)
	v_cmp_ne_u16_sdwa vcc, v58, v62 src0_sel:BYTE_0 src1_sel:DWORD
	s_and_saveexec_b64 s[30:31], vcc
	s_cbranch_execz .LBB386_702
; %bb.697:                              ;   in Loop: Header=BB386_13 Depth=1
	v_cmp_ne_u16_sdwa vcc, v58, s39 src0_sel:BYTE_0 src1_sel:DWORD
	v_bfrev_b32_e32 v0, 1
	s_and_saveexec_b64 s[34:35], vcc
	s_cbranch_execz .LBB386_701
; %bb.698:                              ;   in Loop: Header=BB386_13 Depth=1
	v_and_b32_e32 v1, 0x7f, v58
	v_cmp_ne_u32_e32 vcc, s40, v1
	v_mov_b32_e32 v0, 0x7f800001
	s_and_saveexec_b64 s[36:37], vcc
	s_cbranch_execz .LBB386_700
; %bb.699:                              ;   in Loop: Header=BB386_13 Depth=1
	v_and_b32_e32 v2, 7, v58
	v_ffbh_u32_e32 v0, v2
	v_min_u32_e32 v5, 32, v0
	v_subrev_u32_e32 v0, 28, v5
	v_lshrrev_b32_e32 v4, 3, v1
	v_cmp_gt_u32_e32 vcc, 8, v1
	v_lshlrev_b64 v[0:1], v0, v[58:59]
	v_sub_u32_e32 v1, 29, v5
	v_and_b32_e32 v0, 7, v0
	v_cndmask_b32_e32 v1, v4, v1, vcc
	v_cndmask_b32_e32 v0, v2, v0, vcc
	v_lshlrev_b32_e32 v2, 24, v58
	v_bfrev_b32_e32 v4, 60
	v_lshlrev_b32_e32 v0, 20, v0
	v_and_b32_e32 v2, 0x80000000, v2
	v_lshl_add_u32 v1, v1, 23, v4
	v_or3_b32 v0, v2, v1, v0
.LBB386_700:                            ;   in Loop: Header=BB386_13 Depth=1
	s_or_b64 exec, exec, s[36:37]
.LBB386_701:                            ;   in Loop: Header=BB386_13 Depth=1
	s_or_b64 exec, exec, s[34:35]
.LBB386_702:                            ;   in Loop: Header=BB386_13 Depth=1
	s_or_b64 exec, exec, s[30:31]
	v_mul_f32_e32 v0, v3, v0
	v_and_b32_e32 v1, 0x7f800000, v0
	v_cmp_ne_u32_e32 vcc, s41, v1
                                        ; implicit-def: $agpr28
	s_and_saveexec_b64 s[30:31], vcc
	s_xor_b64 vcc, exec, s[30:31]
; %bb.703:                              ;   in Loop: Header=BB386_13 Depth=1
	v_bfe_u32 v1, v0, 16, 1
	v_add3_u32 v0, v0, v1, s42
	v_accvgpr_write_b32 a28, v0
                                        ; implicit-def: $vgpr0
; %bb.704:                              ;   in Loop: Header=BB386_13 Depth=1
	s_andn2_saveexec_b64 s[30:31], vcc
; %bb.705:                              ;   in Loop: Header=BB386_13 Depth=1
	v_or_b32_e32 v1, 0x10000, v0
	v_cmp_eq_u32_sdwa vcc, v0, v62 src0_sel:WORD_0 src1_sel:DWORD
	v_cndmask_b32_e32 v0, v1, v0, vcc
	v_accvgpr_write_b32 a28, v0
; %bb.706:                              ;   in Loop: Header=BB386_13 Depth=1
	s_or_b64 exec, exec, s[30:31]
	v_lshrrev_b16_e32 v60, 8, v58
	v_cmp_ne_u16_e32 vcc, 0, v60
	v_mov_b32_e32 v0, 0
	s_and_saveexec_b64 s[30:31], vcc
	s_cbranch_execz .LBB386_712
; %bb.707:                              ;   in Loop: Header=BB386_13 Depth=1
	v_cmp_ne_u16_e32 vcc, s39, v60
	v_bfrev_b32_e32 v0, 1
	s_and_saveexec_b64 s[34:35], vcc
	s_cbranch_execz .LBB386_711
; %bb.708:                              ;   in Loop: Header=BB386_13 Depth=1
	v_and_b32_e32 v1, 0x7f, v60
	v_cmp_ne_u32_e32 vcc, s40, v1
	v_mov_b32_e32 v0, 0x7f800001
	s_and_saveexec_b64 s[36:37], vcc
	s_cbranch_execz .LBB386_710
; %bb.709:                              ;   in Loop: Header=BB386_13 Depth=1
	v_and_b32_e32 v2, 7, v60
	v_ffbh_u32_e32 v0, v2
	v_min_u32_e32 v5, 32, v0
	v_subrev_u32_e32 v0, 28, v5
	v_lshrrev_b32_e32 v4, 3, v1
	v_cmp_gt_u32_e32 vcc, 8, v1
	v_lshlrev_b64 v[0:1], v0, v[60:61]
	v_sub_u32_e32 v1, 29, v5
	v_and_b32_e32 v0, 7, v0
	v_cndmask_b32_e32 v1, v4, v1, vcc
	v_cndmask_b32_e32 v0, v2, v0, vcc
	v_lshlrev_b32_e32 v2, 16, v58
	v_bfrev_b32_e32 v4, 60
	v_lshlrev_b32_e32 v0, 20, v0
	v_and_b32_e32 v2, 0x80000000, v2
	v_lshl_add_u32 v1, v1, 23, v4
	v_or3_b32 v0, v2, v1, v0
.LBB386_710:                            ;   in Loop: Header=BB386_13 Depth=1
	s_or_b64 exec, exec, s[36:37]
.LBB386_711:                            ;   in Loop: Header=BB386_13 Depth=1
	s_or_b64 exec, exec, s[34:35]
.LBB386_712:                            ;   in Loop: Header=BB386_13 Depth=1
	s_or_b64 exec, exec, s[30:31]
	v_mul_f32_e32 v0, v3, v0
	v_and_b32_e32 v1, 0x7f800000, v0
	v_cmp_ne_u32_e32 vcc, s41, v1
                                        ; implicit-def: $agpr24
	s_and_saveexec_b64 s[30:31], vcc
	s_xor_b64 vcc, exec, s[30:31]
; %bb.713:                              ;   in Loop: Header=BB386_13 Depth=1
	v_bfe_u32 v1, v0, 16, 1
	v_add3_u32 v0, v0, v1, s42
	v_accvgpr_write_b32 a24, v0
                                        ; implicit-def: $vgpr0
; %bb.714:                              ;   in Loop: Header=BB386_13 Depth=1
	s_andn2_saveexec_b64 s[30:31], vcc
; %bb.715:                              ;   in Loop: Header=BB386_13 Depth=1
	v_or_b32_e32 v1, 0x10000, v0
	v_cmp_eq_u32_sdwa vcc, v0, v62 src0_sel:WORD_0 src1_sel:DWORD
	v_cndmask_b32_e32 v0, v1, v0, vcc
	v_accvgpr_write_b32 a24, v0
; %bb.716:                              ;   in Loop: Header=BB386_13 Depth=1
	s_or_b64 exec, exec, s[30:31]
	v_lshrrev_b32_e32 v60, 16, v58
	v_cmp_ne_u16_sdwa vcc, v60, v62 src0_sel:BYTE_0 src1_sel:DWORD
	v_mov_b32_e32 v0, 0
	s_and_saveexec_b64 s[30:31], vcc
	s_cbranch_execz .LBB386_722
; %bb.717:                              ;   in Loop: Header=BB386_13 Depth=1
	v_cmp_ne_u16_sdwa vcc, v60, s39 src0_sel:BYTE_0 src1_sel:DWORD
	v_bfrev_b32_e32 v0, 1
	s_and_saveexec_b64 s[34:35], vcc
	s_cbranch_execz .LBB386_721
; %bb.718:                              ;   in Loop: Header=BB386_13 Depth=1
	v_bfe_u32 v1, v58, 16, 7
	v_cmp_ne_u32_e32 vcc, s40, v1
	v_mov_b32_e32 v0, 0x7f800001
	s_and_saveexec_b64 s[36:37], vcc
	s_cbranch_execz .LBB386_720
; %bb.719:                              ;   in Loop: Header=BB386_13 Depth=1
	v_and_b32_e32 v2, 7, v60
	v_ffbh_u32_e32 v0, v2
	v_min_u32_e32 v5, 32, v0
	v_subrev_u32_e32 v0, 28, v5
	v_lshrrev_b32_e32 v4, 3, v1
	v_cmp_gt_u32_e32 vcc, 8, v1
	v_lshlrev_b64 v[0:1], v0, v[60:61]
	v_sub_u32_e32 v1, 29, v5
	v_and_b32_e32 v0, 7, v0
	v_cndmask_b32_e32 v1, v4, v1, vcc
	v_cndmask_b32_e32 v0, v2, v0, vcc
	v_lshlrev_b32_e32 v2, 24, v60
	v_bfrev_b32_e32 v4, 60
	v_lshlrev_b32_e32 v0, 20, v0
	v_and_b32_e32 v2, 0x80000000, v2
	v_lshl_add_u32 v1, v1, 23, v4
	v_or3_b32 v0, v2, v1, v0
.LBB386_720:                            ;   in Loop: Header=BB386_13 Depth=1
	s_or_b64 exec, exec, s[36:37]
.LBB386_721:                            ;   in Loop: Header=BB386_13 Depth=1
	s_or_b64 exec, exec, s[34:35]
.LBB386_722:                            ;   in Loop: Header=BB386_13 Depth=1
	s_or_b64 exec, exec, s[30:31]
	v_mul_f32_e32 v0, v3, v0
	v_and_b32_e32 v1, 0x7f800000, v0
	v_cmp_ne_u32_e32 vcc, s41, v1
                                        ; implicit-def: $agpr30
	s_and_saveexec_b64 s[30:31], vcc
	s_xor_b64 vcc, exec, s[30:31]
; %bb.723:                              ;   in Loop: Header=BB386_13 Depth=1
	v_bfe_u32 v1, v0, 16, 1
	v_add3_u32 v0, v0, v1, s42
	v_accvgpr_write_b32 a30, v0
                                        ; implicit-def: $vgpr0
; %bb.724:                              ;   in Loop: Header=BB386_13 Depth=1
	s_andn2_saveexec_b64 s[30:31], vcc
; %bb.725:                              ;   in Loop: Header=BB386_13 Depth=1
	v_or_b32_e32 v1, 0x10000, v0
	v_cmp_eq_u32_sdwa vcc, v0, v62 src0_sel:WORD_0 src1_sel:DWORD
	v_cndmask_b32_e32 v0, v1, v0, vcc
	v_accvgpr_write_b32 a30, v0
; %bb.726:                              ;   in Loop: Header=BB386_13 Depth=1
	s_or_b64 exec, exec, s[30:31]
	v_cmp_lt_u32_e32 vcc, s43, v58
	v_mov_b32_e32 v0, 0
	s_and_saveexec_b64 s[30:31], vcc
	s_cbranch_execz .LBB386_732
; %bb.727:                              ;   in Loop: Header=BB386_13 Depth=1
	v_lshrrev_b32_e32 v60, 24, v58
	v_cmp_ne_u32_e32 vcc, s39, v60
	v_bfrev_b32_e32 v0, 1
	s_and_saveexec_b64 s[34:35], vcc
	s_cbranch_execz .LBB386_731
; %bb.728:                              ;   in Loop: Header=BB386_13 Depth=1
	v_bfe_u32 v1, v58, 24, 7
	v_cmp_ne_u32_e32 vcc, s40, v1
	v_mov_b32_e32 v0, 0x7f800001
	s_and_saveexec_b64 s[36:37], vcc
	s_cbranch_execz .LBB386_730
; %bb.729:                              ;   in Loop: Header=BB386_13 Depth=1
	v_and_b32_e32 v2, 7, v60
	v_ffbh_u32_e32 v0, v2
	v_min_u32_e32 v5, 32, v0
	v_subrev_u32_e32 v0, 28, v5
	v_lshrrev_b32_e32 v4, 3, v1
	v_cmp_gt_u32_e32 vcc, 8, v1
	v_lshlrev_b64 v[0:1], v0, v[60:61]
	v_sub_u32_e32 v1, 29, v5
	v_and_b32_e32 v0, 7, v0
	v_cndmask_b32_e32 v1, v4, v1, vcc
	v_cndmask_b32_e32 v0, v2, v0, vcc
	v_lshlrev_b32_e32 v2, 24, v60
	v_bfrev_b32_e32 v4, 60
	v_lshlrev_b32_e32 v0, 20, v0
	v_and_b32_e32 v2, 0x80000000, v2
	v_lshl_add_u32 v1, v1, 23, v4
	v_or3_b32 v0, v2, v1, v0
.LBB386_730:                            ;   in Loop: Header=BB386_13 Depth=1
	s_or_b64 exec, exec, s[36:37]
.LBB386_731:                            ;   in Loop: Header=BB386_13 Depth=1
	s_or_b64 exec, exec, s[34:35]
.LBB386_732:                            ;   in Loop: Header=BB386_13 Depth=1
	s_or_b64 exec, exec, s[30:31]
	v_mul_f32_e32 v0, v3, v0
	v_and_b32_e32 v1, 0x7f800000, v0
	v_cmp_ne_u32_e32 vcc, s41, v1
                                        ; implicit-def: $agpr31
	s_and_saveexec_b64 s[30:31], vcc
	s_xor_b64 vcc, exec, s[30:31]
; %bb.733:                              ;   in Loop: Header=BB386_13 Depth=1
	v_bfe_u32 v1, v0, 16, 1
	v_add3_u32 v0, v0, v1, s42
	v_accvgpr_write_b32 a31, v0
                                        ; implicit-def: $vgpr0
; %bb.734:                              ;   in Loop: Header=BB386_13 Depth=1
	s_andn2_saveexec_b64 s[30:31], vcc
; %bb.735:                              ;   in Loop: Header=BB386_13 Depth=1
	v_or_b32_e32 v1, 0x10000, v0
	v_cmp_eq_u32_sdwa vcc, v0, v62 src0_sel:WORD_0 src1_sel:DWORD
	v_cndmask_b32_e32 v0, v1, v0, vcc
	v_accvgpr_write_b32 a31, v0
; %bb.736:                              ;   in Loop: Header=BB386_13 Depth=1
	s_or_b64 exec, exec, s[30:31]
	v_add_co_u32_e32 v0, vcc, 0x1000, v56
	v_addc_co_u32_e32 v1, vcc, 0, v57, vcc
	flat_load_dword v58, v[0:1] offset:512
	v_mov_b32_e32 v0, 0
	s_waitcnt vmcnt(0) lgkmcnt(0)
	v_cmp_ne_u16_sdwa vcc, v58, v62 src0_sel:BYTE_0 src1_sel:DWORD
	s_and_saveexec_b64 s[30:31], vcc
	s_cbranch_execz .LBB386_742
; %bb.737:                              ;   in Loop: Header=BB386_13 Depth=1
	v_cmp_ne_u16_sdwa vcc, v58, s39 src0_sel:BYTE_0 src1_sel:DWORD
	v_bfrev_b32_e32 v0, 1
	s_and_saveexec_b64 s[34:35], vcc
	s_cbranch_execz .LBB386_741
; %bb.738:                              ;   in Loop: Header=BB386_13 Depth=1
	v_and_b32_e32 v1, 0x7f, v58
	v_cmp_ne_u32_e32 vcc, s40, v1
	v_mov_b32_e32 v0, 0x7f800001
	s_and_saveexec_b64 s[36:37], vcc
	s_cbranch_execz .LBB386_740
; %bb.739:                              ;   in Loop: Header=BB386_13 Depth=1
	v_and_b32_e32 v2, 7, v58
	v_ffbh_u32_e32 v0, v2
	v_min_u32_e32 v5, 32, v0
	v_subrev_u32_e32 v0, 28, v5
	v_lshrrev_b32_e32 v4, 3, v1
	v_cmp_gt_u32_e32 vcc, 8, v1
	v_lshlrev_b64 v[0:1], v0, v[58:59]
	v_sub_u32_e32 v1, 29, v5
	v_and_b32_e32 v0, 7, v0
	v_cndmask_b32_e32 v1, v4, v1, vcc
	v_cndmask_b32_e32 v0, v2, v0, vcc
	v_lshlrev_b32_e32 v2, 24, v58
	v_bfrev_b32_e32 v4, 60
	v_lshlrev_b32_e32 v0, 20, v0
	v_and_b32_e32 v2, 0x80000000, v2
	v_lshl_add_u32 v1, v1, 23, v4
	v_or3_b32 v0, v2, v1, v0
.LBB386_740:                            ;   in Loop: Header=BB386_13 Depth=1
	s_or_b64 exec, exec, s[36:37]
.LBB386_741:                            ;   in Loop: Header=BB386_13 Depth=1
	s_or_b64 exec, exec, s[34:35]
.LBB386_742:                            ;   in Loop: Header=BB386_13 Depth=1
	s_or_b64 exec, exec, s[30:31]
	v_mul_f32_e32 v0, v3, v0
	v_and_b32_e32 v1, 0x7f800000, v0
	v_cmp_ne_u32_e32 vcc, s41, v1
                                        ; implicit-def: $agpr29
	s_and_saveexec_b64 s[30:31], vcc
	s_xor_b64 vcc, exec, s[30:31]
; %bb.743:                              ;   in Loop: Header=BB386_13 Depth=1
	v_bfe_u32 v1, v0, 16, 1
	v_add3_u32 v0, v0, v1, s42
	v_accvgpr_write_b32 a29, v0
                                        ; implicit-def: $vgpr0
; %bb.744:                              ;   in Loop: Header=BB386_13 Depth=1
	s_andn2_saveexec_b64 s[30:31], vcc
; %bb.745:                              ;   in Loop: Header=BB386_13 Depth=1
	v_or_b32_e32 v1, 0x10000, v0
	v_cmp_eq_u32_sdwa vcc, v0, v62 src0_sel:WORD_0 src1_sel:DWORD
	v_cndmask_b32_e32 v0, v1, v0, vcc
	v_accvgpr_write_b32 a29, v0
; %bb.746:                              ;   in Loop: Header=BB386_13 Depth=1
	s_or_b64 exec, exec, s[30:31]
	v_lshrrev_b16_e32 v60, 8, v58
	v_cmp_ne_u16_e32 vcc, 0, v60
	v_mov_b32_e32 v0, 0
	s_and_saveexec_b64 s[30:31], vcc
	s_cbranch_execz .LBB386_752
; %bb.747:                              ;   in Loop: Header=BB386_13 Depth=1
	v_cmp_ne_u16_e32 vcc, s39, v60
	v_bfrev_b32_e32 v0, 1
	s_and_saveexec_b64 s[34:35], vcc
	s_cbranch_execz .LBB386_751
; %bb.748:                              ;   in Loop: Header=BB386_13 Depth=1
	v_and_b32_e32 v1, 0x7f, v60
	v_cmp_ne_u32_e32 vcc, s40, v1
	v_mov_b32_e32 v0, 0x7f800001
	s_and_saveexec_b64 s[36:37], vcc
	s_cbranch_execz .LBB386_750
; %bb.749:                              ;   in Loop: Header=BB386_13 Depth=1
	v_and_b32_e32 v2, 7, v60
	v_ffbh_u32_e32 v0, v2
	v_min_u32_e32 v5, 32, v0
	v_subrev_u32_e32 v0, 28, v5
	v_lshrrev_b32_e32 v4, 3, v1
	v_cmp_gt_u32_e32 vcc, 8, v1
	v_lshlrev_b64 v[0:1], v0, v[60:61]
	v_sub_u32_e32 v1, 29, v5
	v_and_b32_e32 v0, 7, v0
	v_cndmask_b32_e32 v1, v4, v1, vcc
	v_cndmask_b32_e32 v0, v2, v0, vcc
	v_lshlrev_b32_e32 v2, 16, v58
	v_bfrev_b32_e32 v4, 60
	v_lshlrev_b32_e32 v0, 20, v0
	v_and_b32_e32 v2, 0x80000000, v2
	v_lshl_add_u32 v1, v1, 23, v4
	v_or3_b32 v0, v2, v1, v0
.LBB386_750:                            ;   in Loop: Header=BB386_13 Depth=1
	s_or_b64 exec, exec, s[36:37]
.LBB386_751:                            ;   in Loop: Header=BB386_13 Depth=1
	s_or_b64 exec, exec, s[34:35]
.LBB386_752:                            ;   in Loop: Header=BB386_13 Depth=1
	s_or_b64 exec, exec, s[30:31]
	v_mul_f32_e32 v0, v3, v0
	v_and_b32_e32 v1, 0x7f800000, v0
	v_cmp_ne_u32_e32 vcc, s41, v1
                                        ; implicit-def: $agpr3
	s_and_saveexec_b64 s[30:31], vcc
	s_xor_b64 vcc, exec, s[30:31]
; %bb.753:                              ;   in Loop: Header=BB386_13 Depth=1
	v_bfe_u32 v1, v0, 16, 1
	v_add3_u32 v0, v0, v1, s42
	v_accvgpr_write_b32 a3, v0
                                        ; implicit-def: $vgpr0
; %bb.754:                              ;   in Loop: Header=BB386_13 Depth=1
	s_andn2_saveexec_b64 s[30:31], vcc
; %bb.755:                              ;   in Loop: Header=BB386_13 Depth=1
	v_or_b32_e32 v1, 0x10000, v0
	v_cmp_eq_u32_sdwa vcc, v0, v62 src0_sel:WORD_0 src1_sel:DWORD
	v_cndmask_b32_e32 v0, v1, v0, vcc
	v_accvgpr_write_b32 a3, v0
; %bb.756:                              ;   in Loop: Header=BB386_13 Depth=1
	s_or_b64 exec, exec, s[30:31]
	v_lshrrev_b32_e32 v60, 16, v58
	v_cmp_ne_u16_sdwa vcc, v60, v62 src0_sel:BYTE_0 src1_sel:DWORD
	v_mov_b32_e32 v0, 0
	s_and_saveexec_b64 s[30:31], vcc
	s_cbranch_execz .LBB386_762
; %bb.757:                              ;   in Loop: Header=BB386_13 Depth=1
	v_cmp_ne_u16_sdwa vcc, v60, s39 src0_sel:BYTE_0 src1_sel:DWORD
	v_bfrev_b32_e32 v0, 1
	s_and_saveexec_b64 s[34:35], vcc
	s_cbranch_execz .LBB386_761
; %bb.758:                              ;   in Loop: Header=BB386_13 Depth=1
	v_bfe_u32 v1, v58, 16, 7
	v_cmp_ne_u32_e32 vcc, s40, v1
	v_mov_b32_e32 v0, 0x7f800001
	s_and_saveexec_b64 s[36:37], vcc
	s_cbranch_execz .LBB386_760
; %bb.759:                              ;   in Loop: Header=BB386_13 Depth=1
	v_and_b32_e32 v2, 7, v60
	v_ffbh_u32_e32 v0, v2
	v_min_u32_e32 v5, 32, v0
	v_subrev_u32_e32 v0, 28, v5
	v_lshrrev_b32_e32 v4, 3, v1
	v_cmp_gt_u32_e32 vcc, 8, v1
	v_lshlrev_b64 v[0:1], v0, v[60:61]
	v_sub_u32_e32 v1, 29, v5
	v_and_b32_e32 v0, 7, v0
	v_cndmask_b32_e32 v1, v4, v1, vcc
	v_cndmask_b32_e32 v0, v2, v0, vcc
	v_lshlrev_b32_e32 v2, 24, v60
	v_bfrev_b32_e32 v4, 60
	v_lshlrev_b32_e32 v0, 20, v0
	v_and_b32_e32 v2, 0x80000000, v2
	v_lshl_add_u32 v1, v1, 23, v4
	v_or3_b32 v0, v2, v1, v0
.LBB386_760:                            ;   in Loop: Header=BB386_13 Depth=1
	s_or_b64 exec, exec, s[36:37]
.LBB386_761:                            ;   in Loop: Header=BB386_13 Depth=1
	s_or_b64 exec, exec, s[34:35]
.LBB386_762:                            ;   in Loop: Header=BB386_13 Depth=1
	s_or_b64 exec, exec, s[30:31]
	v_mul_f32_e32 v0, v3, v0
	v_and_b32_e32 v1, 0x7f800000, v0
	v_cmp_ne_u32_e32 vcc, s41, v1
                                        ; implicit-def: $agpr7
	s_and_saveexec_b64 s[30:31], vcc
	s_xor_b64 vcc, exec, s[30:31]
; %bb.763:                              ;   in Loop: Header=BB386_13 Depth=1
	v_bfe_u32 v1, v0, 16, 1
	v_add3_u32 v0, v0, v1, s42
	v_accvgpr_write_b32 a7, v0
                                        ; implicit-def: $vgpr0
; %bb.764:                              ;   in Loop: Header=BB386_13 Depth=1
	s_andn2_saveexec_b64 s[30:31], vcc
; %bb.765:                              ;   in Loop: Header=BB386_13 Depth=1
	v_or_b32_e32 v1, 0x10000, v0
	v_cmp_eq_u32_sdwa vcc, v0, v62 src0_sel:WORD_0 src1_sel:DWORD
	v_cndmask_b32_e32 v0, v1, v0, vcc
	v_accvgpr_write_b32 a7, v0
; %bb.766:                              ;   in Loop: Header=BB386_13 Depth=1
	s_or_b64 exec, exec, s[30:31]
	v_cmp_lt_u32_e32 vcc, s43, v58
	v_mov_b32_e32 v0, 0
	s_and_saveexec_b64 s[30:31], vcc
	s_cbranch_execz .LBB386_772
; %bb.767:                              ;   in Loop: Header=BB386_13 Depth=1
	v_lshrrev_b32_e32 v60, 24, v58
	v_cmp_ne_u32_e32 vcc, s39, v60
	v_bfrev_b32_e32 v0, 1
	s_and_saveexec_b64 s[34:35], vcc
	s_cbranch_execz .LBB386_771
; %bb.768:                              ;   in Loop: Header=BB386_13 Depth=1
	v_bfe_u32 v1, v58, 24, 7
	v_cmp_ne_u32_e32 vcc, s40, v1
	v_mov_b32_e32 v0, 0x7f800001
	s_and_saveexec_b64 s[36:37], vcc
	s_cbranch_execz .LBB386_770
; %bb.769:                              ;   in Loop: Header=BB386_13 Depth=1
	v_and_b32_e32 v2, 7, v60
	v_ffbh_u32_e32 v0, v2
	v_min_u32_e32 v10, 32, v0
	v_subrev_u32_e32 v0, 28, v10
	v_lshrrev_b32_e32 v5, 3, v1
	v_cmp_gt_u32_e32 vcc, 8, v1
	v_lshlrev_b64 v[0:1], v0, v[60:61]
	v_sub_u32_e32 v1, 29, v10
	v_and_b32_e32 v0, 7, v0
	v_cndmask_b32_e32 v1, v5, v1, vcc
	v_cndmask_b32_e32 v0, v2, v0, vcc
	v_lshlrev_b32_e32 v2, 24, v60
	v_bfrev_b32_e32 v4, 60
	v_lshlrev_b32_e32 v0, 20, v0
	v_and_b32_e32 v2, 0x80000000, v2
	v_lshl_add_u32 v1, v1, 23, v4
	v_or3_b32 v0, v2, v1, v0
.LBB386_770:                            ;   in Loop: Header=BB386_13 Depth=1
	s_or_b64 exec, exec, s[36:37]
.LBB386_771:                            ;   in Loop: Header=BB386_13 Depth=1
	s_or_b64 exec, exec, s[34:35]
.LBB386_772:                            ;   in Loop: Header=BB386_13 Depth=1
	s_or_b64 exec, exec, s[30:31]
	v_mul_f32_e32 v0, v3, v0
	v_and_b32_e32 v1, 0x7f800000, v0
	v_cmp_ne_u32_e32 vcc, s41, v1
                                        ; implicit-def: $agpr9
	s_and_saveexec_b64 s[30:31], vcc
	s_xor_b64 vcc, exec, s[30:31]
; %bb.773:                              ;   in Loop: Header=BB386_13 Depth=1
	v_bfe_u32 v1, v0, 16, 1
	v_add3_u32 v0, v0, v1, s42
	v_accvgpr_write_b32 a9, v0
                                        ; implicit-def: $vgpr0
; %bb.774:                              ;   in Loop: Header=BB386_13 Depth=1
	s_andn2_saveexec_b64 s[30:31], vcc
; %bb.775:                              ;   in Loop: Header=BB386_13 Depth=1
	v_or_b32_e32 v1, 0x10000, v0
	v_cmp_eq_u32_sdwa vcc, v0, v62 src0_sel:WORD_0 src1_sel:DWORD
	v_cndmask_b32_e32 v0, v1, v0, vcc
	v_accvgpr_write_b32 a9, v0
; %bb.776:                              ;   in Loop: Header=BB386_13 Depth=1
	s_or_b64 exec, exec, s[30:31]
	v_add_co_u32_e32 v0, vcc, 0x1200, v56
	v_addc_co_u32_e32 v1, vcc, 0, v57, vcc
	flat_load_dword v58, v[0:1] offset:8
	v_mov_b32_e32 v0, 0
	s_waitcnt vmcnt(0) lgkmcnt(0)
	v_cmp_ne_u16_sdwa vcc, v58, v62 src0_sel:BYTE_0 src1_sel:DWORD
	s_and_saveexec_b64 s[30:31], vcc
	s_cbranch_execz .LBB386_782
; %bb.777:                              ;   in Loop: Header=BB386_13 Depth=1
	v_cmp_ne_u16_sdwa vcc, v58, s39 src0_sel:BYTE_0 src1_sel:DWORD
	v_bfrev_b32_e32 v0, 1
	s_and_saveexec_b64 s[34:35], vcc
	s_cbranch_execz .LBB386_781
; %bb.778:                              ;   in Loop: Header=BB386_13 Depth=1
	v_and_b32_e32 v1, 0x7f, v58
	v_cmp_ne_u32_e32 vcc, s40, v1
	v_mov_b32_e32 v0, 0x7f800001
	s_and_saveexec_b64 s[36:37], vcc
	s_cbranch_execz .LBB386_780
; %bb.779:                              ;   in Loop: Header=BB386_13 Depth=1
	v_and_b32_e32 v2, 7, v58
	v_ffbh_u32_e32 v0, v2
	v_min_u32_e32 v10, 32, v0
	v_subrev_u32_e32 v0, 28, v10
	v_lshrrev_b32_e32 v5, 3, v1
	v_cmp_gt_u32_e32 vcc, 8, v1
	v_lshlrev_b64 v[0:1], v0, v[58:59]
	v_sub_u32_e32 v1, 29, v10
	v_and_b32_e32 v0, 7, v0
	v_cndmask_b32_e32 v1, v5, v1, vcc
	v_cndmask_b32_e32 v0, v2, v0, vcc
	v_lshlrev_b32_e32 v2, 24, v58
	v_bfrev_b32_e32 v4, 60
	v_lshlrev_b32_e32 v0, 20, v0
	v_and_b32_e32 v2, 0x80000000, v2
	v_lshl_add_u32 v1, v1, 23, v4
	v_or3_b32 v0, v2, v1, v0
.LBB386_780:                            ;   in Loop: Header=BB386_13 Depth=1
	s_or_b64 exec, exec, s[36:37]
.LBB386_781:                            ;   in Loop: Header=BB386_13 Depth=1
	s_or_b64 exec, exec, s[34:35]
.LBB386_782:                            ;   in Loop: Header=BB386_13 Depth=1
	s_or_b64 exec, exec, s[30:31]
	v_mul_f32_e32 v0, v3, v0
	v_and_b32_e32 v1, 0x7f800000, v0
	v_cmp_ne_u32_e32 vcc, s41, v1
                                        ; implicit-def: $agpr10
	s_and_saveexec_b64 s[30:31], vcc
	s_xor_b64 vcc, exec, s[30:31]
; %bb.783:                              ;   in Loop: Header=BB386_13 Depth=1
	v_bfe_u32 v1, v0, 16, 1
	v_add3_u32 v0, v0, v1, s42
	v_accvgpr_write_b32 a10, v0
                                        ; implicit-def: $vgpr0
; %bb.784:                              ;   in Loop: Header=BB386_13 Depth=1
	s_andn2_saveexec_b64 s[30:31], vcc
; %bb.785:                              ;   in Loop: Header=BB386_13 Depth=1
	v_or_b32_e32 v1, 0x10000, v0
	v_cmp_eq_u32_sdwa vcc, v0, v62 src0_sel:WORD_0 src1_sel:DWORD
	v_cndmask_b32_e32 v0, v1, v0, vcc
	v_accvgpr_write_b32 a10, v0
; %bb.786:                              ;   in Loop: Header=BB386_13 Depth=1
	s_or_b64 exec, exec, s[30:31]
	v_lshrrev_b16_e32 v60, 8, v58
	v_cmp_ne_u16_e32 vcc, 0, v60
	v_mov_b32_e32 v0, 0
	s_and_saveexec_b64 s[30:31], vcc
	s_cbranch_execz .LBB386_792
; %bb.787:                              ;   in Loop: Header=BB386_13 Depth=1
	v_cmp_ne_u16_e32 vcc, s39, v60
	v_bfrev_b32_e32 v0, 1
	s_and_saveexec_b64 s[34:35], vcc
	s_cbranch_execz .LBB386_791
; %bb.788:                              ;   in Loop: Header=BB386_13 Depth=1
	v_and_b32_e32 v1, 0x7f, v60
	v_cmp_ne_u32_e32 vcc, s40, v1
	v_mov_b32_e32 v0, 0x7f800001
	s_and_saveexec_b64 s[36:37], vcc
	s_cbranch_execz .LBB386_790
; %bb.789:                              ;   in Loop: Header=BB386_13 Depth=1
	v_and_b32_e32 v2, 7, v60
	v_ffbh_u32_e32 v0, v2
	v_min_u32_e32 v10, 32, v0
	v_subrev_u32_e32 v0, 28, v10
	v_lshrrev_b32_e32 v5, 3, v1
	v_cmp_gt_u32_e32 vcc, 8, v1
	v_lshlrev_b64 v[0:1], v0, v[60:61]
	v_sub_u32_e32 v1, 29, v10
	v_and_b32_e32 v0, 7, v0
	v_cndmask_b32_e32 v1, v5, v1, vcc
	v_cndmask_b32_e32 v0, v2, v0, vcc
	v_lshlrev_b32_e32 v2, 16, v58
	v_bfrev_b32_e32 v4, 60
	v_lshlrev_b32_e32 v0, 20, v0
	v_and_b32_e32 v2, 0x80000000, v2
	v_lshl_add_u32 v1, v1, 23, v4
	v_or3_b32 v0, v2, v1, v0
.LBB386_790:                            ;   in Loop: Header=BB386_13 Depth=1
	s_or_b64 exec, exec, s[36:37]
.LBB386_791:                            ;   in Loop: Header=BB386_13 Depth=1
	s_or_b64 exec, exec, s[34:35]
.LBB386_792:                            ;   in Loop: Header=BB386_13 Depth=1
	s_or_b64 exec, exec, s[30:31]
	v_mul_f32_e32 v0, v3, v0
	v_and_b32_e32 v1, 0x7f800000, v0
	v_cmp_ne_u32_e32 vcc, s41, v1
                                        ; implicit-def: $agpr11
	s_and_saveexec_b64 s[30:31], vcc
	s_xor_b64 vcc, exec, s[30:31]
; %bb.793:                              ;   in Loop: Header=BB386_13 Depth=1
	v_bfe_u32 v1, v0, 16, 1
	v_add3_u32 v0, v0, v1, s42
	v_accvgpr_write_b32 a11, v0
                                        ; implicit-def: $vgpr0
; %bb.794:                              ;   in Loop: Header=BB386_13 Depth=1
	s_andn2_saveexec_b64 s[30:31], vcc
; %bb.795:                              ;   in Loop: Header=BB386_13 Depth=1
	v_or_b32_e32 v1, 0x10000, v0
	v_cmp_eq_u32_sdwa vcc, v0, v62 src0_sel:WORD_0 src1_sel:DWORD
	v_cndmask_b32_e32 v0, v1, v0, vcc
	v_accvgpr_write_b32 a11, v0
; %bb.796:                              ;   in Loop: Header=BB386_13 Depth=1
	s_or_b64 exec, exec, s[30:31]
	v_lshrrev_b32_e32 v60, 16, v58
	v_cmp_ne_u16_sdwa vcc, v60, v62 src0_sel:BYTE_0 src1_sel:DWORD
	v_mov_b32_e32 v0, 0
	s_and_saveexec_b64 s[30:31], vcc
	s_cbranch_execz .LBB386_802
; %bb.797:                              ;   in Loop: Header=BB386_13 Depth=1
	v_cmp_ne_u16_sdwa vcc, v60, s39 src0_sel:BYTE_0 src1_sel:DWORD
	v_bfrev_b32_e32 v0, 1
	s_and_saveexec_b64 s[34:35], vcc
	s_cbranch_execz .LBB386_801
; %bb.798:                              ;   in Loop: Header=BB386_13 Depth=1
	v_bfe_u32 v1, v58, 16, 7
	v_cmp_ne_u32_e32 vcc, s40, v1
	v_mov_b32_e32 v0, 0x7f800001
	s_and_saveexec_b64 s[36:37], vcc
	s_cbranch_execz .LBB386_800
; %bb.799:                              ;   in Loop: Header=BB386_13 Depth=1
	v_and_b32_e32 v2, 7, v60
	v_ffbh_u32_e32 v0, v2
	v_min_u32_e32 v10, 32, v0
	v_subrev_u32_e32 v0, 28, v10
	v_lshrrev_b32_e32 v5, 3, v1
	v_cmp_gt_u32_e32 vcc, 8, v1
	v_lshlrev_b64 v[0:1], v0, v[60:61]
	v_sub_u32_e32 v1, 29, v10
	v_and_b32_e32 v0, 7, v0
	v_cndmask_b32_e32 v1, v5, v1, vcc
	v_cndmask_b32_e32 v0, v2, v0, vcc
	v_lshlrev_b32_e32 v2, 24, v60
	v_bfrev_b32_e32 v4, 60
	v_lshlrev_b32_e32 v0, 20, v0
	v_and_b32_e32 v2, 0x80000000, v2
	v_lshl_add_u32 v1, v1, 23, v4
	v_or3_b32 v0, v2, v1, v0
.LBB386_800:                            ;   in Loop: Header=BB386_13 Depth=1
	s_or_b64 exec, exec, s[36:37]
.LBB386_801:                            ;   in Loop: Header=BB386_13 Depth=1
	s_or_b64 exec, exec, s[34:35]
.LBB386_802:                            ;   in Loop: Header=BB386_13 Depth=1
	s_or_b64 exec, exec, s[30:31]
	v_mul_f32_e32 v0, v3, v0
	v_and_b32_e32 v1, 0x7f800000, v0
	v_cmp_ne_u32_e32 vcc, s41, v1
                                        ; implicit-def: $agpr26
	s_and_saveexec_b64 s[30:31], vcc
	s_xor_b64 vcc, exec, s[30:31]
; %bb.803:                              ;   in Loop: Header=BB386_13 Depth=1
	v_bfe_u32 v1, v0, 16, 1
	v_add3_u32 v0, v0, v1, s42
	v_accvgpr_write_b32 a26, v0
                                        ; implicit-def: $vgpr0
; %bb.804:                              ;   in Loop: Header=BB386_13 Depth=1
	s_andn2_saveexec_b64 s[30:31], vcc
; %bb.805:                              ;   in Loop: Header=BB386_13 Depth=1
	v_or_b32_e32 v1, 0x10000, v0
	v_cmp_eq_u32_sdwa vcc, v0, v62 src0_sel:WORD_0 src1_sel:DWORD
	v_cndmask_b32_e32 v0, v1, v0, vcc
	v_accvgpr_write_b32 a26, v0
; %bb.806:                              ;   in Loop: Header=BB386_13 Depth=1
	s_or_b64 exec, exec, s[30:31]
	v_cmp_lt_u32_e32 vcc, s43, v58
	v_mov_b32_e32 v0, 0
	s_and_saveexec_b64 s[30:31], vcc
	s_cbranch_execz .LBB386_812
; %bb.807:                              ;   in Loop: Header=BB386_13 Depth=1
	v_lshrrev_b32_e32 v60, 24, v58
	v_cmp_ne_u32_e32 vcc, s39, v60
	v_bfrev_b32_e32 v0, 1
	s_and_saveexec_b64 s[34:35], vcc
	s_cbranch_execz .LBB386_811
; %bb.808:                              ;   in Loop: Header=BB386_13 Depth=1
	v_bfe_u32 v1, v58, 24, 7
	v_cmp_ne_u32_e32 vcc, s40, v1
	v_mov_b32_e32 v0, 0x7f800001
	s_and_saveexec_b64 s[36:37], vcc
	s_cbranch_execz .LBB386_810
; %bb.809:                              ;   in Loop: Header=BB386_13 Depth=1
	v_and_b32_e32 v2, 7, v60
	v_ffbh_u32_e32 v0, v2
	v_min_u32_e32 v12, 32, v0
	v_subrev_u32_e32 v0, 28, v12
	v_lshrrev_b32_e32 v5, 3, v1
	v_cmp_gt_u32_e32 vcc, 8, v1
	v_lshlrev_b64 v[0:1], v0, v[60:61]
	v_sub_u32_e32 v1, 29, v12
	v_and_b32_e32 v0, 7, v0
	v_cndmask_b32_e32 v1, v5, v1, vcc
	v_cndmask_b32_e32 v0, v2, v0, vcc
	v_lshlrev_b32_e32 v2, 24, v60
	v_bfrev_b32_e32 v4, 60
	v_lshlrev_b32_e32 v0, 20, v0
	v_and_b32_e32 v2, 0x80000000, v2
	v_lshl_add_u32 v1, v1, 23, v4
	v_or3_b32 v0, v2, v1, v0
.LBB386_810:                            ;   in Loop: Header=BB386_13 Depth=1
	s_or_b64 exec, exec, s[36:37]
.LBB386_811:                            ;   in Loop: Header=BB386_13 Depth=1
	s_or_b64 exec, exec, s[34:35]
.LBB386_812:                            ;   in Loop: Header=BB386_13 Depth=1
	s_or_b64 exec, exec, s[30:31]
	v_mul_f32_e32 v0, v3, v0
	v_and_b32_e32 v1, 0x7f800000, v0
	v_cmp_ne_u32_e32 vcc, s41, v1
                                        ; implicit-def: $agpr27
	s_and_saveexec_b64 s[30:31], vcc
	s_xor_b64 vcc, exec, s[30:31]
; %bb.813:                              ;   in Loop: Header=BB386_13 Depth=1
	v_bfe_u32 v1, v0, 16, 1
	v_add3_u32 v0, v0, v1, s42
	v_accvgpr_write_b32 a27, v0
                                        ; implicit-def: $vgpr0
; %bb.814:                              ;   in Loop: Header=BB386_13 Depth=1
	s_andn2_saveexec_b64 s[30:31], vcc
; %bb.815:                              ;   in Loop: Header=BB386_13 Depth=1
	v_or_b32_e32 v1, 0x10000, v0
	v_cmp_eq_u32_sdwa vcc, v0, v62 src0_sel:WORD_0 src1_sel:DWORD
	v_cndmask_b32_e32 v0, v1, v0, vcc
	v_accvgpr_write_b32 a27, v0
; %bb.816:                              ;   in Loop: Header=BB386_13 Depth=1
	s_or_b64 exec, exec, s[30:31]
	v_add_co_u32_e32 v14, vcc, 0x1000, v56
	v_addc_co_u32_e32 v15, vcc, 0, v57, vcc
	flat_load_dword v58, v[14:15] offset:1024
	v_mov_b32_e32 v0, 0
	s_waitcnt vmcnt(0) lgkmcnt(0)
	v_cmp_ne_u16_sdwa vcc, v58, v62 src0_sel:BYTE_0 src1_sel:DWORD
	s_and_saveexec_b64 s[30:31], vcc
	s_cbranch_execz .LBB386_822
; %bb.817:                              ;   in Loop: Header=BB386_13 Depth=1
	v_cmp_ne_u16_sdwa vcc, v58, s39 src0_sel:BYTE_0 src1_sel:DWORD
	v_bfrev_b32_e32 v0, 1
	s_and_saveexec_b64 s[34:35], vcc
	s_cbranch_execz .LBB386_821
; %bb.818:                              ;   in Loop: Header=BB386_13 Depth=1
	v_and_b32_e32 v2, 0x7f, v58
	v_cmp_ne_u32_e32 vcc, s40, v2
	v_mov_b32_e32 v0, 0x7f800001
	s_and_saveexec_b64 s[36:37], vcc
	s_cbranch_execz .LBB386_820
; %bb.819:                              ;   in Loop: Header=BB386_13 Depth=1
	v_and_b32_e32 v0, 7, v58
	v_lshrrev_b32_e32 v5, 3, v2
	v_cmp_gt_u32_e32 vcc, 8, v2
	v_ffbh_u32_e32 v2, v0
	v_min_u32_e32 v2, 32, v2
	v_subrev_u32_e32 v12, 28, v2
	v_lshlrev_b64 v[14:15], v12, v[58:59]
	v_sub_u32_e32 v2, 29, v2
	v_and_b32_e32 v12, 7, v14
	v_cndmask_b32_e32 v2, v5, v2, vcc
	v_cndmask_b32_e32 v0, v0, v12, vcc
	v_lshlrev_b32_e32 v5, 24, v58
	v_bfrev_b32_e32 v1, 60
	v_lshlrev_b32_e32 v0, 20, v0
	v_and_b32_e32 v5, 0x80000000, v5
	v_lshl_add_u32 v2, v2, 23, v1
	v_or3_b32 v0, v5, v2, v0
.LBB386_820:                            ;   in Loop: Header=BB386_13 Depth=1
	s_or_b64 exec, exec, s[36:37]
.LBB386_821:                            ;   in Loop: Header=BB386_13 Depth=1
	s_or_b64 exec, exec, s[34:35]
.LBB386_822:                            ;   in Loop: Header=BB386_13 Depth=1
	s_or_b64 exec, exec, s[30:31]
	v_mul_f32_e32 v0, v3, v0
	v_and_b32_e32 v2, 0x7f800000, v0
	v_cmp_ne_u32_e32 vcc, s41, v2
                                        ; implicit-def: $agpr25
	s_and_saveexec_b64 s[30:31], vcc
	s_xor_b64 vcc, exec, s[30:31]
; %bb.823:                              ;   in Loop: Header=BB386_13 Depth=1
	v_bfe_u32 v2, v0, 16, 1
	v_add3_u32 v0, v0, v2, s42
	v_accvgpr_write_b32 a25, v0
                                        ; implicit-def: $vgpr0
; %bb.824:                              ;   in Loop: Header=BB386_13 Depth=1
	s_andn2_saveexec_b64 s[30:31], vcc
; %bb.825:                              ;   in Loop: Header=BB386_13 Depth=1
	v_or_b32_e32 v2, 0x10000, v0
	v_cmp_eq_u32_sdwa vcc, v0, v62 src0_sel:WORD_0 src1_sel:DWORD
	v_cndmask_b32_e32 v0, v2, v0, vcc
	v_accvgpr_write_b32 a25, v0
; %bb.826:                              ;   in Loop: Header=BB386_13 Depth=1
	s_or_b64 exec, exec, s[30:31]
	v_lshrrev_b16_e32 v60, 8, v58
	v_cmp_ne_u16_e32 vcc, 0, v60
	v_mov_b32_e32 v0, 0
	s_and_saveexec_b64 s[30:31], vcc
	s_cbranch_execz .LBB386_832
; %bb.827:                              ;   in Loop: Header=BB386_13 Depth=1
	v_cmp_ne_u16_e32 vcc, s39, v60
	v_bfrev_b32_e32 v0, 1
	s_and_saveexec_b64 s[34:35], vcc
	s_cbranch_execz .LBB386_831
; %bb.828:                              ;   in Loop: Header=BB386_13 Depth=1
	v_and_b32_e32 v2, 0x7f, v60
	v_cmp_ne_u32_e32 vcc, s40, v2
	v_mov_b32_e32 v0, 0x7f800001
	s_and_saveexec_b64 s[36:37], vcc
	s_cbranch_execz .LBB386_830
; %bb.829:                              ;   in Loop: Header=BB386_13 Depth=1
	v_and_b32_e32 v0, 7, v60
	v_lshrrev_b32_e32 v5, 3, v2
	v_cmp_gt_u32_e32 vcc, 8, v2
	v_ffbh_u32_e32 v2, v0
	v_min_u32_e32 v2, 32, v2
	v_subrev_u32_e32 v12, 28, v2
	v_lshlrev_b64 v[14:15], v12, v[60:61]
	v_sub_u32_e32 v2, 29, v2
	v_and_b32_e32 v12, 7, v14
	v_cndmask_b32_e32 v2, v5, v2, vcc
	v_cndmask_b32_e32 v0, v0, v12, vcc
	v_lshlrev_b32_e32 v5, 16, v58
	v_bfrev_b32_e32 v1, 60
	v_lshlrev_b32_e32 v0, 20, v0
	v_and_b32_e32 v5, 0x80000000, v5
	v_lshl_add_u32 v2, v2, 23, v1
	v_or3_b32 v0, v5, v2, v0
.LBB386_830:                            ;   in Loop: Header=BB386_13 Depth=1
	s_or_b64 exec, exec, s[36:37]
.LBB386_831:                            ;   in Loop: Header=BB386_13 Depth=1
	s_or_b64 exec, exec, s[34:35]
.LBB386_832:                            ;   in Loop: Header=BB386_13 Depth=1
	s_or_b64 exec, exec, s[30:31]
	v_mul_f32_e32 v0, v3, v0
	v_and_b32_e32 v2, 0x7f800000, v0
	v_cmp_ne_u32_e32 vcc, s41, v2
                                        ; implicit-def: $agpr0
	s_and_saveexec_b64 s[30:31], vcc
	s_xor_b64 vcc, exec, s[30:31]
; %bb.833:                              ;   in Loop: Header=BB386_13 Depth=1
	v_bfe_u32 v2, v0, 16, 1
	v_add3_u32 v0, v0, v2, s42
	v_accvgpr_write_b32 a0, v0
                                        ; implicit-def: $vgpr0
; %bb.834:                              ;   in Loop: Header=BB386_13 Depth=1
	s_andn2_saveexec_b64 s[30:31], vcc
; %bb.835:                              ;   in Loop: Header=BB386_13 Depth=1
	v_or_b32_e32 v2, 0x10000, v0
	v_cmp_eq_u32_sdwa vcc, v0, v62 src0_sel:WORD_0 src1_sel:DWORD
	v_cndmask_b32_e32 v0, v2, v0, vcc
	v_accvgpr_write_b32 a0, v0
; %bb.836:                              ;   in Loop: Header=BB386_13 Depth=1
	s_or_b64 exec, exec, s[30:31]
	v_lshrrev_b32_e32 v60, 16, v58
	v_cmp_ne_u16_sdwa vcc, v60, v62 src0_sel:BYTE_0 src1_sel:DWORD
	v_mov_b32_e32 v0, 0
	s_and_saveexec_b64 s[30:31], vcc
	s_cbranch_execz .LBB386_842
; %bb.837:                              ;   in Loop: Header=BB386_13 Depth=1
	v_cmp_ne_u16_sdwa vcc, v60, s39 src0_sel:BYTE_0 src1_sel:DWORD
	v_bfrev_b32_e32 v0, 1
	s_and_saveexec_b64 s[34:35], vcc
	s_cbranch_execz .LBB386_841
; %bb.838:                              ;   in Loop: Header=BB386_13 Depth=1
	v_bfe_u32 v2, v58, 16, 7
	v_cmp_ne_u32_e32 vcc, s40, v2
	v_mov_b32_e32 v0, 0x7f800001
	s_and_saveexec_b64 s[36:37], vcc
	s_cbranch_execz .LBB386_840
; %bb.839:                              ;   in Loop: Header=BB386_13 Depth=1
	v_and_b32_e32 v0, 7, v60
	v_lshrrev_b32_e32 v5, 3, v2
	v_cmp_gt_u32_e32 vcc, 8, v2
	v_ffbh_u32_e32 v2, v0
	v_min_u32_e32 v2, 32, v2
	v_subrev_u32_e32 v12, 28, v2
	v_lshlrev_b64 v[14:15], v12, v[60:61]
	v_sub_u32_e32 v2, 29, v2
	v_and_b32_e32 v12, 7, v14
	v_cndmask_b32_e32 v2, v5, v2, vcc
	v_cndmask_b32_e32 v0, v0, v12, vcc
	v_lshlrev_b32_e32 v5, 24, v60
	v_bfrev_b32_e32 v1, 60
	v_lshlrev_b32_e32 v0, 20, v0
	v_and_b32_e32 v5, 0x80000000, v5
	v_lshl_add_u32 v2, v2, 23, v1
	v_or3_b32 v0, v5, v2, v0
.LBB386_840:                            ;   in Loop: Header=BB386_13 Depth=1
	s_or_b64 exec, exec, s[36:37]
.LBB386_841:                            ;   in Loop: Header=BB386_13 Depth=1
	s_or_b64 exec, exec, s[34:35]
.LBB386_842:                            ;   in Loop: Header=BB386_13 Depth=1
	s_or_b64 exec, exec, s[30:31]
	v_mul_f32_e32 v2, v3, v0
	v_and_b32_e32 v0, 0x7f800000, v2
	v_cmp_ne_u32_e32 vcc, s41, v0
                                        ; implicit-def: $agpr14
	s_and_saveexec_b64 s[30:31], vcc
	s_xor_b64 vcc, exec, s[30:31]
; %bb.843:                              ;   in Loop: Header=BB386_13 Depth=1
	v_bfe_u32 v0, v2, 16, 1
	v_add3_u32 v0, v2, v0, s42
	v_accvgpr_write_b32 a14, v0
                                        ; implicit-def: $vgpr2
; %bb.844:                              ;   in Loop: Header=BB386_13 Depth=1
	s_andn2_saveexec_b64 s[30:31], vcc
; %bb.845:                              ;   in Loop: Header=BB386_13 Depth=1
	v_or_b32_e32 v0, 0x10000, v2
	v_cmp_eq_u32_sdwa vcc, v2, v62 src0_sel:WORD_0 src1_sel:DWORD
	v_cndmask_b32_e32 v0, v0, v2, vcc
	v_accvgpr_write_b32 a14, v0
; %bb.846:                              ;   in Loop: Header=BB386_13 Depth=1
	s_or_b64 exec, exec, s[30:31]
	v_cmp_lt_u32_e32 vcc, s43, v58
	v_mov_b32_e32 v2, 0
	s_and_saveexec_b64 s[30:31], vcc
	s_cbranch_execz .LBB386_852
; %bb.847:                              ;   in Loop: Header=BB386_13 Depth=1
	v_lshrrev_b32_e32 v60, 24, v58
	v_cmp_ne_u32_e32 vcc, s39, v60
	v_bfrev_b32_e32 v2, 1
	s_and_saveexec_b64 s[34:35], vcc
	s_cbranch_execz .LBB386_851
; %bb.848:                              ;   in Loop: Header=BB386_13 Depth=1
	v_bfe_u32 v5, v58, 24, 7
	v_cmp_ne_u32_e32 vcc, s40, v5
	v_mov_b32_e32 v2, 0x7f800001
	s_and_saveexec_b64 s[36:37], vcc
	s_cbranch_execz .LBB386_850
; %bb.849:                              ;   in Loop: Header=BB386_13 Depth=1
	v_and_b32_e32 v2, 7, v60
	v_lshrrev_b32_e32 v12, 3, v5
	v_cmp_gt_u32_e32 vcc, 8, v5
	v_ffbh_u32_e32 v5, v2
	v_min_u32_e32 v5, 32, v5
	v_subrev_u32_e32 v14, 28, v5
	v_lshlrev_b64 v[14:15], v14, v[60:61]
	v_sub_u32_e32 v5, 29, v5
	v_and_b32_e32 v14, 7, v14
	v_cndmask_b32_e32 v5, v12, v5, vcc
	v_cndmask_b32_e32 v2, v2, v14, vcc
	v_lshlrev_b32_e32 v12, 24, v60
	v_bfrev_b32_e32 v0, 60
	v_lshlrev_b32_e32 v2, 20, v2
	v_and_b32_e32 v12, 0x80000000, v12
	v_lshl_add_u32 v5, v5, 23, v0
	v_or3_b32 v2, v12, v5, v2
.LBB386_850:                            ;   in Loop: Header=BB386_13 Depth=1
	s_or_b64 exec, exec, s[36:37]
.LBB386_851:                            ;   in Loop: Header=BB386_13 Depth=1
	s_or_b64 exec, exec, s[34:35]
.LBB386_852:                            ;   in Loop: Header=BB386_13 Depth=1
	s_or_b64 exec, exec, s[30:31]
	v_mul_f32_e32 v5, v3, v2
	v_and_b32_e32 v2, 0x7f800000, v5
	v_cmp_ne_u32_e32 vcc, s41, v2
                                        ; implicit-def: $agpr22
	s_and_saveexec_b64 s[30:31], vcc
	s_xor_b64 vcc, exec, s[30:31]
; %bb.853:                              ;   in Loop: Header=BB386_13 Depth=1
	v_bfe_u32 v2, v5, 16, 1
	v_add3_u32 v0, v5, v2, s42
	v_accvgpr_write_b32 a22, v0
                                        ; implicit-def: $vgpr5
; %bb.854:                              ;   in Loop: Header=BB386_13 Depth=1
	s_andn2_saveexec_b64 s[30:31], vcc
; %bb.855:                              ;   in Loop: Header=BB386_13 Depth=1
	v_or_b32_e32 v2, 0x10000, v5
	v_cmp_eq_u32_sdwa vcc, v5, v62 src0_sel:WORD_0 src1_sel:DWORD
	v_cndmask_b32_e32 v0, v2, v5, vcc
	v_accvgpr_write_b32 a22, v0
; %bb.856:                              ;   in Loop: Header=BB386_13 Depth=1
	s_or_b64 exec, exec, s[30:31]
	v_add_co_u32_e32 v14, vcc, 0x1400, v56
	v_addc_co_u32_e32 v15, vcc, 0, v57, vcc
	flat_load_dword v58, v[14:15] offset:8
	v_mov_b32_e32 v5, 0
	s_waitcnt vmcnt(0) lgkmcnt(0)
	v_cmp_ne_u16_sdwa vcc, v58, v62 src0_sel:BYTE_0 src1_sel:DWORD
	s_and_saveexec_b64 s[30:31], vcc
	s_cbranch_execz .LBB386_862
; %bb.857:                              ;   in Loop: Header=BB386_13 Depth=1
	v_cmp_ne_u16_sdwa vcc, v58, s39 src0_sel:BYTE_0 src1_sel:DWORD
	v_bfrev_b32_e32 v5, 1
	s_and_saveexec_b64 s[34:35], vcc
	s_cbranch_execz .LBB386_861
; %bb.858:                              ;   in Loop: Header=BB386_13 Depth=1
	v_and_b32_e32 v12, 0x7f, v58
	v_cmp_ne_u32_e32 vcc, s40, v12
	v_mov_b32_e32 v5, 0x7f800001
	s_and_saveexec_b64 s[36:37], vcc
	s_cbranch_execz .LBB386_860
; %bb.859:                              ;   in Loop: Header=BB386_13 Depth=1
	v_and_b32_e32 v5, 7, v58
	v_lshrrev_b32_e32 v20, 3, v12
	v_cmp_gt_u32_e32 vcc, 8, v12
	v_ffbh_u32_e32 v12, v5
	v_min_u32_e32 v12, 32, v12
	v_subrev_u32_e32 v14, 28, v12
	v_lshlrev_b64 v[14:15], v14, v[58:59]
	v_sub_u32_e32 v12, 29, v12
	v_and_b32_e32 v14, 7, v14
	v_cndmask_b32_e32 v12, v20, v12, vcc
	v_cndmask_b32_e32 v5, v5, v14, vcc
	v_lshlrev_b32_e32 v14, 24, v58
	v_bfrev_b32_e32 v0, 60
	v_lshlrev_b32_e32 v5, 20, v5
	v_and_b32_e32 v14, 0x80000000, v14
	v_lshl_add_u32 v12, v12, 23, v0
	v_or3_b32 v5, v14, v12, v5
.LBB386_860:                            ;   in Loop: Header=BB386_13 Depth=1
	s_or_b64 exec, exec, s[36:37]
.LBB386_861:                            ;   in Loop: Header=BB386_13 Depth=1
	s_or_b64 exec, exec, s[34:35]
.LBB386_862:                            ;   in Loop: Header=BB386_13 Depth=1
	s_or_b64 exec, exec, s[30:31]
	v_mul_f32_e32 v5, v3, v5
	v_and_b32_e32 v12, 0x7f800000, v5
	v_cmp_ne_u32_e32 vcc, s41, v12
                                        ; implicit-def: $agpr6
	s_and_saveexec_b64 s[30:31], vcc
	s_xor_b64 vcc, exec, s[30:31]
; %bb.863:                              ;   in Loop: Header=BB386_13 Depth=1
	v_bfe_u32 v12, v5, 16, 1
	v_add3_u32 v0, v5, v12, s42
	v_accvgpr_write_b32 a6, v0
                                        ; implicit-def: $vgpr5
; %bb.864:                              ;   in Loop: Header=BB386_13 Depth=1
	s_andn2_saveexec_b64 s[30:31], vcc
; %bb.865:                              ;   in Loop: Header=BB386_13 Depth=1
	v_or_b32_e32 v12, 0x10000, v5
	v_cmp_eq_u32_sdwa vcc, v5, v62 src0_sel:WORD_0 src1_sel:DWORD
	v_cndmask_b32_e32 v0, v12, v5, vcc
	v_accvgpr_write_b32 a6, v0
; %bb.866:                              ;   in Loop: Header=BB386_13 Depth=1
	s_or_b64 exec, exec, s[30:31]
	v_lshrrev_b16_e32 v60, 8, v58
	v_cmp_ne_u16_e32 vcc, 0, v60
	v_mov_b32_e32 v5, 0
	s_and_saveexec_b64 s[30:31], vcc
	s_cbranch_execz .LBB386_872
; %bb.867:                              ;   in Loop: Header=BB386_13 Depth=1
	v_cmp_ne_u16_e32 vcc, s39, v60
	v_bfrev_b32_e32 v5, 1
	s_and_saveexec_b64 s[34:35], vcc
	s_cbranch_execz .LBB386_871
; %bb.868:                              ;   in Loop: Header=BB386_13 Depth=1
	v_and_b32_e32 v12, 0x7f, v60
	v_cmp_ne_u32_e32 vcc, s40, v12
	v_mov_b32_e32 v5, 0x7f800001
	s_and_saveexec_b64 s[36:37], vcc
	s_cbranch_execz .LBB386_870
; %bb.869:                              ;   in Loop: Header=BB386_13 Depth=1
	v_and_b32_e32 v5, 7, v60
	v_lshrrev_b32_e32 v21, 3, v12
	v_cmp_gt_u32_e32 vcc, 8, v12
	v_ffbh_u32_e32 v12, v5
	v_min_u32_e32 v12, 32, v12
	v_subrev_u32_e32 v14, 28, v12
	v_lshlrev_b64 v[14:15], v14, v[60:61]
	v_sub_u32_e32 v12, 29, v12
	v_and_b32_e32 v14, 7, v14
	v_cndmask_b32_e32 v12, v21, v12, vcc
	v_cndmask_b32_e32 v5, v5, v14, vcc
	v_lshlrev_b32_e32 v14, 16, v58
	v_bfrev_b32_e32 v0, 60
	v_lshlrev_b32_e32 v5, 20, v5
	v_and_b32_e32 v14, 0x80000000, v14
	v_lshl_add_u32 v12, v12, 23, v0
	v_or3_b32 v5, v14, v12, v5
.LBB386_870:                            ;   in Loop: Header=BB386_13 Depth=1
	s_or_b64 exec, exec, s[36:37]
.LBB386_871:                            ;   in Loop: Header=BB386_13 Depth=1
	s_or_b64 exec, exec, s[34:35]
.LBB386_872:                            ;   in Loop: Header=BB386_13 Depth=1
	s_or_b64 exec, exec, s[30:31]
	v_mul_f32_e32 v5, v3, v5
	v_and_b32_e32 v12, 0x7f800000, v5
	v_cmp_ne_u32_e32 vcc, s41, v12
                                        ; implicit-def: $agpr19
	s_and_saveexec_b64 s[30:31], vcc
	s_xor_b64 vcc, exec, s[30:31]
; %bb.873:                              ;   in Loop: Header=BB386_13 Depth=1
	v_bfe_u32 v12, v5, 16, 1
	v_add3_u32 v0, v5, v12, s42
	v_accvgpr_write_b32 a19, v0
                                        ; implicit-def: $vgpr5
; %bb.874:                              ;   in Loop: Header=BB386_13 Depth=1
	s_andn2_saveexec_b64 s[30:31], vcc
; %bb.875:                              ;   in Loop: Header=BB386_13 Depth=1
	v_or_b32_e32 v12, 0x10000, v5
	v_cmp_eq_u32_sdwa vcc, v5, v62 src0_sel:WORD_0 src1_sel:DWORD
	v_cndmask_b32_e32 v0, v12, v5, vcc
	v_accvgpr_write_b32 a19, v0
; %bb.876:                              ;   in Loop: Header=BB386_13 Depth=1
	s_or_b64 exec, exec, s[30:31]
	v_lshrrev_b32_e32 v60, 16, v58
	v_cmp_ne_u16_sdwa vcc, v60, v62 src0_sel:BYTE_0 src1_sel:DWORD
	v_mov_b32_e32 v5, 0
	s_and_saveexec_b64 s[30:31], vcc
	s_cbranch_execz .LBB386_882
; %bb.877:                              ;   in Loop: Header=BB386_13 Depth=1
	v_cmp_ne_u16_sdwa vcc, v60, s39 src0_sel:BYTE_0 src1_sel:DWORD
	v_bfrev_b32_e32 v5, 1
	s_and_saveexec_b64 s[34:35], vcc
	s_cbranch_execz .LBB386_881
; %bb.878:                              ;   in Loop: Header=BB386_13 Depth=1
	v_bfe_u32 v12, v58, 16, 7
	v_cmp_ne_u32_e32 vcc, s40, v12
	v_mov_b32_e32 v5, 0x7f800001
	s_and_saveexec_b64 s[36:37], vcc
	s_cbranch_execz .LBB386_880
; %bb.879:                              ;   in Loop: Header=BB386_13 Depth=1
	v_and_b32_e32 v5, 7, v60
	v_lshrrev_b32_e32 v14, 3, v12
	v_cmp_gt_u32_e32 vcc, 8, v12
	v_ffbh_u32_e32 v12, v5
	v_min_u32_e32 v12, 32, v12
	v_subrev_u32_e32 v21, 28, v12
	v_lshlrev_b64 v[28:29], v21, v[60:61]
	v_sub_u32_e32 v12, 29, v12
	v_and_b32_e32 v21, 7, v28
	v_cndmask_b32_e32 v12, v14, v12, vcc
	v_cndmask_b32_e32 v5, v5, v21, vcc
	v_lshlrev_b32_e32 v14, 24, v60
	v_bfrev_b32_e32 v0, 60
	v_lshlrev_b32_e32 v5, 20, v5
	v_and_b32_e32 v14, 0x80000000, v14
	v_lshl_add_u32 v12, v12, 23, v0
	v_or3_b32 v5, v14, v12, v5
.LBB386_880:                            ;   in Loop: Header=BB386_13 Depth=1
	s_or_b64 exec, exec, s[36:37]
.LBB386_881:                            ;   in Loop: Header=BB386_13 Depth=1
	s_or_b64 exec, exec, s[34:35]
.LBB386_882:                            ;   in Loop: Header=BB386_13 Depth=1
	s_or_b64 exec, exec, s[30:31]
	v_mul_f32_e32 v5, v3, v5
	v_and_b32_e32 v12, 0x7f800000, v5
	v_cmp_ne_u32_e32 vcc, s41, v12
                                        ; implicit-def: $agpr23
	s_and_saveexec_b64 s[30:31], vcc
	s_xor_b64 vcc, exec, s[30:31]
; %bb.883:                              ;   in Loop: Header=BB386_13 Depth=1
	v_bfe_u32 v12, v5, 16, 1
	v_add3_u32 v0, v5, v12, s42
	v_accvgpr_write_b32 a23, v0
                                        ; implicit-def: $vgpr5
; %bb.884:                              ;   in Loop: Header=BB386_13 Depth=1
	s_andn2_saveexec_b64 s[30:31], vcc
; %bb.885:                              ;   in Loop: Header=BB386_13 Depth=1
	v_or_b32_e32 v12, 0x10000, v5
	v_cmp_eq_u32_sdwa vcc, v5, v62 src0_sel:WORD_0 src1_sel:DWORD
	v_cndmask_b32_e32 v0, v12, v5, vcc
	v_accvgpr_write_b32 a23, v0
; %bb.886:                              ;   in Loop: Header=BB386_13 Depth=1
	s_or_b64 exec, exec, s[30:31]
	v_cmp_lt_u32_e32 vcc, s43, v58
	v_mov_b32_e32 v5, 0
	s_and_saveexec_b64 s[30:31], vcc
	s_cbranch_execz .LBB386_892
; %bb.887:                              ;   in Loop: Header=BB386_13 Depth=1
	v_lshrrev_b32_e32 v60, 24, v58
	v_cmp_ne_u32_e32 vcc, s39, v60
	v_bfrev_b32_e32 v5, 1
	s_and_saveexec_b64 s[34:35], vcc
	s_cbranch_execz .LBB386_891
; %bb.888:                              ;   in Loop: Header=BB386_13 Depth=1
	v_bfe_u32 v12, v58, 24, 7
	v_cmp_ne_u32_e32 vcc, s40, v12
	v_mov_b32_e32 v5, 0x7f800001
	s_and_saveexec_b64 s[36:37], vcc
	s_cbranch_execz .LBB386_890
; %bb.889:                              ;   in Loop: Header=BB386_13 Depth=1
	v_and_b32_e32 v5, 7, v60
	v_lshrrev_b32_e32 v21, 3, v12
	v_cmp_gt_u32_e32 vcc, 8, v12
	v_ffbh_u32_e32 v12, v5
	v_min_u32_e32 v12, 32, v12
	v_subrev_u32_e32 v23, 28, v12
	v_lshlrev_b64 v[28:29], v23, v[60:61]
	v_sub_u32_e32 v12, 29, v12
	v_and_b32_e32 v23, 7, v28
	v_cndmask_b32_e32 v12, v21, v12, vcc
	v_cndmask_b32_e32 v5, v5, v23, vcc
	v_lshlrev_b32_e32 v21, 24, v60
	v_bfrev_b32_e32 v0, 60
	v_lshlrev_b32_e32 v5, 20, v5
	v_and_b32_e32 v21, 0x80000000, v21
	v_lshl_add_u32 v12, v12, 23, v0
	v_or3_b32 v5, v21, v12, v5
.LBB386_890:                            ;   in Loop: Header=BB386_13 Depth=1
	s_or_b64 exec, exec, s[36:37]
.LBB386_891:                            ;   in Loop: Header=BB386_13 Depth=1
	s_or_b64 exec, exec, s[34:35]
.LBB386_892:                            ;   in Loop: Header=BB386_13 Depth=1
	s_or_b64 exec, exec, s[30:31]
	v_mul_f32_e32 v5, v3, v5
	v_and_b32_e32 v12, 0x7f800000, v5
	v_cmp_ne_u32_e32 vcc, s41, v12
                                        ; implicit-def: $agpr20
	s_and_saveexec_b64 s[30:31], vcc
	s_xor_b64 vcc, exec, s[30:31]
; %bb.893:                              ;   in Loop: Header=BB386_13 Depth=1
	v_bfe_u32 v12, v5, 16, 1
	v_add3_u32 v0, v5, v12, s42
	v_accvgpr_write_b32 a20, v0
                                        ; implicit-def: $vgpr5
; %bb.894:                              ;   in Loop: Header=BB386_13 Depth=1
	s_andn2_saveexec_b64 s[30:31], vcc
; %bb.895:                              ;   in Loop: Header=BB386_13 Depth=1
	v_or_b32_e32 v12, 0x10000, v5
	v_cmp_eq_u32_sdwa vcc, v5, v62 src0_sel:WORD_0 src1_sel:DWORD
	v_cndmask_b32_e32 v0, v12, v5, vcc
	v_accvgpr_write_b32 a20, v0
; %bb.896:                              ;   in Loop: Header=BB386_13 Depth=1
	s_or_b64 exec, exec, s[30:31]
	v_add_co_u32_e32 v28, vcc, 0x1000, v56
	v_addc_co_u32_e32 v29, vcc, 0, v57, vcc
	flat_load_dword v58, v[28:29] offset:1536
	v_mov_b32_e32 v5, 0
	s_waitcnt vmcnt(0) lgkmcnt(0)
	v_cmp_ne_u16_sdwa vcc, v58, v62 src0_sel:BYTE_0 src1_sel:DWORD
	s_and_saveexec_b64 s[30:31], vcc
	s_cbranch_execz .LBB386_902
; %bb.897:                              ;   in Loop: Header=BB386_13 Depth=1
	v_cmp_ne_u16_sdwa vcc, v58, s39 src0_sel:BYTE_0 src1_sel:DWORD
	v_bfrev_b32_e32 v5, 1
	s_and_saveexec_b64 s[34:35], vcc
	s_cbranch_execz .LBB386_901
; %bb.898:                              ;   in Loop: Header=BB386_13 Depth=1
	v_and_b32_e32 v12, 0x7f, v58
	v_cmp_ne_u32_e32 vcc, s40, v12
	v_mov_b32_e32 v5, 0x7f800001
	s_and_saveexec_b64 s[36:37], vcc
	s_cbranch_execz .LBB386_900
; %bb.899:                              ;   in Loop: Header=BB386_13 Depth=1
	v_and_b32_e32 v5, 7, v58
	v_lshrrev_b32_e32 v21, 3, v12
	v_cmp_gt_u32_e32 vcc, 8, v12
	v_ffbh_u32_e32 v12, v5
	v_min_u32_e32 v12, 32, v12
	v_subrev_u32_e32 v23, 28, v12
	v_lshlrev_b64 v[28:29], v23, v[58:59]
	v_sub_u32_e32 v12, 29, v12
	v_and_b32_e32 v23, 7, v28
	v_cndmask_b32_e32 v12, v21, v12, vcc
	v_cndmask_b32_e32 v5, v5, v23, vcc
	v_lshlrev_b32_e32 v21, 24, v58
	v_bfrev_b32_e32 v0, 60
	v_lshlrev_b32_e32 v5, 20, v5
	v_and_b32_e32 v21, 0x80000000, v21
	v_lshl_add_u32 v12, v12, 23, v0
	v_or3_b32 v5, v21, v12, v5
.LBB386_900:                            ;   in Loop: Header=BB386_13 Depth=1
	s_or_b64 exec, exec, s[36:37]
.LBB386_901:                            ;   in Loop: Header=BB386_13 Depth=1
	s_or_b64 exec, exec, s[34:35]
.LBB386_902:                            ;   in Loop: Header=BB386_13 Depth=1
	s_or_b64 exec, exec, s[30:31]
	v_mul_f32_e32 v5, v3, v5
	v_and_b32_e32 v12, 0x7f800000, v5
	v_cmp_ne_u32_e32 vcc, s41, v12
                                        ; implicit-def: $agpr21
	s_and_saveexec_b64 s[30:31], vcc
	s_xor_b64 vcc, exec, s[30:31]
; %bb.903:                              ;   in Loop: Header=BB386_13 Depth=1
	v_bfe_u32 v12, v5, 16, 1
	v_add3_u32 v0, v5, v12, s42
	v_accvgpr_write_b32 a21, v0
                                        ; implicit-def: $vgpr5
; %bb.904:                              ;   in Loop: Header=BB386_13 Depth=1
	s_andn2_saveexec_b64 s[30:31], vcc
; %bb.905:                              ;   in Loop: Header=BB386_13 Depth=1
	v_or_b32_e32 v12, 0x10000, v5
	v_cmp_eq_u32_sdwa vcc, v5, v62 src0_sel:WORD_0 src1_sel:DWORD
	v_cndmask_b32_e32 v0, v12, v5, vcc
	v_accvgpr_write_b32 a21, v0
; %bb.906:                              ;   in Loop: Header=BB386_13 Depth=1
	s_or_b64 exec, exec, s[30:31]
	v_lshrrev_b16_e32 v60, 8, v58
	v_cmp_ne_u16_e32 vcc, 0, v60
	v_mov_b32_e32 v5, 0
	s_and_saveexec_b64 s[30:31], vcc
	s_cbranch_execz .LBB386_912
; %bb.907:                              ;   in Loop: Header=BB386_13 Depth=1
	v_cmp_ne_u16_e32 vcc, s39, v60
	v_bfrev_b32_e32 v5, 1
	s_and_saveexec_b64 s[34:35], vcc
	s_cbranch_execz .LBB386_911
; %bb.908:                              ;   in Loop: Header=BB386_13 Depth=1
	v_and_b32_e32 v21, 0x7f, v60
	v_cmp_ne_u32_e32 vcc, s40, v21
	v_mov_b32_e32 v5, 0x7f800001
	s_and_saveexec_b64 s[36:37], vcc
	s_cbranch_execz .LBB386_910
; %bb.909:                              ;   in Loop: Header=BB386_13 Depth=1
	v_and_b32_e32 v5, 7, v60
	v_lshrrev_b32_e32 v23, 3, v21
	v_cmp_gt_u32_e32 vcc, 8, v21
	v_ffbh_u32_e32 v21, v5
	v_min_u32_e32 v21, 32, v21
	v_subrev_u32_e32 v28, 28, v21
	v_lshlrev_b64 v[28:29], v28, v[60:61]
	v_sub_u32_e32 v21, 29, v21
	v_and_b32_e32 v28, 7, v28
	v_cndmask_b32_e32 v21, v23, v21, vcc
	v_cndmask_b32_e32 v5, v5, v28, vcc
	v_lshlrev_b32_e32 v23, 16, v58
	v_bfrev_b32_e32 v0, 60
	v_lshlrev_b32_e32 v5, 20, v5
	v_and_b32_e32 v23, 0x80000000, v23
	v_lshl_add_u32 v21, v21, 23, v0
	v_or3_b32 v5, v23, v21, v5
.LBB386_910:                            ;   in Loop: Header=BB386_13 Depth=1
	s_or_b64 exec, exec, s[36:37]
.LBB386_911:                            ;   in Loop: Header=BB386_13 Depth=1
	s_or_b64 exec, exec, s[34:35]
.LBB386_912:                            ;   in Loop: Header=BB386_13 Depth=1
	s_or_b64 exec, exec, s[30:31]
	v_mul_f32_e32 v21, v3, v5
	v_and_b32_e32 v5, 0x7f800000, v21
	v_cmp_ne_u32_e32 vcc, s41, v5
                                        ; implicit-def: $agpr18
	s_and_saveexec_b64 s[30:31], vcc
	s_xor_b64 vcc, exec, s[30:31]
; %bb.913:                              ;   in Loop: Header=BB386_13 Depth=1
	v_bfe_u32 v5, v21, 16, 1
	v_add3_u32 v0, v21, v5, s42
	v_accvgpr_write_b32 a18, v0
                                        ; implicit-def: $vgpr21
; %bb.914:                              ;   in Loop: Header=BB386_13 Depth=1
	s_andn2_saveexec_b64 s[30:31], vcc
; %bb.915:                              ;   in Loop: Header=BB386_13 Depth=1
	v_or_b32_e32 v5, 0x10000, v21
	v_cmp_eq_u32_sdwa vcc, v21, v62 src0_sel:WORD_0 src1_sel:DWORD
	v_cndmask_b32_e32 v0, v5, v21, vcc
	v_accvgpr_write_b32 a18, v0
; %bb.916:                              ;   in Loop: Header=BB386_13 Depth=1
	s_or_b64 exec, exec, s[30:31]
	v_lshrrev_b32_e32 v60, 16, v58
	v_cmp_ne_u16_sdwa vcc, v60, v62 src0_sel:BYTE_0 src1_sel:DWORD
	v_mov_b32_e32 v21, 0
	s_and_saveexec_b64 s[30:31], vcc
	s_cbranch_execz .LBB386_922
; %bb.917:                              ;   in Loop: Header=BB386_13 Depth=1
	v_cmp_ne_u16_sdwa vcc, v60, s39 src0_sel:BYTE_0 src1_sel:DWORD
	v_bfrev_b32_e32 v21, 1
	s_and_saveexec_b64 s[34:35], vcc
	s_cbranch_execz .LBB386_921
; %bb.918:                              ;   in Loop: Header=BB386_13 Depth=1
	v_bfe_u32 v23, v58, 16, 7
	v_cmp_ne_u32_e32 vcc, s40, v23
	v_mov_b32_e32 v21, 0x7f800001
	s_and_saveexec_b64 s[36:37], vcc
	s_cbranch_execz .LBB386_920
; %bb.919:                              ;   in Loop: Header=BB386_13 Depth=1
	v_and_b32_e32 v21, 7, v60
	v_lshrrev_b32_e32 v30, 3, v23
	v_cmp_gt_u32_e32 vcc, 8, v23
	v_ffbh_u32_e32 v23, v21
	v_min_u32_e32 v23, 32, v23
	v_subrev_u32_e32 v28, 28, v23
	v_lshlrev_b64 v[28:29], v28, v[60:61]
	v_sub_u32_e32 v23, 29, v23
	v_and_b32_e32 v28, 7, v28
	v_cndmask_b32_e32 v23, v30, v23, vcc
	v_cndmask_b32_e32 v21, v21, v28, vcc
	v_lshlrev_b32_e32 v28, 24, v60
	v_bfrev_b32_e32 v0, 60
	v_lshlrev_b32_e32 v21, 20, v21
	v_and_b32_e32 v28, 0x80000000, v28
	v_lshl_add_u32 v23, v23, 23, v0
	v_or3_b32 v21, v28, v23, v21
.LBB386_920:                            ;   in Loop: Header=BB386_13 Depth=1
	s_or_b64 exec, exec, s[36:37]
.LBB386_921:                            ;   in Loop: Header=BB386_13 Depth=1
	s_or_b64 exec, exec, s[34:35]
.LBB386_922:                            ;   in Loop: Header=BB386_13 Depth=1
	s_or_b64 exec, exec, s[30:31]
	v_mul_f32_e32 v21, v3, v21
	v_and_b32_e32 v23, 0x7f800000, v21
	v_cmp_ne_u32_e32 vcc, s41, v23
                                        ; implicit-def: $agpr39
	s_and_saveexec_b64 s[30:31], vcc
	s_xor_b64 vcc, exec, s[30:31]
; %bb.923:                              ;   in Loop: Header=BB386_13 Depth=1
	v_bfe_u32 v23, v21, 16, 1
	v_add3_u32 v0, v21, v23, s42
	v_accvgpr_write_b32 a39, v0
                                        ; implicit-def: $vgpr21
; %bb.924:                              ;   in Loop: Header=BB386_13 Depth=1
	s_andn2_saveexec_b64 s[30:31], vcc
; %bb.925:                              ;   in Loop: Header=BB386_13 Depth=1
	v_or_b32_e32 v23, 0x10000, v21
	v_cmp_eq_u32_sdwa vcc, v21, v62 src0_sel:WORD_0 src1_sel:DWORD
	v_cndmask_b32_e32 v0, v23, v21, vcc
	v_accvgpr_write_b32 a39, v0
; %bb.926:                              ;   in Loop: Header=BB386_13 Depth=1
	s_or_b64 exec, exec, s[30:31]
	v_cmp_lt_u32_e32 vcc, s43, v58
	v_mov_b32_e32 v21, 0
	s_and_saveexec_b64 s[30:31], vcc
	s_cbranch_execz .LBB386_932
; %bb.927:                              ;   in Loop: Header=BB386_13 Depth=1
	v_lshrrev_b32_e32 v60, 24, v58
	v_cmp_ne_u32_e32 vcc, s39, v60
	v_bfrev_b32_e32 v21, 1
	s_and_saveexec_b64 s[34:35], vcc
	s_cbranch_execz .LBB386_931
; %bb.928:                              ;   in Loop: Header=BB386_13 Depth=1
	v_bfe_u32 v23, v58, 24, 7
	v_cmp_ne_u32_e32 vcc, s40, v23
	v_mov_b32_e32 v21, 0x7f800001
	s_and_saveexec_b64 s[36:37], vcc
	s_cbranch_execz .LBB386_930
; %bb.929:                              ;   in Loop: Header=BB386_13 Depth=1
	v_and_b32_e32 v21, 7, v60
	v_lshrrev_b32_e32 v29, 3, v23
	v_cmp_gt_u32_e32 vcc, 8, v23
	v_ffbh_u32_e32 v23, v21
	v_min_u32_e32 v23, 32, v23
	v_subrev_u32_e32 v30, 28, v23
	v_lshlrev_b64 v[40:41], v30, v[60:61]
	v_sub_u32_e32 v23, 29, v23
	v_and_b32_e32 v30, 7, v40
	v_cndmask_b32_e32 v23, v29, v23, vcc
	v_cndmask_b32_e32 v21, v21, v30, vcc
	v_lshlrev_b32_e32 v29, 24, v60
	v_bfrev_b32_e32 v0, 60
	v_lshlrev_b32_e32 v21, 20, v21
	v_and_b32_e32 v29, 0x80000000, v29
	v_lshl_add_u32 v23, v23, 23, v0
	v_or3_b32 v21, v29, v23, v21
.LBB386_930:                            ;   in Loop: Header=BB386_13 Depth=1
	s_or_b64 exec, exec, s[36:37]
.LBB386_931:                            ;   in Loop: Header=BB386_13 Depth=1
	s_or_b64 exec, exec, s[34:35]
.LBB386_932:                            ;   in Loop: Header=BB386_13 Depth=1
	s_or_b64 exec, exec, s[30:31]
	v_mul_f32_e32 v21, v3, v21
	v_and_b32_e32 v23, 0x7f800000, v21
	v_cmp_ne_u32_e32 vcc, s41, v23
                                        ; implicit-def: $vgpr29
	s_and_saveexec_b64 s[30:31], vcc
	s_xor_b64 vcc, exec, s[30:31]
; %bb.933:                              ;   in Loop: Header=BB386_13 Depth=1
	v_bfe_u32 v23, v21, 16, 1
	v_add3_u32 v29, v21, v23, s42
                                        ; implicit-def: $vgpr21
; %bb.934:                              ;   in Loop: Header=BB386_13 Depth=1
	s_andn2_saveexec_b64 s[30:31], vcc
; %bb.935:                              ;   in Loop: Header=BB386_13 Depth=1
	v_or_b32_e32 v23, 0x10000, v21
	v_cmp_eq_u32_sdwa vcc, v21, v62 src0_sel:WORD_0 src1_sel:DWORD
	v_cndmask_b32_e32 v29, v23, v21, vcc
; %bb.936:                              ;   in Loop: Header=BB386_13 Depth=1
	s_or_b64 exec, exec, s[30:31]
	v_add_co_u32_e32 v40, vcc, 0x1600, v56
	v_addc_co_u32_e32 v41, vcc, 0, v57, vcc
	flat_load_dword v56, v[40:41] offset:8
	v_mov_b32_e32 v21, 0
	s_waitcnt vmcnt(0) lgkmcnt(0)
	v_cmp_ne_u16_sdwa vcc, v56, v62 src0_sel:BYTE_0 src1_sel:DWORD
	s_and_saveexec_b64 s[30:31], vcc
	s_cbranch_execz .LBB386_942
; %bb.937:                              ;   in Loop: Header=BB386_13 Depth=1
	v_cmp_ne_u16_sdwa vcc, v56, s39 src0_sel:BYTE_0 src1_sel:DWORD
	v_bfrev_b32_e32 v21, 1
	s_and_saveexec_b64 s[34:35], vcc
	s_cbranch_execz .LBB386_941
; %bb.938:                              ;   in Loop: Header=BB386_13 Depth=1
	v_and_b32_e32 v23, 0x7f, v56
	v_cmp_ne_u32_e32 vcc, s40, v23
	v_mov_b32_e32 v21, 0x7f800001
	s_and_saveexec_b64 s[36:37], vcc
	s_cbranch_execz .LBB386_940
; %bb.939:                              ;   in Loop: Header=BB386_13 Depth=1
	v_and_b32_e32 v21, 7, v56
	v_lshrrev_b32_e32 v30, 3, v23
	v_cmp_gt_u32_e32 vcc, 8, v23
	v_ffbh_u32_e32 v23, v21
	v_min_u32_e32 v23, 32, v23
	v_subrev_u32_e32 v40, 28, v23
	v_lshlrev_b64 v[40:41], v40, v[56:57]
	v_sub_u32_e32 v23, 29, v23
	v_and_b32_e32 v40, 7, v40
	v_cndmask_b32_e32 v23, v30, v23, vcc
	v_cndmask_b32_e32 v21, v21, v40, vcc
	v_lshlrev_b32_e32 v30, 24, v56
	v_bfrev_b32_e32 v0, 60
	v_lshlrev_b32_e32 v21, 20, v21
	v_and_b32_e32 v30, 0x80000000, v30
	v_lshl_add_u32 v23, v23, 23, v0
	v_or3_b32 v21, v30, v23, v21
.LBB386_940:                            ;   in Loop: Header=BB386_13 Depth=1
	s_or_b64 exec, exec, s[36:37]
.LBB386_941:                            ;   in Loop: Header=BB386_13 Depth=1
	s_or_b64 exec, exec, s[34:35]
.LBB386_942:                            ;   in Loop: Header=BB386_13 Depth=1
	s_or_b64 exec, exec, s[30:31]
	v_mul_f32_e32 v21, v3, v21
	v_and_b32_e32 v23, 0x7f800000, v21
	v_cmp_ne_u32_e32 vcc, s41, v23
                                        ; implicit-def: $vgpr57
	s_and_saveexec_b64 s[30:31], vcc
	s_xor_b64 vcc, exec, s[30:31]
; %bb.943:                              ;   in Loop: Header=BB386_13 Depth=1
	v_bfe_u32 v23, v21, 16, 1
	v_add3_u32 v57, v21, v23, s42
                                        ; implicit-def: $vgpr21
; %bb.944:                              ;   in Loop: Header=BB386_13 Depth=1
	s_andn2_saveexec_b64 s[30:31], vcc
; %bb.945:                              ;   in Loop: Header=BB386_13 Depth=1
	v_or_b32_e32 v23, 0x10000, v21
	v_cmp_eq_u32_sdwa vcc, v21, v62 src0_sel:WORD_0 src1_sel:DWORD
	v_cndmask_b32_e32 v57, v23, v21, vcc
; %bb.946:                              ;   in Loop: Header=BB386_13 Depth=1
	s_or_b64 exec, exec, s[30:31]
	v_lshrrev_b16_e32 v58, 8, v56
	v_cmp_ne_u16_e32 vcc, 0, v58
	v_mov_b32_e32 v21, 0
	s_and_saveexec_b64 s[30:31], vcc
	s_cbranch_execz .LBB386_952
; %bb.947:                              ;   in Loop: Header=BB386_13 Depth=1
	v_cmp_ne_u16_e32 vcc, s39, v58
	v_bfrev_b32_e32 v21, 1
	s_and_saveexec_b64 s[34:35], vcc
	s_cbranch_execz .LBB386_951
; %bb.948:                              ;   in Loop: Header=BB386_13 Depth=1
	v_and_b32_e32 v23, 0x7f, v58
	v_cmp_ne_u32_e32 vcc, s40, v23
	v_mov_b32_e32 v21, 0x7f800001
	s_and_saveexec_b64 s[36:37], vcc
	s_cbranch_execz .LBB386_950
; %bb.949:                              ;   in Loop: Header=BB386_13 Depth=1
	v_and_b32_e32 v21, 7, v58
	v_lshrrev_b32_e32 v30, 3, v23
	v_cmp_gt_u32_e32 vcc, 8, v23
	v_ffbh_u32_e32 v23, v21
	v_min_u32_e32 v23, 32, v23
	v_subrev_u32_e32 v40, 28, v23
	v_lshlrev_b64 v[40:41], v40, v[58:59]
	v_sub_u32_e32 v23, 29, v23
	v_and_b32_e32 v40, 7, v40
	v_cndmask_b32_e32 v23, v30, v23, vcc
	v_cndmask_b32_e32 v21, v21, v40, vcc
	v_lshlrev_b32_e32 v30, 16, v56
	v_bfrev_b32_e32 v0, 60
	v_lshlrev_b32_e32 v21, 20, v21
	v_and_b32_e32 v30, 0x80000000, v30
	v_lshl_add_u32 v23, v23, 23, v0
	v_or3_b32 v21, v30, v23, v21
.LBB386_950:                            ;   in Loop: Header=BB386_13 Depth=1
	s_or_b64 exec, exec, s[36:37]
.LBB386_951:                            ;   in Loop: Header=BB386_13 Depth=1
	s_or_b64 exec, exec, s[34:35]
.LBB386_952:                            ;   in Loop: Header=BB386_13 Depth=1
	s_or_b64 exec, exec, s[30:31]
	v_mul_f32_e32 v21, v3, v21
	v_and_b32_e32 v23, 0x7f800000, v21
	v_cmp_ne_u32_e32 vcc, s41, v23
                                        ; implicit-def: $vgpr30
	s_and_saveexec_b64 s[30:31], vcc
	s_xor_b64 vcc, exec, s[30:31]
; %bb.953:                              ;   in Loop: Header=BB386_13 Depth=1
	v_bfe_u32 v23, v21, 16, 1
	v_add3_u32 v30, v21, v23, s42
                                        ; implicit-def: $vgpr21
; %bb.954:                              ;   in Loop: Header=BB386_13 Depth=1
	s_andn2_saveexec_b64 s[30:31], vcc
; %bb.955:                              ;   in Loop: Header=BB386_13 Depth=1
	v_or_b32_e32 v23, 0x10000, v21
	v_cmp_eq_u32_sdwa vcc, v21, v62 src0_sel:WORD_0 src1_sel:DWORD
	v_cndmask_b32_e32 v30, v23, v21, vcc
; %bb.956:                              ;   in Loop: Header=BB386_13 Depth=1
	s_or_b64 exec, exec, s[30:31]
	v_lshrrev_b32_e32 v58, 16, v56
	v_cmp_ne_u16_sdwa vcc, v58, v62 src0_sel:BYTE_0 src1_sel:DWORD
	v_mov_b32_e32 v21, 0
	s_and_saveexec_b64 s[30:31], vcc
	s_cbranch_execz .LBB386_962
; %bb.957:                              ;   in Loop: Header=BB386_13 Depth=1
	v_cmp_ne_u16_sdwa vcc, v58, s39 src0_sel:BYTE_0 src1_sel:DWORD
	v_bfrev_b32_e32 v21, 1
	s_and_saveexec_b64 s[34:35], vcc
	s_cbranch_execz .LBB386_961
; %bb.958:                              ;   in Loop: Header=BB386_13 Depth=1
	v_bfe_u32 v23, v56, 16, 7
	v_cmp_ne_u32_e32 vcc, s40, v23
	v_mov_b32_e32 v21, 0x7f800001
	s_and_saveexec_b64 s[36:37], vcc
	s_cbranch_execz .LBB386_960
; %bb.959:                              ;   in Loop: Header=BB386_13 Depth=1
	v_and_b32_e32 v21, 7, v58
	v_lshrrev_b32_e32 v60, 3, v23
	v_cmp_gt_u32_e32 vcc, 8, v23
	v_ffbh_u32_e32 v23, v21
	v_min_u32_e32 v23, 32, v23
	v_subrev_u32_e32 v40, 28, v23
	v_lshlrev_b64 v[40:41], v40, v[58:59]
	v_sub_u32_e32 v23, 29, v23
	v_and_b32_e32 v40, 7, v40
	v_cndmask_b32_e32 v23, v60, v23, vcc
	v_cndmask_b32_e32 v21, v21, v40, vcc
	v_lshlrev_b32_e32 v40, 24, v58
	v_bfrev_b32_e32 v0, 60
	v_lshlrev_b32_e32 v21, 20, v21
	v_and_b32_e32 v40, 0x80000000, v40
	v_lshl_add_u32 v23, v23, 23, v0
	v_or3_b32 v21, v40, v23, v21
.LBB386_960:                            ;   in Loop: Header=BB386_13 Depth=1
	s_or_b64 exec, exec, s[36:37]
.LBB386_961:                            ;   in Loop: Header=BB386_13 Depth=1
	s_or_b64 exec, exec, s[34:35]
.LBB386_962:                            ;   in Loop: Header=BB386_13 Depth=1
	s_or_b64 exec, exec, s[30:31]
	v_mul_f32_e32 v21, v3, v21
	v_and_b32_e32 v23, 0x7f800000, v21
	v_cmp_ne_u32_e32 vcc, s41, v23
                                        ; implicit-def: $vgpr60
	s_and_saveexec_b64 s[30:31], vcc
	s_xor_b64 vcc, exec, s[30:31]
; %bb.963:                              ;   in Loop: Header=BB386_13 Depth=1
	v_bfe_u32 v23, v21, 16, 1
	v_add3_u32 v60, v21, v23, s42
                                        ; implicit-def: $vgpr21
; %bb.964:                              ;   in Loop: Header=BB386_13 Depth=1
	s_andn2_saveexec_b64 s[30:31], vcc
; %bb.965:                              ;   in Loop: Header=BB386_13 Depth=1
	v_or_b32_e32 v23, 0x10000, v21
	v_cmp_eq_u32_sdwa vcc, v21, v62 src0_sel:WORD_0 src1_sel:DWORD
	v_cndmask_b32_e32 v60, v23, v21, vcc
; %bb.966:                              ;   in Loop: Header=BB386_13 Depth=1
	s_or_b64 exec, exec, s[30:31]
	v_cmp_lt_u32_e32 vcc, s43, v56
	v_mov_b32_e32 v21, 0
	s_and_saveexec_b64 s[30:31], vcc
	s_cbranch_execz .LBB386_972
; %bb.967:                              ;   in Loop: Header=BB386_13 Depth=1
	v_lshrrev_b32_e32 v58, 24, v56
	v_cmp_ne_u32_e32 vcc, s39, v58
	v_bfrev_b32_e32 v21, 1
	s_and_saveexec_b64 s[34:35], vcc
	s_cbranch_execz .LBB386_971
; %bb.968:                              ;   in Loop: Header=BB386_13 Depth=1
	v_bfe_u32 v23, v56, 24, 7
	v_cmp_ne_u32_e32 vcc, s40, v23
	v_mov_b32_e32 v21, 0x7f800001
	s_and_saveexec_b64 s[36:37], vcc
	s_cbranch_execz .LBB386_970
; %bb.969:                              ;   in Loop: Header=BB386_13 Depth=1
	v_and_b32_e32 v21, 7, v58
	v_lshrrev_b32_e32 v56, 3, v23
	v_cmp_gt_u32_e32 vcc, 8, v23
	v_ffbh_u32_e32 v23, v21
	v_min_u32_e32 v23, 32, v23
	v_subrev_u32_e32 v40, 28, v23
	v_lshlrev_b64 v[40:41], v40, v[58:59]
	v_sub_u32_e32 v23, 29, v23
	v_and_b32_e32 v40, 7, v40
	v_cndmask_b32_e32 v23, v56, v23, vcc
	v_cndmask_b32_e32 v21, v21, v40, vcc
	v_lshlrev_b32_e32 v40, 24, v58
	v_bfrev_b32_e32 v0, 60
	v_lshlrev_b32_e32 v21, 20, v21
	v_and_b32_e32 v40, 0x80000000, v40
	v_lshl_add_u32 v23, v23, 23, v0
	v_or3_b32 v21, v40, v23, v21
.LBB386_970:                            ;   in Loop: Header=BB386_13 Depth=1
	s_or_b64 exec, exec, s[36:37]
.LBB386_971:                            ;   in Loop: Header=BB386_13 Depth=1
	s_or_b64 exec, exec, s[34:35]
.LBB386_972:                            ;   in Loop: Header=BB386_13 Depth=1
	s_or_b64 exec, exec, s[30:31]
	v_mul_f32_e32 v3, v3, v21
	v_and_b32_e32 v21, 0x7f800000, v3
	v_cmp_ne_u32_e32 vcc, s41, v21
                                        ; implicit-def: $vgpr56
	s_and_saveexec_b64 s[30:31], vcc
	s_xor_b64 vcc, exec, s[30:31]
; %bb.973:                              ;   in Loop: Header=BB386_13 Depth=1
	v_bfe_u32 v21, v3, 16, 1
	v_add3_u32 v56, v3, v21, s42
                                        ; implicit-def: $vgpr3
; %bb.974:                              ;   in Loop: Header=BB386_13 Depth=1
	s_andn2_saveexec_b64 s[30:31], vcc
; %bb.975:                              ;   in Loop: Header=BB386_13 Depth=1
	v_or_b32_e32 v21, 0x10000, v3
	v_cmp_eq_u32_sdwa vcc, v3, v62 src0_sel:WORD_0 src1_sel:DWORD
	v_cndmask_b32_e32 v56, v21, v3, vcc
; %bb.976:                              ;   in Loop: Header=BB386_13 Depth=1
	s_or_b64 exec, exec, s[30:31]
	buffer_load_dword v0, off, s[0:3], s32 offset:292 ; 4-byte Folded Reload
	buffer_load_dword v1, off, s[0:3], s32 offset:296 ; 4-byte Folded Reload
	;; [unrolled: 1-line block ×4, first 2 shown]
	v_lshlrev_b32_e32 v43, 16, v36
	v_and_b32_e32 v25, 0xffff0000, v36
	v_lshlrev_b32_e32 v45, 16, v54
	v_lshlrev_b32_e32 v22, 16, v39
	v_and_b32_e32 v9, 0xffff0000, v39
	v_lshlrev_b32_e32 v39, 16, v16
	v_and_b32_e32 v10, 0xffff0000, v16
	v_lshlrev_b32_e32 v40, 16, v52
	v_lshlrev_b32_e32 v11, 16, v37
	v_and_b32_e32 v24, 0xffff0000, v37
	v_and_b32_e32 v54, 0xffff0000, v54
	;; [unrolled: 1-line block ×3, first 2 shown]
	v_lshlrev_b32_e32 v4, 16, v38
	v_and_b32_e32 v8, 0xffff0000, v38
	v_lshlrev_b32_e32 v58, 16, v55
	v_lshlrev_b32_e32 v41, 16, v53
	v_and_b32_e32 v55, 0xffff0000, v55
	v_and_b32_e32 v53, 0xffff0000, v53
	v_lshlrev_b32_e32 v61, 16, v48
	v_and_b32_e32 v48, 0xffff0000, v48
	v_lshlrev_b32_e32 v13, 16, v49
	;; [unrolled: 2-line block ×5, first 2 shown]
	v_lshlrev_b32_e32 v34, 16, v18
	v_lshlrev_b32_e32 v35, 16, v19
	v_and_b32_e32 v27, 0xffff0000, v18
	v_and_b32_e32 v59, 0xffff0000, v19
	;; [unrolled: 1-line block ×4, first 2 shown]
	s_waitcnt vmcnt(3)
	v_lshlrev_b32_e32 v5, 16, v0
	s_waitcnt vmcnt(2)
	v_lshlrev_b32_e32 v28, 16, v1
	s_waitcnt vmcnt(1)
	v_lshlrev_b32_e32 v20, 16, v2
	s_waitcnt vmcnt(0)
	v_lshlrev_b32_e32 v23, 16, v3
	v_and_b32_e32 v15, 0xffff0000, v0
	v_and_b32_e32 v14, 0xffff0000, v1
	;; [unrolled: 1-line block ×4, first 2 shown]
	buffer_load_dword v0, off, s[0:3], s32 offset:276 ; 4-byte Folded Reload
	buffer_load_dword v1, off, s[0:3], s32 offset:280 ; 4-byte Folded Reload
	;; [unrolled: 1-line block ×4, first 2 shown]
	s_waitcnt vmcnt(3)
	v_lshlrev_b32_e32 v21, 16, v0
	v_and_b32_e32 v32, 0xffff0000, v0
	buffer_load_dword v0, off, s[0:3], s32 offset:324 ; 4-byte Folded Reload
	s_waitcnt vmcnt(1)
	v_lshlrev_b32_e32 v16, 16, v3
	v_and_b32_e32 v6, 0xffff0000, v3
	v_lshlrev_b32_e32 v18, 16, v1
	v_and_b32_e32 v19, 0xffff0000, v1
	;; [unrolled: 2-line block ×3, first 2 shown]
	s_waitcnt vmcnt(0)
	v_and_b32_e32 v36, 0xffff0000, v0
	buffer_load_dword v0, off, s[0:3], s32 offset:308 ; 4-byte Folded Reload
	v_mul_f32_e32 v3, v45, v36
	s_waitcnt vmcnt(0)
	v_and_b32_e32 v36, 0xffff0000, v0
	buffer_load_dword v0, off, s[0:3], s32 offset:328 ; 4-byte Folded Reload
	v_fmac_f32_e32 v3, v40, v36
	s_waitcnt vmcnt(0)
	v_and_b32_e32 v36, 0xffff0000, v0
	buffer_load_dword v0, off, s[0:3], s32 offset:312 ; 4-byte Folded Reload
	v_mul_f32_e32 v36, v54, v36
	s_waitcnt vmcnt(0)
	v_and_b32_e32 v37, 0xffff0000, v0
	buffer_load_dword v0, off, s[0:3], s32 offset:336 ; 4-byte Folded Reload
	v_fmac_f32_e32 v36, v52, v37
	;; [unrolled: 8-line block ×4, first 2 shown]
	s_waitcnt vmcnt(0)
	v_and_b32_e32 v52, 0xffff0000, v0
	buffer_load_dword v0, off, s[0:3], s32 offset:360 ; 4-byte Folded Reload
	v_fmac_f32_e32 v3, v61, v52
	s_waitcnt vmcnt(0)
	v_and_b32_e32 v52, 0xffff0000, v0
	buffer_load_dword v0, off, s[0:3], s32 offset:368 ; 4-byte Folded Reload
	v_fmac_f32_e32 v36, v48, v52
	;; [unrolled: 4-line block ×9, first 2 shown]
	buffer_load_dword v43, off, s[0:3], s32 offset:484 ; 4-byte Folded Reload
	s_waitcnt vmcnt(1)
	v_and_b32_e32 v13, 0xffff0000, v0
	buffer_load_dword v0, off, s[0:3], s32 offset:404 ; 4-byte Folded Reload
	v_fmac_f32_e32 v36, v25, v13
	s_waitcnt vmcnt(0)
	v_and_b32_e32 v13, 0xffff0000, v0
	buffer_load_dword v0, off, s[0:3], s32 offset:408 ; 4-byte Folded Reload
	v_fmac_f32_e32 v37, v11, v13
	;; [unrolled: 4-line block ×5, first 2 shown]
	v_accvgpr_read_b32 v8, a49
	v_and_b32_e32 v55, 0xffff0000, v8
	v_accvgpr_read_b32 v8, a47
	v_and_b32_e32 v8, 0xffff0000, v8
	s_waitcnt vmcnt(0)
	v_and_b32_e32 v4, 0xffff0000, v0
	buffer_load_dword v0, off, s[0:3], s32 offset:424 ; 4-byte Folded Reload
	v_fmac_f32_e32 v37, v22, v4
	s_waitcnt vmcnt(0)
	v_and_b32_e32 v4, 0xffff0000, v0
	buffer_load_dword v0, off, s[0:3], s32 offset:428 ; 4-byte Folded Reload
	v_fmac_f32_e32 v38, v9, v4
	v_accvgpr_read_b32 v9, a56
	v_and_b32_e32 v9, 0xffff0000, v9
	s_waitcnt vmcnt(0)
	v_and_b32_e32 v4, 0xffff0000, v0
	buffer_load_dword v0, off, s[0:3], s32 offset:432 ; 4-byte Folded Reload
	v_fmac_f32_e32 v3, v39, v4
	v_and_b32_e32 v39, 0xffff0000, v57
	s_waitcnt vmcnt(0)
	v_and_b32_e32 v4, 0xffff0000, v0
	buffer_load_dword v0, off, s[0:3], s32 offset:436 ; 4-byte Folded Reload
	v_fmac_f32_e32 v36, v10, v4
	s_waitcnt vmcnt(0)
	v_and_b32_e32 v4, 0xffff0000, v0
	buffer_load_dword v0, off, s[0:3], s32 offset:440 ; 4-byte Folded Reload
	v_fmac_f32_e32 v37, v33, v4
	;; [unrolled: 4-line block ×3, first 2 shown]
	v_accvgpr_read_b32 v4, a11
	v_and_b32_e32 v24, 0xffff0000, v4
	v_accvgpr_read_b32 v4, a10
	v_and_b32_e32 v25, 0xffff0000, v4
	v_accvgpr_read_b32 v4, a7
	v_and_b32_e32 v49, 0xffff0000, v4
	v_accvgpr_read_b32 v4, a9
	v_and_b32_e32 v4, 0xffff0000, v4
	s_waitcnt vmcnt(0)
	v_and_b32_e32 v1, 0xffff0000, v0
	buffer_load_dword v0, off, s[0:3], s32 offset:448 ; 4-byte Folded Reload
	v_fmac_f32_e32 v3, v34, v1
	s_waitcnt vmcnt(0)
	v_and_b32_e32 v1, 0xffff0000, v0
	buffer_load_dword v0, off, s[0:3], s32 offset:452 ; 4-byte Folded Reload
	v_fmac_f32_e32 v36, v27, v1
	s_waitcnt vmcnt(0)
	v_and_b32_e32 v1, 0xffff0000, v0
	buffer_load_dword v0, off, s[0:3], s32 offset:456 ; 4-byte Folded Reload
	v_fmac_f32_e32 v37, v35, v1
	s_waitcnt vmcnt(0)
	v_and_b32_e32 v1, 0xffff0000, v0
	v_accvgpr_read_b32 v0, a17
	v_fmac_f32_e32 v38, v59, v1
	v_and_b32_e32 v1, 0xffff0000, v0
	v_accvgpr_read_b32 v0, a16
	v_and_b32_e32 v0, 0xffff0000, v0
	v_fmac_f32_e32 v36, v15, v0
	v_accvgpr_read_b32 v0, a15
	v_and_b32_e32 v0, 0xffff0000, v0
	v_fmac_f32_e32 v37, v28, v0
	;; [unrolled: 3-line block ×3, first 2 shown]
	v_accvgpr_read_b32 v0, a43
	v_fmac_f32_e32 v3, v5, v1
	v_and_b32_e32 v0, 0xffff0000, v0
	v_fmac_f32_e32 v3, v20, v0
	v_accvgpr_read_b32 v0, a44
	v_and_b32_e32 v0, 0xffff0000, v0
	v_fmac_f32_e32 v36, v31, v0
	v_accvgpr_read_b32 v0, a34
	;; [unrolled: 3-line block ×9, first 2 shown]
	v_and_b32_e32 v17, 0xffff0000, v17
	buffer_load_dword v19, off, s[0:3], s32 offset:260 ; 4-byte Folded Reload
	v_fmac_f32_e32 v37, v16, v17
	buffer_load_dword v17, off, s[0:3], s32 offset:268 ; 4-byte Folded Reload
	buffer_load_dword v45, off, s[0:3], s32 offset:236 ; 4-byte Folded Reload
	v_accvgpr_read_b32 v0, a33
	v_and_b32_e32 v0, 0xffff0000, v0
	v_fmac_f32_e32 v36, v7, v0
	v_accvgpr_read_b32 v7, a3
	v_and_b32_e32 v11, 0xffff0000, v7
	v_accvgpr_read_b32 v7, a29
	v_and_b32_e32 v22, 0xffff0000, v7
	;; [unrolled: 2-line block ×18, first 2 shown]
	v_accvgpr_read_b32 v7, a48
	v_accvgpr_read_b32 v18, a40
	v_and_b32_e32 v34, 0xffff0000, v7
	v_accvgpr_read_b32 v7, a53
	v_and_b32_e32 v18, 0xffff0000, v18
	v_and_b32_e32 v33, 0xffff0000, v7
	v_accvgpr_read_b32 v7, a51
	v_fmac_f32_e32 v38, v6, v18
	v_and_b32_e32 v26, 0xffff0000, v7
	v_accvgpr_read_b32 v7, a50
	v_and_b32_e32 v35, 0xffff0000, v7
	v_accvgpr_read_b32 v7, a46
	;; [unrolled: 2-line block ×4, first 2 shown]
	v_accvgpr_read_b32 v0, a39
	v_and_b32_e32 v31, 0xffff0000, v1
	v_accvgpr_read_b32 v1, a25
	v_and_b32_e32 v48, 0xffff0000, v0
	;; [unrolled: 2-line block ×7, first 2 shown]
	v_and_b32_e32 v14, 0xffff0000, v0
	v_accvgpr_read_b32 v0, a20
	v_and_b32_e32 v28, 0xffff0000, v29
	v_and_b32_e32 v29, 0xffff0000, v0
	v_accvgpr_read_b32 v0, a19
	v_and_b32_e32 v15, 0xffff0000, v0
	v_accvgpr_read_b32 v0, a6
	s_waitcnt vmcnt(2)
	v_lshlrev_b32_e32 v16, 16, v19
	v_fmac_f32_e32 v3, v16, v9
	s_waitcnt vmcnt(1)
	v_lshlrev_b32_e32 v41, 16, v17
	v_mov_b32_e32 v6, v19
	s_waitcnt vmcnt(0)
	ds_read_b128 v[16:19], v45 offset:102
	v_and_b32_e32 v6, 0xffff0000, v6
	v_fmac_f32_e32 v36, v6, v8
	v_fmac_f32_e32 v37, v41, v7
	ds_read_b128 v[6:9], v45 offset:118
	s_waitcnt lgkmcnt(1)
	v_lshlrev_b32_e32 v41, 16, v16
	v_and_b32_e32 v16, 0xffff0000, v16
	v_fmac_f32_e32 v3, v16, v35
	v_lshlrev_b32_e32 v16, 16, v17
	v_fmac_f32_e32 v38, v41, v55
	v_and_b32_e32 v41, 64, v43
	v_fmac_f32_e32 v36, v16, v26
	v_and_b32_e32 v16, 0xffff0000, v17
	v_xor_b32_e32 v55, 1, v43
	v_add_u32_e32 v41, 64, v41
	v_lshlrev_b32_e32 v17, 16, v18
	v_fmac_f32_e32 v37, v16, v34
	v_and_b32_e32 v16, 0xffff0000, v18
	v_lshlrev_b32_e32 v26, 16, v19
	v_cmp_lt_i32_e32 vcc, v55, v41
	v_and_b32_e32 v41, 0xffff0000, v56
	v_fmac_f32_e32 v38, v17, v33
	v_fmac_f32_e32 v3, v16, v32
	v_and_b32_e32 v56, 0xffff0000, v19
	ds_read_b128 v[32:35], v45 offset:134
	ds_read_b128 v[16:19], v45 offset:150
	v_fmac_f32_e32 v36, v26, v21
	s_waitcnt lgkmcnt(2)
	v_lshlrev_b32_e32 v21, 16, v6
	v_and_b32_e32 v6, 0xffff0000, v6
	v_fmac_f32_e32 v37, v56, v61
	v_fmac_f32_e32 v3, v6, v40
	v_and_b32_e32 v6, 0xffff0000, v7
	v_fmac_f32_e32 v38, v21, v23
	v_lshlrev_b32_e32 v21, 16, v7
	v_lshlrev_b32_e32 v7, 16, v8
	v_fmac_f32_e32 v37, v6, v58
	v_and_b32_e32 v6, 0xffff0000, v8
	v_fmac_f32_e32 v36, v21, v59
	v_fmac_f32_e32 v38, v7, v57
	v_lshlrev_b32_e32 v7, 16, v9
	v_fmac_f32_e32 v3, v6, v44
	v_and_b32_e32 v6, 0xffff0000, v9
	v_fmac_f32_e32 v36, v7, v42
	s_waitcnt lgkmcnt(1)
	v_lshlrev_b32_e32 v7, 16, v32
	v_fmac_f32_e32 v37, v6, v54
	v_and_b32_e32 v6, 0xffff0000, v32
	v_fmac_f32_e32 v38, v7, v53
	v_lshlrev_b32_e32 v7, 16, v33
	v_fmac_f32_e32 v3, v6, v52
	v_and_b32_e32 v6, 0xffff0000, v33
	v_fmac_f32_e32 v36, v7, v13
	;; [unrolled: 4-line block ×4, first 2 shown]
	s_waitcnt lgkmcnt(0)
	v_lshlrev_b32_e32 v7, 16, v16
	v_fmac_f32_e32 v37, v6, v49
	v_lshlrev_b32_e32 v6, 16, v17
	v_fmac_f32_e32 v38, v7, v4
	v_fmac_f32_e32 v36, v6, v24
	v_lshlrev_b32_e32 v6, 16, v18
	v_fmac_f32_e32 v38, v6, v1
	ds_read_b128 v[6:9], v45 offset:166
	v_and_b32_e32 v4, 0xffff0000, v16
	v_fmac_f32_e32 v3, v4, v25
	v_and_b32_e32 v4, 0xffff0000, v17
	v_and_b32_e32 v20, 0xffff0000, v0
	v_accvgpr_read_b32 v0, a14
	v_fmac_f32_e32 v37, v4, v10
	ds_read_b64 v[10:11], v45 offset:182
	v_and_b32_e32 v1, 0xffff0000, v18
	v_and_b32_e32 v0, 0xffff0000, v0
	v_lshlrev_b32_e32 v4, 16, v19
	v_fmac_f32_e32 v3, v1, v27
	v_and_b32_e32 v1, 0xffff0000, v19
	v_fmac_f32_e32 v36, v4, v31
	s_waitcnt lgkmcnt(1)
	v_lshlrev_b32_e32 v4, 16, v6
	v_fmac_f32_e32 v37, v1, v0
	v_lshlrev_b32_e32 v1, 16, v7
	v_fmac_f32_e32 v38, v4, v2
	v_fmac_f32_e32 v36, v1, v15
	v_lshlrev_b32_e32 v1, 16, v8
	v_fmac_f32_e32 v38, v1, v29
	v_lshlrev_b32_e32 v1, 16, v9
	v_and_b32_e32 v0, 0xffff0000, v6
	v_fmac_f32_e32 v36, v1, v5
	s_waitcnt lgkmcnt(0)
	v_lshlrev_b32_e32 v1, 16, v10
	v_fmac_f32_e32 v3, v0, v20
	v_and_b32_e32 v0, 0xffff0000, v7
	v_fmac_f32_e32 v38, v1, v28
	ds_read_u16 v1, v45 offset:190
	v_fmac_f32_e32 v37, v0, v14
	v_and_b32_e32 v0, 0xffff0000, v8
	v_fmac_f32_e32 v3, v0, v12
	v_and_b32_e32 v0, 0xffff0000, v9
	v_fmac_f32_e32 v37, v0, v48
	v_and_b32_e32 v0, 0xffff0000, v10
	v_lshlrev_b32_e32 v2, 16, v11
	v_cndmask_b32_e32 v55, v43, v55, vcc
	v_and_b32_e32 v43, 0xffff0000, v60
	v_fmac_f32_e32 v3, v0, v39
	v_fmac_f32_e32 v36, v2, v30
	v_and_b32_e32 v0, 0xffff0000, v11
	s_waitcnt lgkmcnt(0)
	v_lshlrev_b32_e32 v1, 16, v1
	v_fmac_f32_e32 v37, v0, v43
	v_add_f32_e32 v0, v3, v36
	v_fmac_f32_e32 v38, v1, v41
	v_add_f32_e32 v0, v0, v37
	v_lshlrev_b32_e32 v55, 2, v55
	v_add_f32_e32 v0, v38, v0
	ds_bpermute_b32 v1, v55, v0
	s_and_saveexec_b64 s[30:31], s[6:7]
	s_cbranch_execz .LBB386_11
; %bb.977:                              ;   in Loop: Header=BB386_13 Depth=1
	buffer_load_dword v2, off, s[0:3], s32 offset:516 ; 4-byte Folded Reload
	buffer_load_dword v3, off, s[0:3], s32 offset:512 ; 4-byte Folded Reload
	v_accvgpr_read_b32 v4, a41
	s_waitcnt lgkmcnt(0)
	v_add_f32_e32 v0, v0, v1
	s_load_dword vcc_lo, s[26:27], 0x0
	buffer_load_dword v1, off, s[0:3], s32 offset:508 ; 4-byte Folded Reload
	s_waitcnt vmcnt(2)
	v_add_u32_e32 v2, v2, v4
	s_waitcnt vmcnt(1)
	v_add_u32_e32 v3, v3, v4
	buffer_load_dword v4, off, s[0:3], s32 offset:504 ; 4-byte Folded Reload
	v_cvt_f32_i32_e32 v2, v2
	s_waitcnt vmcnt(0)
	v_mul_f32_e32 v2, v4, v2
	v_cndmask_b32_e64 v2, 0, v2, s[8:9]
	v_fmac_f32_e32 v2, v0, v1
	buffer_load_dword v0, off, s[0:3], s32 offset:196 ; 4-byte Folded Reload
	buffer_load_dword v1, off, s[0:3], s32 offset:480 ; 4-byte Folded Reload
	v_accvgpr_read_b32 v4, a42
	s_waitcnt lgkmcnt(0)
	v_add_u32_e32 v4, vcc_lo, v4
	s_waitcnt vmcnt(1)
	v_cmp_lt_i32_e32 vcc, v3, v0
	v_cndmask_b32_e32 v0, 0, v2, vcc
	ds_write_b32 v4, v0
	s_waitcnt vmcnt(0)
	v_max_f32_e32 v0, v1, v1
	v_max_f32_e32 v0, v0, v2
	v_cndmask_b32_e32 v1, v1, v0, vcc
	buffer_store_dword v1, off, s[0:3], s32 offset:480 ; 4-byte Folded Spill
	s_branch .LBB386_11
.LBB386_978:
	s_or_b64 exec, exec, s[28:29]
	buffer_load_dword v15, off, s[0:3], s32 offset:596 ; 4-byte Folded Reload
	buffer_load_dword v14, off, s[0:3], s32 offset:592 ; 4-byte Folded Reload
	;; [unrolled: 1-line block ×18, first 2 shown]
	v_mbcnt_lo_u32_b32 v4, -1, 0
.LBB386_979:
	s_or_b64 exec, exec, s[24:25]
	v_mbcnt_hi_u32_b32 v0, -1, v4
	v_and_b32_e32 v1, 64, v0
	v_add_u32_e32 v1, 64, v1
	v_xor_b32_e32 v2, 32, v0
	v_cmp_lt_i32_e32 vcc, v2, v1
	v_cndmask_b32_e32 v2, v0, v2, vcc
	v_lshlrev_b32_e32 v2, 2, v2
	s_waitcnt vmcnt(0)
	ds_bpermute_b32 v3, v2, v7
	v_xor_b32_e32 v5, 16, v0
	v_max_f32_e32 v4, v7, v7
	v_cmp_lt_i32_e32 vcc, v5, v1
	v_xor_b32_e32 v6, 8, v0
	s_waitcnt lgkmcnt(0)
	v_max_f32_e32 v3, v3, v3
	v_max_f32_e32 v4, v4, v3
	v_cndmask_b32_e32 v3, v0, v5, vcc
	v_lshlrev_b32_e32 v3, 2, v3
	ds_bpermute_b32 v5, v3, v4
	v_cmp_lt_i32_e32 vcc, v6, v1
	v_xor_b32_e32 v7, 4, v0
	v_xor_b32_e32 v8, 2, v0
	s_lshr_b32 s28, s38, 16
	s_waitcnt lgkmcnt(0)
	v_max_f32_e32 v5, v5, v5
	v_max_f32_e32 v5, v4, v5
	v_cndmask_b32_e32 v4, v0, v6, vcc
	v_lshlrev_b32_e32 v4, 2, v4
	ds_bpermute_b32 v6, v4, v5
	v_cmp_lt_i32_e32 vcc, v7, v1
	s_waitcnt lgkmcnt(0)
	v_max_f32_e32 v6, v6, v6
	v_max_f32_e32 v6, v5, v6
	v_cndmask_b32_e32 v5, v0, v7, vcc
	v_lshlrev_b32_e32 v5, 2, v5
	ds_bpermute_b32 v7, v5, v6
	v_cmp_lt_i32_e32 vcc, v8, v1
	s_waitcnt lgkmcnt(0)
	v_max_f32_e32 v7, v7, v7
	v_max_f32_e32 v7, v6, v7
	v_cndmask_b32_e32 v6, v0, v8, vcc
	v_lshlrev_b32_e32 v21, 2, v6
	buffer_load_dword v6, off, s[0:3], s32 offset:460 ; 4-byte Folded Reload
	ds_bpermute_b32 v8, v21, v7
	s_waitcnt vmcnt(0)
	v_and_b32_e32 v22, 63, v6
	v_cmp_eq_u32_e32 vcc, 0, v22
	v_lshlrev_b32_e32 v6, 2, v28
	s_and_saveexec_b64 s[6:7], vcc
	s_cbranch_execz .LBB386_981
; %bb.980:
	s_waitcnt lgkmcnt(0)
	v_max_f32_e32 v8, v8, v8
	v_max_f32_e32 v7, v7, v7
	;; [unrolled: 1-line block ×3, first 2 shown]
	ds_write_b32 v6, v7 offset:384
.LBB386_981:
	s_or_b64 exec, exec, s[6:7]
	v_cmp_gt_u32_e64 s[6:7], 2, v22
	s_waitcnt lgkmcnt(0)
	v_mov_b32_e32 v8, 0xff7fffff
	v_lshlrev_b32_e32 v7, 2, v22
	s_barrier
	s_and_saveexec_b64 s[8:9], s[6:7]
	s_cbranch_execz .LBB386_983
; %bb.982:
	ds_read_b32 v8, v7 offset:384
.LBB386_983:
	s_or_b64 exec, exec, s[8:9]
	v_xor_b32_e32 v9, 1, v0
	v_cmp_lt_i32_e64 s[8:9], v9, v1
	v_cndmask_b32_e64 v1, v0, v9, s[8:9]
	buffer_load_dword v9, off, s[0:3], s32 offset:208 ; 4-byte Folded Reload
	v_lshlrev_b32_e32 v23, 2, v1
	s_waitcnt lgkmcnt(0)
	ds_bpermute_b32 v1, v23, v8
	v_max_f32_e32 v8, v8, v8
	v_lshlrev_b32_e32 v0, 2, v0
	s_waitcnt lgkmcnt(0)
	v_max_f32_e32 v1, v1, v1
	v_max_f32_e32 v1, v8, v1
	s_waitcnt vmcnt(0)
	v_subrev_u32_e32 v9, s21, v9
	v_lshl_add_u32 v10, v9, 5, s15
	v_and_b32_e32 v9, 0x100, v0
	ds_bpermute_b32 v0, v9, v1
	buffer_load_dword v1, off, s[0:3], s32 offset:196 ; 4-byte Folded Reload
	s_waitcnt vmcnt(0)
	v_min_i32_e32 v8, v10, v1
	buffer_load_dword v10, off, s[0:3], s32 offset:460 ; 4-byte Folded Reload
	v_subrev_u32_e32 v1, s15, v8
	s_waitcnt vmcnt(0)
	v_cmp_lt_i32_e64 s[8:9], v10, v1
	v_mov_b32_e32 v10, 0
	s_and_saveexec_b64 s[24:25], s[8:9]
	s_cbranch_execz .LBB386_987
; %bb.984:
	buffer_load_dword v12, off, s[0:3], s32 offset:460 ; 4-byte Folded Reload
	s_ashr_i32 s23, s22, 31
	s_lshl_b64 s[10:11], s[22:23], 2
	s_getpc_b64 s[26:27]
	s_add_u32 s26, s26, llvm.amdgcn.dynlds.offset.table@rel32@lo+4
	s_addc_u32 s27, s27, llvm.amdgcn.dynlds.offset.table@rel32@hi+12
	s_add_u32 s10, s10, s26
	s_addc_u32 s11, s11, s27
	s_load_dword s10, s[10:11], 0x0
	s_mov_b64 s[26:27], 0
	v_mov_b32_e32 v10, 0
	s_waitcnt vmcnt(0) lgkmcnt(0)
	v_lshl_add_u32 v11, v12, 2, s10
.LBB386_985:                            ; =>This Inner Loop Header: Depth=1
	ds_read_b32 v13, v11
	v_add_u32_e32 v12, 0x80, v12
	v_cmp_ge_i32_e64 s[10:11], v12, v1
	s_or_b64 s[26:27], s[10:11], s[26:27]
	s_waitcnt lgkmcnt(0)
	v_sub_f32_e32 v13, v13, v0
	v_mul_f32_e32 v13, 0x3fb8aa3b, v13
	v_exp_f32_e32 v13, v13
	ds_write_b32 v11, v13
	v_add_f32_e32 v10, v10, v13
	v_add_u32_e32 v11, 0x200, v11
	s_andn2_b64 exec, exec, s[26:27]
	s_cbranch_execnz .LBB386_985
; %bb.986:
	s_or_b64 exec, exec, s[26:27]
.LBB386_987:
	s_or_b64 exec, exec, s[24:25]
	ds_bpermute_b32 v2, v2, v10
	s_waitcnt lgkmcnt(0)
	v_add_f32_e32 v2, v10, v2
	ds_bpermute_b32 v3, v3, v2
	s_waitcnt lgkmcnt(0)
	v_add_f32_e32 v2, v2, v3
	ds_bpermute_b32 v3, v4, v2
	s_waitcnt lgkmcnt(0)
	v_add_f32_e32 v2, v2, v3
	ds_bpermute_b32 v3, v5, v2
	s_waitcnt lgkmcnt(0)
	v_add_f32_e32 v2, v2, v3
	ds_bpermute_b32 v3, v21, v2
	s_waitcnt lgkmcnt(0)
	v_add_f32_e32 v2, v2, v3
	ds_bpermute_b32 v3, v23, v2
	s_waitcnt lgkmcnt(0)
	v_add_f32_e32 v2, v2, v3
	s_and_saveexec_b64 s[10:11], vcc
	s_cbranch_execz .LBB386_989
; %bb.988:
	ds_write_b32 v6, v2 offset:392
.LBB386_989:
	s_or_b64 exec, exec, s[10:11]
	s_waitcnt lgkmcnt(0)
	s_barrier
	s_and_saveexec_b64 s[10:11], s[6:7]
	s_cbranch_execz .LBB386_991
; %bb.990:
	ds_read_b32 v2, v7 offset:392
.LBB386_991:
	s_or_b64 exec, exec, s[10:11]
	s_waitcnt lgkmcnt(0)
	ds_bpermute_b32 v3, v23, v2
	s_waitcnt lgkmcnt(0)
	v_add_f32_e32 v2, v2, v3
	ds_bpermute_b32 v2, v9, v2
	s_and_saveexec_b64 s[6:7], s[8:9]
	s_cbranch_execz .LBB386_1004
; %bb.992:
	s_waitcnt lgkmcnt(0)
	v_add_f32_e32 v3, 0x358637bd, v2
	v_div_scale_f32 v4, s[8:9], v3, v3, 1.0
	v_rcp_f32_e32 v5, v4
	v_div_scale_f32 v6, vcc, 1.0, v3, 1.0
	s_movk_i32 s8, 0x7f
	v_fma_f32 v7, -v4, v5, 1.0
	v_fmac_f32_e32 v5, v7, v5
	v_mul_f32_e32 v7, v6, v5
	v_fma_f32 v9, -v4, v7, v6
	v_fmac_f32_e32 v7, v9, v5
	v_fma_f32 v4, -v4, v7, v6
	v_div_fmas_f32 v4, v4, v5, v7
	buffer_load_dword v5, off, s[0:3], s32 offset:460 ; 4-byte Folded Reload
	v_div_fixup_f32 v6, v4, v3, 1.0
	s_mov_b64 s[10:11], -1
	s_waitcnt vmcnt(0)
	v_xad_u32 v3, v5, -1, v8
	v_subrev_u32_e32 v4, s15, v3
	v_cmp_lt_u32_e32 vcc, s8, v4
	v_mov_b32_e32 v3, v5
	s_and_saveexec_b64 s[8:9], vcc
	s_cbranch_execz .LBB386_1001
; %bb.993:
	v_lshrrev_b32_e32 v3, 7, v4
	v_add_u32_e32 v5, -1, v3
	v_lshrrev_b32_e32 v4, 1, v5
	v_mov_b32_e32 v7, v6
	v_add_u32_e32 v4, 1, v4
	v_cmp_lt_u32_e32 vcc, 13, v5
	v_mov_b32_e32 v9, 0
	s_and_saveexec_b64 s[10:11], vcc
	s_cbranch_execz .LBB386_997
; %bb.994:
	buffer_load_dword v8, off, s[0:3], s32 offset:460 ; 4-byte Folded Reload
	s_ashr_i32 s23, s22, 31
	s_lshl_b64 s[24:25], s[22:23], 2
	s_getpc_b64 s[26:27]
	s_add_u32 s26, s26, llvm.amdgcn.dynlds.offset.table@rel32@lo+4
	s_addc_u32 s27, s27, llvm.amdgcn.dynlds.offset.table@rel32@hi+12
	s_add_u32 s24, s24, s26
	s_addc_u32 s25, s25, s27
	s_load_dword s21, s[24:25], 0x0
	v_and_b32_e32 v5, -8, v4
	s_mov_b32 s15, 0
	s_mov_b64 s[24:25], 0
	s_waitcnt vmcnt(0) lgkmcnt(0)
	v_lshl_add_u32 v8, v8, 2, s21
.LBB386_995:                            ; =>This Inner Loop Header: Depth=1
	ds_read2st64_b32 v[10:11], v8 offset1:2
	ds_read2st64_b32 v[12:13], v8 offset0:4 offset1:6
	ds_read2st64_b32 v[18:19], v8 offset0:8 offset1:10
	;; [unrolled: 1-line block ×3, first 2 shown]
	v_add_u32_e32 v5, -8, v5
	s_waitcnt lgkmcnt(3)
	v_pk_mul_f32 v[10:11], v[6:7], v[10:11]
	s_waitcnt lgkmcnt(2)
	v_pk_mul_f32 v[12:13], v[6:7], v[12:13]
	ds_write2st64_b32 v8, v10, v11 offset1:2
	ds_write2st64_b32 v8, v12, v13 offset0:4 offset1:6
	ds_read2st64_b32 v[12:13], v8 offset0:16 offset1:18
	s_waitcnt lgkmcnt(4)
	v_pk_mul_f32 v[10:11], v[6:7], v[18:19]
	ds_write2st64_b32 v8, v10, v11 offset0:8 offset1:10
	s_waitcnt lgkmcnt(4)
	v_pk_mul_f32 v[10:11], v[6:7], v[16:17]
	ds_write2st64_b32 v8, v10, v11 offset0:12 offset1:14
	ds_read2st64_b32 v[10:11], v8 offset0:20 offset1:22
	s_waitcnt lgkmcnt(3)
	v_pk_mul_f32 v[12:13], v[6:7], v[12:13]
	ds_read2st64_b32 v[16:17], v8 offset0:24 offset1:26
	ds_write2st64_b32 v8, v12, v13 offset0:16 offset1:18
	ds_read2st64_b32 v[12:13], v8 offset0:28 offset1:30
	s_waitcnt lgkmcnt(3)
	v_pk_mul_f32 v[10:11], v[6:7], v[10:11]
	ds_write2st64_b32 v8, v10, v11 offset0:20 offset1:22
	s_waitcnt lgkmcnt(3)
	v_pk_mul_f32 v[10:11], v[6:7], v[16:17]
	ds_write2st64_b32 v8, v10, v11 offset0:24 offset1:26
	s_waitcnt lgkmcnt(2)
	v_pk_mul_f32 v[10:11], v[6:7], v[12:13]
	s_add_i32 s15, s15, 16
	v_cmp_eq_u32_e32 vcc, 0, v5
	ds_write2st64_b32 v8, v10, v11 offset0:28 offset1:30
	v_add_u32_e32 v8, 0x2000, v8
	s_or_b64 s[24:25], vcc, s[24:25]
	v_mov_b32_e32 v9, s15
	s_andn2_b64 exec, exec, s[24:25]
	s_cbranch_execnz .LBB386_995
; %bb.996:
	s_or_b64 exec, exec, s[24:25]
.LBB386_997:
	s_or_b64 exec, exec, s[10:11]
	v_and_b32_e32 v4, 7, v4
	v_cmp_ne_u32_e32 vcc, 0, v4
	s_and_saveexec_b64 s[10:11], vcc
	s_cbranch_execz .LBB386_1000
; %bb.998:
	buffer_load_dword v8, off, s[0:3], s32 offset:460 ; 4-byte Folded Reload
	s_ashr_i32 s23, s22, 31
	s_lshl_b64 s[24:25], s[22:23], 2
	s_getpc_b64 s[26:27]
	s_add_u32 s26, s26, llvm.amdgcn.dynlds.offset.table@rel32@lo+4
	s_addc_u32 s27, s27, llvm.amdgcn.dynlds.offset.table@rel32@hi+12
	s_add_u32 s24, s24, s26
	s_addc_u32 s25, s25, s27
	s_load_dword s15, s[24:25], 0x0
	v_lshlrev_b32_e32 v5, 9, v9
	s_mov_b64 s[24:25], 0
	s_waitcnt vmcnt(0)
	v_lshlrev_b32_e32 v8, 2, v8
	s_waitcnt lgkmcnt(0)
	v_add3_u32 v5, v5, v8, s15
.LBB386_999:                            ; =>This Inner Loop Header: Depth=1
	ds_read2st64_b32 v[8:9], v5 offset1:2
	v_add_u32_e32 v4, -1, v4
	v_cmp_eq_u32_e32 vcc, 0, v4
	s_or_b64 s[24:25], vcc, s[24:25]
	s_waitcnt lgkmcnt(0)
	v_pk_mul_f32 v[8:9], v[6:7], v[8:9]
	ds_write2st64_b32 v5, v8, v9 offset1:2
	v_add_u32_e32 v5, 0x400, v5
	s_andn2_b64 exec, exec, s[24:25]
	s_cbranch_execnz .LBB386_999
.LBB386_1000:
	s_or_b64 exec, exec, s[10:11]
	v_add_u32_e32 v4, 1, v3
	buffer_load_dword v3, off, s[0:3], s32 offset:460 ; 4-byte Folded Reload
	v_and_b32_e32 v5, 0x3fffffe, v4
	v_cmp_ne_u32_e32 vcc, v4, v5
	s_orn2_b64 s[10:11], vcc, exec
	s_waitcnt vmcnt(0)
	v_lshl_add_u32 v3, v5, 7, v3
.LBB386_1001:
	s_or_b64 exec, exec, s[8:9]
	s_and_b64 exec, exec, s[10:11]
	s_cbranch_execz .LBB386_1004
; %bb.1002:
	s_ashr_i32 s23, s22, 31
	s_lshl_b64 s[8:9], s[22:23], 2
	s_getpc_b64 s[10:11]
	s_add_u32 s10, s10, llvm.amdgcn.dynlds.offset.table@rel32@lo+4
	s_addc_u32 s11, s11, llvm.amdgcn.dynlds.offset.table@rel32@hi+12
	s_add_u32 s8, s8, s10
	s_addc_u32 s9, s9, s11
	s_load_dword s8, s[8:9], 0x0
	s_waitcnt lgkmcnt(0)
	v_lshl_add_u32 v4, v3, 2, s8
	s_mov_b64 s[8:9], 0
.LBB386_1003:                           ; =>This Inner Loop Header: Depth=1
	ds_read_b32 v5, v4
	v_add_u32_e32 v3, 0x80, v3
	v_cmp_ge_i32_e32 vcc, v3, v1
	s_or_b64 s[8:9], vcc, s[8:9]
	s_waitcnt lgkmcnt(0)
	v_mul_f32_e32 v5, v6, v5
	ds_write_b32 v4, v5
	v_add_u32_e32 v4, 0x200, v4
	s_andn2_b64 exec, exec, s[8:9]
	s_cbranch_execnz .LBB386_1003
.LBB386_1004:
	s_or_b64 exec, exec, s[6:7]
	s_waitcnt lgkmcnt(0)
	s_barrier
	buffer_load_dword v1, off, s[0:3], s32 offset:460 ; 4-byte Folded Reload
	v_cmp_ne_u16_e64 s[6:7], s28, 0
	s_cmp_lg_u64 s[6:7], 0
	s_addc_u32 s21, s13, 0
	s_waitcnt vmcnt(0)
	v_cmp_eq_u32_e32 vcc, 0, v1
	s_and_saveexec_b64 s[6:7], vcc
	s_cbranch_execz .LBB386_1006
; %bb.1005:
	s_mul_i32 s8, s21, s18
	s_mul_i32 s8, s8, s19
	;; [unrolled: 1-line block ×3, first 2 shown]
	s_ashr_i32 s9, s8, 31
	s_ashr_i32 s11, s10, 31
	;; [unrolled: 1-line block ×3, first 2 shown]
	s_lshl_b64 s[8:9], s[8:9], 2
	s_lshl_b64 s[10:11], s[10:11], 2
	;; [unrolled: 1-line block ×3, first 2 shown]
	s_add_u32 s10, s12, s10
	s_addc_u32 s11, s13, s11
	s_add_u32 s8, s10, s8
	s_addc_u32 s9, s11, s9
	v_mov_b32_e32 v1, s9
	v_add_co_u32_e32 v4, vcc, s8, v34
	v_addc_co_u32_e32 v5, vcc, v1, v27, vcc
	flat_store_dword v[4:5], v0
	v_add_co_u32_e32 v0, vcc, s8, v26
	v_addc_co_u32_e32 v1, vcc, v1, v24, vcc
	flat_store_dword v[0:1], v2
.LBB386_1006:
	s_or_b64 exec, exec, s[6:7]
	buffer_load_dword v0, off, s[0:3], s32 offset:460 ; 4-byte Folded Reload
	s_ashr_i32 s23, s22, 31
	s_lshl_b64 s[6:7], s[22:23], 2
	s_getpc_b64 s[8:9]
	s_add_u32 s8, s8, llvm.amdgcn.dynlds.offset.table@rel32@lo+4
	s_addc_u32 s9, s9, llvm.amdgcn.dynlds.offset.table@rel32@hi+12
	s_add_u32 s6, s6, s8
	s_addc_u32 s7, s7, s9
	v_mov_b32_e32 v4, 0
	v_mov_b32_e32 v5, 0
	;; [unrolled: 1-line block ×12, first 2 shown]
	s_waitcnt vmcnt(0)
	v_and_b32_e32 v24, 3, v0
	s_and_saveexec_b64 s[8:9], s[4:5]
	s_cbranch_execz .LBB386_2412
; %bb.1007:
	v_and_b32_e32 v0, 24, v31
	buffer_store_dword v23, off, s[0:3], s32 offset:376 ; 4-byte Folded Spill
	buffer_store_dword v21, off, s[0:3], s32 offset:380 ; 4-byte Folded Spill
	;; [unrolled: 1-line block ×4, first 2 shown]
	v_add_co_u32_e32 v0, vcc, v25, v37
	v_addc_co_u32_e32 v1, vcc, v20, v38, vcc
	s_load_dword s4, s[6:7], 0x0
	buffer_store_dword v0, off, s[0:3], s32 offset:328 ; 4-byte Folded Spill
	s_nop 0
	buffer_store_dword v1, off, s[0:3], s32 offset:332 ; 4-byte Folded Spill
	v_and_b32_e32 v2, 0x1f8, v31
	v_add_u32_e32 v1, -1, v36
	v_or_b32_e32 v4, 0x1000, v2
	buffer_store_dword v1, off, s[0:3], s32 offset:324 ; 4-byte Folded Spill
	buffer_store_dword v4, off, s[0:3], s32 offset:336 ; 4-byte Folded Spill
	s_nop 0
	buffer_store_dword v5, off, s[0:3], s32 offset:340 ; 4-byte Folded Spill
	v_or_b32_e32 v4, 0x1200, v2
	v_max_i32_e32 v42, v30, v29
	v_cvt_f32_u32_e32 v0, v42
	v_sub_u32_e32 v1, 0, v42
	s_mov_b32 s10, -1
	s_mov_b32 s11, 0xffffff
	v_rcp_iflag_f32_e32 v0, v0
	v_mov_b32_e32 v37, 0
	s_mov_b64 s[12:13], 0
	s_mov_b32 s15, 0x7f800000
	v_mul_f32_e32 v0, 0x4f7ffffe, v0
	v_cvt_u32_f32_e32 v0, v0
	s_movk_i32 s30, 0x7fff
	s_movk_i32 s31, 0x80
	;; [unrolled: 1-line block ×3, first 2 shown]
	v_mul_lo_u32 v1, v1, v0
	v_mul_hi_u32 v1, v0, v1
	v_add_u32_e32 v0, v0, v1
	v_mov_b32_e32 v35, 0
	v_mov_b32_e32 v34, 0
	buffer_store_dword v4, off, s[0:3], s32 offset:344 ; 4-byte Folded Spill
	s_nop 0
	buffer_store_dword v5, off, s[0:3], s32 offset:348 ; 4-byte Folded Spill
	v_or_b32_e32 v4, 0x1400, v2
	buffer_store_dword v4, off, s[0:3], s32 offset:352 ; 4-byte Folded Spill
	s_nop 0
	buffer_store_dword v5, off, s[0:3], s32 offset:356 ; 4-byte Folded Spill
	v_mov_b32_e32 v4, v2
	v_or_b32_e32 v2, 0x1600, v2
	buffer_store_dword v4, off, s[0:3], s32 offset:360 ; 4-byte Folded Spill
	s_nop 0
	buffer_store_dword v5, off, s[0:3], s32 offset:364 ; 4-byte Folded Spill
	buffer_store_dword v2, off, s[0:3], s32 offset:368 ; 4-byte Folded Spill
	s_nop 0
	buffer_store_dword v3, off, s[0:3], s32 offset:372 ; 4-byte Folded Spill
	buffer_store_dword v0, off, s[0:3], s32 offset:276 ; 4-byte Folded Spill
	s_nop 0
	buffer_store_dword v1, off, s[0:3], s32 offset:280 ; 4-byte Folded Spill
	v_accvgpr_read_b32 v0, a12
	v_accvgpr_read_b32 v1, a13
	v_lshlrev_b64 v[0:1], 2, v[0:1]
	v_add_co_u32_e32 v0, vcc, v32, v0
	v_addc_co_u32_e32 v1, vcc, v33, v1, vcc
	v_add_co_u32_e32 v14, vcc, v14, v0
	v_lshlrev_b32_e32 v0, 5, v24
	v_lshl_or_b32 v0, v28, 7, v0
	v_addc_co_u32_e32 v15, vcc, v15, v1, vcc
	s_waitcnt lgkmcnt(0)
	v_add_u32_e32 v4, s4, v0
	v_mov_b32_e32 v1, 0
	v_mov_b32_e32 v0, 0
	buffer_store_dword v24, off, s[0:3], s32 offset:388 ; 4-byte Folded Spill
	buffer_store_dword v0, off, s[0:3], s32 offset:244 ; 4-byte Folded Spill
	s_nop 0
	buffer_store_dword v1, off, s[0:3], s32 offset:248 ; 4-byte Folded Spill
	v_mov_b32_e32 v1, 0
	v_mov_b32_e32 v0, 0
	buffer_store_dword v0, off, s[0:3], s32 offset:260 ; 4-byte Folded Spill
	s_nop 0
	buffer_store_dword v1, off, s[0:3], s32 offset:264 ; 4-byte Folded Spill
	v_mov_b32_e32 v1, 0
	v_mov_b32_e32 v0, 0
	;; [unrolled: 5-line block ×4, first 2 shown]
	buffer_store_dword v0, off, s[0:3], s32 offset:252 ; 4-byte Folded Spill
	s_nop 0
	buffer_store_dword v1, off, s[0:3], s32 offset:256 ; 4-byte Folded Spill
	buffer_load_dword v1, off, s[0:3], s32 offset:528 ; 4-byte Folded Reload
	v_bfrev_b32_e32 v5, 60
	s_branch .LBB386_1010
.LBB386_1008:                           ;   in Loop: Header=BB386_1010 Depth=1
	s_or_b64 exec, exec, s[4:5]
	v_and_b32_e32 v6, 0xffff0000, v6
	v_and_b32_e32 v3, 0xffff0000, v3
	v_add_f32_e32 v3, v3, v6
	v_and_b32_e32 v6, 0xffff0000, v58
	v_and_b32_e32 v23, 0xffff0000, v57
	v_add_f32_e32 v6, v23, v6
	v_add_f32_e32 v3, v3, v6
	v_and_b32_e32 v6, 0xffff0000, v13
	v_and_b32_e32 v12, 0xffff0000, v12
	v_add_f32_e32 v6, v12, v6
	;; [unrolled: 4-line block ×3, first 2 shown]
	buffer_load_dword v12, off, s[0:3], s32 offset:244 ; 4-byte Folded Reload
	buffer_load_dword v13, off, s[0:3], s32 offset:248 ; 4-byte Folded Reload
	v_add_f32_e32 v3, v3, v6
	v_add_f32_e32 v34, v34, v3
	v_and_b32_e32 v3, 0xffff0000, v22
	v_and_b32_e32 v6, 0xffff0000, v29
	v_add_f32_e32 v3, v6, v3
	v_and_b32_e32 v6, 0xffff0000, v8
	v_and_b32_e32 v7, 0xffff0000, v7
	v_add_f32_e32 v6, v7, v6
	v_add_f32_e32 v3, v3, v6
	v_and_b32_e32 v6, 0xffff0000, v46
	v_and_b32_e32 v7, 0xffff0000, v44
	v_add_f32_e32 v6, v7, v6
	v_add_f32_e32 v3, v3, v6
	v_and_b32_e32 v6, 0xffff0000, v47
	v_and_b32_e32 v7, 0xffff0000, v56
	v_add_f32_e32 v6, v6, v7
	v_add_f32_e32 v3, v3, v6
	v_and_b32_e32 v6, 0xffff0000, v59
	v_and_b32_e32 v7, 0xffff0000, v38
	v_accvgpr_read_b32 v8, a44
	v_and_b32_e32 v8, 0xffff0000, v8
	v_and_b32_e32 v9, 0xffff0000, v9
	;; [unrolled: 1-line block ×3, first 2 shown]
	s_waitcnt vmcnt(0)
	v_add_f32_e32 v13, v13, v3
	v_and_b32_e32 v3, 0xffff0000, v43
	v_add_f32_e32 v3, v6, v3
	v_and_b32_e32 v6, 0xffff0000, v62
	v_add_f32_e32 v6, v7, v6
	v_add_f32_e32 v3, v3, v6
	v_and_b32_e32 v6, 0xffff0000, v50
	v_and_b32_e32 v7, 0xffff0000, v48
	v_add_f32_e32 v6, v7, v6
	v_add_f32_e32 v3, v3, v6
	v_and_b32_e32 v6, 0xffff0000, v52
	v_and_b32_e32 v7, 0xffff0000, v21
	v_add_f32_e32 v6, v6, v7
	v_add_f32_e32 v3, v3, v6
	;; [unrolled: 1-line block ×3, first 2 shown]
	v_and_b32_e32 v3, 0xffff0000, v20
	v_and_b32_e32 v6, 0xffff0000, v60
	buffer_store_dword v12, off, s[0:3], s32 offset:244 ; 4-byte Folded Spill
	s_nop 0
	buffer_store_dword v13, off, s[0:3], s32 offset:248 ; 4-byte Folded Spill
	v_add_f32_e32 v3, v6, v3
	v_and_b32_e32 v6, 0xffff0000, v10
	v_and_b32_e32 v7, 0xffff0000, v40
	v_add_f32_e32 v6, v7, v6
	v_and_b32_e32 v7, 0xffff0000, v11
	buffer_load_dword v10, off, s[0:3], s32 offset:260 ; 4-byte Folded Reload
	buffer_load_dword v11, off, s[0:3], s32 offset:264 ; 4-byte Folded Reload
	v_add_f32_e32 v3, v3, v6
	v_and_b32_e32 v6, 0xffff0000, v61
	v_add_f32_e32 v6, v7, v6
	v_add_f32_e32 v3, v3, v6
	v_and_b32_e32 v6, 0xffff0000, v41
	v_and_b32_e32 v7, 0xffff0000, v55
	v_add_f32_e32 v6, v6, v7
	v_add_f32_e32 v3, v3, v6
	v_accvgpr_read_b32 v6, a24
	v_and_b32_e32 v6, 0xffff0000, v6
	v_accvgpr_read_b32 v7, a26
	v_and_b32_e32 v7, 0xffff0000, v7
	v_accvgpr_read_b32 v12, a9
	v_accvgpr_read_b32 v13, a10
	v_and_b32_e32 v12, 0xffff0000, v12
	v_and_b32_e32 v13, 0xffff0000, v13
	s_waitcnt vmcnt(0)
	v_add_f32_e32 v11, v11, v3
	v_accvgpr_read_b32 v3, a25
	v_and_b32_e32 v3, 0xffff0000, v3
	v_add_f32_e32 v3, v6, v3
	v_accvgpr_read_b32 v6, a27
	v_and_b32_e32 v6, 0xffff0000, v6
	v_add_f32_e32 v6, v7, v6
	v_add_f32_e32 v3, v3, v6
	v_accvgpr_read_b32 v6, a37
	v_accvgpr_read_b32 v7, a35
	v_and_b32_e32 v6, 0xffff0000, v6
	v_and_b32_e32 v7, 0xffff0000, v7
	v_add_f32_e32 v6, v7, v6
	v_add_f32_e32 v3, v3, v6
	v_accvgpr_read_b32 v6, a39
	v_accvgpr_read_b32 v7, a41
	v_and_b32_e32 v6, 0xffff0000, v6
	v_and_b32_e32 v7, 0xffff0000, v7
	v_add_f32_e32 v6, v6, v7
	v_add_f32_e32 v3, v3, v6
	;; [unrolled: 1-line block ×3, first 2 shown]
	buffer_store_dword v10, off, s[0:3], s32 offset:260 ; 4-byte Folded Spill
	s_nop 0
	buffer_store_dword v11, off, s[0:3], s32 offset:264 ; 4-byte Folded Spill
	buffer_load_dword v16, off, s[0:3], s32 offset:268 ; 4-byte Folded Reload
	buffer_load_dword v17, off, s[0:3], s32 offset:272 ; 4-byte Folded Reload
	v_accvgpr_read_b32 v3, a46
	v_accvgpr_read_b32 v6, a6
	v_and_b32_e32 v3, 0xffff0000, v3
	v_and_b32_e32 v6, 0xffff0000, v6
	v_add_f32_e32 v3, v6, v3
	v_accvgpr_read_b32 v6, a29
	v_accvgpr_read_b32 v7, a28
	v_and_b32_e32 v6, 0xffff0000, v6
	v_and_b32_e32 v7, 0xffff0000, v7
	v_add_f32_e32 v6, v7, v6
	v_add_f32_e32 v3, v3, v6
	v_accvgpr_read_b32 v6, a23
	v_accvgpr_read_b32 v7, a22
	v_and_b32_e32 v6, 0xffff0000, v6
	v_and_b32_e32 v7, 0xffff0000, v7
	v_add_f32_e32 v6, v7, v6
	;; [unrolled: 6-line block ×3, first 2 shown]
	v_add_f32_e32 v3, v3, v6
	v_accvgpr_read_b32 v7, a7
	v_accvgpr_read_b32 v10, a36
	;; [unrolled: 1-line block ×4, first 2 shown]
	v_and_b32_e32 v7, 0xffff0000, v7
	v_and_b32_e32 v10, 0xffff0000, v10
	;; [unrolled: 1-line block ×4, first 2 shown]
	v_add_f32_e32 v10, v11, v10
	v_add_f32_e32 v7, v8, v7
	v_add_f32_e32 v7, v10, v7
	v_accvgpr_read_b32 v8, a4
	v_accvgpr_read_b32 v10, a34
	v_and_b32_e32 v8, 0xffff0000, v8
	v_and_b32_e32 v10, 0xffff0000, v10
	;; [unrolled: 1-line block ×3, first 2 shown]
	v_add_f32_e32 v10, v11, v10
	v_accvgpr_read_b32 v11, a63
	v_and_b32_e32 v11, 0xffff0000, v11
	s_waitcnt vmcnt(0)
	v_add_f32_e32 v17, v17, v3
	v_accvgpr_read_b32 v3, a3
	v_and_b32_e32 v3, 0xffff0000, v3
	v_add_f32_e32 v3, v6, v3
	v_add_f32_e32 v3, v7, v3
	v_add_f32_e32 v6, v12, v13
	v_add_f32_e32 v3, v3, v6
	v_add_f32_e32 v16, v16, v3
	buffer_store_dword v16, off, s[0:3], s32 offset:268 ; 4-byte Folded Spill
	s_nop 0
	buffer_store_dword v17, off, s[0:3], s32 offset:272 ; 4-byte Folded Spill
	buffer_load_dword v16, off, s[0:3], s32 offset:236 ; 4-byte Folded Reload
	s_nop 0
	buffer_load_dword v17, off, s[0:3], s32 offset:240 ; 4-byte Folded Reload
	v_accvgpr_read_b32 v7, a5
	v_accvgpr_read_b32 v3, a31
	;; [unrolled: 1-line block ×3, first 2 shown]
	v_and_b32_e32 v7, 0xffff0000, v7
	v_and_b32_e32 v3, 0xffff0000, v3
	;; [unrolled: 1-line block ×3, first 2 shown]
	v_accvgpr_read_b32 v12, a38
	v_accvgpr_read_b32 v13, a40
	v_add_f32_e32 v7, v8, v7
	v_and_b32_e32 v12, 0xffff0000, v12
	v_and_b32_e32 v13, 0xffff0000, v13
	v_add_f32_e32 v7, v10, v7
	v_add_f32_e32 v3, v6, v3
	;; [unrolled: 1-line block ×5, first 2 shown]
	v_accvgpr_read_b32 v7, a15
	v_accvgpr_read_b32 v8, a16
	;; [unrolled: 1-line block ×4, first 2 shown]
	v_and_b32_e32 v7, 0xffff0000, v7
	v_and_b32_e32 v8, 0xffff0000, v8
	;; [unrolled: 1-line block ×4, first 2 shown]
	v_accvgpr_read_b32 v12, a1
	v_accvgpr_read_b32 v13, a2
	v_add_f32_e32 v10, v11, v10
	v_add_f32_e32 v7, v8, v7
	v_and_b32_e32 v12, 0xffff0000, v12
	v_and_b32_e32 v13, 0xffff0000, v13
	v_add_f32_e32 v7, v10, v7
	v_accvgpr_read_b32 v8, a57
	v_accvgpr_read_b32 v10, a56
	;; [unrolled: 1-line block ×3, first 2 shown]
	v_and_b32_e32 v8, 0xffff0000, v8
	v_and_b32_e32 v10, 0xffff0000, v10
	;; [unrolled: 1-line block ×3, first 2 shown]
	v_add_f32_e32 v10, v11, v10
	v_and_b32_e32 v11, 0xffff0000, v33
	s_waitcnt vmcnt(0)
	v_add_f32_e32 v17, v17, v3
	v_accvgpr_read_b32 v3, a0
	v_and_b32_e32 v3, 0xffff0000, v3
	v_add_f32_e32 v3, v6, v3
	v_add_f32_e32 v3, v7, v3
	;; [unrolled: 1-line block ×4, first 2 shown]
	v_accvgpr_read_b32 v7, a58
	v_add_f32_e32 v16, v16, v3
	v_accvgpr_read_b32 v3, a60
	v_accvgpr_read_b32 v6, a59
	v_and_b32_e32 v7, 0xffff0000, v7
	v_and_b32_e32 v3, 0xffff0000, v3
	;; [unrolled: 1-line block ×3, first 2 shown]
	v_accvgpr_read_b32 v12, a61
	v_accvgpr_read_b32 v13, a62
	v_add_f32_e32 v7, v8, v7
	v_and_b32_e32 v12, 0xffff0000, v12
	v_and_b32_e32 v13, 0xffff0000, v13
	v_add_f32_e32 v7, v10, v7
	v_add_f32_e32 v3, v6, v3
	buffer_store_dword v16, off, s[0:3], s32 offset:236 ; 4-byte Folded Spill
	s_nop 0
	buffer_store_dword v17, off, s[0:3], s32 offset:240 ; 4-byte Folded Spill
	v_add_f32_e32 v3, v7, v3
	v_add_f32_e32 v6, v12, v13
	;; [unrolled: 1-line block ×3, first 2 shown]
	buffer_load_dword v16, off, s[0:3], s32 offset:252 ; 4-byte Folded Reload
	buffer_load_dword v17, off, s[0:3], s32 offset:256 ; 4-byte Folded Reload
	;; [unrolled: 1-line block ×6, first 2 shown]
	v_accvgpr_read_b32 v12, a45
	v_accvgpr_read_b32 v13, a47
	v_and_b32_e32 v12, 0xffff0000, v12
	v_and_b32_e32 v13, 0xffff0000, v13
	s_waitcnt vmcnt(4)
	v_add_f32_e32 v17, v17, v3
	v_accvgpr_read_b32 v3, a43
	s_waitcnt vmcnt(2)
	v_and_b32_e32 v7, 0xffff0000, v7
	s_waitcnt vmcnt(1)
	v_and_b32_e32 v8, 0xffff0000, v8
	;; [unrolled: 2-line block ×3, first 2 shown]
	v_and_b32_e32 v3, 0xffff0000, v3
	v_and_b32_e32 v6, 0xffff0000, v6
	v_add_f32_e32 v10, v11, v10
	v_add_f32_e32 v7, v8, v7
	;; [unrolled: 1-line block ×6, first 2 shown]
	v_and_b32_e32 v8, 0xffff0000, v1
	v_and_b32_e32 v1, 0xffff0000, v2
	v_add_f32_e32 v3, v3, v6
	v_and_b32_e32 v7, 0xffff0000, v24
	v_and_b32_e32 v6, 0xffff0000, v19
	;; [unrolled: 1-line block ×4, first 2 shown]
	v_pk_add_f32 v[0:1], v[0:1], v[8:9]
	v_add_f32_e32 v16, v16, v3
	v_pk_add_f32 v[2:3], v[10:11], v[6:7]
	v_add_f32_e32 v0, v0, v1
	v_add_f32_e32 v0, v0, v2
	;; [unrolled: 1-line block ×4, first 2 shown]
	buffer_store_dword v16, off, s[0:3], s32 offset:252 ; 4-byte Folded Spill
	s_nop 0
	buffer_store_dword v17, off, s[0:3], s32 offset:256 ; 4-byte Folded Spill
.LBB386_1009:                           ;   in Loop: Header=BB386_1010 Depth=1
	s_or_b64 exec, exec, s[22:23]
	buffer_load_dword v0, off, s[0:3], s32 offset:208 ; 4-byte Folded Reload
	v_accvgpr_read_b32 v2, a12
	v_add_co_u32_e32 v14, vcc, 8, v14
	v_add_u32_e32 v2, 2, v2
	v_addc_co_u32_e32 v15, vcc, 0, v15, vcc
	v_accvgpr_read_b32 v1, a13
	v_add_u32_e32 v1, 64, v1
	v_accvgpr_write_b32 a12, v2
	v_add_u32_e32 v4, 0x100, v4
	s_waitcnt vmcnt(0)
	v_cmp_ge_i32_e32 vcc, v2, v0
	s_or_b64 s[12:13], vcc, s[12:13]
	s_andn2_b64 exec, exec, s[12:13]
	s_cbranch_execz .LBB386_2411
.LBB386_1010:                           ; =>This Inner Loop Header: Depth=1
	s_waitcnt vmcnt(0)
	v_ashrrev_i32_e32 v0, 31, v1
	v_mov_b32_e32 v2, v1
	buffer_load_dword v1, off, s[0:3], s32 offset:204 ; 4-byte Folded Reload
	buffer_load_dword v6, off, s[0:3], s32 offset:200 ; 4-byte Folded Reload
	v_accvgpr_write_b32 a13, v2
	s_waitcnt vmcnt(1)
	v_xor_b32_e32 v0, v0, v1
	v_sub_u32_e32 v1, 0, v2
	v_max_i32_e32 v1, v2, v1
	buffer_load_dword v2, off, s[0:3], s32 offset:220 ; 4-byte Folded Reload
	s_waitcnt vmcnt(0)
	v_mul_hi_u32 v2, v1, v2
	v_mul_lo_u32 v3, v2, v6
	v_sub_u32_e32 v1, v1, v3
	v_add_u32_e32 v3, 1, v2
	v_cmp_ge_u32_e32 vcc, v1, v6
	v_cndmask_b32_e32 v2, v2, v3, vcc
	v_sub_u32_e32 v3, v1, v6
	v_cndmask_b32_e32 v1, v1, v3, vcc
	v_add_u32_e32 v3, 1, v2
	v_cmp_ge_u32_e32 vcc, v1, v6
	v_cndmask_b32_e32 v1, v2, v3, vcc
	buffer_load_dword v2, off, s[0:3], s32 offset:212 ; 4-byte Folded Reload
	buffer_load_dword v3, off, s[0:3], s32 offset:216 ; 4-byte Folded Reload
	buffer_load_dword v6, off, s[0:3], s32 offset:276 ; 4-byte Folded Reload
	buffer_load_dword v7, off, s[0:3], s32 offset:280 ; 4-byte Folded Reload
	v_xor_b32_e32 v1, v1, v0
	v_sub_u32_e32 v0, v1, v0
	s_waitcnt vmcnt(3)
	v_add_u32_e32 v1, v0, v2
	s_waitcnt vmcnt(2)
	v_sub_u32_e32 v3, 0, v1
	v_ashrrev_i32_e32 v2, 31, v1
	v_max_i32_e32 v1, v1, v3
	s_waitcnt vmcnt(1)
	v_mul_hi_u32 v3, v1, v6
	v_mul_lo_u32 v3, v3, v42
	v_sub_u32_e32 v1, v1, v3
	v_sub_u32_e32 v3, v1, v42
	v_cmp_ge_u32_e32 vcc, v1, v42
	v_cndmask_b32_e32 v1, v1, v3, vcc
	v_sub_u32_e32 v3, v1, v42
	v_cmp_ge_u32_e32 vcc, v1, v42
	v_cndmask_b32_e32 v1, v1, v3, vcc
	v_xor_b32_e32 v1, v1, v2
	v_sub_u32_e32 v1, v1, v2
	v_cmp_eq_u32_e32 vcc, 0, v1
	buffer_load_dword v1, off, s[0:3], s32 offset:224 ; 4-byte Folded Reload
	s_waitcnt vmcnt(0)
	v_cmp_gt_i32_e64 s[4:5], v0, v1
	s_or_b64 s[4:5], vcc, s[4:5]
	s_and_saveexec_b64 s[22:23], s[4:5]
	s_cbranch_execz .LBB386_1009
; %bb.1011:                             ;   in Loop: Header=BB386_1010 Depth=1
	flat_load_dword v18, v[14:15]
	ds_read2_b64 v[6:9], v4 offset1:1
	ds_read2_b64 v[0:3], v4 offset0:2 offset1:3
                                        ; implicit-def: $vgpr21
	s_waitcnt lgkmcnt(0)
	v_and_b32_e32 v10, 0x7f800000, v6
	v_cmp_ne_u32_e32 vcc, s15, v10
	s_and_saveexec_b64 s[4:5], vcc
	s_xor_b64 s[4:5], exec, s[4:5]
; %bb.1012:                             ;   in Loop: Header=BB386_1010 Depth=1
	v_bfe_u32 v10, v6, 16, 1
	v_add3_u32 v21, v6, v10, s30
; %bb.1013:                             ;   in Loop: Header=BB386_1010 Depth=1
	s_andn2_saveexec_b64 s[4:5], s[4:5]
; %bb.1014:                             ;   in Loop: Header=BB386_1010 Depth=1
	v_or_b32_e32 v10, 0x10000, v6
	v_cmp_eq_u32_sdwa vcc, v6, v37 src0_sel:WORD_0 src1_sel:DWORD
	v_cndmask_b32_e32 v21, v10, v6, vcc
; %bb.1015:                             ;   in Loop: Header=BB386_1010 Depth=1
	s_or_b64 exec, exec, s[4:5]
	v_and_b32_e32 v6, 0x7f800000, v7
	v_cmp_ne_u32_e32 vcc, s15, v6
                                        ; implicit-def: $vgpr20
	s_and_saveexec_b64 s[4:5], vcc
	s_xor_b64 s[4:5], exec, s[4:5]
; %bb.1016:                             ;   in Loop: Header=BB386_1010 Depth=1
	v_bfe_u32 v6, v7, 16, 1
	v_add3_u32 v20, v7, v6, s30
; %bb.1017:                             ;   in Loop: Header=BB386_1010 Depth=1
	s_andn2_saveexec_b64 s[4:5], s[4:5]
; %bb.1018:                             ;   in Loop: Header=BB386_1010 Depth=1
	v_or_b32_e32 v6, 0x10000, v7
	v_cmp_eq_u32_sdwa vcc, v7, v37 src0_sel:WORD_0 src1_sel:DWORD
	v_cndmask_b32_e32 v20, v6, v7, vcc
; %bb.1019:                             ;   in Loop: Header=BB386_1010 Depth=1
	s_or_b64 exec, exec, s[4:5]
	v_and_b32_e32 v6, 0x7f800000, v8
	v_cmp_ne_u32_e32 vcc, s15, v6
                                        ; implicit-def: $vgpr17
	s_and_saveexec_b64 s[4:5], vcc
	s_xor_b64 s[4:5], exec, s[4:5]
; %bb.1020:                             ;   in Loop: Header=BB386_1010 Depth=1
	v_bfe_u32 v6, v8, 16, 1
	v_add3_u32 v17, v8, v6, s30
; %bb.1021:                             ;   in Loop: Header=BB386_1010 Depth=1
	s_andn2_saveexec_b64 s[4:5], s[4:5]
; %bb.1022:                             ;   in Loop: Header=BB386_1010 Depth=1
	v_or_b32_e32 v6, 0x10000, v8
	v_cmp_eq_u32_sdwa vcc, v8, v37 src0_sel:WORD_0 src1_sel:DWORD
	v_cndmask_b32_e32 v17, v6, v8, vcc
; %bb.1023:                             ;   in Loop: Header=BB386_1010 Depth=1
	s_or_b64 exec, exec, s[4:5]
	v_and_b32_e32 v6, 0x7f800000, v9
	v_cmp_ne_u32_e32 vcc, s15, v6
                                        ; implicit-def: $vgpr16
	s_and_saveexec_b64 s[4:5], vcc
	s_xor_b64 s[4:5], exec, s[4:5]
; %bb.1024:                             ;   in Loop: Header=BB386_1010 Depth=1
	v_bfe_u32 v6, v9, 16, 1
	v_add3_u32 v16, v9, v6, s30
                                        ; implicit-def: $vgpr6_vgpr7_vgpr8_vgpr9
; %bb.1025:                             ;   in Loop: Header=BB386_1010 Depth=1
	s_andn2_saveexec_b64 s[4:5], s[4:5]
; %bb.1026:                             ;   in Loop: Header=BB386_1010 Depth=1
	v_or_b32_e32 v6, 0x10000, v9
	v_cmp_eq_u32_sdwa vcc, v9, v37 src0_sel:WORD_0 src1_sel:DWORD
	v_cndmask_b32_e32 v16, v6, v9, vcc
; %bb.1027:                             ;   in Loop: Header=BB386_1010 Depth=1
	s_or_b64 exec, exec, s[4:5]
	v_and_b32_e32 v6, 0x7f800000, v0
	v_cmp_ne_u32_e32 vcc, s15, v6
                                        ; implicit-def: $vgpr13
	s_and_saveexec_b64 s[4:5], vcc
	s_xor_b64 s[4:5], exec, s[4:5]
; %bb.1028:                             ;   in Loop: Header=BB386_1010 Depth=1
	v_bfe_u32 v6, v0, 16, 1
	v_add3_u32 v13, v0, v6, s30
; %bb.1029:                             ;   in Loop: Header=BB386_1010 Depth=1
	s_andn2_saveexec_b64 s[4:5], s[4:5]
; %bb.1030:                             ;   in Loop: Header=BB386_1010 Depth=1
	v_or_b32_e32 v6, 0x10000, v0
	v_cmp_eq_u32_sdwa vcc, v0, v37 src0_sel:WORD_0 src1_sel:DWORD
	v_cndmask_b32_e32 v13, v6, v0, vcc
; %bb.1031:                             ;   in Loop: Header=BB386_1010 Depth=1
	s_or_b64 exec, exec, s[4:5]
	v_and_b32_e32 v0, 0x7f800000, v1
	v_cmp_ne_u32_e32 vcc, s15, v0
                                        ; implicit-def: $vgpr12
	s_and_saveexec_b64 s[4:5], vcc
	s_xor_b64 s[4:5], exec, s[4:5]
; %bb.1032:                             ;   in Loop: Header=BB386_1010 Depth=1
	v_bfe_u32 v0, v1, 16, 1
	v_add3_u32 v12, v1, v0, s30
; %bb.1033:                             ;   in Loop: Header=BB386_1010 Depth=1
	s_andn2_saveexec_b64 s[4:5], s[4:5]
; %bb.1034:                             ;   in Loop: Header=BB386_1010 Depth=1
	v_or_b32_e32 v0, 0x10000, v1
	v_cmp_eq_u32_sdwa vcc, v1, v37 src0_sel:WORD_0 src1_sel:DWORD
	v_cndmask_b32_e32 v12, v0, v1, vcc
; %bb.1035:                             ;   in Loop: Header=BB386_1010 Depth=1
	s_or_b64 exec, exec, s[4:5]
	v_and_b32_e32 v0, 0x7f800000, v2
	v_cmp_ne_u32_e32 vcc, s15, v0
                                        ; implicit-def: $vgpr11
	s_and_saveexec_b64 s[4:5], vcc
	s_xor_b64 s[4:5], exec, s[4:5]
; %bb.1036:                             ;   in Loop: Header=BB386_1010 Depth=1
	v_bfe_u32 v0, v2, 16, 1
	v_add3_u32 v11, v2, v0, s30
; %bb.1037:                             ;   in Loop: Header=BB386_1010 Depth=1
	s_andn2_saveexec_b64 s[4:5], s[4:5]
; %bb.1038:                             ;   in Loop: Header=BB386_1010 Depth=1
	v_or_b32_e32 v0, 0x10000, v2
	v_cmp_eq_u32_sdwa vcc, v2, v37 src0_sel:WORD_0 src1_sel:DWORD
	v_cndmask_b32_e32 v11, v0, v2, vcc
; %bb.1039:                             ;   in Loop: Header=BB386_1010 Depth=1
	s_or_b64 exec, exec, s[4:5]
	v_and_b32_e32 v0, 0x7f800000, v3
	v_cmp_ne_u32_e32 vcc, s15, v0
                                        ; implicit-def: $vgpr10
	s_and_saveexec_b64 s[4:5], vcc
	s_xor_b64 s[4:5], exec, s[4:5]
; %bb.1040:                             ;   in Loop: Header=BB386_1010 Depth=1
	v_bfe_u32 v0, v3, 16, 1
	v_add3_u32 v10, v3, v0, s30
                                        ; implicit-def: $vgpr0_vgpr1_vgpr2_vgpr3
; %bb.1041:                             ;   in Loop: Header=BB386_1010 Depth=1
	s_andn2_saveexec_b64 s[4:5], s[4:5]
; %bb.1042:                             ;   in Loop: Header=BB386_1010 Depth=1
	v_or_b32_e32 v0, 0x10000, v3
	v_cmp_eq_u32_sdwa vcc, v3, v37 src0_sel:WORD_0 src1_sel:DWORD
	v_cndmask_b32_e32 v10, v0, v3, vcc
; %bb.1043:                             ;   in Loop: Header=BB386_1010 Depth=1
	s_or_b64 exec, exec, s[4:5]
	buffer_load_dword v2, off, s[0:3], s32 offset:328 ; 4-byte Folded Reload
	buffer_load_dword v3, off, s[0:3], s32 offset:332 ; 4-byte Folded Reload
	;; [unrolled: 1-line block ×4, first 2 shown]
	s_waitcnt vmcnt(0)
	v_mad_i64_i32 v[0:1], s[4:5], v18, v0, v[2:3]
	buffer_load_dword v2, off, s[0:3], s32 offset:360 ; 4-byte Folded Reload
	buffer_load_dword v3, off, s[0:3], s32 offset:364 ; 4-byte Folded Reload
	s_waitcnt vmcnt(1)
	v_add_co_u32_e32 v2, vcc, v0, v2
	s_waitcnt vmcnt(0)
	v_addc_co_u32_e32 v3, vcc, 0, v1, vcc
	flat_load_dwordx2 v[6:7], v[2:3]
	buffer_load_dword v8, off, s[0:3], s32 offset:464 ; 4-byte Folded Reload
	buffer_load_dword v9, off, s[0:3], s32 offset:468 ; 4-byte Folded Reload
	s_waitcnt vmcnt(0) lgkmcnt(0)
	v_cmp_ne_u16_sdwa s[24:25], v6, v37 src0_sel:BYTE_0 src1_sel:DWORD
	flat_load_dword v9, v[8:9]
	v_mov_b32_e32 v8, 0
	s_and_saveexec_b64 s[4:5], s[24:25]
	s_cbranch_execz .LBB386_1049
; %bb.1044:                             ;   in Loop: Header=BB386_1010 Depth=1
	v_cmp_ne_u16_sdwa s[26:27], v6, s31 src0_sel:BYTE_0 src1_sel:DWORD
	v_bfrev_b32_e32 v8, 1
	s_and_saveexec_b64 s[24:25], s[26:27]
	s_cbranch_execz .LBB386_1048
; %bb.1045:                             ;   in Loop: Header=BB386_1010 Depth=1
	v_and_b32_e32 v18, 0x7f, v6
	v_cmp_ne_u32_e32 vcc, s34, v18
	v_mov_b32_e32 v8, 0x7f800001
	s_and_saveexec_b64 s[26:27], vcc
	s_cbranch_execz .LBB386_1047
; %bb.1046:                             ;   in Loop: Header=BB386_1010 Depth=1
	v_and_b32_e32 v8, 7, v6
	v_ffbh_u32_e32 v8, v8
	v_min_u32_e32 v8, 32, v8
	v_subrev_u32_e32 v22, 28, v8
	v_cmp_gt_u32_e32 vcc, 8, v18
	v_lshrrev_b32_e32 v19, 3, v18
	v_sub_u32_e32 v8, 29, v8
	v_cndmask_b32_e32 v18, 0, v22, vcc
	v_cndmask_b32_e32 v8, v19, v8, vcc
	v_lshlrev_b64 v[18:19], v18, v[6:7]
	v_lshlrev_b32_e32 v18, 20, v18
	v_lshlrev_b32_e32 v19, 24, v6
	v_and_b32_e32 v18, 0x700000, v18
	v_and_b32_e32 v19, 0x80000000, v19
	v_lshl_add_u32 v8, v8, 23, v5
	v_or3_b32 v8, v19, v8, v18
.LBB386_1047:                           ;   in Loop: Header=BB386_1010 Depth=1
	s_or_b64 exec, exec, s[26:27]
.LBB386_1048:                           ;   in Loop: Header=BB386_1010 Depth=1
	s_or_b64 exec, exec, s[24:25]
.LBB386_1049:                           ;   in Loop: Header=BB386_1010 Depth=1
	s_or_b64 exec, exec, s[4:5]
	s_waitcnt vmcnt(0) lgkmcnt(0)
	v_mul_f32_e32 v8, v9, v8
	v_and_b32_e32 v18, 0x7f800000, v8
	v_cmp_ne_u32_e32 vcc, s15, v18
                                        ; implicit-def: $vgpr22
	s_and_saveexec_b64 s[4:5], vcc
	s_xor_b64 s[4:5], exec, s[4:5]
; %bb.1050:                             ;   in Loop: Header=BB386_1010 Depth=1
	v_bfe_u32 v18, v8, 16, 1
	v_add3_u32 v22, v8, v18, s30
                                        ; implicit-def: $vgpr8
; %bb.1051:                             ;   in Loop: Header=BB386_1010 Depth=1
	s_andn2_saveexec_b64 s[4:5], s[4:5]
; %bb.1052:                             ;   in Loop: Header=BB386_1010 Depth=1
	v_or_b32_e32 v18, 0x10000, v8
	v_cmp_eq_u32_sdwa vcc, v8, v37 src0_sel:WORD_0 src1_sel:DWORD
	v_cndmask_b32_e32 v22, v18, v8, vcc
; %bb.1053:                             ;   in Loop: Header=BB386_1010 Depth=1
	s_or_b64 exec, exec, s[4:5]
	v_lshrrev_b16_e32 v8, 8, v6
	v_cmp_ne_u16_e32 vcc, 0, v8
	v_mov_b32_e32 v18, 0
	s_and_saveexec_b64 s[4:5], vcc
	s_cbranch_execz .LBB386_1059
; %bb.1054:                             ;   in Loop: Header=BB386_1010 Depth=1
	v_cmp_ne_u16_e32 vcc, s31, v8
	v_bfrev_b32_e32 v18, 1
	s_and_saveexec_b64 s[24:25], vcc
	s_cbranch_execz .LBB386_1058
; %bb.1055:                             ;   in Loop: Header=BB386_1010 Depth=1
	v_and_b32_e32 v19, 0x7f, v8
	v_cmp_ne_u32_e32 vcc, s34, v19
	v_mov_b32_e32 v18, 0x7f800001
	s_and_saveexec_b64 s[26:27], vcc
	s_cbranch_execz .LBB386_1057
; %bb.1056:                             ;   in Loop: Header=BB386_1010 Depth=1
	v_and_b32_e32 v18, 7, v8
	v_ffbh_u32_e32 v24, v18
	v_min_u32_e32 v26, 32, v24
	v_subrev_u32_e32 v24, 28, v26
	v_lshlrev_b64 v[24:25], v24, v[8:9]
	v_lshrrev_b32_e32 v23, 3, v19
	v_sub_u32_e32 v8, 29, v26
	v_and_b32_e32 v24, 7, v24
	v_cmp_gt_u32_e32 vcc, 8, v19
	v_cndmask_b32_e32 v8, v23, v8, vcc
	v_cndmask_b32_e32 v18, v18, v24, vcc
	v_lshlrev_b32_e32 v19, 16, v6
	v_lshlrev_b32_e32 v18, 20, v18
	v_and_b32_e32 v19, 0x80000000, v19
	v_lshl_add_u32 v8, v8, 23, v5
	v_or3_b32 v18, v19, v8, v18
.LBB386_1057:                           ;   in Loop: Header=BB386_1010 Depth=1
	s_or_b64 exec, exec, s[26:27]
.LBB386_1058:                           ;   in Loop: Header=BB386_1010 Depth=1
	s_or_b64 exec, exec, s[24:25]
.LBB386_1059:                           ;   in Loop: Header=BB386_1010 Depth=1
	s_or_b64 exec, exec, s[4:5]
	v_mul_f32_e32 v8, v9, v18
	v_and_b32_e32 v18, 0x7f800000, v8
	v_cmp_ne_u32_e32 vcc, s15, v18
                                        ; implicit-def: $vgpr18
	s_and_saveexec_b64 s[4:5], vcc
	s_xor_b64 s[4:5], exec, s[4:5]
; %bb.1060:                             ;   in Loop: Header=BB386_1010 Depth=1
	v_bfe_u32 v18, v8, 16, 1
	v_add3_u32 v18, v8, v18, s30
                                        ; implicit-def: $vgpr8
; %bb.1061:                             ;   in Loop: Header=BB386_1010 Depth=1
	s_andn2_saveexec_b64 s[4:5], s[4:5]
; %bb.1062:                             ;   in Loop: Header=BB386_1010 Depth=1
	v_or_b32_e32 v18, 0x10000, v8
	v_cmp_eq_u32_sdwa vcc, v8, v37 src0_sel:WORD_0 src1_sel:DWORD
	v_cndmask_b32_e32 v18, v18, v8, vcc
; %bb.1063:                             ;   in Loop: Header=BB386_1010 Depth=1
	s_or_b64 exec, exec, s[4:5]
	v_lshrrev_b32_e32 v8, 16, v6
	v_cmp_ne_u16_sdwa s[24:25], v8, v37 src0_sel:BYTE_0 src1_sel:DWORD
	v_mov_b32_e32 v19, 0
	s_and_saveexec_b64 s[4:5], s[24:25]
	s_cbranch_execz .LBB386_1069
; %bb.1064:                             ;   in Loop: Header=BB386_1010 Depth=1
	v_cmp_ne_u16_sdwa s[26:27], v8, s31 src0_sel:BYTE_0 src1_sel:DWORD
	v_bfrev_b32_e32 v19, 1
	s_and_saveexec_b64 s[24:25], s[26:27]
	s_cbranch_execz .LBB386_1068
; %bb.1065:                             ;   in Loop: Header=BB386_1010 Depth=1
	v_bfe_u32 v23, v6, 16, 7
	v_cmp_ne_u32_e32 vcc, s34, v23
	v_mov_b32_e32 v19, 0x7f800001
	s_and_saveexec_b64 s[26:27], vcc
	s_cbranch_execz .LBB386_1067
; %bb.1066:                             ;   in Loop: Header=BB386_1010 Depth=1
	v_and_b32_e32 v19, 7, v8
	v_ffbh_u32_e32 v24, v19
	v_min_u32_e32 v27, 32, v24
	v_subrev_u32_e32 v24, 28, v27
	v_lshlrev_b64 v[24:25], v24, v[8:9]
	v_lshrrev_b32_e32 v26, 3, v23
	v_sub_u32_e32 v25, 29, v27
	v_and_b32_e32 v24, 7, v24
	v_cmp_gt_u32_e32 vcc, 8, v23
	v_cndmask_b32_e32 v23, v26, v25, vcc
	v_cndmask_b32_e32 v19, v19, v24, vcc
	v_lshlrev_b32_e32 v8, 24, v8
	v_lshlrev_b32_e32 v19, 20, v19
	v_and_b32_e32 v8, 0x80000000, v8
	v_lshl_add_u32 v23, v23, 23, v5
	v_or3_b32 v19, v8, v23, v19
.LBB386_1067:                           ;   in Loop: Header=BB386_1010 Depth=1
	s_or_b64 exec, exec, s[26:27]
.LBB386_1068:                           ;   in Loop: Header=BB386_1010 Depth=1
	s_or_b64 exec, exec, s[24:25]
.LBB386_1069:                           ;   in Loop: Header=BB386_1010 Depth=1
	s_or_b64 exec, exec, s[4:5]
	v_mul_f32_e32 v8, v9, v19
	v_and_b32_e32 v19, 0x7f800000, v8
	v_cmp_ne_u32_e32 vcc, s15, v19
                                        ; implicit-def: $vgpr19
	s_and_saveexec_b64 s[4:5], vcc
	s_xor_b64 s[4:5], exec, s[4:5]
; %bb.1070:                             ;   in Loop: Header=BB386_1010 Depth=1
	v_bfe_u32 v19, v8, 16, 1
	v_add3_u32 v19, v8, v19, s30
                                        ; implicit-def: $vgpr8
; %bb.1071:                             ;   in Loop: Header=BB386_1010 Depth=1
	s_andn2_saveexec_b64 s[4:5], s[4:5]
; %bb.1072:                             ;   in Loop: Header=BB386_1010 Depth=1
	v_or_b32_e32 v19, 0x10000, v8
	v_cmp_eq_u32_sdwa vcc, v8, v37 src0_sel:WORD_0 src1_sel:DWORD
	v_cndmask_b32_e32 v19, v19, v8, vcc
; %bb.1073:                             ;   in Loop: Header=BB386_1010 Depth=1
	s_or_b64 exec, exec, s[4:5]
	v_cmp_lt_u32_e32 vcc, s11, v6
	v_mov_b32_e32 v23, 0
	s_and_saveexec_b64 s[4:5], vcc
	s_cbranch_execz .LBB386_1079
; %bb.1074:                             ;   in Loop: Header=BB386_1010 Depth=1
	v_lshrrev_b32_e32 v8, 24, v6
	v_cmp_ne_u32_e32 vcc, s31, v8
	v_bfrev_b32_e32 v23, 1
	s_and_saveexec_b64 s[24:25], vcc
	s_cbranch_execz .LBB386_1078
; %bb.1075:                             ;   in Loop: Header=BB386_1010 Depth=1
	v_bfe_u32 v24, v6, 24, 7
	v_cmp_ne_u32_e32 vcc, s34, v24
	v_mov_b32_e32 v23, 0x7f800001
	s_and_saveexec_b64 s[26:27], vcc
	s_cbranch_execz .LBB386_1077
; %bb.1076:                             ;   in Loop: Header=BB386_1010 Depth=1
	v_and_b32_e32 v23, 7, v8
	v_ffbh_u32_e32 v26, v23
	v_min_u32_e32 v28, 32, v26
	v_subrev_u32_e32 v26, 28, v28
	v_lshlrev_b64 v[26:27], v26, v[8:9]
	v_lshrrev_b32_e32 v25, 3, v24
	v_sub_u32_e32 v27, 29, v28
	v_and_b32_e32 v26, 7, v26
	v_cmp_gt_u32_e32 vcc, 8, v24
	v_cndmask_b32_e32 v24, v25, v27, vcc
	v_cndmask_b32_e32 v23, v23, v26, vcc
	v_lshlrev_b32_e32 v8, 24, v8
	v_lshlrev_b32_e32 v23, 20, v23
	v_and_b32_e32 v8, 0x80000000, v8
	v_lshl_add_u32 v24, v24, 23, v5
	v_or3_b32 v23, v8, v24, v23
.LBB386_1077:                           ;   in Loop: Header=BB386_1010 Depth=1
	s_or_b64 exec, exec, s[26:27]
.LBB386_1078:                           ;   in Loop: Header=BB386_1010 Depth=1
	s_or_b64 exec, exec, s[24:25]
.LBB386_1079:                           ;   in Loop: Header=BB386_1010 Depth=1
	s_or_b64 exec, exec, s[4:5]
	v_mul_f32_e32 v8, v9, v23
	v_and_b32_e32 v23, 0x7f800000, v8
	v_cmp_ne_u32_e32 vcc, s15, v23
                                        ; implicit-def: $vgpr24
	s_and_saveexec_b64 s[4:5], vcc
	s_xor_b64 s[4:5], exec, s[4:5]
; %bb.1080:                             ;   in Loop: Header=BB386_1010 Depth=1
	v_bfe_u32 v23, v8, 16, 1
	v_add3_u32 v24, v8, v23, s30
                                        ; implicit-def: $vgpr8
; %bb.1081:                             ;   in Loop: Header=BB386_1010 Depth=1
	s_andn2_saveexec_b64 s[4:5], s[4:5]
; %bb.1082:                             ;   in Loop: Header=BB386_1010 Depth=1
	v_or_b32_e32 v23, 0x10000, v8
	v_cmp_eq_u32_sdwa vcc, v8, v37 src0_sel:WORD_0 src1_sel:DWORD
	v_cndmask_b32_e32 v24, v23, v8, vcc
; %bb.1083:                             ;   in Loop: Header=BB386_1010 Depth=1
	s_or_b64 exec, exec, s[4:5]
	v_mov_b32_e32 v36, v7
	v_cmp_ne_u16_sdwa s[24:25], v7, v37 src0_sel:BYTE_0 src1_sel:DWORD
	v_mov_b32_e32 v8, 0
	s_and_saveexec_b64 s[4:5], s[24:25]
	s_cbranch_execz .LBB386_1089
; %bb.1084:                             ;   in Loop: Header=BB386_1010 Depth=1
	v_cmp_ne_u16_sdwa s[26:27], v7, s31 src0_sel:BYTE_0 src1_sel:DWORD
	v_bfrev_b32_e32 v8, 1
	s_and_saveexec_b64 s[24:25], s[26:27]
	s_cbranch_execz .LBB386_1088
; %bb.1085:                             ;   in Loop: Header=BB386_1010 Depth=1
	v_and_b32_e32 v23, 0x7f, v7
	v_cmp_ne_u32_e32 vcc, s34, v23
	v_mov_b32_e32 v8, 0x7f800001
	s_and_saveexec_b64 s[26:27], vcc
	s_cbranch_execz .LBB386_1087
; %bb.1086:                             ;   in Loop: Header=BB386_1010 Depth=1
	v_and_b32_e32 v8, 7, v7
	v_ffbh_u32_e32 v8, v8
	v_min_u32_e32 v8, 32, v8
	v_subrev_u32_e32 v26, 28, v8
	v_cmp_gt_u32_e32 vcc, 8, v23
	v_lshrrev_b32_e32 v25, 3, v23
	v_cndmask_b32_e32 v23, 0, v26, vcc
	v_sub_u32_e32 v8, 29, v8
	v_lshlrev_b64 v[26:27], v23, v[36:37]
	v_cndmask_b32_e32 v8, v25, v8, vcc
	v_lshlrev_b32_e32 v23, 20, v26
	v_lshlrev_b32_e32 v25, 24, v36
	v_and_b32_e32 v23, 0x700000, v23
	v_and_b32_e32 v25, 0x80000000, v25
	v_lshl_add_u32 v8, v8, 23, v5
	v_or3_b32 v8, v25, v8, v23
.LBB386_1087:                           ;   in Loop: Header=BB386_1010 Depth=1
	s_or_b64 exec, exec, s[26:27]
.LBB386_1088:                           ;   in Loop: Header=BB386_1010 Depth=1
	s_or_b64 exec, exec, s[24:25]
.LBB386_1089:                           ;   in Loop: Header=BB386_1010 Depth=1
	s_or_b64 exec, exec, s[4:5]
	v_mul_f32_e32 v8, v9, v8
	v_and_b32_e32 v23, 0x7f800000, v8
	v_cmp_ne_u32_e32 vcc, s15, v23
                                        ; implicit-def: $vgpr25
	s_and_saveexec_b64 s[4:5], vcc
	s_xor_b64 s[4:5], exec, s[4:5]
; %bb.1090:                             ;   in Loop: Header=BB386_1010 Depth=1
	v_bfe_u32 v23, v8, 16, 1
	v_add3_u32 v25, v8, v23, s30
                                        ; implicit-def: $vgpr8
; %bb.1091:                             ;   in Loop: Header=BB386_1010 Depth=1
	s_andn2_saveexec_b64 s[4:5], s[4:5]
; %bb.1092:                             ;   in Loop: Header=BB386_1010 Depth=1
	v_or_b32_e32 v23, 0x10000, v8
	v_cmp_eq_u32_sdwa vcc, v8, v37 src0_sel:WORD_0 src1_sel:DWORD
	v_cndmask_b32_e32 v25, v23, v8, vcc
; %bb.1093:                             ;   in Loop: Header=BB386_1010 Depth=1
	s_or_b64 exec, exec, s[4:5]
	v_lshrrev_b16_e32 v8, 8, v36
	v_cmp_ne_u16_e32 vcc, 0, v8
	v_mov_b32_e32 v23, 0
	s_and_saveexec_b64 s[4:5], vcc
	s_cbranch_execz .LBB386_1099
; %bb.1094:                             ;   in Loop: Header=BB386_1010 Depth=1
	v_cmp_ne_u16_e32 vcc, s31, v8
	v_bfrev_b32_e32 v23, 1
	s_and_saveexec_b64 s[24:25], vcc
	s_cbranch_execz .LBB386_1098
; %bb.1095:                             ;   in Loop: Header=BB386_1010 Depth=1
	v_and_b32_e32 v26, 0x7f, v8
	v_cmp_ne_u32_e32 vcc, s34, v26
	v_mov_b32_e32 v23, 0x7f800001
	s_and_saveexec_b64 s[26:27], vcc
	s_cbranch_execz .LBB386_1097
; %bb.1096:                             ;   in Loop: Header=BB386_1010 Depth=1
	v_and_b32_e32 v23, 7, v8
	v_ffbh_u32_e32 v28, v23
	v_min_u32_e32 v30, 32, v28
	v_subrev_u32_e32 v28, 28, v30
	v_lshlrev_b64 v[28:29], v28, v[8:9]
	v_lshrrev_b32_e32 v27, 3, v26
	v_sub_u32_e32 v8, 29, v30
	v_and_b32_e32 v28, 7, v28
	v_cmp_gt_u32_e32 vcc, 8, v26
	v_cndmask_b32_e32 v8, v27, v8, vcc
	v_cndmask_b32_e32 v23, v23, v28, vcc
	v_lshlrev_b32_e32 v26, 16, v36
	v_lshlrev_b32_e32 v23, 20, v23
	v_and_b32_e32 v26, 0x80000000, v26
	v_lshl_add_u32 v8, v8, 23, v5
	v_or3_b32 v23, v26, v8, v23
.LBB386_1097:                           ;   in Loop: Header=BB386_1010 Depth=1
	s_or_b64 exec, exec, s[26:27]
.LBB386_1098:                           ;   in Loop: Header=BB386_1010 Depth=1
	s_or_b64 exec, exec, s[24:25]
.LBB386_1099:                           ;   in Loop: Header=BB386_1010 Depth=1
	s_or_b64 exec, exec, s[4:5]
	v_mul_f32_e32 v8, v9, v23
	v_and_b32_e32 v23, 0x7f800000, v8
	v_cmp_ne_u32_e32 vcc, s15, v23
                                        ; implicit-def: $vgpr26
	s_and_saveexec_b64 s[4:5], vcc
	s_xor_b64 s[4:5], exec, s[4:5]
; %bb.1100:                             ;   in Loop: Header=BB386_1010 Depth=1
	v_bfe_u32 v23, v8, 16, 1
	v_add3_u32 v26, v8, v23, s30
                                        ; implicit-def: $vgpr8
; %bb.1101:                             ;   in Loop: Header=BB386_1010 Depth=1
	s_andn2_saveexec_b64 s[4:5], s[4:5]
; %bb.1102:                             ;   in Loop: Header=BB386_1010 Depth=1
	v_or_b32_e32 v23, 0x10000, v8
	v_cmp_eq_u32_sdwa vcc, v8, v37 src0_sel:WORD_0 src1_sel:DWORD
	v_cndmask_b32_e32 v26, v23, v8, vcc
; %bb.1103:                             ;   in Loop: Header=BB386_1010 Depth=1
	s_or_b64 exec, exec, s[4:5]
	v_lshrrev_b32_e32 v8, 16, v7
	v_cmp_ne_u16_sdwa s[24:25], v8, v37 src0_sel:BYTE_0 src1_sel:DWORD
	v_mov_b32_e32 v23, 0
	s_and_saveexec_b64 s[4:5], s[24:25]
	s_cbranch_execz .LBB386_1109
; %bb.1104:                             ;   in Loop: Header=BB386_1010 Depth=1
	v_cmp_ne_u16_sdwa s[26:27], v8, s31 src0_sel:BYTE_0 src1_sel:DWORD
	v_bfrev_b32_e32 v23, 1
	s_and_saveexec_b64 s[24:25], s[26:27]
	s_cbranch_execz .LBB386_1108
; %bb.1105:                             ;   in Loop: Header=BB386_1010 Depth=1
	v_bfe_u32 v27, v7, 16, 7
	v_cmp_ne_u32_e32 vcc, s34, v27
	v_mov_b32_e32 v23, 0x7f800001
	s_and_saveexec_b64 s[26:27], vcc
	s_cbranch_execz .LBB386_1107
; %bb.1106:                             ;   in Loop: Header=BB386_1010 Depth=1
	v_and_b32_e32 v23, 7, v8
	v_ffbh_u32_e32 v28, v23
	v_min_u32_e32 v31, 32, v28
	v_subrev_u32_e32 v28, 28, v31
	v_lshlrev_b64 v[28:29], v28, v[8:9]
	v_lshrrev_b32_e32 v30, 3, v27
	v_sub_u32_e32 v29, 29, v31
	v_and_b32_e32 v28, 7, v28
	v_cmp_gt_u32_e32 vcc, 8, v27
	v_cndmask_b32_e32 v27, v30, v29, vcc
	v_cndmask_b32_e32 v23, v23, v28, vcc
	v_lshlrev_b32_e32 v8, 24, v8
	v_lshlrev_b32_e32 v23, 20, v23
	v_and_b32_e32 v8, 0x80000000, v8
	v_lshl_add_u32 v27, v27, 23, v5
	v_or3_b32 v23, v8, v27, v23
.LBB386_1107:                           ;   in Loop: Header=BB386_1010 Depth=1
	s_or_b64 exec, exec, s[26:27]
.LBB386_1108:                           ;   in Loop: Header=BB386_1010 Depth=1
	s_or_b64 exec, exec, s[24:25]
.LBB386_1109:                           ;   in Loop: Header=BB386_1010 Depth=1
	s_or_b64 exec, exec, s[4:5]
	v_mul_f32_e32 v8, v9, v23
	v_and_b32_e32 v23, 0x7f800000, v8
	v_cmp_ne_u32_e32 vcc, s15, v23
                                        ; implicit-def: $vgpr27
	s_and_saveexec_b64 s[4:5], vcc
	s_xor_b64 s[4:5], exec, s[4:5]
; %bb.1110:                             ;   in Loop: Header=BB386_1010 Depth=1
	v_bfe_u32 v23, v8, 16, 1
	v_add3_u32 v27, v8, v23, s30
                                        ; implicit-def: $vgpr8
; %bb.1111:                             ;   in Loop: Header=BB386_1010 Depth=1
	s_andn2_saveexec_b64 s[4:5], s[4:5]
; %bb.1112:                             ;   in Loop: Header=BB386_1010 Depth=1
	v_or_b32_e32 v23, 0x10000, v8
	v_cmp_eq_u32_sdwa vcc, v8, v37 src0_sel:WORD_0 src1_sel:DWORD
	v_cndmask_b32_e32 v27, v23, v8, vcc
; %bb.1113:                             ;   in Loop: Header=BB386_1010 Depth=1
	s_or_b64 exec, exec, s[4:5]
	v_cmp_lt_u64_e32 vcc, s[10:11], v[6:7]
	v_mov_b32_e32 v8, 0
	s_and_saveexec_b64 s[4:5], vcc
	s_cbranch_execz .LBB386_1119
; %bb.1114:                             ;   in Loop: Header=BB386_1010 Depth=1
	v_lshrrev_b32_e32 v6, 24, v7
	v_cmp_ne_u32_e32 vcc, s31, v6
	v_bfrev_b32_e32 v8, 1
	s_and_saveexec_b64 s[24:25], vcc
	s_cbranch_execz .LBB386_1118
; %bb.1115:                             ;   in Loop: Header=BB386_1010 Depth=1
	v_bfe_u32 v7, v7, 24, 7
	v_cmp_ne_u32_e32 vcc, s34, v7
	v_mov_b32_e32 v8, 0x7f800001
	s_and_saveexec_b64 s[26:27], vcc
	s_cbranch_execz .LBB386_1117
; %bb.1116:                             ;   in Loop: Header=BB386_1010 Depth=1
	v_and_b32_e32 v8, 7, v6
	v_ffbh_u32_e32 v28, v8
	v_min_u32_e32 v30, 32, v28
	v_subrev_u32_e32 v28, 28, v30
	v_lshlrev_b64 v[28:29], v28, v[6:7]
	v_lshrrev_b32_e32 v23, 3, v7
	v_sub_u32_e32 v29, 29, v30
	v_and_b32_e32 v28, 7, v28
	v_cmp_gt_u32_e32 vcc, 8, v7
	v_cndmask_b32_e32 v7, v23, v29, vcc
	v_cndmask_b32_e32 v8, v8, v28, vcc
	v_lshlrev_b32_e32 v6, 24, v6
	v_lshlrev_b32_e32 v8, 20, v8
	v_and_b32_e32 v6, 0x80000000, v6
	v_lshl_add_u32 v7, v7, 23, v5
	v_or3_b32 v8, v6, v7, v8
.LBB386_1117:                           ;   in Loop: Header=BB386_1010 Depth=1
	s_or_b64 exec, exec, s[26:27]
.LBB386_1118:                           ;   in Loop: Header=BB386_1010 Depth=1
	s_or_b64 exec, exec, s[24:25]
.LBB386_1119:                           ;   in Loop: Header=BB386_1010 Depth=1
	s_or_b64 exec, exec, s[4:5]
	v_mul_f32_e32 v7, v9, v8
	v_and_b32_e32 v6, 0x7f800000, v7
	v_cmp_ne_u32_e32 vcc, s15, v6
                                        ; implicit-def: $vgpr6
	s_and_saveexec_b64 s[4:5], vcc
	s_xor_b64 s[4:5], exec, s[4:5]
; %bb.1120:                             ;   in Loop: Header=BB386_1010 Depth=1
	v_bfe_u32 v6, v7, 16, 1
	v_add3_u32 v6, v7, v6, s30
                                        ; implicit-def: $vgpr7
; %bb.1121:                             ;   in Loop: Header=BB386_1010 Depth=1
	s_andn2_saveexec_b64 s[4:5], s[4:5]
; %bb.1122:                             ;   in Loop: Header=BB386_1010 Depth=1
	v_or_b32_e32 v6, 0x10000, v7
	v_cmp_eq_u32_sdwa vcc, v7, v37 src0_sel:WORD_0 src1_sel:DWORD
	v_cndmask_b32_e32 v6, v6, v7, vcc
; %bb.1123:                             ;   in Loop: Header=BB386_1010 Depth=1
	s_or_b64 exec, exec, s[4:5]
	buffer_load_dword v7, off, s[0:3], s32 offset:324 ; 4-byte Folded Reload
	v_accvgpr_read_b32 v8, a12
	v_lshrrev_b32_e32 v23, 16, v24
	v_lshrrev_b32_e32 v25, 16, v25
	;; [unrolled: 1-line block ×6, first 2 shown]
	s_waitcnt vmcnt(0)
	v_cmp_eq_u32_e32 vcc, v7, v8
	buffer_load_dword v8, off, s[0:3], s32 offset:320 ; 4-byte Folded Reload
	v_accvgpr_read_b32 v7, a13
	s_waitcnt vmcnt(0)
	v_add_u32_e32 v53, v8, v7
	v_add_u32_e32 v24, 1, v53
	v_accvgpr_write_b32 a54, v24
	v_add_u32_e32 v24, 2, v53
	v_accvgpr_write_b32 a53, v24
	;; [unrolled: 2-line block ×6, first 2 shown]
	v_add_u32_e32 v24, 7, v53
	v_lshrrev_b32_e32 v8, 16, v26
	v_lshrrev_b32_e32 v7, 16, v27
	v_accvgpr_write_b32 a48, v24
	s_and_saveexec_b64 s[24:25], vcc
	s_cbranch_execz .LBB386_1125
; %bb.1124:                             ;   in Loop: Header=BB386_1010 Depth=1
	buffer_load_dword v26, off, s[0:3], s32 offset:196 ; 4-byte Folded Reload
	v_accvgpr_read_b32 v24, a54
	s_waitcnt vmcnt(0)
	v_cmp_lt_i32_e64 s[4:5], v53, v26
	v_cndmask_b32_e64 v22, 0, v22, s[4:5]
	v_cmp_lt_i32_e64 s[4:5], v24, v26
	v_accvgpr_read_b32 v24, a53
	v_cndmask_b32_e64 v18, 0, v18, s[4:5]
	v_cmp_lt_i32_e64 s[4:5], v24, v26
	v_accvgpr_read_b32 v24, a52
	;; [unrolled: 3-line block ×6, first 2 shown]
	v_cndmask_b32_e64 v7, 0, v7, s[4:5]
	v_cmp_lt_i32_e64 s[4:5], v24, v26
	v_cndmask_b32_e64 v6, 0, v6, s[4:5]
.LBB386_1125:                           ;   in Loop: Header=BB386_1010 Depth=1
	s_or_b64 exec, exec, s[24:25]
	v_and_b32_e32 v39, 0xffff0000, v21
	v_lshlrev_b32_e32 v21, 16, v22
	v_mul_f32_e32 v21, v39, v21
	v_and_b32_e32 v22, 0x7f800000, v21
	v_cmp_ne_u32_e64 s[4:5], s15, v22
                                        ; implicit-def: $vgpr33
	s_and_saveexec_b64 s[24:25], s[4:5]
	s_xor_b64 s[4:5], exec, s[24:25]
; %bb.1126:                             ;   in Loop: Header=BB386_1010 Depth=1
	v_bfe_u32 v22, v21, 16, 1
	v_add3_u32 v33, v21, v22, s30
                                        ; implicit-def: $vgpr21
; %bb.1127:                             ;   in Loop: Header=BB386_1010 Depth=1
	s_andn2_saveexec_b64 s[24:25], s[4:5]
; %bb.1128:                             ;   in Loop: Header=BB386_1010 Depth=1
	v_or_b32_e32 v22, 0x10000, v21
	v_cmp_eq_u32_sdwa s[4:5], v21, v37 src0_sel:WORD_0 src1_sel:DWORD
	v_cndmask_b32_e64 v33, v22, v21, s[4:5]
; %bb.1129:                             ;   in Loop: Header=BB386_1010 Depth=1
	s_or_b64 exec, exec, s[24:25]
	v_and_b32_e32 v31, 0xffff0000, v20
	v_lshlrev_b32_e32 v18, 16, v18
	v_mul_f32_e32 v18, v31, v18
	v_and_b32_e32 v20, 0x7f800000, v18
	v_cmp_ne_u32_e64 s[4:5], s15, v20
                                        ; implicit-def: $vgpr20
                                        ; kill: killed $vgpr20
	s_and_saveexec_b64 s[24:25], s[4:5]
	s_xor_b64 s[4:5], exec, s[24:25]
	s_cbranch_execz .LBB386_1131
; %bb.1130:                             ;   in Loop: Header=BB386_1010 Depth=1
	v_bfe_u32 v20, v18, 16, 1
	v_add3_u32 v18, v18, v20, s30
	buffer_store_dword v18, off, s[0:3], s32 offset:292 ; 4-byte Folded Spill
                                        ; implicit-def: $vgpr18
.LBB386_1131:                           ;   in Loop: Header=BB386_1010 Depth=1
	s_andn2_saveexec_b64 s[24:25], s[4:5]
	s_cbranch_execz .LBB386_1133
; %bb.1132:                             ;   in Loop: Header=BB386_1010 Depth=1
	v_or_b32_e32 v20, 0x10000, v18
	v_cmp_eq_u32_sdwa s[4:5], v18, v37 src0_sel:WORD_0 src1_sel:DWORD
	v_cndmask_b32_e64 v18, v20, v18, s[4:5]
	buffer_store_dword v18, off, s[0:3], s32 offset:292 ; 4-byte Folded Spill
.LBB386_1133:                           ;   in Loop: Header=BB386_1010 Depth=1
	s_or_b64 exec, exec, s[24:25]
	v_and_b32_e32 v30, 0xffff0000, v17
	v_lshlrev_b32_e32 v17, 16, v19
	v_mul_f32_e32 v17, v30, v17
	v_and_b32_e32 v18, 0x7f800000, v17
	v_cmp_ne_u32_e64 s[4:5], s15, v18
                                        ; implicit-def: $vgpr18
                                        ; kill: killed $vgpr18
	s_and_saveexec_b64 s[24:25], s[4:5]
	s_xor_b64 s[4:5], exec, s[24:25]
	s_cbranch_execz .LBB386_1135
; %bb.1134:                             ;   in Loop: Header=BB386_1010 Depth=1
	v_bfe_u32 v18, v17, 16, 1
	v_add3_u32 v17, v17, v18, s30
	buffer_store_dword v17, off, s[0:3], s32 offset:308 ; 4-byte Folded Spill
                                        ; implicit-def: $vgpr17
.LBB386_1135:                           ;   in Loop: Header=BB386_1010 Depth=1
	s_andn2_saveexec_b64 s[24:25], s[4:5]
	s_cbranch_execz .LBB386_1137
; %bb.1136:                             ;   in Loop: Header=BB386_1010 Depth=1
	v_or_b32_e32 v18, 0x10000, v17
	v_cmp_eq_u32_sdwa s[4:5], v17, v37 src0_sel:WORD_0 src1_sel:DWORD
	v_cndmask_b32_e64 v17, v18, v17, s[4:5]
	buffer_store_dword v17, off, s[0:3], s32 offset:308 ; 4-byte Folded Spill
.LBB386_1137:                           ;   in Loop: Header=BB386_1010 Depth=1
	s_or_b64 exec, exec, s[24:25]
	v_and_b32_e32 v49, 0xffff0000, v16
	v_lshlrev_b32_e32 v16, 16, v23
	v_mul_f32_e32 v16, v49, v16
	v_and_b32_e32 v17, 0x7f800000, v16
	v_cmp_ne_u32_e64 s[4:5], s15, v17
                                        ; implicit-def: $vgpr17
                                        ; kill: killed $vgpr17
	s_and_saveexec_b64 s[24:25], s[4:5]
	s_xor_b64 s[4:5], exec, s[24:25]
	s_cbranch_execz .LBB386_1139
; %bb.1138:                             ;   in Loop: Header=BB386_1010 Depth=1
	v_bfe_u32 v17, v16, 16, 1
	v_add3_u32 v16, v16, v17, s30
	buffer_store_dword v16, off, s[0:3], s32 offset:312 ; 4-byte Folded Spill
                                        ; implicit-def: $vgpr16
.LBB386_1139:                           ;   in Loop: Header=BB386_1010 Depth=1
	s_andn2_saveexec_b64 s[24:25], s[4:5]
	s_cbranch_execz .LBB386_1141
; %bb.1140:                             ;   in Loop: Header=BB386_1010 Depth=1
	v_or_b32_e32 v17, 0x10000, v16
	v_cmp_eq_u32_sdwa s[4:5], v16, v37 src0_sel:WORD_0 src1_sel:DWORD
	v_cndmask_b32_e64 v16, v17, v16, s[4:5]
	buffer_store_dword v16, off, s[0:3], s32 offset:312 ; 4-byte Folded Spill
.LBB386_1141:                           ;   in Loop: Header=BB386_1010 Depth=1
	s_or_b64 exec, exec, s[24:25]
	v_and_b32_e32 v51, 0xffff0000, v13
	v_lshlrev_b32_e32 v13, 16, v25
	v_mul_f32_e32 v13, v51, v13
	v_and_b32_e32 v16, 0x7f800000, v13
	v_cmp_ne_u32_e64 s[4:5], s15, v16
                                        ; implicit-def: $vgpr16
                                        ; kill: killed $vgpr16
	s_and_saveexec_b64 s[24:25], s[4:5]
	s_xor_b64 s[4:5], exec, s[24:25]
	s_cbranch_execz .LBB386_1143
; %bb.1142:                             ;   in Loop: Header=BB386_1010 Depth=1
	v_bfe_u32 v16, v13, 16, 1
	v_add3_u32 v13, v13, v16, s30
	buffer_store_dword v13, off, s[0:3], s32 offset:316 ; 4-byte Folded Spill
                                        ; implicit-def: $vgpr13
.LBB386_1143:                           ;   in Loop: Header=BB386_1010 Depth=1
	s_andn2_saveexec_b64 s[24:25], s[4:5]
	s_cbranch_execz .LBB386_1145
; %bb.1144:                             ;   in Loop: Header=BB386_1010 Depth=1
	v_or_b32_e32 v16, 0x10000, v13
	v_cmp_eq_u32_sdwa s[4:5], v13, v37 src0_sel:WORD_0 src1_sel:DWORD
	v_cndmask_b32_e64 v13, v16, v13, s[4:5]
	buffer_store_dword v13, off, s[0:3], s32 offset:316 ; 4-byte Folded Spill
.LBB386_1145:                           ;   in Loop: Header=BB386_1010 Depth=1
	s_or_b64 exec, exec, s[24:25]
	v_and_b32_e32 v54, 0xffff0000, v12
	v_lshlrev_b32_e32 v8, 16, v8
	v_mul_f32_e32 v8, v54, v8
	v_and_b32_e32 v12, 0x7f800000, v8
	v_cmp_ne_u32_e64 s[4:5], s15, v12
                                        ; implicit-def: $agpr43
	s_and_saveexec_b64 s[24:25], s[4:5]
	s_xor_b64 s[4:5], exec, s[24:25]
; %bb.1146:                             ;   in Loop: Header=BB386_1010 Depth=1
	v_bfe_u32 v12, v8, 16, 1
	v_add3_u32 v8, v8, v12, s30
	v_accvgpr_write_b32 a43, v8
                                        ; implicit-def: $vgpr8
; %bb.1147:                             ;   in Loop: Header=BB386_1010 Depth=1
	s_andn2_saveexec_b64 s[24:25], s[4:5]
; %bb.1148:                             ;   in Loop: Header=BB386_1010 Depth=1
	v_or_b32_e32 v12, 0x10000, v8
	v_cmp_eq_u32_sdwa s[4:5], v8, v37 src0_sel:WORD_0 src1_sel:DWORD
	v_cndmask_b32_e64 v8, v12, v8, s[4:5]
	v_accvgpr_write_b32 a43, v8
; %bb.1149:                             ;   in Loop: Header=BB386_1010 Depth=1
	s_or_b64 exec, exec, s[24:25]
	v_and_b32_e32 v27, 0xffff0000, v11
	v_lshlrev_b32_e32 v7, 16, v7
	v_mul_f32_e32 v7, v27, v7
	v_and_b32_e32 v8, 0x7f800000, v7
	v_cmp_ne_u32_e64 s[4:5], s15, v8
                                        ; implicit-def: $agpr45
	s_and_saveexec_b64 s[24:25], s[4:5]
	s_xor_b64 s[4:5], exec, s[24:25]
; %bb.1150:                             ;   in Loop: Header=BB386_1010 Depth=1
	v_bfe_u32 v8, v7, 16, 1
	v_add3_u32 v7, v7, v8, s30
	v_accvgpr_write_b32 a45, v7
                                        ; implicit-def: $vgpr7
; %bb.1151:                             ;   in Loop: Header=BB386_1010 Depth=1
	s_andn2_saveexec_b64 s[24:25], s[4:5]
; %bb.1152:                             ;   in Loop: Header=BB386_1010 Depth=1
	v_or_b32_e32 v8, 0x10000, v7
	v_cmp_eq_u32_sdwa s[4:5], v7, v37 src0_sel:WORD_0 src1_sel:DWORD
	v_cndmask_b32_e64 v7, v8, v7, s[4:5]
	v_accvgpr_write_b32 a45, v7
; %bb.1153:                             ;   in Loop: Header=BB386_1010 Depth=1
	s_or_b64 exec, exec, s[24:25]
	v_and_b32_e32 v26, 0xffff0000, v10
	v_lshlrev_b32_e32 v6, 16, v6
	v_mul_f32_e32 v6, v26, v6
	v_and_b32_e32 v7, 0x7f800000, v6
	v_cmp_ne_u32_e64 s[4:5], s15, v7
                                        ; implicit-def: $agpr47
	s_and_saveexec_b64 s[24:25], s[4:5]
	s_xor_b64 s[4:5], exec, s[24:25]
; %bb.1154:                             ;   in Loop: Header=BB386_1010 Depth=1
	v_bfe_u32 v7, v6, 16, 1
	v_add3_u32 v6, v6, v7, s30
	v_accvgpr_write_b32 a47, v6
                                        ; implicit-def: $vgpr6
; %bb.1155:                             ;   in Loop: Header=BB386_1010 Depth=1
	s_andn2_saveexec_b64 s[24:25], s[4:5]
; %bb.1156:                             ;   in Loop: Header=BB386_1010 Depth=1
	v_or_b32_e32 v7, 0x10000, v6
	v_cmp_eq_u32_sdwa s[4:5], v6, v37 src0_sel:WORD_0 src1_sel:DWORD
	v_cndmask_b32_e64 v6, v7, v6, s[4:5]
	v_accvgpr_write_b32 a47, v6
; %bb.1157:                             ;   in Loop: Header=BB386_1010 Depth=1
	s_or_b64 exec, exec, s[24:25]
	flat_load_dwordx2 v[6:7], v[2:3] offset:512
	v_mov_b32_e32 v8, 0
	s_waitcnt vmcnt(0) lgkmcnt(0)
	v_cmp_ne_u16_sdwa s[4:5], v6, v37 src0_sel:BYTE_0 src1_sel:DWORD
	s_and_saveexec_b64 s[24:25], s[4:5]
	s_cbranch_execz .LBB386_1163
; %bb.1158:                             ;   in Loop: Header=BB386_1010 Depth=1
	v_cmp_ne_u16_sdwa s[4:5], v6, s31 src0_sel:BYTE_0 src1_sel:DWORD
	v_bfrev_b32_e32 v8, 1
	s_and_saveexec_b64 s[26:27], s[4:5]
	s_cbranch_execz .LBB386_1162
; %bb.1159:                             ;   in Loop: Header=BB386_1010 Depth=1
	v_and_b32_e32 v10, 0x7f, v6
	v_cmp_ne_u32_e64 s[4:5], s34, v10
	v_mov_b32_e32 v8, 0x7f800001
	s_and_saveexec_b64 s[28:29], s[4:5]
	s_cbranch_execz .LBB386_1161
; %bb.1160:                             ;   in Loop: Header=BB386_1010 Depth=1
	v_and_b32_e32 v8, 7, v6
	v_ffbh_u32_e32 v8, v8
	v_min_u32_e32 v8, 32, v8
	v_subrev_u32_e32 v12, 28, v8
	v_cmp_gt_u32_e64 s[4:5], 8, v10
	v_lshrrev_b32_e32 v11, 3, v10
	v_sub_u32_e32 v8, 29, v8
	v_cndmask_b32_e64 v10, 0, v12, s[4:5]
	v_cndmask_b32_e64 v8, v11, v8, s[4:5]
	v_lshlrev_b64 v[10:11], v10, v[6:7]
	v_lshlrev_b32_e32 v10, 20, v10
	v_lshlrev_b32_e32 v11, 24, v6
	v_and_b32_e32 v10, 0x700000, v10
	v_and_b32_e32 v11, 0x80000000, v11
	v_lshl_add_u32 v8, v8, 23, v5
	v_or3_b32 v8, v11, v8, v10
.LBB386_1161:                           ;   in Loop: Header=BB386_1010 Depth=1
	s_or_b64 exec, exec, s[28:29]
.LBB386_1162:                           ;   in Loop: Header=BB386_1010 Depth=1
	s_or_b64 exec, exec, s[26:27]
.LBB386_1163:                           ;   in Loop: Header=BB386_1010 Depth=1
	s_or_b64 exec, exec, s[24:25]
	v_mul_f32_e32 v8, v9, v8
	v_and_b32_e32 v10, 0x7f800000, v8
	v_cmp_ne_u32_e64 s[4:5], s15, v10
                                        ; implicit-def: $vgpr10
	s_and_saveexec_b64 s[24:25], s[4:5]
	s_xor_b64 s[4:5], exec, s[24:25]
; %bb.1164:                             ;   in Loop: Header=BB386_1010 Depth=1
	v_bfe_u32 v10, v8, 16, 1
	v_add3_u32 v10, v8, v10, s30
                                        ; implicit-def: $vgpr8
; %bb.1165:                             ;   in Loop: Header=BB386_1010 Depth=1
	s_andn2_saveexec_b64 s[24:25], s[4:5]
; %bb.1166:                             ;   in Loop: Header=BB386_1010 Depth=1
	v_or_b32_e32 v10, 0x10000, v8
	v_cmp_eq_u32_sdwa s[4:5], v8, v37 src0_sel:WORD_0 src1_sel:DWORD
	v_cndmask_b32_e64 v10, v10, v8, s[4:5]
; %bb.1167:                             ;   in Loop: Header=BB386_1010 Depth=1
	s_or_b64 exec, exec, s[24:25]
	v_lshrrev_b16_e32 v8, 8, v6
	v_cmp_ne_u16_e64 s[4:5], 0, v8
	v_mov_b32_e32 v11, 0
	s_and_saveexec_b64 s[24:25], s[4:5]
	s_cbranch_execz .LBB386_1173
; %bb.1168:                             ;   in Loop: Header=BB386_1010 Depth=1
	v_cmp_ne_u16_e64 s[4:5], s31, v8
	v_bfrev_b32_e32 v11, 1
	s_and_saveexec_b64 s[26:27], s[4:5]
	s_cbranch_execz .LBB386_1172
; %bb.1169:                             ;   in Loop: Header=BB386_1010 Depth=1
	v_and_b32_e32 v12, 0x7f, v8
	v_cmp_ne_u32_e64 s[4:5], s34, v12
	v_mov_b32_e32 v11, 0x7f800001
	s_and_saveexec_b64 s[28:29], s[4:5]
	s_cbranch_execz .LBB386_1171
; %bb.1170:                             ;   in Loop: Header=BB386_1010 Depth=1
	v_and_b32_e32 v11, 7, v8
	v_ffbh_u32_e32 v16, v11
	v_min_u32_e32 v18, 32, v16
	v_subrev_u32_e32 v16, 28, v18
	v_lshlrev_b64 v[16:17], v16, v[8:9]
	v_lshrrev_b32_e32 v13, 3, v12
	v_sub_u32_e32 v8, 29, v18
	v_and_b32_e32 v16, 7, v16
	v_cmp_gt_u32_e64 s[4:5], 8, v12
	v_cndmask_b32_e64 v8, v13, v8, s[4:5]
	v_cndmask_b32_e64 v11, v11, v16, s[4:5]
	v_lshlrev_b32_e32 v12, 16, v6
	v_lshlrev_b32_e32 v11, 20, v11
	v_and_b32_e32 v12, 0x80000000, v12
	v_lshl_add_u32 v8, v8, 23, v5
	v_or3_b32 v11, v12, v8, v11
.LBB386_1171:                           ;   in Loop: Header=BB386_1010 Depth=1
	s_or_b64 exec, exec, s[28:29]
.LBB386_1172:                           ;   in Loop: Header=BB386_1010 Depth=1
	s_or_b64 exec, exec, s[26:27]
.LBB386_1173:                           ;   in Loop: Header=BB386_1010 Depth=1
	s_or_b64 exec, exec, s[24:25]
	v_mul_f32_e32 v8, v9, v11
	v_and_b32_e32 v11, 0x7f800000, v8
	v_cmp_ne_u32_e64 s[4:5], s15, v11
                                        ; implicit-def: $vgpr11
	s_and_saveexec_b64 s[24:25], s[4:5]
	s_xor_b64 s[4:5], exec, s[24:25]
; %bb.1174:                             ;   in Loop: Header=BB386_1010 Depth=1
	v_bfe_u32 v11, v8, 16, 1
	v_add3_u32 v11, v8, v11, s30
                                        ; implicit-def: $vgpr8
; %bb.1175:                             ;   in Loop: Header=BB386_1010 Depth=1
	s_andn2_saveexec_b64 s[24:25], s[4:5]
; %bb.1176:                             ;   in Loop: Header=BB386_1010 Depth=1
	v_or_b32_e32 v11, 0x10000, v8
	v_cmp_eq_u32_sdwa s[4:5], v8, v37 src0_sel:WORD_0 src1_sel:DWORD
	v_cndmask_b32_e64 v11, v11, v8, s[4:5]
; %bb.1177:                             ;   in Loop: Header=BB386_1010 Depth=1
	s_or_b64 exec, exec, s[24:25]
	v_lshrrev_b32_e32 v8, 16, v6
	v_cmp_ne_u16_sdwa s[4:5], v8, v37 src0_sel:BYTE_0 src1_sel:DWORD
	v_mov_b32_e32 v12, 0
	s_and_saveexec_b64 s[24:25], s[4:5]
	s_cbranch_execz .LBB386_1183
; %bb.1178:                             ;   in Loop: Header=BB386_1010 Depth=1
	v_cmp_ne_u16_sdwa s[4:5], v8, s31 src0_sel:BYTE_0 src1_sel:DWORD
	v_bfrev_b32_e32 v12, 1
	s_and_saveexec_b64 s[26:27], s[4:5]
	s_cbranch_execz .LBB386_1182
; %bb.1179:                             ;   in Loop: Header=BB386_1010 Depth=1
	v_bfe_u32 v13, v6, 16, 7
	v_cmp_ne_u32_e64 s[4:5], s34, v13
	v_mov_b32_e32 v12, 0x7f800001
	s_and_saveexec_b64 s[28:29], s[4:5]
	s_cbranch_execz .LBB386_1181
; %bb.1180:                             ;   in Loop: Header=BB386_1010 Depth=1
	v_and_b32_e32 v12, 7, v8
	v_ffbh_u32_e32 v16, v12
	v_min_u32_e32 v19, 32, v16
	v_subrev_u32_e32 v16, 28, v19
	v_lshlrev_b64 v[16:17], v16, v[8:9]
	v_lshrrev_b32_e32 v18, 3, v13
	v_sub_u32_e32 v17, 29, v19
	v_and_b32_e32 v16, 7, v16
	v_cmp_gt_u32_e64 s[4:5], 8, v13
	v_cndmask_b32_e64 v13, v18, v17, s[4:5]
	v_cndmask_b32_e64 v12, v12, v16, s[4:5]
	v_lshlrev_b32_e32 v8, 24, v8
	v_lshlrev_b32_e32 v12, 20, v12
	v_and_b32_e32 v8, 0x80000000, v8
	v_lshl_add_u32 v13, v13, 23, v5
	v_or3_b32 v12, v8, v13, v12
.LBB386_1181:                           ;   in Loop: Header=BB386_1010 Depth=1
	s_or_b64 exec, exec, s[28:29]
.LBB386_1182:                           ;   in Loop: Header=BB386_1010 Depth=1
	s_or_b64 exec, exec, s[26:27]
.LBB386_1183:                           ;   in Loop: Header=BB386_1010 Depth=1
	s_or_b64 exec, exec, s[24:25]
	v_mul_f32_e32 v8, v9, v12
	v_and_b32_e32 v12, 0x7f800000, v8
	v_cmp_ne_u32_e64 s[4:5], s15, v12
                                        ; implicit-def: $vgpr12
	s_and_saveexec_b64 s[24:25], s[4:5]
	s_xor_b64 s[4:5], exec, s[24:25]
; %bb.1184:                             ;   in Loop: Header=BB386_1010 Depth=1
	v_bfe_u32 v12, v8, 16, 1
	v_add3_u32 v12, v8, v12, s30
                                        ; implicit-def: $vgpr8
; %bb.1185:                             ;   in Loop: Header=BB386_1010 Depth=1
	s_andn2_saveexec_b64 s[24:25], s[4:5]
; %bb.1186:                             ;   in Loop: Header=BB386_1010 Depth=1
	v_or_b32_e32 v12, 0x10000, v8
	v_cmp_eq_u32_sdwa s[4:5], v8, v37 src0_sel:WORD_0 src1_sel:DWORD
	v_cndmask_b32_e64 v12, v12, v8, s[4:5]
; %bb.1187:                             ;   in Loop: Header=BB386_1010 Depth=1
	s_or_b64 exec, exec, s[24:25]
	v_cmp_lt_u32_e64 s[4:5], s11, v6
	v_mov_b32_e32 v13, 0
	s_and_saveexec_b64 s[24:25], s[4:5]
	s_cbranch_execz .LBB386_1193
; %bb.1188:                             ;   in Loop: Header=BB386_1010 Depth=1
	v_lshrrev_b32_e32 v8, 24, v6
	v_cmp_ne_u32_e64 s[4:5], s31, v8
	v_bfrev_b32_e32 v13, 1
	s_and_saveexec_b64 s[26:27], s[4:5]
	s_cbranch_execz .LBB386_1192
; %bb.1189:                             ;   in Loop: Header=BB386_1010 Depth=1
	v_bfe_u32 v16, v6, 24, 7
	v_cmp_ne_u32_e64 s[4:5], s34, v16
	v_mov_b32_e32 v13, 0x7f800001
	s_and_saveexec_b64 s[28:29], s[4:5]
	s_cbranch_execz .LBB386_1191
; %bb.1190:                             ;   in Loop: Header=BB386_1010 Depth=1
	v_and_b32_e32 v13, 7, v8
	v_ffbh_u32_e32 v18, v13
	v_min_u32_e32 v20, 32, v18
	v_subrev_u32_e32 v18, 28, v20
	v_lshlrev_b64 v[18:19], v18, v[8:9]
	v_lshrrev_b32_e32 v17, 3, v16
	v_sub_u32_e32 v19, 29, v20
	v_and_b32_e32 v18, 7, v18
	v_cmp_gt_u32_e64 s[4:5], 8, v16
	v_cndmask_b32_e64 v16, v17, v19, s[4:5]
	v_cndmask_b32_e64 v13, v13, v18, s[4:5]
	v_lshlrev_b32_e32 v8, 24, v8
	v_lshlrev_b32_e32 v13, 20, v13
	v_and_b32_e32 v8, 0x80000000, v8
	v_lshl_add_u32 v16, v16, 23, v5
	v_or3_b32 v13, v8, v16, v13
.LBB386_1191:                           ;   in Loop: Header=BB386_1010 Depth=1
	s_or_b64 exec, exec, s[28:29]
.LBB386_1192:                           ;   in Loop: Header=BB386_1010 Depth=1
	s_or_b64 exec, exec, s[26:27]
.LBB386_1193:                           ;   in Loop: Header=BB386_1010 Depth=1
	s_or_b64 exec, exec, s[24:25]
	v_mul_f32_e32 v8, v9, v13
	v_and_b32_e32 v13, 0x7f800000, v8
	v_cmp_ne_u32_e64 s[4:5], s15, v13
                                        ; implicit-def: $vgpr13
	s_and_saveexec_b64 s[24:25], s[4:5]
	s_xor_b64 s[4:5], exec, s[24:25]
; %bb.1194:                             ;   in Loop: Header=BB386_1010 Depth=1
	v_bfe_u32 v13, v8, 16, 1
	v_add3_u32 v13, v8, v13, s30
                                        ; implicit-def: $vgpr8
; %bb.1195:                             ;   in Loop: Header=BB386_1010 Depth=1
	s_andn2_saveexec_b64 s[24:25], s[4:5]
; %bb.1196:                             ;   in Loop: Header=BB386_1010 Depth=1
	v_or_b32_e32 v13, 0x10000, v8
	v_cmp_eq_u32_sdwa s[4:5], v8, v37 src0_sel:WORD_0 src1_sel:DWORD
	v_cndmask_b32_e64 v13, v13, v8, s[4:5]
; %bb.1197:                             ;   in Loop: Header=BB386_1010 Depth=1
	s_or_b64 exec, exec, s[24:25]
	v_mov_b32_e32 v36, v7
	v_cmp_ne_u16_sdwa s[4:5], v7, v37 src0_sel:BYTE_0 src1_sel:DWORD
	v_mov_b32_e32 v8, 0
	s_and_saveexec_b64 s[24:25], s[4:5]
	s_cbranch_execz .LBB386_1203
; %bb.1198:                             ;   in Loop: Header=BB386_1010 Depth=1
	v_cmp_ne_u16_sdwa s[4:5], v7, s31 src0_sel:BYTE_0 src1_sel:DWORD
	v_bfrev_b32_e32 v8, 1
	s_and_saveexec_b64 s[26:27], s[4:5]
	s_cbranch_execz .LBB386_1202
; %bb.1199:                             ;   in Loop: Header=BB386_1010 Depth=1
	v_and_b32_e32 v16, 0x7f, v7
	v_cmp_ne_u32_e64 s[4:5], s34, v16
	v_mov_b32_e32 v8, 0x7f800001
	s_and_saveexec_b64 s[28:29], s[4:5]
	s_cbranch_execz .LBB386_1201
; %bb.1200:                             ;   in Loop: Header=BB386_1010 Depth=1
	v_and_b32_e32 v8, 7, v7
	v_ffbh_u32_e32 v8, v8
	v_min_u32_e32 v8, 32, v8
	v_subrev_u32_e32 v18, 28, v8
	v_cmp_gt_u32_e64 s[4:5], 8, v16
	v_lshrrev_b32_e32 v17, 3, v16
	v_sub_u32_e32 v8, 29, v8
	v_cndmask_b32_e64 v16, 0, v18, s[4:5]
	v_cndmask_b32_e64 v8, v17, v8, s[4:5]
	v_lshlrev_b64 v[16:17], v16, v[36:37]
	v_lshlrev_b32_e32 v16, 20, v16
	v_lshlrev_b32_e32 v17, 24, v36
	v_and_b32_e32 v16, 0x700000, v16
	v_and_b32_e32 v17, 0x80000000, v17
	v_lshl_add_u32 v8, v8, 23, v5
	v_or3_b32 v8, v17, v8, v16
.LBB386_1201:                           ;   in Loop: Header=BB386_1010 Depth=1
	s_or_b64 exec, exec, s[28:29]
.LBB386_1202:                           ;   in Loop: Header=BB386_1010 Depth=1
	s_or_b64 exec, exec, s[26:27]
.LBB386_1203:                           ;   in Loop: Header=BB386_1010 Depth=1
	s_or_b64 exec, exec, s[24:25]
	v_mul_f32_e32 v8, v9, v8
	v_and_b32_e32 v16, 0x7f800000, v8
	v_cmp_ne_u32_e64 s[4:5], s15, v16
                                        ; implicit-def: $vgpr16
	s_and_saveexec_b64 s[24:25], s[4:5]
	s_xor_b64 s[4:5], exec, s[24:25]
; %bb.1204:                             ;   in Loop: Header=BB386_1010 Depth=1
	v_bfe_u32 v16, v8, 16, 1
	v_add3_u32 v16, v8, v16, s30
                                        ; implicit-def: $vgpr8
; %bb.1205:                             ;   in Loop: Header=BB386_1010 Depth=1
	s_andn2_saveexec_b64 s[24:25], s[4:5]
; %bb.1206:                             ;   in Loop: Header=BB386_1010 Depth=1
	v_or_b32_e32 v16, 0x10000, v8
	v_cmp_eq_u32_sdwa s[4:5], v8, v37 src0_sel:WORD_0 src1_sel:DWORD
	v_cndmask_b32_e64 v16, v16, v8, s[4:5]
; %bb.1207:                             ;   in Loop: Header=BB386_1010 Depth=1
	s_or_b64 exec, exec, s[24:25]
	v_lshrrev_b16_e32 v8, 8, v36
	v_cmp_ne_u16_e64 s[4:5], 0, v8
	v_mov_b32_e32 v17, 0
	s_and_saveexec_b64 s[24:25], s[4:5]
	s_cbranch_execz .LBB386_1213
; %bb.1208:                             ;   in Loop: Header=BB386_1010 Depth=1
	v_cmp_ne_u16_e64 s[4:5], s31, v8
	v_bfrev_b32_e32 v17, 1
	s_and_saveexec_b64 s[26:27], s[4:5]
	s_cbranch_execz .LBB386_1212
; %bb.1209:                             ;   in Loop: Header=BB386_1010 Depth=1
	v_and_b32_e32 v18, 0x7f, v8
	v_cmp_ne_u32_e64 s[4:5], s34, v18
	v_mov_b32_e32 v17, 0x7f800001
	s_and_saveexec_b64 s[28:29], s[4:5]
	s_cbranch_execz .LBB386_1211
; %bb.1210:                             ;   in Loop: Header=BB386_1010 Depth=1
	v_and_b32_e32 v17, 7, v8
	v_ffbh_u32_e32 v20, v17
	v_min_u32_e32 v22, 32, v20
	v_subrev_u32_e32 v20, 28, v22
	v_lshlrev_b64 v[20:21], v20, v[8:9]
	v_lshrrev_b32_e32 v19, 3, v18
	v_sub_u32_e32 v8, 29, v22
	v_and_b32_e32 v20, 7, v20
	v_cmp_gt_u32_e64 s[4:5], 8, v18
	v_cndmask_b32_e64 v8, v19, v8, s[4:5]
	v_cndmask_b32_e64 v17, v17, v20, s[4:5]
	v_lshlrev_b32_e32 v18, 16, v36
	v_lshlrev_b32_e32 v17, 20, v17
	v_and_b32_e32 v18, 0x80000000, v18
	v_lshl_add_u32 v8, v8, 23, v5
	v_or3_b32 v17, v18, v8, v17
.LBB386_1211:                           ;   in Loop: Header=BB386_1010 Depth=1
	s_or_b64 exec, exec, s[28:29]
.LBB386_1212:                           ;   in Loop: Header=BB386_1010 Depth=1
	s_or_b64 exec, exec, s[26:27]
.LBB386_1213:                           ;   in Loop: Header=BB386_1010 Depth=1
	s_or_b64 exec, exec, s[24:25]
	v_mul_f32_e32 v8, v9, v17
	v_and_b32_e32 v17, 0x7f800000, v8
	v_cmp_ne_u32_e64 s[4:5], s15, v17
                                        ; implicit-def: $vgpr17
	s_and_saveexec_b64 s[24:25], s[4:5]
	s_xor_b64 s[4:5], exec, s[24:25]
; %bb.1214:                             ;   in Loop: Header=BB386_1010 Depth=1
	v_bfe_u32 v17, v8, 16, 1
	v_add3_u32 v17, v8, v17, s30
                                        ; implicit-def: $vgpr8
; %bb.1215:                             ;   in Loop: Header=BB386_1010 Depth=1
	s_andn2_saveexec_b64 s[24:25], s[4:5]
; %bb.1216:                             ;   in Loop: Header=BB386_1010 Depth=1
	v_or_b32_e32 v17, 0x10000, v8
	v_cmp_eq_u32_sdwa s[4:5], v8, v37 src0_sel:WORD_0 src1_sel:DWORD
	v_cndmask_b32_e64 v17, v17, v8, s[4:5]
; %bb.1217:                             ;   in Loop: Header=BB386_1010 Depth=1
	s_or_b64 exec, exec, s[24:25]
	v_lshrrev_b32_e32 v8, 16, v7
	v_cmp_ne_u16_sdwa s[4:5], v8, v37 src0_sel:BYTE_0 src1_sel:DWORD
	v_mov_b32_e32 v18, 0
	s_and_saveexec_b64 s[24:25], s[4:5]
	s_cbranch_execz .LBB386_1223
; %bb.1218:                             ;   in Loop: Header=BB386_1010 Depth=1
	v_cmp_ne_u16_sdwa s[4:5], v8, s31 src0_sel:BYTE_0 src1_sel:DWORD
	v_bfrev_b32_e32 v18, 1
	s_and_saveexec_b64 s[26:27], s[4:5]
	s_cbranch_execz .LBB386_1222
; %bb.1219:                             ;   in Loop: Header=BB386_1010 Depth=1
	v_bfe_u32 v19, v7, 16, 7
	v_cmp_ne_u32_e64 s[4:5], s34, v19
	v_mov_b32_e32 v18, 0x7f800001
	s_and_saveexec_b64 s[28:29], s[4:5]
	s_cbranch_execz .LBB386_1221
; %bb.1220:                             ;   in Loop: Header=BB386_1010 Depth=1
	v_and_b32_e32 v18, 7, v8
	v_ffbh_u32_e32 v20, v18
	v_min_u32_e32 v23, 32, v20
	v_subrev_u32_e32 v20, 28, v23
	v_lshlrev_b64 v[20:21], v20, v[8:9]
	v_lshrrev_b32_e32 v22, 3, v19
	v_sub_u32_e32 v21, 29, v23
	v_and_b32_e32 v20, 7, v20
	v_cmp_gt_u32_e64 s[4:5], 8, v19
	v_cndmask_b32_e64 v19, v22, v21, s[4:5]
	v_cndmask_b32_e64 v18, v18, v20, s[4:5]
	v_lshlrev_b32_e32 v8, 24, v8
	v_lshlrev_b32_e32 v18, 20, v18
	v_and_b32_e32 v8, 0x80000000, v8
	v_lshl_add_u32 v19, v19, 23, v5
	v_or3_b32 v18, v8, v19, v18
.LBB386_1221:                           ;   in Loop: Header=BB386_1010 Depth=1
	s_or_b64 exec, exec, s[28:29]
.LBB386_1222:                           ;   in Loop: Header=BB386_1010 Depth=1
	s_or_b64 exec, exec, s[26:27]
.LBB386_1223:                           ;   in Loop: Header=BB386_1010 Depth=1
	s_or_b64 exec, exec, s[24:25]
	v_mul_f32_e32 v8, v9, v18
	v_and_b32_e32 v18, 0x7f800000, v8
	v_cmp_ne_u32_e64 s[4:5], s15, v18
                                        ; implicit-def: $vgpr18
	s_and_saveexec_b64 s[24:25], s[4:5]
	s_xor_b64 s[4:5], exec, s[24:25]
; %bb.1224:                             ;   in Loop: Header=BB386_1010 Depth=1
	v_bfe_u32 v18, v8, 16, 1
	v_add3_u32 v18, v8, v18, s30
                                        ; implicit-def: $vgpr8
; %bb.1225:                             ;   in Loop: Header=BB386_1010 Depth=1
	s_andn2_saveexec_b64 s[24:25], s[4:5]
; %bb.1226:                             ;   in Loop: Header=BB386_1010 Depth=1
	v_or_b32_e32 v18, 0x10000, v8
	v_cmp_eq_u32_sdwa s[4:5], v8, v37 src0_sel:WORD_0 src1_sel:DWORD
	v_cndmask_b32_e64 v18, v18, v8, s[4:5]
; %bb.1227:                             ;   in Loop: Header=BB386_1010 Depth=1
	s_or_b64 exec, exec, s[24:25]
	v_cmp_lt_u64_e64 s[4:5], s[10:11], v[6:7]
	v_mov_b32_e32 v8, 0
	s_and_saveexec_b64 s[24:25], s[4:5]
	s_cbranch_execz .LBB386_1233
; %bb.1228:                             ;   in Loop: Header=BB386_1010 Depth=1
	v_lshrrev_b32_e32 v6, 24, v7
	v_cmp_ne_u32_e64 s[4:5], s31, v6
	v_bfrev_b32_e32 v8, 1
	s_and_saveexec_b64 s[26:27], s[4:5]
	s_cbranch_execz .LBB386_1232
; %bb.1229:                             ;   in Loop: Header=BB386_1010 Depth=1
	v_bfe_u32 v7, v7, 24, 7
	v_cmp_ne_u32_e64 s[4:5], s34, v7
	v_mov_b32_e32 v8, 0x7f800001
	s_and_saveexec_b64 s[28:29], s[4:5]
	s_cbranch_execz .LBB386_1231
; %bb.1230:                             ;   in Loop: Header=BB386_1010 Depth=1
	v_and_b32_e32 v8, 7, v6
	v_ffbh_u32_e32 v20, v8
	v_min_u32_e32 v22, 32, v20
	v_subrev_u32_e32 v20, 28, v22
	v_lshlrev_b64 v[20:21], v20, v[6:7]
	v_lshrrev_b32_e32 v19, 3, v7
	v_sub_u32_e32 v21, 29, v22
	v_and_b32_e32 v20, 7, v20
	v_cmp_gt_u32_e64 s[4:5], 8, v7
	v_cndmask_b32_e64 v7, v19, v21, s[4:5]
	v_cndmask_b32_e64 v8, v8, v20, s[4:5]
	v_lshlrev_b32_e32 v6, 24, v6
	v_lshlrev_b32_e32 v8, 20, v8
	v_and_b32_e32 v6, 0x80000000, v6
	v_lshl_add_u32 v7, v7, 23, v5
	v_or3_b32 v8, v6, v7, v8
.LBB386_1231:                           ;   in Loop: Header=BB386_1010 Depth=1
	s_or_b64 exec, exec, s[28:29]
.LBB386_1232:                           ;   in Loop: Header=BB386_1010 Depth=1
	s_or_b64 exec, exec, s[26:27]
.LBB386_1233:                           ;   in Loop: Header=BB386_1010 Depth=1
	s_or_b64 exec, exec, s[24:25]
	v_mul_f32_e32 v7, v9, v8
	v_and_b32_e32 v6, 0x7f800000, v7
	v_cmp_ne_u32_e64 s[4:5], s15, v6
                                        ; implicit-def: $vgpr6
	s_and_saveexec_b64 s[24:25], s[4:5]
	s_xor_b64 s[4:5], exec, s[24:25]
; %bb.1234:                             ;   in Loop: Header=BB386_1010 Depth=1
	v_bfe_u32 v6, v7, 16, 1
	v_add3_u32 v6, v7, v6, s30
                                        ; implicit-def: $vgpr7
; %bb.1235:                             ;   in Loop: Header=BB386_1010 Depth=1
	s_andn2_saveexec_b64 s[24:25], s[4:5]
; %bb.1236:                             ;   in Loop: Header=BB386_1010 Depth=1
	v_or_b32_e32 v6, 0x10000, v7
	v_cmp_eq_u32_sdwa s[4:5], v7, v37 src0_sel:WORD_0 src1_sel:DWORD
	v_cndmask_b32_e64 v6, v6, v7, s[4:5]
; %bb.1237:                             ;   in Loop: Header=BB386_1010 Depth=1
	s_or_b64 exec, exec, s[24:25]
	v_lshrrev_b32_e32 v8, 16, v17
	v_lshrrev_b32_e32 v16, 16, v16
	;; [unrolled: 1-line block ×8, first 2 shown]
	s_and_saveexec_b64 s[24:25], vcc
	s_cbranch_execz .LBB386_1239
; %bb.1238:                             ;   in Loop: Header=BB386_1010 Depth=1
	buffer_load_dword v18, off, s[0:3], s32 offset:196 ; 4-byte Folded Reload
	v_accvgpr_read_b32 v17, a54
	s_waitcnt vmcnt(0)
	v_cmp_lt_i32_e64 s[4:5], v53, v18
	v_cndmask_b32_e64 v10, 0, v10, s[4:5]
	v_cmp_lt_i32_e64 s[4:5], v17, v18
	v_accvgpr_read_b32 v17, a53
	v_cndmask_b32_e64 v11, 0, v11, s[4:5]
	v_cmp_lt_i32_e64 s[4:5], v17, v18
	v_accvgpr_read_b32 v17, a52
	;; [unrolled: 3-line block ×6, first 2 shown]
	v_cndmask_b32_e64 v7, 0, v7, s[4:5]
	v_cmp_lt_i32_e64 s[4:5], v17, v18
	v_cndmask_b32_e64 v6, 0, v6, s[4:5]
.LBB386_1239:                           ;   in Loop: Header=BB386_1010 Depth=1
	s_or_b64 exec, exec, s[24:25]
	v_lshlrev_b32_e32 v10, 16, v10
	v_mul_f32_e32 v10, v39, v10
	v_and_b32_e32 v17, 0x7f800000, v10
	v_cmp_ne_u32_e64 s[4:5], s15, v17
                                        ; implicit-def: $agpr55
	s_and_saveexec_b64 s[24:25], s[4:5]
	s_xor_b64 s[4:5], exec, s[24:25]
; %bb.1240:                             ;   in Loop: Header=BB386_1010 Depth=1
	v_bfe_u32 v17, v10, 16, 1
	v_add3_u32 v10, v10, v17, s30
	v_accvgpr_write_b32 a55, v10
                                        ; implicit-def: $vgpr10
; %bb.1241:                             ;   in Loop: Header=BB386_1010 Depth=1
	s_andn2_saveexec_b64 s[24:25], s[4:5]
; %bb.1242:                             ;   in Loop: Header=BB386_1010 Depth=1
	v_or_b32_e32 v17, 0x10000, v10
	v_cmp_eq_u32_sdwa s[4:5], v10, v37 src0_sel:WORD_0 src1_sel:DWORD
	v_cndmask_b32_e64 v10, v17, v10, s[4:5]
	v_accvgpr_write_b32 a55, v10
; %bb.1243:                             ;   in Loop: Header=BB386_1010 Depth=1
	s_or_b64 exec, exec, s[24:25]
	v_lshlrev_b32_e32 v10, 16, v11
	v_mul_f32_e32 v10, v31, v10
	v_and_b32_e32 v11, 0x7f800000, v10
	v_cmp_ne_u32_e64 s[4:5], s15, v11
                                        ; implicit-def: $agpr56
	s_and_saveexec_b64 s[24:25], s[4:5]
	s_xor_b64 s[4:5], exec, s[24:25]
; %bb.1244:                             ;   in Loop: Header=BB386_1010 Depth=1
	v_bfe_u32 v11, v10, 16, 1
	v_add3_u32 v10, v10, v11, s30
	v_accvgpr_write_b32 a56, v10
                                        ; implicit-def: $vgpr10
; %bb.1245:                             ;   in Loop: Header=BB386_1010 Depth=1
	s_andn2_saveexec_b64 s[24:25], s[4:5]
; %bb.1246:                             ;   in Loop: Header=BB386_1010 Depth=1
	v_or_b32_e32 v11, 0x10000, v10
	v_cmp_eq_u32_sdwa s[4:5], v10, v37 src0_sel:WORD_0 src1_sel:DWORD
	v_cndmask_b32_e64 v10, v11, v10, s[4:5]
	v_accvgpr_write_b32 a56, v10
; %bb.1247:                             ;   in Loop: Header=BB386_1010 Depth=1
	s_or_b64 exec, exec, s[24:25]
	v_lshlrev_b32_e32 v10, 16, v12
	v_mul_f32_e32 v10, v30, v10
	v_and_b32_e32 v11, 0x7f800000, v10
	v_cmp_ne_u32_e64 s[4:5], s15, v11
                                        ; implicit-def: $agpr57
	s_and_saveexec_b64 s[24:25], s[4:5]
	s_xor_b64 s[4:5], exec, s[24:25]
; %bb.1248:                             ;   in Loop: Header=BB386_1010 Depth=1
	v_bfe_u32 v11, v10, 16, 1
	v_add3_u32 v10, v10, v11, s30
	v_accvgpr_write_b32 a57, v10
                                        ; implicit-def: $vgpr10
; %bb.1249:                             ;   in Loop: Header=BB386_1010 Depth=1
	s_andn2_saveexec_b64 s[24:25], s[4:5]
; %bb.1250:                             ;   in Loop: Header=BB386_1010 Depth=1
	v_or_b32_e32 v11, 0x10000, v10
	v_cmp_eq_u32_sdwa s[4:5], v10, v37 src0_sel:WORD_0 src1_sel:DWORD
	v_cndmask_b32_e64 v10, v11, v10, s[4:5]
	v_accvgpr_write_b32 a57, v10
; %bb.1251:                             ;   in Loop: Header=BB386_1010 Depth=1
	s_or_b64 exec, exec, s[24:25]
	v_lshlrev_b32_e32 v10, 16, v13
	v_mul_f32_e32 v10, v49, v10
	v_and_b32_e32 v11, 0x7f800000, v10
	v_cmp_ne_u32_e64 s[4:5], s15, v11
                                        ; implicit-def: $agpr58
	s_and_saveexec_b64 s[24:25], s[4:5]
	s_xor_b64 s[4:5], exec, s[24:25]
; %bb.1252:                             ;   in Loop: Header=BB386_1010 Depth=1
	v_bfe_u32 v11, v10, 16, 1
	v_add3_u32 v10, v10, v11, s30
	v_accvgpr_write_b32 a58, v10
                                        ; implicit-def: $vgpr10
; %bb.1253:                             ;   in Loop: Header=BB386_1010 Depth=1
	s_andn2_saveexec_b64 s[24:25], s[4:5]
; %bb.1254:                             ;   in Loop: Header=BB386_1010 Depth=1
	v_or_b32_e32 v11, 0x10000, v10
	v_cmp_eq_u32_sdwa s[4:5], v10, v37 src0_sel:WORD_0 src1_sel:DWORD
	v_cndmask_b32_e64 v10, v11, v10, s[4:5]
	v_accvgpr_write_b32 a58, v10
; %bb.1255:                             ;   in Loop: Header=BB386_1010 Depth=1
	s_or_b64 exec, exec, s[24:25]
	v_lshlrev_b32_e32 v10, 16, v16
	v_mul_f32_e32 v10, v51, v10
	v_and_b32_e32 v11, 0x7f800000, v10
	v_cmp_ne_u32_e64 s[4:5], s15, v11
                                        ; implicit-def: $agpr59
	s_and_saveexec_b64 s[24:25], s[4:5]
	s_xor_b64 s[4:5], exec, s[24:25]
; %bb.1256:                             ;   in Loop: Header=BB386_1010 Depth=1
	v_bfe_u32 v11, v10, 16, 1
	v_add3_u32 v10, v10, v11, s30
	v_accvgpr_write_b32 a59, v10
                                        ; implicit-def: $vgpr10
; %bb.1257:                             ;   in Loop: Header=BB386_1010 Depth=1
	s_andn2_saveexec_b64 s[24:25], s[4:5]
; %bb.1258:                             ;   in Loop: Header=BB386_1010 Depth=1
	v_or_b32_e32 v11, 0x10000, v10
	v_cmp_eq_u32_sdwa s[4:5], v10, v37 src0_sel:WORD_0 src1_sel:DWORD
	v_cndmask_b32_e64 v10, v11, v10, s[4:5]
	v_accvgpr_write_b32 a59, v10
; %bb.1259:                             ;   in Loop: Header=BB386_1010 Depth=1
	s_or_b64 exec, exec, s[24:25]
	v_lshlrev_b32_e32 v8, 16, v8
	v_mul_f32_e32 v8, v54, v8
	v_and_b32_e32 v10, 0x7f800000, v8
	v_cmp_ne_u32_e64 s[4:5], s15, v10
                                        ; implicit-def: $agpr60
	s_and_saveexec_b64 s[24:25], s[4:5]
	s_xor_b64 s[4:5], exec, s[24:25]
; %bb.1260:                             ;   in Loop: Header=BB386_1010 Depth=1
	v_bfe_u32 v10, v8, 16, 1
	v_add3_u32 v8, v8, v10, s30
	v_accvgpr_write_b32 a60, v8
                                        ; implicit-def: $vgpr8
; %bb.1261:                             ;   in Loop: Header=BB386_1010 Depth=1
	s_andn2_saveexec_b64 s[24:25], s[4:5]
; %bb.1262:                             ;   in Loop: Header=BB386_1010 Depth=1
	v_or_b32_e32 v10, 0x10000, v8
	v_cmp_eq_u32_sdwa s[4:5], v8, v37 src0_sel:WORD_0 src1_sel:DWORD
	v_cndmask_b32_e64 v8, v10, v8, s[4:5]
	v_accvgpr_write_b32 a60, v8
; %bb.1263:                             ;   in Loop: Header=BB386_1010 Depth=1
	s_or_b64 exec, exec, s[24:25]
	v_lshlrev_b32_e32 v7, 16, v7
	v_mul_f32_e32 v7, v27, v7
	v_and_b32_e32 v8, 0x7f800000, v7
	v_cmp_ne_u32_e64 s[4:5], s15, v8
                                        ; implicit-def: $agpr61
	s_and_saveexec_b64 s[24:25], s[4:5]
	s_xor_b64 s[4:5], exec, s[24:25]
; %bb.1264:                             ;   in Loop: Header=BB386_1010 Depth=1
	v_bfe_u32 v8, v7, 16, 1
	v_add3_u32 v7, v7, v8, s30
	v_accvgpr_write_b32 a61, v7
                                        ; implicit-def: $vgpr7
; %bb.1265:                             ;   in Loop: Header=BB386_1010 Depth=1
	s_andn2_saveexec_b64 s[24:25], s[4:5]
; %bb.1266:                             ;   in Loop: Header=BB386_1010 Depth=1
	v_or_b32_e32 v8, 0x10000, v7
	v_cmp_eq_u32_sdwa s[4:5], v7, v37 src0_sel:WORD_0 src1_sel:DWORD
	v_cndmask_b32_e64 v7, v8, v7, s[4:5]
	v_accvgpr_write_b32 a61, v7
; %bb.1267:                             ;   in Loop: Header=BB386_1010 Depth=1
	s_or_b64 exec, exec, s[24:25]
	v_lshlrev_b32_e32 v6, 16, v6
	v_mul_f32_e32 v6, v26, v6
	v_and_b32_e32 v7, 0x7f800000, v6
	v_cmp_ne_u32_e64 s[4:5], s15, v7
                                        ; implicit-def: $agpr62
	s_and_saveexec_b64 s[24:25], s[4:5]
	s_xor_b64 s[4:5], exec, s[24:25]
; %bb.1268:                             ;   in Loop: Header=BB386_1010 Depth=1
	v_bfe_u32 v7, v6, 16, 1
	v_add3_u32 v6, v6, v7, s30
	v_accvgpr_write_b32 a62, v6
                                        ; implicit-def: $vgpr6
; %bb.1269:                             ;   in Loop: Header=BB386_1010 Depth=1
	s_andn2_saveexec_b64 s[24:25], s[4:5]
; %bb.1270:                             ;   in Loop: Header=BB386_1010 Depth=1
	v_or_b32_e32 v7, 0x10000, v6
	v_cmp_eq_u32_sdwa s[4:5], v6, v37 src0_sel:WORD_0 src1_sel:DWORD
	v_cndmask_b32_e64 v6, v7, v6, s[4:5]
	v_accvgpr_write_b32 a62, v6
; %bb.1271:                             ;   in Loop: Header=BB386_1010 Depth=1
	s_or_b64 exec, exec, s[24:25]
	flat_load_dwordx2 v[6:7], v[2:3] offset:1024
	v_mov_b32_e32 v8, 0
	s_waitcnt vmcnt(0) lgkmcnt(0)
	v_cmp_ne_u16_sdwa s[4:5], v6, v37 src0_sel:BYTE_0 src1_sel:DWORD
	s_and_saveexec_b64 s[24:25], s[4:5]
	s_cbranch_execz .LBB386_1277
; %bb.1272:                             ;   in Loop: Header=BB386_1010 Depth=1
	v_cmp_ne_u16_sdwa s[4:5], v6, s31 src0_sel:BYTE_0 src1_sel:DWORD
	v_bfrev_b32_e32 v8, 1
	s_and_saveexec_b64 s[26:27], s[4:5]
	s_cbranch_execz .LBB386_1276
; %bb.1273:                             ;   in Loop: Header=BB386_1010 Depth=1
	v_and_b32_e32 v10, 0x7f, v6
	v_cmp_ne_u32_e64 s[4:5], s34, v10
	v_mov_b32_e32 v8, 0x7f800001
	s_and_saveexec_b64 s[28:29], s[4:5]
	s_cbranch_execz .LBB386_1275
; %bb.1274:                             ;   in Loop: Header=BB386_1010 Depth=1
	v_and_b32_e32 v8, 7, v6
	v_ffbh_u32_e32 v8, v8
	v_min_u32_e32 v8, 32, v8
	v_subrev_u32_e32 v12, 28, v8
	v_cmp_gt_u32_e64 s[4:5], 8, v10
	v_lshrrev_b32_e32 v11, 3, v10
	v_sub_u32_e32 v8, 29, v8
	v_cndmask_b32_e64 v10, 0, v12, s[4:5]
	v_cndmask_b32_e64 v8, v11, v8, s[4:5]
	v_lshlrev_b64 v[10:11], v10, v[6:7]
	v_lshlrev_b32_e32 v10, 20, v10
	v_lshlrev_b32_e32 v11, 24, v6
	v_and_b32_e32 v10, 0x700000, v10
	v_and_b32_e32 v11, 0x80000000, v11
	v_lshl_add_u32 v8, v8, 23, v5
	v_or3_b32 v8, v11, v8, v10
.LBB386_1275:                           ;   in Loop: Header=BB386_1010 Depth=1
	s_or_b64 exec, exec, s[28:29]
.LBB386_1276:                           ;   in Loop: Header=BB386_1010 Depth=1
	s_or_b64 exec, exec, s[26:27]
.LBB386_1277:                           ;   in Loop: Header=BB386_1010 Depth=1
	s_or_b64 exec, exec, s[24:25]
	v_mul_f32_e32 v8, v9, v8
	v_and_b32_e32 v10, 0x7f800000, v8
	v_cmp_ne_u32_e64 s[4:5], s15, v10
                                        ; implicit-def: $vgpr10
	s_and_saveexec_b64 s[24:25], s[4:5]
	s_xor_b64 s[4:5], exec, s[24:25]
; %bb.1278:                             ;   in Loop: Header=BB386_1010 Depth=1
	v_bfe_u32 v10, v8, 16, 1
	v_add3_u32 v10, v8, v10, s30
                                        ; implicit-def: $vgpr8
; %bb.1279:                             ;   in Loop: Header=BB386_1010 Depth=1
	s_andn2_saveexec_b64 s[24:25], s[4:5]
; %bb.1280:                             ;   in Loop: Header=BB386_1010 Depth=1
	v_or_b32_e32 v10, 0x10000, v8
	v_cmp_eq_u32_sdwa s[4:5], v8, v37 src0_sel:WORD_0 src1_sel:DWORD
	v_cndmask_b32_e64 v10, v10, v8, s[4:5]
; %bb.1281:                             ;   in Loop: Header=BB386_1010 Depth=1
	s_or_b64 exec, exec, s[24:25]
	v_lshrrev_b16_e32 v8, 8, v6
	v_cmp_ne_u16_e64 s[4:5], 0, v8
	v_mov_b32_e32 v11, 0
	s_and_saveexec_b64 s[24:25], s[4:5]
	s_cbranch_execz .LBB386_1287
; %bb.1282:                             ;   in Loop: Header=BB386_1010 Depth=1
	v_cmp_ne_u16_e64 s[4:5], s31, v8
	v_bfrev_b32_e32 v11, 1
	s_and_saveexec_b64 s[26:27], s[4:5]
	s_cbranch_execz .LBB386_1286
; %bb.1283:                             ;   in Loop: Header=BB386_1010 Depth=1
	v_and_b32_e32 v12, 0x7f, v8
	v_cmp_ne_u32_e64 s[4:5], s34, v12
	v_mov_b32_e32 v11, 0x7f800001
	s_and_saveexec_b64 s[28:29], s[4:5]
	s_cbranch_execz .LBB386_1285
; %bb.1284:                             ;   in Loop: Header=BB386_1010 Depth=1
	v_and_b32_e32 v11, 7, v8
	v_ffbh_u32_e32 v16, v11
	v_min_u32_e32 v18, 32, v16
	v_subrev_u32_e32 v16, 28, v18
	v_lshlrev_b64 v[16:17], v16, v[8:9]
	v_lshrrev_b32_e32 v13, 3, v12
	v_sub_u32_e32 v8, 29, v18
	v_and_b32_e32 v16, 7, v16
	v_cmp_gt_u32_e64 s[4:5], 8, v12
	v_cndmask_b32_e64 v8, v13, v8, s[4:5]
	v_cndmask_b32_e64 v11, v11, v16, s[4:5]
	v_lshlrev_b32_e32 v12, 16, v6
	v_lshlrev_b32_e32 v11, 20, v11
	v_and_b32_e32 v12, 0x80000000, v12
	v_lshl_add_u32 v8, v8, 23, v5
	v_or3_b32 v11, v12, v8, v11
.LBB386_1285:                           ;   in Loop: Header=BB386_1010 Depth=1
	s_or_b64 exec, exec, s[28:29]
.LBB386_1286:                           ;   in Loop: Header=BB386_1010 Depth=1
	s_or_b64 exec, exec, s[26:27]
.LBB386_1287:                           ;   in Loop: Header=BB386_1010 Depth=1
	s_or_b64 exec, exec, s[24:25]
	v_mul_f32_e32 v8, v9, v11
	v_and_b32_e32 v11, 0x7f800000, v8
	v_cmp_ne_u32_e64 s[4:5], s15, v11
                                        ; implicit-def: $vgpr11
	s_and_saveexec_b64 s[24:25], s[4:5]
	s_xor_b64 s[4:5], exec, s[24:25]
; %bb.1288:                             ;   in Loop: Header=BB386_1010 Depth=1
	v_bfe_u32 v11, v8, 16, 1
	v_add3_u32 v11, v8, v11, s30
                                        ; implicit-def: $vgpr8
; %bb.1289:                             ;   in Loop: Header=BB386_1010 Depth=1
	s_andn2_saveexec_b64 s[24:25], s[4:5]
; %bb.1290:                             ;   in Loop: Header=BB386_1010 Depth=1
	v_or_b32_e32 v11, 0x10000, v8
	v_cmp_eq_u32_sdwa s[4:5], v8, v37 src0_sel:WORD_0 src1_sel:DWORD
	v_cndmask_b32_e64 v11, v11, v8, s[4:5]
; %bb.1291:                             ;   in Loop: Header=BB386_1010 Depth=1
	s_or_b64 exec, exec, s[24:25]
	v_lshrrev_b32_e32 v8, 16, v6
	v_cmp_ne_u16_sdwa s[4:5], v8, v37 src0_sel:BYTE_0 src1_sel:DWORD
	v_mov_b32_e32 v12, 0
	s_and_saveexec_b64 s[24:25], s[4:5]
	s_cbranch_execz .LBB386_1297
; %bb.1292:                             ;   in Loop: Header=BB386_1010 Depth=1
	v_cmp_ne_u16_sdwa s[4:5], v8, s31 src0_sel:BYTE_0 src1_sel:DWORD
	v_bfrev_b32_e32 v12, 1
	s_and_saveexec_b64 s[26:27], s[4:5]
	s_cbranch_execz .LBB386_1296
; %bb.1293:                             ;   in Loop: Header=BB386_1010 Depth=1
	v_bfe_u32 v13, v6, 16, 7
	v_cmp_ne_u32_e64 s[4:5], s34, v13
	v_mov_b32_e32 v12, 0x7f800001
	s_and_saveexec_b64 s[28:29], s[4:5]
	s_cbranch_execz .LBB386_1295
; %bb.1294:                             ;   in Loop: Header=BB386_1010 Depth=1
	v_and_b32_e32 v12, 7, v8
	v_ffbh_u32_e32 v16, v12
	v_min_u32_e32 v19, 32, v16
	v_subrev_u32_e32 v16, 28, v19
	v_lshlrev_b64 v[16:17], v16, v[8:9]
	v_lshrrev_b32_e32 v18, 3, v13
	v_sub_u32_e32 v17, 29, v19
	v_and_b32_e32 v16, 7, v16
	v_cmp_gt_u32_e64 s[4:5], 8, v13
	v_cndmask_b32_e64 v13, v18, v17, s[4:5]
	v_cndmask_b32_e64 v12, v12, v16, s[4:5]
	v_lshlrev_b32_e32 v8, 24, v8
	v_lshlrev_b32_e32 v12, 20, v12
	v_and_b32_e32 v8, 0x80000000, v8
	v_lshl_add_u32 v13, v13, 23, v5
	v_or3_b32 v12, v8, v13, v12
.LBB386_1295:                           ;   in Loop: Header=BB386_1010 Depth=1
	s_or_b64 exec, exec, s[28:29]
.LBB386_1296:                           ;   in Loop: Header=BB386_1010 Depth=1
	s_or_b64 exec, exec, s[26:27]
.LBB386_1297:                           ;   in Loop: Header=BB386_1010 Depth=1
	s_or_b64 exec, exec, s[24:25]
	v_mul_f32_e32 v8, v9, v12
	v_and_b32_e32 v12, 0x7f800000, v8
	v_cmp_ne_u32_e64 s[4:5], s15, v12
                                        ; implicit-def: $vgpr12
	s_and_saveexec_b64 s[24:25], s[4:5]
	s_xor_b64 s[4:5], exec, s[24:25]
; %bb.1298:                             ;   in Loop: Header=BB386_1010 Depth=1
	v_bfe_u32 v12, v8, 16, 1
	v_add3_u32 v12, v8, v12, s30
                                        ; implicit-def: $vgpr8
; %bb.1299:                             ;   in Loop: Header=BB386_1010 Depth=1
	s_andn2_saveexec_b64 s[24:25], s[4:5]
; %bb.1300:                             ;   in Loop: Header=BB386_1010 Depth=1
	v_or_b32_e32 v12, 0x10000, v8
	v_cmp_eq_u32_sdwa s[4:5], v8, v37 src0_sel:WORD_0 src1_sel:DWORD
	v_cndmask_b32_e64 v12, v12, v8, s[4:5]
; %bb.1301:                             ;   in Loop: Header=BB386_1010 Depth=1
	s_or_b64 exec, exec, s[24:25]
	v_cmp_lt_u32_e64 s[4:5], s11, v6
	v_mov_b32_e32 v13, 0
	s_and_saveexec_b64 s[24:25], s[4:5]
	s_cbranch_execz .LBB386_1307
; %bb.1302:                             ;   in Loop: Header=BB386_1010 Depth=1
	v_lshrrev_b32_e32 v8, 24, v6
	v_cmp_ne_u32_e64 s[4:5], s31, v8
	v_bfrev_b32_e32 v13, 1
	s_and_saveexec_b64 s[26:27], s[4:5]
	s_cbranch_execz .LBB386_1306
; %bb.1303:                             ;   in Loop: Header=BB386_1010 Depth=1
	v_bfe_u32 v16, v6, 24, 7
	v_cmp_ne_u32_e64 s[4:5], s34, v16
	v_mov_b32_e32 v13, 0x7f800001
	s_and_saveexec_b64 s[28:29], s[4:5]
	s_cbranch_execz .LBB386_1305
; %bb.1304:                             ;   in Loop: Header=BB386_1010 Depth=1
	v_and_b32_e32 v13, 7, v8
	v_ffbh_u32_e32 v18, v13
	v_min_u32_e32 v20, 32, v18
	v_subrev_u32_e32 v18, 28, v20
	v_lshlrev_b64 v[18:19], v18, v[8:9]
	v_lshrrev_b32_e32 v17, 3, v16
	v_sub_u32_e32 v19, 29, v20
	v_and_b32_e32 v18, 7, v18
	v_cmp_gt_u32_e64 s[4:5], 8, v16
	v_cndmask_b32_e64 v16, v17, v19, s[4:5]
	v_cndmask_b32_e64 v13, v13, v18, s[4:5]
	v_lshlrev_b32_e32 v8, 24, v8
	v_lshlrev_b32_e32 v13, 20, v13
	v_and_b32_e32 v8, 0x80000000, v8
	v_lshl_add_u32 v16, v16, 23, v5
	v_or3_b32 v13, v8, v16, v13
.LBB386_1305:                           ;   in Loop: Header=BB386_1010 Depth=1
	s_or_b64 exec, exec, s[28:29]
.LBB386_1306:                           ;   in Loop: Header=BB386_1010 Depth=1
	s_or_b64 exec, exec, s[26:27]
.LBB386_1307:                           ;   in Loop: Header=BB386_1010 Depth=1
	s_or_b64 exec, exec, s[24:25]
	v_mul_f32_e32 v8, v9, v13
	v_and_b32_e32 v13, 0x7f800000, v8
	v_cmp_ne_u32_e64 s[4:5], s15, v13
                                        ; implicit-def: $vgpr13
	s_and_saveexec_b64 s[24:25], s[4:5]
	s_xor_b64 s[4:5], exec, s[24:25]
; %bb.1308:                             ;   in Loop: Header=BB386_1010 Depth=1
	v_bfe_u32 v13, v8, 16, 1
	v_add3_u32 v13, v8, v13, s30
                                        ; implicit-def: $vgpr8
; %bb.1309:                             ;   in Loop: Header=BB386_1010 Depth=1
	s_andn2_saveexec_b64 s[24:25], s[4:5]
; %bb.1310:                             ;   in Loop: Header=BB386_1010 Depth=1
	v_or_b32_e32 v13, 0x10000, v8
	v_cmp_eq_u32_sdwa s[4:5], v8, v37 src0_sel:WORD_0 src1_sel:DWORD
	v_cndmask_b32_e64 v13, v13, v8, s[4:5]
; %bb.1311:                             ;   in Loop: Header=BB386_1010 Depth=1
	s_or_b64 exec, exec, s[24:25]
	v_mov_b32_e32 v36, v7
	v_cmp_ne_u16_sdwa s[4:5], v7, v37 src0_sel:BYTE_0 src1_sel:DWORD
	v_mov_b32_e32 v8, 0
	s_and_saveexec_b64 s[24:25], s[4:5]
	s_cbranch_execz .LBB386_1317
; %bb.1312:                             ;   in Loop: Header=BB386_1010 Depth=1
	v_cmp_ne_u16_sdwa s[4:5], v7, s31 src0_sel:BYTE_0 src1_sel:DWORD
	v_bfrev_b32_e32 v8, 1
	s_and_saveexec_b64 s[26:27], s[4:5]
	s_cbranch_execz .LBB386_1316
; %bb.1313:                             ;   in Loop: Header=BB386_1010 Depth=1
	v_and_b32_e32 v16, 0x7f, v7
	v_cmp_ne_u32_e64 s[4:5], s34, v16
	v_mov_b32_e32 v8, 0x7f800001
	s_and_saveexec_b64 s[28:29], s[4:5]
	s_cbranch_execz .LBB386_1315
; %bb.1314:                             ;   in Loop: Header=BB386_1010 Depth=1
	v_and_b32_e32 v8, 7, v7
	v_ffbh_u32_e32 v8, v8
	v_min_u32_e32 v8, 32, v8
	v_subrev_u32_e32 v18, 28, v8
	v_cmp_gt_u32_e64 s[4:5], 8, v16
	v_lshrrev_b32_e32 v17, 3, v16
	v_sub_u32_e32 v8, 29, v8
	v_cndmask_b32_e64 v16, 0, v18, s[4:5]
	v_cndmask_b32_e64 v8, v17, v8, s[4:5]
	v_lshlrev_b64 v[16:17], v16, v[36:37]
	v_lshlrev_b32_e32 v16, 20, v16
	v_lshlrev_b32_e32 v17, 24, v36
	v_and_b32_e32 v16, 0x700000, v16
	v_and_b32_e32 v17, 0x80000000, v17
	v_lshl_add_u32 v8, v8, 23, v5
	v_or3_b32 v8, v17, v8, v16
.LBB386_1315:                           ;   in Loop: Header=BB386_1010 Depth=1
	s_or_b64 exec, exec, s[28:29]
.LBB386_1316:                           ;   in Loop: Header=BB386_1010 Depth=1
	s_or_b64 exec, exec, s[26:27]
.LBB386_1317:                           ;   in Loop: Header=BB386_1010 Depth=1
	s_or_b64 exec, exec, s[24:25]
	v_mul_f32_e32 v8, v9, v8
	v_and_b32_e32 v16, 0x7f800000, v8
	v_cmp_ne_u32_e64 s[4:5], s15, v16
                                        ; implicit-def: $vgpr16
	s_and_saveexec_b64 s[24:25], s[4:5]
	s_xor_b64 s[4:5], exec, s[24:25]
; %bb.1318:                             ;   in Loop: Header=BB386_1010 Depth=1
	v_bfe_u32 v16, v8, 16, 1
	v_add3_u32 v16, v8, v16, s30
                                        ; implicit-def: $vgpr8
; %bb.1319:                             ;   in Loop: Header=BB386_1010 Depth=1
	s_andn2_saveexec_b64 s[24:25], s[4:5]
; %bb.1320:                             ;   in Loop: Header=BB386_1010 Depth=1
	v_or_b32_e32 v16, 0x10000, v8
	v_cmp_eq_u32_sdwa s[4:5], v8, v37 src0_sel:WORD_0 src1_sel:DWORD
	v_cndmask_b32_e64 v16, v16, v8, s[4:5]
; %bb.1321:                             ;   in Loop: Header=BB386_1010 Depth=1
	s_or_b64 exec, exec, s[24:25]
	v_lshrrev_b16_e32 v8, 8, v36
	v_cmp_ne_u16_e64 s[4:5], 0, v8
	v_mov_b32_e32 v17, 0
	s_and_saveexec_b64 s[24:25], s[4:5]
	s_cbranch_execz .LBB386_1327
; %bb.1322:                             ;   in Loop: Header=BB386_1010 Depth=1
	v_cmp_ne_u16_e64 s[4:5], s31, v8
	v_bfrev_b32_e32 v17, 1
	s_and_saveexec_b64 s[26:27], s[4:5]
	s_cbranch_execz .LBB386_1326
; %bb.1323:                             ;   in Loop: Header=BB386_1010 Depth=1
	v_and_b32_e32 v18, 0x7f, v8
	v_cmp_ne_u32_e64 s[4:5], s34, v18
	v_mov_b32_e32 v17, 0x7f800001
	s_and_saveexec_b64 s[28:29], s[4:5]
	s_cbranch_execz .LBB386_1325
; %bb.1324:                             ;   in Loop: Header=BB386_1010 Depth=1
	v_and_b32_e32 v17, 7, v8
	v_ffbh_u32_e32 v20, v17
	v_min_u32_e32 v22, 32, v20
	v_subrev_u32_e32 v20, 28, v22
	v_lshlrev_b64 v[20:21], v20, v[8:9]
	v_lshrrev_b32_e32 v19, 3, v18
	v_sub_u32_e32 v8, 29, v22
	v_and_b32_e32 v20, 7, v20
	v_cmp_gt_u32_e64 s[4:5], 8, v18
	v_cndmask_b32_e64 v8, v19, v8, s[4:5]
	v_cndmask_b32_e64 v17, v17, v20, s[4:5]
	v_lshlrev_b32_e32 v18, 16, v36
	v_lshlrev_b32_e32 v17, 20, v17
	v_and_b32_e32 v18, 0x80000000, v18
	v_lshl_add_u32 v8, v8, 23, v5
	v_or3_b32 v17, v18, v8, v17
.LBB386_1325:                           ;   in Loop: Header=BB386_1010 Depth=1
	s_or_b64 exec, exec, s[28:29]
.LBB386_1326:                           ;   in Loop: Header=BB386_1010 Depth=1
	s_or_b64 exec, exec, s[26:27]
.LBB386_1327:                           ;   in Loop: Header=BB386_1010 Depth=1
	s_or_b64 exec, exec, s[24:25]
	v_mul_f32_e32 v8, v9, v17
	v_and_b32_e32 v17, 0x7f800000, v8
	v_cmp_ne_u32_e64 s[4:5], s15, v17
                                        ; implicit-def: $vgpr17
	s_and_saveexec_b64 s[24:25], s[4:5]
	s_xor_b64 s[4:5], exec, s[24:25]
; %bb.1328:                             ;   in Loop: Header=BB386_1010 Depth=1
	v_bfe_u32 v17, v8, 16, 1
	v_add3_u32 v17, v8, v17, s30
                                        ; implicit-def: $vgpr8
; %bb.1329:                             ;   in Loop: Header=BB386_1010 Depth=1
	s_andn2_saveexec_b64 s[24:25], s[4:5]
; %bb.1330:                             ;   in Loop: Header=BB386_1010 Depth=1
	v_or_b32_e32 v17, 0x10000, v8
	v_cmp_eq_u32_sdwa s[4:5], v8, v37 src0_sel:WORD_0 src1_sel:DWORD
	v_cndmask_b32_e64 v17, v17, v8, s[4:5]
; %bb.1331:                             ;   in Loop: Header=BB386_1010 Depth=1
	s_or_b64 exec, exec, s[24:25]
	v_lshrrev_b32_e32 v8, 16, v7
	v_cmp_ne_u16_sdwa s[4:5], v8, v37 src0_sel:BYTE_0 src1_sel:DWORD
	v_mov_b32_e32 v18, 0
	s_and_saveexec_b64 s[24:25], s[4:5]
	s_cbranch_execz .LBB386_1337
; %bb.1332:                             ;   in Loop: Header=BB386_1010 Depth=1
	v_cmp_ne_u16_sdwa s[4:5], v8, s31 src0_sel:BYTE_0 src1_sel:DWORD
	v_bfrev_b32_e32 v18, 1
	s_and_saveexec_b64 s[26:27], s[4:5]
	s_cbranch_execz .LBB386_1336
; %bb.1333:                             ;   in Loop: Header=BB386_1010 Depth=1
	v_bfe_u32 v19, v7, 16, 7
	v_cmp_ne_u32_e64 s[4:5], s34, v19
	v_mov_b32_e32 v18, 0x7f800001
	s_and_saveexec_b64 s[28:29], s[4:5]
	s_cbranch_execz .LBB386_1335
; %bb.1334:                             ;   in Loop: Header=BB386_1010 Depth=1
	v_and_b32_e32 v18, 7, v8
	v_ffbh_u32_e32 v20, v18
	v_min_u32_e32 v23, 32, v20
	v_subrev_u32_e32 v20, 28, v23
	v_lshlrev_b64 v[20:21], v20, v[8:9]
	v_lshrrev_b32_e32 v22, 3, v19
	v_sub_u32_e32 v21, 29, v23
	v_and_b32_e32 v20, 7, v20
	v_cmp_gt_u32_e64 s[4:5], 8, v19
	v_cndmask_b32_e64 v19, v22, v21, s[4:5]
	v_cndmask_b32_e64 v18, v18, v20, s[4:5]
	v_lshlrev_b32_e32 v8, 24, v8
	v_lshlrev_b32_e32 v18, 20, v18
	v_and_b32_e32 v8, 0x80000000, v8
	v_lshl_add_u32 v19, v19, 23, v5
	v_or3_b32 v18, v8, v19, v18
.LBB386_1335:                           ;   in Loop: Header=BB386_1010 Depth=1
	s_or_b64 exec, exec, s[28:29]
.LBB386_1336:                           ;   in Loop: Header=BB386_1010 Depth=1
	s_or_b64 exec, exec, s[26:27]
.LBB386_1337:                           ;   in Loop: Header=BB386_1010 Depth=1
	s_or_b64 exec, exec, s[24:25]
	v_mul_f32_e32 v8, v9, v18
	v_and_b32_e32 v18, 0x7f800000, v8
	v_cmp_ne_u32_e64 s[4:5], s15, v18
                                        ; implicit-def: $vgpr18
	s_and_saveexec_b64 s[24:25], s[4:5]
	s_xor_b64 s[4:5], exec, s[24:25]
; %bb.1338:                             ;   in Loop: Header=BB386_1010 Depth=1
	v_bfe_u32 v18, v8, 16, 1
	v_add3_u32 v18, v8, v18, s30
                                        ; implicit-def: $vgpr8
; %bb.1339:                             ;   in Loop: Header=BB386_1010 Depth=1
	s_andn2_saveexec_b64 s[24:25], s[4:5]
; %bb.1340:                             ;   in Loop: Header=BB386_1010 Depth=1
	v_or_b32_e32 v18, 0x10000, v8
	v_cmp_eq_u32_sdwa s[4:5], v8, v37 src0_sel:WORD_0 src1_sel:DWORD
	v_cndmask_b32_e64 v18, v18, v8, s[4:5]
; %bb.1341:                             ;   in Loop: Header=BB386_1010 Depth=1
	s_or_b64 exec, exec, s[24:25]
	v_cmp_lt_u64_e64 s[4:5], s[10:11], v[6:7]
	v_mov_b32_e32 v8, 0
	s_and_saveexec_b64 s[24:25], s[4:5]
	s_cbranch_execz .LBB386_1347
; %bb.1342:                             ;   in Loop: Header=BB386_1010 Depth=1
	v_lshrrev_b32_e32 v6, 24, v7
	v_cmp_ne_u32_e64 s[4:5], s31, v6
	v_bfrev_b32_e32 v8, 1
	s_and_saveexec_b64 s[26:27], s[4:5]
	s_cbranch_execz .LBB386_1346
; %bb.1343:                             ;   in Loop: Header=BB386_1010 Depth=1
	v_bfe_u32 v7, v7, 24, 7
	v_cmp_ne_u32_e64 s[4:5], s34, v7
	v_mov_b32_e32 v8, 0x7f800001
	s_and_saveexec_b64 s[28:29], s[4:5]
	s_cbranch_execz .LBB386_1345
; %bb.1344:                             ;   in Loop: Header=BB386_1010 Depth=1
	v_and_b32_e32 v8, 7, v6
	v_ffbh_u32_e32 v20, v8
	v_min_u32_e32 v22, 32, v20
	v_subrev_u32_e32 v20, 28, v22
	v_lshlrev_b64 v[20:21], v20, v[6:7]
	v_lshrrev_b32_e32 v19, 3, v7
	v_sub_u32_e32 v21, 29, v22
	v_and_b32_e32 v20, 7, v20
	v_cmp_gt_u32_e64 s[4:5], 8, v7
	v_cndmask_b32_e64 v7, v19, v21, s[4:5]
	v_cndmask_b32_e64 v8, v8, v20, s[4:5]
	v_lshlrev_b32_e32 v6, 24, v6
	v_lshlrev_b32_e32 v8, 20, v8
	v_and_b32_e32 v6, 0x80000000, v6
	v_lshl_add_u32 v7, v7, 23, v5
	v_or3_b32 v8, v6, v7, v8
.LBB386_1345:                           ;   in Loop: Header=BB386_1010 Depth=1
	s_or_b64 exec, exec, s[28:29]
.LBB386_1346:                           ;   in Loop: Header=BB386_1010 Depth=1
	s_or_b64 exec, exec, s[26:27]
.LBB386_1347:                           ;   in Loop: Header=BB386_1010 Depth=1
	s_or_b64 exec, exec, s[24:25]
	v_mul_f32_e32 v7, v9, v8
	v_and_b32_e32 v6, 0x7f800000, v7
	v_cmp_ne_u32_e64 s[4:5], s15, v6
                                        ; implicit-def: $vgpr6
	s_and_saveexec_b64 s[24:25], s[4:5]
	s_xor_b64 s[4:5], exec, s[24:25]
; %bb.1348:                             ;   in Loop: Header=BB386_1010 Depth=1
	v_bfe_u32 v6, v7, 16, 1
	v_add3_u32 v6, v7, v6, s30
                                        ; implicit-def: $vgpr7
; %bb.1349:                             ;   in Loop: Header=BB386_1010 Depth=1
	s_andn2_saveexec_b64 s[24:25], s[4:5]
; %bb.1350:                             ;   in Loop: Header=BB386_1010 Depth=1
	v_or_b32_e32 v6, 0x10000, v7
	v_cmp_eq_u32_sdwa s[4:5], v7, v37 src0_sel:WORD_0 src1_sel:DWORD
	v_cndmask_b32_e64 v6, v6, v7, s[4:5]
; %bb.1351:                             ;   in Loop: Header=BB386_1010 Depth=1
	s_or_b64 exec, exec, s[24:25]
	v_lshrrev_b32_e32 v8, 16, v17
	v_lshrrev_b32_e32 v16, 16, v16
	;; [unrolled: 1-line block ×8, first 2 shown]
	s_and_saveexec_b64 s[24:25], vcc
	s_cbranch_execz .LBB386_1353
; %bb.1352:                             ;   in Loop: Header=BB386_1010 Depth=1
	buffer_load_dword v18, off, s[0:3], s32 offset:196 ; 4-byte Folded Reload
	v_accvgpr_read_b32 v17, a54
	s_waitcnt vmcnt(0)
	v_cmp_lt_i32_e64 s[4:5], v53, v18
	v_cndmask_b32_e64 v10, 0, v10, s[4:5]
	v_cmp_lt_i32_e64 s[4:5], v17, v18
	v_accvgpr_read_b32 v17, a53
	v_cndmask_b32_e64 v11, 0, v11, s[4:5]
	v_cmp_lt_i32_e64 s[4:5], v17, v18
	v_accvgpr_read_b32 v17, a52
	;; [unrolled: 3-line block ×6, first 2 shown]
	v_cndmask_b32_e64 v7, 0, v7, s[4:5]
	v_cmp_lt_i32_e64 s[4:5], v17, v18
	v_cndmask_b32_e64 v6, 0, v6, s[4:5]
.LBB386_1353:                           ;   in Loop: Header=BB386_1010 Depth=1
	s_or_b64 exec, exec, s[24:25]
	v_lshlrev_b32_e32 v10, 16, v10
	v_mul_f32_e32 v10, v39, v10
	v_and_b32_e32 v17, 0x7f800000, v10
	v_cmp_ne_u32_e64 s[4:5], s15, v17
                                        ; implicit-def: $agpr63
	s_and_saveexec_b64 s[24:25], s[4:5]
	s_xor_b64 s[4:5], exec, s[24:25]
; %bb.1354:                             ;   in Loop: Header=BB386_1010 Depth=1
	v_bfe_u32 v17, v10, 16, 1
	v_add3_u32 v10, v10, v17, s30
	v_accvgpr_write_b32 a63, v10
                                        ; implicit-def: $vgpr10
; %bb.1355:                             ;   in Loop: Header=BB386_1010 Depth=1
	s_andn2_saveexec_b64 s[24:25], s[4:5]
; %bb.1356:                             ;   in Loop: Header=BB386_1010 Depth=1
	v_or_b32_e32 v17, 0x10000, v10
	v_cmp_eq_u32_sdwa s[4:5], v10, v37 src0_sel:WORD_0 src1_sel:DWORD
	v_cndmask_b32_e64 v10, v17, v10, s[4:5]
	v_accvgpr_write_b32 a63, v10
; %bb.1357:                             ;   in Loop: Header=BB386_1010 Depth=1
	s_or_b64 exec, exec, s[24:25]
	v_lshlrev_b32_e32 v10, 16, v11
	v_mul_f32_e32 v10, v31, v10
	v_and_b32_e32 v11, 0x7f800000, v10
	v_cmp_ne_u32_e64 s[4:5], s15, v11
                                        ; implicit-def: $agpr17
	s_and_saveexec_b64 s[24:25], s[4:5]
	s_xor_b64 s[4:5], exec, s[24:25]
; %bb.1358:                             ;   in Loop: Header=BB386_1010 Depth=1
	v_bfe_u32 v11, v10, 16, 1
	v_add3_u32 v10, v10, v11, s30
	v_accvgpr_write_b32 a17, v10
                                        ; implicit-def: $vgpr10
; %bb.1359:                             ;   in Loop: Header=BB386_1010 Depth=1
	s_andn2_saveexec_b64 s[24:25], s[4:5]
; %bb.1360:                             ;   in Loop: Header=BB386_1010 Depth=1
	v_or_b32_e32 v11, 0x10000, v10
	v_cmp_eq_u32_sdwa s[4:5], v10, v37 src0_sel:WORD_0 src1_sel:DWORD
	v_cndmask_b32_e64 v10, v11, v10, s[4:5]
	v_accvgpr_write_b32 a17, v10
; %bb.1361:                             ;   in Loop: Header=BB386_1010 Depth=1
	s_or_b64 exec, exec, s[24:25]
	v_lshlrev_b32_e32 v10, 16, v12
	v_mul_f32_e32 v10, v30, v10
	v_and_b32_e32 v11, 0x7f800000, v10
	v_cmp_ne_u32_e64 s[4:5], s15, v11
                                        ; implicit-def: $agpr16
	s_and_saveexec_b64 s[24:25], s[4:5]
	s_xor_b64 s[4:5], exec, s[24:25]
; %bb.1362:                             ;   in Loop: Header=BB386_1010 Depth=1
	v_bfe_u32 v11, v10, 16, 1
	v_add3_u32 v10, v10, v11, s30
	v_accvgpr_write_b32 a16, v10
                                        ; implicit-def: $vgpr10
; %bb.1363:                             ;   in Loop: Header=BB386_1010 Depth=1
	s_andn2_saveexec_b64 s[24:25], s[4:5]
; %bb.1364:                             ;   in Loop: Header=BB386_1010 Depth=1
	v_or_b32_e32 v11, 0x10000, v10
	v_cmp_eq_u32_sdwa s[4:5], v10, v37 src0_sel:WORD_0 src1_sel:DWORD
	v_cndmask_b32_e64 v10, v11, v10, s[4:5]
	v_accvgpr_write_b32 a16, v10
; %bb.1365:                             ;   in Loop: Header=BB386_1010 Depth=1
	s_or_b64 exec, exec, s[24:25]
	v_lshlrev_b32_e32 v10, 16, v13
	v_mul_f32_e32 v10, v49, v10
	v_and_b32_e32 v11, 0x7f800000, v10
	v_cmp_ne_u32_e64 s[4:5], s15, v11
                                        ; implicit-def: $agpr15
	s_and_saveexec_b64 s[24:25], s[4:5]
	s_xor_b64 s[4:5], exec, s[24:25]
; %bb.1366:                             ;   in Loop: Header=BB386_1010 Depth=1
	v_bfe_u32 v11, v10, 16, 1
	v_add3_u32 v10, v10, v11, s30
	v_accvgpr_write_b32 a15, v10
                                        ; implicit-def: $vgpr10
; %bb.1367:                             ;   in Loop: Header=BB386_1010 Depth=1
	s_andn2_saveexec_b64 s[24:25], s[4:5]
; %bb.1368:                             ;   in Loop: Header=BB386_1010 Depth=1
	v_or_b32_e32 v11, 0x10000, v10
	v_cmp_eq_u32_sdwa s[4:5], v10, v37 src0_sel:WORD_0 src1_sel:DWORD
	v_cndmask_b32_e64 v10, v11, v10, s[4:5]
	v_accvgpr_write_b32 a15, v10
; %bb.1369:                             ;   in Loop: Header=BB386_1010 Depth=1
	s_or_b64 exec, exec, s[24:25]
	v_lshlrev_b32_e32 v10, 16, v16
	v_mul_f32_e32 v10, v51, v10
	v_and_b32_e32 v11, 0x7f800000, v10
	v_cmp_ne_u32_e64 s[4:5], s15, v11
                                        ; implicit-def: $agpr18
	s_and_saveexec_b64 s[24:25], s[4:5]
	s_xor_b64 s[4:5], exec, s[24:25]
; %bb.1370:                             ;   in Loop: Header=BB386_1010 Depth=1
	v_bfe_u32 v11, v10, 16, 1
	v_add3_u32 v10, v10, v11, s30
	v_accvgpr_write_b32 a18, v10
                                        ; implicit-def: $vgpr10
; %bb.1371:                             ;   in Loop: Header=BB386_1010 Depth=1
	s_andn2_saveexec_b64 s[24:25], s[4:5]
; %bb.1372:                             ;   in Loop: Header=BB386_1010 Depth=1
	v_or_b32_e32 v11, 0x10000, v10
	v_cmp_eq_u32_sdwa s[4:5], v10, v37 src0_sel:WORD_0 src1_sel:DWORD
	v_cndmask_b32_e64 v10, v11, v10, s[4:5]
	v_accvgpr_write_b32 a18, v10
; %bb.1373:                             ;   in Loop: Header=BB386_1010 Depth=1
	s_or_b64 exec, exec, s[24:25]
	v_lshlrev_b32_e32 v8, 16, v8
	v_mul_f32_e32 v8, v54, v8
	v_and_b32_e32 v10, 0x7f800000, v8
	v_cmp_ne_u32_e64 s[4:5], s15, v10
                                        ; implicit-def: $agpr0
	s_and_saveexec_b64 s[24:25], s[4:5]
	s_xor_b64 s[4:5], exec, s[24:25]
; %bb.1374:                             ;   in Loop: Header=BB386_1010 Depth=1
	v_bfe_u32 v10, v8, 16, 1
	v_add3_u32 v8, v8, v10, s30
	v_accvgpr_write_b32 a0, v8
                                        ; implicit-def: $vgpr8
; %bb.1375:                             ;   in Loop: Header=BB386_1010 Depth=1
	s_andn2_saveexec_b64 s[24:25], s[4:5]
; %bb.1376:                             ;   in Loop: Header=BB386_1010 Depth=1
	v_or_b32_e32 v10, 0x10000, v8
	v_cmp_eq_u32_sdwa s[4:5], v8, v37 src0_sel:WORD_0 src1_sel:DWORD
	v_cndmask_b32_e64 v8, v10, v8, s[4:5]
	v_accvgpr_write_b32 a0, v8
; %bb.1377:                             ;   in Loop: Header=BB386_1010 Depth=1
	s_or_b64 exec, exec, s[24:25]
	v_lshlrev_b32_e32 v7, 16, v7
	v_mul_f32_e32 v7, v27, v7
	v_and_b32_e32 v8, 0x7f800000, v7
	v_cmp_ne_u32_e64 s[4:5], s15, v8
                                        ; implicit-def: $agpr1
	s_and_saveexec_b64 s[24:25], s[4:5]
	s_xor_b64 s[4:5], exec, s[24:25]
; %bb.1378:                             ;   in Loop: Header=BB386_1010 Depth=1
	v_bfe_u32 v8, v7, 16, 1
	v_add3_u32 v7, v7, v8, s30
	v_accvgpr_write_b32 a1, v7
                                        ; implicit-def: $vgpr7
; %bb.1379:                             ;   in Loop: Header=BB386_1010 Depth=1
	s_andn2_saveexec_b64 s[24:25], s[4:5]
; %bb.1380:                             ;   in Loop: Header=BB386_1010 Depth=1
	v_or_b32_e32 v8, 0x10000, v7
	v_cmp_eq_u32_sdwa s[4:5], v7, v37 src0_sel:WORD_0 src1_sel:DWORD
	v_cndmask_b32_e64 v7, v8, v7, s[4:5]
	v_accvgpr_write_b32 a1, v7
; %bb.1381:                             ;   in Loop: Header=BB386_1010 Depth=1
	s_or_b64 exec, exec, s[24:25]
	v_lshlrev_b32_e32 v6, 16, v6
	v_mul_f32_e32 v6, v26, v6
	v_and_b32_e32 v7, 0x7f800000, v6
	v_cmp_ne_u32_e64 s[4:5], s15, v7
                                        ; implicit-def: $agpr2
	s_and_saveexec_b64 s[24:25], s[4:5]
	s_xor_b64 s[4:5], exec, s[24:25]
; %bb.1382:                             ;   in Loop: Header=BB386_1010 Depth=1
	v_bfe_u32 v7, v6, 16, 1
	v_add3_u32 v6, v6, v7, s30
	v_accvgpr_write_b32 a2, v6
                                        ; implicit-def: $vgpr6
; %bb.1383:                             ;   in Loop: Header=BB386_1010 Depth=1
	s_andn2_saveexec_b64 s[24:25], s[4:5]
; %bb.1384:                             ;   in Loop: Header=BB386_1010 Depth=1
	v_or_b32_e32 v7, 0x10000, v6
	v_cmp_eq_u32_sdwa s[4:5], v6, v37 src0_sel:WORD_0 src1_sel:DWORD
	v_cndmask_b32_e64 v6, v7, v6, s[4:5]
	v_accvgpr_write_b32 a2, v6
; %bb.1385:                             ;   in Loop: Header=BB386_1010 Depth=1
	s_or_b64 exec, exec, s[24:25]
	flat_load_dwordx2 v[6:7], v[2:3] offset:1536
	v_mov_b32_e32 v8, 0
	s_waitcnt vmcnt(0) lgkmcnt(0)
	v_cmp_ne_u16_sdwa s[4:5], v6, v37 src0_sel:BYTE_0 src1_sel:DWORD
	s_and_saveexec_b64 s[24:25], s[4:5]
	s_cbranch_execz .LBB386_1391
; %bb.1386:                             ;   in Loop: Header=BB386_1010 Depth=1
	v_cmp_ne_u16_sdwa s[4:5], v6, s31 src0_sel:BYTE_0 src1_sel:DWORD
	v_bfrev_b32_e32 v8, 1
	s_and_saveexec_b64 s[26:27], s[4:5]
	s_cbranch_execz .LBB386_1390
; %bb.1387:                             ;   in Loop: Header=BB386_1010 Depth=1
	v_and_b32_e32 v10, 0x7f, v6
	v_cmp_ne_u32_e64 s[4:5], s34, v10
	v_mov_b32_e32 v8, 0x7f800001
	s_and_saveexec_b64 s[28:29], s[4:5]
	s_cbranch_execz .LBB386_1389
; %bb.1388:                             ;   in Loop: Header=BB386_1010 Depth=1
	v_and_b32_e32 v8, 7, v6
	v_ffbh_u32_e32 v8, v8
	v_min_u32_e32 v8, 32, v8
	v_subrev_u32_e32 v12, 28, v8
	v_cmp_gt_u32_e64 s[4:5], 8, v10
	v_lshrrev_b32_e32 v11, 3, v10
	v_sub_u32_e32 v8, 29, v8
	v_cndmask_b32_e64 v10, 0, v12, s[4:5]
	v_cndmask_b32_e64 v8, v11, v8, s[4:5]
	v_lshlrev_b64 v[10:11], v10, v[6:7]
	v_lshlrev_b32_e32 v10, 20, v10
	v_lshlrev_b32_e32 v11, 24, v6
	v_and_b32_e32 v10, 0x700000, v10
	v_and_b32_e32 v11, 0x80000000, v11
	v_lshl_add_u32 v8, v8, 23, v5
	v_or3_b32 v8, v11, v8, v10
.LBB386_1389:                           ;   in Loop: Header=BB386_1010 Depth=1
	s_or_b64 exec, exec, s[28:29]
.LBB386_1390:                           ;   in Loop: Header=BB386_1010 Depth=1
	s_or_b64 exec, exec, s[26:27]
.LBB386_1391:                           ;   in Loop: Header=BB386_1010 Depth=1
	s_or_b64 exec, exec, s[24:25]
	v_mul_f32_e32 v8, v9, v8
	v_and_b32_e32 v10, 0x7f800000, v8
	v_cmp_ne_u32_e64 s[4:5], s15, v10
                                        ; implicit-def: $vgpr10
	s_and_saveexec_b64 s[24:25], s[4:5]
	s_xor_b64 s[4:5], exec, s[24:25]
; %bb.1392:                             ;   in Loop: Header=BB386_1010 Depth=1
	v_bfe_u32 v10, v8, 16, 1
	v_add3_u32 v10, v8, v10, s30
                                        ; implicit-def: $vgpr8
; %bb.1393:                             ;   in Loop: Header=BB386_1010 Depth=1
	s_andn2_saveexec_b64 s[24:25], s[4:5]
; %bb.1394:                             ;   in Loop: Header=BB386_1010 Depth=1
	v_or_b32_e32 v10, 0x10000, v8
	v_cmp_eq_u32_sdwa s[4:5], v8, v37 src0_sel:WORD_0 src1_sel:DWORD
	v_cndmask_b32_e64 v10, v10, v8, s[4:5]
; %bb.1395:                             ;   in Loop: Header=BB386_1010 Depth=1
	s_or_b64 exec, exec, s[24:25]
	v_lshrrev_b16_e32 v8, 8, v6
	v_cmp_ne_u16_e64 s[4:5], 0, v8
	v_mov_b32_e32 v11, 0
	s_and_saveexec_b64 s[24:25], s[4:5]
	s_cbranch_execz .LBB386_1401
; %bb.1396:                             ;   in Loop: Header=BB386_1010 Depth=1
	v_cmp_ne_u16_e64 s[4:5], s31, v8
	v_bfrev_b32_e32 v11, 1
	s_and_saveexec_b64 s[26:27], s[4:5]
	s_cbranch_execz .LBB386_1400
; %bb.1397:                             ;   in Loop: Header=BB386_1010 Depth=1
	v_and_b32_e32 v12, 0x7f, v8
	v_cmp_ne_u32_e64 s[4:5], s34, v12
	v_mov_b32_e32 v11, 0x7f800001
	s_and_saveexec_b64 s[28:29], s[4:5]
	s_cbranch_execz .LBB386_1399
; %bb.1398:                             ;   in Loop: Header=BB386_1010 Depth=1
	v_and_b32_e32 v11, 7, v8
	v_ffbh_u32_e32 v16, v11
	v_min_u32_e32 v18, 32, v16
	v_subrev_u32_e32 v16, 28, v18
	v_lshlrev_b64 v[16:17], v16, v[8:9]
	v_lshrrev_b32_e32 v13, 3, v12
	v_sub_u32_e32 v8, 29, v18
	v_and_b32_e32 v16, 7, v16
	v_cmp_gt_u32_e64 s[4:5], 8, v12
	v_cndmask_b32_e64 v8, v13, v8, s[4:5]
	v_cndmask_b32_e64 v11, v11, v16, s[4:5]
	v_lshlrev_b32_e32 v12, 16, v6
	v_lshlrev_b32_e32 v11, 20, v11
	v_and_b32_e32 v12, 0x80000000, v12
	v_lshl_add_u32 v8, v8, 23, v5
	v_or3_b32 v11, v12, v8, v11
.LBB386_1399:                           ;   in Loop: Header=BB386_1010 Depth=1
	s_or_b64 exec, exec, s[28:29]
.LBB386_1400:                           ;   in Loop: Header=BB386_1010 Depth=1
	s_or_b64 exec, exec, s[26:27]
.LBB386_1401:                           ;   in Loop: Header=BB386_1010 Depth=1
	s_or_b64 exec, exec, s[24:25]
	v_mul_f32_e32 v8, v9, v11
	v_and_b32_e32 v11, 0x7f800000, v8
	v_cmp_ne_u32_e64 s[4:5], s15, v11
                                        ; implicit-def: $vgpr11
	s_and_saveexec_b64 s[24:25], s[4:5]
	s_xor_b64 s[4:5], exec, s[24:25]
; %bb.1402:                             ;   in Loop: Header=BB386_1010 Depth=1
	v_bfe_u32 v11, v8, 16, 1
	v_add3_u32 v11, v8, v11, s30
                                        ; implicit-def: $vgpr8
; %bb.1403:                             ;   in Loop: Header=BB386_1010 Depth=1
	s_andn2_saveexec_b64 s[24:25], s[4:5]
; %bb.1404:                             ;   in Loop: Header=BB386_1010 Depth=1
	v_or_b32_e32 v11, 0x10000, v8
	v_cmp_eq_u32_sdwa s[4:5], v8, v37 src0_sel:WORD_0 src1_sel:DWORD
	v_cndmask_b32_e64 v11, v11, v8, s[4:5]
; %bb.1405:                             ;   in Loop: Header=BB386_1010 Depth=1
	s_or_b64 exec, exec, s[24:25]
	v_lshrrev_b32_e32 v8, 16, v6
	v_cmp_ne_u16_sdwa s[4:5], v8, v37 src0_sel:BYTE_0 src1_sel:DWORD
	v_mov_b32_e32 v12, 0
	s_and_saveexec_b64 s[24:25], s[4:5]
	s_cbranch_execz .LBB386_1411
; %bb.1406:                             ;   in Loop: Header=BB386_1010 Depth=1
	v_cmp_ne_u16_sdwa s[4:5], v8, s31 src0_sel:BYTE_0 src1_sel:DWORD
	v_bfrev_b32_e32 v12, 1
	s_and_saveexec_b64 s[26:27], s[4:5]
	s_cbranch_execz .LBB386_1410
; %bb.1407:                             ;   in Loop: Header=BB386_1010 Depth=1
	v_bfe_u32 v13, v6, 16, 7
	v_cmp_ne_u32_e64 s[4:5], s34, v13
	v_mov_b32_e32 v12, 0x7f800001
	s_and_saveexec_b64 s[28:29], s[4:5]
	s_cbranch_execz .LBB386_1409
; %bb.1408:                             ;   in Loop: Header=BB386_1010 Depth=1
	v_and_b32_e32 v12, 7, v8
	v_ffbh_u32_e32 v16, v12
	v_min_u32_e32 v19, 32, v16
	v_subrev_u32_e32 v16, 28, v19
	v_lshlrev_b64 v[16:17], v16, v[8:9]
	v_lshrrev_b32_e32 v18, 3, v13
	v_sub_u32_e32 v17, 29, v19
	v_and_b32_e32 v16, 7, v16
	v_cmp_gt_u32_e64 s[4:5], 8, v13
	v_cndmask_b32_e64 v13, v18, v17, s[4:5]
	v_cndmask_b32_e64 v12, v12, v16, s[4:5]
	v_lshlrev_b32_e32 v8, 24, v8
	v_lshlrev_b32_e32 v12, 20, v12
	v_and_b32_e32 v8, 0x80000000, v8
	v_lshl_add_u32 v13, v13, 23, v5
	v_or3_b32 v12, v8, v13, v12
.LBB386_1409:                           ;   in Loop: Header=BB386_1010 Depth=1
	s_or_b64 exec, exec, s[28:29]
.LBB386_1410:                           ;   in Loop: Header=BB386_1010 Depth=1
	s_or_b64 exec, exec, s[26:27]
.LBB386_1411:                           ;   in Loop: Header=BB386_1010 Depth=1
	s_or_b64 exec, exec, s[24:25]
	v_mul_f32_e32 v8, v9, v12
	v_and_b32_e32 v12, 0x7f800000, v8
	v_cmp_ne_u32_e64 s[4:5], s15, v12
                                        ; implicit-def: $vgpr12
	s_and_saveexec_b64 s[24:25], s[4:5]
	s_xor_b64 s[4:5], exec, s[24:25]
; %bb.1412:                             ;   in Loop: Header=BB386_1010 Depth=1
	v_bfe_u32 v12, v8, 16, 1
	v_add3_u32 v12, v8, v12, s30
                                        ; implicit-def: $vgpr8
; %bb.1413:                             ;   in Loop: Header=BB386_1010 Depth=1
	s_andn2_saveexec_b64 s[24:25], s[4:5]
; %bb.1414:                             ;   in Loop: Header=BB386_1010 Depth=1
	v_or_b32_e32 v12, 0x10000, v8
	v_cmp_eq_u32_sdwa s[4:5], v8, v37 src0_sel:WORD_0 src1_sel:DWORD
	v_cndmask_b32_e64 v12, v12, v8, s[4:5]
; %bb.1415:                             ;   in Loop: Header=BB386_1010 Depth=1
	s_or_b64 exec, exec, s[24:25]
	v_cmp_lt_u32_e64 s[4:5], s11, v6
	v_mov_b32_e32 v13, 0
	s_and_saveexec_b64 s[24:25], s[4:5]
	s_cbranch_execz .LBB386_1421
; %bb.1416:                             ;   in Loop: Header=BB386_1010 Depth=1
	v_lshrrev_b32_e32 v8, 24, v6
	v_cmp_ne_u32_e64 s[4:5], s31, v8
	v_bfrev_b32_e32 v13, 1
	s_and_saveexec_b64 s[26:27], s[4:5]
	s_cbranch_execz .LBB386_1420
; %bb.1417:                             ;   in Loop: Header=BB386_1010 Depth=1
	v_bfe_u32 v16, v6, 24, 7
	v_cmp_ne_u32_e64 s[4:5], s34, v16
	v_mov_b32_e32 v13, 0x7f800001
	s_and_saveexec_b64 s[28:29], s[4:5]
	s_cbranch_execz .LBB386_1419
; %bb.1418:                             ;   in Loop: Header=BB386_1010 Depth=1
	v_and_b32_e32 v13, 7, v8
	v_ffbh_u32_e32 v18, v13
	v_min_u32_e32 v20, 32, v18
	v_subrev_u32_e32 v18, 28, v20
	v_lshlrev_b64 v[18:19], v18, v[8:9]
	v_lshrrev_b32_e32 v17, 3, v16
	v_sub_u32_e32 v19, 29, v20
	v_and_b32_e32 v18, 7, v18
	v_cmp_gt_u32_e64 s[4:5], 8, v16
	v_cndmask_b32_e64 v16, v17, v19, s[4:5]
	v_cndmask_b32_e64 v13, v13, v18, s[4:5]
	v_lshlrev_b32_e32 v8, 24, v8
	v_lshlrev_b32_e32 v13, 20, v13
	v_and_b32_e32 v8, 0x80000000, v8
	v_lshl_add_u32 v16, v16, 23, v5
	v_or3_b32 v13, v8, v16, v13
.LBB386_1419:                           ;   in Loop: Header=BB386_1010 Depth=1
	s_or_b64 exec, exec, s[28:29]
.LBB386_1420:                           ;   in Loop: Header=BB386_1010 Depth=1
	s_or_b64 exec, exec, s[26:27]
.LBB386_1421:                           ;   in Loop: Header=BB386_1010 Depth=1
	s_or_b64 exec, exec, s[24:25]
	v_mul_f32_e32 v8, v9, v13
	v_and_b32_e32 v13, 0x7f800000, v8
	v_cmp_ne_u32_e64 s[4:5], s15, v13
                                        ; implicit-def: $vgpr13
	s_and_saveexec_b64 s[24:25], s[4:5]
	s_xor_b64 s[4:5], exec, s[24:25]
; %bb.1422:                             ;   in Loop: Header=BB386_1010 Depth=1
	v_bfe_u32 v13, v8, 16, 1
	v_add3_u32 v13, v8, v13, s30
                                        ; implicit-def: $vgpr8
; %bb.1423:                             ;   in Loop: Header=BB386_1010 Depth=1
	s_andn2_saveexec_b64 s[24:25], s[4:5]
; %bb.1424:                             ;   in Loop: Header=BB386_1010 Depth=1
	v_or_b32_e32 v13, 0x10000, v8
	v_cmp_eq_u32_sdwa s[4:5], v8, v37 src0_sel:WORD_0 src1_sel:DWORD
	v_cndmask_b32_e64 v13, v13, v8, s[4:5]
; %bb.1425:                             ;   in Loop: Header=BB386_1010 Depth=1
	s_or_b64 exec, exec, s[24:25]
	v_mov_b32_e32 v36, v7
	v_cmp_ne_u16_sdwa s[4:5], v7, v37 src0_sel:BYTE_0 src1_sel:DWORD
	v_mov_b32_e32 v8, 0
	s_and_saveexec_b64 s[24:25], s[4:5]
	s_cbranch_execz .LBB386_1431
; %bb.1426:                             ;   in Loop: Header=BB386_1010 Depth=1
	v_cmp_ne_u16_sdwa s[4:5], v7, s31 src0_sel:BYTE_0 src1_sel:DWORD
	v_bfrev_b32_e32 v8, 1
	s_and_saveexec_b64 s[26:27], s[4:5]
	s_cbranch_execz .LBB386_1430
; %bb.1427:                             ;   in Loop: Header=BB386_1010 Depth=1
	v_and_b32_e32 v16, 0x7f, v7
	v_cmp_ne_u32_e64 s[4:5], s34, v16
	v_mov_b32_e32 v8, 0x7f800001
	s_and_saveexec_b64 s[28:29], s[4:5]
	s_cbranch_execz .LBB386_1429
; %bb.1428:                             ;   in Loop: Header=BB386_1010 Depth=1
	v_and_b32_e32 v8, 7, v7
	v_ffbh_u32_e32 v8, v8
	v_min_u32_e32 v8, 32, v8
	v_subrev_u32_e32 v18, 28, v8
	v_cmp_gt_u32_e64 s[4:5], 8, v16
	v_lshrrev_b32_e32 v17, 3, v16
	v_sub_u32_e32 v8, 29, v8
	v_cndmask_b32_e64 v16, 0, v18, s[4:5]
	v_cndmask_b32_e64 v8, v17, v8, s[4:5]
	v_lshlrev_b64 v[16:17], v16, v[36:37]
	v_lshlrev_b32_e32 v16, 20, v16
	v_lshlrev_b32_e32 v17, 24, v36
	v_and_b32_e32 v16, 0x700000, v16
	v_and_b32_e32 v17, 0x80000000, v17
	v_lshl_add_u32 v8, v8, 23, v5
	v_or3_b32 v8, v17, v8, v16
.LBB386_1429:                           ;   in Loop: Header=BB386_1010 Depth=1
	s_or_b64 exec, exec, s[28:29]
.LBB386_1430:                           ;   in Loop: Header=BB386_1010 Depth=1
	s_or_b64 exec, exec, s[26:27]
.LBB386_1431:                           ;   in Loop: Header=BB386_1010 Depth=1
	s_or_b64 exec, exec, s[24:25]
	v_mul_f32_e32 v8, v9, v8
	v_and_b32_e32 v16, 0x7f800000, v8
	v_cmp_ne_u32_e64 s[4:5], s15, v16
                                        ; implicit-def: $vgpr16
	s_and_saveexec_b64 s[24:25], s[4:5]
	s_xor_b64 s[4:5], exec, s[24:25]
; %bb.1432:                             ;   in Loop: Header=BB386_1010 Depth=1
	v_bfe_u32 v16, v8, 16, 1
	v_add3_u32 v16, v8, v16, s30
                                        ; implicit-def: $vgpr8
; %bb.1433:                             ;   in Loop: Header=BB386_1010 Depth=1
	s_andn2_saveexec_b64 s[24:25], s[4:5]
; %bb.1434:                             ;   in Loop: Header=BB386_1010 Depth=1
	v_or_b32_e32 v16, 0x10000, v8
	v_cmp_eq_u32_sdwa s[4:5], v8, v37 src0_sel:WORD_0 src1_sel:DWORD
	v_cndmask_b32_e64 v16, v16, v8, s[4:5]
; %bb.1435:                             ;   in Loop: Header=BB386_1010 Depth=1
	s_or_b64 exec, exec, s[24:25]
	v_lshrrev_b16_e32 v8, 8, v36
	v_cmp_ne_u16_e64 s[4:5], 0, v8
	v_mov_b32_e32 v17, 0
	s_and_saveexec_b64 s[24:25], s[4:5]
	s_cbranch_execz .LBB386_1441
; %bb.1436:                             ;   in Loop: Header=BB386_1010 Depth=1
	v_cmp_ne_u16_e64 s[4:5], s31, v8
	v_bfrev_b32_e32 v17, 1
	s_and_saveexec_b64 s[26:27], s[4:5]
	s_cbranch_execz .LBB386_1440
; %bb.1437:                             ;   in Loop: Header=BB386_1010 Depth=1
	v_and_b32_e32 v18, 0x7f, v8
	v_cmp_ne_u32_e64 s[4:5], s34, v18
	v_mov_b32_e32 v17, 0x7f800001
	s_and_saveexec_b64 s[28:29], s[4:5]
	s_cbranch_execz .LBB386_1439
; %bb.1438:                             ;   in Loop: Header=BB386_1010 Depth=1
	v_and_b32_e32 v17, 7, v8
	v_ffbh_u32_e32 v20, v17
	v_min_u32_e32 v22, 32, v20
	v_subrev_u32_e32 v20, 28, v22
	v_lshlrev_b64 v[20:21], v20, v[8:9]
	v_lshrrev_b32_e32 v19, 3, v18
	v_sub_u32_e32 v8, 29, v22
	v_and_b32_e32 v20, 7, v20
	v_cmp_gt_u32_e64 s[4:5], 8, v18
	v_cndmask_b32_e64 v8, v19, v8, s[4:5]
	v_cndmask_b32_e64 v17, v17, v20, s[4:5]
	v_lshlrev_b32_e32 v18, 16, v36
	v_lshlrev_b32_e32 v17, 20, v17
	v_and_b32_e32 v18, 0x80000000, v18
	v_lshl_add_u32 v8, v8, 23, v5
	v_or3_b32 v17, v18, v8, v17
.LBB386_1439:                           ;   in Loop: Header=BB386_1010 Depth=1
	s_or_b64 exec, exec, s[28:29]
.LBB386_1440:                           ;   in Loop: Header=BB386_1010 Depth=1
	s_or_b64 exec, exec, s[26:27]
.LBB386_1441:                           ;   in Loop: Header=BB386_1010 Depth=1
	s_or_b64 exec, exec, s[24:25]
	v_mul_f32_e32 v8, v9, v17
	v_and_b32_e32 v17, 0x7f800000, v8
	v_cmp_ne_u32_e64 s[4:5], s15, v17
                                        ; implicit-def: $vgpr17
	s_and_saveexec_b64 s[24:25], s[4:5]
	s_xor_b64 s[4:5], exec, s[24:25]
; %bb.1442:                             ;   in Loop: Header=BB386_1010 Depth=1
	v_bfe_u32 v17, v8, 16, 1
	v_add3_u32 v17, v8, v17, s30
                                        ; implicit-def: $vgpr8
; %bb.1443:                             ;   in Loop: Header=BB386_1010 Depth=1
	s_andn2_saveexec_b64 s[24:25], s[4:5]
; %bb.1444:                             ;   in Loop: Header=BB386_1010 Depth=1
	v_or_b32_e32 v17, 0x10000, v8
	v_cmp_eq_u32_sdwa s[4:5], v8, v37 src0_sel:WORD_0 src1_sel:DWORD
	v_cndmask_b32_e64 v17, v17, v8, s[4:5]
; %bb.1445:                             ;   in Loop: Header=BB386_1010 Depth=1
	s_or_b64 exec, exec, s[24:25]
	v_lshrrev_b32_e32 v8, 16, v7
	v_cmp_ne_u16_sdwa s[4:5], v8, v37 src0_sel:BYTE_0 src1_sel:DWORD
	v_mov_b32_e32 v18, 0
	s_and_saveexec_b64 s[24:25], s[4:5]
	s_cbranch_execz .LBB386_1451
; %bb.1446:                             ;   in Loop: Header=BB386_1010 Depth=1
	v_cmp_ne_u16_sdwa s[4:5], v8, s31 src0_sel:BYTE_0 src1_sel:DWORD
	v_bfrev_b32_e32 v18, 1
	s_and_saveexec_b64 s[26:27], s[4:5]
	s_cbranch_execz .LBB386_1450
; %bb.1447:                             ;   in Loop: Header=BB386_1010 Depth=1
	v_bfe_u32 v19, v7, 16, 7
	v_cmp_ne_u32_e64 s[4:5], s34, v19
	v_mov_b32_e32 v18, 0x7f800001
	s_and_saveexec_b64 s[28:29], s[4:5]
	s_cbranch_execz .LBB386_1449
; %bb.1448:                             ;   in Loop: Header=BB386_1010 Depth=1
	v_and_b32_e32 v18, 7, v8
	v_ffbh_u32_e32 v20, v18
	v_min_u32_e32 v23, 32, v20
	v_subrev_u32_e32 v20, 28, v23
	v_lshlrev_b64 v[20:21], v20, v[8:9]
	v_lshrrev_b32_e32 v22, 3, v19
	v_sub_u32_e32 v21, 29, v23
	v_and_b32_e32 v20, 7, v20
	v_cmp_gt_u32_e64 s[4:5], 8, v19
	v_cndmask_b32_e64 v19, v22, v21, s[4:5]
	v_cndmask_b32_e64 v18, v18, v20, s[4:5]
	v_lshlrev_b32_e32 v8, 24, v8
	v_lshlrev_b32_e32 v18, 20, v18
	v_and_b32_e32 v8, 0x80000000, v8
	v_lshl_add_u32 v19, v19, 23, v5
	v_or3_b32 v18, v8, v19, v18
.LBB386_1449:                           ;   in Loop: Header=BB386_1010 Depth=1
	s_or_b64 exec, exec, s[28:29]
.LBB386_1450:                           ;   in Loop: Header=BB386_1010 Depth=1
	s_or_b64 exec, exec, s[26:27]
.LBB386_1451:                           ;   in Loop: Header=BB386_1010 Depth=1
	s_or_b64 exec, exec, s[24:25]
	v_mul_f32_e32 v8, v9, v18
	v_and_b32_e32 v18, 0x7f800000, v8
	v_cmp_ne_u32_e64 s[4:5], s15, v18
                                        ; implicit-def: $vgpr18
	s_and_saveexec_b64 s[24:25], s[4:5]
	s_xor_b64 s[4:5], exec, s[24:25]
; %bb.1452:                             ;   in Loop: Header=BB386_1010 Depth=1
	v_bfe_u32 v18, v8, 16, 1
	v_add3_u32 v18, v8, v18, s30
                                        ; implicit-def: $vgpr8
; %bb.1453:                             ;   in Loop: Header=BB386_1010 Depth=1
	s_andn2_saveexec_b64 s[24:25], s[4:5]
; %bb.1454:                             ;   in Loop: Header=BB386_1010 Depth=1
	v_or_b32_e32 v18, 0x10000, v8
	v_cmp_eq_u32_sdwa s[4:5], v8, v37 src0_sel:WORD_0 src1_sel:DWORD
	v_cndmask_b32_e64 v18, v18, v8, s[4:5]
; %bb.1455:                             ;   in Loop: Header=BB386_1010 Depth=1
	s_or_b64 exec, exec, s[24:25]
	v_cmp_lt_u64_e64 s[4:5], s[10:11], v[6:7]
	v_mov_b32_e32 v8, 0
	s_and_saveexec_b64 s[24:25], s[4:5]
	s_cbranch_execz .LBB386_1461
; %bb.1456:                             ;   in Loop: Header=BB386_1010 Depth=1
	v_lshrrev_b32_e32 v6, 24, v7
	v_cmp_ne_u32_e64 s[4:5], s31, v6
	v_bfrev_b32_e32 v8, 1
	s_and_saveexec_b64 s[26:27], s[4:5]
	s_cbranch_execz .LBB386_1460
; %bb.1457:                             ;   in Loop: Header=BB386_1010 Depth=1
	v_bfe_u32 v7, v7, 24, 7
	v_cmp_ne_u32_e64 s[4:5], s34, v7
	v_mov_b32_e32 v8, 0x7f800001
	s_and_saveexec_b64 s[28:29], s[4:5]
	s_cbranch_execz .LBB386_1459
; %bb.1458:                             ;   in Loop: Header=BB386_1010 Depth=1
	v_and_b32_e32 v8, 7, v6
	v_ffbh_u32_e32 v20, v8
	v_min_u32_e32 v22, 32, v20
	v_subrev_u32_e32 v20, 28, v22
	v_lshlrev_b64 v[20:21], v20, v[6:7]
	v_lshrrev_b32_e32 v19, 3, v7
	v_sub_u32_e32 v21, 29, v22
	v_and_b32_e32 v20, 7, v20
	v_cmp_gt_u32_e64 s[4:5], 8, v7
	v_cndmask_b32_e64 v7, v19, v21, s[4:5]
	v_cndmask_b32_e64 v8, v8, v20, s[4:5]
	v_lshlrev_b32_e32 v6, 24, v6
	v_lshlrev_b32_e32 v8, 20, v8
	v_and_b32_e32 v6, 0x80000000, v6
	v_lshl_add_u32 v7, v7, 23, v5
	v_or3_b32 v8, v6, v7, v8
.LBB386_1459:                           ;   in Loop: Header=BB386_1010 Depth=1
	s_or_b64 exec, exec, s[28:29]
.LBB386_1460:                           ;   in Loop: Header=BB386_1010 Depth=1
	s_or_b64 exec, exec, s[26:27]
.LBB386_1461:                           ;   in Loop: Header=BB386_1010 Depth=1
	s_or_b64 exec, exec, s[24:25]
	v_mul_f32_e32 v7, v9, v8
	v_and_b32_e32 v6, 0x7f800000, v7
	v_cmp_ne_u32_e64 s[4:5], s15, v6
                                        ; implicit-def: $vgpr6
	s_and_saveexec_b64 s[24:25], s[4:5]
	s_xor_b64 s[4:5], exec, s[24:25]
; %bb.1462:                             ;   in Loop: Header=BB386_1010 Depth=1
	v_bfe_u32 v6, v7, 16, 1
	v_add3_u32 v6, v7, v6, s30
                                        ; implicit-def: $vgpr7
; %bb.1463:                             ;   in Loop: Header=BB386_1010 Depth=1
	s_andn2_saveexec_b64 s[24:25], s[4:5]
; %bb.1464:                             ;   in Loop: Header=BB386_1010 Depth=1
	v_or_b32_e32 v6, 0x10000, v7
	v_cmp_eq_u32_sdwa s[4:5], v7, v37 src0_sel:WORD_0 src1_sel:DWORD
	v_cndmask_b32_e64 v6, v6, v7, s[4:5]
; %bb.1465:                             ;   in Loop: Header=BB386_1010 Depth=1
	s_or_b64 exec, exec, s[24:25]
	v_lshrrev_b32_e32 v8, 16, v17
	v_lshrrev_b32_e32 v16, 16, v16
	;; [unrolled: 1-line block ×8, first 2 shown]
	s_and_saveexec_b64 s[24:25], vcc
	s_cbranch_execz .LBB386_1467
; %bb.1466:                             ;   in Loop: Header=BB386_1010 Depth=1
	buffer_load_dword v18, off, s[0:3], s32 offset:196 ; 4-byte Folded Reload
	v_accvgpr_read_b32 v17, a54
	s_waitcnt vmcnt(0)
	v_cmp_lt_i32_e64 s[4:5], v53, v18
	v_cndmask_b32_e64 v10, 0, v10, s[4:5]
	v_cmp_lt_i32_e64 s[4:5], v17, v18
	v_accvgpr_read_b32 v17, a53
	v_cndmask_b32_e64 v11, 0, v11, s[4:5]
	v_cmp_lt_i32_e64 s[4:5], v17, v18
	v_accvgpr_read_b32 v17, a52
	;; [unrolled: 3-line block ×6, first 2 shown]
	v_cndmask_b32_e64 v7, 0, v7, s[4:5]
	v_cmp_lt_i32_e64 s[4:5], v17, v18
	v_cndmask_b32_e64 v6, 0, v6, s[4:5]
.LBB386_1467:                           ;   in Loop: Header=BB386_1010 Depth=1
	s_or_b64 exec, exec, s[24:25]
	v_lshlrev_b32_e32 v10, 16, v10
	v_mul_f32_e32 v10, v39, v10
	v_and_b32_e32 v17, 0x7f800000, v10
	v_cmp_ne_u32_e64 s[4:5], s15, v17
                                        ; implicit-def: $vgpr45
	s_and_saveexec_b64 s[24:25], s[4:5]
	s_xor_b64 s[4:5], exec, s[24:25]
; %bb.1468:                             ;   in Loop: Header=BB386_1010 Depth=1
	v_bfe_u32 v17, v10, 16, 1
	v_add3_u32 v45, v10, v17, s30
                                        ; implicit-def: $vgpr10
; %bb.1469:                             ;   in Loop: Header=BB386_1010 Depth=1
	s_andn2_saveexec_b64 s[24:25], s[4:5]
; %bb.1470:                             ;   in Loop: Header=BB386_1010 Depth=1
	v_or_b32_e32 v17, 0x10000, v10
	v_cmp_eq_u32_sdwa s[4:5], v10, v37 src0_sel:WORD_0 src1_sel:DWORD
	v_cndmask_b32_e64 v45, v17, v10, s[4:5]
; %bb.1471:                             ;   in Loop: Header=BB386_1010 Depth=1
	s_or_b64 exec, exec, s[24:25]
	v_lshlrev_b32_e32 v10, 16, v11
	v_mul_f32_e32 v10, v31, v10
	v_and_b32_e32 v11, 0x7f800000, v10
	v_cmp_ne_u32_e64 s[4:5], s15, v11
                                        ; implicit-def: $agpr34
	s_and_saveexec_b64 s[24:25], s[4:5]
	s_xor_b64 s[4:5], exec, s[24:25]
; %bb.1472:                             ;   in Loop: Header=BB386_1010 Depth=1
	v_bfe_u32 v11, v10, 16, 1
	v_add3_u32 v10, v10, v11, s30
	v_accvgpr_write_b32 a34, v10
                                        ; implicit-def: $vgpr10
; %bb.1473:                             ;   in Loop: Header=BB386_1010 Depth=1
	s_andn2_saveexec_b64 s[24:25], s[4:5]
; %bb.1474:                             ;   in Loop: Header=BB386_1010 Depth=1
	v_or_b32_e32 v11, 0x10000, v10
	v_cmp_eq_u32_sdwa s[4:5], v10, v37 src0_sel:WORD_0 src1_sel:DWORD
	v_cndmask_b32_e64 v10, v11, v10, s[4:5]
	v_accvgpr_write_b32 a34, v10
; %bb.1475:                             ;   in Loop: Header=BB386_1010 Depth=1
	s_or_b64 exec, exec, s[24:25]
	v_lshlrev_b32_e32 v10, 16, v12
	v_mul_f32_e32 v10, v30, v10
	v_and_b32_e32 v11, 0x7f800000, v10
	v_cmp_ne_u32_e64 s[4:5], s15, v11
                                        ; implicit-def: $agpr4
	s_and_saveexec_b64 s[24:25], s[4:5]
	s_xor_b64 s[4:5], exec, s[24:25]
; %bb.1476:                             ;   in Loop: Header=BB386_1010 Depth=1
	v_bfe_u32 v11, v10, 16, 1
	v_add3_u32 v10, v10, v11, s30
	v_accvgpr_write_b32 a4, v10
                                        ; implicit-def: $vgpr10
; %bb.1477:                             ;   in Loop: Header=BB386_1010 Depth=1
	s_andn2_saveexec_b64 s[24:25], s[4:5]
; %bb.1478:                             ;   in Loop: Header=BB386_1010 Depth=1
	v_or_b32_e32 v11, 0x10000, v10
	v_cmp_eq_u32_sdwa s[4:5], v10, v37 src0_sel:WORD_0 src1_sel:DWORD
	v_cndmask_b32_e64 v10, v11, v10, s[4:5]
	v_accvgpr_write_b32 a4, v10
; %bb.1479:                             ;   in Loop: Header=BB386_1010 Depth=1
	s_or_b64 exec, exec, s[24:25]
	v_lshlrev_b32_e32 v10, 16, v13
	v_mul_f32_e32 v10, v49, v10
	v_and_b32_e32 v11, 0x7f800000, v10
	v_cmp_ne_u32_e64 s[4:5], s15, v11
                                        ; implicit-def: $agpr5
	s_and_saveexec_b64 s[24:25], s[4:5]
	s_xor_b64 s[4:5], exec, s[24:25]
; %bb.1480:                             ;   in Loop: Header=BB386_1010 Depth=1
	v_bfe_u32 v11, v10, 16, 1
	v_add3_u32 v10, v10, v11, s30
	v_accvgpr_write_b32 a5, v10
                                        ; implicit-def: $vgpr10
; %bb.1481:                             ;   in Loop: Header=BB386_1010 Depth=1
	s_andn2_saveexec_b64 s[24:25], s[4:5]
; %bb.1482:                             ;   in Loop: Header=BB386_1010 Depth=1
	v_or_b32_e32 v11, 0x10000, v10
	v_cmp_eq_u32_sdwa s[4:5], v10, v37 src0_sel:WORD_0 src1_sel:DWORD
	v_cndmask_b32_e64 v10, v11, v10, s[4:5]
	v_accvgpr_write_b32 a5, v10
; %bb.1483:                             ;   in Loop: Header=BB386_1010 Depth=1
	s_or_b64 exec, exec, s[24:25]
	v_lshlrev_b32_e32 v10, 16, v16
	v_mul_f32_e32 v10, v51, v10
	v_and_b32_e32 v11, 0x7f800000, v10
	v_cmp_ne_u32_e64 s[4:5], s15, v11
                                        ; implicit-def: $agpr30
	s_and_saveexec_b64 s[24:25], s[4:5]
	s_xor_b64 s[4:5], exec, s[24:25]
; %bb.1484:                             ;   in Loop: Header=BB386_1010 Depth=1
	v_bfe_u32 v11, v10, 16, 1
	v_add3_u32 v10, v10, v11, s30
	v_accvgpr_write_b32 a30, v10
                                        ; implicit-def: $vgpr10
; %bb.1485:                             ;   in Loop: Header=BB386_1010 Depth=1
	s_andn2_saveexec_b64 s[24:25], s[4:5]
; %bb.1486:                             ;   in Loop: Header=BB386_1010 Depth=1
	v_or_b32_e32 v11, 0x10000, v10
	v_cmp_eq_u32_sdwa s[4:5], v10, v37 src0_sel:WORD_0 src1_sel:DWORD
	v_cndmask_b32_e64 v10, v11, v10, s[4:5]
	v_accvgpr_write_b32 a30, v10
; %bb.1487:                             ;   in Loop: Header=BB386_1010 Depth=1
	s_or_b64 exec, exec, s[24:25]
	v_lshlrev_b32_e32 v8, 16, v8
	v_mul_f32_e32 v8, v54, v8
	v_and_b32_e32 v10, 0x7f800000, v8
	v_cmp_ne_u32_e64 s[4:5], s15, v10
                                        ; implicit-def: $agpr31
	s_and_saveexec_b64 s[24:25], s[4:5]
	s_xor_b64 s[4:5], exec, s[24:25]
; %bb.1488:                             ;   in Loop: Header=BB386_1010 Depth=1
	v_bfe_u32 v10, v8, 16, 1
	v_add3_u32 v8, v8, v10, s30
	v_accvgpr_write_b32 a31, v8
                                        ; implicit-def: $vgpr8
; %bb.1489:                             ;   in Loop: Header=BB386_1010 Depth=1
	s_andn2_saveexec_b64 s[24:25], s[4:5]
; %bb.1490:                             ;   in Loop: Header=BB386_1010 Depth=1
	v_or_b32_e32 v10, 0x10000, v8
	v_cmp_eq_u32_sdwa s[4:5], v8, v37 src0_sel:WORD_0 src1_sel:DWORD
	v_cndmask_b32_e64 v8, v10, v8, s[4:5]
	v_accvgpr_write_b32 a31, v8
; %bb.1491:                             ;   in Loop: Header=BB386_1010 Depth=1
	s_or_b64 exec, exec, s[24:25]
	v_lshlrev_b32_e32 v7, 16, v7
	v_mul_f32_e32 v7, v27, v7
	v_and_b32_e32 v8, 0x7f800000, v7
	v_cmp_ne_u32_e64 s[4:5], s15, v8
                                        ; implicit-def: $agpr38
	s_and_saveexec_b64 s[24:25], s[4:5]
	s_xor_b64 s[4:5], exec, s[24:25]
; %bb.1492:                             ;   in Loop: Header=BB386_1010 Depth=1
	v_bfe_u32 v8, v7, 16, 1
	v_add3_u32 v7, v7, v8, s30
	v_accvgpr_write_b32 a38, v7
                                        ; implicit-def: $vgpr7
; %bb.1493:                             ;   in Loop: Header=BB386_1010 Depth=1
	s_andn2_saveexec_b64 s[24:25], s[4:5]
; %bb.1494:                             ;   in Loop: Header=BB386_1010 Depth=1
	v_or_b32_e32 v8, 0x10000, v7
	v_cmp_eq_u32_sdwa s[4:5], v7, v37 src0_sel:WORD_0 src1_sel:DWORD
	v_cndmask_b32_e64 v7, v8, v7, s[4:5]
	v_accvgpr_write_b32 a38, v7
; %bb.1495:                             ;   in Loop: Header=BB386_1010 Depth=1
	s_or_b64 exec, exec, s[24:25]
	v_lshlrev_b32_e32 v6, 16, v6
	v_mul_f32_e32 v6, v26, v6
	v_and_b32_e32 v7, 0x7f800000, v6
	v_cmp_ne_u32_e64 s[4:5], s15, v7
                                        ; implicit-def: $agpr40
	s_and_saveexec_b64 s[24:25], s[4:5]
	s_xor_b64 s[4:5], exec, s[24:25]
; %bb.1496:                             ;   in Loop: Header=BB386_1010 Depth=1
	v_bfe_u32 v7, v6, 16, 1
	v_add3_u32 v6, v6, v7, s30
	v_accvgpr_write_b32 a40, v6
                                        ; implicit-def: $vgpr6
; %bb.1497:                             ;   in Loop: Header=BB386_1010 Depth=1
	s_andn2_saveexec_b64 s[24:25], s[4:5]
; %bb.1498:                             ;   in Loop: Header=BB386_1010 Depth=1
	v_or_b32_e32 v7, 0x10000, v6
	v_cmp_eq_u32_sdwa s[4:5], v6, v37 src0_sel:WORD_0 src1_sel:DWORD
	v_cndmask_b32_e64 v6, v7, v6, s[4:5]
	v_accvgpr_write_b32 a40, v6
; %bb.1499:                             ;   in Loop: Header=BB386_1010 Depth=1
	s_or_b64 exec, exec, s[24:25]
	flat_load_dwordx2 v[6:7], v[2:3] offset:2048
	v_mov_b32_e32 v8, 0
	s_waitcnt vmcnt(0) lgkmcnt(0)
	v_cmp_ne_u16_sdwa s[4:5], v6, v37 src0_sel:BYTE_0 src1_sel:DWORD
	s_and_saveexec_b64 s[24:25], s[4:5]
	s_cbranch_execz .LBB386_1505
; %bb.1500:                             ;   in Loop: Header=BB386_1010 Depth=1
	v_cmp_ne_u16_sdwa s[4:5], v6, s31 src0_sel:BYTE_0 src1_sel:DWORD
	v_bfrev_b32_e32 v8, 1
	s_and_saveexec_b64 s[26:27], s[4:5]
	s_cbranch_execz .LBB386_1504
; %bb.1501:                             ;   in Loop: Header=BB386_1010 Depth=1
	v_and_b32_e32 v10, 0x7f, v6
	v_cmp_ne_u32_e64 s[4:5], s34, v10
	v_mov_b32_e32 v8, 0x7f800001
	s_and_saveexec_b64 s[28:29], s[4:5]
	s_cbranch_execz .LBB386_1503
; %bb.1502:                             ;   in Loop: Header=BB386_1010 Depth=1
	v_and_b32_e32 v8, 7, v6
	v_ffbh_u32_e32 v8, v8
	v_min_u32_e32 v8, 32, v8
	v_subrev_u32_e32 v12, 28, v8
	v_cmp_gt_u32_e64 s[4:5], 8, v10
	v_lshrrev_b32_e32 v11, 3, v10
	v_sub_u32_e32 v8, 29, v8
	v_cndmask_b32_e64 v10, 0, v12, s[4:5]
	v_cndmask_b32_e64 v8, v11, v8, s[4:5]
	v_lshlrev_b64 v[10:11], v10, v[6:7]
	v_lshlrev_b32_e32 v10, 20, v10
	v_lshlrev_b32_e32 v11, 24, v6
	v_and_b32_e32 v10, 0x700000, v10
	v_and_b32_e32 v11, 0x80000000, v11
	v_lshl_add_u32 v8, v8, 23, v5
	v_or3_b32 v8, v11, v8, v10
.LBB386_1503:                           ;   in Loop: Header=BB386_1010 Depth=1
	s_or_b64 exec, exec, s[28:29]
.LBB386_1504:                           ;   in Loop: Header=BB386_1010 Depth=1
	s_or_b64 exec, exec, s[26:27]
.LBB386_1505:                           ;   in Loop: Header=BB386_1010 Depth=1
	s_or_b64 exec, exec, s[24:25]
	v_mul_f32_e32 v8, v9, v8
	v_and_b32_e32 v10, 0x7f800000, v8
	v_cmp_ne_u32_e64 s[4:5], s15, v10
                                        ; implicit-def: $vgpr10
	s_and_saveexec_b64 s[24:25], s[4:5]
	s_xor_b64 s[4:5], exec, s[24:25]
; %bb.1506:                             ;   in Loop: Header=BB386_1010 Depth=1
	v_bfe_u32 v10, v8, 16, 1
	v_add3_u32 v10, v8, v10, s30
                                        ; implicit-def: $vgpr8
; %bb.1507:                             ;   in Loop: Header=BB386_1010 Depth=1
	s_andn2_saveexec_b64 s[24:25], s[4:5]
; %bb.1508:                             ;   in Loop: Header=BB386_1010 Depth=1
	v_or_b32_e32 v10, 0x10000, v8
	v_cmp_eq_u32_sdwa s[4:5], v8, v37 src0_sel:WORD_0 src1_sel:DWORD
	v_cndmask_b32_e64 v10, v10, v8, s[4:5]
; %bb.1509:                             ;   in Loop: Header=BB386_1010 Depth=1
	s_or_b64 exec, exec, s[24:25]
	v_lshrrev_b16_e32 v8, 8, v6
	v_cmp_ne_u16_e64 s[4:5], 0, v8
	v_mov_b32_e32 v11, 0
	s_and_saveexec_b64 s[24:25], s[4:5]
	s_cbranch_execz .LBB386_1515
; %bb.1510:                             ;   in Loop: Header=BB386_1010 Depth=1
	v_cmp_ne_u16_e64 s[4:5], s31, v8
	v_bfrev_b32_e32 v11, 1
	s_and_saveexec_b64 s[26:27], s[4:5]
	s_cbranch_execz .LBB386_1514
; %bb.1511:                             ;   in Loop: Header=BB386_1010 Depth=1
	v_and_b32_e32 v12, 0x7f, v8
	v_cmp_ne_u32_e64 s[4:5], s34, v12
	v_mov_b32_e32 v11, 0x7f800001
	s_and_saveexec_b64 s[28:29], s[4:5]
	s_cbranch_execz .LBB386_1513
; %bb.1512:                             ;   in Loop: Header=BB386_1010 Depth=1
	v_and_b32_e32 v11, 7, v8
	v_ffbh_u32_e32 v16, v11
	v_min_u32_e32 v18, 32, v16
	v_subrev_u32_e32 v16, 28, v18
	v_lshlrev_b64 v[16:17], v16, v[8:9]
	v_lshrrev_b32_e32 v13, 3, v12
	v_sub_u32_e32 v8, 29, v18
	v_and_b32_e32 v16, 7, v16
	v_cmp_gt_u32_e64 s[4:5], 8, v12
	v_cndmask_b32_e64 v8, v13, v8, s[4:5]
	v_cndmask_b32_e64 v11, v11, v16, s[4:5]
	v_lshlrev_b32_e32 v12, 16, v6
	v_lshlrev_b32_e32 v11, 20, v11
	v_and_b32_e32 v12, 0x80000000, v12
	v_lshl_add_u32 v8, v8, 23, v5
	v_or3_b32 v11, v12, v8, v11
.LBB386_1513:                           ;   in Loop: Header=BB386_1010 Depth=1
	s_or_b64 exec, exec, s[28:29]
.LBB386_1514:                           ;   in Loop: Header=BB386_1010 Depth=1
	s_or_b64 exec, exec, s[26:27]
.LBB386_1515:                           ;   in Loop: Header=BB386_1010 Depth=1
	s_or_b64 exec, exec, s[24:25]
	v_mul_f32_e32 v8, v9, v11
	v_and_b32_e32 v11, 0x7f800000, v8
	v_cmp_ne_u32_e64 s[4:5], s15, v11
                                        ; implicit-def: $vgpr11
	s_and_saveexec_b64 s[24:25], s[4:5]
	s_xor_b64 s[4:5], exec, s[24:25]
; %bb.1516:                             ;   in Loop: Header=BB386_1010 Depth=1
	v_bfe_u32 v11, v8, 16, 1
	v_add3_u32 v11, v8, v11, s30
                                        ; implicit-def: $vgpr8
; %bb.1517:                             ;   in Loop: Header=BB386_1010 Depth=1
	s_andn2_saveexec_b64 s[24:25], s[4:5]
; %bb.1518:                             ;   in Loop: Header=BB386_1010 Depth=1
	v_or_b32_e32 v11, 0x10000, v8
	v_cmp_eq_u32_sdwa s[4:5], v8, v37 src0_sel:WORD_0 src1_sel:DWORD
	v_cndmask_b32_e64 v11, v11, v8, s[4:5]
; %bb.1519:                             ;   in Loop: Header=BB386_1010 Depth=1
	s_or_b64 exec, exec, s[24:25]
	v_lshrrev_b32_e32 v8, 16, v6
	v_cmp_ne_u16_sdwa s[4:5], v8, v37 src0_sel:BYTE_0 src1_sel:DWORD
	v_mov_b32_e32 v12, 0
	s_and_saveexec_b64 s[24:25], s[4:5]
	s_cbranch_execz .LBB386_1525
; %bb.1520:                             ;   in Loop: Header=BB386_1010 Depth=1
	v_cmp_ne_u16_sdwa s[4:5], v8, s31 src0_sel:BYTE_0 src1_sel:DWORD
	v_bfrev_b32_e32 v12, 1
	s_and_saveexec_b64 s[26:27], s[4:5]
	s_cbranch_execz .LBB386_1524
; %bb.1521:                             ;   in Loop: Header=BB386_1010 Depth=1
	v_bfe_u32 v13, v6, 16, 7
	v_cmp_ne_u32_e64 s[4:5], s34, v13
	v_mov_b32_e32 v12, 0x7f800001
	s_and_saveexec_b64 s[28:29], s[4:5]
	s_cbranch_execz .LBB386_1523
; %bb.1522:                             ;   in Loop: Header=BB386_1010 Depth=1
	v_and_b32_e32 v12, 7, v8
	v_ffbh_u32_e32 v16, v12
	v_min_u32_e32 v19, 32, v16
	v_subrev_u32_e32 v16, 28, v19
	v_lshlrev_b64 v[16:17], v16, v[8:9]
	v_lshrrev_b32_e32 v18, 3, v13
	v_sub_u32_e32 v17, 29, v19
	v_and_b32_e32 v16, 7, v16
	v_cmp_gt_u32_e64 s[4:5], 8, v13
	v_cndmask_b32_e64 v13, v18, v17, s[4:5]
	v_cndmask_b32_e64 v12, v12, v16, s[4:5]
	v_lshlrev_b32_e32 v8, 24, v8
	v_lshlrev_b32_e32 v12, 20, v12
	v_and_b32_e32 v8, 0x80000000, v8
	v_lshl_add_u32 v13, v13, 23, v5
	v_or3_b32 v12, v8, v13, v12
.LBB386_1523:                           ;   in Loop: Header=BB386_1010 Depth=1
	s_or_b64 exec, exec, s[28:29]
.LBB386_1524:                           ;   in Loop: Header=BB386_1010 Depth=1
	s_or_b64 exec, exec, s[26:27]
.LBB386_1525:                           ;   in Loop: Header=BB386_1010 Depth=1
	s_or_b64 exec, exec, s[24:25]
	v_mul_f32_e32 v8, v9, v12
	v_and_b32_e32 v12, 0x7f800000, v8
	v_cmp_ne_u32_e64 s[4:5], s15, v12
                                        ; implicit-def: $vgpr12
	s_and_saveexec_b64 s[24:25], s[4:5]
	s_xor_b64 s[4:5], exec, s[24:25]
; %bb.1526:                             ;   in Loop: Header=BB386_1010 Depth=1
	v_bfe_u32 v12, v8, 16, 1
	v_add3_u32 v12, v8, v12, s30
                                        ; implicit-def: $vgpr8
; %bb.1527:                             ;   in Loop: Header=BB386_1010 Depth=1
	s_andn2_saveexec_b64 s[24:25], s[4:5]
; %bb.1528:                             ;   in Loop: Header=BB386_1010 Depth=1
	v_or_b32_e32 v12, 0x10000, v8
	v_cmp_eq_u32_sdwa s[4:5], v8, v37 src0_sel:WORD_0 src1_sel:DWORD
	v_cndmask_b32_e64 v12, v12, v8, s[4:5]
; %bb.1529:                             ;   in Loop: Header=BB386_1010 Depth=1
	s_or_b64 exec, exec, s[24:25]
	v_cmp_lt_u32_e64 s[4:5], s11, v6
	v_mov_b32_e32 v13, 0
	s_and_saveexec_b64 s[24:25], s[4:5]
	s_cbranch_execz .LBB386_1535
; %bb.1530:                             ;   in Loop: Header=BB386_1010 Depth=1
	v_lshrrev_b32_e32 v8, 24, v6
	v_cmp_ne_u32_e64 s[4:5], s31, v8
	v_bfrev_b32_e32 v13, 1
	s_and_saveexec_b64 s[26:27], s[4:5]
	s_cbranch_execz .LBB386_1534
; %bb.1531:                             ;   in Loop: Header=BB386_1010 Depth=1
	v_bfe_u32 v16, v6, 24, 7
	v_cmp_ne_u32_e64 s[4:5], s34, v16
	v_mov_b32_e32 v13, 0x7f800001
	s_and_saveexec_b64 s[28:29], s[4:5]
	s_cbranch_execz .LBB386_1533
; %bb.1532:                             ;   in Loop: Header=BB386_1010 Depth=1
	v_and_b32_e32 v13, 7, v8
	v_ffbh_u32_e32 v18, v13
	v_min_u32_e32 v20, 32, v18
	v_subrev_u32_e32 v18, 28, v20
	v_lshlrev_b64 v[18:19], v18, v[8:9]
	v_lshrrev_b32_e32 v17, 3, v16
	v_sub_u32_e32 v19, 29, v20
	v_and_b32_e32 v18, 7, v18
	v_cmp_gt_u32_e64 s[4:5], 8, v16
	v_cndmask_b32_e64 v16, v17, v19, s[4:5]
	v_cndmask_b32_e64 v13, v13, v18, s[4:5]
	v_lshlrev_b32_e32 v8, 24, v8
	v_lshlrev_b32_e32 v13, 20, v13
	v_and_b32_e32 v8, 0x80000000, v8
	v_lshl_add_u32 v16, v16, 23, v5
	v_or3_b32 v13, v8, v16, v13
.LBB386_1533:                           ;   in Loop: Header=BB386_1010 Depth=1
	s_or_b64 exec, exec, s[28:29]
.LBB386_1534:                           ;   in Loop: Header=BB386_1010 Depth=1
	s_or_b64 exec, exec, s[26:27]
.LBB386_1535:                           ;   in Loop: Header=BB386_1010 Depth=1
	s_or_b64 exec, exec, s[24:25]
	v_mul_f32_e32 v8, v9, v13
	v_and_b32_e32 v13, 0x7f800000, v8
	v_cmp_ne_u32_e64 s[4:5], s15, v13
                                        ; implicit-def: $vgpr13
	s_and_saveexec_b64 s[24:25], s[4:5]
	s_xor_b64 s[4:5], exec, s[24:25]
; %bb.1536:                             ;   in Loop: Header=BB386_1010 Depth=1
	v_bfe_u32 v13, v8, 16, 1
	v_add3_u32 v13, v8, v13, s30
                                        ; implicit-def: $vgpr8
; %bb.1537:                             ;   in Loop: Header=BB386_1010 Depth=1
	s_andn2_saveexec_b64 s[24:25], s[4:5]
; %bb.1538:                             ;   in Loop: Header=BB386_1010 Depth=1
	v_or_b32_e32 v13, 0x10000, v8
	v_cmp_eq_u32_sdwa s[4:5], v8, v37 src0_sel:WORD_0 src1_sel:DWORD
	v_cndmask_b32_e64 v13, v13, v8, s[4:5]
; %bb.1539:                             ;   in Loop: Header=BB386_1010 Depth=1
	s_or_b64 exec, exec, s[24:25]
	v_mov_b32_e32 v36, v7
	v_cmp_ne_u16_sdwa s[4:5], v7, v37 src0_sel:BYTE_0 src1_sel:DWORD
	v_mov_b32_e32 v8, 0
	s_and_saveexec_b64 s[24:25], s[4:5]
	s_cbranch_execz .LBB386_1545
; %bb.1540:                             ;   in Loop: Header=BB386_1010 Depth=1
	v_cmp_ne_u16_sdwa s[4:5], v7, s31 src0_sel:BYTE_0 src1_sel:DWORD
	v_bfrev_b32_e32 v8, 1
	s_and_saveexec_b64 s[26:27], s[4:5]
	s_cbranch_execz .LBB386_1544
; %bb.1541:                             ;   in Loop: Header=BB386_1010 Depth=1
	v_and_b32_e32 v16, 0x7f, v7
	v_cmp_ne_u32_e64 s[4:5], s34, v16
	v_mov_b32_e32 v8, 0x7f800001
	s_and_saveexec_b64 s[28:29], s[4:5]
	s_cbranch_execz .LBB386_1543
; %bb.1542:                             ;   in Loop: Header=BB386_1010 Depth=1
	v_and_b32_e32 v8, 7, v7
	v_ffbh_u32_e32 v8, v8
	v_min_u32_e32 v8, 32, v8
	v_subrev_u32_e32 v18, 28, v8
	v_cmp_gt_u32_e64 s[4:5], 8, v16
	v_lshrrev_b32_e32 v17, 3, v16
	v_sub_u32_e32 v8, 29, v8
	v_cndmask_b32_e64 v16, 0, v18, s[4:5]
	v_cndmask_b32_e64 v8, v17, v8, s[4:5]
	v_lshlrev_b64 v[16:17], v16, v[36:37]
	v_lshlrev_b32_e32 v16, 20, v16
	v_lshlrev_b32_e32 v17, 24, v36
	v_and_b32_e32 v16, 0x700000, v16
	v_and_b32_e32 v17, 0x80000000, v17
	v_lshl_add_u32 v8, v8, 23, v5
	v_or3_b32 v8, v17, v8, v16
.LBB386_1543:                           ;   in Loop: Header=BB386_1010 Depth=1
	s_or_b64 exec, exec, s[28:29]
.LBB386_1544:                           ;   in Loop: Header=BB386_1010 Depth=1
	s_or_b64 exec, exec, s[26:27]
.LBB386_1545:                           ;   in Loop: Header=BB386_1010 Depth=1
	s_or_b64 exec, exec, s[24:25]
	v_mul_f32_e32 v8, v9, v8
	v_and_b32_e32 v16, 0x7f800000, v8
	v_cmp_ne_u32_e64 s[4:5], s15, v16
                                        ; implicit-def: $vgpr16
	s_and_saveexec_b64 s[24:25], s[4:5]
	s_xor_b64 s[4:5], exec, s[24:25]
; %bb.1546:                             ;   in Loop: Header=BB386_1010 Depth=1
	v_bfe_u32 v16, v8, 16, 1
	v_add3_u32 v16, v8, v16, s30
                                        ; implicit-def: $vgpr8
; %bb.1547:                             ;   in Loop: Header=BB386_1010 Depth=1
	s_andn2_saveexec_b64 s[24:25], s[4:5]
; %bb.1548:                             ;   in Loop: Header=BB386_1010 Depth=1
	v_or_b32_e32 v16, 0x10000, v8
	v_cmp_eq_u32_sdwa s[4:5], v8, v37 src0_sel:WORD_0 src1_sel:DWORD
	v_cndmask_b32_e64 v16, v16, v8, s[4:5]
; %bb.1549:                             ;   in Loop: Header=BB386_1010 Depth=1
	s_or_b64 exec, exec, s[24:25]
	v_lshrrev_b16_e32 v8, 8, v36
	v_cmp_ne_u16_e64 s[4:5], 0, v8
	v_mov_b32_e32 v17, 0
	s_and_saveexec_b64 s[24:25], s[4:5]
	s_cbranch_execz .LBB386_1555
; %bb.1550:                             ;   in Loop: Header=BB386_1010 Depth=1
	v_cmp_ne_u16_e64 s[4:5], s31, v8
	v_bfrev_b32_e32 v17, 1
	s_and_saveexec_b64 s[26:27], s[4:5]
	s_cbranch_execz .LBB386_1554
; %bb.1551:                             ;   in Loop: Header=BB386_1010 Depth=1
	v_and_b32_e32 v18, 0x7f, v8
	v_cmp_ne_u32_e64 s[4:5], s34, v18
	v_mov_b32_e32 v17, 0x7f800001
	s_and_saveexec_b64 s[28:29], s[4:5]
	s_cbranch_execz .LBB386_1553
; %bb.1552:                             ;   in Loop: Header=BB386_1010 Depth=1
	v_and_b32_e32 v17, 7, v8
	v_ffbh_u32_e32 v20, v17
	v_min_u32_e32 v22, 32, v20
	v_subrev_u32_e32 v20, 28, v22
	v_lshlrev_b64 v[20:21], v20, v[8:9]
	v_lshrrev_b32_e32 v19, 3, v18
	v_sub_u32_e32 v8, 29, v22
	v_and_b32_e32 v20, 7, v20
	v_cmp_gt_u32_e64 s[4:5], 8, v18
	v_cndmask_b32_e64 v8, v19, v8, s[4:5]
	v_cndmask_b32_e64 v17, v17, v20, s[4:5]
	v_lshlrev_b32_e32 v18, 16, v36
	v_lshlrev_b32_e32 v17, 20, v17
	v_and_b32_e32 v18, 0x80000000, v18
	v_lshl_add_u32 v8, v8, 23, v5
	v_or3_b32 v17, v18, v8, v17
.LBB386_1553:                           ;   in Loop: Header=BB386_1010 Depth=1
	s_or_b64 exec, exec, s[28:29]
.LBB386_1554:                           ;   in Loop: Header=BB386_1010 Depth=1
	s_or_b64 exec, exec, s[26:27]
.LBB386_1555:                           ;   in Loop: Header=BB386_1010 Depth=1
	s_or_b64 exec, exec, s[24:25]
	v_mul_f32_e32 v8, v9, v17
	v_and_b32_e32 v17, 0x7f800000, v8
	v_cmp_ne_u32_e64 s[4:5], s15, v17
                                        ; implicit-def: $vgpr17
	s_and_saveexec_b64 s[24:25], s[4:5]
	s_xor_b64 s[4:5], exec, s[24:25]
; %bb.1556:                             ;   in Loop: Header=BB386_1010 Depth=1
	v_bfe_u32 v17, v8, 16, 1
	v_add3_u32 v17, v8, v17, s30
                                        ; implicit-def: $vgpr8
; %bb.1557:                             ;   in Loop: Header=BB386_1010 Depth=1
	s_andn2_saveexec_b64 s[24:25], s[4:5]
; %bb.1558:                             ;   in Loop: Header=BB386_1010 Depth=1
	v_or_b32_e32 v17, 0x10000, v8
	v_cmp_eq_u32_sdwa s[4:5], v8, v37 src0_sel:WORD_0 src1_sel:DWORD
	v_cndmask_b32_e64 v17, v17, v8, s[4:5]
; %bb.1559:                             ;   in Loop: Header=BB386_1010 Depth=1
	s_or_b64 exec, exec, s[24:25]
	v_lshrrev_b32_e32 v8, 16, v7
	v_cmp_ne_u16_sdwa s[4:5], v8, v37 src0_sel:BYTE_0 src1_sel:DWORD
	v_mov_b32_e32 v18, 0
	s_and_saveexec_b64 s[24:25], s[4:5]
	s_cbranch_execz .LBB386_1565
; %bb.1560:                             ;   in Loop: Header=BB386_1010 Depth=1
	v_cmp_ne_u16_sdwa s[4:5], v8, s31 src0_sel:BYTE_0 src1_sel:DWORD
	v_bfrev_b32_e32 v18, 1
	s_and_saveexec_b64 s[26:27], s[4:5]
	s_cbranch_execz .LBB386_1564
; %bb.1561:                             ;   in Loop: Header=BB386_1010 Depth=1
	v_bfe_u32 v19, v7, 16, 7
	v_cmp_ne_u32_e64 s[4:5], s34, v19
	v_mov_b32_e32 v18, 0x7f800001
	s_and_saveexec_b64 s[28:29], s[4:5]
	s_cbranch_execz .LBB386_1563
; %bb.1562:                             ;   in Loop: Header=BB386_1010 Depth=1
	v_and_b32_e32 v18, 7, v8
	v_ffbh_u32_e32 v20, v18
	v_min_u32_e32 v23, 32, v20
	v_subrev_u32_e32 v20, 28, v23
	v_lshlrev_b64 v[20:21], v20, v[8:9]
	v_lshrrev_b32_e32 v22, 3, v19
	v_sub_u32_e32 v21, 29, v23
	v_and_b32_e32 v20, 7, v20
	v_cmp_gt_u32_e64 s[4:5], 8, v19
	v_cndmask_b32_e64 v19, v22, v21, s[4:5]
	v_cndmask_b32_e64 v18, v18, v20, s[4:5]
	v_lshlrev_b32_e32 v8, 24, v8
	v_lshlrev_b32_e32 v18, 20, v18
	v_and_b32_e32 v8, 0x80000000, v8
	v_lshl_add_u32 v19, v19, 23, v5
	v_or3_b32 v18, v8, v19, v18
.LBB386_1563:                           ;   in Loop: Header=BB386_1010 Depth=1
	s_or_b64 exec, exec, s[28:29]
.LBB386_1564:                           ;   in Loop: Header=BB386_1010 Depth=1
	s_or_b64 exec, exec, s[26:27]
.LBB386_1565:                           ;   in Loop: Header=BB386_1010 Depth=1
	s_or_b64 exec, exec, s[24:25]
	v_mul_f32_e32 v8, v9, v18
	v_and_b32_e32 v18, 0x7f800000, v8
	v_cmp_ne_u32_e64 s[4:5], s15, v18
                                        ; implicit-def: $vgpr18
	s_and_saveexec_b64 s[24:25], s[4:5]
	s_xor_b64 s[4:5], exec, s[24:25]
; %bb.1566:                             ;   in Loop: Header=BB386_1010 Depth=1
	v_bfe_u32 v18, v8, 16, 1
	v_add3_u32 v18, v8, v18, s30
                                        ; implicit-def: $vgpr8
; %bb.1567:                             ;   in Loop: Header=BB386_1010 Depth=1
	s_andn2_saveexec_b64 s[24:25], s[4:5]
; %bb.1568:                             ;   in Loop: Header=BB386_1010 Depth=1
	v_or_b32_e32 v18, 0x10000, v8
	v_cmp_eq_u32_sdwa s[4:5], v8, v37 src0_sel:WORD_0 src1_sel:DWORD
	v_cndmask_b32_e64 v18, v18, v8, s[4:5]
; %bb.1569:                             ;   in Loop: Header=BB386_1010 Depth=1
	s_or_b64 exec, exec, s[24:25]
	v_cmp_lt_u64_e64 s[4:5], s[10:11], v[6:7]
	v_mov_b32_e32 v8, 0
	s_and_saveexec_b64 s[24:25], s[4:5]
	s_cbranch_execz .LBB386_1575
; %bb.1570:                             ;   in Loop: Header=BB386_1010 Depth=1
	v_lshrrev_b32_e32 v6, 24, v7
	v_cmp_ne_u32_e64 s[4:5], s31, v6
	v_bfrev_b32_e32 v8, 1
	s_and_saveexec_b64 s[26:27], s[4:5]
	s_cbranch_execz .LBB386_1574
; %bb.1571:                             ;   in Loop: Header=BB386_1010 Depth=1
	v_bfe_u32 v7, v7, 24, 7
	v_cmp_ne_u32_e64 s[4:5], s34, v7
	v_mov_b32_e32 v8, 0x7f800001
	s_and_saveexec_b64 s[28:29], s[4:5]
	s_cbranch_execz .LBB386_1573
; %bb.1572:                             ;   in Loop: Header=BB386_1010 Depth=1
	v_and_b32_e32 v8, 7, v6
	v_ffbh_u32_e32 v20, v8
	v_min_u32_e32 v22, 32, v20
	v_subrev_u32_e32 v20, 28, v22
	v_lshlrev_b64 v[20:21], v20, v[6:7]
	v_lshrrev_b32_e32 v19, 3, v7
	v_sub_u32_e32 v21, 29, v22
	v_and_b32_e32 v20, 7, v20
	v_cmp_gt_u32_e64 s[4:5], 8, v7
	v_cndmask_b32_e64 v7, v19, v21, s[4:5]
	v_cndmask_b32_e64 v8, v8, v20, s[4:5]
	v_lshlrev_b32_e32 v6, 24, v6
	v_lshlrev_b32_e32 v8, 20, v8
	v_and_b32_e32 v6, 0x80000000, v6
	v_lshl_add_u32 v7, v7, 23, v5
	v_or3_b32 v8, v6, v7, v8
.LBB386_1573:                           ;   in Loop: Header=BB386_1010 Depth=1
	s_or_b64 exec, exec, s[28:29]
.LBB386_1574:                           ;   in Loop: Header=BB386_1010 Depth=1
	s_or_b64 exec, exec, s[26:27]
.LBB386_1575:                           ;   in Loop: Header=BB386_1010 Depth=1
	s_or_b64 exec, exec, s[24:25]
	v_mul_f32_e32 v7, v9, v8
	v_and_b32_e32 v6, 0x7f800000, v7
	v_cmp_ne_u32_e64 s[4:5], s15, v6
                                        ; implicit-def: $vgpr6
	s_and_saveexec_b64 s[24:25], s[4:5]
	s_xor_b64 s[4:5], exec, s[24:25]
; %bb.1576:                             ;   in Loop: Header=BB386_1010 Depth=1
	v_bfe_u32 v6, v7, 16, 1
	v_add3_u32 v6, v7, v6, s30
                                        ; implicit-def: $vgpr7
; %bb.1577:                             ;   in Loop: Header=BB386_1010 Depth=1
	s_andn2_saveexec_b64 s[24:25], s[4:5]
; %bb.1578:                             ;   in Loop: Header=BB386_1010 Depth=1
	v_or_b32_e32 v6, 0x10000, v7
	v_cmp_eq_u32_sdwa s[4:5], v7, v37 src0_sel:WORD_0 src1_sel:DWORD
	v_cndmask_b32_e64 v6, v6, v7, s[4:5]
; %bb.1579:                             ;   in Loop: Header=BB386_1010 Depth=1
	s_or_b64 exec, exec, s[24:25]
	v_lshrrev_b32_e32 v8, 16, v17
	v_lshrrev_b32_e32 v16, 16, v16
	;; [unrolled: 1-line block ×8, first 2 shown]
	s_and_saveexec_b64 s[24:25], vcc
	s_cbranch_execz .LBB386_1581
; %bb.1580:                             ;   in Loop: Header=BB386_1010 Depth=1
	buffer_load_dword v18, off, s[0:3], s32 offset:196 ; 4-byte Folded Reload
	v_accvgpr_read_b32 v17, a54
	s_waitcnt vmcnt(0)
	v_cmp_lt_i32_e64 s[4:5], v53, v18
	v_cndmask_b32_e64 v10, 0, v10, s[4:5]
	v_cmp_lt_i32_e64 s[4:5], v17, v18
	v_accvgpr_read_b32 v17, a53
	v_cndmask_b32_e64 v11, 0, v11, s[4:5]
	v_cmp_lt_i32_e64 s[4:5], v17, v18
	v_accvgpr_read_b32 v17, a52
	;; [unrolled: 3-line block ×6, first 2 shown]
	v_cndmask_b32_e64 v7, 0, v7, s[4:5]
	v_cmp_lt_i32_e64 s[4:5], v17, v18
	v_cndmask_b32_e64 v6, 0, v6, s[4:5]
.LBB386_1581:                           ;   in Loop: Header=BB386_1010 Depth=1
	s_or_b64 exec, exec, s[24:25]
	v_lshlrev_b32_e32 v10, 16, v10
	v_mul_f32_e32 v10, v39, v10
	v_and_b32_e32 v17, 0x7f800000, v10
	v_cmp_ne_u32_e64 s[4:5], s15, v17
                                        ; implicit-def: $agpr42
	s_and_saveexec_b64 s[24:25], s[4:5]
	s_xor_b64 s[4:5], exec, s[24:25]
; %bb.1582:                             ;   in Loop: Header=BB386_1010 Depth=1
	v_bfe_u32 v17, v10, 16, 1
	v_add3_u32 v10, v10, v17, s30
	v_accvgpr_write_b32 a42, v10
                                        ; implicit-def: $vgpr10
; %bb.1583:                             ;   in Loop: Header=BB386_1010 Depth=1
	s_andn2_saveexec_b64 s[24:25], s[4:5]
; %bb.1584:                             ;   in Loop: Header=BB386_1010 Depth=1
	v_or_b32_e32 v17, 0x10000, v10
	v_cmp_eq_u32_sdwa s[4:5], v10, v37 src0_sel:WORD_0 src1_sel:DWORD
	v_cndmask_b32_e64 v10, v17, v10, s[4:5]
	v_accvgpr_write_b32 a42, v10
; %bb.1585:                             ;   in Loop: Header=BB386_1010 Depth=1
	s_or_b64 exec, exec, s[24:25]
	v_lshlrev_b32_e32 v10, 16, v11
	v_mul_f32_e32 v10, v31, v10
	v_and_b32_e32 v11, 0x7f800000, v10
	v_cmp_ne_u32_e64 s[4:5], s15, v11
                                        ; implicit-def: $agpr36
	s_and_saveexec_b64 s[24:25], s[4:5]
	s_xor_b64 s[4:5], exec, s[24:25]
; %bb.1586:                             ;   in Loop: Header=BB386_1010 Depth=1
	v_bfe_u32 v11, v10, 16, 1
	v_add3_u32 v10, v10, v11, s30
	v_accvgpr_write_b32 a36, v10
                                        ; implicit-def: $vgpr10
; %bb.1587:                             ;   in Loop: Header=BB386_1010 Depth=1
	s_andn2_saveexec_b64 s[24:25], s[4:5]
; %bb.1588:                             ;   in Loop: Header=BB386_1010 Depth=1
	v_or_b32_e32 v11, 0x10000, v10
	v_cmp_eq_u32_sdwa s[4:5], v10, v37 src0_sel:WORD_0 src1_sel:DWORD
	v_cndmask_b32_e64 v10, v11, v10, s[4:5]
	v_accvgpr_write_b32 a36, v10
; %bb.1589:                             ;   in Loop: Header=BB386_1010 Depth=1
	s_or_b64 exec, exec, s[24:25]
	v_lshlrev_b32_e32 v10, 16, v12
	v_mul_f32_e32 v10, v30, v10
	v_and_b32_e32 v11, 0x7f800000, v10
	v_cmp_ne_u32_e64 s[4:5], s15, v11
                                        ; implicit-def: $agpr44
	s_and_saveexec_b64 s[24:25], s[4:5]
	s_xor_b64 s[4:5], exec, s[24:25]
; %bb.1590:                             ;   in Loop: Header=BB386_1010 Depth=1
	v_bfe_u32 v11, v10, 16, 1
	v_add3_u32 v10, v10, v11, s30
	v_accvgpr_write_b32 a44, v10
                                        ; implicit-def: $vgpr10
; %bb.1591:                             ;   in Loop: Header=BB386_1010 Depth=1
	s_andn2_saveexec_b64 s[24:25], s[4:5]
; %bb.1592:                             ;   in Loop: Header=BB386_1010 Depth=1
	v_or_b32_e32 v11, 0x10000, v10
	v_cmp_eq_u32_sdwa s[4:5], v10, v37 src0_sel:WORD_0 src1_sel:DWORD
	v_cndmask_b32_e64 v10, v11, v10, s[4:5]
	v_accvgpr_write_b32 a44, v10
; %bb.1593:                             ;   in Loop: Header=BB386_1010 Depth=1
	s_or_b64 exec, exec, s[24:25]
	v_lshlrev_b32_e32 v10, 16, v13
	v_mul_f32_e32 v10, v49, v10
	v_and_b32_e32 v11, 0x7f800000, v10
	v_cmp_ne_u32_e64 s[4:5], s15, v11
                                        ; implicit-def: $agpr7
	s_and_saveexec_b64 s[24:25], s[4:5]
	s_xor_b64 s[4:5], exec, s[24:25]
; %bb.1594:                             ;   in Loop: Header=BB386_1010 Depth=1
	v_bfe_u32 v11, v10, 16, 1
	v_add3_u32 v10, v10, v11, s30
	v_accvgpr_write_b32 a7, v10
                                        ; implicit-def: $vgpr10
; %bb.1595:                             ;   in Loop: Header=BB386_1010 Depth=1
	s_andn2_saveexec_b64 s[24:25], s[4:5]
; %bb.1596:                             ;   in Loop: Header=BB386_1010 Depth=1
	v_or_b32_e32 v11, 0x10000, v10
	v_cmp_eq_u32_sdwa s[4:5], v10, v37 src0_sel:WORD_0 src1_sel:DWORD
	v_cndmask_b32_e64 v10, v11, v10, s[4:5]
	v_accvgpr_write_b32 a7, v10
; %bb.1597:                             ;   in Loop: Header=BB386_1010 Depth=1
	s_or_b64 exec, exec, s[24:25]
	v_lshlrev_b32_e32 v10, 16, v16
	v_mul_f32_e32 v10, v51, v10
	v_and_b32_e32 v11, 0x7f800000, v10
	v_cmp_ne_u32_e64 s[4:5], s15, v11
                                        ; implicit-def: $agpr11
	s_and_saveexec_b64 s[24:25], s[4:5]
	s_xor_b64 s[4:5], exec, s[24:25]
; %bb.1598:                             ;   in Loop: Header=BB386_1010 Depth=1
	v_bfe_u32 v11, v10, 16, 1
	v_add3_u32 v10, v10, v11, s30
	v_accvgpr_write_b32 a11, v10
                                        ; implicit-def: $vgpr10
; %bb.1599:                             ;   in Loop: Header=BB386_1010 Depth=1
	s_andn2_saveexec_b64 s[24:25], s[4:5]
; %bb.1600:                             ;   in Loop: Header=BB386_1010 Depth=1
	v_or_b32_e32 v11, 0x10000, v10
	v_cmp_eq_u32_sdwa s[4:5], v10, v37 src0_sel:WORD_0 src1_sel:DWORD
	v_cndmask_b32_e64 v10, v11, v10, s[4:5]
	v_accvgpr_write_b32 a11, v10
; %bb.1601:                             ;   in Loop: Header=BB386_1010 Depth=1
	s_or_b64 exec, exec, s[24:25]
	v_lshlrev_b32_e32 v8, 16, v8
	v_mul_f32_e32 v8, v54, v8
	v_and_b32_e32 v10, 0x7f800000, v8
	v_cmp_ne_u32_e64 s[4:5], s15, v10
                                        ; implicit-def: $agpr3
	s_and_saveexec_b64 s[24:25], s[4:5]
	s_xor_b64 s[4:5], exec, s[24:25]
; %bb.1602:                             ;   in Loop: Header=BB386_1010 Depth=1
	v_bfe_u32 v10, v8, 16, 1
	v_add3_u32 v8, v8, v10, s30
	v_accvgpr_write_b32 a3, v8
                                        ; implicit-def: $vgpr8
; %bb.1603:                             ;   in Loop: Header=BB386_1010 Depth=1
	s_andn2_saveexec_b64 s[24:25], s[4:5]
; %bb.1604:                             ;   in Loop: Header=BB386_1010 Depth=1
	v_or_b32_e32 v10, 0x10000, v8
	v_cmp_eq_u32_sdwa s[4:5], v8, v37 src0_sel:WORD_0 src1_sel:DWORD
	v_cndmask_b32_e64 v8, v10, v8, s[4:5]
	v_accvgpr_write_b32 a3, v8
; %bb.1605:                             ;   in Loop: Header=BB386_1010 Depth=1
	s_or_b64 exec, exec, s[24:25]
	v_lshlrev_b32_e32 v7, 16, v7
	v_mul_f32_e32 v7, v27, v7
	v_and_b32_e32 v8, 0x7f800000, v7
	v_cmp_ne_u32_e64 s[4:5], s15, v8
                                        ; implicit-def: $agpr9
	s_and_saveexec_b64 s[24:25], s[4:5]
	s_xor_b64 s[4:5], exec, s[24:25]
; %bb.1606:                             ;   in Loop: Header=BB386_1010 Depth=1
	v_bfe_u32 v8, v7, 16, 1
	v_add3_u32 v7, v7, v8, s30
	v_accvgpr_write_b32 a9, v7
                                        ; implicit-def: $vgpr7
; %bb.1607:                             ;   in Loop: Header=BB386_1010 Depth=1
	s_andn2_saveexec_b64 s[24:25], s[4:5]
; %bb.1608:                             ;   in Loop: Header=BB386_1010 Depth=1
	v_or_b32_e32 v8, 0x10000, v7
	v_cmp_eq_u32_sdwa s[4:5], v7, v37 src0_sel:WORD_0 src1_sel:DWORD
	v_cndmask_b32_e64 v7, v8, v7, s[4:5]
	v_accvgpr_write_b32 a9, v7
; %bb.1609:                             ;   in Loop: Header=BB386_1010 Depth=1
	s_or_b64 exec, exec, s[24:25]
	v_lshlrev_b32_e32 v6, 16, v6
	v_mul_f32_e32 v6, v26, v6
	v_and_b32_e32 v7, 0x7f800000, v6
	v_cmp_ne_u32_e64 s[4:5], s15, v7
                                        ; implicit-def: $agpr10
	s_and_saveexec_b64 s[24:25], s[4:5]
	s_xor_b64 s[4:5], exec, s[24:25]
; %bb.1610:                             ;   in Loop: Header=BB386_1010 Depth=1
	v_bfe_u32 v7, v6, 16, 1
	v_add3_u32 v6, v6, v7, s30
	v_accvgpr_write_b32 a10, v6
                                        ; implicit-def: $vgpr6
; %bb.1611:                             ;   in Loop: Header=BB386_1010 Depth=1
	s_andn2_saveexec_b64 s[24:25], s[4:5]
; %bb.1612:                             ;   in Loop: Header=BB386_1010 Depth=1
	v_or_b32_e32 v7, 0x10000, v6
	v_cmp_eq_u32_sdwa s[4:5], v6, v37 src0_sel:WORD_0 src1_sel:DWORD
	v_cndmask_b32_e64 v6, v7, v6, s[4:5]
	v_accvgpr_write_b32 a10, v6
; %bb.1613:                             ;   in Loop: Header=BB386_1010 Depth=1
	s_or_b64 exec, exec, s[24:25]
	flat_load_dwordx2 v[6:7], v[2:3] offset:2560
	v_mov_b32_e32 v8, 0
	s_waitcnt vmcnt(0) lgkmcnt(0)
	v_cmp_ne_u16_sdwa s[4:5], v6, v37 src0_sel:BYTE_0 src1_sel:DWORD
	s_and_saveexec_b64 s[24:25], s[4:5]
	s_cbranch_execz .LBB386_1619
; %bb.1614:                             ;   in Loop: Header=BB386_1010 Depth=1
	v_cmp_ne_u16_sdwa s[4:5], v6, s31 src0_sel:BYTE_0 src1_sel:DWORD
	v_bfrev_b32_e32 v8, 1
	s_and_saveexec_b64 s[26:27], s[4:5]
	s_cbranch_execz .LBB386_1618
; %bb.1615:                             ;   in Loop: Header=BB386_1010 Depth=1
	v_and_b32_e32 v10, 0x7f, v6
	v_cmp_ne_u32_e64 s[4:5], s34, v10
	v_mov_b32_e32 v8, 0x7f800001
	s_and_saveexec_b64 s[28:29], s[4:5]
	s_cbranch_execz .LBB386_1617
; %bb.1616:                             ;   in Loop: Header=BB386_1010 Depth=1
	v_and_b32_e32 v8, 7, v6
	v_ffbh_u32_e32 v8, v8
	v_min_u32_e32 v8, 32, v8
	v_subrev_u32_e32 v12, 28, v8
	v_cmp_gt_u32_e64 s[4:5], 8, v10
	v_lshrrev_b32_e32 v11, 3, v10
	v_sub_u32_e32 v8, 29, v8
	v_cndmask_b32_e64 v10, 0, v12, s[4:5]
	v_cndmask_b32_e64 v8, v11, v8, s[4:5]
	v_lshlrev_b64 v[10:11], v10, v[6:7]
	v_lshlrev_b32_e32 v10, 20, v10
	v_lshlrev_b32_e32 v11, 24, v6
	v_and_b32_e32 v10, 0x700000, v10
	v_and_b32_e32 v11, 0x80000000, v11
	v_lshl_add_u32 v8, v8, 23, v5
	v_or3_b32 v8, v11, v8, v10
.LBB386_1617:                           ;   in Loop: Header=BB386_1010 Depth=1
	s_or_b64 exec, exec, s[28:29]
.LBB386_1618:                           ;   in Loop: Header=BB386_1010 Depth=1
	s_or_b64 exec, exec, s[26:27]
.LBB386_1619:                           ;   in Loop: Header=BB386_1010 Depth=1
	s_or_b64 exec, exec, s[24:25]
	v_mul_f32_e32 v8, v9, v8
	v_and_b32_e32 v10, 0x7f800000, v8
	v_cmp_ne_u32_e64 s[4:5], s15, v10
                                        ; implicit-def: $vgpr10
	s_and_saveexec_b64 s[24:25], s[4:5]
	s_xor_b64 s[4:5], exec, s[24:25]
; %bb.1620:                             ;   in Loop: Header=BB386_1010 Depth=1
	v_bfe_u32 v10, v8, 16, 1
	v_add3_u32 v10, v8, v10, s30
                                        ; implicit-def: $vgpr8
; %bb.1621:                             ;   in Loop: Header=BB386_1010 Depth=1
	s_andn2_saveexec_b64 s[24:25], s[4:5]
; %bb.1622:                             ;   in Loop: Header=BB386_1010 Depth=1
	v_or_b32_e32 v10, 0x10000, v8
	v_cmp_eq_u32_sdwa s[4:5], v8, v37 src0_sel:WORD_0 src1_sel:DWORD
	v_cndmask_b32_e64 v10, v10, v8, s[4:5]
; %bb.1623:                             ;   in Loop: Header=BB386_1010 Depth=1
	s_or_b64 exec, exec, s[24:25]
	v_lshrrev_b16_e32 v8, 8, v6
	v_cmp_ne_u16_e64 s[4:5], 0, v8
	v_mov_b32_e32 v11, 0
	s_and_saveexec_b64 s[24:25], s[4:5]
	s_cbranch_execz .LBB386_1629
; %bb.1624:                             ;   in Loop: Header=BB386_1010 Depth=1
	v_cmp_ne_u16_e64 s[4:5], s31, v8
	v_bfrev_b32_e32 v11, 1
	s_and_saveexec_b64 s[26:27], s[4:5]
	s_cbranch_execz .LBB386_1628
; %bb.1625:                             ;   in Loop: Header=BB386_1010 Depth=1
	v_and_b32_e32 v12, 0x7f, v8
	v_cmp_ne_u32_e64 s[4:5], s34, v12
	v_mov_b32_e32 v11, 0x7f800001
	s_and_saveexec_b64 s[28:29], s[4:5]
	s_cbranch_execz .LBB386_1627
; %bb.1626:                             ;   in Loop: Header=BB386_1010 Depth=1
	v_and_b32_e32 v11, 7, v8
	v_ffbh_u32_e32 v16, v11
	v_min_u32_e32 v18, 32, v16
	v_subrev_u32_e32 v16, 28, v18
	v_lshlrev_b64 v[16:17], v16, v[8:9]
	v_lshrrev_b32_e32 v13, 3, v12
	v_sub_u32_e32 v8, 29, v18
	v_and_b32_e32 v16, 7, v16
	v_cmp_gt_u32_e64 s[4:5], 8, v12
	v_cndmask_b32_e64 v8, v13, v8, s[4:5]
	v_cndmask_b32_e64 v11, v11, v16, s[4:5]
	v_lshlrev_b32_e32 v12, 16, v6
	v_lshlrev_b32_e32 v11, 20, v11
	v_and_b32_e32 v12, 0x80000000, v12
	v_lshl_add_u32 v8, v8, 23, v5
	v_or3_b32 v11, v12, v8, v11
.LBB386_1627:                           ;   in Loop: Header=BB386_1010 Depth=1
	s_or_b64 exec, exec, s[28:29]
.LBB386_1628:                           ;   in Loop: Header=BB386_1010 Depth=1
	s_or_b64 exec, exec, s[26:27]
.LBB386_1629:                           ;   in Loop: Header=BB386_1010 Depth=1
	s_or_b64 exec, exec, s[24:25]
	v_mul_f32_e32 v8, v9, v11
	v_and_b32_e32 v11, 0x7f800000, v8
	v_cmp_ne_u32_e64 s[4:5], s15, v11
                                        ; implicit-def: $vgpr11
	s_and_saveexec_b64 s[24:25], s[4:5]
	s_xor_b64 s[4:5], exec, s[24:25]
; %bb.1630:                             ;   in Loop: Header=BB386_1010 Depth=1
	v_bfe_u32 v11, v8, 16, 1
	v_add3_u32 v11, v8, v11, s30
                                        ; implicit-def: $vgpr8
; %bb.1631:                             ;   in Loop: Header=BB386_1010 Depth=1
	s_andn2_saveexec_b64 s[24:25], s[4:5]
; %bb.1632:                             ;   in Loop: Header=BB386_1010 Depth=1
	v_or_b32_e32 v11, 0x10000, v8
	v_cmp_eq_u32_sdwa s[4:5], v8, v37 src0_sel:WORD_0 src1_sel:DWORD
	v_cndmask_b32_e64 v11, v11, v8, s[4:5]
; %bb.1633:                             ;   in Loop: Header=BB386_1010 Depth=1
	s_or_b64 exec, exec, s[24:25]
	v_lshrrev_b32_e32 v8, 16, v6
	v_cmp_ne_u16_sdwa s[4:5], v8, v37 src0_sel:BYTE_0 src1_sel:DWORD
	v_mov_b32_e32 v12, 0
	s_and_saveexec_b64 s[24:25], s[4:5]
	s_cbranch_execz .LBB386_1639
; %bb.1634:                             ;   in Loop: Header=BB386_1010 Depth=1
	v_cmp_ne_u16_sdwa s[4:5], v8, s31 src0_sel:BYTE_0 src1_sel:DWORD
	v_bfrev_b32_e32 v12, 1
	s_and_saveexec_b64 s[26:27], s[4:5]
	s_cbranch_execz .LBB386_1638
; %bb.1635:                             ;   in Loop: Header=BB386_1010 Depth=1
	v_bfe_u32 v13, v6, 16, 7
	v_cmp_ne_u32_e64 s[4:5], s34, v13
	v_mov_b32_e32 v12, 0x7f800001
	s_and_saveexec_b64 s[28:29], s[4:5]
	s_cbranch_execz .LBB386_1637
; %bb.1636:                             ;   in Loop: Header=BB386_1010 Depth=1
	v_and_b32_e32 v12, 7, v8
	v_ffbh_u32_e32 v16, v12
	v_min_u32_e32 v19, 32, v16
	v_subrev_u32_e32 v16, 28, v19
	v_lshlrev_b64 v[16:17], v16, v[8:9]
	v_lshrrev_b32_e32 v18, 3, v13
	v_sub_u32_e32 v17, 29, v19
	v_and_b32_e32 v16, 7, v16
	v_cmp_gt_u32_e64 s[4:5], 8, v13
	v_cndmask_b32_e64 v13, v18, v17, s[4:5]
	v_cndmask_b32_e64 v12, v12, v16, s[4:5]
	v_lshlrev_b32_e32 v8, 24, v8
	v_lshlrev_b32_e32 v12, 20, v12
	v_and_b32_e32 v8, 0x80000000, v8
	v_lshl_add_u32 v13, v13, 23, v5
	v_or3_b32 v12, v8, v13, v12
.LBB386_1637:                           ;   in Loop: Header=BB386_1010 Depth=1
	s_or_b64 exec, exec, s[28:29]
.LBB386_1638:                           ;   in Loop: Header=BB386_1010 Depth=1
	s_or_b64 exec, exec, s[26:27]
.LBB386_1639:                           ;   in Loop: Header=BB386_1010 Depth=1
	s_or_b64 exec, exec, s[24:25]
	v_mul_f32_e32 v8, v9, v12
	v_and_b32_e32 v12, 0x7f800000, v8
	v_cmp_ne_u32_e64 s[4:5], s15, v12
                                        ; implicit-def: $vgpr12
	s_and_saveexec_b64 s[24:25], s[4:5]
	s_xor_b64 s[4:5], exec, s[24:25]
; %bb.1640:                             ;   in Loop: Header=BB386_1010 Depth=1
	v_bfe_u32 v12, v8, 16, 1
	v_add3_u32 v12, v8, v12, s30
                                        ; implicit-def: $vgpr8
; %bb.1641:                             ;   in Loop: Header=BB386_1010 Depth=1
	s_andn2_saveexec_b64 s[24:25], s[4:5]
; %bb.1642:                             ;   in Loop: Header=BB386_1010 Depth=1
	v_or_b32_e32 v12, 0x10000, v8
	v_cmp_eq_u32_sdwa s[4:5], v8, v37 src0_sel:WORD_0 src1_sel:DWORD
	v_cndmask_b32_e64 v12, v12, v8, s[4:5]
; %bb.1643:                             ;   in Loop: Header=BB386_1010 Depth=1
	s_or_b64 exec, exec, s[24:25]
	v_cmp_lt_u32_e64 s[4:5], s11, v6
	v_mov_b32_e32 v13, 0
	s_and_saveexec_b64 s[24:25], s[4:5]
	s_cbranch_execz .LBB386_1649
; %bb.1644:                             ;   in Loop: Header=BB386_1010 Depth=1
	v_lshrrev_b32_e32 v8, 24, v6
	v_cmp_ne_u32_e64 s[4:5], s31, v8
	v_bfrev_b32_e32 v13, 1
	s_and_saveexec_b64 s[26:27], s[4:5]
	s_cbranch_execz .LBB386_1648
; %bb.1645:                             ;   in Loop: Header=BB386_1010 Depth=1
	v_bfe_u32 v16, v6, 24, 7
	v_cmp_ne_u32_e64 s[4:5], s34, v16
	v_mov_b32_e32 v13, 0x7f800001
	s_and_saveexec_b64 s[28:29], s[4:5]
	s_cbranch_execz .LBB386_1647
; %bb.1646:                             ;   in Loop: Header=BB386_1010 Depth=1
	v_and_b32_e32 v13, 7, v8
	v_ffbh_u32_e32 v18, v13
	v_min_u32_e32 v20, 32, v18
	v_subrev_u32_e32 v18, 28, v20
	v_lshlrev_b64 v[18:19], v18, v[8:9]
	v_lshrrev_b32_e32 v17, 3, v16
	v_sub_u32_e32 v19, 29, v20
	v_and_b32_e32 v18, 7, v18
	v_cmp_gt_u32_e64 s[4:5], 8, v16
	v_cndmask_b32_e64 v16, v17, v19, s[4:5]
	v_cndmask_b32_e64 v13, v13, v18, s[4:5]
	v_lshlrev_b32_e32 v8, 24, v8
	v_lshlrev_b32_e32 v13, 20, v13
	v_and_b32_e32 v8, 0x80000000, v8
	v_lshl_add_u32 v16, v16, 23, v5
	v_or3_b32 v13, v8, v16, v13
.LBB386_1647:                           ;   in Loop: Header=BB386_1010 Depth=1
	s_or_b64 exec, exec, s[28:29]
.LBB386_1648:                           ;   in Loop: Header=BB386_1010 Depth=1
	s_or_b64 exec, exec, s[26:27]
.LBB386_1649:                           ;   in Loop: Header=BB386_1010 Depth=1
	s_or_b64 exec, exec, s[24:25]
	v_mul_f32_e32 v8, v9, v13
	v_and_b32_e32 v13, 0x7f800000, v8
	v_cmp_ne_u32_e64 s[4:5], s15, v13
                                        ; implicit-def: $vgpr13
	s_and_saveexec_b64 s[24:25], s[4:5]
	s_xor_b64 s[4:5], exec, s[24:25]
; %bb.1650:                             ;   in Loop: Header=BB386_1010 Depth=1
	v_bfe_u32 v13, v8, 16, 1
	v_add3_u32 v13, v8, v13, s30
                                        ; implicit-def: $vgpr8
; %bb.1651:                             ;   in Loop: Header=BB386_1010 Depth=1
	s_andn2_saveexec_b64 s[24:25], s[4:5]
; %bb.1652:                             ;   in Loop: Header=BB386_1010 Depth=1
	v_or_b32_e32 v13, 0x10000, v8
	v_cmp_eq_u32_sdwa s[4:5], v8, v37 src0_sel:WORD_0 src1_sel:DWORD
	v_cndmask_b32_e64 v13, v13, v8, s[4:5]
; %bb.1653:                             ;   in Loop: Header=BB386_1010 Depth=1
	s_or_b64 exec, exec, s[24:25]
	v_mov_b32_e32 v36, v7
	v_cmp_ne_u16_sdwa s[4:5], v7, v37 src0_sel:BYTE_0 src1_sel:DWORD
	v_mov_b32_e32 v8, 0
	s_and_saveexec_b64 s[24:25], s[4:5]
	s_cbranch_execz .LBB386_1659
; %bb.1654:                             ;   in Loop: Header=BB386_1010 Depth=1
	v_cmp_ne_u16_sdwa s[4:5], v7, s31 src0_sel:BYTE_0 src1_sel:DWORD
	v_bfrev_b32_e32 v8, 1
	s_and_saveexec_b64 s[26:27], s[4:5]
	s_cbranch_execz .LBB386_1658
; %bb.1655:                             ;   in Loop: Header=BB386_1010 Depth=1
	v_and_b32_e32 v16, 0x7f, v7
	v_cmp_ne_u32_e64 s[4:5], s34, v16
	v_mov_b32_e32 v8, 0x7f800001
	s_and_saveexec_b64 s[28:29], s[4:5]
	s_cbranch_execz .LBB386_1657
; %bb.1656:                             ;   in Loop: Header=BB386_1010 Depth=1
	v_and_b32_e32 v8, 7, v7
	v_ffbh_u32_e32 v8, v8
	v_min_u32_e32 v8, 32, v8
	v_subrev_u32_e32 v18, 28, v8
	v_cmp_gt_u32_e64 s[4:5], 8, v16
	v_lshrrev_b32_e32 v17, 3, v16
	v_sub_u32_e32 v8, 29, v8
	v_cndmask_b32_e64 v16, 0, v18, s[4:5]
	v_cndmask_b32_e64 v8, v17, v8, s[4:5]
	v_lshlrev_b64 v[16:17], v16, v[36:37]
	v_lshlrev_b32_e32 v16, 20, v16
	v_lshlrev_b32_e32 v17, 24, v36
	v_and_b32_e32 v16, 0x700000, v16
	v_and_b32_e32 v17, 0x80000000, v17
	v_lshl_add_u32 v8, v8, 23, v5
	v_or3_b32 v8, v17, v8, v16
.LBB386_1657:                           ;   in Loop: Header=BB386_1010 Depth=1
	s_or_b64 exec, exec, s[28:29]
.LBB386_1658:                           ;   in Loop: Header=BB386_1010 Depth=1
	s_or_b64 exec, exec, s[26:27]
.LBB386_1659:                           ;   in Loop: Header=BB386_1010 Depth=1
	s_or_b64 exec, exec, s[24:25]
	v_mul_f32_e32 v8, v9, v8
	v_and_b32_e32 v16, 0x7f800000, v8
	v_cmp_ne_u32_e64 s[4:5], s15, v16
                                        ; implicit-def: $vgpr16
	s_and_saveexec_b64 s[24:25], s[4:5]
	s_xor_b64 s[4:5], exec, s[24:25]
; %bb.1660:                             ;   in Loop: Header=BB386_1010 Depth=1
	v_bfe_u32 v16, v8, 16, 1
	v_add3_u32 v16, v8, v16, s30
                                        ; implicit-def: $vgpr8
; %bb.1661:                             ;   in Loop: Header=BB386_1010 Depth=1
	s_andn2_saveexec_b64 s[24:25], s[4:5]
; %bb.1662:                             ;   in Loop: Header=BB386_1010 Depth=1
	v_or_b32_e32 v16, 0x10000, v8
	v_cmp_eq_u32_sdwa s[4:5], v8, v37 src0_sel:WORD_0 src1_sel:DWORD
	v_cndmask_b32_e64 v16, v16, v8, s[4:5]
; %bb.1663:                             ;   in Loop: Header=BB386_1010 Depth=1
	s_or_b64 exec, exec, s[24:25]
	v_lshrrev_b16_e32 v8, 8, v36
	v_cmp_ne_u16_e64 s[4:5], 0, v8
	v_mov_b32_e32 v17, 0
	s_and_saveexec_b64 s[24:25], s[4:5]
	s_cbranch_execz .LBB386_1669
; %bb.1664:                             ;   in Loop: Header=BB386_1010 Depth=1
	v_cmp_ne_u16_e64 s[4:5], s31, v8
	v_bfrev_b32_e32 v17, 1
	s_and_saveexec_b64 s[26:27], s[4:5]
	s_cbranch_execz .LBB386_1668
; %bb.1665:                             ;   in Loop: Header=BB386_1010 Depth=1
	v_and_b32_e32 v18, 0x7f, v8
	v_cmp_ne_u32_e64 s[4:5], s34, v18
	v_mov_b32_e32 v17, 0x7f800001
	s_and_saveexec_b64 s[28:29], s[4:5]
	s_cbranch_execz .LBB386_1667
; %bb.1666:                             ;   in Loop: Header=BB386_1010 Depth=1
	v_and_b32_e32 v17, 7, v8
	v_ffbh_u32_e32 v20, v17
	v_min_u32_e32 v22, 32, v20
	v_subrev_u32_e32 v20, 28, v22
	v_lshlrev_b64 v[20:21], v20, v[8:9]
	v_lshrrev_b32_e32 v19, 3, v18
	v_sub_u32_e32 v8, 29, v22
	v_and_b32_e32 v20, 7, v20
	v_cmp_gt_u32_e64 s[4:5], 8, v18
	v_cndmask_b32_e64 v8, v19, v8, s[4:5]
	v_cndmask_b32_e64 v17, v17, v20, s[4:5]
	v_lshlrev_b32_e32 v18, 16, v36
	v_lshlrev_b32_e32 v17, 20, v17
	v_and_b32_e32 v18, 0x80000000, v18
	v_lshl_add_u32 v8, v8, 23, v5
	v_or3_b32 v17, v18, v8, v17
.LBB386_1667:                           ;   in Loop: Header=BB386_1010 Depth=1
	s_or_b64 exec, exec, s[28:29]
.LBB386_1668:                           ;   in Loop: Header=BB386_1010 Depth=1
	s_or_b64 exec, exec, s[26:27]
.LBB386_1669:                           ;   in Loop: Header=BB386_1010 Depth=1
	s_or_b64 exec, exec, s[24:25]
	v_mul_f32_e32 v8, v9, v17
	v_and_b32_e32 v17, 0x7f800000, v8
	v_cmp_ne_u32_e64 s[4:5], s15, v17
                                        ; implicit-def: $vgpr17
	s_and_saveexec_b64 s[24:25], s[4:5]
	s_xor_b64 s[4:5], exec, s[24:25]
; %bb.1670:                             ;   in Loop: Header=BB386_1010 Depth=1
	v_bfe_u32 v17, v8, 16, 1
	v_add3_u32 v17, v8, v17, s30
                                        ; implicit-def: $vgpr8
; %bb.1671:                             ;   in Loop: Header=BB386_1010 Depth=1
	s_andn2_saveexec_b64 s[24:25], s[4:5]
; %bb.1672:                             ;   in Loop: Header=BB386_1010 Depth=1
	v_or_b32_e32 v17, 0x10000, v8
	v_cmp_eq_u32_sdwa s[4:5], v8, v37 src0_sel:WORD_0 src1_sel:DWORD
	v_cndmask_b32_e64 v17, v17, v8, s[4:5]
; %bb.1673:                             ;   in Loop: Header=BB386_1010 Depth=1
	s_or_b64 exec, exec, s[24:25]
	v_lshrrev_b32_e32 v8, 16, v7
	v_cmp_ne_u16_sdwa s[4:5], v8, v37 src0_sel:BYTE_0 src1_sel:DWORD
	v_mov_b32_e32 v18, 0
	s_and_saveexec_b64 s[24:25], s[4:5]
	s_cbranch_execz .LBB386_1679
; %bb.1674:                             ;   in Loop: Header=BB386_1010 Depth=1
	v_cmp_ne_u16_sdwa s[4:5], v8, s31 src0_sel:BYTE_0 src1_sel:DWORD
	v_bfrev_b32_e32 v18, 1
	s_and_saveexec_b64 s[26:27], s[4:5]
	s_cbranch_execz .LBB386_1678
; %bb.1675:                             ;   in Loop: Header=BB386_1010 Depth=1
	v_bfe_u32 v19, v7, 16, 7
	v_cmp_ne_u32_e64 s[4:5], s34, v19
	v_mov_b32_e32 v18, 0x7f800001
	s_and_saveexec_b64 s[28:29], s[4:5]
	s_cbranch_execz .LBB386_1677
; %bb.1676:                             ;   in Loop: Header=BB386_1010 Depth=1
	v_and_b32_e32 v18, 7, v8
	v_ffbh_u32_e32 v20, v18
	v_min_u32_e32 v23, 32, v20
	v_subrev_u32_e32 v20, 28, v23
	v_lshlrev_b64 v[20:21], v20, v[8:9]
	v_lshrrev_b32_e32 v22, 3, v19
	v_sub_u32_e32 v21, 29, v23
	v_and_b32_e32 v20, 7, v20
	v_cmp_gt_u32_e64 s[4:5], 8, v19
	v_cndmask_b32_e64 v19, v22, v21, s[4:5]
	v_cndmask_b32_e64 v18, v18, v20, s[4:5]
	v_lshlrev_b32_e32 v8, 24, v8
	v_lshlrev_b32_e32 v18, 20, v18
	v_and_b32_e32 v8, 0x80000000, v8
	v_lshl_add_u32 v19, v19, 23, v5
	v_or3_b32 v18, v8, v19, v18
.LBB386_1677:                           ;   in Loop: Header=BB386_1010 Depth=1
	s_or_b64 exec, exec, s[28:29]
.LBB386_1678:                           ;   in Loop: Header=BB386_1010 Depth=1
	s_or_b64 exec, exec, s[26:27]
.LBB386_1679:                           ;   in Loop: Header=BB386_1010 Depth=1
	s_or_b64 exec, exec, s[24:25]
	v_mul_f32_e32 v8, v9, v18
	v_and_b32_e32 v18, 0x7f800000, v8
	v_cmp_ne_u32_e64 s[4:5], s15, v18
                                        ; implicit-def: $vgpr18
	s_and_saveexec_b64 s[24:25], s[4:5]
	s_xor_b64 s[4:5], exec, s[24:25]
; %bb.1680:                             ;   in Loop: Header=BB386_1010 Depth=1
	v_bfe_u32 v18, v8, 16, 1
	v_add3_u32 v18, v8, v18, s30
                                        ; implicit-def: $vgpr8
; %bb.1681:                             ;   in Loop: Header=BB386_1010 Depth=1
	s_andn2_saveexec_b64 s[24:25], s[4:5]
; %bb.1682:                             ;   in Loop: Header=BB386_1010 Depth=1
	v_or_b32_e32 v18, 0x10000, v8
	v_cmp_eq_u32_sdwa s[4:5], v8, v37 src0_sel:WORD_0 src1_sel:DWORD
	v_cndmask_b32_e64 v18, v18, v8, s[4:5]
; %bb.1683:                             ;   in Loop: Header=BB386_1010 Depth=1
	s_or_b64 exec, exec, s[24:25]
	v_cmp_lt_u64_e64 s[4:5], s[10:11], v[6:7]
	v_mov_b32_e32 v8, 0
	s_and_saveexec_b64 s[24:25], s[4:5]
	s_cbranch_execz .LBB386_1689
; %bb.1684:                             ;   in Loop: Header=BB386_1010 Depth=1
	v_lshrrev_b32_e32 v6, 24, v7
	v_cmp_ne_u32_e64 s[4:5], s31, v6
	v_bfrev_b32_e32 v8, 1
	s_and_saveexec_b64 s[26:27], s[4:5]
	s_cbranch_execz .LBB386_1688
; %bb.1685:                             ;   in Loop: Header=BB386_1010 Depth=1
	v_bfe_u32 v7, v7, 24, 7
	v_cmp_ne_u32_e64 s[4:5], s34, v7
	v_mov_b32_e32 v8, 0x7f800001
	s_and_saveexec_b64 s[28:29], s[4:5]
	s_cbranch_execz .LBB386_1687
; %bb.1686:                             ;   in Loop: Header=BB386_1010 Depth=1
	v_and_b32_e32 v8, 7, v6
	v_ffbh_u32_e32 v20, v8
	v_min_u32_e32 v22, 32, v20
	v_subrev_u32_e32 v20, 28, v22
	v_lshlrev_b64 v[20:21], v20, v[6:7]
	v_lshrrev_b32_e32 v19, 3, v7
	v_sub_u32_e32 v21, 29, v22
	v_and_b32_e32 v20, 7, v20
	v_cmp_gt_u32_e64 s[4:5], 8, v7
	v_cndmask_b32_e64 v7, v19, v21, s[4:5]
	v_cndmask_b32_e64 v8, v8, v20, s[4:5]
	v_lshlrev_b32_e32 v6, 24, v6
	v_lshlrev_b32_e32 v8, 20, v8
	v_and_b32_e32 v6, 0x80000000, v6
	v_lshl_add_u32 v7, v7, 23, v5
	v_or3_b32 v8, v6, v7, v8
.LBB386_1687:                           ;   in Loop: Header=BB386_1010 Depth=1
	s_or_b64 exec, exec, s[28:29]
.LBB386_1688:                           ;   in Loop: Header=BB386_1010 Depth=1
	s_or_b64 exec, exec, s[26:27]
.LBB386_1689:                           ;   in Loop: Header=BB386_1010 Depth=1
	s_or_b64 exec, exec, s[24:25]
	v_mul_f32_e32 v7, v9, v8
	v_and_b32_e32 v6, 0x7f800000, v7
	v_cmp_ne_u32_e64 s[4:5], s15, v6
                                        ; implicit-def: $vgpr6
	s_and_saveexec_b64 s[24:25], s[4:5]
	s_xor_b64 s[4:5], exec, s[24:25]
; %bb.1690:                             ;   in Loop: Header=BB386_1010 Depth=1
	v_bfe_u32 v6, v7, 16, 1
	v_add3_u32 v6, v7, v6, s30
                                        ; implicit-def: $vgpr7
; %bb.1691:                             ;   in Loop: Header=BB386_1010 Depth=1
	s_andn2_saveexec_b64 s[24:25], s[4:5]
; %bb.1692:                             ;   in Loop: Header=BB386_1010 Depth=1
	v_or_b32_e32 v6, 0x10000, v7
	v_cmp_eq_u32_sdwa s[4:5], v7, v37 src0_sel:WORD_0 src1_sel:DWORD
	v_cndmask_b32_e64 v6, v6, v7, s[4:5]
; %bb.1693:                             ;   in Loop: Header=BB386_1010 Depth=1
	s_or_b64 exec, exec, s[24:25]
	v_lshrrev_b32_e32 v8, 16, v17
	v_lshrrev_b32_e32 v16, 16, v16
	;; [unrolled: 1-line block ×8, first 2 shown]
	s_and_saveexec_b64 s[24:25], vcc
	s_cbranch_execz .LBB386_1695
; %bb.1694:                             ;   in Loop: Header=BB386_1010 Depth=1
	buffer_load_dword v18, off, s[0:3], s32 offset:196 ; 4-byte Folded Reload
	v_accvgpr_read_b32 v17, a54
	s_waitcnt vmcnt(0)
	v_cmp_lt_i32_e64 s[4:5], v53, v18
	v_cndmask_b32_e64 v10, 0, v10, s[4:5]
	v_cmp_lt_i32_e64 s[4:5], v17, v18
	v_accvgpr_read_b32 v17, a53
	v_cndmask_b32_e64 v11, 0, v11, s[4:5]
	v_cmp_lt_i32_e64 s[4:5], v17, v18
	v_accvgpr_read_b32 v17, a52
	;; [unrolled: 3-line block ×6, first 2 shown]
	v_cndmask_b32_e64 v7, 0, v7, s[4:5]
	v_cmp_lt_i32_e64 s[4:5], v17, v18
	v_cndmask_b32_e64 v6, 0, v6, s[4:5]
.LBB386_1695:                           ;   in Loop: Header=BB386_1010 Depth=1
	s_or_b64 exec, exec, s[24:25]
	v_lshlrev_b32_e32 v10, 16, v10
	v_mul_f32_e32 v10, v39, v10
	v_and_b32_e32 v17, 0x7f800000, v10
	v_cmp_ne_u32_e64 s[4:5], s15, v17
                                        ; implicit-def: $agpr6
	s_and_saveexec_b64 s[24:25], s[4:5]
	s_xor_b64 s[4:5], exec, s[24:25]
; %bb.1696:                             ;   in Loop: Header=BB386_1010 Depth=1
	v_bfe_u32 v17, v10, 16, 1
	v_add3_u32 v10, v10, v17, s30
	v_accvgpr_write_b32 a6, v10
                                        ; implicit-def: $vgpr10
; %bb.1697:                             ;   in Loop: Header=BB386_1010 Depth=1
	s_andn2_saveexec_b64 s[24:25], s[4:5]
; %bb.1698:                             ;   in Loop: Header=BB386_1010 Depth=1
	v_or_b32_e32 v17, 0x10000, v10
	v_cmp_eq_u32_sdwa s[4:5], v10, v37 src0_sel:WORD_0 src1_sel:DWORD
	v_cndmask_b32_e64 v10, v17, v10, s[4:5]
	v_accvgpr_write_b32 a6, v10
; %bb.1699:                             ;   in Loop: Header=BB386_1010 Depth=1
	s_or_b64 exec, exec, s[24:25]
	v_lshlrev_b32_e32 v10, 16, v11
	v_mul_f32_e32 v10, v31, v10
	v_and_b32_e32 v11, 0x7f800000, v10
	v_cmp_ne_u32_e64 s[4:5], s15, v11
                                        ; implicit-def: $agpr46
	s_and_saveexec_b64 s[24:25], s[4:5]
	s_xor_b64 s[4:5], exec, s[24:25]
; %bb.1700:                             ;   in Loop: Header=BB386_1010 Depth=1
	v_bfe_u32 v11, v10, 16, 1
	v_add3_u32 v10, v10, v11, s30
	v_accvgpr_write_b32 a46, v10
                                        ; implicit-def: $vgpr10
; %bb.1701:                             ;   in Loop: Header=BB386_1010 Depth=1
	s_andn2_saveexec_b64 s[24:25], s[4:5]
; %bb.1702:                             ;   in Loop: Header=BB386_1010 Depth=1
	v_or_b32_e32 v11, 0x10000, v10
	v_cmp_eq_u32_sdwa s[4:5], v10, v37 src0_sel:WORD_0 src1_sel:DWORD
	v_cndmask_b32_e64 v10, v11, v10, s[4:5]
	v_accvgpr_write_b32 a46, v10
; %bb.1703:                             ;   in Loop: Header=BB386_1010 Depth=1
	s_or_b64 exec, exec, s[24:25]
	v_lshlrev_b32_e32 v10, 16, v12
	v_mul_f32_e32 v10, v30, v10
	v_and_b32_e32 v11, 0x7f800000, v10
	v_cmp_ne_u32_e64 s[4:5], s15, v11
                                        ; implicit-def: $agpr28
	s_and_saveexec_b64 s[24:25], s[4:5]
	s_xor_b64 s[4:5], exec, s[24:25]
; %bb.1704:                             ;   in Loop: Header=BB386_1010 Depth=1
	v_bfe_u32 v11, v10, 16, 1
	v_add3_u32 v10, v10, v11, s30
	v_accvgpr_write_b32 a28, v10
                                        ; implicit-def: $vgpr10
; %bb.1705:                             ;   in Loop: Header=BB386_1010 Depth=1
	s_andn2_saveexec_b64 s[24:25], s[4:5]
; %bb.1706:                             ;   in Loop: Header=BB386_1010 Depth=1
	v_or_b32_e32 v11, 0x10000, v10
	v_cmp_eq_u32_sdwa s[4:5], v10, v37 src0_sel:WORD_0 src1_sel:DWORD
	v_cndmask_b32_e64 v10, v11, v10, s[4:5]
	v_accvgpr_write_b32 a28, v10
; %bb.1707:                             ;   in Loop: Header=BB386_1010 Depth=1
	s_or_b64 exec, exec, s[24:25]
	v_lshlrev_b32_e32 v10, 16, v13
	v_mul_f32_e32 v10, v49, v10
	v_and_b32_e32 v11, 0x7f800000, v10
	v_cmp_ne_u32_e64 s[4:5], s15, v11
                                        ; implicit-def: $agpr29
	s_and_saveexec_b64 s[24:25], s[4:5]
	s_xor_b64 s[4:5], exec, s[24:25]
; %bb.1708:                             ;   in Loop: Header=BB386_1010 Depth=1
	v_bfe_u32 v11, v10, 16, 1
	v_add3_u32 v10, v10, v11, s30
	v_accvgpr_write_b32 a29, v10
                                        ; implicit-def: $vgpr10
; %bb.1709:                             ;   in Loop: Header=BB386_1010 Depth=1
	s_andn2_saveexec_b64 s[24:25], s[4:5]
; %bb.1710:                             ;   in Loop: Header=BB386_1010 Depth=1
	v_or_b32_e32 v11, 0x10000, v10
	v_cmp_eq_u32_sdwa s[4:5], v10, v37 src0_sel:WORD_0 src1_sel:DWORD
	v_cndmask_b32_e64 v10, v11, v10, s[4:5]
	v_accvgpr_write_b32 a29, v10
; %bb.1711:                             ;   in Loop: Header=BB386_1010 Depth=1
	s_or_b64 exec, exec, s[24:25]
	v_lshlrev_b32_e32 v10, 16, v16
	v_mul_f32_e32 v10, v51, v10
	v_and_b32_e32 v11, 0x7f800000, v10
	v_cmp_ne_u32_e64 s[4:5], s15, v11
                                        ; implicit-def: $agpr22
	s_and_saveexec_b64 s[24:25], s[4:5]
	s_xor_b64 s[4:5], exec, s[24:25]
; %bb.1712:                             ;   in Loop: Header=BB386_1010 Depth=1
	v_bfe_u32 v11, v10, 16, 1
	v_add3_u32 v10, v10, v11, s30
	v_accvgpr_write_b32 a22, v10
                                        ; implicit-def: $vgpr10
; %bb.1713:                             ;   in Loop: Header=BB386_1010 Depth=1
	s_andn2_saveexec_b64 s[24:25], s[4:5]
; %bb.1714:                             ;   in Loop: Header=BB386_1010 Depth=1
	v_or_b32_e32 v11, 0x10000, v10
	v_cmp_eq_u32_sdwa s[4:5], v10, v37 src0_sel:WORD_0 src1_sel:DWORD
	v_cndmask_b32_e64 v10, v11, v10, s[4:5]
	v_accvgpr_write_b32 a22, v10
; %bb.1715:                             ;   in Loop: Header=BB386_1010 Depth=1
	s_or_b64 exec, exec, s[24:25]
	v_lshlrev_b32_e32 v8, 16, v8
	v_mul_f32_e32 v8, v54, v8
	v_and_b32_e32 v10, 0x7f800000, v8
	v_cmp_ne_u32_e64 s[4:5], s15, v10
                                        ; implicit-def: $agpr23
	s_and_saveexec_b64 s[24:25], s[4:5]
	s_xor_b64 s[4:5], exec, s[24:25]
; %bb.1716:                             ;   in Loop: Header=BB386_1010 Depth=1
	v_bfe_u32 v10, v8, 16, 1
	v_add3_u32 v8, v8, v10, s30
	v_accvgpr_write_b32 a23, v8
                                        ; implicit-def: $vgpr8
; %bb.1717:                             ;   in Loop: Header=BB386_1010 Depth=1
	s_andn2_saveexec_b64 s[24:25], s[4:5]
; %bb.1718:                             ;   in Loop: Header=BB386_1010 Depth=1
	v_or_b32_e32 v10, 0x10000, v8
	v_cmp_eq_u32_sdwa s[4:5], v8, v37 src0_sel:WORD_0 src1_sel:DWORD
	v_cndmask_b32_e64 v8, v10, v8, s[4:5]
	v_accvgpr_write_b32 a23, v8
; %bb.1719:                             ;   in Loop: Header=BB386_1010 Depth=1
	s_or_b64 exec, exec, s[24:25]
	v_lshlrev_b32_e32 v7, 16, v7
	v_mul_f32_e32 v7, v27, v7
	v_and_b32_e32 v8, 0x7f800000, v7
	v_cmp_ne_u32_e64 s[4:5], s15, v8
                                        ; implicit-def: $agpr32
	s_and_saveexec_b64 s[24:25], s[4:5]
	s_xor_b64 s[4:5], exec, s[24:25]
; %bb.1720:                             ;   in Loop: Header=BB386_1010 Depth=1
	v_bfe_u32 v8, v7, 16, 1
	v_add3_u32 v7, v7, v8, s30
	v_accvgpr_write_b32 a32, v7
                                        ; implicit-def: $vgpr7
; %bb.1721:                             ;   in Loop: Header=BB386_1010 Depth=1
	s_andn2_saveexec_b64 s[24:25], s[4:5]
; %bb.1722:                             ;   in Loop: Header=BB386_1010 Depth=1
	v_or_b32_e32 v8, 0x10000, v7
	v_cmp_eq_u32_sdwa s[4:5], v7, v37 src0_sel:WORD_0 src1_sel:DWORD
	v_cndmask_b32_e64 v7, v8, v7, s[4:5]
	v_accvgpr_write_b32 a32, v7
; %bb.1723:                             ;   in Loop: Header=BB386_1010 Depth=1
	s_or_b64 exec, exec, s[24:25]
	v_lshlrev_b32_e32 v6, 16, v6
	v_mul_f32_e32 v6, v26, v6
	v_and_b32_e32 v7, 0x7f800000, v6
	v_cmp_ne_u32_e64 s[4:5], s15, v7
                                        ; implicit-def: $agpr33
	s_and_saveexec_b64 s[24:25], s[4:5]
	s_xor_b64 s[4:5], exec, s[24:25]
; %bb.1724:                             ;   in Loop: Header=BB386_1010 Depth=1
	v_bfe_u32 v7, v6, 16, 1
	v_add3_u32 v6, v6, v7, s30
	v_accvgpr_write_b32 a33, v6
                                        ; implicit-def: $vgpr6
; %bb.1725:                             ;   in Loop: Header=BB386_1010 Depth=1
	s_andn2_saveexec_b64 s[24:25], s[4:5]
; %bb.1726:                             ;   in Loop: Header=BB386_1010 Depth=1
	v_or_b32_e32 v7, 0x10000, v6
	v_cmp_eq_u32_sdwa s[4:5], v6, v37 src0_sel:WORD_0 src1_sel:DWORD
	v_cndmask_b32_e64 v6, v7, v6, s[4:5]
	v_accvgpr_write_b32 a33, v6
; %bb.1727:                             ;   in Loop: Header=BB386_1010 Depth=1
	s_or_b64 exec, exec, s[24:25]
	flat_load_dwordx2 v[6:7], v[2:3] offset:3072
	v_mov_b32_e32 v8, 0
	s_waitcnt vmcnt(0) lgkmcnt(0)
	v_cmp_ne_u16_sdwa s[4:5], v6, v37 src0_sel:BYTE_0 src1_sel:DWORD
	s_and_saveexec_b64 s[24:25], s[4:5]
	s_cbranch_execz .LBB386_1733
; %bb.1728:                             ;   in Loop: Header=BB386_1010 Depth=1
	v_cmp_ne_u16_sdwa s[4:5], v6, s31 src0_sel:BYTE_0 src1_sel:DWORD
	v_bfrev_b32_e32 v8, 1
	s_and_saveexec_b64 s[26:27], s[4:5]
	s_cbranch_execz .LBB386_1732
; %bb.1729:                             ;   in Loop: Header=BB386_1010 Depth=1
	v_and_b32_e32 v10, 0x7f, v6
	v_cmp_ne_u32_e64 s[4:5], s34, v10
	v_mov_b32_e32 v8, 0x7f800001
	s_and_saveexec_b64 s[28:29], s[4:5]
	s_cbranch_execz .LBB386_1731
; %bb.1730:                             ;   in Loop: Header=BB386_1010 Depth=1
	v_and_b32_e32 v8, 7, v6
	v_ffbh_u32_e32 v8, v8
	v_min_u32_e32 v8, 32, v8
	v_subrev_u32_e32 v12, 28, v8
	v_cmp_gt_u32_e64 s[4:5], 8, v10
	v_lshrrev_b32_e32 v11, 3, v10
	v_sub_u32_e32 v8, 29, v8
	v_cndmask_b32_e64 v10, 0, v12, s[4:5]
	v_cndmask_b32_e64 v8, v11, v8, s[4:5]
	v_lshlrev_b64 v[10:11], v10, v[6:7]
	v_lshlrev_b32_e32 v10, 20, v10
	v_lshlrev_b32_e32 v11, 24, v6
	v_and_b32_e32 v10, 0x700000, v10
	v_and_b32_e32 v11, 0x80000000, v11
	v_lshl_add_u32 v8, v8, 23, v5
	v_or3_b32 v8, v11, v8, v10
.LBB386_1731:                           ;   in Loop: Header=BB386_1010 Depth=1
	s_or_b64 exec, exec, s[28:29]
.LBB386_1732:                           ;   in Loop: Header=BB386_1010 Depth=1
	s_or_b64 exec, exec, s[26:27]
.LBB386_1733:                           ;   in Loop: Header=BB386_1010 Depth=1
	s_or_b64 exec, exec, s[24:25]
	v_mul_f32_e32 v8, v9, v8
	v_and_b32_e32 v10, 0x7f800000, v8
	v_cmp_ne_u32_e64 s[4:5], s15, v10
                                        ; implicit-def: $vgpr10
	s_and_saveexec_b64 s[24:25], s[4:5]
	s_xor_b64 s[4:5], exec, s[24:25]
; %bb.1734:                             ;   in Loop: Header=BB386_1010 Depth=1
	v_bfe_u32 v10, v8, 16, 1
	v_add3_u32 v10, v8, v10, s30
                                        ; implicit-def: $vgpr8
; %bb.1735:                             ;   in Loop: Header=BB386_1010 Depth=1
	s_andn2_saveexec_b64 s[24:25], s[4:5]
; %bb.1736:                             ;   in Loop: Header=BB386_1010 Depth=1
	v_or_b32_e32 v10, 0x10000, v8
	v_cmp_eq_u32_sdwa s[4:5], v8, v37 src0_sel:WORD_0 src1_sel:DWORD
	v_cndmask_b32_e64 v10, v10, v8, s[4:5]
; %bb.1737:                             ;   in Loop: Header=BB386_1010 Depth=1
	s_or_b64 exec, exec, s[24:25]
	v_lshrrev_b16_e32 v8, 8, v6
	v_cmp_ne_u16_e64 s[4:5], 0, v8
	v_mov_b32_e32 v11, 0
	s_and_saveexec_b64 s[24:25], s[4:5]
	s_cbranch_execz .LBB386_1743
; %bb.1738:                             ;   in Loop: Header=BB386_1010 Depth=1
	v_cmp_ne_u16_e64 s[4:5], s31, v8
	v_bfrev_b32_e32 v11, 1
	s_and_saveexec_b64 s[26:27], s[4:5]
	s_cbranch_execz .LBB386_1742
; %bb.1739:                             ;   in Loop: Header=BB386_1010 Depth=1
	v_and_b32_e32 v12, 0x7f, v8
	v_cmp_ne_u32_e64 s[4:5], s34, v12
	v_mov_b32_e32 v11, 0x7f800001
	s_and_saveexec_b64 s[28:29], s[4:5]
	s_cbranch_execz .LBB386_1741
; %bb.1740:                             ;   in Loop: Header=BB386_1010 Depth=1
	v_and_b32_e32 v11, 7, v8
	v_ffbh_u32_e32 v16, v11
	v_min_u32_e32 v18, 32, v16
	v_subrev_u32_e32 v16, 28, v18
	v_lshlrev_b64 v[16:17], v16, v[8:9]
	v_lshrrev_b32_e32 v13, 3, v12
	v_sub_u32_e32 v8, 29, v18
	v_and_b32_e32 v16, 7, v16
	v_cmp_gt_u32_e64 s[4:5], 8, v12
	v_cndmask_b32_e64 v8, v13, v8, s[4:5]
	v_cndmask_b32_e64 v11, v11, v16, s[4:5]
	v_lshlrev_b32_e32 v12, 16, v6
	v_lshlrev_b32_e32 v11, 20, v11
	v_and_b32_e32 v12, 0x80000000, v12
	v_lshl_add_u32 v8, v8, 23, v5
	v_or3_b32 v11, v12, v8, v11
.LBB386_1741:                           ;   in Loop: Header=BB386_1010 Depth=1
	s_or_b64 exec, exec, s[28:29]
.LBB386_1742:                           ;   in Loop: Header=BB386_1010 Depth=1
	s_or_b64 exec, exec, s[26:27]
.LBB386_1743:                           ;   in Loop: Header=BB386_1010 Depth=1
	s_or_b64 exec, exec, s[24:25]
	v_mul_f32_e32 v8, v9, v11
	v_and_b32_e32 v11, 0x7f800000, v8
	v_cmp_ne_u32_e64 s[4:5], s15, v11
                                        ; implicit-def: $vgpr11
	s_and_saveexec_b64 s[24:25], s[4:5]
	s_xor_b64 s[4:5], exec, s[24:25]
; %bb.1744:                             ;   in Loop: Header=BB386_1010 Depth=1
	v_bfe_u32 v11, v8, 16, 1
	v_add3_u32 v11, v8, v11, s30
                                        ; implicit-def: $vgpr8
; %bb.1745:                             ;   in Loop: Header=BB386_1010 Depth=1
	s_andn2_saveexec_b64 s[24:25], s[4:5]
; %bb.1746:                             ;   in Loop: Header=BB386_1010 Depth=1
	v_or_b32_e32 v11, 0x10000, v8
	v_cmp_eq_u32_sdwa s[4:5], v8, v37 src0_sel:WORD_0 src1_sel:DWORD
	v_cndmask_b32_e64 v11, v11, v8, s[4:5]
; %bb.1747:                             ;   in Loop: Header=BB386_1010 Depth=1
	s_or_b64 exec, exec, s[24:25]
	v_lshrrev_b32_e32 v8, 16, v6
	v_cmp_ne_u16_sdwa s[4:5], v8, v37 src0_sel:BYTE_0 src1_sel:DWORD
	v_mov_b32_e32 v12, 0
	s_and_saveexec_b64 s[24:25], s[4:5]
	s_cbranch_execz .LBB386_1753
; %bb.1748:                             ;   in Loop: Header=BB386_1010 Depth=1
	v_cmp_ne_u16_sdwa s[4:5], v8, s31 src0_sel:BYTE_0 src1_sel:DWORD
	v_bfrev_b32_e32 v12, 1
	s_and_saveexec_b64 s[26:27], s[4:5]
	s_cbranch_execz .LBB386_1752
; %bb.1749:                             ;   in Loop: Header=BB386_1010 Depth=1
	v_bfe_u32 v13, v6, 16, 7
	v_cmp_ne_u32_e64 s[4:5], s34, v13
	v_mov_b32_e32 v12, 0x7f800001
	s_and_saveexec_b64 s[28:29], s[4:5]
	s_cbranch_execz .LBB386_1751
; %bb.1750:                             ;   in Loop: Header=BB386_1010 Depth=1
	v_and_b32_e32 v12, 7, v8
	v_ffbh_u32_e32 v16, v12
	v_min_u32_e32 v19, 32, v16
	v_subrev_u32_e32 v16, 28, v19
	v_lshlrev_b64 v[16:17], v16, v[8:9]
	v_lshrrev_b32_e32 v18, 3, v13
	v_sub_u32_e32 v17, 29, v19
	v_and_b32_e32 v16, 7, v16
	v_cmp_gt_u32_e64 s[4:5], 8, v13
	v_cndmask_b32_e64 v13, v18, v17, s[4:5]
	v_cndmask_b32_e64 v12, v12, v16, s[4:5]
	v_lshlrev_b32_e32 v8, 24, v8
	v_lshlrev_b32_e32 v12, 20, v12
	v_and_b32_e32 v8, 0x80000000, v8
	v_lshl_add_u32 v13, v13, 23, v5
	v_or3_b32 v12, v8, v13, v12
.LBB386_1751:                           ;   in Loop: Header=BB386_1010 Depth=1
	s_or_b64 exec, exec, s[28:29]
.LBB386_1752:                           ;   in Loop: Header=BB386_1010 Depth=1
	s_or_b64 exec, exec, s[26:27]
.LBB386_1753:                           ;   in Loop: Header=BB386_1010 Depth=1
	s_or_b64 exec, exec, s[24:25]
	v_mul_f32_e32 v8, v9, v12
	v_and_b32_e32 v12, 0x7f800000, v8
	v_cmp_ne_u32_e64 s[4:5], s15, v12
                                        ; implicit-def: $vgpr12
	s_and_saveexec_b64 s[24:25], s[4:5]
	s_xor_b64 s[4:5], exec, s[24:25]
; %bb.1754:                             ;   in Loop: Header=BB386_1010 Depth=1
	v_bfe_u32 v12, v8, 16, 1
	v_add3_u32 v12, v8, v12, s30
                                        ; implicit-def: $vgpr8
; %bb.1755:                             ;   in Loop: Header=BB386_1010 Depth=1
	s_andn2_saveexec_b64 s[24:25], s[4:5]
; %bb.1756:                             ;   in Loop: Header=BB386_1010 Depth=1
	v_or_b32_e32 v12, 0x10000, v8
	v_cmp_eq_u32_sdwa s[4:5], v8, v37 src0_sel:WORD_0 src1_sel:DWORD
	v_cndmask_b32_e64 v12, v12, v8, s[4:5]
; %bb.1757:                             ;   in Loop: Header=BB386_1010 Depth=1
	s_or_b64 exec, exec, s[24:25]
	v_cmp_lt_u32_e64 s[4:5], s11, v6
	v_mov_b32_e32 v13, 0
	s_and_saveexec_b64 s[24:25], s[4:5]
	s_cbranch_execz .LBB386_1763
; %bb.1758:                             ;   in Loop: Header=BB386_1010 Depth=1
	v_lshrrev_b32_e32 v8, 24, v6
	v_cmp_ne_u32_e64 s[4:5], s31, v8
	v_bfrev_b32_e32 v13, 1
	s_and_saveexec_b64 s[26:27], s[4:5]
	s_cbranch_execz .LBB386_1762
; %bb.1759:                             ;   in Loop: Header=BB386_1010 Depth=1
	v_bfe_u32 v16, v6, 24, 7
	v_cmp_ne_u32_e64 s[4:5], s34, v16
	v_mov_b32_e32 v13, 0x7f800001
	s_and_saveexec_b64 s[28:29], s[4:5]
	s_cbranch_execz .LBB386_1761
; %bb.1760:                             ;   in Loop: Header=BB386_1010 Depth=1
	v_and_b32_e32 v13, 7, v8
	v_lshrrev_b32_e32 v18, 3, v16
	v_cmp_gt_u32_e64 s[4:5], 8, v16
	v_ffbh_u32_e32 v16, v13
	v_min_u32_e32 v19, 32, v16
	v_subrev_u32_e32 v16, 28, v19
	v_lshlrev_b64 v[16:17], v16, v[8:9]
	v_sub_u32_e32 v17, 29, v19
	v_and_b32_e32 v16, 7, v16
	v_cndmask_b32_e64 v17, v18, v17, s[4:5]
	v_cndmask_b32_e64 v13, v13, v16, s[4:5]
	v_lshlrev_b32_e32 v8, 24, v8
	v_lshlrev_b32_e32 v13, 20, v13
	v_and_b32_e32 v8, 0x80000000, v8
	v_lshl_add_u32 v16, v17, 23, v5
	v_or3_b32 v13, v8, v16, v13
.LBB386_1761:                           ;   in Loop: Header=BB386_1010 Depth=1
	s_or_b64 exec, exec, s[28:29]
.LBB386_1762:                           ;   in Loop: Header=BB386_1010 Depth=1
	s_or_b64 exec, exec, s[26:27]
.LBB386_1763:                           ;   in Loop: Header=BB386_1010 Depth=1
	s_or_b64 exec, exec, s[24:25]
	v_mul_f32_e32 v8, v9, v13
	v_and_b32_e32 v13, 0x7f800000, v8
	v_cmp_ne_u32_e64 s[4:5], s15, v13
                                        ; implicit-def: $vgpr13
	s_and_saveexec_b64 s[24:25], s[4:5]
	s_xor_b64 s[4:5], exec, s[24:25]
; %bb.1764:                             ;   in Loop: Header=BB386_1010 Depth=1
	v_bfe_u32 v13, v8, 16, 1
	v_add3_u32 v13, v8, v13, s30
                                        ; implicit-def: $vgpr8
; %bb.1765:                             ;   in Loop: Header=BB386_1010 Depth=1
	s_andn2_saveexec_b64 s[24:25], s[4:5]
; %bb.1766:                             ;   in Loop: Header=BB386_1010 Depth=1
	v_or_b32_e32 v13, 0x10000, v8
	v_cmp_eq_u32_sdwa s[4:5], v8, v37 src0_sel:WORD_0 src1_sel:DWORD
	v_cndmask_b32_e64 v13, v13, v8, s[4:5]
; %bb.1767:                             ;   in Loop: Header=BB386_1010 Depth=1
	s_or_b64 exec, exec, s[24:25]
	v_mov_b32_e32 v36, v7
	v_cmp_ne_u16_sdwa s[4:5], v7, v37 src0_sel:BYTE_0 src1_sel:DWORD
	v_mov_b32_e32 v8, 0
	s_and_saveexec_b64 s[24:25], s[4:5]
	s_cbranch_execz .LBB386_1773
; %bb.1768:                             ;   in Loop: Header=BB386_1010 Depth=1
	v_cmp_ne_u16_sdwa s[4:5], v7, s31 src0_sel:BYTE_0 src1_sel:DWORD
	v_bfrev_b32_e32 v8, 1
	s_and_saveexec_b64 s[26:27], s[4:5]
	s_cbranch_execz .LBB386_1772
; %bb.1769:                             ;   in Loop: Header=BB386_1010 Depth=1
	v_and_b32_e32 v16, 0x7f, v7
	v_cmp_ne_u32_e64 s[4:5], s34, v16
	v_mov_b32_e32 v8, 0x7f800001
	s_and_saveexec_b64 s[28:29], s[4:5]
	s_cbranch_execz .LBB386_1771
; %bb.1770:                             ;   in Loop: Header=BB386_1010 Depth=1
	v_and_b32_e32 v8, 7, v7
	v_ffbh_u32_e32 v8, v8
	v_min_u32_e32 v8, 32, v8
	v_subrev_u32_e32 v18, 28, v8
	v_cmp_gt_u32_e64 s[4:5], 8, v16
	v_lshrrev_b32_e32 v17, 3, v16
	v_sub_u32_e32 v8, 29, v8
	v_cndmask_b32_e64 v16, 0, v18, s[4:5]
	v_cndmask_b32_e64 v8, v17, v8, s[4:5]
	v_lshlrev_b64 v[16:17], v16, v[36:37]
	v_lshlrev_b32_e32 v16, 20, v16
	v_lshlrev_b32_e32 v17, 24, v36
	v_and_b32_e32 v16, 0x700000, v16
	v_and_b32_e32 v17, 0x80000000, v17
	v_lshl_add_u32 v8, v8, 23, v5
	v_or3_b32 v8, v17, v8, v16
.LBB386_1771:                           ;   in Loop: Header=BB386_1010 Depth=1
	s_or_b64 exec, exec, s[28:29]
.LBB386_1772:                           ;   in Loop: Header=BB386_1010 Depth=1
	s_or_b64 exec, exec, s[26:27]
.LBB386_1773:                           ;   in Loop: Header=BB386_1010 Depth=1
	s_or_b64 exec, exec, s[24:25]
	v_mul_f32_e32 v8, v9, v8
	v_and_b32_e32 v16, 0x7f800000, v8
	v_cmp_ne_u32_e64 s[4:5], s15, v16
                                        ; implicit-def: $vgpr16
	s_and_saveexec_b64 s[24:25], s[4:5]
	s_xor_b64 s[4:5], exec, s[24:25]
; %bb.1774:                             ;   in Loop: Header=BB386_1010 Depth=1
	v_bfe_u32 v16, v8, 16, 1
	v_add3_u32 v16, v8, v16, s30
                                        ; implicit-def: $vgpr8
; %bb.1775:                             ;   in Loop: Header=BB386_1010 Depth=1
	s_andn2_saveexec_b64 s[24:25], s[4:5]
; %bb.1776:                             ;   in Loop: Header=BB386_1010 Depth=1
	v_or_b32_e32 v16, 0x10000, v8
	v_cmp_eq_u32_sdwa s[4:5], v8, v37 src0_sel:WORD_0 src1_sel:DWORD
	v_cndmask_b32_e64 v16, v16, v8, s[4:5]
; %bb.1777:                             ;   in Loop: Header=BB386_1010 Depth=1
	s_or_b64 exec, exec, s[24:25]
	v_lshrrev_b16_e32 v8, 8, v36
	v_cmp_ne_u16_e64 s[4:5], 0, v8
	v_mov_b32_e32 v17, 0
	s_and_saveexec_b64 s[24:25], s[4:5]
	s_cbranch_execz .LBB386_1783
; %bb.1778:                             ;   in Loop: Header=BB386_1010 Depth=1
	v_cmp_ne_u16_e64 s[4:5], s31, v8
	v_bfrev_b32_e32 v17, 1
	s_and_saveexec_b64 s[26:27], s[4:5]
	s_cbranch_execz .LBB386_1782
; %bb.1779:                             ;   in Loop: Header=BB386_1010 Depth=1
	v_and_b32_e32 v18, 0x7f, v8
	v_cmp_ne_u32_e64 s[4:5], s34, v18
	v_mov_b32_e32 v17, 0x7f800001
	s_and_saveexec_b64 s[28:29], s[4:5]
	s_cbranch_execz .LBB386_1781
; %bb.1780:                             ;   in Loop: Header=BB386_1010 Depth=1
	v_and_b32_e32 v17, 7, v8
	v_lshrrev_b32_e32 v20, 3, v18
	v_cmp_gt_u32_e64 s[4:5], 8, v18
	v_ffbh_u32_e32 v18, v17
	v_min_u32_e32 v21, 32, v18
	v_subrev_u32_e32 v18, 28, v21
	v_lshlrev_b64 v[18:19], v18, v[8:9]
	v_sub_u32_e32 v8, 29, v21
	v_and_b32_e32 v18, 7, v18
	v_cndmask_b32_e64 v8, v20, v8, s[4:5]
	v_cndmask_b32_e64 v17, v17, v18, s[4:5]
	v_lshlrev_b32_e32 v18, 16, v36
	v_lshlrev_b32_e32 v17, 20, v17
	v_and_b32_e32 v18, 0x80000000, v18
	v_lshl_add_u32 v8, v8, 23, v5
	v_or3_b32 v17, v18, v8, v17
.LBB386_1781:                           ;   in Loop: Header=BB386_1010 Depth=1
	s_or_b64 exec, exec, s[28:29]
.LBB386_1782:                           ;   in Loop: Header=BB386_1010 Depth=1
	s_or_b64 exec, exec, s[26:27]
.LBB386_1783:                           ;   in Loop: Header=BB386_1010 Depth=1
	s_or_b64 exec, exec, s[24:25]
	v_mul_f32_e32 v8, v9, v17
	v_and_b32_e32 v17, 0x7f800000, v8
	v_cmp_ne_u32_e64 s[4:5], s15, v17
                                        ; implicit-def: $vgpr17
	s_and_saveexec_b64 s[24:25], s[4:5]
	s_xor_b64 s[4:5], exec, s[24:25]
; %bb.1784:                             ;   in Loop: Header=BB386_1010 Depth=1
	v_bfe_u32 v17, v8, 16, 1
	v_add3_u32 v17, v8, v17, s30
                                        ; implicit-def: $vgpr8
; %bb.1785:                             ;   in Loop: Header=BB386_1010 Depth=1
	s_andn2_saveexec_b64 s[24:25], s[4:5]
; %bb.1786:                             ;   in Loop: Header=BB386_1010 Depth=1
	v_or_b32_e32 v17, 0x10000, v8
	v_cmp_eq_u32_sdwa s[4:5], v8, v37 src0_sel:WORD_0 src1_sel:DWORD
	v_cndmask_b32_e64 v17, v17, v8, s[4:5]
; %bb.1787:                             ;   in Loop: Header=BB386_1010 Depth=1
	s_or_b64 exec, exec, s[24:25]
	v_lshrrev_b32_e32 v8, 16, v7
	v_cmp_ne_u16_sdwa s[4:5], v8, v37 src0_sel:BYTE_0 src1_sel:DWORD
	v_mov_b32_e32 v18, 0
	s_and_saveexec_b64 s[24:25], s[4:5]
	s_cbranch_execz .LBB386_1793
; %bb.1788:                             ;   in Loop: Header=BB386_1010 Depth=1
	v_cmp_ne_u16_sdwa s[4:5], v8, s31 src0_sel:BYTE_0 src1_sel:DWORD
	v_bfrev_b32_e32 v18, 1
	s_and_saveexec_b64 s[26:27], s[4:5]
	s_cbranch_execz .LBB386_1792
; %bb.1789:                             ;   in Loop: Header=BB386_1010 Depth=1
	v_bfe_u32 v19, v7, 16, 7
	v_cmp_ne_u32_e64 s[4:5], s34, v19
	v_mov_b32_e32 v18, 0x7f800001
	s_and_saveexec_b64 s[28:29], s[4:5]
	s_cbranch_execz .LBB386_1791
; %bb.1790:                             ;   in Loop: Header=BB386_1010 Depth=1
	v_and_b32_e32 v20, 7, v8
	v_ffbh_u32_e32 v18, v20
	v_min_u32_e32 v22, 32, v18
	v_subrev_u32_e32 v18, 28, v22
	v_lshrrev_b32_e32 v21, 3, v19
	v_cmp_gt_u32_e64 s[4:5], 8, v19
	v_lshlrev_b64 v[18:19], v18, v[8:9]
	v_sub_u32_e32 v19, 29, v22
	v_and_b32_e32 v18, 7, v18
	v_cndmask_b32_e64 v19, v21, v19, s[4:5]
	v_cndmask_b32_e64 v18, v20, v18, s[4:5]
	v_lshlrev_b32_e32 v8, 24, v8
	v_lshlrev_b32_e32 v18, 20, v18
	v_and_b32_e32 v8, 0x80000000, v8
	v_lshl_add_u32 v19, v19, 23, v5
	v_or3_b32 v18, v8, v19, v18
.LBB386_1791:                           ;   in Loop: Header=BB386_1010 Depth=1
	s_or_b64 exec, exec, s[28:29]
.LBB386_1792:                           ;   in Loop: Header=BB386_1010 Depth=1
	s_or_b64 exec, exec, s[26:27]
.LBB386_1793:                           ;   in Loop: Header=BB386_1010 Depth=1
	s_or_b64 exec, exec, s[24:25]
	v_mul_f32_e32 v8, v9, v18
	v_and_b32_e32 v18, 0x7f800000, v8
	v_cmp_ne_u32_e64 s[4:5], s15, v18
                                        ; implicit-def: $vgpr18
	s_and_saveexec_b64 s[24:25], s[4:5]
	s_xor_b64 s[4:5], exec, s[24:25]
; %bb.1794:                             ;   in Loop: Header=BB386_1010 Depth=1
	v_bfe_u32 v18, v8, 16, 1
	v_add3_u32 v18, v8, v18, s30
                                        ; implicit-def: $vgpr8
; %bb.1795:                             ;   in Loop: Header=BB386_1010 Depth=1
	s_andn2_saveexec_b64 s[24:25], s[4:5]
; %bb.1796:                             ;   in Loop: Header=BB386_1010 Depth=1
	v_or_b32_e32 v18, 0x10000, v8
	v_cmp_eq_u32_sdwa s[4:5], v8, v37 src0_sel:WORD_0 src1_sel:DWORD
	v_cndmask_b32_e64 v18, v18, v8, s[4:5]
; %bb.1797:                             ;   in Loop: Header=BB386_1010 Depth=1
	s_or_b64 exec, exec, s[24:25]
	v_cmp_lt_u64_e64 s[4:5], s[10:11], v[6:7]
	v_mov_b32_e32 v8, 0
	s_and_saveexec_b64 s[24:25], s[4:5]
	s_cbranch_execz .LBB386_1803
; %bb.1798:                             ;   in Loop: Header=BB386_1010 Depth=1
	v_lshrrev_b32_e32 v6, 24, v7
	v_cmp_ne_u32_e64 s[4:5], s31, v6
	v_bfrev_b32_e32 v8, 1
	s_and_saveexec_b64 s[26:27], s[4:5]
	s_cbranch_execz .LBB386_1802
; %bb.1799:                             ;   in Loop: Header=BB386_1010 Depth=1
	v_bfe_u32 v7, v7, 24, 7
	v_cmp_ne_u32_e64 s[4:5], s34, v7
	v_mov_b32_e32 v8, 0x7f800001
	s_and_saveexec_b64 s[28:29], s[4:5]
	s_cbranch_execz .LBB386_1801
; %bb.1800:                             ;   in Loop: Header=BB386_1010 Depth=1
	v_and_b32_e32 v8, 7, v6
	v_lshrrev_b32_e32 v19, 3, v7
	v_cmp_gt_u32_e64 s[4:5], 8, v7
	v_ffbh_u32_e32 v7, v8
	v_min_u32_e32 v7, 32, v7
	v_subrev_u32_e32 v20, 28, v7
	v_lshlrev_b64 v[20:21], v20, v[6:7]
	v_sub_u32_e32 v7, 29, v7
	v_and_b32_e32 v20, 7, v20
	v_cndmask_b32_e64 v7, v19, v7, s[4:5]
	v_cndmask_b32_e64 v8, v8, v20, s[4:5]
	v_lshlrev_b32_e32 v6, 24, v6
	v_lshlrev_b32_e32 v8, 20, v8
	v_and_b32_e32 v6, 0x80000000, v6
	v_lshl_add_u32 v7, v7, 23, v5
	v_or3_b32 v8, v6, v7, v8
.LBB386_1801:                           ;   in Loop: Header=BB386_1010 Depth=1
	s_or_b64 exec, exec, s[28:29]
.LBB386_1802:                           ;   in Loop: Header=BB386_1010 Depth=1
	s_or_b64 exec, exec, s[26:27]
.LBB386_1803:                           ;   in Loop: Header=BB386_1010 Depth=1
	s_or_b64 exec, exec, s[24:25]
	v_mul_f32_e32 v7, v9, v8
	v_and_b32_e32 v6, 0x7f800000, v7
	v_cmp_ne_u32_e64 s[4:5], s15, v6
                                        ; implicit-def: $vgpr6
	s_and_saveexec_b64 s[24:25], s[4:5]
	s_xor_b64 s[4:5], exec, s[24:25]
; %bb.1804:                             ;   in Loop: Header=BB386_1010 Depth=1
	v_bfe_u32 v6, v7, 16, 1
	v_add3_u32 v6, v7, v6, s30
                                        ; implicit-def: $vgpr7
; %bb.1805:                             ;   in Loop: Header=BB386_1010 Depth=1
	s_andn2_saveexec_b64 s[24:25], s[4:5]
; %bb.1806:                             ;   in Loop: Header=BB386_1010 Depth=1
	v_or_b32_e32 v6, 0x10000, v7
	v_cmp_eq_u32_sdwa s[4:5], v7, v37 src0_sel:WORD_0 src1_sel:DWORD
	v_cndmask_b32_e64 v6, v6, v7, s[4:5]
; %bb.1807:                             ;   in Loop: Header=BB386_1010 Depth=1
	s_or_b64 exec, exec, s[24:25]
	v_lshrrev_b32_e32 v8, 16, v17
	v_lshrrev_b32_e32 v16, 16, v16
	;; [unrolled: 1-line block ×8, first 2 shown]
	s_and_saveexec_b64 s[24:25], vcc
	s_cbranch_execz .LBB386_1809
; %bb.1808:                             ;   in Loop: Header=BB386_1010 Depth=1
	buffer_load_dword v18, off, s[0:3], s32 offset:196 ; 4-byte Folded Reload
	v_accvgpr_read_b32 v17, a54
	s_waitcnt vmcnt(0)
	v_cmp_lt_i32_e64 s[4:5], v53, v18
	v_cndmask_b32_e64 v10, 0, v10, s[4:5]
	v_cmp_lt_i32_e64 s[4:5], v17, v18
	v_accvgpr_read_b32 v17, a53
	v_cndmask_b32_e64 v11, 0, v11, s[4:5]
	v_cmp_lt_i32_e64 s[4:5], v17, v18
	v_accvgpr_read_b32 v17, a52
	;; [unrolled: 3-line block ×6, first 2 shown]
	v_cndmask_b32_e64 v7, 0, v7, s[4:5]
	v_cmp_lt_i32_e64 s[4:5], v17, v18
	v_cndmask_b32_e64 v6, 0, v6, s[4:5]
.LBB386_1809:                           ;   in Loop: Header=BB386_1010 Depth=1
	s_or_b64 exec, exec, s[24:25]
	v_lshlrev_b32_e32 v10, 16, v10
	v_mul_f32_e32 v10, v39, v10
	v_and_b32_e32 v17, 0x7f800000, v10
	v_cmp_ne_u32_e64 s[4:5], s15, v17
                                        ; implicit-def: $agpr24
	s_and_saveexec_b64 s[24:25], s[4:5]
	s_xor_b64 s[4:5], exec, s[24:25]
; %bb.1810:                             ;   in Loop: Header=BB386_1010 Depth=1
	v_bfe_u32 v17, v10, 16, 1
	v_add3_u32 v10, v10, v17, s30
	v_accvgpr_write_b32 a24, v10
                                        ; implicit-def: $vgpr10
; %bb.1811:                             ;   in Loop: Header=BB386_1010 Depth=1
	s_andn2_saveexec_b64 s[24:25], s[4:5]
; %bb.1812:                             ;   in Loop: Header=BB386_1010 Depth=1
	v_or_b32_e32 v17, 0x10000, v10
	v_cmp_eq_u32_sdwa s[4:5], v10, v37 src0_sel:WORD_0 src1_sel:DWORD
	v_cndmask_b32_e64 v10, v17, v10, s[4:5]
	v_accvgpr_write_b32 a24, v10
; %bb.1813:                             ;   in Loop: Header=BB386_1010 Depth=1
	s_or_b64 exec, exec, s[24:25]
	v_lshlrev_b32_e32 v10, 16, v11
	v_mul_f32_e32 v10, v31, v10
	v_and_b32_e32 v11, 0x7f800000, v10
	v_cmp_ne_u32_e64 s[4:5], s15, v11
                                        ; implicit-def: $agpr25
	s_and_saveexec_b64 s[24:25], s[4:5]
	s_xor_b64 s[4:5], exec, s[24:25]
; %bb.1814:                             ;   in Loop: Header=BB386_1010 Depth=1
	v_bfe_u32 v11, v10, 16, 1
	v_add3_u32 v10, v10, v11, s30
	v_accvgpr_write_b32 a25, v10
                                        ; implicit-def: $vgpr10
; %bb.1815:                             ;   in Loop: Header=BB386_1010 Depth=1
	s_andn2_saveexec_b64 s[24:25], s[4:5]
; %bb.1816:                             ;   in Loop: Header=BB386_1010 Depth=1
	v_or_b32_e32 v11, 0x10000, v10
	v_cmp_eq_u32_sdwa s[4:5], v10, v37 src0_sel:WORD_0 src1_sel:DWORD
	v_cndmask_b32_e64 v10, v11, v10, s[4:5]
	v_accvgpr_write_b32 a25, v10
; %bb.1817:                             ;   in Loop: Header=BB386_1010 Depth=1
	s_or_b64 exec, exec, s[24:25]
	v_lshlrev_b32_e32 v10, 16, v12
	v_mul_f32_e32 v10, v30, v10
	v_and_b32_e32 v11, 0x7f800000, v10
	v_cmp_ne_u32_e64 s[4:5], s15, v11
                                        ; implicit-def: $agpr26
	s_and_saveexec_b64 s[24:25], s[4:5]
	s_xor_b64 s[4:5], exec, s[24:25]
; %bb.1818:                             ;   in Loop: Header=BB386_1010 Depth=1
	v_bfe_u32 v11, v10, 16, 1
	v_add3_u32 v10, v10, v11, s30
	v_accvgpr_write_b32 a26, v10
                                        ; implicit-def: $vgpr10
; %bb.1819:                             ;   in Loop: Header=BB386_1010 Depth=1
	s_andn2_saveexec_b64 s[24:25], s[4:5]
; %bb.1820:                             ;   in Loop: Header=BB386_1010 Depth=1
	v_or_b32_e32 v11, 0x10000, v10
	v_cmp_eq_u32_sdwa s[4:5], v10, v37 src0_sel:WORD_0 src1_sel:DWORD
	v_cndmask_b32_e64 v10, v11, v10, s[4:5]
	v_accvgpr_write_b32 a26, v10
; %bb.1821:                             ;   in Loop: Header=BB386_1010 Depth=1
	s_or_b64 exec, exec, s[24:25]
	v_lshlrev_b32_e32 v10, 16, v13
	v_mul_f32_e32 v10, v49, v10
	v_and_b32_e32 v11, 0x7f800000, v10
	v_cmp_ne_u32_e64 s[4:5], s15, v11
                                        ; implicit-def: $agpr27
	s_and_saveexec_b64 s[24:25], s[4:5]
	s_xor_b64 s[4:5], exec, s[24:25]
; %bb.1822:                             ;   in Loop: Header=BB386_1010 Depth=1
	v_bfe_u32 v11, v10, 16, 1
	v_add3_u32 v10, v10, v11, s30
	v_accvgpr_write_b32 a27, v10
                                        ; implicit-def: $vgpr10
; %bb.1823:                             ;   in Loop: Header=BB386_1010 Depth=1
	s_andn2_saveexec_b64 s[24:25], s[4:5]
; %bb.1824:                             ;   in Loop: Header=BB386_1010 Depth=1
	v_or_b32_e32 v11, 0x10000, v10
	v_cmp_eq_u32_sdwa s[4:5], v10, v37 src0_sel:WORD_0 src1_sel:DWORD
	v_cndmask_b32_e64 v10, v11, v10, s[4:5]
	v_accvgpr_write_b32 a27, v10
; %bb.1825:                             ;   in Loop: Header=BB386_1010 Depth=1
	s_or_b64 exec, exec, s[24:25]
	v_lshlrev_b32_e32 v10, 16, v16
	v_mul_f32_e32 v10, v51, v10
	v_and_b32_e32 v11, 0x7f800000, v10
	v_cmp_ne_u32_e64 s[4:5], s15, v11
                                        ; implicit-def: $agpr35
	s_and_saveexec_b64 s[24:25], s[4:5]
	s_xor_b64 s[4:5], exec, s[24:25]
; %bb.1826:                             ;   in Loop: Header=BB386_1010 Depth=1
	v_bfe_u32 v11, v10, 16, 1
	v_add3_u32 v10, v10, v11, s30
	v_accvgpr_write_b32 a35, v10
                                        ; implicit-def: $vgpr10
; %bb.1827:                             ;   in Loop: Header=BB386_1010 Depth=1
	s_andn2_saveexec_b64 s[24:25], s[4:5]
; %bb.1828:                             ;   in Loop: Header=BB386_1010 Depth=1
	v_or_b32_e32 v11, 0x10000, v10
	v_cmp_eq_u32_sdwa s[4:5], v10, v37 src0_sel:WORD_0 src1_sel:DWORD
	v_cndmask_b32_e64 v10, v11, v10, s[4:5]
	v_accvgpr_write_b32 a35, v10
; %bb.1829:                             ;   in Loop: Header=BB386_1010 Depth=1
	s_or_b64 exec, exec, s[24:25]
	v_lshlrev_b32_e32 v8, 16, v8
	v_mul_f32_e32 v8, v54, v8
	v_and_b32_e32 v10, 0x7f800000, v8
	v_cmp_ne_u32_e64 s[4:5], s15, v10
                                        ; implicit-def: $agpr37
	s_and_saveexec_b64 s[24:25], s[4:5]
	s_xor_b64 s[4:5], exec, s[24:25]
; %bb.1830:                             ;   in Loop: Header=BB386_1010 Depth=1
	v_bfe_u32 v10, v8, 16, 1
	v_add3_u32 v8, v8, v10, s30
	v_accvgpr_write_b32 a37, v8
                                        ; implicit-def: $vgpr8
; %bb.1831:                             ;   in Loop: Header=BB386_1010 Depth=1
	s_andn2_saveexec_b64 s[24:25], s[4:5]
; %bb.1832:                             ;   in Loop: Header=BB386_1010 Depth=1
	v_or_b32_e32 v10, 0x10000, v8
	v_cmp_eq_u32_sdwa s[4:5], v8, v37 src0_sel:WORD_0 src1_sel:DWORD
	v_cndmask_b32_e64 v8, v10, v8, s[4:5]
	v_accvgpr_write_b32 a37, v8
; %bb.1833:                             ;   in Loop: Header=BB386_1010 Depth=1
	s_or_b64 exec, exec, s[24:25]
	v_lshlrev_b32_e32 v7, 16, v7
	v_mul_f32_e32 v7, v27, v7
	v_and_b32_e32 v8, 0x7f800000, v7
	v_cmp_ne_u32_e64 s[4:5], s15, v8
                                        ; implicit-def: $agpr39
	s_and_saveexec_b64 s[24:25], s[4:5]
	s_xor_b64 s[4:5], exec, s[24:25]
; %bb.1834:                             ;   in Loop: Header=BB386_1010 Depth=1
	v_bfe_u32 v8, v7, 16, 1
	v_add3_u32 v7, v7, v8, s30
	v_accvgpr_write_b32 a39, v7
                                        ; implicit-def: $vgpr7
; %bb.1835:                             ;   in Loop: Header=BB386_1010 Depth=1
	s_andn2_saveexec_b64 s[24:25], s[4:5]
; %bb.1836:                             ;   in Loop: Header=BB386_1010 Depth=1
	v_or_b32_e32 v8, 0x10000, v7
	v_cmp_eq_u32_sdwa s[4:5], v7, v37 src0_sel:WORD_0 src1_sel:DWORD
	v_cndmask_b32_e64 v7, v8, v7, s[4:5]
	v_accvgpr_write_b32 a39, v7
; %bb.1837:                             ;   in Loop: Header=BB386_1010 Depth=1
	s_or_b64 exec, exec, s[24:25]
	v_lshlrev_b32_e32 v6, 16, v6
	v_mul_f32_e32 v6, v26, v6
	v_and_b32_e32 v7, 0x7f800000, v6
	v_cmp_ne_u32_e64 s[4:5], s15, v7
                                        ; implicit-def: $agpr41
	s_and_saveexec_b64 s[24:25], s[4:5]
	s_xor_b64 s[4:5], exec, s[24:25]
; %bb.1838:                             ;   in Loop: Header=BB386_1010 Depth=1
	v_bfe_u32 v7, v6, 16, 1
	v_add3_u32 v6, v6, v7, s30
	v_accvgpr_write_b32 a41, v6
                                        ; implicit-def: $vgpr6
; %bb.1839:                             ;   in Loop: Header=BB386_1010 Depth=1
	s_andn2_saveexec_b64 s[24:25], s[4:5]
; %bb.1840:                             ;   in Loop: Header=BB386_1010 Depth=1
	v_or_b32_e32 v7, 0x10000, v6
	v_cmp_eq_u32_sdwa s[4:5], v6, v37 src0_sel:WORD_0 src1_sel:DWORD
	v_cndmask_b32_e64 v6, v7, v6, s[4:5]
	v_accvgpr_write_b32 a41, v6
; %bb.1841:                             ;   in Loop: Header=BB386_1010 Depth=1
	s_or_b64 exec, exec, s[24:25]
	flat_load_dwordx2 v[2:3], v[2:3] offset:3584
	v_mov_b32_e32 v6, 0
	s_waitcnt vmcnt(0) lgkmcnt(0)
	v_cmp_ne_u16_sdwa s[4:5], v2, v37 src0_sel:BYTE_0 src1_sel:DWORD
	s_and_saveexec_b64 s[24:25], s[4:5]
	s_cbranch_execz .LBB386_1847
; %bb.1842:                             ;   in Loop: Header=BB386_1010 Depth=1
	v_cmp_ne_u16_sdwa s[4:5], v2, s31 src0_sel:BYTE_0 src1_sel:DWORD
	v_bfrev_b32_e32 v6, 1
	s_and_saveexec_b64 s[26:27], s[4:5]
	s_cbranch_execz .LBB386_1846
; %bb.1843:                             ;   in Loop: Header=BB386_1010 Depth=1
	v_and_b32_e32 v7, 0x7f, v2
	v_cmp_ne_u32_e64 s[4:5], s34, v7
	v_mov_b32_e32 v6, 0x7f800001
	s_and_saveexec_b64 s[28:29], s[4:5]
	s_cbranch_execz .LBB386_1845
; %bb.1844:                             ;   in Loop: Header=BB386_1010 Depth=1
	v_and_b32_e32 v6, 7, v2
	v_ffbh_u32_e32 v6, v6
	v_min_u32_e32 v6, 32, v6
	v_lshrrev_b32_e32 v8, 3, v7
	v_cmp_gt_u32_e64 s[4:5], 8, v7
	v_subrev_u32_e32 v7, 28, v6
	v_sub_u32_e32 v6, 29, v6
	v_cndmask_b32_e64 v8, v8, v6, s[4:5]
	v_cndmask_b32_e64 v6, 0, v7, s[4:5]
	v_lshlrev_b64 v[6:7], v6, v[2:3]
	v_lshlrev_b32_e32 v6, 20, v6
	v_lshlrev_b32_e32 v7, 24, v2
	v_and_b32_e32 v6, 0x700000, v6
	v_and_b32_e32 v7, 0x80000000, v7
	v_lshl_add_u32 v8, v8, 23, v5
	v_or3_b32 v6, v7, v8, v6
.LBB386_1845:                           ;   in Loop: Header=BB386_1010 Depth=1
	s_or_b64 exec, exec, s[28:29]
.LBB386_1846:                           ;   in Loop: Header=BB386_1010 Depth=1
	s_or_b64 exec, exec, s[26:27]
.LBB386_1847:                           ;   in Loop: Header=BB386_1010 Depth=1
	s_or_b64 exec, exec, s[24:25]
	v_mul_f32_e32 v6, v9, v6
	v_and_b32_e32 v7, 0x7f800000, v6
	v_cmp_ne_u32_e64 s[4:5], s15, v7
                                        ; implicit-def: $vgpr7
	s_and_saveexec_b64 s[24:25], s[4:5]
	s_xor_b64 s[4:5], exec, s[24:25]
; %bb.1848:                             ;   in Loop: Header=BB386_1010 Depth=1
	v_bfe_u32 v7, v6, 16, 1
	v_add3_u32 v7, v6, v7, s30
                                        ; implicit-def: $vgpr6
; %bb.1849:                             ;   in Loop: Header=BB386_1010 Depth=1
	s_andn2_saveexec_b64 s[24:25], s[4:5]
; %bb.1850:                             ;   in Loop: Header=BB386_1010 Depth=1
	v_or_b32_e32 v7, 0x10000, v6
	v_cmp_eq_u32_sdwa s[4:5], v6, v37 src0_sel:WORD_0 src1_sel:DWORD
	v_cndmask_b32_e64 v7, v7, v6, s[4:5]
; %bb.1851:                             ;   in Loop: Header=BB386_1010 Depth=1
	s_or_b64 exec, exec, s[24:25]
	v_lshrrev_b16_e32 v6, 8, v2
	v_cmp_ne_u16_e64 s[4:5], 0, v6
	v_mov_b32_e32 v8, 0
	s_and_saveexec_b64 s[24:25], s[4:5]
	s_cbranch_execz .LBB386_1857
; %bb.1852:                             ;   in Loop: Header=BB386_1010 Depth=1
	v_cmp_ne_u16_e64 s[4:5], s31, v6
	v_bfrev_b32_e32 v8, 1
	s_and_saveexec_b64 s[26:27], s[4:5]
	s_cbranch_execz .LBB386_1856
; %bb.1853:                             ;   in Loop: Header=BB386_1010 Depth=1
	v_and_b32_e32 v10, 0x7f, v6
	v_cmp_ne_u32_e64 s[4:5], s34, v10
	v_mov_b32_e32 v8, 0x7f800001
	s_and_saveexec_b64 s[28:29], s[4:5]
	s_cbranch_execz .LBB386_1855
; %bb.1854:                             ;   in Loop: Header=BB386_1010 Depth=1
	v_and_b32_e32 v8, 7, v6
	v_lshrrev_b32_e32 v12, 3, v10
	v_cmp_gt_u32_e64 s[4:5], 8, v10
	v_ffbh_u32_e32 v10, v8
	v_min_u32_e32 v13, 32, v10
	v_subrev_u32_e32 v10, 28, v13
	v_lshlrev_b64 v[10:11], v10, v[6:7]
	v_sub_u32_e32 v6, 29, v13
	v_and_b32_e32 v10, 7, v10
	v_cndmask_b32_e64 v6, v12, v6, s[4:5]
	v_cndmask_b32_e64 v8, v8, v10, s[4:5]
	v_lshlrev_b32_e32 v10, 16, v2
	v_lshlrev_b32_e32 v8, 20, v8
	v_and_b32_e32 v10, 0x80000000, v10
	v_lshl_add_u32 v6, v6, 23, v5
	v_or3_b32 v8, v10, v6, v8
.LBB386_1855:                           ;   in Loop: Header=BB386_1010 Depth=1
	s_or_b64 exec, exec, s[28:29]
.LBB386_1856:                           ;   in Loop: Header=BB386_1010 Depth=1
	s_or_b64 exec, exec, s[26:27]
.LBB386_1857:                           ;   in Loop: Header=BB386_1010 Depth=1
	s_or_b64 exec, exec, s[24:25]
	v_mul_f32_e32 v6, v9, v8
	v_and_b32_e32 v8, 0x7f800000, v6
	v_cmp_ne_u32_e64 s[4:5], s15, v8
                                        ; implicit-def: $vgpr8
	s_and_saveexec_b64 s[24:25], s[4:5]
	s_xor_b64 s[4:5], exec, s[24:25]
; %bb.1858:                             ;   in Loop: Header=BB386_1010 Depth=1
	v_bfe_u32 v8, v6, 16, 1
	v_add3_u32 v8, v6, v8, s30
                                        ; implicit-def: $vgpr6
; %bb.1859:                             ;   in Loop: Header=BB386_1010 Depth=1
	s_andn2_saveexec_b64 s[24:25], s[4:5]
; %bb.1860:                             ;   in Loop: Header=BB386_1010 Depth=1
	v_or_b32_e32 v8, 0x10000, v6
	v_cmp_eq_u32_sdwa s[4:5], v6, v37 src0_sel:WORD_0 src1_sel:DWORD
	v_cndmask_b32_e64 v8, v8, v6, s[4:5]
; %bb.1861:                             ;   in Loop: Header=BB386_1010 Depth=1
	s_or_b64 exec, exec, s[24:25]
	v_lshrrev_b32_e32 v6, 16, v2
	v_cmp_ne_u16_sdwa s[4:5], v6, v37 src0_sel:BYTE_0 src1_sel:DWORD
	v_mov_b32_e32 v10, 0
	s_and_saveexec_b64 s[24:25], s[4:5]
	s_cbranch_execz .LBB386_1867
; %bb.1862:                             ;   in Loop: Header=BB386_1010 Depth=1
	v_cmp_ne_u16_sdwa s[4:5], v6, s31 src0_sel:BYTE_0 src1_sel:DWORD
	v_bfrev_b32_e32 v10, 1
	s_and_saveexec_b64 s[26:27], s[4:5]
	s_cbranch_execz .LBB386_1866
; %bb.1863:                             ;   in Loop: Header=BB386_1010 Depth=1
	v_bfe_u32 v11, v2, 16, 7
	v_cmp_ne_u32_e64 s[4:5], s34, v11
	v_mov_b32_e32 v10, 0x7f800001
	s_and_saveexec_b64 s[28:29], s[4:5]
	s_cbranch_execz .LBB386_1865
; %bb.1864:                             ;   in Loop: Header=BB386_1010 Depth=1
	v_and_b32_e32 v12, 7, v6
	v_ffbh_u32_e32 v10, v12
	v_min_u32_e32 v16, 32, v10
	v_subrev_u32_e32 v10, 28, v16
	v_lshrrev_b32_e32 v13, 3, v11
	v_cmp_gt_u32_e64 s[4:5], 8, v11
	v_lshlrev_b64 v[10:11], v10, v[6:7]
	v_sub_u32_e32 v11, 29, v16
	v_and_b32_e32 v10, 7, v10
	v_cndmask_b32_e64 v11, v13, v11, s[4:5]
	v_cndmask_b32_e64 v10, v12, v10, s[4:5]
	v_lshlrev_b32_e32 v6, 24, v6
	v_lshlrev_b32_e32 v10, 20, v10
	v_and_b32_e32 v6, 0x80000000, v6
	v_lshl_add_u32 v11, v11, 23, v5
	v_or3_b32 v10, v6, v11, v10
.LBB386_1865:                           ;   in Loop: Header=BB386_1010 Depth=1
	s_or_b64 exec, exec, s[28:29]
.LBB386_1866:                           ;   in Loop: Header=BB386_1010 Depth=1
	s_or_b64 exec, exec, s[26:27]
.LBB386_1867:                           ;   in Loop: Header=BB386_1010 Depth=1
	s_or_b64 exec, exec, s[24:25]
	v_mul_f32_e32 v6, v9, v10
	v_and_b32_e32 v10, 0x7f800000, v6
	v_cmp_ne_u32_e64 s[4:5], s15, v10
                                        ; implicit-def: $vgpr10
	s_and_saveexec_b64 s[24:25], s[4:5]
	s_xor_b64 s[4:5], exec, s[24:25]
; %bb.1868:                             ;   in Loop: Header=BB386_1010 Depth=1
	v_bfe_u32 v10, v6, 16, 1
	v_add3_u32 v10, v6, v10, s30
                                        ; implicit-def: $vgpr6
; %bb.1869:                             ;   in Loop: Header=BB386_1010 Depth=1
	s_andn2_saveexec_b64 s[24:25], s[4:5]
; %bb.1870:                             ;   in Loop: Header=BB386_1010 Depth=1
	v_or_b32_e32 v10, 0x10000, v6
	v_cmp_eq_u32_sdwa s[4:5], v6, v37 src0_sel:WORD_0 src1_sel:DWORD
	v_cndmask_b32_e64 v10, v10, v6, s[4:5]
; %bb.1871:                             ;   in Loop: Header=BB386_1010 Depth=1
	s_or_b64 exec, exec, s[24:25]
	v_cmp_lt_u32_e64 s[4:5], s11, v2
	v_mov_b32_e32 v11, 0
	s_and_saveexec_b64 s[24:25], s[4:5]
	s_cbranch_execz .LBB386_1877
; %bb.1872:                             ;   in Loop: Header=BB386_1010 Depth=1
	v_lshrrev_b32_e32 v6, 24, v2
	v_cmp_ne_u32_e64 s[4:5], s31, v6
	v_bfrev_b32_e32 v11, 1
	s_and_saveexec_b64 s[26:27], s[4:5]
	s_cbranch_execz .LBB386_1876
; %bb.1873:                             ;   in Loop: Header=BB386_1010 Depth=1
	v_bfe_u32 v12, v2, 24, 7
	v_cmp_ne_u32_e64 s[4:5], s34, v12
	v_mov_b32_e32 v11, 0x7f800001
	s_and_saveexec_b64 s[28:29], s[4:5]
	s_cbranch_execz .LBB386_1875
; %bb.1874:                             ;   in Loop: Header=BB386_1010 Depth=1
	v_and_b32_e32 v11, 7, v6
	v_lshrrev_b32_e32 v16, 3, v12
	v_cmp_gt_u32_e64 s[4:5], 8, v12
	v_ffbh_u32_e32 v12, v11
	v_min_u32_e32 v17, 32, v12
	v_subrev_u32_e32 v12, 28, v17
	v_lshlrev_b64 v[12:13], v12, v[6:7]
	v_sub_u32_e32 v13, 29, v17
	v_and_b32_e32 v12, 7, v12
	v_cndmask_b32_e64 v13, v16, v13, s[4:5]
	v_cndmask_b32_e64 v11, v11, v12, s[4:5]
	v_lshlrev_b32_e32 v6, 24, v6
	v_lshlrev_b32_e32 v11, 20, v11
	v_and_b32_e32 v6, 0x80000000, v6
	v_lshl_add_u32 v12, v13, 23, v5
	v_or3_b32 v11, v6, v12, v11
.LBB386_1875:                           ;   in Loop: Header=BB386_1010 Depth=1
	s_or_b64 exec, exec, s[28:29]
.LBB386_1876:                           ;   in Loop: Header=BB386_1010 Depth=1
	s_or_b64 exec, exec, s[26:27]
.LBB386_1877:                           ;   in Loop: Header=BB386_1010 Depth=1
	s_or_b64 exec, exec, s[24:25]
	v_mul_f32_e32 v6, v9, v11
	v_and_b32_e32 v11, 0x7f800000, v6
	v_cmp_ne_u32_e64 s[4:5], s15, v11
                                        ; implicit-def: $vgpr11
	s_and_saveexec_b64 s[24:25], s[4:5]
	s_xor_b64 s[4:5], exec, s[24:25]
; %bb.1878:                             ;   in Loop: Header=BB386_1010 Depth=1
	v_bfe_u32 v11, v6, 16, 1
	v_add3_u32 v11, v6, v11, s30
                                        ; implicit-def: $vgpr6
; %bb.1879:                             ;   in Loop: Header=BB386_1010 Depth=1
	s_andn2_saveexec_b64 s[24:25], s[4:5]
; %bb.1880:                             ;   in Loop: Header=BB386_1010 Depth=1
	v_or_b32_e32 v11, 0x10000, v6
	v_cmp_eq_u32_sdwa s[4:5], v6, v37 src0_sel:WORD_0 src1_sel:DWORD
	v_cndmask_b32_e64 v11, v11, v6, s[4:5]
; %bb.1881:                             ;   in Loop: Header=BB386_1010 Depth=1
	s_or_b64 exec, exec, s[24:25]
	v_mov_b32_e32 v36, v3
	v_cmp_ne_u16_sdwa s[4:5], v3, v37 src0_sel:BYTE_0 src1_sel:DWORD
	v_mov_b32_e32 v6, 0
	s_and_saveexec_b64 s[24:25], s[4:5]
	s_cbranch_execz .LBB386_1887
; %bb.1882:                             ;   in Loop: Header=BB386_1010 Depth=1
	v_cmp_ne_u16_sdwa s[4:5], v3, s31 src0_sel:BYTE_0 src1_sel:DWORD
	v_bfrev_b32_e32 v6, 1
	s_and_saveexec_b64 s[26:27], s[4:5]
	s_cbranch_execz .LBB386_1886
; %bb.1883:                             ;   in Loop: Header=BB386_1010 Depth=1
	v_and_b32_e32 v12, 0x7f, v3
	v_cmp_ne_u32_e64 s[4:5], s34, v12
	v_mov_b32_e32 v6, 0x7f800001
	s_and_saveexec_b64 s[28:29], s[4:5]
	s_cbranch_execz .LBB386_1885
; %bb.1884:                             ;   in Loop: Header=BB386_1010 Depth=1
	v_and_b32_e32 v6, 7, v3
	v_ffbh_u32_e32 v6, v6
	v_min_u32_e32 v6, 32, v6
	v_lshrrev_b32_e32 v13, 3, v12
	v_cmp_gt_u32_e64 s[4:5], 8, v12
	v_subrev_u32_e32 v12, 28, v6
	v_sub_u32_e32 v6, 29, v6
	v_cndmask_b32_e64 v12, 0, v12, s[4:5]
	v_cndmask_b32_e64 v6, v13, v6, s[4:5]
	v_lshlrev_b64 v[12:13], v12, v[36:37]
	v_lshlrev_b32_e32 v12, 20, v12
	v_lshlrev_b32_e32 v13, 24, v36
	v_and_b32_e32 v12, 0x700000, v12
	v_and_b32_e32 v13, 0x80000000, v13
	v_lshl_add_u32 v6, v6, 23, v5
	v_or3_b32 v6, v13, v6, v12
.LBB386_1885:                           ;   in Loop: Header=BB386_1010 Depth=1
	s_or_b64 exec, exec, s[28:29]
.LBB386_1886:                           ;   in Loop: Header=BB386_1010 Depth=1
	s_or_b64 exec, exec, s[26:27]
.LBB386_1887:                           ;   in Loop: Header=BB386_1010 Depth=1
	s_or_b64 exec, exec, s[24:25]
	v_mul_f32_e32 v6, v9, v6
	v_and_b32_e32 v12, 0x7f800000, v6
	v_cmp_ne_u32_e64 s[4:5], s15, v12
                                        ; implicit-def: $vgpr12
	s_and_saveexec_b64 s[24:25], s[4:5]
	s_xor_b64 s[4:5], exec, s[24:25]
; %bb.1888:                             ;   in Loop: Header=BB386_1010 Depth=1
	v_bfe_u32 v12, v6, 16, 1
	v_add3_u32 v12, v6, v12, s30
                                        ; implicit-def: $vgpr6
; %bb.1889:                             ;   in Loop: Header=BB386_1010 Depth=1
	s_andn2_saveexec_b64 s[24:25], s[4:5]
; %bb.1890:                             ;   in Loop: Header=BB386_1010 Depth=1
	v_or_b32_e32 v12, 0x10000, v6
	v_cmp_eq_u32_sdwa s[4:5], v6, v37 src0_sel:WORD_0 src1_sel:DWORD
	v_cndmask_b32_e64 v12, v12, v6, s[4:5]
; %bb.1891:                             ;   in Loop: Header=BB386_1010 Depth=1
	s_or_b64 exec, exec, s[24:25]
	v_lshrrev_b16_e32 v6, 8, v36
	v_cmp_ne_u16_e64 s[4:5], 0, v6
	v_mov_b32_e32 v13, 0
	s_and_saveexec_b64 s[24:25], s[4:5]
	s_cbranch_execz .LBB386_1897
; %bb.1892:                             ;   in Loop: Header=BB386_1010 Depth=1
	v_cmp_ne_u16_e64 s[4:5], s31, v6
	v_bfrev_b32_e32 v13, 1
	s_and_saveexec_b64 s[26:27], s[4:5]
	s_cbranch_execz .LBB386_1896
; %bb.1893:                             ;   in Loop: Header=BB386_1010 Depth=1
	v_and_b32_e32 v16, 0x7f, v6
	v_cmp_ne_u32_e64 s[4:5], s34, v16
	v_mov_b32_e32 v13, 0x7f800001
	s_and_saveexec_b64 s[28:29], s[4:5]
	s_cbranch_execz .LBB386_1895
; %bb.1894:                             ;   in Loop: Header=BB386_1010 Depth=1
	v_and_b32_e32 v13, 7, v6
	v_lshrrev_b32_e32 v18, 3, v16
	v_cmp_gt_u32_e64 s[4:5], 8, v16
	v_ffbh_u32_e32 v16, v13
	v_min_u32_e32 v19, 32, v16
	v_subrev_u32_e32 v16, 28, v19
	v_lshlrev_b64 v[16:17], v16, v[6:7]
	v_sub_u32_e32 v6, 29, v19
	v_and_b32_e32 v16, 7, v16
	v_cndmask_b32_e64 v6, v18, v6, s[4:5]
	v_cndmask_b32_e64 v13, v13, v16, s[4:5]
	v_lshlrev_b32_e32 v16, 16, v36
	v_lshlrev_b32_e32 v13, 20, v13
	v_and_b32_e32 v16, 0x80000000, v16
	v_lshl_add_u32 v6, v6, 23, v5
	v_or3_b32 v13, v16, v6, v13
.LBB386_1895:                           ;   in Loop: Header=BB386_1010 Depth=1
	s_or_b64 exec, exec, s[28:29]
.LBB386_1896:                           ;   in Loop: Header=BB386_1010 Depth=1
	s_or_b64 exec, exec, s[26:27]
.LBB386_1897:                           ;   in Loop: Header=BB386_1010 Depth=1
	s_or_b64 exec, exec, s[24:25]
	v_mul_f32_e32 v6, v9, v13
	v_and_b32_e32 v13, 0x7f800000, v6
	v_cmp_ne_u32_e64 s[4:5], s15, v13
                                        ; implicit-def: $vgpr13
	s_and_saveexec_b64 s[24:25], s[4:5]
	s_xor_b64 s[4:5], exec, s[24:25]
; %bb.1898:                             ;   in Loop: Header=BB386_1010 Depth=1
	v_bfe_u32 v13, v6, 16, 1
	v_add3_u32 v13, v6, v13, s30
                                        ; implicit-def: $vgpr6
; %bb.1899:                             ;   in Loop: Header=BB386_1010 Depth=1
	s_andn2_saveexec_b64 s[24:25], s[4:5]
; %bb.1900:                             ;   in Loop: Header=BB386_1010 Depth=1
	v_or_b32_e32 v13, 0x10000, v6
	v_cmp_eq_u32_sdwa s[4:5], v6, v37 src0_sel:WORD_0 src1_sel:DWORD
	v_cndmask_b32_e64 v13, v13, v6, s[4:5]
; %bb.1901:                             ;   in Loop: Header=BB386_1010 Depth=1
	s_or_b64 exec, exec, s[24:25]
	v_lshrrev_b32_e32 v6, 16, v3
	v_cmp_ne_u16_sdwa s[4:5], v6, v37 src0_sel:BYTE_0 src1_sel:DWORD
	v_mov_b32_e32 v16, 0
	s_and_saveexec_b64 s[24:25], s[4:5]
	s_cbranch_execz .LBB386_1907
; %bb.1902:                             ;   in Loop: Header=BB386_1010 Depth=1
	v_cmp_ne_u16_sdwa s[4:5], v6, s31 src0_sel:BYTE_0 src1_sel:DWORD
	v_bfrev_b32_e32 v16, 1
	s_and_saveexec_b64 s[26:27], s[4:5]
	s_cbranch_execz .LBB386_1906
; %bb.1903:                             ;   in Loop: Header=BB386_1010 Depth=1
	v_bfe_u32 v17, v3, 16, 7
	v_cmp_ne_u32_e64 s[4:5], s34, v17
	v_mov_b32_e32 v16, 0x7f800001
	s_and_saveexec_b64 s[28:29], s[4:5]
	s_cbranch_execz .LBB386_1905
; %bb.1904:                             ;   in Loop: Header=BB386_1010 Depth=1
	v_and_b32_e32 v18, 7, v6
	v_ffbh_u32_e32 v16, v18
	v_min_u32_e32 v20, 32, v16
	v_subrev_u32_e32 v16, 28, v20
	v_lshrrev_b32_e32 v19, 3, v17
	v_cmp_gt_u32_e64 s[4:5], 8, v17
	v_lshlrev_b64 v[16:17], v16, v[6:7]
	v_sub_u32_e32 v17, 29, v20
	v_and_b32_e32 v16, 7, v16
	v_cndmask_b32_e64 v17, v19, v17, s[4:5]
	v_cndmask_b32_e64 v16, v18, v16, s[4:5]
	v_lshlrev_b32_e32 v6, 24, v6
	v_lshlrev_b32_e32 v16, 20, v16
	v_and_b32_e32 v6, 0x80000000, v6
	v_lshl_add_u32 v17, v17, 23, v5
	v_or3_b32 v16, v6, v17, v16
.LBB386_1905:                           ;   in Loop: Header=BB386_1010 Depth=1
	s_or_b64 exec, exec, s[28:29]
.LBB386_1906:                           ;   in Loop: Header=BB386_1010 Depth=1
	s_or_b64 exec, exec, s[26:27]
.LBB386_1907:                           ;   in Loop: Header=BB386_1010 Depth=1
	s_or_b64 exec, exec, s[24:25]
	v_mul_f32_e32 v6, v9, v16
	v_and_b32_e32 v16, 0x7f800000, v6
	v_cmp_ne_u32_e64 s[4:5], s15, v16
                                        ; implicit-def: $vgpr16
	s_and_saveexec_b64 s[24:25], s[4:5]
	s_xor_b64 s[4:5], exec, s[24:25]
; %bb.1908:                             ;   in Loop: Header=BB386_1010 Depth=1
	v_bfe_u32 v16, v6, 16, 1
	v_add3_u32 v16, v6, v16, s30
                                        ; implicit-def: $vgpr6
; %bb.1909:                             ;   in Loop: Header=BB386_1010 Depth=1
	s_andn2_saveexec_b64 s[24:25], s[4:5]
; %bb.1910:                             ;   in Loop: Header=BB386_1010 Depth=1
	v_or_b32_e32 v16, 0x10000, v6
	v_cmp_eq_u32_sdwa s[4:5], v6, v37 src0_sel:WORD_0 src1_sel:DWORD
	v_cndmask_b32_e64 v16, v16, v6, s[4:5]
; %bb.1911:                             ;   in Loop: Header=BB386_1010 Depth=1
	s_or_b64 exec, exec, s[24:25]
	v_cmp_lt_u64_e64 s[4:5], s[10:11], v[2:3]
	v_mov_b32_e32 v6, 0
	s_and_saveexec_b64 s[24:25], s[4:5]
	s_cbranch_execz .LBB386_1917
; %bb.1912:                             ;   in Loop: Header=BB386_1010 Depth=1
	v_lshrrev_b32_e32 v2, 24, v3
	v_cmp_ne_u32_e64 s[4:5], s31, v2
	v_bfrev_b32_e32 v6, 1
	s_and_saveexec_b64 s[26:27], s[4:5]
	s_cbranch_execz .LBB386_1916
; %bb.1913:                             ;   in Loop: Header=BB386_1010 Depth=1
	v_bfe_u32 v3, v3, 24, 7
	v_cmp_ne_u32_e64 s[4:5], s34, v3
	v_mov_b32_e32 v6, 0x7f800001
	s_and_saveexec_b64 s[28:29], s[4:5]
	s_cbranch_execz .LBB386_1915
; %bb.1914:                             ;   in Loop: Header=BB386_1010 Depth=1
	v_and_b32_e32 v6, 7, v2
	v_lshrrev_b32_e32 v17, 3, v3
	v_cmp_gt_u32_e64 s[4:5], 8, v3
	v_ffbh_u32_e32 v3, v6
	v_min_u32_e32 v3, 32, v3
	v_subrev_u32_e32 v18, 28, v3
	v_lshlrev_b64 v[18:19], v18, v[2:3]
	v_sub_u32_e32 v3, 29, v3
	v_and_b32_e32 v18, 7, v18
	v_cndmask_b32_e64 v3, v17, v3, s[4:5]
	v_cndmask_b32_e64 v6, v6, v18, s[4:5]
	v_lshlrev_b32_e32 v2, 24, v2
	v_lshlrev_b32_e32 v6, 20, v6
	v_and_b32_e32 v2, 0x80000000, v2
	v_lshl_add_u32 v3, v3, 23, v5
	v_or3_b32 v6, v2, v3, v6
.LBB386_1915:                           ;   in Loop: Header=BB386_1010 Depth=1
	s_or_b64 exec, exec, s[28:29]
.LBB386_1916:                           ;   in Loop: Header=BB386_1010 Depth=1
	s_or_b64 exec, exec, s[26:27]
.LBB386_1917:                           ;   in Loop: Header=BB386_1010 Depth=1
	s_or_b64 exec, exec, s[24:25]
	v_mul_f32_e32 v3, v9, v6
	v_and_b32_e32 v2, 0x7f800000, v3
	v_cmp_ne_u32_e64 s[4:5], s15, v2
                                        ; implicit-def: $vgpr2
	s_and_saveexec_b64 s[24:25], s[4:5]
	s_xor_b64 s[4:5], exec, s[24:25]
; %bb.1918:                             ;   in Loop: Header=BB386_1010 Depth=1
	v_bfe_u32 v2, v3, 16, 1
	v_add3_u32 v2, v3, v2, s30
                                        ; implicit-def: $vgpr3
; %bb.1919:                             ;   in Loop: Header=BB386_1010 Depth=1
	s_andn2_saveexec_b64 s[24:25], s[4:5]
; %bb.1920:                             ;   in Loop: Header=BB386_1010 Depth=1
	v_or_b32_e32 v2, 0x10000, v3
	v_cmp_eq_u32_sdwa s[4:5], v3, v37 src0_sel:WORD_0 src1_sel:DWORD
	v_cndmask_b32_e64 v2, v2, v3, s[4:5]
; %bb.1921:                             ;   in Loop: Header=BB386_1010 Depth=1
	s_or_b64 exec, exec, s[24:25]
	v_lshrrev_b32_e32 v6, 16, v13
	v_lshrrev_b32_e32 v12, 16, v12
	;; [unrolled: 1-line block ×8, first 2 shown]
	s_and_saveexec_b64 s[24:25], vcc
	s_cbranch_execz .LBB386_1923
; %bb.1922:                             ;   in Loop: Header=BB386_1010 Depth=1
	buffer_load_dword v16, off, s[0:3], s32 offset:196 ; 4-byte Folded Reload
	v_accvgpr_read_b32 v13, a54
	s_waitcnt vmcnt(0)
	v_cmp_lt_i32_e64 s[4:5], v53, v16
	v_cndmask_b32_e64 v7, 0, v7, s[4:5]
	v_cmp_lt_i32_e64 s[4:5], v13, v16
	v_accvgpr_read_b32 v13, a53
	v_cndmask_b32_e64 v8, 0, v8, s[4:5]
	v_cmp_lt_i32_e64 s[4:5], v13, v16
	v_accvgpr_read_b32 v13, a52
	;; [unrolled: 3-line block ×6, first 2 shown]
	v_cndmask_b32_e64 v3, 0, v3, s[4:5]
	v_cmp_lt_i32_e64 s[4:5], v13, v16
	v_cndmask_b32_e64 v2, 0, v2, s[4:5]
.LBB386_1923:                           ;   in Loop: Header=BB386_1010 Depth=1
	s_or_b64 exec, exec, s[24:25]
	v_lshlrev_b32_e32 v7, 16, v7
	v_mul_f32_e32 v7, v39, v7
	v_and_b32_e32 v13, 0x7f800000, v7
	v_cmp_ne_u32_e64 s[4:5], s15, v13
                                        ; implicit-def: $vgpr60
	s_and_saveexec_b64 s[24:25], s[4:5]
	s_xor_b64 s[4:5], exec, s[24:25]
; %bb.1924:                             ;   in Loop: Header=BB386_1010 Depth=1
	v_bfe_u32 v13, v7, 16, 1
	v_add3_u32 v60, v7, v13, s30
                                        ; implicit-def: $vgpr7
; %bb.1925:                             ;   in Loop: Header=BB386_1010 Depth=1
	s_andn2_saveexec_b64 s[24:25], s[4:5]
; %bb.1926:                             ;   in Loop: Header=BB386_1010 Depth=1
	v_or_b32_e32 v13, 0x10000, v7
	v_cmp_eq_u32_sdwa s[4:5], v7, v37 src0_sel:WORD_0 src1_sel:DWORD
	v_cndmask_b32_e64 v60, v13, v7, s[4:5]
; %bb.1927:                             ;   in Loop: Header=BB386_1010 Depth=1
	s_or_b64 exec, exec, s[24:25]
	v_lshlrev_b32_e32 v7, 16, v8
	v_mul_f32_e32 v7, v31, v7
	v_and_b32_e32 v8, 0x7f800000, v7
	v_cmp_ne_u32_e64 s[4:5], s15, v8
                                        ; implicit-def: $vgpr20
	s_and_saveexec_b64 s[24:25], s[4:5]
	s_xor_b64 s[4:5], exec, s[24:25]
; %bb.1928:                             ;   in Loop: Header=BB386_1010 Depth=1
	v_bfe_u32 v8, v7, 16, 1
	v_add3_u32 v20, v7, v8, s30
                                        ; implicit-def: $vgpr7
; %bb.1929:                             ;   in Loop: Header=BB386_1010 Depth=1
	s_andn2_saveexec_b64 s[24:25], s[4:5]
; %bb.1930:                             ;   in Loop: Header=BB386_1010 Depth=1
	v_or_b32_e32 v8, 0x10000, v7
	v_cmp_eq_u32_sdwa s[4:5], v7, v37 src0_sel:WORD_0 src1_sel:DWORD
	v_cndmask_b32_e64 v20, v8, v7, s[4:5]
; %bb.1931:                             ;   in Loop: Header=BB386_1010 Depth=1
	s_or_b64 exec, exec, s[24:25]
	v_lshlrev_b32_e32 v7, 16, v10
	v_mul_f32_e32 v7, v30, v7
	v_and_b32_e32 v8, 0x7f800000, v7
	v_cmp_ne_u32_e64 s[4:5], s15, v8
                                        ; implicit-def: $vgpr40
	s_and_saveexec_b64 s[24:25], s[4:5]
	s_xor_b64 s[4:5], exec, s[24:25]
; %bb.1932:                             ;   in Loop: Header=BB386_1010 Depth=1
	v_bfe_u32 v8, v7, 16, 1
	v_add3_u32 v40, v7, v8, s30
                                        ; implicit-def: $vgpr7
; %bb.1933:                             ;   in Loop: Header=BB386_1010 Depth=1
	s_andn2_saveexec_b64 s[24:25], s[4:5]
; %bb.1934:                             ;   in Loop: Header=BB386_1010 Depth=1
	v_or_b32_e32 v8, 0x10000, v7
	v_cmp_eq_u32_sdwa s[4:5], v7, v37 src0_sel:WORD_0 src1_sel:DWORD
	v_cndmask_b32_e64 v40, v8, v7, s[4:5]
; %bb.1935:                             ;   in Loop: Header=BB386_1010 Depth=1
	s_or_b64 exec, exec, s[24:25]
	v_lshlrev_b32_e32 v7, 16, v11
	v_mul_f32_e32 v7, v49, v7
	v_and_b32_e32 v8, 0x7f800000, v7
	v_cmp_ne_u32_e64 s[4:5], s15, v8
                                        ; implicit-def: $vgpr10
	s_and_saveexec_b64 s[24:25], s[4:5]
	s_xor_b64 s[4:5], exec, s[24:25]
; %bb.1936:                             ;   in Loop: Header=BB386_1010 Depth=1
	v_bfe_u32 v8, v7, 16, 1
	v_add3_u32 v10, v7, v8, s30
                                        ; implicit-def: $vgpr7
; %bb.1937:                             ;   in Loop: Header=BB386_1010 Depth=1
	s_andn2_saveexec_b64 s[24:25], s[4:5]
; %bb.1938:                             ;   in Loop: Header=BB386_1010 Depth=1
	v_or_b32_e32 v8, 0x10000, v7
	v_cmp_eq_u32_sdwa s[4:5], v7, v37 src0_sel:WORD_0 src1_sel:DWORD
	v_cndmask_b32_e64 v10, v8, v7, s[4:5]
; %bb.1939:                             ;   in Loop: Header=BB386_1010 Depth=1
	s_or_b64 exec, exec, s[24:25]
	v_lshlrev_b32_e32 v7, 16, v12
	v_mul_f32_e32 v7, v51, v7
	v_and_b32_e32 v8, 0x7f800000, v7
	v_cmp_ne_u32_e64 s[4:5], s15, v8
                                        ; implicit-def: $vgpr11
	s_and_saveexec_b64 s[24:25], s[4:5]
	s_xor_b64 s[4:5], exec, s[24:25]
; %bb.1940:                             ;   in Loop: Header=BB386_1010 Depth=1
	v_bfe_u32 v8, v7, 16, 1
	v_add3_u32 v11, v7, v8, s30
                                        ; implicit-def: $vgpr7
; %bb.1941:                             ;   in Loop: Header=BB386_1010 Depth=1
	s_andn2_saveexec_b64 s[24:25], s[4:5]
; %bb.1942:                             ;   in Loop: Header=BB386_1010 Depth=1
	v_or_b32_e32 v8, 0x10000, v7
	v_cmp_eq_u32_sdwa s[4:5], v7, v37 src0_sel:WORD_0 src1_sel:DWORD
	v_cndmask_b32_e64 v11, v8, v7, s[4:5]
; %bb.1943:                             ;   in Loop: Header=BB386_1010 Depth=1
	s_or_b64 exec, exec, s[24:25]
	v_lshlrev_b32_e32 v6, 16, v6
	v_mul_f32_e32 v6, v54, v6
	v_and_b32_e32 v7, 0x7f800000, v6
	v_cmp_ne_u32_e64 s[4:5], s15, v7
                                        ; implicit-def: $vgpr61
	s_and_saveexec_b64 s[24:25], s[4:5]
	s_xor_b64 s[4:5], exec, s[24:25]
; %bb.1944:                             ;   in Loop: Header=BB386_1010 Depth=1
	v_bfe_u32 v7, v6, 16, 1
	v_add3_u32 v61, v6, v7, s30
                                        ; implicit-def: $vgpr6
; %bb.1945:                             ;   in Loop: Header=BB386_1010 Depth=1
	s_andn2_saveexec_b64 s[24:25], s[4:5]
; %bb.1946:                             ;   in Loop: Header=BB386_1010 Depth=1
	v_or_b32_e32 v7, 0x10000, v6
	v_cmp_eq_u32_sdwa s[4:5], v6, v37 src0_sel:WORD_0 src1_sel:DWORD
	v_cndmask_b32_e64 v61, v7, v6, s[4:5]
; %bb.1947:                             ;   in Loop: Header=BB386_1010 Depth=1
	s_or_b64 exec, exec, s[24:25]
	v_lshlrev_b32_e32 v3, 16, v3
	v_mul_f32_e32 v3, v27, v3
	v_and_b32_e32 v6, 0x7f800000, v3
	v_cmp_ne_u32_e64 s[4:5], s15, v6
                                        ; implicit-def: $vgpr41
	s_and_saveexec_b64 s[24:25], s[4:5]
	s_xor_b64 s[4:5], exec, s[24:25]
; %bb.1948:                             ;   in Loop: Header=BB386_1010 Depth=1
	v_bfe_u32 v6, v3, 16, 1
	v_add3_u32 v41, v3, v6, s30
                                        ; implicit-def: $vgpr3
; %bb.1949:                             ;   in Loop: Header=BB386_1010 Depth=1
	s_andn2_saveexec_b64 s[24:25], s[4:5]
; %bb.1950:                             ;   in Loop: Header=BB386_1010 Depth=1
	v_or_b32_e32 v6, 0x10000, v3
	v_cmp_eq_u32_sdwa s[4:5], v3, v37 src0_sel:WORD_0 src1_sel:DWORD
	v_cndmask_b32_e64 v41, v6, v3, s[4:5]
; %bb.1951:                             ;   in Loop: Header=BB386_1010 Depth=1
	s_or_b64 exec, exec, s[24:25]
	v_lshlrev_b32_e32 v2, 16, v2
	v_mul_f32_e32 v2, v26, v2
	v_and_b32_e32 v3, 0x7f800000, v2
	v_cmp_ne_u32_e64 s[4:5], s15, v3
                                        ; implicit-def: $vgpr55
	s_and_saveexec_b64 s[24:25], s[4:5]
	s_xor_b64 s[4:5], exec, s[24:25]
; %bb.1952:                             ;   in Loop: Header=BB386_1010 Depth=1
	v_bfe_u32 v3, v2, 16, 1
	v_add3_u32 v55, v2, v3, s30
                                        ; implicit-def: $vgpr2
; %bb.1953:                             ;   in Loop: Header=BB386_1010 Depth=1
	s_andn2_saveexec_b64 s[24:25], s[4:5]
; %bb.1954:                             ;   in Loop: Header=BB386_1010 Depth=1
	v_or_b32_e32 v3, 0x10000, v2
	v_cmp_eq_u32_sdwa s[4:5], v2, v37 src0_sel:WORD_0 src1_sel:DWORD
	v_cndmask_b32_e64 v55, v3, v2, s[4:5]
; %bb.1955:                             ;   in Loop: Header=BB386_1010 Depth=1
	s_or_b64 exec, exec, s[24:25]
	buffer_load_dword v2, off, s[0:3], s32 offset:336 ; 4-byte Folded Reload
	buffer_load_dword v3, off, s[0:3], s32 offset:340 ; 4-byte Folded Reload
	v_mov_b32_e32 v6, 0
	s_waitcnt vmcnt(1)
	v_add_co_u32_e64 v2, s[4:5], v0, v2
	s_waitcnt vmcnt(0)
	v_addc_co_u32_e64 v3, s[4:5], 0, v1, s[4:5]
	flat_load_dwordx2 v[2:3], v[2:3]
	s_waitcnt vmcnt(0) lgkmcnt(0)
	v_cmp_ne_u16_sdwa s[4:5], v2, v37 src0_sel:BYTE_0 src1_sel:DWORD
	s_and_saveexec_b64 s[24:25], s[4:5]
	s_cbranch_execz .LBB386_1961
; %bb.1956:                             ;   in Loop: Header=BB386_1010 Depth=1
	v_cmp_ne_u16_sdwa s[4:5], v2, s31 src0_sel:BYTE_0 src1_sel:DWORD
	v_bfrev_b32_e32 v6, 1
	s_and_saveexec_b64 s[26:27], s[4:5]
	s_cbranch_execz .LBB386_1960
; %bb.1957:                             ;   in Loop: Header=BB386_1010 Depth=1
	v_and_b32_e32 v7, 0x7f, v2
	v_cmp_ne_u32_e64 s[4:5], s34, v7
	v_mov_b32_e32 v6, 0x7f800001
	s_and_saveexec_b64 s[28:29], s[4:5]
	s_cbranch_execz .LBB386_1959
; %bb.1958:                             ;   in Loop: Header=BB386_1010 Depth=1
	v_and_b32_e32 v6, 7, v2
	v_ffbh_u32_e32 v6, v6
	v_min_u32_e32 v6, 32, v6
	v_lshrrev_b32_e32 v8, 3, v7
	v_cmp_gt_u32_e64 s[4:5], 8, v7
	v_subrev_u32_e32 v7, 28, v6
	v_sub_u32_e32 v6, 29, v6
	v_cndmask_b32_e64 v8, v8, v6, s[4:5]
	v_cndmask_b32_e64 v6, 0, v7, s[4:5]
	v_lshlrev_b64 v[6:7], v6, v[2:3]
	v_lshlrev_b32_e32 v6, 20, v6
	v_lshlrev_b32_e32 v7, 24, v2
	v_and_b32_e32 v6, 0x700000, v6
	v_and_b32_e32 v7, 0x80000000, v7
	v_lshl_add_u32 v8, v8, 23, v5
	v_or3_b32 v6, v7, v8, v6
.LBB386_1959:                           ;   in Loop: Header=BB386_1010 Depth=1
	s_or_b64 exec, exec, s[28:29]
.LBB386_1960:                           ;   in Loop: Header=BB386_1010 Depth=1
	s_or_b64 exec, exec, s[26:27]
.LBB386_1961:                           ;   in Loop: Header=BB386_1010 Depth=1
	s_or_b64 exec, exec, s[24:25]
	v_mul_f32_e32 v6, v9, v6
	v_and_b32_e32 v7, 0x7f800000, v6
	v_cmp_ne_u32_e64 s[4:5], s15, v7
                                        ; implicit-def: $vgpr7
	s_and_saveexec_b64 s[24:25], s[4:5]
	s_xor_b64 s[4:5], exec, s[24:25]
; %bb.1962:                             ;   in Loop: Header=BB386_1010 Depth=1
	v_bfe_u32 v7, v6, 16, 1
	v_add3_u32 v7, v6, v7, s30
                                        ; implicit-def: $vgpr6
; %bb.1963:                             ;   in Loop: Header=BB386_1010 Depth=1
	s_andn2_saveexec_b64 s[24:25], s[4:5]
; %bb.1964:                             ;   in Loop: Header=BB386_1010 Depth=1
	v_or_b32_e32 v7, 0x10000, v6
	v_cmp_eq_u32_sdwa s[4:5], v6, v37 src0_sel:WORD_0 src1_sel:DWORD
	v_cndmask_b32_e64 v7, v7, v6, s[4:5]
; %bb.1965:                             ;   in Loop: Header=BB386_1010 Depth=1
	s_or_b64 exec, exec, s[24:25]
	v_lshrrev_b16_e32 v6, 8, v2
	v_cmp_ne_u16_e64 s[4:5], 0, v6
	v_mov_b32_e32 v8, 0
	s_and_saveexec_b64 s[24:25], s[4:5]
	s_cbranch_execz .LBB386_1971
; %bb.1966:                             ;   in Loop: Header=BB386_1010 Depth=1
	v_cmp_ne_u16_e64 s[4:5], s31, v6
	v_bfrev_b32_e32 v8, 1
	s_and_saveexec_b64 s[26:27], s[4:5]
	s_cbranch_execz .LBB386_1970
; %bb.1967:                             ;   in Loop: Header=BB386_1010 Depth=1
	v_and_b32_e32 v12, 0x7f, v6
	v_cmp_ne_u32_e64 s[4:5], s34, v12
	v_mov_b32_e32 v8, 0x7f800001
	s_and_saveexec_b64 s[28:29], s[4:5]
	s_cbranch_execz .LBB386_1969
; %bb.1968:                             ;   in Loop: Header=BB386_1010 Depth=1
	v_and_b32_e32 v8, 7, v6
	v_lshrrev_b32_e32 v16, 3, v12
	v_cmp_gt_u32_e64 s[4:5], 8, v12
	v_ffbh_u32_e32 v12, v8
	v_min_u32_e32 v17, 32, v12
	v_subrev_u32_e32 v12, 28, v17
	v_lshlrev_b64 v[12:13], v12, v[6:7]
	v_sub_u32_e32 v6, 29, v17
	v_and_b32_e32 v12, 7, v12
	v_cndmask_b32_e64 v6, v16, v6, s[4:5]
	v_cndmask_b32_e64 v8, v8, v12, s[4:5]
	v_lshlrev_b32_e32 v12, 16, v2
	v_lshlrev_b32_e32 v8, 20, v8
	v_and_b32_e32 v12, 0x80000000, v12
	v_lshl_add_u32 v6, v6, 23, v5
	v_or3_b32 v8, v12, v6, v8
.LBB386_1969:                           ;   in Loop: Header=BB386_1010 Depth=1
	s_or_b64 exec, exec, s[28:29]
.LBB386_1970:                           ;   in Loop: Header=BB386_1010 Depth=1
	s_or_b64 exec, exec, s[26:27]
.LBB386_1971:                           ;   in Loop: Header=BB386_1010 Depth=1
	s_or_b64 exec, exec, s[24:25]
	v_mul_f32_e32 v6, v9, v8
	v_and_b32_e32 v8, 0x7f800000, v6
	v_cmp_ne_u32_e64 s[4:5], s15, v8
                                        ; implicit-def: $vgpr8
	s_and_saveexec_b64 s[24:25], s[4:5]
	s_xor_b64 s[4:5], exec, s[24:25]
; %bb.1972:                             ;   in Loop: Header=BB386_1010 Depth=1
	v_bfe_u32 v8, v6, 16, 1
	v_add3_u32 v8, v6, v8, s30
                                        ; implicit-def: $vgpr6
; %bb.1973:                             ;   in Loop: Header=BB386_1010 Depth=1
	s_andn2_saveexec_b64 s[24:25], s[4:5]
; %bb.1974:                             ;   in Loop: Header=BB386_1010 Depth=1
	v_or_b32_e32 v8, 0x10000, v6
	v_cmp_eq_u32_sdwa s[4:5], v6, v37 src0_sel:WORD_0 src1_sel:DWORD
	v_cndmask_b32_e64 v8, v8, v6, s[4:5]
; %bb.1975:                             ;   in Loop: Header=BB386_1010 Depth=1
	s_or_b64 exec, exec, s[24:25]
	v_lshrrev_b32_e32 v6, 16, v2
	v_cmp_ne_u16_sdwa s[4:5], v6, v37 src0_sel:BYTE_0 src1_sel:DWORD
	v_mov_b32_e32 v12, 0
	s_and_saveexec_b64 s[24:25], s[4:5]
	s_cbranch_execz .LBB386_1981
; %bb.1976:                             ;   in Loop: Header=BB386_1010 Depth=1
	v_cmp_ne_u16_sdwa s[4:5], v6, s31 src0_sel:BYTE_0 src1_sel:DWORD
	v_bfrev_b32_e32 v12, 1
	s_and_saveexec_b64 s[26:27], s[4:5]
	s_cbranch_execz .LBB386_1980
; %bb.1977:                             ;   in Loop: Header=BB386_1010 Depth=1
	v_bfe_u32 v13, v2, 16, 7
	v_cmp_ne_u32_e64 s[4:5], s34, v13
	v_mov_b32_e32 v12, 0x7f800001
	s_and_saveexec_b64 s[28:29], s[4:5]
	s_cbranch_execz .LBB386_1979
; %bb.1978:                             ;   in Loop: Header=BB386_1010 Depth=1
	v_and_b32_e32 v16, 7, v6
	v_ffbh_u32_e32 v12, v16
	v_min_u32_e32 v18, 32, v12
	v_subrev_u32_e32 v12, 28, v18
	v_lshrrev_b32_e32 v17, 3, v13
	v_cmp_gt_u32_e64 s[4:5], 8, v13
	v_lshlrev_b64 v[12:13], v12, v[6:7]
	v_sub_u32_e32 v13, 29, v18
	v_and_b32_e32 v12, 7, v12
	v_cndmask_b32_e64 v13, v17, v13, s[4:5]
	v_cndmask_b32_e64 v12, v16, v12, s[4:5]
	v_lshlrev_b32_e32 v6, 24, v6
	v_lshlrev_b32_e32 v12, 20, v12
	v_and_b32_e32 v6, 0x80000000, v6
	v_lshl_add_u32 v13, v13, 23, v5
	v_or3_b32 v12, v6, v13, v12
.LBB386_1979:                           ;   in Loop: Header=BB386_1010 Depth=1
	s_or_b64 exec, exec, s[28:29]
.LBB386_1980:                           ;   in Loop: Header=BB386_1010 Depth=1
	s_or_b64 exec, exec, s[26:27]
.LBB386_1981:                           ;   in Loop: Header=BB386_1010 Depth=1
	s_or_b64 exec, exec, s[24:25]
	v_mul_f32_e32 v6, v9, v12
	v_and_b32_e32 v12, 0x7f800000, v6
	v_cmp_ne_u32_e64 s[4:5], s15, v12
                                        ; implicit-def: $vgpr12
	s_and_saveexec_b64 s[24:25], s[4:5]
	s_xor_b64 s[4:5], exec, s[24:25]
; %bb.1982:                             ;   in Loop: Header=BB386_1010 Depth=1
	v_bfe_u32 v12, v6, 16, 1
	v_add3_u32 v12, v6, v12, s30
                                        ; implicit-def: $vgpr6
; %bb.1983:                             ;   in Loop: Header=BB386_1010 Depth=1
	s_andn2_saveexec_b64 s[24:25], s[4:5]
; %bb.1984:                             ;   in Loop: Header=BB386_1010 Depth=1
	v_or_b32_e32 v12, 0x10000, v6
	v_cmp_eq_u32_sdwa s[4:5], v6, v37 src0_sel:WORD_0 src1_sel:DWORD
	v_cndmask_b32_e64 v12, v12, v6, s[4:5]
; %bb.1985:                             ;   in Loop: Header=BB386_1010 Depth=1
	s_or_b64 exec, exec, s[24:25]
	v_cmp_lt_u32_e64 s[4:5], s11, v2
	v_mov_b32_e32 v13, 0
	s_and_saveexec_b64 s[24:25], s[4:5]
	s_cbranch_execz .LBB386_1991
; %bb.1986:                             ;   in Loop: Header=BB386_1010 Depth=1
	v_lshrrev_b32_e32 v6, 24, v2
	v_cmp_ne_u32_e64 s[4:5], s31, v6
	v_bfrev_b32_e32 v13, 1
	s_and_saveexec_b64 s[26:27], s[4:5]
	s_cbranch_execz .LBB386_1990
; %bb.1987:                             ;   in Loop: Header=BB386_1010 Depth=1
	v_bfe_u32 v16, v2, 24, 7
	v_cmp_ne_u32_e64 s[4:5], s34, v16
	v_mov_b32_e32 v13, 0x7f800001
	s_and_saveexec_b64 s[28:29], s[4:5]
	s_cbranch_execz .LBB386_1989
; %bb.1988:                             ;   in Loop: Header=BB386_1010 Depth=1
	v_and_b32_e32 v13, 7, v6
	v_lshrrev_b32_e32 v18, 3, v16
	v_cmp_gt_u32_e64 s[4:5], 8, v16
	v_ffbh_u32_e32 v16, v13
	v_min_u32_e32 v19, 32, v16
	v_subrev_u32_e32 v16, 28, v19
	v_lshlrev_b64 v[16:17], v16, v[6:7]
	v_sub_u32_e32 v17, 29, v19
	v_and_b32_e32 v16, 7, v16
	v_cndmask_b32_e64 v17, v18, v17, s[4:5]
	v_cndmask_b32_e64 v13, v13, v16, s[4:5]
	v_lshlrev_b32_e32 v6, 24, v6
	v_lshlrev_b32_e32 v13, 20, v13
	v_and_b32_e32 v6, 0x80000000, v6
	v_lshl_add_u32 v16, v17, 23, v5
	v_or3_b32 v13, v6, v16, v13
.LBB386_1989:                           ;   in Loop: Header=BB386_1010 Depth=1
	s_or_b64 exec, exec, s[28:29]
.LBB386_1990:                           ;   in Loop: Header=BB386_1010 Depth=1
	s_or_b64 exec, exec, s[26:27]
.LBB386_1991:                           ;   in Loop: Header=BB386_1010 Depth=1
	s_or_b64 exec, exec, s[24:25]
	v_mul_f32_e32 v6, v9, v13
	v_and_b32_e32 v13, 0x7f800000, v6
	v_cmp_ne_u32_e64 s[4:5], s15, v13
                                        ; implicit-def: $vgpr13
	s_and_saveexec_b64 s[24:25], s[4:5]
	s_xor_b64 s[4:5], exec, s[24:25]
; %bb.1992:                             ;   in Loop: Header=BB386_1010 Depth=1
	v_bfe_u32 v13, v6, 16, 1
	v_add3_u32 v13, v6, v13, s30
                                        ; implicit-def: $vgpr6
; %bb.1993:                             ;   in Loop: Header=BB386_1010 Depth=1
	s_andn2_saveexec_b64 s[24:25], s[4:5]
; %bb.1994:                             ;   in Loop: Header=BB386_1010 Depth=1
	v_or_b32_e32 v13, 0x10000, v6
	v_cmp_eq_u32_sdwa s[4:5], v6, v37 src0_sel:WORD_0 src1_sel:DWORD
	v_cndmask_b32_e64 v13, v13, v6, s[4:5]
; %bb.1995:                             ;   in Loop: Header=BB386_1010 Depth=1
	s_or_b64 exec, exec, s[24:25]
	v_mov_b32_e32 v36, v3
	v_cmp_ne_u16_sdwa s[4:5], v3, v37 src0_sel:BYTE_0 src1_sel:DWORD
	v_mov_b32_e32 v6, 0
	s_and_saveexec_b64 s[24:25], s[4:5]
	s_cbranch_execz .LBB386_2001
; %bb.1996:                             ;   in Loop: Header=BB386_1010 Depth=1
	v_cmp_ne_u16_sdwa s[4:5], v3, s31 src0_sel:BYTE_0 src1_sel:DWORD
	v_bfrev_b32_e32 v6, 1
	s_and_saveexec_b64 s[26:27], s[4:5]
	s_cbranch_execz .LBB386_2000
; %bb.1997:                             ;   in Loop: Header=BB386_1010 Depth=1
	v_and_b32_e32 v16, 0x7f, v3
	v_cmp_ne_u32_e64 s[4:5], s34, v16
	v_mov_b32_e32 v6, 0x7f800001
	s_and_saveexec_b64 s[28:29], s[4:5]
	s_cbranch_execz .LBB386_1999
; %bb.1998:                             ;   in Loop: Header=BB386_1010 Depth=1
	v_and_b32_e32 v6, 7, v3
	v_ffbh_u32_e32 v6, v6
	v_min_u32_e32 v6, 32, v6
	v_lshrrev_b32_e32 v17, 3, v16
	v_cmp_gt_u32_e64 s[4:5], 8, v16
	v_subrev_u32_e32 v16, 28, v6
	v_sub_u32_e32 v6, 29, v6
	v_cndmask_b32_e64 v16, 0, v16, s[4:5]
	v_cndmask_b32_e64 v6, v17, v6, s[4:5]
	v_lshlrev_b64 v[16:17], v16, v[36:37]
	v_lshlrev_b32_e32 v16, 20, v16
	v_lshlrev_b32_e32 v17, 24, v36
	v_and_b32_e32 v16, 0x700000, v16
	v_and_b32_e32 v17, 0x80000000, v17
	v_lshl_add_u32 v6, v6, 23, v5
	v_or3_b32 v6, v17, v6, v16
.LBB386_1999:                           ;   in Loop: Header=BB386_1010 Depth=1
	s_or_b64 exec, exec, s[28:29]
.LBB386_2000:                           ;   in Loop: Header=BB386_1010 Depth=1
	s_or_b64 exec, exec, s[26:27]
.LBB386_2001:                           ;   in Loop: Header=BB386_1010 Depth=1
	s_or_b64 exec, exec, s[24:25]
	v_mul_f32_e32 v6, v9, v6
	v_and_b32_e32 v16, 0x7f800000, v6
	v_cmp_ne_u32_e64 s[4:5], s15, v16
                                        ; implicit-def: $vgpr16
	s_and_saveexec_b64 s[24:25], s[4:5]
	s_xor_b64 s[4:5], exec, s[24:25]
; %bb.2002:                             ;   in Loop: Header=BB386_1010 Depth=1
	v_bfe_u32 v16, v6, 16, 1
	v_add3_u32 v16, v6, v16, s30
                                        ; implicit-def: $vgpr6
; %bb.2003:                             ;   in Loop: Header=BB386_1010 Depth=1
	s_andn2_saveexec_b64 s[24:25], s[4:5]
; %bb.2004:                             ;   in Loop: Header=BB386_1010 Depth=1
	v_or_b32_e32 v16, 0x10000, v6
	v_cmp_eq_u32_sdwa s[4:5], v6, v37 src0_sel:WORD_0 src1_sel:DWORD
	v_cndmask_b32_e64 v16, v16, v6, s[4:5]
; %bb.2005:                             ;   in Loop: Header=BB386_1010 Depth=1
	s_or_b64 exec, exec, s[24:25]
	v_lshrrev_b16_e32 v6, 8, v36
	v_cmp_ne_u16_e64 s[4:5], 0, v6
	v_mov_b32_e32 v17, 0
	s_and_saveexec_b64 s[24:25], s[4:5]
	s_cbranch_execz .LBB386_2011
; %bb.2006:                             ;   in Loop: Header=BB386_1010 Depth=1
	v_cmp_ne_u16_e64 s[4:5], s31, v6
	v_bfrev_b32_e32 v17, 1
	s_and_saveexec_b64 s[26:27], s[4:5]
	s_cbranch_execz .LBB386_2010
; %bb.2007:                             ;   in Loop: Header=BB386_1010 Depth=1
	v_and_b32_e32 v18, 0x7f, v6
	v_cmp_ne_u32_e64 s[4:5], s34, v18
	v_mov_b32_e32 v17, 0x7f800001
	s_and_saveexec_b64 s[28:29], s[4:5]
	s_cbranch_execz .LBB386_2009
; %bb.2008:                             ;   in Loop: Header=BB386_1010 Depth=1
	v_and_b32_e32 v17, 7, v6
	v_lshrrev_b32_e32 v21, 3, v18
	v_cmp_gt_u32_e64 s[4:5], 8, v18
	v_ffbh_u32_e32 v18, v17
	v_min_u32_e32 v22, 32, v18
	v_subrev_u32_e32 v18, 28, v22
	v_lshlrev_b64 v[18:19], v18, v[6:7]
	v_sub_u32_e32 v6, 29, v22
	v_and_b32_e32 v18, 7, v18
	v_cndmask_b32_e64 v6, v21, v6, s[4:5]
	v_cndmask_b32_e64 v17, v17, v18, s[4:5]
	v_lshlrev_b32_e32 v18, 16, v36
	v_lshlrev_b32_e32 v17, 20, v17
	v_and_b32_e32 v18, 0x80000000, v18
	v_lshl_add_u32 v6, v6, 23, v5
	v_or3_b32 v17, v18, v6, v17
.LBB386_2009:                           ;   in Loop: Header=BB386_1010 Depth=1
	s_or_b64 exec, exec, s[28:29]
.LBB386_2010:                           ;   in Loop: Header=BB386_1010 Depth=1
	s_or_b64 exec, exec, s[26:27]
.LBB386_2011:                           ;   in Loop: Header=BB386_1010 Depth=1
	s_or_b64 exec, exec, s[24:25]
	v_mul_f32_e32 v6, v9, v17
	v_and_b32_e32 v17, 0x7f800000, v6
	v_cmp_ne_u32_e64 s[4:5], s15, v17
                                        ; implicit-def: $vgpr17
	s_and_saveexec_b64 s[24:25], s[4:5]
	s_xor_b64 s[4:5], exec, s[24:25]
; %bb.2012:                             ;   in Loop: Header=BB386_1010 Depth=1
	v_bfe_u32 v17, v6, 16, 1
	v_add3_u32 v17, v6, v17, s30
                                        ; implicit-def: $vgpr6
; %bb.2013:                             ;   in Loop: Header=BB386_1010 Depth=1
	s_andn2_saveexec_b64 s[24:25], s[4:5]
; %bb.2014:                             ;   in Loop: Header=BB386_1010 Depth=1
	v_or_b32_e32 v17, 0x10000, v6
	v_cmp_eq_u32_sdwa s[4:5], v6, v37 src0_sel:WORD_0 src1_sel:DWORD
	v_cndmask_b32_e64 v17, v17, v6, s[4:5]
; %bb.2015:                             ;   in Loop: Header=BB386_1010 Depth=1
	s_or_b64 exec, exec, s[24:25]
	v_lshrrev_b32_e32 v6, 16, v3
	v_cmp_ne_u16_sdwa s[4:5], v6, v37 src0_sel:BYTE_0 src1_sel:DWORD
	v_mov_b32_e32 v18, 0
	s_and_saveexec_b64 s[24:25], s[4:5]
	s_cbranch_execz .LBB386_2021
; %bb.2016:                             ;   in Loop: Header=BB386_1010 Depth=1
	v_cmp_ne_u16_sdwa s[4:5], v6, s31 src0_sel:BYTE_0 src1_sel:DWORD
	v_bfrev_b32_e32 v18, 1
	s_and_saveexec_b64 s[26:27], s[4:5]
	s_cbranch_execz .LBB386_2020
; %bb.2017:                             ;   in Loop: Header=BB386_1010 Depth=1
	v_bfe_u32 v19, v3, 16, 7
	v_cmp_ne_u32_e64 s[4:5], s34, v19
	v_mov_b32_e32 v18, 0x7f800001
	s_and_saveexec_b64 s[28:29], s[4:5]
	s_cbranch_execz .LBB386_2019
; %bb.2018:                             ;   in Loop: Header=BB386_1010 Depth=1
	v_and_b32_e32 v21, 7, v6
	v_ffbh_u32_e32 v18, v21
	v_min_u32_e32 v23, 32, v18
	v_subrev_u32_e32 v18, 28, v23
	v_lshrrev_b32_e32 v22, 3, v19
	v_cmp_gt_u32_e64 s[4:5], 8, v19
	v_lshlrev_b64 v[18:19], v18, v[6:7]
	v_sub_u32_e32 v19, 29, v23
	v_and_b32_e32 v18, 7, v18
	v_cndmask_b32_e64 v19, v22, v19, s[4:5]
	v_cndmask_b32_e64 v18, v21, v18, s[4:5]
	v_lshlrev_b32_e32 v6, 24, v6
	v_lshlrev_b32_e32 v18, 20, v18
	v_and_b32_e32 v6, 0x80000000, v6
	v_lshl_add_u32 v19, v19, 23, v5
	v_or3_b32 v18, v6, v19, v18
.LBB386_2019:                           ;   in Loop: Header=BB386_1010 Depth=1
	s_or_b64 exec, exec, s[28:29]
.LBB386_2020:                           ;   in Loop: Header=BB386_1010 Depth=1
	s_or_b64 exec, exec, s[26:27]
.LBB386_2021:                           ;   in Loop: Header=BB386_1010 Depth=1
	s_or_b64 exec, exec, s[24:25]
	v_mul_f32_e32 v6, v9, v18
	v_and_b32_e32 v18, 0x7f800000, v6
	v_cmp_ne_u32_e64 s[4:5], s15, v18
                                        ; implicit-def: $vgpr18
	s_and_saveexec_b64 s[24:25], s[4:5]
	s_xor_b64 s[4:5], exec, s[24:25]
; %bb.2022:                             ;   in Loop: Header=BB386_1010 Depth=1
	v_bfe_u32 v18, v6, 16, 1
	v_add3_u32 v18, v6, v18, s30
                                        ; implicit-def: $vgpr6
; %bb.2023:                             ;   in Loop: Header=BB386_1010 Depth=1
	s_andn2_saveexec_b64 s[24:25], s[4:5]
; %bb.2024:                             ;   in Loop: Header=BB386_1010 Depth=1
	v_or_b32_e32 v18, 0x10000, v6
	v_cmp_eq_u32_sdwa s[4:5], v6, v37 src0_sel:WORD_0 src1_sel:DWORD
	v_cndmask_b32_e64 v18, v18, v6, s[4:5]
; %bb.2025:                             ;   in Loop: Header=BB386_1010 Depth=1
	s_or_b64 exec, exec, s[24:25]
	v_cmp_lt_u64_e64 s[4:5], s[10:11], v[2:3]
	v_mov_b32_e32 v6, 0
	s_and_saveexec_b64 s[24:25], s[4:5]
	s_cbranch_execz .LBB386_2031
; %bb.2026:                             ;   in Loop: Header=BB386_1010 Depth=1
	v_lshrrev_b32_e32 v2, 24, v3
	v_cmp_ne_u32_e64 s[4:5], s31, v2
	v_bfrev_b32_e32 v6, 1
	s_and_saveexec_b64 s[26:27], s[4:5]
	s_cbranch_execz .LBB386_2030
; %bb.2027:                             ;   in Loop: Header=BB386_1010 Depth=1
	v_bfe_u32 v3, v3, 24, 7
	v_cmp_ne_u32_e64 s[4:5], s34, v3
	v_mov_b32_e32 v6, 0x7f800001
	s_and_saveexec_b64 s[28:29], s[4:5]
	s_cbranch_execz .LBB386_2029
; %bb.2028:                             ;   in Loop: Header=BB386_1010 Depth=1
	v_and_b32_e32 v6, 7, v2
	v_lshrrev_b32_e32 v19, 3, v3
	v_cmp_gt_u32_e64 s[4:5], 8, v3
	v_ffbh_u32_e32 v3, v6
	v_min_u32_e32 v3, 32, v3
	v_subrev_u32_e32 v21, 28, v3
	v_lshlrev_b64 v[22:23], v21, v[2:3]
	v_sub_u32_e32 v3, 29, v3
	v_and_b32_e32 v21, 7, v22
	v_cndmask_b32_e64 v3, v19, v3, s[4:5]
	v_cndmask_b32_e64 v6, v6, v21, s[4:5]
	v_lshlrev_b32_e32 v2, 24, v2
	v_lshlrev_b32_e32 v6, 20, v6
	v_and_b32_e32 v2, 0x80000000, v2
	v_lshl_add_u32 v3, v3, 23, v5
	v_or3_b32 v6, v2, v3, v6
.LBB386_2029:                           ;   in Loop: Header=BB386_1010 Depth=1
	s_or_b64 exec, exec, s[28:29]
.LBB386_2030:                           ;   in Loop: Header=BB386_1010 Depth=1
	s_or_b64 exec, exec, s[26:27]
.LBB386_2031:                           ;   in Loop: Header=BB386_1010 Depth=1
	s_or_b64 exec, exec, s[24:25]
	v_mul_f32_e32 v3, v9, v6
	v_and_b32_e32 v2, 0x7f800000, v3
	v_cmp_ne_u32_e64 s[4:5], s15, v2
                                        ; implicit-def: $vgpr2
	s_and_saveexec_b64 s[24:25], s[4:5]
	s_xor_b64 s[4:5], exec, s[24:25]
; %bb.2032:                             ;   in Loop: Header=BB386_1010 Depth=1
	v_bfe_u32 v2, v3, 16, 1
	v_add3_u32 v2, v3, v2, s30
                                        ; implicit-def: $vgpr3
; %bb.2033:                             ;   in Loop: Header=BB386_1010 Depth=1
	s_andn2_saveexec_b64 s[24:25], s[4:5]
; %bb.2034:                             ;   in Loop: Header=BB386_1010 Depth=1
	v_or_b32_e32 v2, 0x10000, v3
	v_cmp_eq_u32_sdwa s[4:5], v3, v37 src0_sel:WORD_0 src1_sel:DWORD
	v_cndmask_b32_e64 v2, v2, v3, s[4:5]
; %bb.2035:                             ;   in Loop: Header=BB386_1010 Depth=1
	s_or_b64 exec, exec, s[24:25]
	v_lshrrev_b32_e32 v6, 16, v17
	v_lshrrev_b32_e32 v16, 16, v16
	;; [unrolled: 1-line block ×8, first 2 shown]
	s_and_saveexec_b64 s[24:25], vcc
	s_cbranch_execz .LBB386_2037
; %bb.2036:                             ;   in Loop: Header=BB386_1010 Depth=1
	buffer_load_dword v18, off, s[0:3], s32 offset:196 ; 4-byte Folded Reload
	v_accvgpr_read_b32 v17, a54
	s_waitcnt vmcnt(0)
	v_cmp_lt_i32_e64 s[4:5], v53, v18
	v_cndmask_b32_e64 v7, 0, v7, s[4:5]
	v_cmp_lt_i32_e64 s[4:5], v17, v18
	v_accvgpr_read_b32 v17, a53
	v_cndmask_b32_e64 v8, 0, v8, s[4:5]
	v_cmp_lt_i32_e64 s[4:5], v17, v18
	v_accvgpr_read_b32 v17, a52
	;; [unrolled: 3-line block ×6, first 2 shown]
	v_cndmask_b32_e64 v3, 0, v3, s[4:5]
	v_cmp_lt_i32_e64 s[4:5], v17, v18
	v_cndmask_b32_e64 v2, 0, v2, s[4:5]
.LBB386_2037:                           ;   in Loop: Header=BB386_1010 Depth=1
	s_or_b64 exec, exec, s[24:25]
	v_lshlrev_b32_e32 v7, 16, v7
	v_mul_f32_e32 v7, v39, v7
	v_and_b32_e32 v17, 0x7f800000, v7
	v_cmp_ne_u32_e64 s[4:5], s15, v17
                                        ; implicit-def: $vgpr59
	s_and_saveexec_b64 s[24:25], s[4:5]
	s_xor_b64 s[4:5], exec, s[24:25]
; %bb.2038:                             ;   in Loop: Header=BB386_1010 Depth=1
	v_bfe_u32 v17, v7, 16, 1
	v_add3_u32 v59, v7, v17, s30
                                        ; implicit-def: $vgpr7
; %bb.2039:                             ;   in Loop: Header=BB386_1010 Depth=1
	s_andn2_saveexec_b64 s[24:25], s[4:5]
; %bb.2040:                             ;   in Loop: Header=BB386_1010 Depth=1
	v_or_b32_e32 v17, 0x10000, v7
	v_cmp_eq_u32_sdwa s[4:5], v7, v37 src0_sel:WORD_0 src1_sel:DWORD
	v_cndmask_b32_e64 v59, v17, v7, s[4:5]
; %bb.2041:                             ;   in Loop: Header=BB386_1010 Depth=1
	s_or_b64 exec, exec, s[24:25]
	v_lshlrev_b32_e32 v7, 16, v8
	v_mul_f32_e32 v7, v31, v7
	v_and_b32_e32 v8, 0x7f800000, v7
	v_cmp_ne_u32_e64 s[4:5], s15, v8
                                        ; implicit-def: $vgpr43
	s_and_saveexec_b64 s[24:25], s[4:5]
	s_xor_b64 s[4:5], exec, s[24:25]
; %bb.2042:                             ;   in Loop: Header=BB386_1010 Depth=1
	v_bfe_u32 v8, v7, 16, 1
	v_add3_u32 v43, v7, v8, s30
                                        ; implicit-def: $vgpr7
; %bb.2043:                             ;   in Loop: Header=BB386_1010 Depth=1
	s_andn2_saveexec_b64 s[24:25], s[4:5]
; %bb.2044:                             ;   in Loop: Header=BB386_1010 Depth=1
	v_or_b32_e32 v8, 0x10000, v7
	v_cmp_eq_u32_sdwa s[4:5], v7, v37 src0_sel:WORD_0 src1_sel:DWORD
	v_cndmask_b32_e64 v43, v8, v7, s[4:5]
; %bb.2045:                             ;   in Loop: Header=BB386_1010 Depth=1
	s_or_b64 exec, exec, s[24:25]
	v_lshlrev_b32_e32 v7, 16, v12
	v_mul_f32_e32 v7, v30, v7
	v_and_b32_e32 v8, 0x7f800000, v7
	v_cmp_ne_u32_e64 s[4:5], s15, v8
                                        ; implicit-def: $vgpr38
	s_and_saveexec_b64 s[24:25], s[4:5]
	s_xor_b64 s[4:5], exec, s[24:25]
; %bb.2046:                             ;   in Loop: Header=BB386_1010 Depth=1
	v_bfe_u32 v8, v7, 16, 1
	v_add3_u32 v38, v7, v8, s30
                                        ; implicit-def: $vgpr7
; %bb.2047:                             ;   in Loop: Header=BB386_1010 Depth=1
	s_andn2_saveexec_b64 s[24:25], s[4:5]
; %bb.2048:                             ;   in Loop: Header=BB386_1010 Depth=1
	v_or_b32_e32 v8, 0x10000, v7
	v_cmp_eq_u32_sdwa s[4:5], v7, v37 src0_sel:WORD_0 src1_sel:DWORD
	v_cndmask_b32_e64 v38, v8, v7, s[4:5]
; %bb.2049:                             ;   in Loop: Header=BB386_1010 Depth=1
	s_or_b64 exec, exec, s[24:25]
	v_lshlrev_b32_e32 v7, 16, v13
	v_mul_f32_e32 v7, v49, v7
	v_and_b32_e32 v8, 0x7f800000, v7
	v_cmp_ne_u32_e64 s[4:5], s15, v8
                                        ; implicit-def: $vgpr62
	s_and_saveexec_b64 s[24:25], s[4:5]
	s_xor_b64 s[4:5], exec, s[24:25]
; %bb.2050:                             ;   in Loop: Header=BB386_1010 Depth=1
	v_bfe_u32 v8, v7, 16, 1
	v_add3_u32 v62, v7, v8, s30
                                        ; implicit-def: $vgpr7
; %bb.2051:                             ;   in Loop: Header=BB386_1010 Depth=1
	s_andn2_saveexec_b64 s[24:25], s[4:5]
; %bb.2052:                             ;   in Loop: Header=BB386_1010 Depth=1
	v_or_b32_e32 v8, 0x10000, v7
	v_cmp_eq_u32_sdwa s[4:5], v7, v37 src0_sel:WORD_0 src1_sel:DWORD
	v_cndmask_b32_e64 v62, v8, v7, s[4:5]
; %bb.2053:                             ;   in Loop: Header=BB386_1010 Depth=1
	s_or_b64 exec, exec, s[24:25]
	v_lshlrev_b32_e32 v7, 16, v16
	v_mul_f32_e32 v7, v51, v7
	v_and_b32_e32 v8, 0x7f800000, v7
	v_cmp_ne_u32_e64 s[4:5], s15, v8
                                        ; implicit-def: $vgpr48
	s_and_saveexec_b64 s[24:25], s[4:5]
	s_xor_b64 s[4:5], exec, s[24:25]
; %bb.2054:                             ;   in Loop: Header=BB386_1010 Depth=1
	v_bfe_u32 v8, v7, 16, 1
	v_add3_u32 v48, v7, v8, s30
                                        ; implicit-def: $vgpr7
; %bb.2055:                             ;   in Loop: Header=BB386_1010 Depth=1
	s_andn2_saveexec_b64 s[24:25], s[4:5]
; %bb.2056:                             ;   in Loop: Header=BB386_1010 Depth=1
	v_or_b32_e32 v8, 0x10000, v7
	v_cmp_eq_u32_sdwa s[4:5], v7, v37 src0_sel:WORD_0 src1_sel:DWORD
	v_cndmask_b32_e64 v48, v8, v7, s[4:5]
; %bb.2057:                             ;   in Loop: Header=BB386_1010 Depth=1
	s_or_b64 exec, exec, s[24:25]
	v_lshlrev_b32_e32 v6, 16, v6
	v_mul_f32_e32 v6, v54, v6
	v_and_b32_e32 v7, 0x7f800000, v6
	v_cmp_ne_u32_e64 s[4:5], s15, v7
                                        ; implicit-def: $vgpr50
	s_and_saveexec_b64 s[24:25], s[4:5]
	s_xor_b64 s[4:5], exec, s[24:25]
; %bb.2058:                             ;   in Loop: Header=BB386_1010 Depth=1
	v_bfe_u32 v7, v6, 16, 1
	v_add3_u32 v50, v6, v7, s30
                                        ; implicit-def: $vgpr6
; %bb.2059:                             ;   in Loop: Header=BB386_1010 Depth=1
	s_andn2_saveexec_b64 s[24:25], s[4:5]
; %bb.2060:                             ;   in Loop: Header=BB386_1010 Depth=1
	v_or_b32_e32 v7, 0x10000, v6
	v_cmp_eq_u32_sdwa s[4:5], v6, v37 src0_sel:WORD_0 src1_sel:DWORD
	v_cndmask_b32_e64 v50, v7, v6, s[4:5]
; %bb.2061:                             ;   in Loop: Header=BB386_1010 Depth=1
	s_or_b64 exec, exec, s[24:25]
	v_lshlrev_b32_e32 v3, 16, v3
	v_mul_f32_e32 v3, v27, v3
	v_and_b32_e32 v6, 0x7f800000, v3
	v_cmp_ne_u32_e64 s[4:5], s15, v6
                                        ; implicit-def: $vgpr52
	s_and_saveexec_b64 s[24:25], s[4:5]
	s_xor_b64 s[4:5], exec, s[24:25]
; %bb.2062:                             ;   in Loop: Header=BB386_1010 Depth=1
	v_bfe_u32 v6, v3, 16, 1
	v_add3_u32 v52, v3, v6, s30
                                        ; implicit-def: $vgpr3
; %bb.2063:                             ;   in Loop: Header=BB386_1010 Depth=1
	s_andn2_saveexec_b64 s[24:25], s[4:5]
; %bb.2064:                             ;   in Loop: Header=BB386_1010 Depth=1
	v_or_b32_e32 v6, 0x10000, v3
	v_cmp_eq_u32_sdwa s[4:5], v3, v37 src0_sel:WORD_0 src1_sel:DWORD
	v_cndmask_b32_e64 v52, v6, v3, s[4:5]
; %bb.2065:                             ;   in Loop: Header=BB386_1010 Depth=1
	s_or_b64 exec, exec, s[24:25]
	v_lshlrev_b32_e32 v2, 16, v2
	v_mul_f32_e32 v2, v26, v2
	v_and_b32_e32 v3, 0x7f800000, v2
	v_cmp_ne_u32_e64 s[4:5], s15, v3
                                        ; implicit-def: $vgpr21
	s_and_saveexec_b64 s[24:25], s[4:5]
	s_xor_b64 s[4:5], exec, s[24:25]
; %bb.2066:                             ;   in Loop: Header=BB386_1010 Depth=1
	v_bfe_u32 v3, v2, 16, 1
	v_add3_u32 v21, v2, v3, s30
                                        ; implicit-def: $vgpr2
; %bb.2067:                             ;   in Loop: Header=BB386_1010 Depth=1
	s_andn2_saveexec_b64 s[24:25], s[4:5]
; %bb.2068:                             ;   in Loop: Header=BB386_1010 Depth=1
	v_or_b32_e32 v3, 0x10000, v2
	v_cmp_eq_u32_sdwa s[4:5], v2, v37 src0_sel:WORD_0 src1_sel:DWORD
	v_cndmask_b32_e64 v21, v3, v2, s[4:5]
; %bb.2069:                             ;   in Loop: Header=BB386_1010 Depth=1
	s_or_b64 exec, exec, s[24:25]
	buffer_load_dword v2, off, s[0:3], s32 offset:344 ; 4-byte Folded Reload
	buffer_load_dword v3, off, s[0:3], s32 offset:348 ; 4-byte Folded Reload
	v_mov_b32_e32 v6, 0
	s_waitcnt vmcnt(1)
	v_add_co_u32_e64 v2, s[4:5], v0, v2
	s_waitcnt vmcnt(0)
	v_addc_co_u32_e64 v3, s[4:5], 0, v1, s[4:5]
	flat_load_dwordx2 v[2:3], v[2:3]
	s_waitcnt vmcnt(0) lgkmcnt(0)
	v_cmp_ne_u16_sdwa s[4:5], v2, v37 src0_sel:BYTE_0 src1_sel:DWORD
	s_and_saveexec_b64 s[24:25], s[4:5]
	s_cbranch_execz .LBB386_2075
; %bb.2070:                             ;   in Loop: Header=BB386_1010 Depth=1
	v_cmp_ne_u16_sdwa s[4:5], v2, s31 src0_sel:BYTE_0 src1_sel:DWORD
	v_bfrev_b32_e32 v6, 1
	s_and_saveexec_b64 s[26:27], s[4:5]
	s_cbranch_execz .LBB386_2074
; %bb.2071:                             ;   in Loop: Header=BB386_1010 Depth=1
	v_and_b32_e32 v7, 0x7f, v2
	v_cmp_ne_u32_e64 s[4:5], s34, v7
	v_mov_b32_e32 v6, 0x7f800001
	s_and_saveexec_b64 s[28:29], s[4:5]
	s_cbranch_execz .LBB386_2073
; %bb.2072:                             ;   in Loop: Header=BB386_1010 Depth=1
	v_and_b32_e32 v6, 7, v2
	v_ffbh_u32_e32 v6, v6
	v_min_u32_e32 v6, 32, v6
	v_lshrrev_b32_e32 v8, 3, v7
	v_cmp_gt_u32_e64 s[4:5], 8, v7
	v_subrev_u32_e32 v7, 28, v6
	v_sub_u32_e32 v6, 29, v6
	v_cndmask_b32_e64 v8, v8, v6, s[4:5]
	v_cndmask_b32_e64 v6, 0, v7, s[4:5]
	v_lshlrev_b64 v[6:7], v6, v[2:3]
	v_lshlrev_b32_e32 v6, 20, v6
	v_lshlrev_b32_e32 v7, 24, v2
	v_and_b32_e32 v6, 0x700000, v6
	v_and_b32_e32 v7, 0x80000000, v7
	v_lshl_add_u32 v8, v8, 23, v5
	v_or3_b32 v6, v7, v8, v6
.LBB386_2073:                           ;   in Loop: Header=BB386_1010 Depth=1
	s_or_b64 exec, exec, s[28:29]
.LBB386_2074:                           ;   in Loop: Header=BB386_1010 Depth=1
	s_or_b64 exec, exec, s[26:27]
.LBB386_2075:                           ;   in Loop: Header=BB386_1010 Depth=1
	s_or_b64 exec, exec, s[24:25]
	v_mul_f32_e32 v6, v9, v6
	v_and_b32_e32 v7, 0x7f800000, v6
	v_cmp_ne_u32_e64 s[4:5], s15, v7
                                        ; implicit-def: $vgpr7
	s_and_saveexec_b64 s[24:25], s[4:5]
	s_xor_b64 s[4:5], exec, s[24:25]
; %bb.2076:                             ;   in Loop: Header=BB386_1010 Depth=1
	v_bfe_u32 v7, v6, 16, 1
	v_add3_u32 v7, v6, v7, s30
                                        ; implicit-def: $vgpr6
; %bb.2077:                             ;   in Loop: Header=BB386_1010 Depth=1
	s_andn2_saveexec_b64 s[24:25], s[4:5]
; %bb.2078:                             ;   in Loop: Header=BB386_1010 Depth=1
	v_or_b32_e32 v7, 0x10000, v6
	v_cmp_eq_u32_sdwa s[4:5], v6, v37 src0_sel:WORD_0 src1_sel:DWORD
	v_cndmask_b32_e64 v7, v7, v6, s[4:5]
; %bb.2079:                             ;   in Loop: Header=BB386_1010 Depth=1
	s_or_b64 exec, exec, s[24:25]
	v_lshrrev_b16_e32 v6, 8, v2
	v_cmp_ne_u16_e64 s[4:5], 0, v6
	v_mov_b32_e32 v8, 0
	s_and_saveexec_b64 s[24:25], s[4:5]
	s_cbranch_execz .LBB386_2085
; %bb.2080:                             ;   in Loop: Header=BB386_1010 Depth=1
	v_cmp_ne_u16_e64 s[4:5], s31, v6
	v_bfrev_b32_e32 v8, 1
	s_and_saveexec_b64 s[26:27], s[4:5]
	s_cbranch_execz .LBB386_2084
; %bb.2081:                             ;   in Loop: Header=BB386_1010 Depth=1
	v_and_b32_e32 v12, 0x7f, v6
	v_cmp_ne_u32_e64 s[4:5], s34, v12
	v_mov_b32_e32 v8, 0x7f800001
	s_and_saveexec_b64 s[28:29], s[4:5]
	s_cbranch_execz .LBB386_2083
; %bb.2082:                             ;   in Loop: Header=BB386_1010 Depth=1
	v_and_b32_e32 v8, 7, v6
	v_lshrrev_b32_e32 v16, 3, v12
	v_cmp_gt_u32_e64 s[4:5], 8, v12
	v_ffbh_u32_e32 v12, v8
	v_min_u32_e32 v17, 32, v12
	v_subrev_u32_e32 v12, 28, v17
	v_lshlrev_b64 v[12:13], v12, v[6:7]
	v_sub_u32_e32 v6, 29, v17
	v_and_b32_e32 v12, 7, v12
	v_cndmask_b32_e64 v6, v16, v6, s[4:5]
	v_cndmask_b32_e64 v8, v8, v12, s[4:5]
	v_lshlrev_b32_e32 v12, 16, v2
	v_lshlrev_b32_e32 v8, 20, v8
	v_and_b32_e32 v12, 0x80000000, v12
	v_lshl_add_u32 v6, v6, 23, v5
	v_or3_b32 v8, v12, v6, v8
.LBB386_2083:                           ;   in Loop: Header=BB386_1010 Depth=1
	s_or_b64 exec, exec, s[28:29]
.LBB386_2084:                           ;   in Loop: Header=BB386_1010 Depth=1
	s_or_b64 exec, exec, s[26:27]
.LBB386_2085:                           ;   in Loop: Header=BB386_1010 Depth=1
	s_or_b64 exec, exec, s[24:25]
	v_mul_f32_e32 v6, v9, v8
	v_and_b32_e32 v8, 0x7f800000, v6
	v_cmp_ne_u32_e64 s[4:5], s15, v8
                                        ; implicit-def: $vgpr8
	s_and_saveexec_b64 s[24:25], s[4:5]
	s_xor_b64 s[4:5], exec, s[24:25]
; %bb.2086:                             ;   in Loop: Header=BB386_1010 Depth=1
	v_bfe_u32 v8, v6, 16, 1
	v_add3_u32 v8, v6, v8, s30
                                        ; implicit-def: $vgpr6
; %bb.2087:                             ;   in Loop: Header=BB386_1010 Depth=1
	s_andn2_saveexec_b64 s[24:25], s[4:5]
; %bb.2088:                             ;   in Loop: Header=BB386_1010 Depth=1
	v_or_b32_e32 v8, 0x10000, v6
	v_cmp_eq_u32_sdwa s[4:5], v6, v37 src0_sel:WORD_0 src1_sel:DWORD
	v_cndmask_b32_e64 v8, v8, v6, s[4:5]
; %bb.2089:                             ;   in Loop: Header=BB386_1010 Depth=1
	s_or_b64 exec, exec, s[24:25]
	v_lshrrev_b32_e32 v6, 16, v2
	v_cmp_ne_u16_sdwa s[4:5], v6, v37 src0_sel:BYTE_0 src1_sel:DWORD
	v_mov_b32_e32 v12, 0
	s_and_saveexec_b64 s[24:25], s[4:5]
	s_cbranch_execz .LBB386_2095
; %bb.2090:                             ;   in Loop: Header=BB386_1010 Depth=1
	v_cmp_ne_u16_sdwa s[4:5], v6, s31 src0_sel:BYTE_0 src1_sel:DWORD
	v_bfrev_b32_e32 v12, 1
	s_and_saveexec_b64 s[26:27], s[4:5]
	s_cbranch_execz .LBB386_2094
; %bb.2091:                             ;   in Loop: Header=BB386_1010 Depth=1
	v_bfe_u32 v13, v2, 16, 7
	v_cmp_ne_u32_e64 s[4:5], s34, v13
	v_mov_b32_e32 v12, 0x7f800001
	s_and_saveexec_b64 s[28:29], s[4:5]
	s_cbranch_execz .LBB386_2093
; %bb.2092:                             ;   in Loop: Header=BB386_1010 Depth=1
	v_and_b32_e32 v16, 7, v6
	v_ffbh_u32_e32 v12, v16
	v_min_u32_e32 v18, 32, v12
	v_subrev_u32_e32 v12, 28, v18
	v_lshrrev_b32_e32 v17, 3, v13
	v_cmp_gt_u32_e64 s[4:5], 8, v13
	v_lshlrev_b64 v[12:13], v12, v[6:7]
	v_sub_u32_e32 v13, 29, v18
	v_and_b32_e32 v12, 7, v12
	v_cndmask_b32_e64 v13, v17, v13, s[4:5]
	v_cndmask_b32_e64 v12, v16, v12, s[4:5]
	v_lshlrev_b32_e32 v6, 24, v6
	v_lshlrev_b32_e32 v12, 20, v12
	v_and_b32_e32 v6, 0x80000000, v6
	v_lshl_add_u32 v13, v13, 23, v5
	v_or3_b32 v12, v6, v13, v12
.LBB386_2093:                           ;   in Loop: Header=BB386_1010 Depth=1
	s_or_b64 exec, exec, s[28:29]
.LBB386_2094:                           ;   in Loop: Header=BB386_1010 Depth=1
	s_or_b64 exec, exec, s[26:27]
.LBB386_2095:                           ;   in Loop: Header=BB386_1010 Depth=1
	s_or_b64 exec, exec, s[24:25]
	v_mul_f32_e32 v6, v9, v12
	v_and_b32_e32 v12, 0x7f800000, v6
	v_cmp_ne_u32_e64 s[4:5], s15, v12
                                        ; implicit-def: $vgpr12
	s_and_saveexec_b64 s[24:25], s[4:5]
	s_xor_b64 s[4:5], exec, s[24:25]
; %bb.2096:                             ;   in Loop: Header=BB386_1010 Depth=1
	v_bfe_u32 v12, v6, 16, 1
	v_add3_u32 v12, v6, v12, s30
                                        ; implicit-def: $vgpr6
; %bb.2097:                             ;   in Loop: Header=BB386_1010 Depth=1
	s_andn2_saveexec_b64 s[24:25], s[4:5]
; %bb.2098:                             ;   in Loop: Header=BB386_1010 Depth=1
	v_or_b32_e32 v12, 0x10000, v6
	v_cmp_eq_u32_sdwa s[4:5], v6, v37 src0_sel:WORD_0 src1_sel:DWORD
	v_cndmask_b32_e64 v12, v12, v6, s[4:5]
; %bb.2099:                             ;   in Loop: Header=BB386_1010 Depth=1
	s_or_b64 exec, exec, s[24:25]
	v_cmp_lt_u32_e64 s[4:5], s11, v2
	v_mov_b32_e32 v13, 0
	s_and_saveexec_b64 s[24:25], s[4:5]
	s_cbranch_execz .LBB386_2105
; %bb.2100:                             ;   in Loop: Header=BB386_1010 Depth=1
	v_lshrrev_b32_e32 v6, 24, v2
	v_cmp_ne_u32_e64 s[4:5], s31, v6
	v_bfrev_b32_e32 v13, 1
	s_and_saveexec_b64 s[26:27], s[4:5]
	s_cbranch_execz .LBB386_2104
; %bb.2101:                             ;   in Loop: Header=BB386_1010 Depth=1
	v_bfe_u32 v16, v2, 24, 7
	v_cmp_ne_u32_e64 s[4:5], s34, v16
	v_mov_b32_e32 v13, 0x7f800001
	s_and_saveexec_b64 s[28:29], s[4:5]
	s_cbranch_execz .LBB386_2103
; %bb.2102:                             ;   in Loop: Header=BB386_1010 Depth=1
	v_and_b32_e32 v13, 7, v6
	v_lshrrev_b32_e32 v18, 3, v16
	v_cmp_gt_u32_e64 s[4:5], 8, v16
	v_ffbh_u32_e32 v16, v13
	v_min_u32_e32 v19, 32, v16
	v_subrev_u32_e32 v16, 28, v19
	v_lshlrev_b64 v[16:17], v16, v[6:7]
	v_sub_u32_e32 v17, 29, v19
	v_and_b32_e32 v16, 7, v16
	v_cndmask_b32_e64 v17, v18, v17, s[4:5]
	v_cndmask_b32_e64 v13, v13, v16, s[4:5]
	v_lshlrev_b32_e32 v6, 24, v6
	v_lshlrev_b32_e32 v13, 20, v13
	v_and_b32_e32 v6, 0x80000000, v6
	v_lshl_add_u32 v16, v17, 23, v5
	v_or3_b32 v13, v6, v16, v13
.LBB386_2103:                           ;   in Loop: Header=BB386_1010 Depth=1
	s_or_b64 exec, exec, s[28:29]
.LBB386_2104:                           ;   in Loop: Header=BB386_1010 Depth=1
	s_or_b64 exec, exec, s[26:27]
.LBB386_2105:                           ;   in Loop: Header=BB386_1010 Depth=1
	s_or_b64 exec, exec, s[24:25]
	v_mul_f32_e32 v6, v9, v13
	v_and_b32_e32 v13, 0x7f800000, v6
	v_cmp_ne_u32_e64 s[4:5], s15, v13
                                        ; implicit-def: $vgpr13
	s_and_saveexec_b64 s[24:25], s[4:5]
	s_xor_b64 s[4:5], exec, s[24:25]
; %bb.2106:                             ;   in Loop: Header=BB386_1010 Depth=1
	v_bfe_u32 v13, v6, 16, 1
	v_add3_u32 v13, v6, v13, s30
                                        ; implicit-def: $vgpr6
; %bb.2107:                             ;   in Loop: Header=BB386_1010 Depth=1
	s_andn2_saveexec_b64 s[24:25], s[4:5]
; %bb.2108:                             ;   in Loop: Header=BB386_1010 Depth=1
	v_or_b32_e32 v13, 0x10000, v6
	v_cmp_eq_u32_sdwa s[4:5], v6, v37 src0_sel:WORD_0 src1_sel:DWORD
	v_cndmask_b32_e64 v13, v13, v6, s[4:5]
; %bb.2109:                             ;   in Loop: Header=BB386_1010 Depth=1
	s_or_b64 exec, exec, s[24:25]
	v_mov_b32_e32 v36, v3
	v_cmp_ne_u16_sdwa s[4:5], v3, v37 src0_sel:BYTE_0 src1_sel:DWORD
	v_mov_b32_e32 v6, 0
	s_and_saveexec_b64 s[24:25], s[4:5]
	s_cbranch_execz .LBB386_2115
; %bb.2110:                             ;   in Loop: Header=BB386_1010 Depth=1
	v_cmp_ne_u16_sdwa s[4:5], v3, s31 src0_sel:BYTE_0 src1_sel:DWORD
	v_bfrev_b32_e32 v6, 1
	s_and_saveexec_b64 s[26:27], s[4:5]
	s_cbranch_execz .LBB386_2114
; %bb.2111:                             ;   in Loop: Header=BB386_1010 Depth=1
	v_and_b32_e32 v16, 0x7f, v3
	v_cmp_ne_u32_e64 s[4:5], s34, v16
	v_mov_b32_e32 v6, 0x7f800001
	s_and_saveexec_b64 s[28:29], s[4:5]
	s_cbranch_execz .LBB386_2113
; %bb.2112:                             ;   in Loop: Header=BB386_1010 Depth=1
	v_and_b32_e32 v6, 7, v3
	v_ffbh_u32_e32 v6, v6
	v_min_u32_e32 v6, 32, v6
	v_lshrrev_b32_e32 v17, 3, v16
	v_cmp_gt_u32_e64 s[4:5], 8, v16
	v_subrev_u32_e32 v16, 28, v6
	v_sub_u32_e32 v6, 29, v6
	v_cndmask_b32_e64 v16, 0, v16, s[4:5]
	v_cndmask_b32_e64 v6, v17, v6, s[4:5]
	v_lshlrev_b64 v[16:17], v16, v[36:37]
	v_lshlrev_b32_e32 v16, 20, v16
	v_lshlrev_b32_e32 v17, 24, v36
	v_and_b32_e32 v16, 0x700000, v16
	v_and_b32_e32 v17, 0x80000000, v17
	v_lshl_add_u32 v6, v6, 23, v5
	v_or3_b32 v6, v17, v6, v16
.LBB386_2113:                           ;   in Loop: Header=BB386_1010 Depth=1
	s_or_b64 exec, exec, s[28:29]
.LBB386_2114:                           ;   in Loop: Header=BB386_1010 Depth=1
	s_or_b64 exec, exec, s[26:27]
.LBB386_2115:                           ;   in Loop: Header=BB386_1010 Depth=1
	s_or_b64 exec, exec, s[24:25]
	v_mul_f32_e32 v6, v9, v6
	v_and_b32_e32 v16, 0x7f800000, v6
	v_cmp_ne_u32_e64 s[4:5], s15, v16
                                        ; implicit-def: $vgpr16
	s_and_saveexec_b64 s[24:25], s[4:5]
	s_xor_b64 s[4:5], exec, s[24:25]
; %bb.2116:                             ;   in Loop: Header=BB386_1010 Depth=1
	v_bfe_u32 v16, v6, 16, 1
	v_add3_u32 v16, v6, v16, s30
                                        ; implicit-def: $vgpr6
; %bb.2117:                             ;   in Loop: Header=BB386_1010 Depth=1
	s_andn2_saveexec_b64 s[24:25], s[4:5]
; %bb.2118:                             ;   in Loop: Header=BB386_1010 Depth=1
	v_or_b32_e32 v16, 0x10000, v6
	v_cmp_eq_u32_sdwa s[4:5], v6, v37 src0_sel:WORD_0 src1_sel:DWORD
	v_cndmask_b32_e64 v16, v16, v6, s[4:5]
; %bb.2119:                             ;   in Loop: Header=BB386_1010 Depth=1
	s_or_b64 exec, exec, s[24:25]
	v_lshrrev_b16_e32 v6, 8, v36
	v_cmp_ne_u16_e64 s[4:5], 0, v6
	v_mov_b32_e32 v17, 0
	s_and_saveexec_b64 s[24:25], s[4:5]
	s_cbranch_execz .LBB386_2125
; %bb.2120:                             ;   in Loop: Header=BB386_1010 Depth=1
	v_cmp_ne_u16_e64 s[4:5], s31, v6
	v_bfrev_b32_e32 v17, 1
	s_and_saveexec_b64 s[26:27], s[4:5]
	s_cbranch_execz .LBB386_2124
; %bb.2121:                             ;   in Loop: Header=BB386_1010 Depth=1
	v_and_b32_e32 v18, 0x7f, v6
	v_cmp_ne_u32_e64 s[4:5], s34, v18
	v_mov_b32_e32 v17, 0x7f800001
	s_and_saveexec_b64 s[28:29], s[4:5]
	s_cbranch_execz .LBB386_2123
; %bb.2122:                             ;   in Loop: Header=BB386_1010 Depth=1
	v_and_b32_e32 v17, 7, v6
	v_lshrrev_b32_e32 v22, 3, v18
	v_cmp_gt_u32_e64 s[4:5], 8, v18
	v_ffbh_u32_e32 v18, v17
	v_min_u32_e32 v23, 32, v18
	v_subrev_u32_e32 v18, 28, v23
	v_lshlrev_b64 v[18:19], v18, v[6:7]
	v_sub_u32_e32 v6, 29, v23
	v_and_b32_e32 v18, 7, v18
	v_cndmask_b32_e64 v6, v22, v6, s[4:5]
	v_cndmask_b32_e64 v17, v17, v18, s[4:5]
	v_lshlrev_b32_e32 v18, 16, v36
	v_lshlrev_b32_e32 v17, 20, v17
	v_and_b32_e32 v18, 0x80000000, v18
	v_lshl_add_u32 v6, v6, 23, v5
	v_or3_b32 v17, v18, v6, v17
.LBB386_2123:                           ;   in Loop: Header=BB386_1010 Depth=1
	s_or_b64 exec, exec, s[28:29]
.LBB386_2124:                           ;   in Loop: Header=BB386_1010 Depth=1
	s_or_b64 exec, exec, s[26:27]
.LBB386_2125:                           ;   in Loop: Header=BB386_1010 Depth=1
	s_or_b64 exec, exec, s[24:25]
	v_mul_f32_e32 v6, v9, v17
	v_and_b32_e32 v17, 0x7f800000, v6
	v_cmp_ne_u32_e64 s[4:5], s15, v17
                                        ; implicit-def: $vgpr17
	s_and_saveexec_b64 s[24:25], s[4:5]
	s_xor_b64 s[4:5], exec, s[24:25]
; %bb.2126:                             ;   in Loop: Header=BB386_1010 Depth=1
	v_bfe_u32 v17, v6, 16, 1
	v_add3_u32 v17, v6, v17, s30
                                        ; implicit-def: $vgpr6
; %bb.2127:                             ;   in Loop: Header=BB386_1010 Depth=1
	s_andn2_saveexec_b64 s[24:25], s[4:5]
; %bb.2128:                             ;   in Loop: Header=BB386_1010 Depth=1
	v_or_b32_e32 v17, 0x10000, v6
	v_cmp_eq_u32_sdwa s[4:5], v6, v37 src0_sel:WORD_0 src1_sel:DWORD
	v_cndmask_b32_e64 v17, v17, v6, s[4:5]
; %bb.2129:                             ;   in Loop: Header=BB386_1010 Depth=1
	s_or_b64 exec, exec, s[24:25]
	v_lshrrev_b32_e32 v6, 16, v3
	v_cmp_ne_u16_sdwa s[4:5], v6, v37 src0_sel:BYTE_0 src1_sel:DWORD
	v_mov_b32_e32 v18, 0
	s_and_saveexec_b64 s[24:25], s[4:5]
	s_cbranch_execz .LBB386_2135
; %bb.2130:                             ;   in Loop: Header=BB386_1010 Depth=1
	v_cmp_ne_u16_sdwa s[4:5], v6, s31 src0_sel:BYTE_0 src1_sel:DWORD
	v_bfrev_b32_e32 v18, 1
	s_and_saveexec_b64 s[26:27], s[4:5]
	s_cbranch_execz .LBB386_2134
; %bb.2131:                             ;   in Loop: Header=BB386_1010 Depth=1
	v_bfe_u32 v19, v3, 16, 7
	v_cmp_ne_u32_e64 s[4:5], s34, v19
	v_mov_b32_e32 v18, 0x7f800001
	s_and_saveexec_b64 s[28:29], s[4:5]
	s_cbranch_execz .LBB386_2133
; %bb.2132:                             ;   in Loop: Header=BB386_1010 Depth=1
	v_and_b32_e32 v22, 7, v6
	v_ffbh_u32_e32 v18, v22
	v_min_u32_e32 v24, 32, v18
	v_subrev_u32_e32 v18, 28, v24
	v_lshrrev_b32_e32 v23, 3, v19
	v_cmp_gt_u32_e64 s[4:5], 8, v19
	v_lshlrev_b64 v[18:19], v18, v[6:7]
	v_sub_u32_e32 v19, 29, v24
	v_and_b32_e32 v18, 7, v18
	v_cndmask_b32_e64 v19, v23, v19, s[4:5]
	v_cndmask_b32_e64 v18, v22, v18, s[4:5]
	v_lshlrev_b32_e32 v6, 24, v6
	v_lshlrev_b32_e32 v18, 20, v18
	v_and_b32_e32 v6, 0x80000000, v6
	v_lshl_add_u32 v19, v19, 23, v5
	v_or3_b32 v18, v6, v19, v18
.LBB386_2133:                           ;   in Loop: Header=BB386_1010 Depth=1
	s_or_b64 exec, exec, s[28:29]
.LBB386_2134:                           ;   in Loop: Header=BB386_1010 Depth=1
	s_or_b64 exec, exec, s[26:27]
.LBB386_2135:                           ;   in Loop: Header=BB386_1010 Depth=1
	s_or_b64 exec, exec, s[24:25]
	v_mul_f32_e32 v6, v9, v18
	v_and_b32_e32 v18, 0x7f800000, v6
	v_cmp_ne_u32_e64 s[4:5], s15, v18
                                        ; implicit-def: $vgpr18
	s_and_saveexec_b64 s[24:25], s[4:5]
	s_xor_b64 s[4:5], exec, s[24:25]
; %bb.2136:                             ;   in Loop: Header=BB386_1010 Depth=1
	v_bfe_u32 v18, v6, 16, 1
	v_add3_u32 v18, v6, v18, s30
                                        ; implicit-def: $vgpr6
; %bb.2137:                             ;   in Loop: Header=BB386_1010 Depth=1
	s_andn2_saveexec_b64 s[24:25], s[4:5]
; %bb.2138:                             ;   in Loop: Header=BB386_1010 Depth=1
	v_or_b32_e32 v18, 0x10000, v6
	v_cmp_eq_u32_sdwa s[4:5], v6, v37 src0_sel:WORD_0 src1_sel:DWORD
	v_cndmask_b32_e64 v18, v18, v6, s[4:5]
; %bb.2139:                             ;   in Loop: Header=BB386_1010 Depth=1
	s_or_b64 exec, exec, s[24:25]
	v_cmp_lt_u64_e64 s[4:5], s[10:11], v[2:3]
	v_mov_b32_e32 v6, 0
	s_and_saveexec_b64 s[24:25], s[4:5]
	s_cbranch_execz .LBB386_2145
; %bb.2140:                             ;   in Loop: Header=BB386_1010 Depth=1
	v_lshrrev_b32_e32 v2, 24, v3
	v_cmp_ne_u32_e64 s[4:5], s31, v2
	v_bfrev_b32_e32 v6, 1
	s_and_saveexec_b64 s[26:27], s[4:5]
	s_cbranch_execz .LBB386_2144
; %bb.2141:                             ;   in Loop: Header=BB386_1010 Depth=1
	v_bfe_u32 v3, v3, 24, 7
	v_cmp_ne_u32_e64 s[4:5], s34, v3
	v_mov_b32_e32 v6, 0x7f800001
	s_and_saveexec_b64 s[28:29], s[4:5]
	s_cbranch_execz .LBB386_2143
; %bb.2142:                             ;   in Loop: Header=BB386_1010 Depth=1
	v_and_b32_e32 v6, 7, v2
	v_lshrrev_b32_e32 v19, 3, v3
	v_cmp_gt_u32_e64 s[4:5], 8, v3
	v_ffbh_u32_e32 v3, v6
	v_min_u32_e32 v3, 32, v3
	v_subrev_u32_e32 v22, 28, v3
	v_lshlrev_b64 v[22:23], v22, v[2:3]
	v_sub_u32_e32 v3, 29, v3
	v_and_b32_e32 v22, 7, v22
	v_cndmask_b32_e64 v3, v19, v3, s[4:5]
	v_cndmask_b32_e64 v6, v6, v22, s[4:5]
	v_lshlrev_b32_e32 v2, 24, v2
	v_lshlrev_b32_e32 v6, 20, v6
	v_and_b32_e32 v2, 0x80000000, v2
	v_lshl_add_u32 v3, v3, 23, v5
	v_or3_b32 v6, v2, v3, v6
.LBB386_2143:                           ;   in Loop: Header=BB386_1010 Depth=1
	s_or_b64 exec, exec, s[28:29]
.LBB386_2144:                           ;   in Loop: Header=BB386_1010 Depth=1
	s_or_b64 exec, exec, s[26:27]
.LBB386_2145:                           ;   in Loop: Header=BB386_1010 Depth=1
	s_or_b64 exec, exec, s[24:25]
	v_mul_f32_e32 v3, v9, v6
	v_and_b32_e32 v2, 0x7f800000, v3
	v_cmp_ne_u32_e64 s[4:5], s15, v2
                                        ; implicit-def: $vgpr2
	s_and_saveexec_b64 s[24:25], s[4:5]
	s_xor_b64 s[4:5], exec, s[24:25]
; %bb.2146:                             ;   in Loop: Header=BB386_1010 Depth=1
	v_bfe_u32 v2, v3, 16, 1
	v_add3_u32 v2, v3, v2, s30
                                        ; implicit-def: $vgpr3
; %bb.2147:                             ;   in Loop: Header=BB386_1010 Depth=1
	s_andn2_saveexec_b64 s[24:25], s[4:5]
; %bb.2148:                             ;   in Loop: Header=BB386_1010 Depth=1
	v_or_b32_e32 v2, 0x10000, v3
	v_cmp_eq_u32_sdwa s[4:5], v3, v37 src0_sel:WORD_0 src1_sel:DWORD
	v_cndmask_b32_e64 v2, v2, v3, s[4:5]
; %bb.2149:                             ;   in Loop: Header=BB386_1010 Depth=1
	s_or_b64 exec, exec, s[24:25]
	v_lshrrev_b32_e32 v6, 16, v17
	v_lshrrev_b32_e32 v16, 16, v16
	;; [unrolled: 1-line block ×8, first 2 shown]
	s_and_saveexec_b64 s[24:25], vcc
	s_cbranch_execz .LBB386_2151
; %bb.2150:                             ;   in Loop: Header=BB386_1010 Depth=1
	buffer_load_dword v18, off, s[0:3], s32 offset:196 ; 4-byte Folded Reload
	v_accvgpr_read_b32 v17, a54
	s_waitcnt vmcnt(0)
	v_cmp_lt_i32_e64 s[4:5], v53, v18
	v_cndmask_b32_e64 v7, 0, v7, s[4:5]
	v_cmp_lt_i32_e64 s[4:5], v17, v18
	v_accvgpr_read_b32 v17, a53
	v_cndmask_b32_e64 v8, 0, v8, s[4:5]
	v_cmp_lt_i32_e64 s[4:5], v17, v18
	v_accvgpr_read_b32 v17, a52
	;; [unrolled: 3-line block ×6, first 2 shown]
	v_cndmask_b32_e64 v3, 0, v3, s[4:5]
	v_cmp_lt_i32_e64 s[4:5], v17, v18
	v_cndmask_b32_e64 v2, 0, v2, s[4:5]
.LBB386_2151:                           ;   in Loop: Header=BB386_1010 Depth=1
	s_or_b64 exec, exec, s[24:25]
	v_lshlrev_b32_e32 v7, 16, v7
	v_mul_f32_e32 v7, v39, v7
	v_and_b32_e32 v17, 0x7f800000, v7
	v_cmp_ne_u32_e64 s[4:5], s15, v17
                                        ; implicit-def: $vgpr29
	s_and_saveexec_b64 s[24:25], s[4:5]
	s_xor_b64 s[4:5], exec, s[24:25]
; %bb.2152:                             ;   in Loop: Header=BB386_1010 Depth=1
	v_bfe_u32 v17, v7, 16, 1
	v_add3_u32 v29, v7, v17, s30
                                        ; implicit-def: $vgpr7
; %bb.2153:                             ;   in Loop: Header=BB386_1010 Depth=1
	s_andn2_saveexec_b64 s[24:25], s[4:5]
; %bb.2154:                             ;   in Loop: Header=BB386_1010 Depth=1
	v_or_b32_e32 v17, 0x10000, v7
	v_cmp_eq_u32_sdwa s[4:5], v7, v37 src0_sel:WORD_0 src1_sel:DWORD
	v_cndmask_b32_e64 v29, v17, v7, s[4:5]
; %bb.2155:                             ;   in Loop: Header=BB386_1010 Depth=1
	s_or_b64 exec, exec, s[24:25]
	v_lshlrev_b32_e32 v7, 16, v8
	v_mul_f32_e32 v7, v31, v7
	v_and_b32_e32 v8, 0x7f800000, v7
	v_cmp_ne_u32_e64 s[4:5], s15, v8
                                        ; implicit-def: $vgpr22
	s_and_saveexec_b64 s[24:25], s[4:5]
	s_xor_b64 s[4:5], exec, s[24:25]
; %bb.2156:                             ;   in Loop: Header=BB386_1010 Depth=1
	v_bfe_u32 v8, v7, 16, 1
	v_add3_u32 v22, v7, v8, s30
                                        ; implicit-def: $vgpr7
; %bb.2157:                             ;   in Loop: Header=BB386_1010 Depth=1
	s_andn2_saveexec_b64 s[24:25], s[4:5]
; %bb.2158:                             ;   in Loop: Header=BB386_1010 Depth=1
	v_or_b32_e32 v8, 0x10000, v7
	v_cmp_eq_u32_sdwa s[4:5], v7, v37 src0_sel:WORD_0 src1_sel:DWORD
	v_cndmask_b32_e64 v22, v8, v7, s[4:5]
; %bb.2159:                             ;   in Loop: Header=BB386_1010 Depth=1
	s_or_b64 exec, exec, s[24:25]
	v_lshlrev_b32_e32 v7, 16, v12
	v_mul_f32_e32 v8, v30, v7
	v_and_b32_e32 v7, 0x7f800000, v8
	v_cmp_ne_u32_e64 s[4:5], s15, v7
                                        ; implicit-def: $vgpr7
	s_and_saveexec_b64 s[24:25], s[4:5]
	s_xor_b64 s[4:5], exec, s[24:25]
; %bb.2160:                             ;   in Loop: Header=BB386_1010 Depth=1
	v_bfe_u32 v7, v8, 16, 1
	v_add3_u32 v7, v8, v7, s30
                                        ; implicit-def: $vgpr8
; %bb.2161:                             ;   in Loop: Header=BB386_1010 Depth=1
	s_andn2_saveexec_b64 s[24:25], s[4:5]
; %bb.2162:                             ;   in Loop: Header=BB386_1010 Depth=1
	v_or_b32_e32 v7, 0x10000, v8
	v_cmp_eq_u32_sdwa s[4:5], v8, v37 src0_sel:WORD_0 src1_sel:DWORD
	v_cndmask_b32_e64 v7, v7, v8, s[4:5]
; %bb.2163:                             ;   in Loop: Header=BB386_1010 Depth=1
	s_or_b64 exec, exec, s[24:25]
	v_lshlrev_b32_e32 v8, 16, v13
	v_mul_f32_e32 v12, v49, v8
	v_and_b32_e32 v8, 0x7f800000, v12
	v_cmp_ne_u32_e64 s[4:5], s15, v8
                                        ; implicit-def: $vgpr8
	s_and_saveexec_b64 s[24:25], s[4:5]
	s_xor_b64 s[4:5], exec, s[24:25]
; %bb.2164:                             ;   in Loop: Header=BB386_1010 Depth=1
	v_bfe_u32 v8, v12, 16, 1
	v_add3_u32 v8, v12, v8, s30
                                        ; implicit-def: $vgpr12
; %bb.2165:                             ;   in Loop: Header=BB386_1010 Depth=1
	s_andn2_saveexec_b64 s[24:25], s[4:5]
; %bb.2166:                             ;   in Loop: Header=BB386_1010 Depth=1
	v_or_b32_e32 v8, 0x10000, v12
	v_cmp_eq_u32_sdwa s[4:5], v12, v37 src0_sel:WORD_0 src1_sel:DWORD
	v_cndmask_b32_e64 v8, v8, v12, s[4:5]
; %bb.2167:                             ;   in Loop: Header=BB386_1010 Depth=1
	s_or_b64 exec, exec, s[24:25]
	v_lshlrev_b32_e32 v12, 16, v16
	v_mul_f32_e32 v12, v51, v12
	v_and_b32_e32 v13, 0x7f800000, v12
	v_cmp_ne_u32_e64 s[4:5], s15, v13
                                        ; implicit-def: $vgpr44
	s_and_saveexec_b64 s[24:25], s[4:5]
	s_xor_b64 s[4:5], exec, s[24:25]
; %bb.2168:                             ;   in Loop: Header=BB386_1010 Depth=1
	v_bfe_u32 v13, v12, 16, 1
	v_add3_u32 v44, v12, v13, s30
                                        ; implicit-def: $vgpr12
; %bb.2169:                             ;   in Loop: Header=BB386_1010 Depth=1
	s_andn2_saveexec_b64 s[24:25], s[4:5]
; %bb.2170:                             ;   in Loop: Header=BB386_1010 Depth=1
	v_or_b32_e32 v13, 0x10000, v12
	v_cmp_eq_u32_sdwa s[4:5], v12, v37 src0_sel:WORD_0 src1_sel:DWORD
	v_cndmask_b32_e64 v44, v13, v12, s[4:5]
; %bb.2171:                             ;   in Loop: Header=BB386_1010 Depth=1
	s_or_b64 exec, exec, s[24:25]
	v_lshlrev_b32_e32 v6, 16, v6
	v_mul_f32_e32 v6, v54, v6
	v_and_b32_e32 v12, 0x7f800000, v6
	v_cmp_ne_u32_e64 s[4:5], s15, v12
                                        ; implicit-def: $vgpr46
	s_and_saveexec_b64 s[24:25], s[4:5]
	s_xor_b64 s[4:5], exec, s[24:25]
; %bb.2172:                             ;   in Loop: Header=BB386_1010 Depth=1
	v_bfe_u32 v12, v6, 16, 1
	v_add3_u32 v46, v6, v12, s30
                                        ; implicit-def: $vgpr6
; %bb.2173:                             ;   in Loop: Header=BB386_1010 Depth=1
	s_andn2_saveexec_b64 s[24:25], s[4:5]
; %bb.2174:                             ;   in Loop: Header=BB386_1010 Depth=1
	v_or_b32_e32 v12, 0x10000, v6
	v_cmp_eq_u32_sdwa s[4:5], v6, v37 src0_sel:WORD_0 src1_sel:DWORD
	v_cndmask_b32_e64 v46, v12, v6, s[4:5]
; %bb.2175:                             ;   in Loop: Header=BB386_1010 Depth=1
	s_or_b64 exec, exec, s[24:25]
	v_lshlrev_b32_e32 v3, 16, v3
	v_mul_f32_e32 v3, v27, v3
	v_and_b32_e32 v6, 0x7f800000, v3
	v_cmp_ne_u32_e64 s[4:5], s15, v6
                                        ; implicit-def: $vgpr47
	s_and_saveexec_b64 s[24:25], s[4:5]
	s_xor_b64 s[4:5], exec, s[24:25]
; %bb.2176:                             ;   in Loop: Header=BB386_1010 Depth=1
	v_bfe_u32 v6, v3, 16, 1
	v_add3_u32 v47, v3, v6, s30
                                        ; implicit-def: $vgpr3
; %bb.2177:                             ;   in Loop: Header=BB386_1010 Depth=1
	s_andn2_saveexec_b64 s[24:25], s[4:5]
; %bb.2178:                             ;   in Loop: Header=BB386_1010 Depth=1
	v_or_b32_e32 v6, 0x10000, v3
	v_cmp_eq_u32_sdwa s[4:5], v3, v37 src0_sel:WORD_0 src1_sel:DWORD
	v_cndmask_b32_e64 v47, v6, v3, s[4:5]
; %bb.2179:                             ;   in Loop: Header=BB386_1010 Depth=1
	s_or_b64 exec, exec, s[24:25]
	v_lshlrev_b32_e32 v2, 16, v2
	v_mul_f32_e32 v2, v26, v2
	v_and_b32_e32 v3, 0x7f800000, v2
	v_cmp_ne_u32_e64 s[4:5], s15, v3
                                        ; implicit-def: $vgpr56
	s_and_saveexec_b64 s[24:25], s[4:5]
	s_xor_b64 s[4:5], exec, s[24:25]
; %bb.2180:                             ;   in Loop: Header=BB386_1010 Depth=1
	v_bfe_u32 v3, v2, 16, 1
	v_add3_u32 v56, v2, v3, s30
                                        ; implicit-def: $vgpr2
; %bb.2181:                             ;   in Loop: Header=BB386_1010 Depth=1
	s_andn2_saveexec_b64 s[24:25], s[4:5]
; %bb.2182:                             ;   in Loop: Header=BB386_1010 Depth=1
	v_or_b32_e32 v3, 0x10000, v2
	v_cmp_eq_u32_sdwa s[4:5], v2, v37 src0_sel:WORD_0 src1_sel:DWORD
	v_cndmask_b32_e64 v56, v3, v2, s[4:5]
; %bb.2183:                             ;   in Loop: Header=BB386_1010 Depth=1
	s_or_b64 exec, exec, s[24:25]
	buffer_load_dword v2, off, s[0:3], s32 offset:352 ; 4-byte Folded Reload
	buffer_load_dword v3, off, s[0:3], s32 offset:356 ; 4-byte Folded Reload
	v_mov_b32_e32 v6, 0
	s_waitcnt vmcnt(1)
	v_add_co_u32_e64 v2, s[4:5], v0, v2
	s_waitcnt vmcnt(0)
	v_addc_co_u32_e64 v3, s[4:5], 0, v1, s[4:5]
	flat_load_dwordx2 v[2:3], v[2:3]
	s_waitcnt vmcnt(0) lgkmcnt(0)
	v_cmp_ne_u16_sdwa s[4:5], v2, v37 src0_sel:BYTE_0 src1_sel:DWORD
	s_and_saveexec_b64 s[24:25], s[4:5]
	s_cbranch_execz .LBB386_2189
; %bb.2184:                             ;   in Loop: Header=BB386_1010 Depth=1
	v_cmp_ne_u16_sdwa s[4:5], v2, s31 src0_sel:BYTE_0 src1_sel:DWORD
	v_bfrev_b32_e32 v6, 1
	s_and_saveexec_b64 s[26:27], s[4:5]
	s_cbranch_execz .LBB386_2188
; %bb.2185:                             ;   in Loop: Header=BB386_1010 Depth=1
	v_and_b32_e32 v12, 0x7f, v2
	v_cmp_ne_u32_e64 s[4:5], s34, v12
	v_mov_b32_e32 v6, 0x7f800001
	s_and_saveexec_b64 s[28:29], s[4:5]
	s_cbranch_execz .LBB386_2187
; %bb.2186:                             ;   in Loop: Header=BB386_1010 Depth=1
	v_and_b32_e32 v6, 7, v2
	v_ffbh_u32_e32 v6, v6
	v_min_u32_e32 v6, 32, v6
	v_lshrrev_b32_e32 v13, 3, v12
	v_cmp_gt_u32_e64 s[4:5], 8, v12
	v_subrev_u32_e32 v12, 28, v6
	v_sub_u32_e32 v6, 29, v6
	v_cndmask_b32_e64 v12, 0, v12, s[4:5]
	v_cndmask_b32_e64 v6, v13, v6, s[4:5]
	v_lshlrev_b64 v[12:13], v12, v[2:3]
	v_lshlrev_b32_e32 v12, 20, v12
	v_lshlrev_b32_e32 v13, 24, v2
	v_and_b32_e32 v12, 0x700000, v12
	v_and_b32_e32 v13, 0x80000000, v13
	v_lshl_add_u32 v6, v6, 23, v5
	v_or3_b32 v6, v13, v6, v12
.LBB386_2187:                           ;   in Loop: Header=BB386_1010 Depth=1
	s_or_b64 exec, exec, s[28:29]
.LBB386_2188:                           ;   in Loop: Header=BB386_1010 Depth=1
	s_or_b64 exec, exec, s[26:27]
.LBB386_2189:                           ;   in Loop: Header=BB386_1010 Depth=1
	s_or_b64 exec, exec, s[24:25]
	v_mul_f32_e32 v6, v9, v6
	v_and_b32_e32 v12, 0x7f800000, v6
	v_cmp_ne_u32_e64 s[4:5], s15, v12
                                        ; implicit-def: $vgpr12
	s_and_saveexec_b64 s[24:25], s[4:5]
	s_xor_b64 s[4:5], exec, s[24:25]
; %bb.2190:                             ;   in Loop: Header=BB386_1010 Depth=1
	v_bfe_u32 v12, v6, 16, 1
	v_add3_u32 v12, v6, v12, s30
                                        ; implicit-def: $vgpr6
; %bb.2191:                             ;   in Loop: Header=BB386_1010 Depth=1
	s_andn2_saveexec_b64 s[24:25], s[4:5]
; %bb.2192:                             ;   in Loop: Header=BB386_1010 Depth=1
	v_or_b32_e32 v12, 0x10000, v6
	v_cmp_eq_u32_sdwa s[4:5], v6, v37 src0_sel:WORD_0 src1_sel:DWORD
	v_cndmask_b32_e64 v12, v12, v6, s[4:5]
; %bb.2193:                             ;   in Loop: Header=BB386_1010 Depth=1
	s_or_b64 exec, exec, s[24:25]
	v_lshrrev_b16_e32 v6, 8, v2
	v_cmp_ne_u16_e64 s[4:5], 0, v6
	v_mov_b32_e32 v13, 0
	s_and_saveexec_b64 s[24:25], s[4:5]
	s_cbranch_execz .LBB386_2199
; %bb.2194:                             ;   in Loop: Header=BB386_1010 Depth=1
	v_cmp_ne_u16_e64 s[4:5], s31, v6
	v_bfrev_b32_e32 v13, 1
	s_and_saveexec_b64 s[26:27], s[4:5]
	s_cbranch_execz .LBB386_2198
; %bb.2195:                             ;   in Loop: Header=BB386_1010 Depth=1
	v_and_b32_e32 v16, 0x7f, v6
	v_cmp_ne_u32_e64 s[4:5], s34, v16
	v_mov_b32_e32 v13, 0x7f800001
	s_and_saveexec_b64 s[28:29], s[4:5]
	s_cbranch_execz .LBB386_2197
; %bb.2196:                             ;   in Loop: Header=BB386_1010 Depth=1
	v_and_b32_e32 v13, 7, v6
	v_lshrrev_b32_e32 v18, 3, v16
	v_cmp_gt_u32_e64 s[4:5], 8, v16
	v_ffbh_u32_e32 v16, v13
	v_min_u32_e32 v19, 32, v16
	v_subrev_u32_e32 v16, 28, v19
	v_lshlrev_b64 v[16:17], v16, v[6:7]
	v_sub_u32_e32 v6, 29, v19
	v_and_b32_e32 v16, 7, v16
	v_cndmask_b32_e64 v6, v18, v6, s[4:5]
	v_cndmask_b32_e64 v13, v13, v16, s[4:5]
	v_lshlrev_b32_e32 v16, 16, v2
	v_lshlrev_b32_e32 v13, 20, v13
	v_and_b32_e32 v16, 0x80000000, v16
	v_lshl_add_u32 v6, v6, 23, v5
	v_or3_b32 v13, v16, v6, v13
.LBB386_2197:                           ;   in Loop: Header=BB386_1010 Depth=1
	s_or_b64 exec, exec, s[28:29]
.LBB386_2198:                           ;   in Loop: Header=BB386_1010 Depth=1
	s_or_b64 exec, exec, s[26:27]
.LBB386_2199:                           ;   in Loop: Header=BB386_1010 Depth=1
	s_or_b64 exec, exec, s[24:25]
	v_mul_f32_e32 v6, v9, v13
	v_and_b32_e32 v13, 0x7f800000, v6
	v_cmp_ne_u32_e64 s[4:5], s15, v13
                                        ; implicit-def: $vgpr13
	s_and_saveexec_b64 s[24:25], s[4:5]
	s_xor_b64 s[4:5], exec, s[24:25]
; %bb.2200:                             ;   in Loop: Header=BB386_1010 Depth=1
	v_bfe_u32 v13, v6, 16, 1
	v_add3_u32 v13, v6, v13, s30
                                        ; implicit-def: $vgpr6
; %bb.2201:                             ;   in Loop: Header=BB386_1010 Depth=1
	s_andn2_saveexec_b64 s[24:25], s[4:5]
; %bb.2202:                             ;   in Loop: Header=BB386_1010 Depth=1
	v_or_b32_e32 v13, 0x10000, v6
	v_cmp_eq_u32_sdwa s[4:5], v6, v37 src0_sel:WORD_0 src1_sel:DWORD
	v_cndmask_b32_e64 v13, v13, v6, s[4:5]
; %bb.2203:                             ;   in Loop: Header=BB386_1010 Depth=1
	s_or_b64 exec, exec, s[24:25]
	v_lshrrev_b32_e32 v6, 16, v2
	v_cmp_ne_u16_sdwa s[4:5], v6, v37 src0_sel:BYTE_0 src1_sel:DWORD
	v_mov_b32_e32 v16, 0
	s_and_saveexec_b64 s[24:25], s[4:5]
	s_cbranch_execz .LBB386_2209
; %bb.2204:                             ;   in Loop: Header=BB386_1010 Depth=1
	v_cmp_ne_u16_sdwa s[4:5], v6, s31 src0_sel:BYTE_0 src1_sel:DWORD
	v_bfrev_b32_e32 v16, 1
	s_and_saveexec_b64 s[26:27], s[4:5]
	s_cbranch_execz .LBB386_2208
; %bb.2205:                             ;   in Loop: Header=BB386_1010 Depth=1
	v_bfe_u32 v17, v2, 16, 7
	v_cmp_ne_u32_e64 s[4:5], s34, v17
	v_mov_b32_e32 v16, 0x7f800001
	s_and_saveexec_b64 s[28:29], s[4:5]
	s_cbranch_execz .LBB386_2207
; %bb.2206:                             ;   in Loop: Header=BB386_1010 Depth=1
	v_and_b32_e32 v18, 7, v6
	v_ffbh_u32_e32 v16, v18
	v_min_u32_e32 v23, 32, v16
	v_subrev_u32_e32 v16, 28, v23
	v_lshrrev_b32_e32 v19, 3, v17
	v_cmp_gt_u32_e64 s[4:5], 8, v17
	v_lshlrev_b64 v[16:17], v16, v[6:7]
	v_sub_u32_e32 v17, 29, v23
	v_and_b32_e32 v16, 7, v16
	v_cndmask_b32_e64 v17, v19, v17, s[4:5]
	v_cndmask_b32_e64 v16, v18, v16, s[4:5]
	v_lshlrev_b32_e32 v6, 24, v6
	v_lshlrev_b32_e32 v16, 20, v16
	v_and_b32_e32 v6, 0x80000000, v6
	v_lshl_add_u32 v17, v17, 23, v5
	v_or3_b32 v16, v6, v17, v16
.LBB386_2207:                           ;   in Loop: Header=BB386_1010 Depth=1
	s_or_b64 exec, exec, s[28:29]
.LBB386_2208:                           ;   in Loop: Header=BB386_1010 Depth=1
	s_or_b64 exec, exec, s[26:27]
.LBB386_2209:                           ;   in Loop: Header=BB386_1010 Depth=1
	s_or_b64 exec, exec, s[24:25]
	v_mul_f32_e32 v6, v9, v16
	v_and_b32_e32 v16, 0x7f800000, v6
	v_cmp_ne_u32_e64 s[4:5], s15, v16
                                        ; implicit-def: $vgpr16
	s_and_saveexec_b64 s[24:25], s[4:5]
	s_xor_b64 s[4:5], exec, s[24:25]
; %bb.2210:                             ;   in Loop: Header=BB386_1010 Depth=1
	v_bfe_u32 v16, v6, 16, 1
	v_add3_u32 v16, v6, v16, s30
                                        ; implicit-def: $vgpr6
; %bb.2211:                             ;   in Loop: Header=BB386_1010 Depth=1
	s_andn2_saveexec_b64 s[24:25], s[4:5]
; %bb.2212:                             ;   in Loop: Header=BB386_1010 Depth=1
	v_or_b32_e32 v16, 0x10000, v6
	v_cmp_eq_u32_sdwa s[4:5], v6, v37 src0_sel:WORD_0 src1_sel:DWORD
	v_cndmask_b32_e64 v16, v16, v6, s[4:5]
; %bb.2213:                             ;   in Loop: Header=BB386_1010 Depth=1
	s_or_b64 exec, exec, s[24:25]
	v_cmp_lt_u32_e64 s[4:5], s11, v2
	v_mov_b32_e32 v17, 0
	s_and_saveexec_b64 s[24:25], s[4:5]
	s_cbranch_execz .LBB386_2219
; %bb.2214:                             ;   in Loop: Header=BB386_1010 Depth=1
	v_lshrrev_b32_e32 v6, 24, v2
	v_cmp_ne_u32_e64 s[4:5], s31, v6
	v_bfrev_b32_e32 v17, 1
	s_and_saveexec_b64 s[26:27], s[4:5]
	s_cbranch_execz .LBB386_2218
; %bb.2215:                             ;   in Loop: Header=BB386_1010 Depth=1
	v_bfe_u32 v18, v2, 24, 7
	v_cmp_ne_u32_e64 s[4:5], s34, v18
	v_mov_b32_e32 v17, 0x7f800001
	s_and_saveexec_b64 s[28:29], s[4:5]
	s_cbranch_execz .LBB386_2217
; %bb.2216:                             ;   in Loop: Header=BB386_1010 Depth=1
	v_and_b32_e32 v17, 7, v6
	v_lshrrev_b32_e32 v23, 3, v18
	v_cmp_gt_u32_e64 s[4:5], 8, v18
	v_ffbh_u32_e32 v18, v17
	v_min_u32_e32 v24, 32, v18
	v_subrev_u32_e32 v18, 28, v24
	v_lshlrev_b64 v[18:19], v18, v[6:7]
	v_sub_u32_e32 v19, 29, v24
	v_and_b32_e32 v18, 7, v18
	v_cndmask_b32_e64 v19, v23, v19, s[4:5]
	v_cndmask_b32_e64 v17, v17, v18, s[4:5]
	v_lshlrev_b32_e32 v6, 24, v6
	v_lshlrev_b32_e32 v17, 20, v17
	v_and_b32_e32 v6, 0x80000000, v6
	v_lshl_add_u32 v18, v19, 23, v5
	v_or3_b32 v17, v6, v18, v17
.LBB386_2217:                           ;   in Loop: Header=BB386_1010 Depth=1
	s_or_b64 exec, exec, s[28:29]
.LBB386_2218:                           ;   in Loop: Header=BB386_1010 Depth=1
	s_or_b64 exec, exec, s[26:27]
.LBB386_2219:                           ;   in Loop: Header=BB386_1010 Depth=1
	s_or_b64 exec, exec, s[24:25]
	v_mul_f32_e32 v6, v9, v17
	v_and_b32_e32 v17, 0x7f800000, v6
	v_cmp_ne_u32_e64 s[4:5], s15, v17
                                        ; implicit-def: $vgpr17
	s_and_saveexec_b64 s[24:25], s[4:5]
	s_xor_b64 s[4:5], exec, s[24:25]
; %bb.2220:                             ;   in Loop: Header=BB386_1010 Depth=1
	v_bfe_u32 v17, v6, 16, 1
	v_add3_u32 v17, v6, v17, s30
                                        ; implicit-def: $vgpr6
; %bb.2221:                             ;   in Loop: Header=BB386_1010 Depth=1
	s_andn2_saveexec_b64 s[24:25], s[4:5]
; %bb.2222:                             ;   in Loop: Header=BB386_1010 Depth=1
	v_or_b32_e32 v17, 0x10000, v6
	v_cmp_eq_u32_sdwa s[4:5], v6, v37 src0_sel:WORD_0 src1_sel:DWORD
	v_cndmask_b32_e64 v17, v17, v6, s[4:5]
; %bb.2223:                             ;   in Loop: Header=BB386_1010 Depth=1
	s_or_b64 exec, exec, s[24:25]
	v_mov_b32_e32 v36, v3
	v_cmp_ne_u16_sdwa s[4:5], v3, v37 src0_sel:BYTE_0 src1_sel:DWORD
	v_mov_b32_e32 v6, 0
	s_and_saveexec_b64 s[24:25], s[4:5]
	s_cbranch_execz .LBB386_2229
; %bb.2224:                             ;   in Loop: Header=BB386_1010 Depth=1
	v_cmp_ne_u16_sdwa s[4:5], v3, s31 src0_sel:BYTE_0 src1_sel:DWORD
	v_bfrev_b32_e32 v6, 1
	s_and_saveexec_b64 s[26:27], s[4:5]
	s_cbranch_execz .LBB386_2228
; %bb.2225:                             ;   in Loop: Header=BB386_1010 Depth=1
	v_and_b32_e32 v18, 0x7f, v3
	v_cmp_ne_u32_e64 s[4:5], s34, v18
	v_mov_b32_e32 v6, 0x7f800001
	s_and_saveexec_b64 s[28:29], s[4:5]
	s_cbranch_execz .LBB386_2227
; %bb.2226:                             ;   in Loop: Header=BB386_1010 Depth=1
	v_and_b32_e32 v6, 7, v3
	v_ffbh_u32_e32 v6, v6
	v_min_u32_e32 v6, 32, v6
	v_lshrrev_b32_e32 v19, 3, v18
	v_cmp_gt_u32_e64 s[4:5], 8, v18
	v_subrev_u32_e32 v18, 28, v6
	v_sub_u32_e32 v6, 29, v6
	v_cndmask_b32_e64 v18, 0, v18, s[4:5]
	v_cndmask_b32_e64 v6, v19, v6, s[4:5]
	v_lshlrev_b64 v[18:19], v18, v[36:37]
	v_lshlrev_b32_e32 v18, 20, v18
	v_lshlrev_b32_e32 v19, 24, v36
	v_and_b32_e32 v18, 0x700000, v18
	v_and_b32_e32 v19, 0x80000000, v19
	v_lshl_add_u32 v6, v6, 23, v5
	v_or3_b32 v6, v19, v6, v18
.LBB386_2227:                           ;   in Loop: Header=BB386_1010 Depth=1
	s_or_b64 exec, exec, s[28:29]
.LBB386_2228:                           ;   in Loop: Header=BB386_1010 Depth=1
	s_or_b64 exec, exec, s[26:27]
.LBB386_2229:                           ;   in Loop: Header=BB386_1010 Depth=1
	s_or_b64 exec, exec, s[24:25]
	v_mul_f32_e32 v6, v9, v6
	v_and_b32_e32 v18, 0x7f800000, v6
	v_cmp_ne_u32_e64 s[4:5], s15, v18
                                        ; implicit-def: $vgpr18
	s_and_saveexec_b64 s[24:25], s[4:5]
	s_xor_b64 s[4:5], exec, s[24:25]
; %bb.2230:                             ;   in Loop: Header=BB386_1010 Depth=1
	v_bfe_u32 v18, v6, 16, 1
	v_add3_u32 v18, v6, v18, s30
                                        ; implicit-def: $vgpr6
; %bb.2231:                             ;   in Loop: Header=BB386_1010 Depth=1
	s_andn2_saveexec_b64 s[24:25], s[4:5]
; %bb.2232:                             ;   in Loop: Header=BB386_1010 Depth=1
	v_or_b32_e32 v18, 0x10000, v6
	v_cmp_eq_u32_sdwa s[4:5], v6, v37 src0_sel:WORD_0 src1_sel:DWORD
	v_cndmask_b32_e64 v18, v18, v6, s[4:5]
; %bb.2233:                             ;   in Loop: Header=BB386_1010 Depth=1
	s_or_b64 exec, exec, s[24:25]
	v_lshrrev_b16_e32 v6, 8, v36
	v_cmp_ne_u16_e64 s[4:5], 0, v6
	v_mov_b32_e32 v19, 0
	s_and_saveexec_b64 s[24:25], s[4:5]
	s_cbranch_execz .LBB386_2239
; %bb.2234:                             ;   in Loop: Header=BB386_1010 Depth=1
	v_cmp_ne_u16_e64 s[4:5], s31, v6
	v_bfrev_b32_e32 v19, 1
	s_and_saveexec_b64 s[26:27], s[4:5]
	s_cbranch_execz .LBB386_2238
; %bb.2235:                             ;   in Loop: Header=BB386_1010 Depth=1
	v_and_b32_e32 v23, 0x7f, v6
	v_cmp_ne_u32_e64 s[4:5], s34, v23
	v_mov_b32_e32 v19, 0x7f800001
	s_and_saveexec_b64 s[28:29], s[4:5]
	s_cbranch_execz .LBB386_2237
; %bb.2236:                             ;   in Loop: Header=BB386_1010 Depth=1
	v_and_b32_e32 v19, 7, v6
	v_lshrrev_b32_e32 v28, 3, v23
	v_cmp_gt_u32_e64 s[4:5], 8, v23
	v_ffbh_u32_e32 v23, v19
	v_min_u32_e32 v23, 32, v23
	v_subrev_u32_e32 v24, 28, v23
	v_lshlrev_b64 v[24:25], v24, v[6:7]
	v_sub_u32_e32 v6, 29, v23
	v_and_b32_e32 v23, 7, v24
	v_cndmask_b32_e64 v6, v28, v6, s[4:5]
	v_cndmask_b32_e64 v19, v19, v23, s[4:5]
	v_lshlrev_b32_e32 v23, 16, v36
	v_lshlrev_b32_e32 v19, 20, v19
	v_and_b32_e32 v23, 0x80000000, v23
	v_lshl_add_u32 v6, v6, 23, v5
	v_or3_b32 v19, v23, v6, v19
.LBB386_2237:                           ;   in Loop: Header=BB386_1010 Depth=1
	s_or_b64 exec, exec, s[28:29]
.LBB386_2238:                           ;   in Loop: Header=BB386_1010 Depth=1
	s_or_b64 exec, exec, s[26:27]
.LBB386_2239:                           ;   in Loop: Header=BB386_1010 Depth=1
	s_or_b64 exec, exec, s[24:25]
	v_mul_f32_e32 v6, v9, v19
	v_and_b32_e32 v19, 0x7f800000, v6
	v_cmp_ne_u32_e64 s[4:5], s15, v19
                                        ; implicit-def: $vgpr19
	s_and_saveexec_b64 s[24:25], s[4:5]
	s_xor_b64 s[4:5], exec, s[24:25]
; %bb.2240:                             ;   in Loop: Header=BB386_1010 Depth=1
	v_bfe_u32 v19, v6, 16, 1
	v_add3_u32 v19, v6, v19, s30
                                        ; implicit-def: $vgpr6
; %bb.2241:                             ;   in Loop: Header=BB386_1010 Depth=1
	s_andn2_saveexec_b64 s[24:25], s[4:5]
; %bb.2242:                             ;   in Loop: Header=BB386_1010 Depth=1
	v_or_b32_e32 v19, 0x10000, v6
	v_cmp_eq_u32_sdwa s[4:5], v6, v37 src0_sel:WORD_0 src1_sel:DWORD
	v_cndmask_b32_e64 v19, v19, v6, s[4:5]
; %bb.2243:                             ;   in Loop: Header=BB386_1010 Depth=1
	s_or_b64 exec, exec, s[24:25]
	v_lshrrev_b32_e32 v6, 16, v3
	v_cmp_ne_u16_sdwa s[4:5], v6, v37 src0_sel:BYTE_0 src1_sel:DWORD
	v_mov_b32_e32 v23, 0
	s_and_saveexec_b64 s[24:25], s[4:5]
	s_cbranch_execz .LBB386_2249
; %bb.2244:                             ;   in Loop: Header=BB386_1010 Depth=1
	v_cmp_ne_u16_sdwa s[4:5], v6, s31 src0_sel:BYTE_0 src1_sel:DWORD
	v_bfrev_b32_e32 v23, 1
	s_and_saveexec_b64 s[26:27], s[4:5]
	s_cbranch_execz .LBB386_2248
; %bb.2245:                             ;   in Loop: Header=BB386_1010 Depth=1
	v_bfe_u32 v24, v3, 16, 7
	v_cmp_ne_u32_e64 s[4:5], s34, v24
	v_mov_b32_e32 v23, 0x7f800001
	s_and_saveexec_b64 s[28:29], s[4:5]
	s_cbranch_execz .LBB386_2247
; %bb.2246:                             ;   in Loop: Header=BB386_1010 Depth=1
	v_and_b32_e32 v23, 7, v6
	v_lshrrev_b32_e32 v28, 3, v24
	v_cmp_gt_u32_e64 s[4:5], 8, v24
	v_ffbh_u32_e32 v24, v23
	v_min_u32_e32 v32, 32, v24
	v_subrev_u32_e32 v24, 28, v32
	v_lshlrev_b64 v[24:25], v24, v[6:7]
	v_sub_u32_e32 v25, 29, v32
	v_and_b32_e32 v24, 7, v24
	v_cndmask_b32_e64 v25, v28, v25, s[4:5]
	v_cndmask_b32_e64 v23, v23, v24, s[4:5]
	v_lshlrev_b32_e32 v6, 24, v6
	v_lshlrev_b32_e32 v23, 20, v23
	v_and_b32_e32 v6, 0x80000000, v6
	v_lshl_add_u32 v24, v25, 23, v5
	v_or3_b32 v23, v6, v24, v23
.LBB386_2247:                           ;   in Loop: Header=BB386_1010 Depth=1
	s_or_b64 exec, exec, s[28:29]
.LBB386_2248:                           ;   in Loop: Header=BB386_1010 Depth=1
	s_or_b64 exec, exec, s[26:27]
.LBB386_2249:                           ;   in Loop: Header=BB386_1010 Depth=1
	s_or_b64 exec, exec, s[24:25]
	v_mul_f32_e32 v23, v9, v23
	v_and_b32_e32 v6, 0x7f800000, v23
	v_cmp_ne_u32_e64 s[4:5], s15, v6
                                        ; implicit-def: $vgpr6
	s_and_saveexec_b64 s[24:25], s[4:5]
	s_xor_b64 s[4:5], exec, s[24:25]
; %bb.2250:                             ;   in Loop: Header=BB386_1010 Depth=1
	v_bfe_u32 v6, v23, 16, 1
	v_add3_u32 v6, v23, v6, s30
                                        ; implicit-def: $vgpr23
; %bb.2251:                             ;   in Loop: Header=BB386_1010 Depth=1
	s_andn2_saveexec_b64 s[24:25], s[4:5]
; %bb.2252:                             ;   in Loop: Header=BB386_1010 Depth=1
	v_or_b32_e32 v6, 0x10000, v23
	v_cmp_eq_u32_sdwa s[4:5], v23, v37 src0_sel:WORD_0 src1_sel:DWORD
	v_cndmask_b32_e64 v6, v6, v23, s[4:5]
; %bb.2253:                             ;   in Loop: Header=BB386_1010 Depth=1
	s_or_b64 exec, exec, s[24:25]
	v_cmp_lt_u64_e64 s[4:5], s[10:11], v[2:3]
	v_mov_b32_e32 v23, 0
	s_and_saveexec_b64 s[24:25], s[4:5]
	s_cbranch_execz .LBB386_2259
; %bb.2254:                             ;   in Loop: Header=BB386_1010 Depth=1
	v_lshrrev_b32_e32 v2, 24, v3
	v_cmp_ne_u32_e64 s[4:5], s31, v2
	v_bfrev_b32_e32 v23, 1
	s_and_saveexec_b64 s[26:27], s[4:5]
	s_cbranch_execz .LBB386_2258
; %bb.2255:                             ;   in Loop: Header=BB386_1010 Depth=1
	v_bfe_u32 v3, v3, 24, 7
	v_cmp_ne_u32_e64 s[4:5], s34, v3
	v_mov_b32_e32 v23, 0x7f800001
	s_and_saveexec_b64 s[28:29], s[4:5]
	s_cbranch_execz .LBB386_2257
; %bb.2256:                             ;   in Loop: Header=BB386_1010 Depth=1
	v_and_b32_e32 v23, 7, v2
	v_lshrrev_b32_e32 v28, 3, v3
	v_cmp_gt_u32_e64 s[4:5], 8, v3
	v_ffbh_u32_e32 v3, v23
	v_min_u32_e32 v3, 32, v3
	v_subrev_u32_e32 v24, 28, v3
	v_lshlrev_b64 v[24:25], v24, v[2:3]
	v_sub_u32_e32 v3, 29, v3
	v_and_b32_e32 v24, 7, v24
	v_cndmask_b32_e64 v3, v28, v3, s[4:5]
	v_cndmask_b32_e64 v23, v23, v24, s[4:5]
	v_lshlrev_b32_e32 v2, 24, v2
	v_lshlrev_b32_e32 v23, 20, v23
	v_and_b32_e32 v2, 0x80000000, v2
	v_lshl_add_u32 v3, v3, 23, v5
	v_or3_b32 v23, v2, v3, v23
.LBB386_2257:                           ;   in Loop: Header=BB386_1010 Depth=1
	s_or_b64 exec, exec, s[28:29]
.LBB386_2258:                           ;   in Loop: Header=BB386_1010 Depth=1
	s_or_b64 exec, exec, s[26:27]
.LBB386_2259:                           ;   in Loop: Header=BB386_1010 Depth=1
	s_or_b64 exec, exec, s[24:25]
	v_mul_f32_e32 v3, v9, v23
	v_and_b32_e32 v2, 0x7f800000, v3
	v_cmp_ne_u32_e64 s[4:5], s15, v2
                                        ; implicit-def: $vgpr2
	s_and_saveexec_b64 s[24:25], s[4:5]
	s_xor_b64 s[4:5], exec, s[24:25]
; %bb.2260:                             ;   in Loop: Header=BB386_1010 Depth=1
	v_bfe_u32 v2, v3, 16, 1
	v_add3_u32 v2, v3, v2, s30
                                        ; implicit-def: $vgpr3
; %bb.2261:                             ;   in Loop: Header=BB386_1010 Depth=1
	s_andn2_saveexec_b64 s[24:25], s[4:5]
; %bb.2262:                             ;   in Loop: Header=BB386_1010 Depth=1
	v_or_b32_e32 v2, 0x10000, v3
	v_cmp_eq_u32_sdwa s[4:5], v3, v37 src0_sel:WORD_0 src1_sel:DWORD
	v_cndmask_b32_e64 v2, v2, v3, s[4:5]
; %bb.2263:                             ;   in Loop: Header=BB386_1010 Depth=1
	s_or_b64 exec, exec, s[24:25]
	v_lshrrev_b32_e32 v19, 16, v19
	v_lshrrev_b32_e32 v18, 16, v18
	;; [unrolled: 1-line block ×8, first 2 shown]
	s_and_saveexec_b64 s[24:25], vcc
	s_cbranch_execz .LBB386_2265
; %bb.2264:                             ;   in Loop: Header=BB386_1010 Depth=1
	buffer_load_dword v12, off, s[0:3], s32 offset:196 ; 4-byte Folded Reload
	v_accvgpr_read_b32 v6, a54
	s_waitcnt vmcnt(0)
	v_cmp_lt_i32_e64 s[4:5], v53, v12
	v_cndmask_b32_e64 v3, 0, v3, s[4:5]
	v_cmp_lt_i32_e64 s[4:5], v6, v12
	v_accvgpr_read_b32 v6, a53
	v_cndmask_b32_e64 v13, 0, v13, s[4:5]
	v_cmp_lt_i32_e64 s[4:5], v6, v12
	v_accvgpr_read_b32 v6, a52
	;; [unrolled: 3-line block ×6, first 2 shown]
	v_cndmask_b32_e64 v16, 0, v16, s[4:5]
	v_cmp_lt_i32_e64 s[4:5], v6, v12
	v_cndmask_b32_e64 v2, 0, v2, s[4:5]
.LBB386_2265:                           ;   in Loop: Header=BB386_1010 Depth=1
	s_or_b64 exec, exec, s[24:25]
	v_lshlrev_b32_e32 v3, 16, v3
	v_mul_f32_e32 v6, v39, v3
	v_and_b32_e32 v3, 0x7f800000, v6
	v_cmp_ne_u32_e64 s[4:5], s15, v3
                                        ; implicit-def: $vgpr3
	s_and_saveexec_b64 s[24:25], s[4:5]
	s_xor_b64 s[4:5], exec, s[24:25]
; %bb.2266:                             ;   in Loop: Header=BB386_1010 Depth=1
	v_bfe_u32 v3, v6, 16, 1
	v_add3_u32 v3, v6, v3, s30
                                        ; implicit-def: $vgpr6
; %bb.2267:                             ;   in Loop: Header=BB386_1010 Depth=1
	s_andn2_saveexec_b64 s[24:25], s[4:5]
; %bb.2268:                             ;   in Loop: Header=BB386_1010 Depth=1
	v_or_b32_e32 v3, 0x10000, v6
	v_cmp_eq_u32_sdwa s[4:5], v6, v37 src0_sel:WORD_0 src1_sel:DWORD
	v_cndmask_b32_e64 v3, v3, v6, s[4:5]
; %bb.2269:                             ;   in Loop: Header=BB386_1010 Depth=1
	s_or_b64 exec, exec, s[24:25]
	v_lshlrev_b32_e32 v6, 16, v13
	v_mul_f32_e32 v12, v31, v6
	v_and_b32_e32 v6, 0x7f800000, v12
	v_cmp_ne_u32_e64 s[4:5], s15, v6
                                        ; implicit-def: $vgpr6
	s_and_saveexec_b64 s[24:25], s[4:5]
	s_xor_b64 s[4:5], exec, s[24:25]
; %bb.2270:                             ;   in Loop: Header=BB386_1010 Depth=1
	v_bfe_u32 v6, v12, 16, 1
	v_add3_u32 v6, v12, v6, s30
                                        ; implicit-def: $vgpr12
; %bb.2271:                             ;   in Loop: Header=BB386_1010 Depth=1
	s_andn2_saveexec_b64 s[24:25], s[4:5]
; %bb.2272:                             ;   in Loop: Header=BB386_1010 Depth=1
	v_or_b32_e32 v6, 0x10000, v12
	v_cmp_eq_u32_sdwa s[4:5], v12, v37 src0_sel:WORD_0 src1_sel:DWORD
	v_cndmask_b32_e64 v6, v6, v12, s[4:5]
; %bb.2273:                             ;   in Loop: Header=BB386_1010 Depth=1
	s_or_b64 exec, exec, s[24:25]
	v_lshlrev_b32_e32 v12, 16, v23
	v_mul_f32_e32 v12, v30, v12
	v_and_b32_e32 v13, 0x7f800000, v12
	v_cmp_ne_u32_e64 s[4:5], s15, v13
                                        ; implicit-def: $vgpr57
	s_and_saveexec_b64 s[24:25], s[4:5]
	s_xor_b64 s[4:5], exec, s[24:25]
; %bb.2274:                             ;   in Loop: Header=BB386_1010 Depth=1
	v_bfe_u32 v13, v12, 16, 1
	v_add3_u32 v57, v12, v13, s30
                                        ; implicit-def: $vgpr12
; %bb.2275:                             ;   in Loop: Header=BB386_1010 Depth=1
	s_andn2_saveexec_b64 s[24:25], s[4:5]
; %bb.2276:                             ;   in Loop: Header=BB386_1010 Depth=1
	v_or_b32_e32 v13, 0x10000, v12
	v_cmp_eq_u32_sdwa s[4:5], v12, v37 src0_sel:WORD_0 src1_sel:DWORD
	v_cndmask_b32_e64 v57, v13, v12, s[4:5]
; %bb.2277:                             ;   in Loop: Header=BB386_1010 Depth=1
	s_or_b64 exec, exec, s[24:25]
	v_lshlrev_b32_e32 v12, 16, v17
	v_mul_f32_e32 v12, v49, v12
	v_and_b32_e32 v13, 0x7f800000, v12
	v_cmp_ne_u32_e64 s[4:5], s15, v13
                                        ; implicit-def: $vgpr58
	s_and_saveexec_b64 s[24:25], s[4:5]
	s_xor_b64 s[4:5], exec, s[24:25]
; %bb.2278:                             ;   in Loop: Header=BB386_1010 Depth=1
	v_bfe_u32 v13, v12, 16, 1
	v_add3_u32 v58, v12, v13, s30
                                        ; implicit-def: $vgpr12
; %bb.2279:                             ;   in Loop: Header=BB386_1010 Depth=1
	s_andn2_saveexec_b64 s[24:25], s[4:5]
; %bb.2280:                             ;   in Loop: Header=BB386_1010 Depth=1
	v_or_b32_e32 v13, 0x10000, v12
	v_cmp_eq_u32_sdwa s[4:5], v12, v37 src0_sel:WORD_0 src1_sel:DWORD
	v_cndmask_b32_e64 v58, v13, v12, s[4:5]
; %bb.2281:                             ;   in Loop: Header=BB386_1010 Depth=1
	s_or_b64 exec, exec, s[24:25]
	v_lshlrev_b32_e32 v12, 16, v18
	v_mul_f32_e32 v13, v51, v12
	v_and_b32_e32 v12, 0x7f800000, v13
	v_cmp_ne_u32_e64 s[4:5], s15, v12
                                        ; implicit-def: $vgpr12
	s_and_saveexec_b64 s[24:25], s[4:5]
	s_xor_b64 s[4:5], exec, s[24:25]
; %bb.2282:                             ;   in Loop: Header=BB386_1010 Depth=1
	v_bfe_u32 v12, v13, 16, 1
	v_add3_u32 v12, v13, v12, s30
                                        ; implicit-def: $vgpr13
; %bb.2283:                             ;   in Loop: Header=BB386_1010 Depth=1
	s_andn2_saveexec_b64 s[24:25], s[4:5]
; %bb.2284:                             ;   in Loop: Header=BB386_1010 Depth=1
	v_or_b32_e32 v12, 0x10000, v13
	v_cmp_eq_u32_sdwa s[4:5], v13, v37 src0_sel:WORD_0 src1_sel:DWORD
	v_cndmask_b32_e64 v12, v12, v13, s[4:5]
; %bb.2285:                             ;   in Loop: Header=BB386_1010 Depth=1
	s_or_b64 exec, exec, s[24:25]
	v_lshlrev_b32_e32 v13, 16, v19
	v_mul_f32_e32 v17, v54, v13
	v_and_b32_e32 v13, 0x7f800000, v17
	v_cmp_ne_u32_e64 s[4:5], s15, v13
                                        ; implicit-def: $vgpr13
	s_and_saveexec_b64 s[24:25], s[4:5]
	s_xor_b64 s[4:5], exec, s[24:25]
; %bb.2286:                             ;   in Loop: Header=BB386_1010 Depth=1
	v_bfe_u32 v13, v17, 16, 1
	v_add3_u32 v13, v17, v13, s30
                                        ; implicit-def: $vgpr17
; %bb.2287:                             ;   in Loop: Header=BB386_1010 Depth=1
	s_andn2_saveexec_b64 s[24:25], s[4:5]
; %bb.2288:                             ;   in Loop: Header=BB386_1010 Depth=1
	v_or_b32_e32 v13, 0x10000, v17
	v_cmp_eq_u32_sdwa s[4:5], v17, v37 src0_sel:WORD_0 src1_sel:DWORD
	v_cndmask_b32_e64 v13, v13, v17, s[4:5]
; %bb.2289:                             ;   in Loop: Header=BB386_1010 Depth=1
	s_or_b64 exec, exec, s[24:25]
	v_lshlrev_b32_e32 v16, 16, v16
	v_mul_f32_e32 v17, v27, v16
	v_and_b32_e32 v16, 0x7f800000, v17
	v_cmp_ne_u32_e64 s[4:5], s15, v16
                                        ; implicit-def: $vgpr16
	s_and_saveexec_b64 s[24:25], s[4:5]
	s_xor_b64 s[4:5], exec, s[24:25]
; %bb.2290:                             ;   in Loop: Header=BB386_1010 Depth=1
	v_bfe_u32 v16, v17, 16, 1
	v_add3_u32 v16, v17, v16, s30
                                        ; implicit-def: $vgpr17
; %bb.2291:                             ;   in Loop: Header=BB386_1010 Depth=1
	s_andn2_saveexec_b64 s[24:25], s[4:5]
; %bb.2292:                             ;   in Loop: Header=BB386_1010 Depth=1
	v_or_b32_e32 v16, 0x10000, v17
	v_cmp_eq_u32_sdwa s[4:5], v17, v37 src0_sel:WORD_0 src1_sel:DWORD
	v_cndmask_b32_e64 v16, v16, v17, s[4:5]
; %bb.2293:                             ;   in Loop: Header=BB386_1010 Depth=1
	s_or_b64 exec, exec, s[24:25]
	v_lshlrev_b32_e32 v2, 16, v2
	v_mul_f32_e32 v2, v26, v2
	v_and_b32_e32 v17, 0x7f800000, v2
	v_cmp_ne_u32_e64 s[4:5], s15, v17
                                        ; implicit-def: $vgpr17
	s_and_saveexec_b64 s[24:25], s[4:5]
	s_xor_b64 s[4:5], exec, s[24:25]
; %bb.2294:                             ;   in Loop: Header=BB386_1010 Depth=1
	v_bfe_u32 v17, v2, 16, 1
	v_add3_u32 v17, v2, v17, s30
                                        ; implicit-def: $vgpr2
; %bb.2295:                             ;   in Loop: Header=BB386_1010 Depth=1
	s_andn2_saveexec_b64 s[24:25], s[4:5]
; %bb.2296:                             ;   in Loop: Header=BB386_1010 Depth=1
	v_or_b32_e32 v17, 0x10000, v2
	v_cmp_eq_u32_sdwa s[4:5], v2, v37 src0_sel:WORD_0 src1_sel:DWORD
	v_cndmask_b32_e64 v17, v17, v2, s[4:5]
; %bb.2297:                             ;   in Loop: Header=BB386_1010 Depth=1
	s_or_b64 exec, exec, s[24:25]
	buffer_load_dword v18, off, s[0:3], s32 offset:368 ; 4-byte Folded Reload
	buffer_load_dword v19, off, s[0:3], s32 offset:372 ; 4-byte Folded Reload
	v_mov_b32_e32 v2, 0
	s_waitcnt vmcnt(1)
	v_add_co_u32_e64 v0, s[4:5], v0, v18
	v_addc_co_u32_e64 v1, s[4:5], 0, v1, s[4:5]
	flat_load_dwordx2 v[0:1], v[0:1]
	s_waitcnt vmcnt(0) lgkmcnt(0)
	v_cmp_ne_u16_sdwa s[4:5], v0, v37 src0_sel:BYTE_0 src1_sel:DWORD
	s_and_saveexec_b64 s[24:25], s[4:5]
	s_cbranch_execz .LBB386_2303
; %bb.2298:                             ;   in Loop: Header=BB386_1010 Depth=1
	v_cmp_ne_u16_sdwa s[4:5], v0, s31 src0_sel:BYTE_0 src1_sel:DWORD
	v_bfrev_b32_e32 v2, 1
	s_and_saveexec_b64 s[26:27], s[4:5]
	s_cbranch_execz .LBB386_2302
; %bb.2299:                             ;   in Loop: Header=BB386_1010 Depth=1
	v_and_b32_e32 v18, 0x7f, v0
	v_cmp_ne_u32_e64 s[4:5], s34, v18
	v_mov_b32_e32 v2, 0x7f800001
	s_and_saveexec_b64 s[28:29], s[4:5]
	s_cbranch_execz .LBB386_2301
; %bb.2300:                             ;   in Loop: Header=BB386_1010 Depth=1
	v_and_b32_e32 v2, 7, v0
	v_ffbh_u32_e32 v2, v2
	v_min_u32_e32 v2, 32, v2
	v_lshrrev_b32_e32 v19, 3, v18
	v_cmp_gt_u32_e64 s[4:5], 8, v18
	v_subrev_u32_e32 v18, 28, v2
	v_sub_u32_e32 v2, 29, v2
	v_cndmask_b32_e64 v18, 0, v18, s[4:5]
	v_cndmask_b32_e64 v2, v19, v2, s[4:5]
	v_lshlrev_b64 v[18:19], v18, v[0:1]
	v_lshlrev_b32_e32 v18, 20, v18
	v_lshlrev_b32_e32 v19, 24, v0
	v_and_b32_e32 v18, 0x700000, v18
	v_and_b32_e32 v19, 0x80000000, v19
	v_lshl_add_u32 v2, v2, 23, v5
	v_or3_b32 v2, v19, v2, v18
.LBB386_2301:                           ;   in Loop: Header=BB386_1010 Depth=1
	s_or_b64 exec, exec, s[28:29]
.LBB386_2302:                           ;   in Loop: Header=BB386_1010 Depth=1
	s_or_b64 exec, exec, s[26:27]
.LBB386_2303:                           ;   in Loop: Header=BB386_1010 Depth=1
	s_or_b64 exec, exec, s[24:25]
	v_mul_f32_e32 v2, v9, v2
	v_and_b32_e32 v18, 0x7f800000, v2
	v_cmp_ne_u32_e64 s[4:5], s15, v18
                                        ; implicit-def: $vgpr28
	s_and_saveexec_b64 s[24:25], s[4:5]
	s_xor_b64 s[4:5], exec, s[24:25]
; %bb.2304:                             ;   in Loop: Header=BB386_1010 Depth=1
	v_bfe_u32 v18, v2, 16, 1
	v_add3_u32 v28, v2, v18, s30
                                        ; implicit-def: $vgpr2
; %bb.2305:                             ;   in Loop: Header=BB386_1010 Depth=1
	s_andn2_saveexec_b64 s[24:25], s[4:5]
; %bb.2306:                             ;   in Loop: Header=BB386_1010 Depth=1
	v_or_b32_e32 v18, 0x10000, v2
	v_cmp_eq_u32_sdwa s[4:5], v2, v37 src0_sel:WORD_0 src1_sel:DWORD
	v_cndmask_b32_e64 v28, v18, v2, s[4:5]
; %bb.2307:                             ;   in Loop: Header=BB386_1010 Depth=1
	s_or_b64 exec, exec, s[24:25]
	v_lshrrev_b16_e32 v2, 8, v0
	v_cmp_ne_u16_e64 s[4:5], 0, v2
	v_mov_b32_e32 v18, 0
	s_and_saveexec_b64 s[24:25], s[4:5]
	s_cbranch_execz .LBB386_2313
; %bb.2308:                             ;   in Loop: Header=BB386_1010 Depth=1
	v_cmp_ne_u16_e64 s[4:5], s31, v2
	v_bfrev_b32_e32 v18, 1
	s_and_saveexec_b64 s[26:27], s[4:5]
	s_cbranch_execz .LBB386_2312
; %bb.2309:                             ;   in Loop: Header=BB386_1010 Depth=1
	v_and_b32_e32 v19, 0x7f, v2
	v_cmp_ne_u32_e64 s[4:5], s34, v19
	v_mov_b32_e32 v18, 0x7f800001
	s_and_saveexec_b64 s[28:29], s[4:5]
	s_cbranch_execz .LBB386_2311
; %bb.2310:                             ;   in Loop: Header=BB386_1010 Depth=1
	v_and_b32_e32 v23, 7, v2
	v_ffbh_u32_e32 v18, v23
	v_min_u32_e32 v25, 32, v18
	v_subrev_u32_e32 v18, 28, v25
	v_lshrrev_b32_e32 v24, 3, v19
	v_cmp_gt_u32_e64 s[4:5], 8, v19
	v_lshlrev_b64 v[18:19], v18, v[2:3]
	v_sub_u32_e32 v2, 29, v25
	v_and_b32_e32 v18, 7, v18
	v_cndmask_b32_e64 v2, v24, v2, s[4:5]
	v_cndmask_b32_e64 v18, v23, v18, s[4:5]
	v_lshlrev_b32_e32 v19, 16, v0
	v_lshlrev_b32_e32 v18, 20, v18
	v_and_b32_e32 v19, 0x80000000, v19
	v_lshl_add_u32 v2, v2, 23, v5
	v_or3_b32 v18, v19, v2, v18
.LBB386_2311:                           ;   in Loop: Header=BB386_1010 Depth=1
	s_or_b64 exec, exec, s[28:29]
.LBB386_2312:                           ;   in Loop: Header=BB386_1010 Depth=1
	s_or_b64 exec, exec, s[26:27]
.LBB386_2313:                           ;   in Loop: Header=BB386_1010 Depth=1
	s_or_b64 exec, exec, s[24:25]
	v_mul_f32_e32 v2, v9, v18
	v_and_b32_e32 v18, 0x7f800000, v2
	v_cmp_ne_u32_e64 s[4:5], s15, v18
                                        ; implicit-def: $vgpr18
	s_and_saveexec_b64 s[24:25], s[4:5]
	s_xor_b64 s[4:5], exec, s[24:25]
; %bb.2314:                             ;   in Loop: Header=BB386_1010 Depth=1
	v_bfe_u32 v18, v2, 16, 1
	v_add3_u32 v18, v2, v18, s30
                                        ; implicit-def: $vgpr2
; %bb.2315:                             ;   in Loop: Header=BB386_1010 Depth=1
	s_andn2_saveexec_b64 s[24:25], s[4:5]
; %bb.2316:                             ;   in Loop: Header=BB386_1010 Depth=1
	v_or_b32_e32 v18, 0x10000, v2
	v_cmp_eq_u32_sdwa s[4:5], v2, v37 src0_sel:WORD_0 src1_sel:DWORD
	v_cndmask_b32_e64 v18, v18, v2, s[4:5]
; %bb.2317:                             ;   in Loop: Header=BB386_1010 Depth=1
	s_or_b64 exec, exec, s[24:25]
	v_lshrrev_b32_e32 v2, 16, v0
	v_cmp_ne_u16_sdwa s[4:5], v2, v37 src0_sel:BYTE_0 src1_sel:DWORD
	v_mov_b32_e32 v19, 0
	s_and_saveexec_b64 s[24:25], s[4:5]
	s_cbranch_execz .LBB386_2323
; %bb.2318:                             ;   in Loop: Header=BB386_1010 Depth=1
	v_cmp_ne_u16_sdwa s[4:5], v2, s31 src0_sel:BYTE_0 src1_sel:DWORD
	v_bfrev_b32_e32 v19, 1
	s_and_saveexec_b64 s[26:27], s[4:5]
	s_cbranch_execz .LBB386_2322
; %bb.2319:                             ;   in Loop: Header=BB386_1010 Depth=1
	v_bfe_u32 v23, v0, 16, 7
	v_cmp_ne_u32_e64 s[4:5], s34, v23
	v_mov_b32_e32 v19, 0x7f800001
	s_and_saveexec_b64 s[28:29], s[4:5]
	s_cbranch_execz .LBB386_2321
; %bb.2320:                             ;   in Loop: Header=BB386_1010 Depth=1
	v_and_b32_e32 v19, 7, v2
	v_lshrrev_b32_e32 v32, 3, v23
	v_cmp_gt_u32_e64 s[4:5], 8, v23
	v_ffbh_u32_e32 v23, v19
	v_min_u32_e32 v23, 32, v23
	v_subrev_u32_e32 v24, 28, v23
	v_lshlrev_b64 v[24:25], v24, v[2:3]
	v_sub_u32_e32 v23, 29, v23
	v_and_b32_e32 v24, 7, v24
	v_cndmask_b32_e64 v23, v32, v23, s[4:5]
	v_cndmask_b32_e64 v19, v19, v24, s[4:5]
	v_lshlrev_b32_e32 v2, 24, v2
	v_lshlrev_b32_e32 v19, 20, v19
	v_and_b32_e32 v2, 0x80000000, v2
	v_lshl_add_u32 v23, v23, 23, v5
	v_or3_b32 v19, v2, v23, v19
.LBB386_2321:                           ;   in Loop: Header=BB386_1010 Depth=1
	s_or_b64 exec, exec, s[28:29]
.LBB386_2322:                           ;   in Loop: Header=BB386_1010 Depth=1
	s_or_b64 exec, exec, s[26:27]
.LBB386_2323:                           ;   in Loop: Header=BB386_1010 Depth=1
	s_or_b64 exec, exec, s[24:25]
	v_mul_f32_e32 v2, v9, v19
	v_and_b32_e32 v19, 0x7f800000, v2
	v_cmp_ne_u32_e64 s[4:5], s15, v19
                                        ; implicit-def: $vgpr19
	s_and_saveexec_b64 s[24:25], s[4:5]
	s_xor_b64 s[4:5], exec, s[24:25]
; %bb.2324:                             ;   in Loop: Header=BB386_1010 Depth=1
	v_bfe_u32 v19, v2, 16, 1
	v_add3_u32 v19, v2, v19, s30
                                        ; implicit-def: $vgpr2
; %bb.2325:                             ;   in Loop: Header=BB386_1010 Depth=1
	s_andn2_saveexec_b64 s[24:25], s[4:5]
; %bb.2326:                             ;   in Loop: Header=BB386_1010 Depth=1
	v_or_b32_e32 v19, 0x10000, v2
	v_cmp_eq_u32_sdwa s[4:5], v2, v37 src0_sel:WORD_0 src1_sel:DWORD
	v_cndmask_b32_e64 v19, v19, v2, s[4:5]
; %bb.2327:                             ;   in Loop: Header=BB386_1010 Depth=1
	s_or_b64 exec, exec, s[24:25]
	v_cmp_lt_u32_e64 s[4:5], s11, v0
	v_mov_b32_e32 v23, 0
	s_and_saveexec_b64 s[24:25], s[4:5]
	s_cbranch_execz .LBB386_2333
; %bb.2328:                             ;   in Loop: Header=BB386_1010 Depth=1
	v_lshrrev_b32_e32 v2, 24, v0
	v_cmp_ne_u32_e64 s[4:5], s31, v2
	v_bfrev_b32_e32 v23, 1
	s_and_saveexec_b64 s[26:27], s[4:5]
	s_cbranch_execz .LBB386_2332
; %bb.2329:                             ;   in Loop: Header=BB386_1010 Depth=1
	v_bfe_u32 v24, v0, 24, 7
	v_cmp_ne_u32_e64 s[4:5], s34, v24
	v_mov_b32_e32 v23, 0x7f800001
	s_and_saveexec_b64 s[28:29], s[4:5]
	s_cbranch_execz .LBB386_2331
; %bb.2330:                             ;   in Loop: Header=BB386_1010 Depth=1
	v_and_b32_e32 v23, 7, v2
	v_lshrrev_b32_e32 v32, 3, v24
	v_cmp_gt_u32_e64 s[4:5], 8, v24
	v_ffbh_u32_e32 v24, v23
	v_mov_b32_e32 v36, v33
	v_min_u32_e32 v33, 32, v24
	v_subrev_u32_e32 v24, 28, v33
	v_lshlrev_b64 v[24:25], v24, v[2:3]
	v_sub_u32_e32 v25, 29, v33
	v_and_b32_e32 v24, 7, v24
	v_cndmask_b32_e64 v25, v32, v25, s[4:5]
	v_cndmask_b32_e64 v23, v23, v24, s[4:5]
	v_lshlrev_b32_e32 v2, 24, v2
	v_lshlrev_b32_e32 v23, 20, v23
	v_and_b32_e32 v2, 0x80000000, v2
	v_lshl_add_u32 v24, v25, 23, v5
	v_mov_b32_e32 v33, v36
	v_or3_b32 v23, v2, v24, v23
.LBB386_2331:                           ;   in Loop: Header=BB386_1010 Depth=1
	s_or_b64 exec, exec, s[28:29]
.LBB386_2332:                           ;   in Loop: Header=BB386_1010 Depth=1
	s_or_b64 exec, exec, s[26:27]
.LBB386_2333:                           ;   in Loop: Header=BB386_1010 Depth=1
	s_or_b64 exec, exec, s[24:25]
	v_mul_f32_e32 v2, v9, v23
	v_and_b32_e32 v23, 0x7f800000, v2
	v_cmp_ne_u32_e64 s[4:5], s15, v23
                                        ; implicit-def: $vgpr24
	s_and_saveexec_b64 s[24:25], s[4:5]
	s_xor_b64 s[4:5], exec, s[24:25]
; %bb.2334:                             ;   in Loop: Header=BB386_1010 Depth=1
	v_bfe_u32 v23, v2, 16, 1
	v_add3_u32 v24, v2, v23, s30
                                        ; implicit-def: $vgpr2
; %bb.2335:                             ;   in Loop: Header=BB386_1010 Depth=1
	s_andn2_saveexec_b64 s[24:25], s[4:5]
; %bb.2336:                             ;   in Loop: Header=BB386_1010 Depth=1
	v_or_b32_e32 v23, 0x10000, v2
	v_cmp_eq_u32_sdwa s[4:5], v2, v37 src0_sel:WORD_0 src1_sel:DWORD
	v_cndmask_b32_e64 v24, v23, v2, s[4:5]
; %bb.2337:                             ;   in Loop: Header=BB386_1010 Depth=1
	s_or_b64 exec, exec, s[24:25]
	v_mov_b32_e32 v36, v1
	v_cmp_ne_u16_sdwa s[4:5], v1, v37 src0_sel:BYTE_0 src1_sel:DWORD
	v_mov_b32_e32 v2, 0
	s_and_saveexec_b64 s[24:25], s[4:5]
	s_cbranch_execz .LBB386_2343
; %bb.2338:                             ;   in Loop: Header=BB386_1010 Depth=1
	v_cmp_ne_u16_sdwa s[4:5], v1, s31 src0_sel:BYTE_0 src1_sel:DWORD
	v_bfrev_b32_e32 v2, 1
	s_and_saveexec_b64 s[26:27], s[4:5]
	s_cbranch_execz .LBB386_2342
; %bb.2339:                             ;   in Loop: Header=BB386_1010 Depth=1
	v_and_b32_e32 v23, 0x7f, v1
	v_cmp_ne_u32_e64 s[4:5], s34, v23
	v_mov_b32_e32 v2, 0x7f800001
	s_and_saveexec_b64 s[28:29], s[4:5]
	s_cbranch_execz .LBB386_2341
; %bb.2340:                             ;   in Loop: Header=BB386_1010 Depth=1
	v_and_b32_e32 v2, 7, v1
	v_ffbh_u32_e32 v2, v2
	v_min_u32_e32 v2, 32, v2
	v_lshrrev_b32_e32 v25, 3, v23
	v_cmp_gt_u32_e64 s[4:5], 8, v23
	v_subrev_u32_e32 v23, 28, v2
	v_sub_u32_e32 v2, 29, v2
	v_cndmask_b32_e64 v23, 0, v23, s[4:5]
	v_cndmask_b32_e64 v2, v25, v2, s[4:5]
	v_mov_b32_e32 v25, v33
	v_lshlrev_b64 v[32:33], v23, v[36:37]
	v_mov_b32_e32 v33, v25
	v_lshlrev_b32_e32 v23, 20, v32
	v_lshlrev_b32_e32 v25, 24, v36
	v_and_b32_e32 v23, 0x700000, v23
	v_and_b32_e32 v25, 0x80000000, v25
	v_lshl_add_u32 v2, v2, 23, v5
	v_or3_b32 v2, v25, v2, v23
.LBB386_2341:                           ;   in Loop: Header=BB386_1010 Depth=1
	s_or_b64 exec, exec, s[28:29]
.LBB386_2342:                           ;   in Loop: Header=BB386_1010 Depth=1
	s_or_b64 exec, exec, s[26:27]
.LBB386_2343:                           ;   in Loop: Header=BB386_1010 Depth=1
	s_or_b64 exec, exec, s[24:25]
	v_mul_f32_e32 v2, v9, v2
	v_and_b32_e32 v23, 0x7f800000, v2
	v_cmp_ne_u32_e64 s[4:5], s15, v23
                                        ; implicit-def: $vgpr25
	s_and_saveexec_b64 s[24:25], s[4:5]
	s_xor_b64 s[4:5], exec, s[24:25]
; %bb.2344:                             ;   in Loop: Header=BB386_1010 Depth=1
	v_bfe_u32 v23, v2, 16, 1
	v_add3_u32 v25, v2, v23, s30
                                        ; implicit-def: $vgpr2
; %bb.2345:                             ;   in Loop: Header=BB386_1010 Depth=1
	s_andn2_saveexec_b64 s[24:25], s[4:5]
; %bb.2346:                             ;   in Loop: Header=BB386_1010 Depth=1
	v_or_b32_e32 v23, 0x10000, v2
	v_cmp_eq_u32_sdwa s[4:5], v2, v37 src0_sel:WORD_0 src1_sel:DWORD
	v_cndmask_b32_e64 v25, v23, v2, s[4:5]
; %bb.2347:                             ;   in Loop: Header=BB386_1010 Depth=1
	s_or_b64 exec, exec, s[24:25]
	v_lshrrev_b16_e32 v2, 8, v36
	v_cmp_ne_u16_e64 s[4:5], 0, v2
	v_mov_b32_e32 v23, 0
	s_and_saveexec_b64 s[24:25], s[4:5]
	s_cbranch_execz .LBB386_2353
; %bb.2348:                             ;   in Loop: Header=BB386_1010 Depth=1
	v_cmp_ne_u16_e64 s[4:5], s31, v2
	v_bfrev_b32_e32 v23, 1
	s_and_saveexec_b64 s[26:27], s[4:5]
	s_cbranch_execz .LBB386_2352
; %bb.2349:                             ;   in Loop: Header=BB386_1010 Depth=1
	v_and_b32_e32 v32, 0x7f, v2
	v_cmp_ne_u32_e64 s[4:5], s34, v32
	v_mov_b32_e32 v23, 0x7f800001
	s_and_saveexec_b64 s[28:29], s[4:5]
	s_cbranch_execz .LBB386_2351
; %bb.2350:                             ;   in Loop: Header=BB386_1010 Depth=1
	v_and_b32_e32 v23, 7, v2
	v_accvgpr_write_b32 a20, v34
	v_accvgpr_write_b32 a21, v35
	v_lshrrev_b32_e32 v34, 3, v32
	v_cmp_gt_u32_e64 s[4:5], 8, v32
	v_ffbh_u32_e32 v32, v23
	v_min_u32_e32 v35, 32, v32
	v_subrev_u32_e32 v32, 28, v35
	v_accvgpr_write_b32 a14, v33
	v_lshlrev_b64 v[32:33], v32, v[2:3]
	v_sub_u32_e32 v2, 29, v35
	v_and_b32_e32 v32, 7, v32
	v_cndmask_b32_e64 v2, v34, v2, s[4:5]
	v_cndmask_b32_e64 v23, v23, v32, s[4:5]
	v_lshlrev_b32_e32 v32, 16, v36
	v_accvgpr_read_b32 v35, a21
	v_lshlrev_b32_e32 v23, 20, v23
	v_and_b32_e32 v32, 0x80000000, v32
	v_lshl_add_u32 v2, v2, 23, v5
	v_accvgpr_read_b32 v33, a14
	v_accvgpr_read_b32 v34, a20
	v_or3_b32 v23, v32, v2, v23
.LBB386_2351:                           ;   in Loop: Header=BB386_1010 Depth=1
	s_or_b64 exec, exec, s[28:29]
.LBB386_2352:                           ;   in Loop: Header=BB386_1010 Depth=1
	s_or_b64 exec, exec, s[26:27]
.LBB386_2353:                           ;   in Loop: Header=BB386_1010 Depth=1
	s_or_b64 exec, exec, s[24:25]
	v_mul_f32_e32 v2, v9, v23
	v_and_b32_e32 v23, 0x7f800000, v2
	v_cmp_ne_u32_e64 s[4:5], s15, v23
                                        ; implicit-def: $vgpr36
	s_and_saveexec_b64 s[24:25], s[4:5]
	s_xor_b64 s[4:5], exec, s[24:25]
; %bb.2354:                             ;   in Loop: Header=BB386_1010 Depth=1
	v_bfe_u32 v23, v2, 16, 1
	v_add3_u32 v36, v2, v23, s30
                                        ; implicit-def: $vgpr2
; %bb.2355:                             ;   in Loop: Header=BB386_1010 Depth=1
	s_andn2_saveexec_b64 s[24:25], s[4:5]
; %bb.2356:                             ;   in Loop: Header=BB386_1010 Depth=1
	v_or_b32_e32 v23, 0x10000, v2
	v_cmp_eq_u32_sdwa s[4:5], v2, v37 src0_sel:WORD_0 src1_sel:DWORD
	v_cndmask_b32_e64 v36, v23, v2, s[4:5]
; %bb.2357:                             ;   in Loop: Header=BB386_1010 Depth=1
	s_or_b64 exec, exec, s[24:25]
	v_lshrrev_b32_e32 v2, 16, v1
	v_cmp_ne_u16_sdwa s[4:5], v2, v37 src0_sel:BYTE_0 src1_sel:DWORD
	v_mov_b32_e32 v23, 0
	s_and_saveexec_b64 s[24:25], s[4:5]
	s_cbranch_execz .LBB386_2363
; %bb.2358:                             ;   in Loop: Header=BB386_1010 Depth=1
	v_cmp_ne_u16_sdwa s[4:5], v2, s31 src0_sel:BYTE_0 src1_sel:DWORD
	v_bfrev_b32_e32 v23, 1
	s_and_saveexec_b64 s[26:27], s[4:5]
	s_cbranch_execz .LBB386_2362
; %bb.2359:                             ;   in Loop: Header=BB386_1010 Depth=1
	v_bfe_u32 v32, v1, 16, 7
	v_cmp_ne_u32_e64 s[4:5], s34, v32
	v_mov_b32_e32 v23, 0x7f800001
	s_and_saveexec_b64 s[28:29], s[4:5]
	s_cbranch_execz .LBB386_2361
; %bb.2360:                             ;   in Loop: Header=BB386_1010 Depth=1
	v_and_b32_e32 v23, 7, v2
	v_accvgpr_write_b32 a20, v34
	v_accvgpr_write_b32 a21, v35
	v_lshrrev_b32_e32 v34, 3, v32
	v_cmp_gt_u32_e64 s[4:5], 8, v32
	v_ffbh_u32_e32 v32, v23
	v_min_u32_e32 v35, 32, v32
	v_subrev_u32_e32 v32, 28, v35
	v_accvgpr_write_b32 a14, v33
	v_lshlrev_b64 v[32:33], v32, v[2:3]
	v_sub_u32_e32 v33, 29, v35
	v_and_b32_e32 v32, 7, v32
	v_cndmask_b32_e64 v33, v34, v33, s[4:5]
	v_cndmask_b32_e64 v23, v23, v32, s[4:5]
	v_lshlrev_b32_e32 v2, 24, v2
	v_accvgpr_read_b32 v35, a21
	v_lshlrev_b32_e32 v23, 20, v23
	v_and_b32_e32 v2, 0x80000000, v2
	v_lshl_add_u32 v32, v33, 23, v5
	v_accvgpr_read_b32 v34, a20
	v_accvgpr_read_b32 v33, a14
	v_or3_b32 v23, v2, v32, v23
.LBB386_2361:                           ;   in Loop: Header=BB386_1010 Depth=1
	s_or_b64 exec, exec, s[28:29]
.LBB386_2362:                           ;   in Loop: Header=BB386_1010 Depth=1
	s_or_b64 exec, exec, s[26:27]
.LBB386_2363:                           ;   in Loop: Header=BB386_1010 Depth=1
	s_or_b64 exec, exec, s[24:25]
	v_mul_f32_e32 v23, v9, v23
	v_and_b32_e32 v2, 0x7f800000, v23
	v_cmp_ne_u32_e64 s[4:5], s15, v2
                                        ; implicit-def: $vgpr2
	s_and_saveexec_b64 s[24:25], s[4:5]
	s_xor_b64 s[4:5], exec, s[24:25]
; %bb.2364:                             ;   in Loop: Header=BB386_1010 Depth=1
	v_bfe_u32 v2, v23, 16, 1
	v_add3_u32 v2, v23, v2, s30
                                        ; implicit-def: $vgpr23
; %bb.2365:                             ;   in Loop: Header=BB386_1010 Depth=1
	s_andn2_saveexec_b64 s[24:25], s[4:5]
; %bb.2366:                             ;   in Loop: Header=BB386_1010 Depth=1
	v_or_b32_e32 v2, 0x10000, v23
	v_cmp_eq_u32_sdwa s[4:5], v23, v37 src0_sel:WORD_0 src1_sel:DWORD
	v_cndmask_b32_e64 v2, v2, v23, s[4:5]
; %bb.2367:                             ;   in Loop: Header=BB386_1010 Depth=1
	s_or_b64 exec, exec, s[24:25]
	v_cmp_lt_u64_e64 s[4:5], s[10:11], v[0:1]
	v_mov_b32_e32 v23, 0
	s_and_saveexec_b64 s[24:25], s[4:5]
	s_cbranch_execz .LBB386_2373
; %bb.2368:                             ;   in Loop: Header=BB386_1010 Depth=1
	v_lshrrev_b32_e32 v0, 24, v1
	v_cmp_ne_u32_e64 s[4:5], s31, v0
	v_bfrev_b32_e32 v23, 1
	s_and_saveexec_b64 s[26:27], s[4:5]
	s_cbranch_execz .LBB386_2372
; %bb.2369:                             ;   in Loop: Header=BB386_1010 Depth=1
	v_bfe_u32 v1, v1, 24, 7
	v_cmp_ne_u32_e64 s[4:5], s34, v1
	v_mov_b32_e32 v23, 0x7f800001
	s_and_saveexec_b64 s[28:29], s[4:5]
	s_cbranch_execz .LBB386_2371
; %bb.2370:                             ;   in Loop: Header=BB386_1010 Depth=1
	v_and_b32_e32 v23, 7, v0
	v_accvgpr_write_b32 a20, v34
	v_accvgpr_write_b32 a21, v35
	v_lshrrev_b32_e32 v34, 3, v1
	v_cmp_gt_u32_e64 s[4:5], 8, v1
	v_ffbh_u32_e32 v1, v23
	v_min_u32_e32 v1, 32, v1
	v_subrev_u32_e32 v32, 28, v1
	v_mov_b32_e32 v35, v33
	v_lshlrev_b64 v[32:33], v32, v[0:1]
	v_sub_u32_e32 v1, 29, v1
	v_and_b32_e32 v32, 7, v32
	v_cndmask_b32_e64 v1, v34, v1, s[4:5]
	v_cndmask_b32_e64 v23, v23, v32, s[4:5]
	v_lshlrev_b32_e32 v0, 24, v0
	v_mov_b32_e32 v33, v35
	v_accvgpr_read_b32 v35, a21
	v_lshlrev_b32_e32 v23, 20, v23
	v_and_b32_e32 v0, 0x80000000, v0
	v_lshl_add_u32 v1, v1, 23, v5
	v_accvgpr_read_b32 v34, a20
	v_or3_b32 v23, v0, v1, v23
.LBB386_2371:                           ;   in Loop: Header=BB386_1010 Depth=1
	s_or_b64 exec, exec, s[28:29]
.LBB386_2372:                           ;   in Loop: Header=BB386_1010 Depth=1
	s_or_b64 exec, exec, s[26:27]
.LBB386_2373:                           ;   in Loop: Header=BB386_1010 Depth=1
	s_or_b64 exec, exec, s[24:25]
	v_mul_f32_e32 v0, v9, v23
	v_and_b32_e32 v1, 0x7f800000, v0
	v_cmp_ne_u32_e64 s[4:5], s15, v1
                                        ; implicit-def: $vgpr32
	s_and_saveexec_b64 s[24:25], s[4:5]
	s_xor_b64 s[4:5], exec, s[24:25]
; %bb.2374:                             ;   in Loop: Header=BB386_1010 Depth=1
	v_bfe_u32 v1, v0, 16, 1
	v_add3_u32 v32, v0, v1, s30
                                        ; implicit-def: $vgpr0
; %bb.2375:                             ;   in Loop: Header=BB386_1010 Depth=1
	s_andn2_saveexec_b64 s[24:25], s[4:5]
; %bb.2376:                             ;   in Loop: Header=BB386_1010 Depth=1
	v_or_b32_e32 v1, 0x10000, v0
	v_cmp_eq_u32_sdwa s[4:5], v0, v37 src0_sel:WORD_0 src1_sel:DWORD
	v_cndmask_b32_e64 v32, v1, v0, s[4:5]
; %bb.2377:                             ;   in Loop: Header=BB386_1010 Depth=1
	s_or_b64 exec, exec, s[24:25]
	v_lshrrev_b32_e32 v36, 16, v36
	v_lshrrev_b32_e32 v23, 16, v25
	;; [unrolled: 1-line block ×8, first 2 shown]
	s_and_saveexec_b64 s[4:5], vcc
	s_cbranch_execz .LBB386_2379
; %bb.2378:                             ;   in Loop: Header=BB386_1010 Depth=1
	buffer_load_dword v18, off, s[0:3], s32 offset:196 ; 4-byte Folded Reload
	v_accvgpr_read_b32 v2, a54
	s_waitcnt vmcnt(0)
	v_cmp_lt_i32_e32 vcc, v53, v18
	v_cndmask_b32_e32 v0, 0, v0, vcc
	v_cmp_lt_i32_e32 vcc, v2, v18
	v_accvgpr_read_b32 v2, a53
	v_cndmask_b32_e32 v1, 0, v1, vcc
	v_cmp_lt_i32_e32 vcc, v2, v18
	v_accvgpr_read_b32 v2, a52
	;; [unrolled: 3-line block ×6, first 2 shown]
	v_cndmask_b32_e32 v25, 0, v25, vcc
	v_cmp_lt_i32_e32 vcc, v2, v18
	v_cndmask_b32_e32 v24, 0, v24, vcc
.LBB386_2379:                           ;   in Loop: Header=BB386_1010 Depth=1
	s_or_b64 exec, exec, s[4:5]
	v_lshlrev_b32_e32 v0, 16, v0
	v_mul_f32_e32 v2, v39, v0
	v_and_b32_e32 v0, 0x7f800000, v2
	v_cmp_ne_u32_e32 vcc, s15, v0
                                        ; implicit-def: $vgpr0
	s_and_saveexec_b64 s[4:5], vcc
	s_xor_b64 s[4:5], exec, s[4:5]
; %bb.2380:                             ;   in Loop: Header=BB386_1010 Depth=1
	v_bfe_u32 v0, v2, 16, 1
	v_add3_u32 v0, v2, v0, s30
                                        ; implicit-def: $vgpr2
; %bb.2381:                             ;   in Loop: Header=BB386_1010 Depth=1
	s_andn2_saveexec_b64 s[4:5], s[4:5]
; %bb.2382:                             ;   in Loop: Header=BB386_1010 Depth=1
	v_or_b32_e32 v0, 0x10000, v2
	v_cmp_eq_u32_sdwa vcc, v2, v37 src0_sel:WORD_0 src1_sel:DWORD
	v_cndmask_b32_e32 v0, v0, v2, vcc
; %bb.2383:                             ;   in Loop: Header=BB386_1010 Depth=1
	s_or_b64 exec, exec, s[4:5]
	v_lshlrev_b32_e32 v1, 16, v1
	v_mul_f32_e32 v2, v31, v1
	v_and_b32_e32 v1, 0x7f800000, v2
	v_cmp_ne_u32_e32 vcc, s15, v1
                                        ; implicit-def: $vgpr1
	s_and_saveexec_b64 s[4:5], vcc
	s_xor_b64 s[4:5], exec, s[4:5]
; %bb.2384:                             ;   in Loop: Header=BB386_1010 Depth=1
	v_bfe_u32 v1, v2, 16, 1
	v_add3_u32 v1, v2, v1, s30
                                        ; implicit-def: $vgpr2
; %bb.2385:                             ;   in Loop: Header=BB386_1010 Depth=1
	s_andn2_saveexec_b64 s[4:5], s[4:5]
; %bb.2386:                             ;   in Loop: Header=BB386_1010 Depth=1
	v_or_b32_e32 v1, 0x10000, v2
	v_cmp_eq_u32_sdwa vcc, v2, v37 src0_sel:WORD_0 src1_sel:DWORD
	v_cndmask_b32_e32 v1, v1, v2, vcc
; %bb.2387:                             ;   in Loop: Header=BB386_1010 Depth=1
	s_or_b64 exec, exec, s[4:5]
	v_lshlrev_b32_e32 v2, 16, v19
	v_mul_f32_e32 v18, v30, v2
	v_and_b32_e32 v2, 0x7f800000, v18
	v_cmp_ne_u32_e32 vcc, s15, v2
                                        ; implicit-def: $vgpr2
	s_and_saveexec_b64 s[4:5], vcc
	s_xor_b64 s[4:5], exec, s[4:5]
; %bb.2388:                             ;   in Loop: Header=BB386_1010 Depth=1
	v_bfe_u32 v2, v18, 16, 1
	v_add3_u32 v2, v18, v2, s30
                                        ; implicit-def: $vgpr18
; %bb.2389:                             ;   in Loop: Header=BB386_1010 Depth=1
	s_andn2_saveexec_b64 s[4:5], s[4:5]
; %bb.2390:                             ;   in Loop: Header=BB386_1010 Depth=1
	v_or_b32_e32 v2, 0x10000, v18
	v_cmp_eq_u32_sdwa vcc, v18, v37 src0_sel:WORD_0 src1_sel:DWORD
	v_cndmask_b32_e32 v2, v2, v18, vcc
; %bb.2391:                             ;   in Loop: Header=BB386_1010 Depth=1
	s_or_b64 exec, exec, s[4:5]
	v_lshlrev_b32_e32 v9, 16, v9
	v_mul_f32_e32 v18, v49, v9
	v_and_b32_e32 v9, 0x7f800000, v18
	v_cmp_ne_u32_e32 vcc, s15, v9
                                        ; implicit-def: $vgpr9
	s_and_saveexec_b64 s[4:5], vcc
	s_xor_b64 s[4:5], exec, s[4:5]
; %bb.2392:                             ;   in Loop: Header=BB386_1010 Depth=1
	v_bfe_u32 v9, v18, 16, 1
	v_add3_u32 v9, v18, v9, s30
                                        ; implicit-def: $vgpr18
; %bb.2393:                             ;   in Loop: Header=BB386_1010 Depth=1
	s_andn2_saveexec_b64 s[4:5], s[4:5]
; %bb.2394:                             ;   in Loop: Header=BB386_1010 Depth=1
	v_or_b32_e32 v9, 0x10000, v18
	v_cmp_eq_u32_sdwa vcc, v18, v37 src0_sel:WORD_0 src1_sel:DWORD
	v_cndmask_b32_e32 v9, v9, v18, vcc
; %bb.2395:                             ;   in Loop: Header=BB386_1010 Depth=1
	s_or_b64 exec, exec, s[4:5]
	v_lshlrev_b32_e32 v18, 16, v23
	v_mul_f32_e32 v19, v51, v18
	v_and_b32_e32 v18, 0x7f800000, v19
	v_cmp_ne_u32_e32 vcc, s15, v18
                                        ; implicit-def: $vgpr18
	s_and_saveexec_b64 s[4:5], vcc
	s_xor_b64 s[4:5], exec, s[4:5]
; %bb.2396:                             ;   in Loop: Header=BB386_1010 Depth=1
	v_bfe_u32 v18, v19, 16, 1
	v_add3_u32 v18, v19, v18, s30
                                        ; implicit-def: $vgpr19
; %bb.2397:                             ;   in Loop: Header=BB386_1010 Depth=1
	s_andn2_saveexec_b64 s[4:5], s[4:5]
; %bb.2398:                             ;   in Loop: Header=BB386_1010 Depth=1
	v_or_b32_e32 v18, 0x10000, v19
	v_cmp_eq_u32_sdwa vcc, v19, v37 src0_sel:WORD_0 src1_sel:DWORD
	v_cndmask_b32_e32 v18, v18, v19, vcc
; %bb.2399:                             ;   in Loop: Header=BB386_1010 Depth=1
	s_or_b64 exec, exec, s[4:5]
	v_lshlrev_b32_e32 v19, 16, v36
	v_mul_f32_e32 v23, v54, v19
	v_and_b32_e32 v19, 0x7f800000, v23
	v_cmp_ne_u32_e32 vcc, s15, v19
                                        ; implicit-def: $vgpr19
	s_and_saveexec_b64 s[4:5], vcc
	s_xor_b64 s[4:5], exec, s[4:5]
; %bb.2400:                             ;   in Loop: Header=BB386_1010 Depth=1
	v_bfe_u32 v19, v23, 16, 1
	v_add3_u32 v19, v23, v19, s30
                                        ; implicit-def: $vgpr23
; %bb.2401:                             ;   in Loop: Header=BB386_1010 Depth=1
	s_andn2_saveexec_b64 s[4:5], s[4:5]
; %bb.2402:                             ;   in Loop: Header=BB386_1010 Depth=1
	v_or_b32_e32 v19, 0x10000, v23
	v_cmp_eq_u32_sdwa vcc, v23, v37 src0_sel:WORD_0 src1_sel:DWORD
	v_cndmask_b32_e32 v19, v19, v23, vcc
; %bb.2403:                             ;   in Loop: Header=BB386_1010 Depth=1
	s_or_b64 exec, exec, s[4:5]
	v_lshlrev_b32_e32 v23, 16, v25
	v_mul_f32_e32 v23, v27, v23
	v_and_b32_e32 v25, 0x7f800000, v23
	v_cmp_ne_u32_e32 vcc, s15, v25
                                        ; implicit-def: $vgpr25
	s_and_saveexec_b64 s[4:5], vcc
	s_xor_b64 s[4:5], exec, s[4:5]
; %bb.2404:                             ;   in Loop: Header=BB386_1010 Depth=1
	v_bfe_u32 v25, v23, 16, 1
	v_add3_u32 v25, v23, v25, s30
                                        ; implicit-def: $vgpr23
; %bb.2405:                             ;   in Loop: Header=BB386_1010 Depth=1
	s_andn2_saveexec_b64 s[4:5], s[4:5]
; %bb.2406:                             ;   in Loop: Header=BB386_1010 Depth=1
	v_or_b32_e32 v25, 0x10000, v23
	v_cmp_eq_u32_sdwa vcc, v23, v37 src0_sel:WORD_0 src1_sel:DWORD
	v_cndmask_b32_e32 v25, v25, v23, vcc
; %bb.2407:                             ;   in Loop: Header=BB386_1010 Depth=1
	s_or_b64 exec, exec, s[4:5]
	v_lshlrev_b32_e32 v23, 16, v24
	v_mul_f32_e32 v23, v26, v23
	v_and_b32_e32 v24, 0x7f800000, v23
	v_cmp_ne_u32_e32 vcc, s15, v24
                                        ; implicit-def: $vgpr24
	s_and_saveexec_b64 s[4:5], vcc
	s_xor_b64 s[4:5], exec, s[4:5]
; %bb.2408:                             ;   in Loop: Header=BB386_1010 Depth=1
	v_bfe_u32 v24, v23, 16, 1
	v_add3_u32 v24, v23, v24, s30
                                        ; implicit-def: $vgpr23
; %bb.2409:                             ;   in Loop: Header=BB386_1010 Depth=1
	s_andn2_saveexec_b64 s[4:5], s[4:5]
	s_cbranch_execz .LBB386_1008
; %bb.2410:                             ;   in Loop: Header=BB386_1010 Depth=1
	v_or_b32_e32 v24, 0x10000, v23
	v_cmp_eq_u32_sdwa vcc, v23, v37 src0_sel:WORD_0 src1_sel:DWORD
	v_cndmask_b32_e32 v24, v24, v23, vcc
	s_branch .LBB386_1008
.LBB386_2411:
	s_or_b64 exec, exec, s[12:13]
	buffer_load_dword v22, off, s[0:3], s32 offset:384 ; 4-byte Folded Reload
	buffer_load_dword v21, off, s[0:3], s32 offset:380 ; 4-byte Folded Reload
	;; [unrolled: 1-line block ×14, first 2 shown]
.LBB386_2412:
	s_or_b64 exec, exec, s[8:9]
	s_waitcnt vmcnt(0)
	ds_bpermute_b32 v0, v21, v4
	ds_bpermute_b32 v1, v21, v5
	;; [unrolled: 1-line block ×6, first 2 shown]
	s_waitcnt lgkmcnt(0)
	v_pk_add_f32 v[0:1], v[4:5], v[0:1]
	ds_bpermute_b32 v4, v23, v0
	ds_bpermute_b32 v5, v23, v1
	v_pk_add_f32 v[2:3], v[8:9], v[2:3]
	ds_bpermute_b32 v8, v23, v2
	ds_bpermute_b32 v9, v23, v3
	s_waitcnt lgkmcnt(0)
	v_pk_add_f32 v[14:15], v[0:1], v[4:5]
	ds_bpermute_b32 v4, v21, v12
	ds_bpermute_b32 v5, v21, v13
	v_pk_add_f32 v[0:1], v[10:11], v[6:7]
	ds_bpermute_b32 v6, v23, v0
	ds_bpermute_b32 v10, v21, v16
	;; [unrolled: 1-line block ×3, first 2 shown]
	s_waitcnt lgkmcnt(3)
	v_pk_add_f32 v[4:5], v[12:13], v[4:5]
	ds_bpermute_b32 v7, v23, v1
	ds_bpermute_b32 v12, v23, v4
	;; [unrolled: 1-line block ×3, first 2 shown]
	s_waitcnt lgkmcnt(3)
	v_pk_add_f32 v[16:17], v[16:17], v[10:11]
	v_pk_add_f32 v[10:11], v[2:3], v[8:9]
	s_waitcnt lgkmcnt(2)
	v_pk_add_f32 v[8:9], v[0:1], v[6:7]
	s_barrier
	s_waitcnt lgkmcnt(0)
	v_pk_add_f32 v[6:7], v[4:5], v[12:13]
	buffer_load_dword v4, off, s[0:3], s32 offset:460 ; 4-byte Folded Reload
	ds_bpermute_b32 v20, v21, v34
	ds_bpermute_b32 v21, v21, v35
	ds_bpermute_b32 v18, v23, v16
	ds_bpermute_b32 v19, v23, v17
	s_waitcnt lgkmcnt(2)
	v_pk_add_f32 v[2:3], v[34:35], v[20:21]
	ds_bpermute_b32 v12, v23, v2
	ds_bpermute_b32 v13, v23, v3
	s_waitcnt lgkmcnt(2)
	v_pk_add_f32 v[0:1], v[16:17], v[18:19]
	s_waitcnt vmcnt(0)
	v_and_b32_e32 v4, 0x3c3, v4
	v_cmp_ne_u32_e32 vcc, 64, v4
	s_and_saveexec_b64 s[4:5], vcc
	s_xor_b64 s[4:5], exec, s[4:5]
; %bb.2413:
                                        ; implicit-def: $vgpr22
; %bb.2414:
	s_or_saveexec_b64 s[4:5], s[4:5]
	s_waitcnt lgkmcnt(0)
	v_pk_add_f32 v[2:3], v[2:3], v[12:13]
	s_xor_b64 exec, exec, s[4:5]
	s_cbranch_execz .LBB386_2416
; %bb.2415:
	s_load_dword s8, s[6:7], 0x0
	s_waitcnt lgkmcnt(0)
	v_add_u32_e32 v4, s8, v22
	ds_write2_b32 v4, v14, v15 offset1:16
	ds_write2_b32 v4, v10, v11 offset0:32 offset1:48
	ds_write2_b32 v4, v8, v9 offset0:64 offset1:80
	;; [unrolled: 1-line block ×5, first 2 shown]
.LBB386_2416:
	s_or_b64 exec, exec, s[4:5]
	s_waitcnt lgkmcnt(0)
	s_barrier
	buffer_load_dword v4, off, s[0:3], s32 offset:460 ; 4-byte Folded Reload
	s_waitcnt vmcnt(0)
	v_cmp_gt_u32_e32 vcc, 64, v4
	v_cmp_lt_u32_e64 s[4:5], 63, v4
	s_and_saveexec_b64 s[8:9], s[4:5]
	s_xor_b64 s[4:5], exec, s[8:9]
	s_andn2_saveexec_b64 s[8:9], s[4:5]
	s_cbranch_execz .LBB386_2431
; %bb.2417:
	buffer_load_dword v4, off, s[0:3], s32 offset:460 ; 4-byte Folded Reload
	v_cmp_eq_u32_e64 s[4:5], 0, v24
	s_waitcnt vmcnt(0)
	v_lshrrev_b32_e32 v4, 2, v4
	s_and_saveexec_b64 s[10:11], s[4:5]
	s_cbranch_execnz .LBB386_2483
; %bb.2418:
	s_or_b64 exec, exec, s[10:11]
	s_and_saveexec_b64 s[10:11], s[4:5]
	s_cbranch_execnz .LBB386_2484
.LBB386_2419:
	s_or_b64 exec, exec, s[10:11]
	s_and_saveexec_b64 s[10:11], s[4:5]
	s_cbranch_execnz .LBB386_2485
.LBB386_2420:
	s_or_b64 exec, exec, s[10:11]
	s_and_saveexec_b64 s[10:11], s[4:5]
	s_cbranch_execnz .LBB386_2486
.LBB386_2421:
	s_or_b64 exec, exec, s[10:11]
	s_and_saveexec_b64 s[10:11], s[4:5]
	s_cbranch_execnz .LBB386_2487
.LBB386_2422:
	s_or_b64 exec, exec, s[10:11]
	s_and_saveexec_b64 s[10:11], s[4:5]
	s_cbranch_execnz .LBB386_2488
.LBB386_2423:
	s_or_b64 exec, exec, s[10:11]
	s_and_saveexec_b64 s[10:11], s[4:5]
	s_cbranch_execnz .LBB386_2489
.LBB386_2424:
	s_or_b64 exec, exec, s[10:11]
	s_and_saveexec_b64 s[10:11], s[4:5]
	s_cbranch_execnz .LBB386_2490
.LBB386_2425:
	s_or_b64 exec, exec, s[10:11]
	s_and_saveexec_b64 s[10:11], s[4:5]
	s_cbranch_execnz .LBB386_2491
.LBB386_2426:
	s_or_b64 exec, exec, s[10:11]
	s_and_saveexec_b64 s[10:11], s[4:5]
	s_cbranch_execnz .LBB386_2492
.LBB386_2427:
	s_or_b64 exec, exec, s[10:11]
	s_and_saveexec_b64 s[10:11], s[4:5]
	s_cbranch_execnz .LBB386_2493
.LBB386_2428:
	s_or_b64 exec, exec, s[10:11]
	s_and_saveexec_b64 s[10:11], s[4:5]
	s_cbranch_execz .LBB386_2430
.LBB386_2429:
	s_load_dword s4, s[6:7], 0x0
	s_waitcnt lgkmcnt(0)
	v_lshl_add_u32 v4, v4, 2, s4
	ds_read_b32 v4, v4 offset:704
	s_waitcnt lgkmcnt(0)
	v_add_f32_e32 v3, v4, v3
.LBB386_2430:
	s_or_b64 exec, exec, s[10:11]
.LBB386_2431:
	s_or_b64 exec, exec, s[8:9]
	s_barrier
	s_and_b64 exec, exec, vcc
	s_cbranch_execz .LBB386_2482
; %bb.2432:
	v_cmp_eq_u32_e32 vcc, 0, v24
	s_and_b64 exec, exec, vcc
	s_cbranch_execz .LBB386_2482
; %bb.2433:
	s_mov_b32 s4, 0x7f800000
	v_and_b32_e32 v4, 0x7f800000, v14
	v_cmp_ne_u32_e32 vcc, s4, v4
                                        ; implicit-def: $vgpr12
	s_and_saveexec_b64 s[4:5], vcc
	s_xor_b64 s[4:5], exec, s[4:5]
; %bb.2434:
	v_bfe_u32 v4, v14, 16, 1
	s_movk_i32 s6, 0x7fff
	v_add3_u32 v12, v14, v4, s6
; %bb.2435:
	s_andn2_saveexec_b64 s[4:5], s[4:5]
; %bb.2436:
	v_mov_b32_e32 v4, 0
	v_or_b32_e32 v5, 0x10000, v14
	v_cmp_eq_u32_sdwa vcc, v14, v4 src0_sel:WORD_0 src1_sel:DWORD
	v_cndmask_b32_e32 v12, v5, v14, vcc
; %bb.2437:
	s_or_b64 exec, exec, s[4:5]
	buffer_load_dword v5, off, s[0:3], s32 offset:524 ; 4-byte Folded Reload
	buffer_load_dword v13, off, s[0:3], s32 offset:520 ; 4-byte Folded Reload
	s_mul_i32 s4, s21, s18
	s_mul_i32 s4, s4, s19
	s_mulk_i32 s4, 0xc0
	s_mul_i32 s6, s20, s21
	s_mul_i32 s8, s14, 0xc0
	s_ashr_i32 s5, s4, 31
	s_ashr_i32 s7, s6, 31
	;; [unrolled: 1-line block ×3, first 2 shown]
	s_lshl_b64 s[4:5], s[4:5], 1
	s_lshl_b64 s[6:7], s[6:7], 1
	;; [unrolled: 1-line block ×3, first 2 shown]
	s_add_u32 s6, s8, s6
	s_addc_u32 s7, s9, s7
	s_add_u32 s4, s6, s4
	s_addc_u32 s5, s7, s5
	v_mov_b32_e32 v4, s5
	s_waitcnt vmcnt(1)
	v_add_co_u32_e32 v5, vcc, s4, v5
	s_waitcnt vmcnt(0)
	v_addc_co_u32_e32 v13, vcc, v4, v13, vcc
	buffer_load_dword v4, off, s[0:3], s32 offset:460 ; 4-byte Folded Reload
	s_mov_b32 s4, 0x7f800000
	s_waitcnt vmcnt(0)
	v_lshrrev_b32_e32 v4, 1, v4
	v_and_b32_e32 v4, 0x1fe, v4
	v_add_co_u32_e32 v4, vcc, v5, v4
	v_addc_co_u32_e32 v5, vcc, 0, v13, vcc
	flat_store_short_d16_hi v[4:5], v12
	v_and_b32_e32 v12, 0x7f800000, v15
	v_cmp_ne_u32_e32 vcc, s4, v12
                                        ; implicit-def: $vgpr12
	s_and_saveexec_b64 s[4:5], vcc
	s_xor_b64 s[4:5], exec, s[4:5]
; %bb.2438:
	v_bfe_u32 v12, v15, 16, 1
	s_movk_i32 s6, 0x7fff
	v_add3_u32 v12, v15, v12, s6
                                        ; implicit-def: $vgpr14_vgpr15
; %bb.2439:
	s_andn2_saveexec_b64 s[4:5], s[4:5]
; %bb.2440:
	v_mov_b32_e32 v12, 0
	v_or_b32_e32 v13, 0x10000, v15
	v_cmp_eq_u32_sdwa vcc, v15, v12 src0_sel:WORD_0 src1_sel:DWORD
	v_cndmask_b32_e32 v12, v13, v15, vcc
; %bb.2441:
	s_or_b64 exec, exec, s[4:5]
	flat_store_short_d16_hi v[4:5], v12 offset:32
	s_mov_b32 s4, 0x7f800000
	v_and_b32_e32 v12, 0x7f800000, v10
	v_cmp_ne_u32_e32 vcc, s4, v12
                                        ; implicit-def: $vgpr12
	s_and_saveexec_b64 s[4:5], vcc
	s_xor_b64 s[4:5], exec, s[4:5]
; %bb.2442:
	v_bfe_u32 v12, v10, 16, 1
	s_movk_i32 s6, 0x7fff
	v_add3_u32 v12, v10, v12, s6
; %bb.2443:
	s_andn2_saveexec_b64 s[4:5], s[4:5]
; %bb.2444:
	v_mov_b32_e32 v12, 0
	v_or_b32_e32 v13, 0x10000, v10
	v_cmp_eq_u32_sdwa vcc, v10, v12 src0_sel:WORD_0 src1_sel:DWORD
	v_cndmask_b32_e32 v12, v13, v10, vcc
; %bb.2445:
	s_or_b64 exec, exec, s[4:5]
	s_mov_b32 s4, 0x7f800000
	v_and_b32_e32 v10, 0x7f800000, v11
	v_cmp_ne_u32_e32 vcc, s4, v10
	flat_store_short_d16_hi v[4:5], v12 offset:64
                                        ; implicit-def: $vgpr12
	s_and_saveexec_b64 s[4:5], vcc
	s_xor_b64 s[4:5], exec, s[4:5]
; %bb.2446:
	v_bfe_u32 v10, v11, 16, 1
	s_movk_i32 s6, 0x7fff
	v_add3_u32 v12, v11, v10, s6
                                        ; implicit-def: $vgpr10_vgpr11
; %bb.2447:
	s_andn2_saveexec_b64 s[4:5], s[4:5]
; %bb.2448:
	v_mov_b32_e32 v10, 0
	v_or_b32_e32 v12, 0x10000, v11
	v_cmp_eq_u32_sdwa vcc, v11, v10 src0_sel:WORD_0 src1_sel:DWORD
	v_cndmask_b32_e32 v12, v12, v11, vcc
; %bb.2449:
	s_or_b64 exec, exec, s[4:5]
	s_mov_b32 s4, 0x7f800000
	v_and_b32_e32 v10, 0x7f800000, v8
	v_cmp_ne_u32_e32 vcc, s4, v10
	flat_store_short_d16_hi v[4:5], v12 offset:96
                                        ; implicit-def: $vgpr10
	s_and_saveexec_b64 s[4:5], vcc
	s_xor_b64 s[4:5], exec, s[4:5]
; %bb.2450:
	v_bfe_u32 v10, v8, 16, 1
	s_movk_i32 s6, 0x7fff
	v_add3_u32 v10, v8, v10, s6
; %bb.2451:
	s_andn2_saveexec_b64 s[4:5], s[4:5]
; %bb.2452:
	v_mov_b32_e32 v10, 0
	v_or_b32_e32 v11, 0x10000, v8
	v_cmp_eq_u32_sdwa vcc, v8, v10 src0_sel:WORD_0 src1_sel:DWORD
	v_cndmask_b32_e32 v10, v11, v8, vcc
; %bb.2453:
	s_or_b64 exec, exec, s[4:5]
	s_mov_b32 s4, 0x7f800000
	v_and_b32_e32 v8, 0x7f800000, v9
	v_cmp_ne_u32_e32 vcc, s4, v8
	flat_store_short_d16_hi v[4:5], v10 offset:128
                                        ; implicit-def: $vgpr10
	s_and_saveexec_b64 s[4:5], vcc
	s_xor_b64 s[4:5], exec, s[4:5]
; %bb.2454:
	v_bfe_u32 v8, v9, 16, 1
	s_movk_i32 s6, 0x7fff
	v_add3_u32 v10, v9, v8, s6
                                        ; implicit-def: $vgpr8_vgpr9
; %bb.2455:
	s_andn2_saveexec_b64 s[4:5], s[4:5]
; %bb.2456:
	v_mov_b32_e32 v8, 0
	v_or_b32_e32 v10, 0x10000, v9
	v_cmp_eq_u32_sdwa vcc, v9, v8 src0_sel:WORD_0 src1_sel:DWORD
	v_cndmask_b32_e32 v10, v10, v9, vcc
; %bb.2457:
	s_or_b64 exec, exec, s[4:5]
	s_mov_b32 s4, 0x7f800000
	v_and_b32_e32 v8, 0x7f800000, v6
	v_cmp_ne_u32_e32 vcc, s4, v8
	flat_store_short_d16_hi v[4:5], v10 offset:160
                                        ; implicit-def: $vgpr8
	s_and_saveexec_b64 s[4:5], vcc
	s_xor_b64 s[4:5], exec, s[4:5]
; %bb.2458:
	v_bfe_u32 v8, v6, 16, 1
	s_movk_i32 s6, 0x7fff
	v_add3_u32 v8, v6, v8, s6
; %bb.2459:
	s_andn2_saveexec_b64 s[4:5], s[4:5]
; %bb.2460:
	v_mov_b32_e32 v8, 0
	v_or_b32_e32 v9, 0x10000, v6
	v_cmp_eq_u32_sdwa vcc, v6, v8 src0_sel:WORD_0 src1_sel:DWORD
	v_cndmask_b32_e32 v8, v9, v6, vcc
; %bb.2461:
	s_or_b64 exec, exec, s[4:5]
	s_mov_b32 s4, 0x7f800000
	v_and_b32_e32 v6, 0x7f800000, v7
	v_cmp_ne_u32_e32 vcc, s4, v6
	flat_store_short_d16_hi v[4:5], v8 offset:192
                                        ; implicit-def: $vgpr8
	s_and_saveexec_b64 s[4:5], vcc
	s_xor_b64 s[4:5], exec, s[4:5]
; %bb.2462:
	v_bfe_u32 v6, v7, 16, 1
	s_movk_i32 s6, 0x7fff
	v_add3_u32 v8, v7, v6, s6
                                        ; implicit-def: $vgpr6_vgpr7
; %bb.2463:
	s_andn2_saveexec_b64 s[4:5], s[4:5]
; %bb.2464:
	v_mov_b32_e32 v6, 0
	v_or_b32_e32 v8, 0x10000, v7
	v_cmp_eq_u32_sdwa vcc, v7, v6 src0_sel:WORD_0 src1_sel:DWORD
	v_cndmask_b32_e32 v8, v8, v7, vcc
; %bb.2465:
	s_or_b64 exec, exec, s[4:5]
	s_mov_b32 s4, 0x7f800000
	v_and_b32_e32 v6, 0x7f800000, v0
	v_cmp_ne_u32_e32 vcc, s4, v6
	flat_store_short_d16_hi v[4:5], v8 offset:224
                                        ; implicit-def: $vgpr6
	s_and_saveexec_b64 s[4:5], vcc
	s_xor_b64 s[4:5], exec, s[4:5]
; %bb.2466:
	v_bfe_u32 v6, v0, 16, 1
	s_movk_i32 s6, 0x7fff
	v_add3_u32 v6, v0, v6, s6
; %bb.2467:
	s_andn2_saveexec_b64 s[4:5], s[4:5]
; %bb.2468:
	v_mov_b32_e32 v6, 0
	v_or_b32_e32 v7, 0x10000, v0
	v_cmp_eq_u32_sdwa vcc, v0, v6 src0_sel:WORD_0 src1_sel:DWORD
	v_cndmask_b32_e32 v6, v7, v0, vcc
; %bb.2469:
	s_or_b64 exec, exec, s[4:5]
	s_mov_b32 s4, 0x7f800000
	v_and_b32_e32 v0, 0x7f800000, v1
	v_cmp_ne_u32_e32 vcc, s4, v0
	flat_store_short_d16_hi v[4:5], v6 offset:256
                                        ; implicit-def: $vgpr6
	s_and_saveexec_b64 s[4:5], vcc
	s_xor_b64 s[4:5], exec, s[4:5]
; %bb.2470:
	v_bfe_u32 v0, v1, 16, 1
	s_movk_i32 s6, 0x7fff
	v_add3_u32 v6, v1, v0, s6
                                        ; implicit-def: $vgpr0_vgpr1
; %bb.2471:
	s_andn2_saveexec_b64 s[4:5], s[4:5]
; %bb.2472:
	v_mov_b32_e32 v0, 0
	v_or_b32_e32 v6, 0x10000, v1
	v_cmp_eq_u32_sdwa vcc, v1, v0 src0_sel:WORD_0 src1_sel:DWORD
	v_cndmask_b32_e32 v6, v6, v1, vcc
; %bb.2473:
	s_or_b64 exec, exec, s[4:5]
	s_mov_b32 s4, 0x7f800000
	v_and_b32_e32 v0, 0x7f800000, v2
	v_cmp_ne_u32_e32 vcc, s4, v0
	flat_store_short_d16_hi v[4:5], v6 offset:288
                                        ; implicit-def: $vgpr0
	s_and_saveexec_b64 s[4:5], vcc
	s_xor_b64 s[4:5], exec, s[4:5]
; %bb.2474:
	v_bfe_u32 v0, v2, 16, 1
	s_movk_i32 s6, 0x7fff
	v_add3_u32 v0, v2, v0, s6
; %bb.2475:
	s_andn2_saveexec_b64 s[4:5], s[4:5]
; %bb.2476:
	v_mov_b32_e32 v0, 0
	v_or_b32_e32 v1, 0x10000, v2
	v_cmp_eq_u32_sdwa vcc, v2, v0 src0_sel:WORD_0 src1_sel:DWORD
	v_cndmask_b32_e32 v0, v1, v2, vcc
; %bb.2477:
	s_or_b64 exec, exec, s[4:5]
	flat_store_short_d16_hi v[4:5], v0 offset:320
	s_mov_b32 s4, 0x7f800000
	v_and_b32_e32 v0, 0x7f800000, v3
	v_cmp_ne_u32_e32 vcc, s4, v0
                                        ; implicit-def: $vgpr0
	s_and_saveexec_b64 s[4:5], vcc
	s_xor_b64 s[4:5], exec, s[4:5]
; %bb.2478:
	v_bfe_u32 v0, v3, 16, 1
	s_movk_i32 s6, 0x7fff
	v_add3_u32 v0, v3, v0, s6
                                        ; implicit-def: $vgpr2_vgpr3
; %bb.2479:
	s_andn2_saveexec_b64 s[4:5], s[4:5]
; %bb.2480:
	v_mov_b32_e32 v0, 0
	v_or_b32_e32 v1, 0x10000, v3
	v_cmp_eq_u32_sdwa vcc, v3, v0 src0_sel:WORD_0 src1_sel:DWORD
	v_cndmask_b32_e32 v0, v1, v3, vcc
; %bb.2481:
	s_or_b64 exec, exec, s[4:5]
	flat_store_short_d16_hi v[4:5], v0 offset:352
.LBB386_2482:
	s_or_b64 exec, exec, s[16:17]
	buffer_load_dword a63, off, s[0:3], s32 offset:8 ; 4-byte Folded Reload
	buffer_load_dword a62, off, s[0:3], s32 offset:12 ; 4-byte Folded Reload
	;; [unrolled: 1-line block ×47, first 2 shown]
	v_readlane_b32 s30, v63, 10
	v_readlane_b32 s31, v63, 11
	;; [unrolled: 1-line block ×12, first 2 shown]
	s_or_saveexec_b64 s[4:5], -1
	buffer_load_dword v63, off, s[0:3], s32 offset:600 ; 4-byte Folded Reload
	s_mov_b64 exec, s[4:5]
	s_waitcnt vmcnt(0) lgkmcnt(0)
	s_setpc_b64 s[30:31]
.LBB386_2483:
	s_load_dword s12, s[6:7], 0x0
	s_waitcnt lgkmcnt(0)
	v_lshl_add_u32 v5, v4, 2, s12
	ds_read_b32 v5, v5
	s_waitcnt lgkmcnt(0)
	v_add_f32_e32 v14, v5, v14
	s_or_b64 exec, exec, s[10:11]
	s_and_saveexec_b64 s[10:11], s[4:5]
	s_cbranch_execz .LBB386_2419
.LBB386_2484:
	s_load_dword s12, s[6:7], 0x0
	s_waitcnt lgkmcnt(0)
	v_lshl_add_u32 v5, v4, 2, s12
	ds_read_b32 v5, v5 offset:64
	s_waitcnt lgkmcnt(0)
	v_add_f32_e32 v15, v5, v15
	s_or_b64 exec, exec, s[10:11]
	s_and_saveexec_b64 s[10:11], s[4:5]
	s_cbranch_execz .LBB386_2420
.LBB386_2485:
	s_load_dword s12, s[6:7], 0x0
	s_waitcnt lgkmcnt(0)
	v_lshl_add_u32 v5, v4, 2, s12
	ds_read_b32 v5, v5 offset:128
	s_waitcnt lgkmcnt(0)
	v_add_f32_e32 v10, v5, v10
	s_or_b64 exec, exec, s[10:11]
	s_and_saveexec_b64 s[10:11], s[4:5]
	s_cbranch_execz .LBB386_2421
.LBB386_2486:
	s_load_dword s12, s[6:7], 0x0
	s_waitcnt lgkmcnt(0)
	v_lshl_add_u32 v5, v4, 2, s12
	ds_read_b32 v5, v5 offset:192
	s_waitcnt lgkmcnt(0)
	v_add_f32_e32 v11, v5, v11
	s_or_b64 exec, exec, s[10:11]
	s_and_saveexec_b64 s[10:11], s[4:5]
	s_cbranch_execz .LBB386_2422
.LBB386_2487:
	s_load_dword s12, s[6:7], 0x0
	s_waitcnt lgkmcnt(0)
	v_lshl_add_u32 v5, v4, 2, s12
	ds_read_b32 v5, v5 offset:256
	s_waitcnt lgkmcnt(0)
	v_add_f32_e32 v8, v5, v8
	s_or_b64 exec, exec, s[10:11]
	s_and_saveexec_b64 s[10:11], s[4:5]
	s_cbranch_execz .LBB386_2423
.LBB386_2488:
	s_load_dword s12, s[6:7], 0x0
	s_waitcnt lgkmcnt(0)
	v_lshl_add_u32 v5, v4, 2, s12
	ds_read_b32 v5, v5 offset:320
	s_waitcnt lgkmcnt(0)
	v_add_f32_e32 v9, v5, v9
	s_or_b64 exec, exec, s[10:11]
	s_and_saveexec_b64 s[10:11], s[4:5]
	s_cbranch_execz .LBB386_2424
.LBB386_2489:
	s_load_dword s12, s[6:7], 0x0
	s_waitcnt lgkmcnt(0)
	v_lshl_add_u32 v5, v4, 2, s12
	ds_read_b32 v5, v5 offset:384
	s_waitcnt lgkmcnt(0)
	v_add_f32_e32 v6, v5, v6
	s_or_b64 exec, exec, s[10:11]
	s_and_saveexec_b64 s[10:11], s[4:5]
	s_cbranch_execz .LBB386_2425
.LBB386_2490:
	s_load_dword s12, s[6:7], 0x0
	s_waitcnt lgkmcnt(0)
	v_lshl_add_u32 v5, v4, 2, s12
	ds_read_b32 v5, v5 offset:448
	s_waitcnt lgkmcnt(0)
	v_add_f32_e32 v7, v5, v7
	s_or_b64 exec, exec, s[10:11]
	s_and_saveexec_b64 s[10:11], s[4:5]
	s_cbranch_execz .LBB386_2426
.LBB386_2491:
	s_load_dword s12, s[6:7], 0x0
	s_waitcnt lgkmcnt(0)
	v_lshl_add_u32 v5, v4, 2, s12
	ds_read_b32 v5, v5 offset:512
	s_waitcnt lgkmcnt(0)
	v_add_f32_e32 v0, v5, v0
	s_or_b64 exec, exec, s[10:11]
	s_and_saveexec_b64 s[10:11], s[4:5]
	s_cbranch_execz .LBB386_2427
.LBB386_2492:
	s_load_dword s12, s[6:7], 0x0
	s_waitcnt lgkmcnt(0)
	v_lshl_add_u32 v5, v4, 2, s12
	ds_read_b32 v5, v5 offset:576
	s_waitcnt lgkmcnt(0)
	v_add_f32_e32 v1, v5, v1
	s_or_b64 exec, exec, s[10:11]
	s_and_saveexec_b64 s[10:11], s[4:5]
	s_cbranch_execz .LBB386_2428
.LBB386_2493:
	s_load_dword s12, s[6:7], 0x0
	s_waitcnt lgkmcnt(0)
	v_lshl_add_u32 v5, v4, 2, s12
	ds_read_b32 v5, v5 offset:640
	s_waitcnt lgkmcnt(0)
	v_add_f32_e32 v2, v5, v2
	s_or_b64 exec, exec, s[10:11]
	s_and_saveexec_b64 s[10:11], s[4:5]
	s_cbranch_execnz .LBB386_2429
	s_branch .LBB386_2430
.Lfunc_end386:
	.size	_ZN4vllm22paged_attention_kernelI14__hip_bfloat16hLi192ELi32ELi128ELNS_18Fp8KVCacheDataTypeE1ELb1ELi512EEEvPfS3_PT_PKS4_PKT0_SA_ifPKiSC_iPKfiiiSE_SE_iiiii, .Lfunc_end386-_ZN4vllm22paged_attention_kernelI14__hip_bfloat16hLi192ELi32ELi128ELNS_18Fp8KVCacheDataTypeE1ELb1ELi512EEEvPfS3_PT_PKS4_PKT0_SA_ifPKiSC_iPKfiiiSE_SE_iiiii
                                        ; -- End function
	.section	.AMDGPU.csdata,"",@progbits
; Function info:
; codeLenInByte = 75188
; NumSgprs: 48
; NumVgprs: 64
; NumAgprs: 64
; TotalNumVgprs: 128
; ScratchSize: 608
; MemoryBound: 0
	.section	.text._ZN4vllm25paged_attention_v2_kernelI14__hip_bfloat16hLi192ELi32ELi128ELNS_18Fp8KVCacheDataTypeE1ELb1ELi512EEEvPfS3_PT_PKS4_PKT0_SA_ifPKiSC_iPKfiiiSE_SE_iiiii,"axG",@progbits,_ZN4vllm25paged_attention_v2_kernelI14__hip_bfloat16hLi192ELi32ELi128ELNS_18Fp8KVCacheDataTypeE1ELb1ELi512EEEvPfS3_PT_PKS4_PKT0_SA_ifPKiSC_iPKfiiiSE_SE_iiiii,comdat
	.protected	_ZN4vllm25paged_attention_v2_kernelI14__hip_bfloat16hLi192ELi32ELi128ELNS_18Fp8KVCacheDataTypeE1ELb1ELi512EEEvPfS3_PT_PKS4_PKT0_SA_ifPKiSC_iPKfiiiSE_SE_iiiii ; -- Begin function _ZN4vllm25paged_attention_v2_kernelI14__hip_bfloat16hLi192ELi32ELi128ELNS_18Fp8KVCacheDataTypeE1ELb1ELi512EEEvPfS3_PT_PKS4_PKT0_SA_ifPKiSC_iPKfiiiSE_SE_iiiii
	.globl	_ZN4vllm25paged_attention_v2_kernelI14__hip_bfloat16hLi192ELi32ELi128ELNS_18Fp8KVCacheDataTypeE1ELb1ELi512EEEvPfS3_PT_PKS4_PKT0_SA_ifPKiSC_iPKfiiiSE_SE_iiiii
	.p2align	8
	.type	_ZN4vllm25paged_attention_v2_kernelI14__hip_bfloat16hLi192ELi32ELi128ELNS_18Fp8KVCacheDataTypeE1ELb1ELi512EEEvPfS3_PT_PKS4_PKT0_SA_ifPKiSC_iPKfiiiSE_SE_iiiii,@function
_ZN4vllm25paged_attention_v2_kernelI14__hip_bfloat16hLi192ELi32ELi128ELNS_18Fp8KVCacheDataTypeE1ELb1ELi512EEEvPfS3_PT_PKS4_PKT0_SA_ifPKiSC_iPKfiiiSE_SE_iiiii: ; @_ZN4vllm25paged_attention_v2_kernelI14__hip_bfloat16hLi192ELi32ELi128ELNS_18Fp8KVCacheDataTypeE1ELb1ELi512EEEvPfS3_PT_PKS4_PKT0_SA_ifPKiSC_iPKfiiiSE_SE_iiiii
; %bb.0:
	s_add_u32 flat_scratch_lo, s6, s11
	s_addc_u32 flat_scratch_hi, s7, 0
	s_add_u32 s0, s0, s11
	s_mov_b32 s12, s8
	s_load_dwordx8 s[24:31], s[4:5], 0x0
	s_load_dwordx8 s[16:23], s[4:5], 0x20
	s_load_dwordx2 s[6:7], s[4:5], 0x40
	s_load_dwordx4 s[44:47], s[4:5], 0x78
	s_load_dwordx2 s[34:35], s[4:5], 0x50
	s_load_dword s11, s[4:5], 0x48
	s_load_dword s8, s[4:5], 0x88
	s_load_dwordx8 s[36:43], s[4:5], 0x58
	s_mov_b32 s32, 0
	s_addc_u32 s1, s1, 0
	s_waitcnt lgkmcnt(0)
	v_mov_b32_e32 v1, s47
	buffer_store_dword v1, off, s[0:3], s32
	v_mov_b32_e32 v1, s8
	s_add_u32 s8, s4, 0x90
	s_mov_b32 s13, s9
	buffer_store_dword v1, off, s[0:3], s32 offset:4
	s_addc_u32 s9, s5, 0
	s_mov_b32 s14, s10
	s_mov_b32 s15, 15
	v_mov_b32_e32 v31, v0
	v_mov_b32_e32 v0, s24
	;; [unrolled: 1-line block ×32, first 2 shown]
	s_getpc_b64 s[4:5]
	s_add_u32 s4, s4, _ZN4vllm22paged_attention_kernelI14__hip_bfloat16hLi192ELi32ELi128ELNS_18Fp8KVCacheDataTypeE1ELb1ELi512EEEvPfS3_PT_PKS4_PKT0_SA_ifPKiSC_iPKfiiiSE_SE_iiiii@rel32@lo+4
	s_addc_u32 s5, s5, _ZN4vllm22paged_attention_kernelI14__hip_bfloat16hLi192ELi32ELi128ELNS_18Fp8KVCacheDataTypeE1ELb1ELi512EEEvPfS3_PT_PKS4_PKT0_SA_ifPKiSC_iPKfiiiSE_SE_iiiii@rel32@hi+12
	s_swappc_b64 s[30:31], s[4:5]
	s_endpgm
	.section	.rodata,"a",@progbits
	.p2align	6, 0x0
	.amdhsa_kernel _ZN4vllm25paged_attention_v2_kernelI14__hip_bfloat16hLi192ELi32ELi128ELNS_18Fp8KVCacheDataTypeE1ELb1ELi512EEEvPfS3_PT_PKS4_PKT0_SA_ifPKiSC_iPKfiiiSE_SE_iiiii
		.amdhsa_group_segment_fixed_size 400
		.amdhsa_private_segment_fixed_size 608
		.amdhsa_kernarg_size 400
		.amdhsa_user_sgpr_count 8
		.amdhsa_user_sgpr_private_segment_buffer 1
		.amdhsa_user_sgpr_dispatch_ptr 0
		.amdhsa_user_sgpr_queue_ptr 0
		.amdhsa_user_sgpr_kernarg_segment_ptr 1
		.amdhsa_user_sgpr_dispatch_id 0
		.amdhsa_user_sgpr_flat_scratch_init 1
		.amdhsa_user_sgpr_kernarg_preload_length 0
		.amdhsa_user_sgpr_kernarg_preload_offset 0
		.amdhsa_user_sgpr_private_segment_size 0
		.amdhsa_uses_dynamic_stack 0
		.amdhsa_system_sgpr_private_segment_wavefront_offset 1
		.amdhsa_system_sgpr_workgroup_id_x 1
		.amdhsa_system_sgpr_workgroup_id_y 1
		.amdhsa_system_sgpr_workgroup_id_z 1
		.amdhsa_system_sgpr_workgroup_info 0
		.amdhsa_system_vgpr_workitem_id 0
		.amdhsa_next_free_vgpr 128
		.amdhsa_next_free_sgpr 48
		.amdhsa_accum_offset 64
		.amdhsa_reserve_vcc 1
		.amdhsa_reserve_flat_scratch 1
		.amdhsa_float_round_mode_32 0
		.amdhsa_float_round_mode_16_64 0
		.amdhsa_float_denorm_mode_32 3
		.amdhsa_float_denorm_mode_16_64 3
		.amdhsa_dx10_clamp 1
		.amdhsa_ieee_mode 1
		.amdhsa_fp16_overflow 0
		.amdhsa_tg_split 0
		.amdhsa_exception_fp_ieee_invalid_op 0
		.amdhsa_exception_fp_denorm_src 0
		.amdhsa_exception_fp_ieee_div_zero 0
		.amdhsa_exception_fp_ieee_overflow 0
		.amdhsa_exception_fp_ieee_underflow 0
		.amdhsa_exception_fp_ieee_inexact 0
		.amdhsa_exception_int_div_zero 0
	.end_amdhsa_kernel
	.section	.text._ZN4vllm25paged_attention_v2_kernelI14__hip_bfloat16hLi192ELi32ELi128ELNS_18Fp8KVCacheDataTypeE1ELb1ELi512EEEvPfS3_PT_PKS4_PKT0_SA_ifPKiSC_iPKfiiiSE_SE_iiiii,"axG",@progbits,_ZN4vllm25paged_attention_v2_kernelI14__hip_bfloat16hLi192ELi32ELi128ELNS_18Fp8KVCacheDataTypeE1ELb1ELi512EEEvPfS3_PT_PKS4_PKT0_SA_ifPKiSC_iPKfiiiSE_SE_iiiii,comdat
.Lfunc_end387:
	.size	_ZN4vllm25paged_attention_v2_kernelI14__hip_bfloat16hLi192ELi32ELi128ELNS_18Fp8KVCacheDataTypeE1ELb1ELi512EEEvPfS3_PT_PKS4_PKT0_SA_ifPKiSC_iPKfiiiSE_SE_iiiii, .Lfunc_end387-_ZN4vllm25paged_attention_v2_kernelI14__hip_bfloat16hLi192ELi32ELi128ELNS_18Fp8KVCacheDataTypeE1ELb1ELi512EEEvPfS3_PT_PKS4_PKT0_SA_ifPKiSC_iPKfiiiSE_SE_iiiii
                                        ; -- End function
	.section	.AMDGPU.csdata,"",@progbits
; Kernel info:
; codeLenInByte = 296
; NumSgprs: 54
; NumVgprs: 64
; NumAgprs: 64
; TotalNumVgprs: 128
; ScratchSize: 608
; MemoryBound: 0
; FloatMode: 240
; IeeeMode: 1
; LDSByteSize: 400 bytes/workgroup (compile time only)
; SGPRBlocks: 6
; VGPRBlocks: 15
; NumSGPRsForWavesPerEU: 54
; NumVGPRsForWavesPerEU: 128
; AccumOffset: 64
; Occupancy: 4
; WaveLimiterHint : 1
; COMPUTE_PGM_RSRC2:SCRATCH_EN: 1
; COMPUTE_PGM_RSRC2:USER_SGPR: 8
; COMPUTE_PGM_RSRC2:TRAP_HANDLER: 0
; COMPUTE_PGM_RSRC2:TGID_X_EN: 1
; COMPUTE_PGM_RSRC2:TGID_Y_EN: 1
; COMPUTE_PGM_RSRC2:TGID_Z_EN: 1
; COMPUTE_PGM_RSRC2:TIDIG_COMP_CNT: 0
; COMPUTE_PGM_RSRC3_GFX90A:ACCUM_OFFSET: 15
; COMPUTE_PGM_RSRC3_GFX90A:TG_SPLIT: 0
	.text
	.p2align	2                               ; -- Begin function _ZN4vllm22paged_attention_kernelI14__hip_bfloat16hLi256ELi32ELi128ELNS_18Fp8KVCacheDataTypeE1ELb1ELi512EEEvPfS3_PT_PKS4_PKT0_SA_ifPKiSC_iPKfiiiSE_SE_iiiii
	.type	_ZN4vllm22paged_attention_kernelI14__hip_bfloat16hLi256ELi32ELi128ELNS_18Fp8KVCacheDataTypeE1ELb1ELi512EEEvPfS3_PT_PKS4_PKT0_SA_ifPKiSC_iPKfiiiSE_SE_iiiii,@function
_ZN4vllm22paged_attention_kernelI14__hip_bfloat16hLi256ELi32ELi128ELNS_18Fp8KVCacheDataTypeE1ELb1ELi512EEEvPfS3_PT_PKS4_PKT0_SA_ifPKiSC_iPKfiiiSE_SE_iiiii: ; @_ZN4vllm22paged_attention_kernelI14__hip_bfloat16hLi256ELi32ELi128ELNS_18Fp8KVCacheDataTypeE1ELb1ELi512EEEvPfS3_PT_PKS4_PKT0_SA_ifPKiSC_iPKfiiiSE_SE_iiiii
; %bb.0:
	s_waitcnt vmcnt(0) expcnt(0) lgkmcnt(0)
	s_or_saveexec_b64 s[4:5], -1
	buffer_store_dword v63, off, s[0:3], s32 offset:1056 ; 4-byte Folded Spill
	s_mov_b64 exec, s[4:5]
	buffer_store_dword v40, off, s[0:3], s32 offset:192 ; 4-byte Folded Spill
	buffer_store_dword v41, off, s[0:3], s32 offset:188 ; 4-byte Folded Spill
	;; [unrolled: 1-line block ×47, first 2 shown]
	v_writelane_b32 v63, s34, 0
	v_writelane_b32 v63, s35, 1
	;; [unrolled: 1-line block ×16, first 2 shown]
	s_mov_b32 s22, s13
	s_ashr_i32 s23, s13, 31
	s_lshl_b64 s[4:5], s[22:23], 2
	v_mov_b32_e32 v33, v20
	v_mov_b32_e32 v32, v19
	;; [unrolled: 1-line block ×5, first 2 shown]
	v_add_co_u32_e32 v0, vcc, s4, v16
	buffer_store_dword v30, off, s[0:3], s32 offset:976 ; 4-byte Folded Spill
	buffer_store_dword v26, off, s[0:3], s32 offset:920 ; 4-byte Folded Spill
	s_nop 0
	buffer_store_dword v27, off, s[0:3], s32 offset:924 ; 4-byte Folded Spill
	buffer_store_dword v24, off, s[0:3], s32 offset:928 ; 4-byte Folded Spill
	s_nop 0
	;; [unrolled: 3-line block ×3, first 2 shown]
	buffer_store_dword v23, off, s[0:3], s32 offset:272 ; 4-byte Folded Spill
	buffer_store_dword v14, off, s[0:3], s32 offset:980 ; 4-byte Folded Spill
	;; [unrolled: 1-line block ×5, first 2 shown]
	v_addc_co_u32_e32 v1, vcc, v17, v1, vcc
	v_mov_b32_e32 v34, v2
	flat_load_dword v2, v[0:1]
	s_nop 0
	buffer_load_dword v0, off, s[0:3], s32 offset:4
	buffer_load_dword v1, off, s[0:3], s32
	s_mov_b32 s26, s15
	s_lshl_b32 s15, s14, 9
	v_mov_b32_e32 v22, v11
	v_mov_b32_e32 v24, v10
	;; [unrolled: 1-line block ×3, first 2 shown]
	s_waitcnt vmcnt(0) lgkmcnt(0)
	v_cmp_lt_i32_e32 vcc, s15, v2
	buffer_store_dword v2, off, s[0:3], s32 offset:196 ; 4-byte Folded Spill
	s_and_saveexec_b64 s[20:21], vcc
	s_cbranch_execz .LBB388_3278
; %bb.1:
	v_sub_u32_e32 v2, 0, v12
	v_max_i32_e32 v2, v12, v2
	v_cvt_f32_u32_e32 v3, v2
	s_load_dword s4, s[8:9], 0x10
	s_load_dword s6, s[8:9], 0x0
	v_sub_u32_e32 v5, 0, v2
	v_rcp_iflag_f32_e32 v3, v3
	s_waitcnt lgkmcnt(0)
	s_lshr_b32 s4, s4, 16
	s_cmp_lg_u32 s4, 0
	s_cselect_b64 s[4:5], -1, 0
	v_mul_f32_e32 v3, 0x4f7ffffe, v3
	v_cvt_u32_f32_e32 v3, v3
	s_cmp_lg_u64 s[4:5], 0
	s_addc_u32 s23, s6, 0
	s_abs_i32 s4, s23
	v_mul_lo_u32 v5, v5, v3
	v_mul_hi_u32 v5, v3, v5
	v_add_u32_e32 v3, v3, v5
	v_mul_hi_u32 v3, s4, v3
	v_mul_lo_u32 v5, v3, v2
	v_sub_u32_e32 v5, s4, v5
	v_add_u32_e32 v10, 1, v3
	v_cmp_ge_u32_e32 vcc, v5, v2
	v_cndmask_b32_e32 v3, v3, v10, vcc
	v_sub_u32_e32 v10, v5, v2
	v_cndmask_b32_e32 v5, v5, v10, vcc
	v_xor_b32_e32 v4, s23, v12
	v_add_u32_e32 v10, 1, v3
	v_cmp_ge_u32_e32 vcc, v5, v2
	v_ashrrev_i32_e32 v4, 31, v4
	v_cndmask_b32_e32 v2, v3, v10, vcc
	v_xor_b32_e32 v2, v2, v4
	v_sub_u32_e32 v2, v2, v4
	v_sub_u32_e32 v3, 0, v2
	v_max_i32_e32 v3, v2, v3
	v_cvt_f32_u32_e32 v4, v3
	v_sub_u32_e32 v5, 0, v3
	s_abs_i32 s16, s12
	v_cmp_ne_u64_e32 vcc, 0, v[32:33]
	v_rcp_iflag_f32_e32 v4, v4
	v_mul_f32_e32 v4, 0x4f7ffffe, v4
	v_cvt_u32_f32_e32 v4, v4
	v_mul_lo_u32 v5, v5, v4
	v_mul_hi_u32 v5, v4, v5
	v_add_u32_e32 v4, v4, v5
	v_mad_u64_u32 v[16:17], s[4:5], s16, v4, 0
	v_mov_b32_e32 v4, 0
	buffer_store_dword v4, off, s[0:3], s32 offset:960 ; 4-byte Folded Spill
	s_and_saveexec_b64 s[4:5], vcc
	s_cbranch_execz .LBB388_3
; %bb.2:
	s_ashr_i32 s13, s12, 31
	s_lshl_b64 s[6:7], s[12:13], 2
	v_mov_b32_e32 v5, s7
	v_add_co_u32_e32 v4, vcc, s6, v32
	v_addc_co_u32_e32 v5, vcc, v33, v5, vcc
	flat_load_dword v4, v[4:5]
	s_waitcnt vmcnt(0) lgkmcnt(0)
	buffer_store_dword v4, off, s[0:3], s32 offset:960 ; 4-byte Folded Spill
.LBB388_3:
	s_or_b64 exec, exec, s[4:5]
	v_and_b32_e32 v5, 0x3ff, v31
	s_ashr_i32 s13, s12, 31
	v_ashrrev_i32_e32 v4, 31, v2
	v_and_b32_e32 v2, 1, v5
	s_lshl_b32 s24, s12, 8
	v_cmp_lt_u32_e64 s[6:7], 63, v5
	v_cmp_gt_u32_e64 s[4:5], 64, v5
	v_lshlrev_b32_e32 v35, 3, v5
	buffer_store_dword v5, off, s[0:3], s32 offset:916 ; 4-byte Folded Spill
	s_and_saveexec_b64 s[10:11], s[4:5]
	s_cbranch_execz .LBB388_5
; %bb.4:
	v_mul_lo_u32 v10, s22, v21
	v_ashrrev_i32_e32 v11, 31, v10
	v_lshlrev_b64 v[10:11], 1, v[10:11]
	v_add_co_u32_e32 v5, vcc, v6, v10
	s_ashr_i32 s25, s24, 31
	v_addc_co_u32_e32 v6, vcc, v7, v11, vcc
	s_lshl_b64 s[18:19], s[24:25], 1
	v_mov_b32_e32 v7, s19
	v_add_co_u32_e32 v5, vcc, s18, v5
	v_addc_co_u32_e32 v7, vcc, v6, v7, vcc
	v_add_co_u32_e32 v6, vcc, v5, v35
	buffer_load_dword v5, off, s[0:3], s32 offset:916 ; 4-byte Folded Reload
	v_addc_co_u32_e32 v7, vcc, 0, v7, vcc
	flat_load_dwordx2 v[6:7], v[6:7]
	s_waitcnt vmcnt(0)
	v_lshlrev_b32_e32 v5, 2, v5
	v_and_b32_e32 v5, 0xff8, v5
	v_lshl_add_u32 v5, v2, 8, v5
	s_waitcnt lgkmcnt(0)
	ds_write_b64 v5, v[6:7]
.LBB388_5:
	s_or_b64 exec, exec, s[10:11]
	v_mul_lo_u32 v5, v17, v3
	v_sub_u32_e32 v5, s16, v5
	v_add_u32_e32 v6, 1, v17
	v_cmp_ge_u32_e32 vcc, v5, v3
	v_sub_u32_e32 v7, v5, v3
	v_cndmask_b32_e32 v6, v17, v6, vcc
	v_cndmask_b32_e32 v5, v5, v7, vcc
	v_add_u32_e32 v7, 1, v6
	v_cmp_ge_u32_e32 vcc, v5, v3
	v_xor_b32_e32 v4, s13, v4
	v_cndmask_b32_e32 v3, v6, v7, vcc
	v_xor_b32_e32 v3, v3, v4
	v_sub_u32_e32 v6, v3, v4
	s_waitcnt lgkmcnt(0)
	s_barrier
	buffer_load_dword v4, off, s[0:3], s32 offset:196 ; 4-byte Folded Reload
	v_sub_u32_e32 v5, 0, v1
	v_max_i32_e32 v7, v1, v5
	v_cvt_f32_u32_e32 v5, v7
	buffer_store_dword v7, off, s[0:3], s32 offset:232 ; 4-byte Folded Spill
	v_sub_u32_e32 v7, 0, v7
	v_cmp_gt_i32_e32 vcc, 0, v0
	v_rcp_iflag_f32_e32 v3, v5
                                        ; implicit-def: $vgpr10
	v_mul_f32_e32 v3, 0x4f7ffffe, v3
	v_cvt_u32_f32_e32 v5, v3
	v_mul_lo_u32 v7, v7, v5
	v_mul_hi_u32 v7, v5, v7
	v_add_u32_e32 v5, v5, v7
	buffer_store_dword v5, off, s[0:3], s32 offset:252 ; 4-byte Folded Spill
	buffer_store_dword v10, off, s[0:3], s32 offset:244 ; 4-byte Folded Spill
	s_nop 0
	buffer_store_dword v11, off, s[0:3], s32 offset:248 ; 4-byte Folded Spill
	s_waitcnt vmcnt(4)
	v_add_u32_e32 v4, -1, v4
	v_sub_u32_e32 v3, 0, v4
	v_max_i32_e32 v3, v4, v3
	v_mad_u64_u32 v[16:17], s[10:11], v3, v5, 0
	s_and_saveexec_b64 s[10:11], vcc
	s_xor_b64 s[10:11], exec, s[10:11]
	s_cbranch_execz .LBB388_7
; %bb.6:
	v_mad_u64_u32 v[10:11], s[16:17], v28, v12, v[6:7]
	v_mul_lo_u32 v0, v10, v0
	v_sub_u32_e32 v0, 1, v0
	buffer_store_dword v0, off, s[0:3], s32 offset:244 ; 4-byte Folded Spill
	s_nop 0
	buffer_store_dword v1, off, s[0:3], s32 offset:248 ; 4-byte Folded Spill
                                        ; implicit-def: $vgpr28
                                        ; implicit-def: $vgpr0
.LBB388_7:
	s_or_saveexec_b64 s[10:11], s[10:11]
	v_ashrrev_i32_e32 v4, 31, v4
	v_ashrrev_i32_e32 v1, 31, v1
	buffer_store_dword v1, off, s[0:3], s32 offset:236 ; 4-byte Folded Spill
	s_xor_b64 exec, exec, s[10:11]
	s_cbranch_execz .LBB388_9
; %bb.8:
	v_mul_lo_u32 v1, s23, v28
	v_add_u32_e32 v1, s12, v1
	v_mad_u64_u32 v[0:1], s[16:17], v1, v0, 1
	buffer_store_dword v0, off, s[0:3], s32 offset:244 ; 4-byte Folded Spill
	s_nop 0
	buffer_store_dword v1, off, s[0:3], s32 offset:248 ; 4-byte Folded Spill
.LBB388_9:
	s_or_b64 exec, exec, s[10:11]
	s_load_dword s42, s[8:9], 0x14
	s_load_dword s13, s[8:9], 0x8
	buffer_load_dword v5, off, s[0:3], s32 offset:236 ; 4-byte Folded Reload
	buffer_load_dword v10, off, s[0:3], s32 offset:232 ; 4-byte Folded Reload
	s_lshl_b32 s25, s14, 4
	s_add_i32 s8, s25, 16
	v_mul_lo_u32 v0, s22, v18
	v_ashrrev_i32_e32 v1, 31, v0
	v_lshlrev_b64 v[0:1], 2, v[0:1]
	v_mul_lo_u32 v23, v6, v23
	v_mov_b32_e32 v13, 0xff7fffff
	s_waitcnt vmcnt(1)
	v_xor_b32_e32 v4, v4, v5
	s_waitcnt vmcnt(0)
	v_mul_lo_u32 v5, v17, v10
	v_sub_u32_e32 v3, v3, v5
	v_add_u32_e32 v5, 1, v17
	v_cmp_ge_u32_e32 vcc, v3, v10
	v_sub_u32_e32 v7, v3, v10
	v_cndmask_b32_e32 v5, v17, v5, vcc
	v_cndmask_b32_e32 v3, v3, v7, vcc
	v_add_u32_e32 v7, 1, v5
	v_cmp_ge_u32_e32 vcc, v3, v10
	v_cndmask_b32_e32 v3, v5, v7, vcc
	v_xor_b32_e32 v3, v3, v4
	v_sub_u32_e32 v3, v3, v4
	buffer_load_dword v4, off, s[0:3], s32 offset:196 ; 4-byte Folded Reload
	v_sub_u32_e32 v3, v3, v29
	buffer_store_dword v3, off, s[0:3], s32 offset:256 ; 4-byte Folded Spill
	v_ashrrev_i32_e32 v29, 31, v23
	s_waitcnt vmcnt(1)
	v_add_u32_e32 v4, 31, v4
	v_ashrrev_i32_e32 v5, 31, v4
	v_lshrrev_b32_e32 v5, 27, v5
	v_add_u32_e32 v4, v4, v5
	v_ashrrev_i32_e32 v31, 5, v4
	buffer_load_dword v4, off, s[0:3], s32 offset:916 ; 4-byte Folded Reload
	v_min_i32_e32 v5, s8, v31
	buffer_store_dword v5, off, s[0:3], s32 offset:240 ; 4-byte Folded Spill
	s_waitcnt vmcnt(1)
	v_lshrrev_b32_e32 v36, 6, v4
	v_or_b32_e32 v4, s25, v36
	v_cmp_lt_i32_e64 s[8:9], v4, v5
	v_ashrrev_i32_e32 v5, 31, v4
	buffer_store_dword v4, off, s[0:3], s32 offset:208 ; 4-byte Folded Spill
	s_nop 0
	buffer_store_dword v5, off, s[0:3], s32 offset:212 ; 4-byte Folded Spill
	buffer_load_dword v3, off, s[0:3], s32 offset:976 ; 4-byte Folded Reload
	v_mbcnt_lo_u32_b32 v5, -1, 0
	s_waitcnt vmcnt(0)
	v_sub_u32_e32 v3, 0, v3
	buffer_store_dword v3, off, s[0:3], s32 offset:1000 ; 4-byte Folded Spill
	buffer_store_dword v0, off, s[0:3], s32 offset:992 ; 4-byte Folded Spill
	s_nop 0
	buffer_store_dword v1, off, s[0:3], s32 offset:996 ; 4-byte Folded Spill
	v_lshl_add_u32 v0, v36, 5, s15
	buffer_store_dword v0, off, s[0:3], s32 offset:1004 ; 4-byte Folded Spill
	s_and_saveexec_b64 s[28:29], s[8:9]
	s_cbranch_execz .LBB388_1299
; %bb.10:
	buffer_store_dword v31, off, s[0:3], s32 offset:1008 ; 4-byte Folded Spill
	buffer_store_dword v35, off, s[0:3], s32 offset:1012 ; 4-byte Folded Spill
	;; [unrolled: 1-line block ×8, first 2 shown]
	buffer_load_dword v0, off, s[0:3], s32 offset:916 ; 4-byte Folded Reload
	s_ashr_i32 s27, s26, 31
	buffer_store_dword v23, off, s[0:3], s32 offset:1016 ; 4-byte Folded Spill
	buffer_store_dword v29, off, s[0:3], s32 offset:1020 ; 4-byte Folded Spill
	s_lshl_b64 s[18:19], s[26:27], 2
	v_cmp_eq_u32_e64 s[10:11], 0, v2
	v_lshlrev_b32_e32 v48, 8, v2
	v_mov_b32_e32 v4, v15
	v_mov_b32_e32 v30, 0
	s_mov_b64 s[34:35], 0
	s_movk_i32 s43, 0x80
	s_movk_i32 s44, 0x7f
	s_mov_b32 s45, 0x7f800000
	s_movk_i32 s46, 0x7fff
	s_mov_b32 s47, 0xffffff
	s_waitcnt vmcnt(2)
	v_bfe_u32 v10, v0, 1, 5
	v_add_co_u32_e32 v0, vcc, v8, v23
	v_addc_co_u32_e32 v1, vcc, v9, v29, vcc
	v_lshlrev_b32_e32 v3, 4, v10
	v_add_co_u32_e32 v0, vcc, v0, v3
	v_addc_co_u32_e32 v1, vcc, 0, v1, vcc
	buffer_store_dword v0, off, s[0:3], s32 offset:944 ; 4-byte Folded Spill
	s_nop 0
	buffer_store_dword v1, off, s[0:3], s32 offset:948 ; 4-byte Folded Spill
	v_lshlrev_b32_e32 v0, 2, v2
	s_getpc_b64 vcc
	s_add_u32 vcc_lo, vcc_lo, llvm.amdgcn.dynlds.offset.table@rel32@lo+4
	s_addc_u32 vcc_hi, vcc_hi, llvm.amdgcn.dynlds.offset.table@rel32@hi+12
	s_add_u32 s30, s18, vcc_lo
	s_addc_u32 s31, s19, vcc_hi
	buffer_store_dword v0, off, s[0:3], s32 offset:952 ; 4-byte Folded Spill
	s_nop 0
	buffer_store_dword v1, off, s[0:3], s32 offset:956 ; 4-byte Folded Spill
	buffer_load_dword v1, off, s[0:3], s32 offset:1000 ; 4-byte Folded Reload
	s_nop 0
	buffer_load_dword v0, off, s[0:3], s32 offset:976 ; 4-byte Folded Reload
	s_load_dword s27, s[30:31], 0x0
	s_waitcnt vmcnt(0)
	v_max_i32_e32 v3, v0, v1
	buffer_load_dword v1, off, s[0:3], s32 offset:960 ; 4-byte Folded Reload
	v_cvt_f32_u32_e32 v0, v3
	buffer_store_dword v3, off, s[0:3], s32 offset:276 ; 4-byte Folded Spill
	v_rcp_iflag_f32_e32 v0, v0
	v_mul_f32_e32 v0, 0x4f7ffffe, v0
	v_cvt_u32_f32_e32 v0, v0
	s_waitcnt vmcnt(1)
	v_cmp_neq_f32_e64 s[16:17], 0, v1
	v_sub_u32_e32 v1, 0, v3
	v_mul_lo_u32 v1, v1, v0
	v_mul_hi_u32 v1, v0, v1
	v_add_u32_e32 v0, v0, v1
	buffer_store_dword v0, off, s[0:3], s32 offset:284 ; 4-byte Folded Spill
	s_nop 0
	buffer_store_dword v1, off, s[0:3], s32 offset:288 ; 4-byte Folded Spill
	buffer_load_dword v2, off, s[0:3], s32 offset:208 ; 4-byte Folded Reload
	buffer_load_dword v3, off, s[0:3], s32 offset:212 ; 4-byte Folded Reload
	;; [unrolled: 1-line block ×4, first 2 shown]
	s_waitcnt vmcnt(2)
	v_lshlrev_b64 v[0:1], 2, v[2:3]
	buffer_load_dword v3, off, s[0:3], s32 offset:980 ; 4-byte Folded Reload
	s_waitcnt vmcnt(2)
	v_add_co_u32_e32 v0, vcc, v6, v0
	s_waitcnt vmcnt(1)
	v_addc_co_u32_e32 v1, vcc, v7, v1, vcc
	buffer_store_dword v4, off, s[0:3], s32 offset:1052 ; 4-byte Folded Spill
	s_waitcnt vmcnt(1)
	v_add_co_u32_e32 v0, vcc, v3, v0
	v_addc_co_u32_e32 v1, vcc, v4, v1, vcc
	buffer_store_dword v0, off, s[0:3], s32 offset:216 ; 4-byte Folded Spill
	s_nop 0
	buffer_store_dword v1, off, s[0:3], s32 offset:220 ; 4-byte Folded Spill
	v_lshlrev_b32_e32 v0, 2, v10
	v_lshl_or_b32 v0, v36, 7, v0
	buffer_store_dword v36, off, s[0:3], s32 offset:1024 ; 4-byte Folded Spill
	buffer_store_dword v0, off, s[0:3], s32 offset:200 ; 4-byte Folded Spill
	;; [unrolled: 1-line block ×3, first 2 shown]
	buffer_load_dword v0, off, s[0:3], s32 offset:196 ; 4-byte Folded Reload
	v_lshl_add_u32 v1, v36, 5, s15
	s_waitcnt vmcnt(0)
	v_sub_u32_e32 v0, v10, v0
	v_add_u32_e32 v0, 1, v0
	buffer_store_dword v0, off, s[0:3], s32 offset:972 ; 4-byte Folded Spill
	v_mbcnt_hi_u32_b32 v0, -1, v5
	buffer_store_dword v0, off, s[0:3], s32 offset:940 ; 4-byte Folded Spill
	v_mov_b32_e32 v0, 0xff7fffff
	buffer_store_dword v0, off, s[0:3], s32 offset:936 ; 4-byte Folded Spill
	s_branch .LBB388_13
.LBB388_11:                             ;   in Loop: Header=BB388_13 Depth=1
	s_or_b64 exec, exec, s[36:37]
.LBB388_12:                             ;   in Loop: Header=BB388_13 Depth=1
	s_or_b64 exec, exec, s[18:19]
	buffer_load_dword v2, off, s[0:3], s32 offset:260 ; 4-byte Folded Reload
	s_waitcnt lgkmcnt(0)
	buffer_load_dword v0, off, s[0:3], s32 offset:216 ; 4-byte Folded Reload
	buffer_load_dword v1, off, s[0:3], s32 offset:220 ; 4-byte Folded Reload
	s_waitcnt vmcnt(2)
	v_add_u32_e32 v2, 2, v2
	s_waitcnt vmcnt(1)
	v_add_co_u32_e32 v0, vcc, 8, v0
	s_waitcnt vmcnt(0)
	v_addc_co_u32_e32 v1, vcc, 0, v1, vcc
	buffer_store_dword v0, off, s[0:3], s32 offset:216 ; 4-byte Folded Spill
	s_nop 0
	buffer_store_dword v1, off, s[0:3], s32 offset:220 ; 4-byte Folded Spill
	buffer_load_dword v1, off, s[0:3], s32 offset:224 ; 4-byte Folded Reload
	s_nop 0
	buffer_load_dword v0, off, s[0:3], s32 offset:240 ; 4-byte Folded Reload
	s_waitcnt vmcnt(0)
	v_cmp_ge_i32_e32 vcc, v2, v0
	buffer_load_dword v0, off, s[0:3], s32 offset:200 ; 4-byte Folded Reload
	v_add_u32_e32 v1, 64, v1
	s_or_b64 s[34:35], vcc, s[34:35]
	s_waitcnt vmcnt(0)
	v_add_u32_e32 v0, 0x100, v0
	buffer_store_dword v0, off, s[0:3], s32 offset:200 ; 4-byte Folded Spill
	s_andn2_b64 exec, exec, s[34:35]
	s_cbranch_execz .LBB388_1298
.LBB388_13:                             ; =>This Inner Loop Header: Depth=1
	buffer_store_dword v2, off, s[0:3], s32 offset:260 ; 4-byte Folded Spill
	v_ashrrev_i32_e32 v0, 31, v1
	v_mov_b32_e32 v2, v1
	buffer_load_dword v1, off, s[0:3], s32 offset:236 ; 4-byte Folded Reload
	buffer_load_dword v4, off, s[0:3], s32 offset:232 ; 4-byte Folded Reload
	s_waitcnt vmcnt(1)
	v_xor_b32_e32 v0, v0, v1
	v_sub_u32_e32 v1, 0, v2
	buffer_store_dword v2, off, s[0:3], s32 offset:224 ; 4-byte Folded Spill
	v_max_i32_e32 v1, v2, v1
	buffer_load_dword v2, off, s[0:3], s32 offset:252 ; 4-byte Folded Reload
	s_waitcnt vmcnt(0)
	v_mul_hi_u32 v2, v1, v2
	v_mul_lo_u32 v3, v2, v4
	v_sub_u32_e32 v1, v1, v3
	v_add_u32_e32 v3, 1, v2
	v_cmp_ge_u32_e32 vcc, v1, v4
	v_cndmask_b32_e32 v2, v2, v3, vcc
	v_sub_u32_e32 v3, v1, v4
	v_cndmask_b32_e32 v1, v1, v3, vcc
	v_add_u32_e32 v3, 1, v2
	v_cmp_ge_u32_e32 vcc, v1, v4
	v_cndmask_b32_e32 v1, v2, v3, vcc
	buffer_load_dword v2, off, s[0:3], s32 offset:244 ; 4-byte Folded Reload
	buffer_load_dword v3, off, s[0:3], s32 offset:248 ; 4-byte Folded Reload
	;; [unrolled: 1-line block ×4, first 2 shown]
	v_xor_b32_e32 v1, v1, v0
	v_sub_u32_e32 v0, v1, v0
	s_waitcnt vmcnt(3)
	v_add_u32_e32 v1, v0, v2
	s_waitcnt vmcnt(2)
	v_sub_u32_e32 v3, 0, v1
	v_ashrrev_i32_e32 v2, 31, v1
	v_max_i32_e32 v1, v1, v3
	s_waitcnt vmcnt(1)
	v_mul_hi_u32 v3, v1, v4
	buffer_load_dword v4, off, s[0:3], s32 offset:276 ; 4-byte Folded Reload
	s_waitcnt vmcnt(0)
	v_mul_lo_u32 v3, v3, v4
	v_sub_u32_e32 v1, v1, v3
	v_sub_u32_e32 v3, v1, v4
	v_cmp_ge_u32_e32 vcc, v1, v4
	v_cndmask_b32_e32 v1, v1, v3, vcc
	v_sub_u32_e32 v3, v1, v4
	v_cmp_ge_u32_e32 vcc, v1, v4
	v_cndmask_b32_e32 v1, v1, v3, vcc
	v_xor_b32_e32 v1, v1, v2
	v_sub_u32_e32 v1, v1, v2
	v_cmp_ne_u32_e32 vcc, 0, v1
	buffer_load_dword v1, off, s[0:3], s32 offset:256 ; 4-byte Folded Reload
	s_waitcnt vmcnt(0)
	v_cmp_le_i32_e64 s[18:19], v0, v1
	s_and_b64 s[18:19], vcc, s[18:19]
	s_and_b64 s[36:37], s[10:11], s[18:19]
	s_and_saveexec_b64 vcc, s[36:37]
	s_cbranch_execz .LBB388_15
; %bb.14:                               ;   in Loop: Header=BB388_13 Depth=1
	buffer_load_dword v0, off, s[0:3], s32 offset:200 ; 4-byte Folded Reload
	v_mov_b32_e32 v1, 0xff7fffff
	s_waitcnt vmcnt(0) lgkmcnt(0)
	v_add_u32_e32 v0, s27, v0
	ds_write_b32 v0, v1
.LBB388_15:                             ;   in Loop: Header=BB388_13 Depth=1
	s_or_b64 exec, exec, vcc
	s_xor_b64 vcc, s[18:19], -1
	s_and_saveexec_b64 s[18:19], vcc
	s_cbranch_execz .LBB388_12
; %bb.16:                               ;   in Loop: Header=BB388_13 Depth=1
	buffer_load_dword v0, off, s[0:3], s32 offset:216 ; 4-byte Folded Reload
	buffer_load_dword v1, off, s[0:3], s32 offset:220 ; 4-byte Folded Reload
	s_waitcnt vmcnt(0)
	flat_load_dword v0, v[0:1]
	s_nop 0
	buffer_load_dword v2, off, s[0:3], s32 offset:268 ; 4-byte Folded Reload
	buffer_load_dword v3, off, s[0:3], s32 offset:272 ; 4-byte Folded Reload
	;; [unrolled: 1-line block ×4, first 2 shown]
	s_waitcnt vmcnt(0) lgkmcnt(0)
	v_mad_i64_i32 v[0:1], vcc, v0, v2, v[4:5]
	buffer_load_dword v2, off, s[0:3], s32 offset:952 ; 4-byte Folded Reload
	buffer_load_dword v3, off, s[0:3], s32 offset:956 ; 4-byte Folded Reload
	s_waitcnt vmcnt(1)
	v_add_co_u32_e32 v46, vcc, v0, v2
	v_addc_co_u32_e32 v47, vcc, 0, v1, vcc
	flat_load_dword v56, v[46:47]
	buffer_load_dword v0, off, s[0:3], s32 offset:928 ; 4-byte Folded Reload
	buffer_load_dword v1, off, s[0:3], s32 offset:932 ; 4-byte Folded Reload
	s_waitcnt vmcnt(0)
	ds_read_b128 v[2:5], v48
	s_waitcnt lgkmcnt(0)
	v_cmp_ne_u16_sdwa vcc, v56, v30 src0_sel:BYTE_0 src1_sel:DWORD
	flat_load_dword v0, v[0:1]
	s_nop 0
	buffer_store_dword v2, off, s[0:3], s32 offset:360 ; 4-byte Folded Spill
	s_nop 0
	buffer_store_dword v3, off, s[0:3], s32 offset:364 ; 4-byte Folded Spill
	buffer_store_dword v4, off, s[0:3], s32 offset:368 ; 4-byte Folded Spill
	buffer_store_dword v5, off, s[0:3], s32 offset:372 ; 4-byte Folded Spill
	ds_read_b128 v[2:5], v48 offset:16
	s_waitcnt lgkmcnt(0)
	buffer_store_dword v2, off, s[0:3], s32 offset:344 ; 4-byte Folded Spill
	s_nop 0
	buffer_store_dword v3, off, s[0:3], s32 offset:348 ; 4-byte Folded Spill
	buffer_store_dword v4, off, s[0:3], s32 offset:352 ; 4-byte Folded Spill
	buffer_store_dword v5, off, s[0:3], s32 offset:356 ; 4-byte Folded Spill
	ds_read_b128 v[2:5], v48 offset:32
	s_waitcnt lgkmcnt(0)
	;; [unrolled: 7-line block ×4, first 2 shown]
	buffer_store_dword v2, off, s[0:3], s32 offset:296 ; 4-byte Folded Spill
	s_nop 0
	buffer_store_dword v3, off, s[0:3], s32 offset:300 ; 4-byte Folded Spill
	buffer_store_dword v4, off, s[0:3], s32 offset:304 ; 4-byte Folded Spill
	;; [unrolled: 1-line block ×3, first 2 shown]
	ds_read_b128 v[40:43], v48 offset:80
	ds_read_b32 v1, v48 offset:96
	s_waitcnt lgkmcnt(0)
	buffer_store_dword v1, off, s[0:3], s32 offset:544 ; 4-byte Folded Spill
	ds_read_u16 v1, v48 offset:100
	s_waitcnt lgkmcnt(0)
	buffer_store_dword v1, off, s[0:3], s32 offset:292 ; 4-byte Folded Spill
	v_mov_b32_e32 v1, 0
	s_and_saveexec_b64 s[36:37], vcc
	s_cbranch_execz .LBB388_22
; %bb.17:                               ;   in Loop: Header=BB388_13 Depth=1
	v_cmp_ne_u16_sdwa vcc, v56, s43 src0_sel:BYTE_0 src1_sel:DWORD
	v_bfrev_b32_e32 v1, 1
	s_and_saveexec_b64 s[38:39], vcc
	s_cbranch_execz .LBB388_21
; %bb.18:                               ;   in Loop: Header=BB388_13 Depth=1
	v_and_b32_e32 v2, 0x7f, v56
	v_cmp_ne_u32_e32 vcc, s44, v2
	v_mov_b32_e32 v1, 0x7f800001
	s_and_saveexec_b64 s[40:41], vcc
	s_cbranch_execz .LBB388_20
; %bb.19:                               ;   in Loop: Header=BB388_13 Depth=1
	v_and_b32_e32 v1, 7, v56
	v_ffbh_u32_e32 v4, v1
	v_min_u32_e32 v6, 32, v4
	v_subrev_u32_e32 v4, 28, v6
	v_lshlrev_b64 v[4:5], v4, v[56:57]
	v_lshrrev_b32_e32 v3, 3, v2
	v_sub_u32_e32 v5, 29, v6
	v_and_b32_e32 v4, 7, v4
	v_cmp_gt_u32_e32 vcc, 8, v2
	v_cndmask_b32_e32 v2, v3, v5, vcc
	v_cndmask_b32_e32 v1, v1, v4, vcc
	v_lshlrev_b32_e32 v3, 24, v56
	v_bfrev_b32_e32 v4, 60
	v_lshlrev_b32_e32 v1, 20, v1
	v_and_b32_e32 v3, 0x80000000, v3
	v_lshl_add_u32 v2, v2, 23, v4
	v_or3_b32 v1, v3, v2, v1
.LBB388_20:                             ;   in Loop: Header=BB388_13 Depth=1
	s_or_b64 exec, exec, s[40:41]
.LBB388_21:                             ;   in Loop: Header=BB388_13 Depth=1
	s_or_b64 exec, exec, s[38:39]
.LBB388_22:                             ;   in Loop: Header=BB388_13 Depth=1
	s_or_b64 exec, exec, s[36:37]
	s_waitcnt vmcnt(0)
	v_mul_f32_e32 v1, v0, v1
	v_and_b32_e32 v2, 0x7f800000, v1
	v_cmp_ne_u32_e32 vcc, s45, v2
                                        ; implicit-def: $vgpr2
                                        ; kill: killed $vgpr2
	s_and_saveexec_b64 s[36:37], vcc
	s_xor_b64 vcc, exec, s[36:37]
	s_cbranch_execz .LBB388_24
; %bb.23:                               ;   in Loop: Header=BB388_13 Depth=1
	v_bfe_u32 v2, v1, 16, 1
	v_add3_u32 v1, v1, v2, s46
	buffer_store_dword v1, off, s[0:3], s32 offset:376 ; 4-byte Folded Spill
                                        ; implicit-def: $vgpr1
.LBB388_24:                             ;   in Loop: Header=BB388_13 Depth=1
	s_andn2_saveexec_b64 s[36:37], vcc
	s_cbranch_execz .LBB388_26
; %bb.25:                               ;   in Loop: Header=BB388_13 Depth=1
	v_or_b32_e32 v2, 0x10000, v1
	v_cmp_eq_u32_sdwa vcc, v1, v30 src0_sel:WORD_0 src1_sel:DWORD
	v_cndmask_b32_e32 v1, v2, v1, vcc
	buffer_store_dword v1, off, s[0:3], s32 offset:376 ; 4-byte Folded Spill
.LBB388_26:                             ;   in Loop: Header=BB388_13 Depth=1
	s_or_b64 exec, exec, s[36:37]
	v_lshrrev_b16_e32 v58, 8, v56
	v_cmp_ne_u16_e32 vcc, 0, v58
	v_mov_b32_e32 v1, 0
	s_and_saveexec_b64 s[36:37], vcc
	s_cbranch_execz .LBB388_32
; %bb.27:                               ;   in Loop: Header=BB388_13 Depth=1
	v_cmp_ne_u16_e32 vcc, s43, v58
	v_bfrev_b32_e32 v1, 1
	s_and_saveexec_b64 s[38:39], vcc
	s_cbranch_execz .LBB388_31
; %bb.28:                               ;   in Loop: Header=BB388_13 Depth=1
	v_and_b32_e32 v2, 0x7f, v58
	v_cmp_ne_u32_e32 vcc, s44, v2
	v_mov_b32_e32 v1, 0x7f800001
	s_and_saveexec_b64 s[40:41], vcc
	s_cbranch_execz .LBB388_30
; %bb.29:                               ;   in Loop: Header=BB388_13 Depth=1
	v_and_b32_e32 v1, 7, v58
	v_ffbh_u32_e32 v4, v1
	v_min_u32_e32 v6, 32, v4
	v_subrev_u32_e32 v4, 28, v6
	v_lshlrev_b64 v[4:5], v4, v[58:59]
	v_lshrrev_b32_e32 v3, 3, v2
	v_sub_u32_e32 v5, 29, v6
	v_and_b32_e32 v4, 7, v4
	v_cmp_gt_u32_e32 vcc, 8, v2
	v_cndmask_b32_e32 v2, v3, v5, vcc
	v_cndmask_b32_e32 v1, v1, v4, vcc
	v_lshlrev_b32_e32 v3, 16, v56
	v_bfrev_b32_e32 v4, 60
	v_lshlrev_b32_e32 v1, 20, v1
	v_and_b32_e32 v3, 0x80000000, v3
	v_lshl_add_u32 v2, v2, 23, v4
	v_or3_b32 v1, v3, v2, v1
.LBB388_30:                             ;   in Loop: Header=BB388_13 Depth=1
	s_or_b64 exec, exec, s[40:41]
.LBB388_31:                             ;   in Loop: Header=BB388_13 Depth=1
	s_or_b64 exec, exec, s[38:39]
.LBB388_32:                             ;   in Loop: Header=BB388_13 Depth=1
	s_or_b64 exec, exec, s[36:37]
	v_mul_f32_e32 v1, v0, v1
	v_and_b32_e32 v2, 0x7f800000, v1
	v_cmp_ne_u32_e32 vcc, s45, v2
                                        ; implicit-def: $vgpr2
                                        ; kill: killed $vgpr2
	s_and_saveexec_b64 s[36:37], vcc
	s_xor_b64 vcc, exec, s[36:37]
	s_cbranch_execz .LBB388_34
; %bb.33:                               ;   in Loop: Header=BB388_13 Depth=1
	v_bfe_u32 v2, v1, 16, 1
	v_add3_u32 v1, v1, v2, s46
	buffer_store_dword v1, off, s[0:3], s32 offset:380 ; 4-byte Folded Spill
                                        ; implicit-def: $vgpr1
.LBB388_34:                             ;   in Loop: Header=BB388_13 Depth=1
	s_andn2_saveexec_b64 s[36:37], vcc
	s_cbranch_execz .LBB388_36
; %bb.35:                               ;   in Loop: Header=BB388_13 Depth=1
	v_or_b32_e32 v2, 0x10000, v1
	v_cmp_eq_u32_sdwa vcc, v1, v30 src0_sel:WORD_0 src1_sel:DWORD
	v_cndmask_b32_e32 v1, v2, v1, vcc
	buffer_store_dword v1, off, s[0:3], s32 offset:380 ; 4-byte Folded Spill
.LBB388_36:                             ;   in Loop: Header=BB388_13 Depth=1
	s_or_b64 exec, exec, s[36:37]
	v_lshrrev_b32_e32 v58, 16, v56
	v_cmp_ne_u16_sdwa vcc, v58, v30 src0_sel:BYTE_0 src1_sel:DWORD
	v_mov_b32_e32 v1, 0
	s_and_saveexec_b64 s[36:37], vcc
	s_cbranch_execz .LBB388_42
; %bb.37:                               ;   in Loop: Header=BB388_13 Depth=1
	v_cmp_ne_u16_sdwa vcc, v58, s43 src0_sel:BYTE_0 src1_sel:DWORD
	v_bfrev_b32_e32 v1, 1
	s_and_saveexec_b64 s[38:39], vcc
	s_cbranch_execz .LBB388_41
; %bb.38:                               ;   in Loop: Header=BB388_13 Depth=1
	v_bfe_u32 v2, v56, 16, 7
	v_cmp_ne_u32_e32 vcc, s44, v2
	v_mov_b32_e32 v1, 0x7f800001
	s_and_saveexec_b64 s[40:41], vcc
	s_cbranch_execz .LBB388_40
; %bb.39:                               ;   in Loop: Header=BB388_13 Depth=1
	v_and_b32_e32 v1, 7, v58
	v_ffbh_u32_e32 v4, v1
	v_min_u32_e32 v6, 32, v4
	v_subrev_u32_e32 v4, 28, v6
	v_lshlrev_b64 v[4:5], v4, v[58:59]
	v_lshrrev_b32_e32 v3, 3, v2
	v_sub_u32_e32 v5, 29, v6
	v_and_b32_e32 v4, 7, v4
	v_cmp_gt_u32_e32 vcc, 8, v2
	v_cndmask_b32_e32 v2, v3, v5, vcc
	v_cndmask_b32_e32 v1, v1, v4, vcc
	v_lshlrev_b32_e32 v3, 24, v58
	v_bfrev_b32_e32 v4, 60
	v_lshlrev_b32_e32 v1, 20, v1
	v_and_b32_e32 v3, 0x80000000, v3
	v_lshl_add_u32 v2, v2, 23, v4
	v_or3_b32 v1, v3, v2, v1
.LBB388_40:                             ;   in Loop: Header=BB388_13 Depth=1
	s_or_b64 exec, exec, s[40:41]
.LBB388_41:                             ;   in Loop: Header=BB388_13 Depth=1
	s_or_b64 exec, exec, s[38:39]
.LBB388_42:                             ;   in Loop: Header=BB388_13 Depth=1
	s_or_b64 exec, exec, s[36:37]
	v_mul_f32_e32 v1, v0, v1
	v_and_b32_e32 v2, 0x7f800000, v1
	v_cmp_ne_u32_e32 vcc, s45, v2
                                        ; implicit-def: $vgpr2
                                        ; kill: killed $vgpr2
	s_and_saveexec_b64 s[36:37], vcc
	s_xor_b64 vcc, exec, s[36:37]
	s_cbranch_execz .LBB388_44
; %bb.43:                               ;   in Loop: Header=BB388_13 Depth=1
	v_bfe_u32 v2, v1, 16, 1
	v_add3_u32 v1, v1, v2, s46
	buffer_store_dword v1, off, s[0:3], s32 offset:384 ; 4-byte Folded Spill
                                        ; implicit-def: $vgpr1
.LBB388_44:                             ;   in Loop: Header=BB388_13 Depth=1
	s_andn2_saveexec_b64 s[36:37], vcc
	s_cbranch_execz .LBB388_46
; %bb.45:                               ;   in Loop: Header=BB388_13 Depth=1
	v_or_b32_e32 v2, 0x10000, v1
	v_cmp_eq_u32_sdwa vcc, v1, v30 src0_sel:WORD_0 src1_sel:DWORD
	v_cndmask_b32_e32 v1, v2, v1, vcc
	buffer_store_dword v1, off, s[0:3], s32 offset:384 ; 4-byte Folded Spill
.LBB388_46:                             ;   in Loop: Header=BB388_13 Depth=1
	s_or_b64 exec, exec, s[36:37]
	v_cmp_lt_u32_e32 vcc, s47, v56
	v_mov_b32_e32 v1, 0
	s_and_saveexec_b64 s[36:37], vcc
	s_cbranch_execz .LBB388_52
; %bb.47:                               ;   in Loop: Header=BB388_13 Depth=1
	v_lshrrev_b32_e32 v58, 24, v56
	v_cmp_ne_u32_e32 vcc, s43, v58
	v_bfrev_b32_e32 v1, 1
	s_and_saveexec_b64 s[38:39], vcc
	s_cbranch_execz .LBB388_51
; %bb.48:                               ;   in Loop: Header=BB388_13 Depth=1
	v_bfe_u32 v2, v56, 24, 7
	v_cmp_ne_u32_e32 vcc, s44, v2
	v_mov_b32_e32 v1, 0x7f800001
	s_and_saveexec_b64 s[40:41], vcc
	s_cbranch_execz .LBB388_50
; %bb.49:                               ;   in Loop: Header=BB388_13 Depth=1
	v_and_b32_e32 v1, 7, v58
	v_ffbh_u32_e32 v4, v1
	v_min_u32_e32 v6, 32, v4
	v_subrev_u32_e32 v4, 28, v6
	v_lshlrev_b64 v[4:5], v4, v[58:59]
	v_lshrrev_b32_e32 v3, 3, v2
	v_sub_u32_e32 v5, 29, v6
	v_and_b32_e32 v4, 7, v4
	v_cmp_gt_u32_e32 vcc, 8, v2
	v_cndmask_b32_e32 v2, v3, v5, vcc
	v_cndmask_b32_e32 v1, v1, v4, vcc
	v_lshlrev_b32_e32 v3, 24, v58
	v_bfrev_b32_e32 v4, 60
	v_lshlrev_b32_e32 v1, 20, v1
	v_and_b32_e32 v3, 0x80000000, v3
	v_lshl_add_u32 v2, v2, 23, v4
	v_or3_b32 v1, v3, v2, v1
.LBB388_50:                             ;   in Loop: Header=BB388_13 Depth=1
	s_or_b64 exec, exec, s[40:41]
.LBB388_51:                             ;   in Loop: Header=BB388_13 Depth=1
	s_or_b64 exec, exec, s[38:39]
.LBB388_52:                             ;   in Loop: Header=BB388_13 Depth=1
	s_or_b64 exec, exec, s[36:37]
	v_mul_f32_e32 v1, v0, v1
	v_and_b32_e32 v2, 0x7f800000, v1
	v_cmp_ne_u32_e32 vcc, s45, v2
                                        ; implicit-def: $vgpr2
                                        ; kill: killed $vgpr2
	s_and_saveexec_b64 s[36:37], vcc
	s_xor_b64 vcc, exec, s[36:37]
	s_cbranch_execz .LBB388_54
; %bb.53:                               ;   in Loop: Header=BB388_13 Depth=1
	v_bfe_u32 v2, v1, 16, 1
	v_add3_u32 v1, v1, v2, s46
	buffer_store_dword v1, off, s[0:3], s32 offset:388 ; 4-byte Folded Spill
                                        ; implicit-def: $vgpr1
.LBB388_54:                             ;   in Loop: Header=BB388_13 Depth=1
	s_andn2_saveexec_b64 s[36:37], vcc
	s_cbranch_execz .LBB388_56
; %bb.55:                               ;   in Loop: Header=BB388_13 Depth=1
	v_or_b32_e32 v2, 0x10000, v1
	v_cmp_eq_u32_sdwa vcc, v1, v30 src0_sel:WORD_0 src1_sel:DWORD
	v_cndmask_b32_e32 v1, v2, v1, vcc
	buffer_store_dword v1, off, s[0:3], s32 offset:388 ; 4-byte Folded Spill
.LBB388_56:                             ;   in Loop: Header=BB388_13 Depth=1
	s_or_b64 exec, exec, s[36:37]
	flat_load_dword v56, v[46:47] offset:8
	v_mov_b32_e32 v1, 0
	s_waitcnt vmcnt(0) lgkmcnt(0)
	v_cmp_ne_u16_sdwa vcc, v56, v30 src0_sel:BYTE_0 src1_sel:DWORD
	s_and_saveexec_b64 s[36:37], vcc
	s_cbranch_execz .LBB388_62
; %bb.57:                               ;   in Loop: Header=BB388_13 Depth=1
	v_cmp_ne_u16_sdwa vcc, v56, s43 src0_sel:BYTE_0 src1_sel:DWORD
	v_bfrev_b32_e32 v1, 1
	s_and_saveexec_b64 s[38:39], vcc
	s_cbranch_execz .LBB388_61
; %bb.58:                               ;   in Loop: Header=BB388_13 Depth=1
	v_and_b32_e32 v2, 0x7f, v56
	v_cmp_ne_u32_e32 vcc, s44, v2
	v_mov_b32_e32 v1, 0x7f800001
	s_and_saveexec_b64 s[40:41], vcc
	s_cbranch_execz .LBB388_60
; %bb.59:                               ;   in Loop: Header=BB388_13 Depth=1
	v_and_b32_e32 v1, 7, v56
	v_lshrrev_b32_e32 v4, 3, v2
	v_cmp_gt_u32_e32 vcc, 8, v2
	v_ffbh_u32_e32 v2, v1
	v_min_u32_e32 v5, 32, v2
	v_subrev_u32_e32 v2, 28, v5
	v_lshlrev_b64 v[2:3], v2, v[56:57]
	v_sub_u32_e32 v3, 29, v5
	v_and_b32_e32 v2, 7, v2
	v_cndmask_b32_e32 v3, v4, v3, vcc
	v_cndmask_b32_e32 v1, v1, v2, vcc
	v_lshlrev_b32_e32 v2, 24, v56
	v_bfrev_b32_e32 v4, 60
	v_lshlrev_b32_e32 v1, 20, v1
	v_and_b32_e32 v2, 0x80000000, v2
	v_lshl_add_u32 v3, v3, 23, v4
	v_or3_b32 v1, v2, v3, v1
.LBB388_60:                             ;   in Loop: Header=BB388_13 Depth=1
	s_or_b64 exec, exec, s[40:41]
.LBB388_61:                             ;   in Loop: Header=BB388_13 Depth=1
	s_or_b64 exec, exec, s[38:39]
.LBB388_62:                             ;   in Loop: Header=BB388_13 Depth=1
	s_or_b64 exec, exec, s[36:37]
	v_mul_f32_e32 v1, v0, v1
	v_and_b32_e32 v2, 0x7f800000, v1
	v_cmp_ne_u32_e32 vcc, s45, v2
                                        ; implicit-def: $vgpr2
                                        ; kill: killed $vgpr2
	s_and_saveexec_b64 s[36:37], vcc
	s_xor_b64 vcc, exec, s[36:37]
	s_cbranch_execz .LBB388_64
; %bb.63:                               ;   in Loop: Header=BB388_13 Depth=1
	v_bfe_u32 v2, v1, 16, 1
	v_add3_u32 v1, v1, v2, s46
	buffer_store_dword v1, off, s[0:3], s32 offset:392 ; 4-byte Folded Spill
                                        ; implicit-def: $vgpr1
.LBB388_64:                             ;   in Loop: Header=BB388_13 Depth=1
	s_andn2_saveexec_b64 s[36:37], vcc
	s_cbranch_execz .LBB388_66
; %bb.65:                               ;   in Loop: Header=BB388_13 Depth=1
	v_or_b32_e32 v2, 0x10000, v1
	v_cmp_eq_u32_sdwa vcc, v1, v30 src0_sel:WORD_0 src1_sel:DWORD
	v_cndmask_b32_e32 v1, v2, v1, vcc
	buffer_store_dword v1, off, s[0:3], s32 offset:392 ; 4-byte Folded Spill
.LBB388_66:                             ;   in Loop: Header=BB388_13 Depth=1
	s_or_b64 exec, exec, s[36:37]
	v_lshrrev_b16_e32 v58, 8, v56
	v_cmp_ne_u16_e32 vcc, 0, v58
	v_mov_b32_e32 v1, 0
	s_and_saveexec_b64 s[36:37], vcc
	s_cbranch_execz .LBB388_72
; %bb.67:                               ;   in Loop: Header=BB388_13 Depth=1
	v_cmp_ne_u16_e32 vcc, s43, v58
	v_bfrev_b32_e32 v1, 1
	s_and_saveexec_b64 s[38:39], vcc
	s_cbranch_execz .LBB388_71
; %bb.68:                               ;   in Loop: Header=BB388_13 Depth=1
	v_and_b32_e32 v2, 0x7f, v58
	v_cmp_ne_u32_e32 vcc, s44, v2
	v_mov_b32_e32 v1, 0x7f800001
	s_and_saveexec_b64 s[40:41], vcc
	s_cbranch_execz .LBB388_70
; %bb.69:                               ;   in Loop: Header=BB388_13 Depth=1
	v_and_b32_e32 v1, 7, v58
	v_ffbh_u32_e32 v4, v1
	v_min_u32_e32 v6, 32, v4
	v_subrev_u32_e32 v4, 28, v6
	v_lshlrev_b64 v[4:5], v4, v[58:59]
	v_lshrrev_b32_e32 v3, 3, v2
	v_sub_u32_e32 v5, 29, v6
	v_and_b32_e32 v4, 7, v4
	v_cmp_gt_u32_e32 vcc, 8, v2
	v_cndmask_b32_e32 v2, v3, v5, vcc
	v_cndmask_b32_e32 v1, v1, v4, vcc
	v_lshlrev_b32_e32 v3, 16, v56
	v_bfrev_b32_e32 v4, 60
	v_lshlrev_b32_e32 v1, 20, v1
	v_and_b32_e32 v3, 0x80000000, v3
	v_lshl_add_u32 v2, v2, 23, v4
	v_or3_b32 v1, v3, v2, v1
.LBB388_70:                             ;   in Loop: Header=BB388_13 Depth=1
	s_or_b64 exec, exec, s[40:41]
.LBB388_71:                             ;   in Loop: Header=BB388_13 Depth=1
	s_or_b64 exec, exec, s[38:39]
.LBB388_72:                             ;   in Loop: Header=BB388_13 Depth=1
	s_or_b64 exec, exec, s[36:37]
	v_mul_f32_e32 v1, v0, v1
	v_and_b32_e32 v2, 0x7f800000, v1
	v_cmp_ne_u32_e32 vcc, s45, v2
                                        ; implicit-def: $vgpr2
                                        ; kill: killed $vgpr2
	s_and_saveexec_b64 s[36:37], vcc
	s_xor_b64 vcc, exec, s[36:37]
	s_cbranch_execz .LBB388_74
; %bb.73:                               ;   in Loop: Header=BB388_13 Depth=1
	v_bfe_u32 v2, v1, 16, 1
	v_add3_u32 v1, v1, v2, s46
	buffer_store_dword v1, off, s[0:3], s32 offset:396 ; 4-byte Folded Spill
                                        ; implicit-def: $vgpr1
.LBB388_74:                             ;   in Loop: Header=BB388_13 Depth=1
	s_andn2_saveexec_b64 s[36:37], vcc
	s_cbranch_execz .LBB388_76
; %bb.75:                               ;   in Loop: Header=BB388_13 Depth=1
	v_or_b32_e32 v2, 0x10000, v1
	v_cmp_eq_u32_sdwa vcc, v1, v30 src0_sel:WORD_0 src1_sel:DWORD
	v_cndmask_b32_e32 v1, v2, v1, vcc
	buffer_store_dword v1, off, s[0:3], s32 offset:396 ; 4-byte Folded Spill
.LBB388_76:                             ;   in Loop: Header=BB388_13 Depth=1
	s_or_b64 exec, exec, s[36:37]
	v_lshrrev_b32_e32 v58, 16, v56
	v_cmp_ne_u16_sdwa vcc, v58, v30 src0_sel:BYTE_0 src1_sel:DWORD
	v_mov_b32_e32 v1, 0
	s_and_saveexec_b64 s[36:37], vcc
	s_cbranch_execz .LBB388_82
; %bb.77:                               ;   in Loop: Header=BB388_13 Depth=1
	v_cmp_ne_u16_sdwa vcc, v58, s43 src0_sel:BYTE_0 src1_sel:DWORD
	v_bfrev_b32_e32 v1, 1
	s_and_saveexec_b64 s[38:39], vcc
	s_cbranch_execz .LBB388_81
; %bb.78:                               ;   in Loop: Header=BB388_13 Depth=1
	v_bfe_u32 v2, v56, 16, 7
	v_cmp_ne_u32_e32 vcc, s44, v2
	v_mov_b32_e32 v1, 0x7f800001
	s_and_saveexec_b64 s[40:41], vcc
	s_cbranch_execz .LBB388_80
; %bb.79:                               ;   in Loop: Header=BB388_13 Depth=1
	v_and_b32_e32 v1, 7, v58
	v_ffbh_u32_e32 v4, v1
	v_min_u32_e32 v6, 32, v4
	v_subrev_u32_e32 v4, 28, v6
	v_lshlrev_b64 v[4:5], v4, v[58:59]
	v_lshrrev_b32_e32 v3, 3, v2
	v_sub_u32_e32 v5, 29, v6
	v_and_b32_e32 v4, 7, v4
	v_cmp_gt_u32_e32 vcc, 8, v2
	v_cndmask_b32_e32 v2, v3, v5, vcc
	v_cndmask_b32_e32 v1, v1, v4, vcc
	v_lshlrev_b32_e32 v3, 24, v58
	v_bfrev_b32_e32 v4, 60
	v_lshlrev_b32_e32 v1, 20, v1
	v_and_b32_e32 v3, 0x80000000, v3
	v_lshl_add_u32 v2, v2, 23, v4
	v_or3_b32 v1, v3, v2, v1
.LBB388_80:                             ;   in Loop: Header=BB388_13 Depth=1
	s_or_b64 exec, exec, s[40:41]
.LBB388_81:                             ;   in Loop: Header=BB388_13 Depth=1
	s_or_b64 exec, exec, s[38:39]
.LBB388_82:                             ;   in Loop: Header=BB388_13 Depth=1
	s_or_b64 exec, exec, s[36:37]
	v_mul_f32_e32 v1, v0, v1
	v_and_b32_e32 v2, 0x7f800000, v1
	v_cmp_ne_u32_e32 vcc, s45, v2
                                        ; implicit-def: $vgpr2
                                        ; kill: killed $vgpr2
	s_and_saveexec_b64 s[36:37], vcc
	s_xor_b64 vcc, exec, s[36:37]
	s_cbranch_execz .LBB388_84
; %bb.83:                               ;   in Loop: Header=BB388_13 Depth=1
	v_bfe_u32 v2, v1, 16, 1
	v_add3_u32 v1, v1, v2, s46
	buffer_store_dword v1, off, s[0:3], s32 offset:400 ; 4-byte Folded Spill
                                        ; implicit-def: $vgpr1
.LBB388_84:                             ;   in Loop: Header=BB388_13 Depth=1
	s_andn2_saveexec_b64 s[36:37], vcc
	s_cbranch_execz .LBB388_86
; %bb.85:                               ;   in Loop: Header=BB388_13 Depth=1
	v_or_b32_e32 v2, 0x10000, v1
	v_cmp_eq_u32_sdwa vcc, v1, v30 src0_sel:WORD_0 src1_sel:DWORD
	v_cndmask_b32_e32 v1, v2, v1, vcc
	buffer_store_dword v1, off, s[0:3], s32 offset:400 ; 4-byte Folded Spill
.LBB388_86:                             ;   in Loop: Header=BB388_13 Depth=1
	s_or_b64 exec, exec, s[36:37]
	v_cmp_lt_u32_e32 vcc, s47, v56
	v_mov_b32_e32 v1, 0
	s_and_saveexec_b64 s[36:37], vcc
	s_cbranch_execz .LBB388_92
; %bb.87:                               ;   in Loop: Header=BB388_13 Depth=1
	v_lshrrev_b32_e32 v58, 24, v56
	v_cmp_ne_u32_e32 vcc, s43, v58
	v_bfrev_b32_e32 v1, 1
	s_and_saveexec_b64 s[38:39], vcc
	s_cbranch_execz .LBB388_91
; %bb.88:                               ;   in Loop: Header=BB388_13 Depth=1
	v_bfe_u32 v2, v56, 24, 7
	v_cmp_ne_u32_e32 vcc, s44, v2
	v_mov_b32_e32 v1, 0x7f800001
	s_and_saveexec_b64 s[40:41], vcc
	s_cbranch_execz .LBB388_90
; %bb.89:                               ;   in Loop: Header=BB388_13 Depth=1
	v_and_b32_e32 v1, 7, v58
	v_ffbh_u32_e32 v4, v1
	v_min_u32_e32 v6, 32, v4
	v_subrev_u32_e32 v4, 28, v6
	v_lshlrev_b64 v[4:5], v4, v[58:59]
	v_lshrrev_b32_e32 v3, 3, v2
	v_sub_u32_e32 v5, 29, v6
	v_and_b32_e32 v4, 7, v4
	v_cmp_gt_u32_e32 vcc, 8, v2
	v_cndmask_b32_e32 v2, v3, v5, vcc
	v_cndmask_b32_e32 v1, v1, v4, vcc
	v_lshlrev_b32_e32 v3, 24, v58
	v_bfrev_b32_e32 v4, 60
	v_lshlrev_b32_e32 v1, 20, v1
	v_and_b32_e32 v3, 0x80000000, v3
	v_lshl_add_u32 v2, v2, 23, v4
	v_or3_b32 v1, v3, v2, v1
.LBB388_90:                             ;   in Loop: Header=BB388_13 Depth=1
	s_or_b64 exec, exec, s[40:41]
.LBB388_91:                             ;   in Loop: Header=BB388_13 Depth=1
	s_or_b64 exec, exec, s[38:39]
.LBB388_92:                             ;   in Loop: Header=BB388_13 Depth=1
	s_or_b64 exec, exec, s[36:37]
	v_mul_f32_e32 v1, v0, v1
	v_and_b32_e32 v2, 0x7f800000, v1
	v_cmp_ne_u32_e32 vcc, s45, v2
                                        ; implicit-def: $vgpr2
                                        ; kill: killed $vgpr2
	s_and_saveexec_b64 s[36:37], vcc
	s_xor_b64 vcc, exec, s[36:37]
	s_cbranch_execz .LBB388_94
; %bb.93:                               ;   in Loop: Header=BB388_13 Depth=1
	v_bfe_u32 v2, v1, 16, 1
	v_add3_u32 v1, v1, v2, s46
	buffer_store_dword v1, off, s[0:3], s32 offset:404 ; 4-byte Folded Spill
                                        ; implicit-def: $vgpr1
.LBB388_94:                             ;   in Loop: Header=BB388_13 Depth=1
	s_andn2_saveexec_b64 s[36:37], vcc
	s_cbranch_execz .LBB388_96
; %bb.95:                               ;   in Loop: Header=BB388_13 Depth=1
	v_or_b32_e32 v2, 0x10000, v1
	v_cmp_eq_u32_sdwa vcc, v1, v30 src0_sel:WORD_0 src1_sel:DWORD
	v_cndmask_b32_e32 v1, v2, v1, vcc
	buffer_store_dword v1, off, s[0:3], s32 offset:404 ; 4-byte Folded Spill
.LBB388_96:                             ;   in Loop: Header=BB388_13 Depth=1
	s_or_b64 exec, exec, s[36:37]
	flat_load_dword v56, v[46:47] offset:512
	v_mov_b32_e32 v1, 0
	s_waitcnt vmcnt(0) lgkmcnt(0)
	v_cmp_ne_u16_sdwa vcc, v56, v30 src0_sel:BYTE_0 src1_sel:DWORD
	s_and_saveexec_b64 s[36:37], vcc
	s_cbranch_execz .LBB388_102
; %bb.97:                               ;   in Loop: Header=BB388_13 Depth=1
	v_cmp_ne_u16_sdwa vcc, v56, s43 src0_sel:BYTE_0 src1_sel:DWORD
	v_bfrev_b32_e32 v1, 1
	s_and_saveexec_b64 s[38:39], vcc
	s_cbranch_execz .LBB388_101
; %bb.98:                               ;   in Loop: Header=BB388_13 Depth=1
	v_and_b32_e32 v2, 0x7f, v56
	v_cmp_ne_u32_e32 vcc, s44, v2
	v_mov_b32_e32 v1, 0x7f800001
	s_and_saveexec_b64 s[40:41], vcc
	s_cbranch_execz .LBB388_100
; %bb.99:                               ;   in Loop: Header=BB388_13 Depth=1
	v_and_b32_e32 v1, 7, v56
	v_ffbh_u32_e32 v4, v1
	v_min_u32_e32 v6, 32, v4
	v_subrev_u32_e32 v4, 28, v6
	v_lshlrev_b64 v[4:5], v4, v[56:57]
	v_lshrrev_b32_e32 v3, 3, v2
	v_sub_u32_e32 v5, 29, v6
	v_and_b32_e32 v4, 7, v4
	v_cmp_gt_u32_e32 vcc, 8, v2
	v_cndmask_b32_e32 v2, v3, v5, vcc
	v_cndmask_b32_e32 v1, v1, v4, vcc
	v_lshlrev_b32_e32 v3, 24, v56
	v_bfrev_b32_e32 v4, 60
	v_lshlrev_b32_e32 v1, 20, v1
	v_and_b32_e32 v3, 0x80000000, v3
	v_lshl_add_u32 v2, v2, 23, v4
	v_or3_b32 v1, v3, v2, v1
.LBB388_100:                            ;   in Loop: Header=BB388_13 Depth=1
	s_or_b64 exec, exec, s[40:41]
.LBB388_101:                            ;   in Loop: Header=BB388_13 Depth=1
	s_or_b64 exec, exec, s[38:39]
.LBB388_102:                            ;   in Loop: Header=BB388_13 Depth=1
	s_or_b64 exec, exec, s[36:37]
	v_mul_f32_e32 v1, v0, v1
	v_and_b32_e32 v2, 0x7f800000, v1
	v_cmp_ne_u32_e32 vcc, s45, v2
                                        ; implicit-def: $vgpr2
                                        ; kill: killed $vgpr2
	s_and_saveexec_b64 s[36:37], vcc
	s_xor_b64 vcc, exec, s[36:37]
	s_cbranch_execz .LBB388_104
; %bb.103:                              ;   in Loop: Header=BB388_13 Depth=1
	v_bfe_u32 v2, v1, 16, 1
	v_add3_u32 v1, v1, v2, s46
	buffer_store_dword v1, off, s[0:3], s32 offset:408 ; 4-byte Folded Spill
                                        ; implicit-def: $vgpr1
.LBB388_104:                            ;   in Loop: Header=BB388_13 Depth=1
	s_andn2_saveexec_b64 s[36:37], vcc
	s_cbranch_execz .LBB388_106
; %bb.105:                              ;   in Loop: Header=BB388_13 Depth=1
	v_or_b32_e32 v2, 0x10000, v1
	v_cmp_eq_u32_sdwa vcc, v1, v30 src0_sel:WORD_0 src1_sel:DWORD
	v_cndmask_b32_e32 v1, v2, v1, vcc
	buffer_store_dword v1, off, s[0:3], s32 offset:408 ; 4-byte Folded Spill
.LBB388_106:                            ;   in Loop: Header=BB388_13 Depth=1
	s_or_b64 exec, exec, s[36:37]
	v_lshrrev_b16_e32 v58, 8, v56
	v_cmp_ne_u16_e32 vcc, 0, v58
	v_mov_b32_e32 v1, 0
	s_and_saveexec_b64 s[36:37], vcc
	s_cbranch_execz .LBB388_112
; %bb.107:                              ;   in Loop: Header=BB388_13 Depth=1
	v_cmp_ne_u16_e32 vcc, s43, v58
	v_bfrev_b32_e32 v1, 1
	s_and_saveexec_b64 s[38:39], vcc
	s_cbranch_execz .LBB388_111
; %bb.108:                              ;   in Loop: Header=BB388_13 Depth=1
	v_and_b32_e32 v2, 0x7f, v58
	v_cmp_ne_u32_e32 vcc, s44, v2
	v_mov_b32_e32 v1, 0x7f800001
	s_and_saveexec_b64 s[40:41], vcc
	s_cbranch_execz .LBB388_110
; %bb.109:                              ;   in Loop: Header=BB388_13 Depth=1
	v_and_b32_e32 v1, 7, v58
	v_ffbh_u32_e32 v4, v1
	v_min_u32_e32 v6, 32, v4
	v_subrev_u32_e32 v4, 28, v6
	v_lshlrev_b64 v[4:5], v4, v[58:59]
	v_lshrrev_b32_e32 v3, 3, v2
	v_sub_u32_e32 v5, 29, v6
	v_and_b32_e32 v4, 7, v4
	v_cmp_gt_u32_e32 vcc, 8, v2
	v_cndmask_b32_e32 v2, v3, v5, vcc
	v_cndmask_b32_e32 v1, v1, v4, vcc
	v_lshlrev_b32_e32 v3, 16, v56
	v_bfrev_b32_e32 v4, 60
	v_lshlrev_b32_e32 v1, 20, v1
	v_and_b32_e32 v3, 0x80000000, v3
	v_lshl_add_u32 v2, v2, 23, v4
	v_or3_b32 v1, v3, v2, v1
.LBB388_110:                            ;   in Loop: Header=BB388_13 Depth=1
	s_or_b64 exec, exec, s[40:41]
.LBB388_111:                            ;   in Loop: Header=BB388_13 Depth=1
	s_or_b64 exec, exec, s[38:39]
.LBB388_112:                            ;   in Loop: Header=BB388_13 Depth=1
	s_or_b64 exec, exec, s[36:37]
	v_mul_f32_e32 v1, v0, v1
	v_and_b32_e32 v2, 0x7f800000, v1
	v_cmp_ne_u32_e32 vcc, s45, v2
                                        ; implicit-def: $vgpr36
	s_and_saveexec_b64 s[36:37], vcc
	s_xor_b64 vcc, exec, s[36:37]
; %bb.113:                              ;   in Loop: Header=BB388_13 Depth=1
	v_bfe_u32 v2, v1, 16, 1
	v_add3_u32 v36, v1, v2, s46
                                        ; implicit-def: $vgpr1
; %bb.114:                              ;   in Loop: Header=BB388_13 Depth=1
	s_andn2_saveexec_b64 s[36:37], vcc
; %bb.115:                              ;   in Loop: Header=BB388_13 Depth=1
	v_or_b32_e32 v2, 0x10000, v1
	v_cmp_eq_u32_sdwa vcc, v1, v30 src0_sel:WORD_0 src1_sel:DWORD
	v_cndmask_b32_e32 v36, v2, v1, vcc
; %bb.116:                              ;   in Loop: Header=BB388_13 Depth=1
	s_or_b64 exec, exec, s[36:37]
	v_lshrrev_b32_e32 v58, 16, v56
	v_cmp_ne_u16_sdwa vcc, v58, v30 src0_sel:BYTE_0 src1_sel:DWORD
	v_mov_b32_e32 v1, 0
	s_and_saveexec_b64 s[36:37], vcc
	s_cbranch_execz .LBB388_122
; %bb.117:                              ;   in Loop: Header=BB388_13 Depth=1
	v_cmp_ne_u16_sdwa vcc, v58, s43 src0_sel:BYTE_0 src1_sel:DWORD
	v_bfrev_b32_e32 v1, 1
	s_and_saveexec_b64 s[38:39], vcc
	s_cbranch_execz .LBB388_121
; %bb.118:                              ;   in Loop: Header=BB388_13 Depth=1
	v_bfe_u32 v2, v56, 16, 7
	v_cmp_ne_u32_e32 vcc, s44, v2
	v_mov_b32_e32 v1, 0x7f800001
	s_and_saveexec_b64 s[40:41], vcc
	s_cbranch_execz .LBB388_120
; %bb.119:                              ;   in Loop: Header=BB388_13 Depth=1
	v_and_b32_e32 v1, 7, v58
	v_ffbh_u32_e32 v4, v1
	v_min_u32_e32 v6, 32, v4
	v_subrev_u32_e32 v4, 28, v6
	v_lshlrev_b64 v[4:5], v4, v[58:59]
	v_lshrrev_b32_e32 v3, 3, v2
	v_sub_u32_e32 v5, 29, v6
	v_and_b32_e32 v4, 7, v4
	v_cmp_gt_u32_e32 vcc, 8, v2
	v_cndmask_b32_e32 v2, v3, v5, vcc
	v_cndmask_b32_e32 v1, v1, v4, vcc
	v_lshlrev_b32_e32 v3, 24, v58
	v_bfrev_b32_e32 v4, 60
	v_lshlrev_b32_e32 v1, 20, v1
	v_and_b32_e32 v3, 0x80000000, v3
	v_lshl_add_u32 v2, v2, 23, v4
	v_or3_b32 v1, v3, v2, v1
.LBB388_120:                            ;   in Loop: Header=BB388_13 Depth=1
	s_or_b64 exec, exec, s[40:41]
.LBB388_121:                            ;   in Loop: Header=BB388_13 Depth=1
	s_or_b64 exec, exec, s[38:39]
.LBB388_122:                            ;   in Loop: Header=BB388_13 Depth=1
	s_or_b64 exec, exec, s[36:37]
	v_mul_f32_e32 v1, v0, v1
	v_and_b32_e32 v2, 0x7f800000, v1
	v_cmp_ne_u32_e32 vcc, s45, v2
                                        ; implicit-def: $vgpr35
	s_and_saveexec_b64 s[36:37], vcc
	s_xor_b64 vcc, exec, s[36:37]
; %bb.123:                              ;   in Loop: Header=BB388_13 Depth=1
	v_bfe_u32 v2, v1, 16, 1
	v_add3_u32 v35, v1, v2, s46
                                        ; implicit-def: $vgpr1
; %bb.124:                              ;   in Loop: Header=BB388_13 Depth=1
	s_andn2_saveexec_b64 s[36:37], vcc
; %bb.125:                              ;   in Loop: Header=BB388_13 Depth=1
	v_or_b32_e32 v2, 0x10000, v1
	v_cmp_eq_u32_sdwa vcc, v1, v30 src0_sel:WORD_0 src1_sel:DWORD
	v_cndmask_b32_e32 v35, v2, v1, vcc
; %bb.126:                              ;   in Loop: Header=BB388_13 Depth=1
	s_or_b64 exec, exec, s[36:37]
	v_cmp_lt_u32_e32 vcc, s47, v56
	v_mov_b32_e32 v1, 0
	s_and_saveexec_b64 s[36:37], vcc
	s_cbranch_execz .LBB388_132
; %bb.127:                              ;   in Loop: Header=BB388_13 Depth=1
	v_lshrrev_b32_e32 v58, 24, v56
	v_cmp_ne_u32_e32 vcc, s43, v58
	v_bfrev_b32_e32 v1, 1
	s_and_saveexec_b64 s[38:39], vcc
	s_cbranch_execz .LBB388_131
; %bb.128:                              ;   in Loop: Header=BB388_13 Depth=1
	v_bfe_u32 v2, v56, 24, 7
	v_cmp_ne_u32_e32 vcc, s44, v2
	v_mov_b32_e32 v1, 0x7f800001
	s_and_saveexec_b64 s[40:41], vcc
	s_cbranch_execz .LBB388_130
; %bb.129:                              ;   in Loop: Header=BB388_13 Depth=1
	v_and_b32_e32 v1, 7, v58
	v_ffbh_u32_e32 v4, v1
	v_min_u32_e32 v6, 32, v4
	v_subrev_u32_e32 v4, 28, v6
	v_lshlrev_b64 v[4:5], v4, v[58:59]
	v_lshrrev_b32_e32 v3, 3, v2
	v_sub_u32_e32 v5, 29, v6
	v_and_b32_e32 v4, 7, v4
	v_cmp_gt_u32_e32 vcc, 8, v2
	v_cndmask_b32_e32 v2, v3, v5, vcc
	v_cndmask_b32_e32 v1, v1, v4, vcc
	v_lshlrev_b32_e32 v3, 24, v58
	v_bfrev_b32_e32 v4, 60
	v_lshlrev_b32_e32 v1, 20, v1
	v_and_b32_e32 v3, 0x80000000, v3
	v_lshl_add_u32 v2, v2, 23, v4
	v_or3_b32 v1, v3, v2, v1
.LBB388_130:                            ;   in Loop: Header=BB388_13 Depth=1
	s_or_b64 exec, exec, s[40:41]
.LBB388_131:                            ;   in Loop: Header=BB388_13 Depth=1
	s_or_b64 exec, exec, s[38:39]
.LBB388_132:                            ;   in Loop: Header=BB388_13 Depth=1
	s_or_b64 exec, exec, s[36:37]
	v_mul_f32_e32 v1, v0, v1
	v_and_b32_e32 v2, 0x7f800000, v1
	v_cmp_ne_u32_e32 vcc, s45, v2
                                        ; implicit-def: $vgpr34
	s_and_saveexec_b64 s[36:37], vcc
	s_xor_b64 vcc, exec, s[36:37]
; %bb.133:                              ;   in Loop: Header=BB388_13 Depth=1
	v_bfe_u32 v2, v1, 16, 1
	v_add3_u32 v34, v1, v2, s46
                                        ; implicit-def: $vgpr1
; %bb.134:                              ;   in Loop: Header=BB388_13 Depth=1
	s_andn2_saveexec_b64 s[36:37], vcc
; %bb.135:                              ;   in Loop: Header=BB388_13 Depth=1
	v_or_b32_e32 v2, 0x10000, v1
	v_cmp_eq_u32_sdwa vcc, v1, v30 src0_sel:WORD_0 src1_sel:DWORD
	v_cndmask_b32_e32 v34, v2, v1, vcc
; %bb.136:                              ;   in Loop: Header=BB388_13 Depth=1
	s_or_b64 exec, exec, s[36:37]
	flat_load_dword v56, v[46:47] offset:520
	v_mov_b32_e32 v1, 0
	s_waitcnt vmcnt(0) lgkmcnt(0)
	v_cmp_ne_u16_sdwa vcc, v56, v30 src0_sel:BYTE_0 src1_sel:DWORD
	s_and_saveexec_b64 s[36:37], vcc
	s_cbranch_execz .LBB388_142
; %bb.137:                              ;   in Loop: Header=BB388_13 Depth=1
	v_cmp_ne_u16_sdwa vcc, v56, s43 src0_sel:BYTE_0 src1_sel:DWORD
	v_bfrev_b32_e32 v1, 1
	s_and_saveexec_b64 s[38:39], vcc
	s_cbranch_execz .LBB388_141
; %bb.138:                              ;   in Loop: Header=BB388_13 Depth=1
	v_and_b32_e32 v2, 0x7f, v56
	v_cmp_ne_u32_e32 vcc, s44, v2
	v_mov_b32_e32 v1, 0x7f800001
	s_and_saveexec_b64 s[40:41], vcc
	s_cbranch_execz .LBB388_140
; %bb.139:                              ;   in Loop: Header=BB388_13 Depth=1
	v_and_b32_e32 v1, 7, v56
	v_ffbh_u32_e32 v4, v1
	v_min_u32_e32 v6, 32, v4
	v_subrev_u32_e32 v4, 28, v6
	v_lshlrev_b64 v[4:5], v4, v[56:57]
	v_lshrrev_b32_e32 v3, 3, v2
	v_sub_u32_e32 v5, 29, v6
	v_and_b32_e32 v4, 7, v4
	v_cmp_gt_u32_e32 vcc, 8, v2
	v_cndmask_b32_e32 v2, v3, v5, vcc
	v_cndmask_b32_e32 v1, v1, v4, vcc
	v_lshlrev_b32_e32 v3, 24, v56
	v_bfrev_b32_e32 v4, 60
	v_lshlrev_b32_e32 v1, 20, v1
	v_and_b32_e32 v3, 0x80000000, v3
	v_lshl_add_u32 v2, v2, 23, v4
	v_or3_b32 v1, v3, v2, v1
.LBB388_140:                            ;   in Loop: Header=BB388_13 Depth=1
	s_or_b64 exec, exec, s[40:41]
.LBB388_141:                            ;   in Loop: Header=BB388_13 Depth=1
	s_or_b64 exec, exec, s[38:39]
.LBB388_142:                            ;   in Loop: Header=BB388_13 Depth=1
	s_or_b64 exec, exec, s[36:37]
	v_mul_f32_e32 v1, v0, v1
	v_and_b32_e32 v2, 0x7f800000, v1
	v_cmp_ne_u32_e32 vcc, s45, v2
                                        ; implicit-def: $vgpr2
                                        ; kill: killed $vgpr2
	s_and_saveexec_b64 s[36:37], vcc
	s_xor_b64 vcc, exec, s[36:37]
	s_cbranch_execz .LBB388_144
; %bb.143:                              ;   in Loop: Header=BB388_13 Depth=1
	v_bfe_u32 v2, v1, 16, 1
	v_add3_u32 v1, v1, v2, s46
	buffer_store_dword v1, off, s[0:3], s32 offset:412 ; 4-byte Folded Spill
                                        ; implicit-def: $vgpr1
.LBB388_144:                            ;   in Loop: Header=BB388_13 Depth=1
	s_andn2_saveexec_b64 s[36:37], vcc
	s_cbranch_execz .LBB388_146
; %bb.145:                              ;   in Loop: Header=BB388_13 Depth=1
	v_or_b32_e32 v2, 0x10000, v1
	v_cmp_eq_u32_sdwa vcc, v1, v30 src0_sel:WORD_0 src1_sel:DWORD
	v_cndmask_b32_e32 v1, v2, v1, vcc
	buffer_store_dword v1, off, s[0:3], s32 offset:412 ; 4-byte Folded Spill
.LBB388_146:                            ;   in Loop: Header=BB388_13 Depth=1
	s_or_b64 exec, exec, s[36:37]
	v_lshrrev_b16_e32 v58, 8, v56
	v_cmp_ne_u16_e32 vcc, 0, v58
	v_mov_b32_e32 v1, 0
	s_and_saveexec_b64 s[36:37], vcc
	s_cbranch_execz .LBB388_152
; %bb.147:                              ;   in Loop: Header=BB388_13 Depth=1
	v_cmp_ne_u16_e32 vcc, s43, v58
	v_bfrev_b32_e32 v1, 1
	s_and_saveexec_b64 s[38:39], vcc
	s_cbranch_execz .LBB388_151
; %bb.148:                              ;   in Loop: Header=BB388_13 Depth=1
	v_and_b32_e32 v2, 0x7f, v58
	v_cmp_ne_u32_e32 vcc, s44, v2
	v_mov_b32_e32 v1, 0x7f800001
	s_and_saveexec_b64 s[40:41], vcc
	s_cbranch_execz .LBB388_150
; %bb.149:                              ;   in Loop: Header=BB388_13 Depth=1
	v_and_b32_e32 v1, 7, v58
	v_ffbh_u32_e32 v4, v1
	v_min_u32_e32 v6, 32, v4
	v_subrev_u32_e32 v4, 28, v6
	v_lshlrev_b64 v[4:5], v4, v[58:59]
	v_lshrrev_b32_e32 v3, 3, v2
	v_sub_u32_e32 v5, 29, v6
	v_and_b32_e32 v4, 7, v4
	v_cmp_gt_u32_e32 vcc, 8, v2
	v_cndmask_b32_e32 v2, v3, v5, vcc
	v_cndmask_b32_e32 v1, v1, v4, vcc
	v_lshlrev_b32_e32 v3, 16, v56
	v_bfrev_b32_e32 v4, 60
	v_lshlrev_b32_e32 v1, 20, v1
	v_and_b32_e32 v3, 0x80000000, v3
	v_lshl_add_u32 v2, v2, 23, v4
	v_or3_b32 v1, v3, v2, v1
.LBB388_150:                            ;   in Loop: Header=BB388_13 Depth=1
	s_or_b64 exec, exec, s[40:41]
.LBB388_151:                            ;   in Loop: Header=BB388_13 Depth=1
	s_or_b64 exec, exec, s[38:39]
.LBB388_152:                            ;   in Loop: Header=BB388_13 Depth=1
	s_or_b64 exec, exec, s[36:37]
	v_mul_f32_e32 v1, v0, v1
	v_and_b32_e32 v2, 0x7f800000, v1
	v_cmp_ne_u32_e32 vcc, s45, v2
                                        ; implicit-def: $vgpr2
                                        ; kill: killed $vgpr2
	s_and_saveexec_b64 s[36:37], vcc
	s_xor_b64 vcc, exec, s[36:37]
	s_cbranch_execz .LBB388_154
; %bb.153:                              ;   in Loop: Header=BB388_13 Depth=1
	v_bfe_u32 v2, v1, 16, 1
	v_add3_u32 v1, v1, v2, s46
	buffer_store_dword v1, off, s[0:3], s32 offset:416 ; 4-byte Folded Spill
                                        ; implicit-def: $vgpr1
.LBB388_154:                            ;   in Loop: Header=BB388_13 Depth=1
	s_andn2_saveexec_b64 s[36:37], vcc
	s_cbranch_execz .LBB388_156
; %bb.155:                              ;   in Loop: Header=BB388_13 Depth=1
	v_or_b32_e32 v2, 0x10000, v1
	v_cmp_eq_u32_sdwa vcc, v1, v30 src0_sel:WORD_0 src1_sel:DWORD
	v_cndmask_b32_e32 v1, v2, v1, vcc
	buffer_store_dword v1, off, s[0:3], s32 offset:416 ; 4-byte Folded Spill
.LBB388_156:                            ;   in Loop: Header=BB388_13 Depth=1
	s_or_b64 exec, exec, s[36:37]
	v_lshrrev_b32_e32 v58, 16, v56
	v_cmp_ne_u16_sdwa vcc, v58, v30 src0_sel:BYTE_0 src1_sel:DWORD
	v_mov_b32_e32 v1, 0
	s_and_saveexec_b64 s[36:37], vcc
	s_cbranch_execz .LBB388_162
; %bb.157:                              ;   in Loop: Header=BB388_13 Depth=1
	v_cmp_ne_u16_sdwa vcc, v58, s43 src0_sel:BYTE_0 src1_sel:DWORD
	v_bfrev_b32_e32 v1, 1
	s_and_saveexec_b64 s[38:39], vcc
	s_cbranch_execz .LBB388_161
; %bb.158:                              ;   in Loop: Header=BB388_13 Depth=1
	v_bfe_u32 v2, v56, 16, 7
	v_cmp_ne_u32_e32 vcc, s44, v2
	v_mov_b32_e32 v1, 0x7f800001
	s_and_saveexec_b64 s[40:41], vcc
	s_cbranch_execz .LBB388_160
; %bb.159:                              ;   in Loop: Header=BB388_13 Depth=1
	v_and_b32_e32 v1, 7, v58
	v_ffbh_u32_e32 v4, v1
	v_min_u32_e32 v6, 32, v4
	v_subrev_u32_e32 v4, 28, v6
	v_lshlrev_b64 v[4:5], v4, v[58:59]
	v_lshrrev_b32_e32 v3, 3, v2
	v_sub_u32_e32 v5, 29, v6
	v_and_b32_e32 v4, 7, v4
	v_cmp_gt_u32_e32 vcc, 8, v2
	v_cndmask_b32_e32 v2, v3, v5, vcc
	v_cndmask_b32_e32 v1, v1, v4, vcc
	v_lshlrev_b32_e32 v3, 24, v58
	v_bfrev_b32_e32 v4, 60
	v_lshlrev_b32_e32 v1, 20, v1
	v_and_b32_e32 v3, 0x80000000, v3
	v_lshl_add_u32 v2, v2, 23, v4
	v_or3_b32 v1, v3, v2, v1
.LBB388_160:                            ;   in Loop: Header=BB388_13 Depth=1
	s_or_b64 exec, exec, s[40:41]
.LBB388_161:                            ;   in Loop: Header=BB388_13 Depth=1
	s_or_b64 exec, exec, s[38:39]
.LBB388_162:                            ;   in Loop: Header=BB388_13 Depth=1
	s_or_b64 exec, exec, s[36:37]
	v_mul_f32_e32 v1, v0, v1
	v_and_b32_e32 v2, 0x7f800000, v1
	v_cmp_ne_u32_e32 vcc, s45, v2
                                        ; implicit-def: $vgpr2
                                        ; kill: killed $vgpr2
	s_and_saveexec_b64 s[36:37], vcc
	s_xor_b64 vcc, exec, s[36:37]
	s_cbranch_execz .LBB388_164
; %bb.163:                              ;   in Loop: Header=BB388_13 Depth=1
	v_bfe_u32 v2, v1, 16, 1
	v_add3_u32 v1, v1, v2, s46
	buffer_store_dword v1, off, s[0:3], s32 offset:420 ; 4-byte Folded Spill
                                        ; implicit-def: $vgpr1
.LBB388_164:                            ;   in Loop: Header=BB388_13 Depth=1
	s_andn2_saveexec_b64 s[36:37], vcc
	s_cbranch_execz .LBB388_166
; %bb.165:                              ;   in Loop: Header=BB388_13 Depth=1
	v_or_b32_e32 v2, 0x10000, v1
	v_cmp_eq_u32_sdwa vcc, v1, v30 src0_sel:WORD_0 src1_sel:DWORD
	v_cndmask_b32_e32 v1, v2, v1, vcc
	buffer_store_dword v1, off, s[0:3], s32 offset:420 ; 4-byte Folded Spill
.LBB388_166:                            ;   in Loop: Header=BB388_13 Depth=1
	s_or_b64 exec, exec, s[36:37]
	v_cmp_lt_u32_e32 vcc, s47, v56
	v_mov_b32_e32 v1, 0
	s_and_saveexec_b64 s[36:37], vcc
	s_cbranch_execz .LBB388_172
; %bb.167:                              ;   in Loop: Header=BB388_13 Depth=1
	v_lshrrev_b32_e32 v58, 24, v56
	v_cmp_ne_u32_e32 vcc, s43, v58
	v_bfrev_b32_e32 v1, 1
	s_and_saveexec_b64 s[38:39], vcc
	s_cbranch_execz .LBB388_171
; %bb.168:                              ;   in Loop: Header=BB388_13 Depth=1
	v_bfe_u32 v2, v56, 24, 7
	v_cmp_ne_u32_e32 vcc, s44, v2
	v_mov_b32_e32 v1, 0x7f800001
	s_and_saveexec_b64 s[40:41], vcc
	s_cbranch_execz .LBB388_170
; %bb.169:                              ;   in Loop: Header=BB388_13 Depth=1
	v_and_b32_e32 v1, 7, v58
	v_ffbh_u32_e32 v4, v1
	v_min_u32_e32 v6, 32, v4
	v_subrev_u32_e32 v4, 28, v6
	v_lshlrev_b64 v[4:5], v4, v[58:59]
	v_lshrrev_b32_e32 v3, 3, v2
	v_sub_u32_e32 v5, 29, v6
	v_and_b32_e32 v4, 7, v4
	v_cmp_gt_u32_e32 vcc, 8, v2
	v_cndmask_b32_e32 v2, v3, v5, vcc
	v_cndmask_b32_e32 v1, v1, v4, vcc
	v_lshlrev_b32_e32 v3, 24, v58
	v_bfrev_b32_e32 v4, 60
	v_lshlrev_b32_e32 v1, 20, v1
	v_and_b32_e32 v3, 0x80000000, v3
	v_lshl_add_u32 v2, v2, 23, v4
	v_or3_b32 v1, v3, v2, v1
.LBB388_170:                            ;   in Loop: Header=BB388_13 Depth=1
	s_or_b64 exec, exec, s[40:41]
.LBB388_171:                            ;   in Loop: Header=BB388_13 Depth=1
	s_or_b64 exec, exec, s[38:39]
.LBB388_172:                            ;   in Loop: Header=BB388_13 Depth=1
	s_or_b64 exec, exec, s[36:37]
	v_mul_f32_e32 v1, v0, v1
	v_and_b32_e32 v2, 0x7f800000, v1
	v_cmp_ne_u32_e32 vcc, s45, v2
                                        ; implicit-def: $vgpr2
                                        ; kill: killed $vgpr2
	s_and_saveexec_b64 s[36:37], vcc
	s_xor_b64 vcc, exec, s[36:37]
	s_cbranch_execz .LBB388_174
; %bb.173:                              ;   in Loop: Header=BB388_13 Depth=1
	v_bfe_u32 v2, v1, 16, 1
	v_add3_u32 v1, v1, v2, s46
	buffer_store_dword v1, off, s[0:3], s32 offset:424 ; 4-byte Folded Spill
                                        ; implicit-def: $vgpr1
.LBB388_174:                            ;   in Loop: Header=BB388_13 Depth=1
	s_andn2_saveexec_b64 s[36:37], vcc
	s_cbranch_execz .LBB388_176
; %bb.175:                              ;   in Loop: Header=BB388_13 Depth=1
	v_or_b32_e32 v2, 0x10000, v1
	v_cmp_eq_u32_sdwa vcc, v1, v30 src0_sel:WORD_0 src1_sel:DWORD
	v_cndmask_b32_e32 v1, v2, v1, vcc
	buffer_store_dword v1, off, s[0:3], s32 offset:424 ; 4-byte Folded Spill
.LBB388_176:                            ;   in Loop: Header=BB388_13 Depth=1
	s_or_b64 exec, exec, s[36:37]
	flat_load_dword v56, v[46:47] offset:1024
	v_mov_b32_e32 v1, 0
	s_waitcnt vmcnt(0) lgkmcnt(0)
	v_cmp_ne_u16_sdwa vcc, v56, v30 src0_sel:BYTE_0 src1_sel:DWORD
	s_and_saveexec_b64 s[36:37], vcc
	s_cbranch_execz .LBB388_182
; %bb.177:                              ;   in Loop: Header=BB388_13 Depth=1
	v_cmp_ne_u16_sdwa vcc, v56, s43 src0_sel:BYTE_0 src1_sel:DWORD
	v_bfrev_b32_e32 v1, 1
	s_and_saveexec_b64 s[38:39], vcc
	s_cbranch_execz .LBB388_181
; %bb.178:                              ;   in Loop: Header=BB388_13 Depth=1
	v_and_b32_e32 v2, 0x7f, v56
	v_cmp_ne_u32_e32 vcc, s44, v2
	v_mov_b32_e32 v1, 0x7f800001
	s_and_saveexec_b64 s[40:41], vcc
	s_cbranch_execz .LBB388_180
; %bb.179:                              ;   in Loop: Header=BB388_13 Depth=1
	v_and_b32_e32 v1, 7, v56
	v_ffbh_u32_e32 v4, v1
	v_min_u32_e32 v6, 32, v4
	v_subrev_u32_e32 v4, 28, v6
	v_lshlrev_b64 v[4:5], v4, v[56:57]
	v_lshrrev_b32_e32 v3, 3, v2
	v_sub_u32_e32 v5, 29, v6
	v_and_b32_e32 v4, 7, v4
	v_cmp_gt_u32_e32 vcc, 8, v2
	v_cndmask_b32_e32 v2, v3, v5, vcc
	v_cndmask_b32_e32 v1, v1, v4, vcc
	v_lshlrev_b32_e32 v3, 24, v56
	v_bfrev_b32_e32 v4, 60
	v_lshlrev_b32_e32 v1, 20, v1
	v_and_b32_e32 v3, 0x80000000, v3
	v_lshl_add_u32 v2, v2, 23, v4
	v_or3_b32 v1, v3, v2, v1
.LBB388_180:                            ;   in Loop: Header=BB388_13 Depth=1
	s_or_b64 exec, exec, s[40:41]
.LBB388_181:                            ;   in Loop: Header=BB388_13 Depth=1
	s_or_b64 exec, exec, s[38:39]
.LBB388_182:                            ;   in Loop: Header=BB388_13 Depth=1
	s_or_b64 exec, exec, s[36:37]
	v_mul_f32_e32 v1, v0, v1
	v_and_b32_e32 v2, 0x7f800000, v1
	v_cmp_ne_u32_e32 vcc, s45, v2
                                        ; implicit-def: $vgpr2
                                        ; kill: killed $vgpr2
	s_and_saveexec_b64 s[36:37], vcc
	s_xor_b64 vcc, exec, s[36:37]
	s_cbranch_execz .LBB388_184
; %bb.183:                              ;   in Loop: Header=BB388_13 Depth=1
	v_bfe_u32 v2, v1, 16, 1
	v_add3_u32 v1, v1, v2, s46
	buffer_store_dword v1, off, s[0:3], s32 offset:428 ; 4-byte Folded Spill
                                        ; implicit-def: $vgpr1
.LBB388_184:                            ;   in Loop: Header=BB388_13 Depth=1
	s_andn2_saveexec_b64 s[36:37], vcc
	s_cbranch_execz .LBB388_186
; %bb.185:                              ;   in Loop: Header=BB388_13 Depth=1
	v_or_b32_e32 v2, 0x10000, v1
	v_cmp_eq_u32_sdwa vcc, v1, v30 src0_sel:WORD_0 src1_sel:DWORD
	v_cndmask_b32_e32 v1, v2, v1, vcc
	buffer_store_dword v1, off, s[0:3], s32 offset:428 ; 4-byte Folded Spill
.LBB388_186:                            ;   in Loop: Header=BB388_13 Depth=1
	s_or_b64 exec, exec, s[36:37]
	v_lshrrev_b16_e32 v58, 8, v56
	v_cmp_ne_u16_e32 vcc, 0, v58
	v_mov_b32_e32 v1, 0
	s_and_saveexec_b64 s[36:37], vcc
	s_cbranch_execz .LBB388_192
; %bb.187:                              ;   in Loop: Header=BB388_13 Depth=1
	v_cmp_ne_u16_e32 vcc, s43, v58
	v_bfrev_b32_e32 v1, 1
	s_and_saveexec_b64 s[38:39], vcc
	s_cbranch_execz .LBB388_191
; %bb.188:                              ;   in Loop: Header=BB388_13 Depth=1
	v_and_b32_e32 v2, 0x7f, v58
	v_cmp_ne_u32_e32 vcc, s44, v2
	v_mov_b32_e32 v1, 0x7f800001
	s_and_saveexec_b64 s[40:41], vcc
	s_cbranch_execz .LBB388_190
; %bb.189:                              ;   in Loop: Header=BB388_13 Depth=1
	v_and_b32_e32 v1, 7, v58
	v_ffbh_u32_e32 v4, v1
	v_min_u32_e32 v6, 32, v4
	v_subrev_u32_e32 v4, 28, v6
	v_lshlrev_b64 v[4:5], v4, v[58:59]
	v_lshrrev_b32_e32 v3, 3, v2
	v_sub_u32_e32 v5, 29, v6
	v_and_b32_e32 v4, 7, v4
	v_cmp_gt_u32_e32 vcc, 8, v2
	v_cndmask_b32_e32 v2, v3, v5, vcc
	v_cndmask_b32_e32 v1, v1, v4, vcc
	v_lshlrev_b32_e32 v3, 16, v56
	v_bfrev_b32_e32 v4, 60
	v_lshlrev_b32_e32 v1, 20, v1
	v_and_b32_e32 v3, 0x80000000, v3
	v_lshl_add_u32 v2, v2, 23, v4
	v_or3_b32 v1, v3, v2, v1
.LBB388_190:                            ;   in Loop: Header=BB388_13 Depth=1
	s_or_b64 exec, exec, s[40:41]
.LBB388_191:                            ;   in Loop: Header=BB388_13 Depth=1
	s_or_b64 exec, exec, s[38:39]
.LBB388_192:                            ;   in Loop: Header=BB388_13 Depth=1
	s_or_b64 exec, exec, s[36:37]
	v_mul_f32_e32 v1, v0, v1
	v_and_b32_e32 v2, 0x7f800000, v1
	v_cmp_ne_u32_e32 vcc, s45, v2
                                        ; implicit-def: $vgpr2
                                        ; kill: killed $vgpr2
	s_and_saveexec_b64 s[36:37], vcc
	s_xor_b64 vcc, exec, s[36:37]
	s_cbranch_execz .LBB388_194
; %bb.193:                              ;   in Loop: Header=BB388_13 Depth=1
	v_bfe_u32 v2, v1, 16, 1
	v_add3_u32 v1, v1, v2, s46
	buffer_store_dword v1, off, s[0:3], s32 offset:432 ; 4-byte Folded Spill
                                        ; implicit-def: $vgpr1
.LBB388_194:                            ;   in Loop: Header=BB388_13 Depth=1
	s_andn2_saveexec_b64 s[36:37], vcc
	s_cbranch_execz .LBB388_196
; %bb.195:                              ;   in Loop: Header=BB388_13 Depth=1
	v_or_b32_e32 v2, 0x10000, v1
	v_cmp_eq_u32_sdwa vcc, v1, v30 src0_sel:WORD_0 src1_sel:DWORD
	v_cndmask_b32_e32 v1, v2, v1, vcc
	buffer_store_dword v1, off, s[0:3], s32 offset:432 ; 4-byte Folded Spill
.LBB388_196:                            ;   in Loop: Header=BB388_13 Depth=1
	s_or_b64 exec, exec, s[36:37]
	v_lshrrev_b32_e32 v58, 16, v56
	v_cmp_ne_u16_sdwa vcc, v58, v30 src0_sel:BYTE_0 src1_sel:DWORD
	v_mov_b32_e32 v1, 0
	s_and_saveexec_b64 s[36:37], vcc
	s_cbranch_execz .LBB388_202
; %bb.197:                              ;   in Loop: Header=BB388_13 Depth=1
	v_cmp_ne_u16_sdwa vcc, v58, s43 src0_sel:BYTE_0 src1_sel:DWORD
	v_bfrev_b32_e32 v1, 1
	s_and_saveexec_b64 s[38:39], vcc
	s_cbranch_execz .LBB388_201
; %bb.198:                              ;   in Loop: Header=BB388_13 Depth=1
	v_bfe_u32 v2, v56, 16, 7
	v_cmp_ne_u32_e32 vcc, s44, v2
	v_mov_b32_e32 v1, 0x7f800001
	s_and_saveexec_b64 s[40:41], vcc
	s_cbranch_execz .LBB388_200
; %bb.199:                              ;   in Loop: Header=BB388_13 Depth=1
	v_and_b32_e32 v1, 7, v58
	v_ffbh_u32_e32 v4, v1
	v_min_u32_e32 v6, 32, v4
	v_subrev_u32_e32 v4, 28, v6
	v_lshlrev_b64 v[4:5], v4, v[58:59]
	v_lshrrev_b32_e32 v3, 3, v2
	v_sub_u32_e32 v5, 29, v6
	v_and_b32_e32 v4, 7, v4
	v_cmp_gt_u32_e32 vcc, 8, v2
	v_cndmask_b32_e32 v2, v3, v5, vcc
	v_cndmask_b32_e32 v1, v1, v4, vcc
	v_lshlrev_b32_e32 v3, 24, v58
	v_bfrev_b32_e32 v4, 60
	v_lshlrev_b32_e32 v1, 20, v1
	v_and_b32_e32 v3, 0x80000000, v3
	v_lshl_add_u32 v2, v2, 23, v4
	v_or3_b32 v1, v3, v2, v1
.LBB388_200:                            ;   in Loop: Header=BB388_13 Depth=1
	s_or_b64 exec, exec, s[40:41]
.LBB388_201:                            ;   in Loop: Header=BB388_13 Depth=1
	s_or_b64 exec, exec, s[38:39]
.LBB388_202:                            ;   in Loop: Header=BB388_13 Depth=1
	s_or_b64 exec, exec, s[36:37]
	v_mul_f32_e32 v1, v0, v1
	v_and_b32_e32 v2, 0x7f800000, v1
	v_cmp_ne_u32_e32 vcc, s45, v2
                                        ; implicit-def: $vgpr2
                                        ; kill: killed $vgpr2
	s_and_saveexec_b64 s[36:37], vcc
	s_xor_b64 vcc, exec, s[36:37]
	s_cbranch_execz .LBB388_204
; %bb.203:                              ;   in Loop: Header=BB388_13 Depth=1
	v_bfe_u32 v2, v1, 16, 1
	v_add3_u32 v1, v1, v2, s46
	buffer_store_dword v1, off, s[0:3], s32 offset:436 ; 4-byte Folded Spill
                                        ; implicit-def: $vgpr1
.LBB388_204:                            ;   in Loop: Header=BB388_13 Depth=1
	s_andn2_saveexec_b64 s[36:37], vcc
	s_cbranch_execz .LBB388_206
; %bb.205:                              ;   in Loop: Header=BB388_13 Depth=1
	v_or_b32_e32 v2, 0x10000, v1
	v_cmp_eq_u32_sdwa vcc, v1, v30 src0_sel:WORD_0 src1_sel:DWORD
	v_cndmask_b32_e32 v1, v2, v1, vcc
	buffer_store_dword v1, off, s[0:3], s32 offset:436 ; 4-byte Folded Spill
.LBB388_206:                            ;   in Loop: Header=BB388_13 Depth=1
	s_or_b64 exec, exec, s[36:37]
	v_cmp_lt_u32_e32 vcc, s47, v56
	v_mov_b32_e32 v1, 0
	s_and_saveexec_b64 s[36:37], vcc
	s_cbranch_execz .LBB388_212
; %bb.207:                              ;   in Loop: Header=BB388_13 Depth=1
	v_lshrrev_b32_e32 v58, 24, v56
	v_cmp_ne_u32_e32 vcc, s43, v58
	v_bfrev_b32_e32 v1, 1
	s_and_saveexec_b64 s[38:39], vcc
	s_cbranch_execz .LBB388_211
; %bb.208:                              ;   in Loop: Header=BB388_13 Depth=1
	v_bfe_u32 v2, v56, 24, 7
	v_cmp_ne_u32_e32 vcc, s44, v2
	v_mov_b32_e32 v1, 0x7f800001
	s_and_saveexec_b64 s[40:41], vcc
	s_cbranch_execz .LBB388_210
; %bb.209:                              ;   in Loop: Header=BB388_13 Depth=1
	v_and_b32_e32 v1, 7, v58
	v_ffbh_u32_e32 v4, v1
	v_min_u32_e32 v6, 32, v4
	v_subrev_u32_e32 v4, 28, v6
	v_lshlrev_b64 v[4:5], v4, v[58:59]
	v_lshrrev_b32_e32 v3, 3, v2
	v_sub_u32_e32 v5, 29, v6
	v_and_b32_e32 v4, 7, v4
	v_cmp_gt_u32_e32 vcc, 8, v2
	v_cndmask_b32_e32 v2, v3, v5, vcc
	v_cndmask_b32_e32 v1, v1, v4, vcc
	v_lshlrev_b32_e32 v3, 24, v58
	v_bfrev_b32_e32 v4, 60
	v_lshlrev_b32_e32 v1, 20, v1
	v_and_b32_e32 v3, 0x80000000, v3
	v_lshl_add_u32 v2, v2, 23, v4
	v_or3_b32 v1, v3, v2, v1
.LBB388_210:                            ;   in Loop: Header=BB388_13 Depth=1
	s_or_b64 exec, exec, s[40:41]
.LBB388_211:                            ;   in Loop: Header=BB388_13 Depth=1
	s_or_b64 exec, exec, s[38:39]
.LBB388_212:                            ;   in Loop: Header=BB388_13 Depth=1
	s_or_b64 exec, exec, s[36:37]
	v_mul_f32_e32 v1, v0, v1
	v_and_b32_e32 v2, 0x7f800000, v1
	v_cmp_ne_u32_e32 vcc, s45, v2
                                        ; implicit-def: $vgpr2
                                        ; kill: killed $vgpr2
	s_and_saveexec_b64 s[36:37], vcc
	s_xor_b64 vcc, exec, s[36:37]
	s_cbranch_execz .LBB388_214
; %bb.213:                              ;   in Loop: Header=BB388_13 Depth=1
	v_bfe_u32 v2, v1, 16, 1
	v_add3_u32 v1, v1, v2, s46
	buffer_store_dword v1, off, s[0:3], s32 offset:440 ; 4-byte Folded Spill
                                        ; implicit-def: $vgpr1
.LBB388_214:                            ;   in Loop: Header=BB388_13 Depth=1
	s_andn2_saveexec_b64 s[36:37], vcc
	s_cbranch_execz .LBB388_216
; %bb.215:                              ;   in Loop: Header=BB388_13 Depth=1
	v_or_b32_e32 v2, 0x10000, v1
	v_cmp_eq_u32_sdwa vcc, v1, v30 src0_sel:WORD_0 src1_sel:DWORD
	v_cndmask_b32_e32 v1, v2, v1, vcc
	buffer_store_dword v1, off, s[0:3], s32 offset:440 ; 4-byte Folded Spill
.LBB388_216:                            ;   in Loop: Header=BB388_13 Depth=1
	s_or_b64 exec, exec, s[36:37]
	flat_load_dword v56, v[46:47] offset:1032
	v_mov_b32_e32 v1, 0
	s_waitcnt vmcnt(0) lgkmcnt(0)
	v_cmp_ne_u16_sdwa vcc, v56, v30 src0_sel:BYTE_0 src1_sel:DWORD
	s_and_saveexec_b64 s[36:37], vcc
	s_cbranch_execz .LBB388_222
; %bb.217:                              ;   in Loop: Header=BB388_13 Depth=1
	v_cmp_ne_u16_sdwa vcc, v56, s43 src0_sel:BYTE_0 src1_sel:DWORD
	v_bfrev_b32_e32 v1, 1
	s_and_saveexec_b64 s[38:39], vcc
	s_cbranch_execz .LBB388_221
; %bb.218:                              ;   in Loop: Header=BB388_13 Depth=1
	v_and_b32_e32 v2, 0x7f, v56
	v_cmp_ne_u32_e32 vcc, s44, v2
	v_mov_b32_e32 v1, 0x7f800001
	s_and_saveexec_b64 s[40:41], vcc
	s_cbranch_execz .LBB388_220
; %bb.219:                              ;   in Loop: Header=BB388_13 Depth=1
	v_and_b32_e32 v1, 7, v56
	v_ffbh_u32_e32 v4, v1
	v_min_u32_e32 v6, 32, v4
	v_subrev_u32_e32 v4, 28, v6
	v_lshlrev_b64 v[4:5], v4, v[56:57]
	v_lshrrev_b32_e32 v3, 3, v2
	v_sub_u32_e32 v5, 29, v6
	v_and_b32_e32 v4, 7, v4
	v_cmp_gt_u32_e32 vcc, 8, v2
	v_cndmask_b32_e32 v2, v3, v5, vcc
	v_cndmask_b32_e32 v1, v1, v4, vcc
	v_lshlrev_b32_e32 v3, 24, v56
	v_bfrev_b32_e32 v4, 60
	v_lshlrev_b32_e32 v1, 20, v1
	v_and_b32_e32 v3, 0x80000000, v3
	v_lshl_add_u32 v2, v2, 23, v4
	v_or3_b32 v1, v3, v2, v1
.LBB388_220:                            ;   in Loop: Header=BB388_13 Depth=1
	s_or_b64 exec, exec, s[40:41]
.LBB388_221:                            ;   in Loop: Header=BB388_13 Depth=1
	s_or_b64 exec, exec, s[38:39]
.LBB388_222:                            ;   in Loop: Header=BB388_13 Depth=1
	s_or_b64 exec, exec, s[36:37]
	v_mul_f32_e32 v1, v0, v1
	v_and_b32_e32 v2, 0x7f800000, v1
	v_cmp_ne_u32_e32 vcc, s45, v2
                                        ; implicit-def: $vgpr2
                                        ; kill: killed $vgpr2
	s_and_saveexec_b64 s[36:37], vcc
	s_xor_b64 vcc, exec, s[36:37]
	s_cbranch_execz .LBB388_224
; %bb.223:                              ;   in Loop: Header=BB388_13 Depth=1
	v_bfe_u32 v2, v1, 16, 1
	v_add3_u32 v1, v1, v2, s46
	buffer_store_dword v1, off, s[0:3], s32 offset:444 ; 4-byte Folded Spill
                                        ; implicit-def: $vgpr1
.LBB388_224:                            ;   in Loop: Header=BB388_13 Depth=1
	s_andn2_saveexec_b64 s[36:37], vcc
	s_cbranch_execz .LBB388_226
; %bb.225:                              ;   in Loop: Header=BB388_13 Depth=1
	v_or_b32_e32 v2, 0x10000, v1
	v_cmp_eq_u32_sdwa vcc, v1, v30 src0_sel:WORD_0 src1_sel:DWORD
	v_cndmask_b32_e32 v1, v2, v1, vcc
	buffer_store_dword v1, off, s[0:3], s32 offset:444 ; 4-byte Folded Spill
.LBB388_226:                            ;   in Loop: Header=BB388_13 Depth=1
	s_or_b64 exec, exec, s[36:37]
	v_lshrrev_b16_e32 v58, 8, v56
	v_cmp_ne_u16_e32 vcc, 0, v58
	v_mov_b32_e32 v1, 0
	s_and_saveexec_b64 s[36:37], vcc
	s_cbranch_execz .LBB388_232
; %bb.227:                              ;   in Loop: Header=BB388_13 Depth=1
	v_cmp_ne_u16_e32 vcc, s43, v58
	v_bfrev_b32_e32 v1, 1
	s_and_saveexec_b64 s[38:39], vcc
	s_cbranch_execz .LBB388_231
; %bb.228:                              ;   in Loop: Header=BB388_13 Depth=1
	v_and_b32_e32 v2, 0x7f, v58
	v_cmp_ne_u32_e32 vcc, s44, v2
	v_mov_b32_e32 v1, 0x7f800001
	s_and_saveexec_b64 s[40:41], vcc
	s_cbranch_execz .LBB388_230
; %bb.229:                              ;   in Loop: Header=BB388_13 Depth=1
	v_and_b32_e32 v1, 7, v58
	v_ffbh_u32_e32 v4, v1
	v_min_u32_e32 v6, 32, v4
	v_subrev_u32_e32 v4, 28, v6
	v_lshlrev_b64 v[4:5], v4, v[58:59]
	v_lshrrev_b32_e32 v3, 3, v2
	v_sub_u32_e32 v5, 29, v6
	v_and_b32_e32 v4, 7, v4
	v_cmp_gt_u32_e32 vcc, 8, v2
	v_cndmask_b32_e32 v2, v3, v5, vcc
	v_cndmask_b32_e32 v1, v1, v4, vcc
	v_lshlrev_b32_e32 v3, 16, v56
	v_bfrev_b32_e32 v4, 60
	v_lshlrev_b32_e32 v1, 20, v1
	v_and_b32_e32 v3, 0x80000000, v3
	v_lshl_add_u32 v2, v2, 23, v4
	v_or3_b32 v1, v3, v2, v1
.LBB388_230:                            ;   in Loop: Header=BB388_13 Depth=1
	s_or_b64 exec, exec, s[40:41]
.LBB388_231:                            ;   in Loop: Header=BB388_13 Depth=1
	s_or_b64 exec, exec, s[38:39]
.LBB388_232:                            ;   in Loop: Header=BB388_13 Depth=1
	s_or_b64 exec, exec, s[36:37]
	v_mul_f32_e32 v1, v0, v1
	v_and_b32_e32 v2, 0x7f800000, v1
	v_cmp_ne_u32_e32 vcc, s45, v2
                                        ; implicit-def: $vgpr2
                                        ; kill: killed $vgpr2
	s_and_saveexec_b64 s[36:37], vcc
	s_xor_b64 vcc, exec, s[36:37]
	s_cbranch_execz .LBB388_234
; %bb.233:                              ;   in Loop: Header=BB388_13 Depth=1
	v_bfe_u32 v2, v1, 16, 1
	v_add3_u32 v1, v1, v2, s46
	buffer_store_dword v1, off, s[0:3], s32 offset:448 ; 4-byte Folded Spill
                                        ; implicit-def: $vgpr1
.LBB388_234:                            ;   in Loop: Header=BB388_13 Depth=1
	s_andn2_saveexec_b64 s[36:37], vcc
	s_cbranch_execz .LBB388_236
; %bb.235:                              ;   in Loop: Header=BB388_13 Depth=1
	v_or_b32_e32 v2, 0x10000, v1
	v_cmp_eq_u32_sdwa vcc, v1, v30 src0_sel:WORD_0 src1_sel:DWORD
	v_cndmask_b32_e32 v1, v2, v1, vcc
	buffer_store_dword v1, off, s[0:3], s32 offset:448 ; 4-byte Folded Spill
.LBB388_236:                            ;   in Loop: Header=BB388_13 Depth=1
	s_or_b64 exec, exec, s[36:37]
	v_lshrrev_b32_e32 v58, 16, v56
	v_cmp_ne_u16_sdwa vcc, v58, v30 src0_sel:BYTE_0 src1_sel:DWORD
	v_mov_b32_e32 v1, 0
	s_and_saveexec_b64 s[36:37], vcc
	s_cbranch_execz .LBB388_242
; %bb.237:                              ;   in Loop: Header=BB388_13 Depth=1
	v_cmp_ne_u16_sdwa vcc, v58, s43 src0_sel:BYTE_0 src1_sel:DWORD
	v_bfrev_b32_e32 v1, 1
	s_and_saveexec_b64 s[38:39], vcc
	s_cbranch_execz .LBB388_241
; %bb.238:                              ;   in Loop: Header=BB388_13 Depth=1
	v_bfe_u32 v2, v56, 16, 7
	v_cmp_ne_u32_e32 vcc, s44, v2
	v_mov_b32_e32 v1, 0x7f800001
	s_and_saveexec_b64 s[40:41], vcc
	s_cbranch_execz .LBB388_240
; %bb.239:                              ;   in Loop: Header=BB388_13 Depth=1
	v_and_b32_e32 v1, 7, v58
	v_ffbh_u32_e32 v4, v1
	v_min_u32_e32 v6, 32, v4
	v_subrev_u32_e32 v4, 28, v6
	v_lshlrev_b64 v[4:5], v4, v[58:59]
	v_lshrrev_b32_e32 v3, 3, v2
	v_sub_u32_e32 v5, 29, v6
	v_and_b32_e32 v4, 7, v4
	v_cmp_gt_u32_e32 vcc, 8, v2
	v_cndmask_b32_e32 v2, v3, v5, vcc
	v_cndmask_b32_e32 v1, v1, v4, vcc
	v_lshlrev_b32_e32 v3, 24, v58
	v_bfrev_b32_e32 v4, 60
	v_lshlrev_b32_e32 v1, 20, v1
	v_and_b32_e32 v3, 0x80000000, v3
	v_lshl_add_u32 v2, v2, 23, v4
	v_or3_b32 v1, v3, v2, v1
.LBB388_240:                            ;   in Loop: Header=BB388_13 Depth=1
	s_or_b64 exec, exec, s[40:41]
.LBB388_241:                            ;   in Loop: Header=BB388_13 Depth=1
	s_or_b64 exec, exec, s[38:39]
.LBB388_242:                            ;   in Loop: Header=BB388_13 Depth=1
	s_or_b64 exec, exec, s[36:37]
	v_mul_f32_e32 v1, v0, v1
	v_and_b32_e32 v2, 0x7f800000, v1
	v_cmp_ne_u32_e32 vcc, s45, v2
                                        ; implicit-def: $vgpr2
                                        ; kill: killed $vgpr2
	s_and_saveexec_b64 s[36:37], vcc
	s_xor_b64 vcc, exec, s[36:37]
	s_cbranch_execz .LBB388_244
; %bb.243:                              ;   in Loop: Header=BB388_13 Depth=1
	v_bfe_u32 v2, v1, 16, 1
	v_add3_u32 v1, v1, v2, s46
	buffer_store_dword v1, off, s[0:3], s32 offset:452 ; 4-byte Folded Spill
                                        ; implicit-def: $vgpr1
.LBB388_244:                            ;   in Loop: Header=BB388_13 Depth=1
	s_andn2_saveexec_b64 s[36:37], vcc
	s_cbranch_execz .LBB388_246
; %bb.245:                              ;   in Loop: Header=BB388_13 Depth=1
	v_or_b32_e32 v2, 0x10000, v1
	v_cmp_eq_u32_sdwa vcc, v1, v30 src0_sel:WORD_0 src1_sel:DWORD
	v_cndmask_b32_e32 v1, v2, v1, vcc
	buffer_store_dword v1, off, s[0:3], s32 offset:452 ; 4-byte Folded Spill
.LBB388_246:                            ;   in Loop: Header=BB388_13 Depth=1
	s_or_b64 exec, exec, s[36:37]
	v_cmp_lt_u32_e32 vcc, s47, v56
	v_mov_b32_e32 v1, 0
	s_and_saveexec_b64 s[36:37], vcc
	s_cbranch_execz .LBB388_252
; %bb.247:                              ;   in Loop: Header=BB388_13 Depth=1
	v_lshrrev_b32_e32 v58, 24, v56
	v_cmp_ne_u32_e32 vcc, s43, v58
	v_bfrev_b32_e32 v1, 1
	s_and_saveexec_b64 s[38:39], vcc
	s_cbranch_execz .LBB388_251
; %bb.248:                              ;   in Loop: Header=BB388_13 Depth=1
	v_bfe_u32 v2, v56, 24, 7
	v_cmp_ne_u32_e32 vcc, s44, v2
	v_mov_b32_e32 v1, 0x7f800001
	s_and_saveexec_b64 s[40:41], vcc
	s_cbranch_execz .LBB388_250
; %bb.249:                              ;   in Loop: Header=BB388_13 Depth=1
	v_and_b32_e32 v1, 7, v58
	v_ffbh_u32_e32 v4, v1
	v_min_u32_e32 v6, 32, v4
	v_subrev_u32_e32 v4, 28, v6
	v_lshlrev_b64 v[4:5], v4, v[58:59]
	v_lshrrev_b32_e32 v3, 3, v2
	v_sub_u32_e32 v5, 29, v6
	v_and_b32_e32 v4, 7, v4
	v_cmp_gt_u32_e32 vcc, 8, v2
	v_cndmask_b32_e32 v2, v3, v5, vcc
	v_cndmask_b32_e32 v1, v1, v4, vcc
	v_lshlrev_b32_e32 v3, 24, v58
	v_bfrev_b32_e32 v4, 60
	v_lshlrev_b32_e32 v1, 20, v1
	v_and_b32_e32 v3, 0x80000000, v3
	v_lshl_add_u32 v2, v2, 23, v4
	v_or3_b32 v1, v3, v2, v1
.LBB388_250:                            ;   in Loop: Header=BB388_13 Depth=1
	s_or_b64 exec, exec, s[40:41]
.LBB388_251:                            ;   in Loop: Header=BB388_13 Depth=1
	s_or_b64 exec, exec, s[38:39]
.LBB388_252:                            ;   in Loop: Header=BB388_13 Depth=1
	s_or_b64 exec, exec, s[36:37]
	v_mul_f32_e32 v1, v0, v1
	v_and_b32_e32 v2, 0x7f800000, v1
	v_cmp_ne_u32_e32 vcc, s45, v2
                                        ; implicit-def: $vgpr2
                                        ; kill: killed $vgpr2
	s_and_saveexec_b64 s[36:37], vcc
	s_xor_b64 vcc, exec, s[36:37]
	s_cbranch_execz .LBB388_254
; %bb.253:                              ;   in Loop: Header=BB388_13 Depth=1
	v_bfe_u32 v2, v1, 16, 1
	v_add3_u32 v1, v1, v2, s46
	buffer_store_dword v1, off, s[0:3], s32 offset:456 ; 4-byte Folded Spill
                                        ; implicit-def: $vgpr1
.LBB388_254:                            ;   in Loop: Header=BB388_13 Depth=1
	s_andn2_saveexec_b64 s[36:37], vcc
	s_cbranch_execz .LBB388_256
; %bb.255:                              ;   in Loop: Header=BB388_13 Depth=1
	v_or_b32_e32 v2, 0x10000, v1
	v_cmp_eq_u32_sdwa vcc, v1, v30 src0_sel:WORD_0 src1_sel:DWORD
	v_cndmask_b32_e32 v1, v2, v1, vcc
	buffer_store_dword v1, off, s[0:3], s32 offset:456 ; 4-byte Folded Spill
.LBB388_256:                            ;   in Loop: Header=BB388_13 Depth=1
	s_or_b64 exec, exec, s[36:37]
	flat_load_dword v56, v[46:47] offset:1536
	v_mov_b32_e32 v1, 0
	s_waitcnt vmcnt(0) lgkmcnt(0)
	v_cmp_ne_u16_sdwa vcc, v56, v30 src0_sel:BYTE_0 src1_sel:DWORD
	s_and_saveexec_b64 s[36:37], vcc
	s_cbranch_execz .LBB388_262
; %bb.257:                              ;   in Loop: Header=BB388_13 Depth=1
	v_cmp_ne_u16_sdwa vcc, v56, s43 src0_sel:BYTE_0 src1_sel:DWORD
	v_bfrev_b32_e32 v1, 1
	s_and_saveexec_b64 s[38:39], vcc
	s_cbranch_execz .LBB388_261
; %bb.258:                              ;   in Loop: Header=BB388_13 Depth=1
	v_and_b32_e32 v2, 0x7f, v56
	v_cmp_ne_u32_e32 vcc, s44, v2
	v_mov_b32_e32 v1, 0x7f800001
	s_and_saveexec_b64 s[40:41], vcc
	s_cbranch_execz .LBB388_260
; %bb.259:                              ;   in Loop: Header=BB388_13 Depth=1
	v_and_b32_e32 v1, 7, v56
	v_ffbh_u32_e32 v4, v1
	v_min_u32_e32 v6, 32, v4
	v_subrev_u32_e32 v4, 28, v6
	v_lshlrev_b64 v[4:5], v4, v[56:57]
	v_lshrrev_b32_e32 v3, 3, v2
	v_sub_u32_e32 v5, 29, v6
	v_and_b32_e32 v4, 7, v4
	v_cmp_gt_u32_e32 vcc, 8, v2
	v_cndmask_b32_e32 v2, v3, v5, vcc
	v_cndmask_b32_e32 v1, v1, v4, vcc
	v_lshlrev_b32_e32 v3, 24, v56
	v_bfrev_b32_e32 v4, 60
	v_lshlrev_b32_e32 v1, 20, v1
	v_and_b32_e32 v3, 0x80000000, v3
	v_lshl_add_u32 v2, v2, 23, v4
	v_or3_b32 v1, v3, v2, v1
.LBB388_260:                            ;   in Loop: Header=BB388_13 Depth=1
	s_or_b64 exec, exec, s[40:41]
.LBB388_261:                            ;   in Loop: Header=BB388_13 Depth=1
	s_or_b64 exec, exec, s[38:39]
.LBB388_262:                            ;   in Loop: Header=BB388_13 Depth=1
	s_or_b64 exec, exec, s[36:37]
	v_mul_f32_e32 v1, v0, v1
	v_and_b32_e32 v2, 0x7f800000, v1
	v_cmp_ne_u32_e32 vcc, s45, v2
                                        ; implicit-def: $vgpr2
                                        ; kill: killed $vgpr2
	s_and_saveexec_b64 s[36:37], vcc
	s_xor_b64 vcc, exec, s[36:37]
	s_cbranch_execz .LBB388_264
; %bb.263:                              ;   in Loop: Header=BB388_13 Depth=1
	v_bfe_u32 v2, v1, 16, 1
	v_add3_u32 v1, v1, v2, s46
	buffer_store_dword v1, off, s[0:3], s32 offset:460 ; 4-byte Folded Spill
                                        ; implicit-def: $vgpr1
.LBB388_264:                            ;   in Loop: Header=BB388_13 Depth=1
	s_andn2_saveexec_b64 s[36:37], vcc
	s_cbranch_execz .LBB388_266
; %bb.265:                              ;   in Loop: Header=BB388_13 Depth=1
	v_or_b32_e32 v2, 0x10000, v1
	v_cmp_eq_u32_sdwa vcc, v1, v30 src0_sel:WORD_0 src1_sel:DWORD
	v_cndmask_b32_e32 v1, v2, v1, vcc
	buffer_store_dword v1, off, s[0:3], s32 offset:460 ; 4-byte Folded Spill
.LBB388_266:                            ;   in Loop: Header=BB388_13 Depth=1
	s_or_b64 exec, exec, s[36:37]
	v_lshrrev_b16_e32 v58, 8, v56
	v_cmp_ne_u16_e32 vcc, 0, v58
	v_mov_b32_e32 v1, 0
	s_and_saveexec_b64 s[36:37], vcc
	s_cbranch_execz .LBB388_272
; %bb.267:                              ;   in Loop: Header=BB388_13 Depth=1
	v_cmp_ne_u16_e32 vcc, s43, v58
	v_bfrev_b32_e32 v1, 1
	s_and_saveexec_b64 s[38:39], vcc
	s_cbranch_execz .LBB388_271
; %bb.268:                              ;   in Loop: Header=BB388_13 Depth=1
	v_and_b32_e32 v2, 0x7f, v58
	v_cmp_ne_u32_e32 vcc, s44, v2
	v_mov_b32_e32 v1, 0x7f800001
	s_and_saveexec_b64 s[40:41], vcc
	s_cbranch_execz .LBB388_270
; %bb.269:                              ;   in Loop: Header=BB388_13 Depth=1
	v_and_b32_e32 v1, 7, v58
	v_ffbh_u32_e32 v4, v1
	v_min_u32_e32 v6, 32, v4
	v_subrev_u32_e32 v4, 28, v6
	v_lshlrev_b64 v[4:5], v4, v[58:59]
	v_lshrrev_b32_e32 v3, 3, v2
	v_sub_u32_e32 v5, 29, v6
	v_and_b32_e32 v4, 7, v4
	v_cmp_gt_u32_e32 vcc, 8, v2
	v_cndmask_b32_e32 v2, v3, v5, vcc
	v_cndmask_b32_e32 v1, v1, v4, vcc
	v_lshlrev_b32_e32 v3, 16, v56
	v_bfrev_b32_e32 v4, 60
	v_lshlrev_b32_e32 v1, 20, v1
	v_and_b32_e32 v3, 0x80000000, v3
	v_lshl_add_u32 v2, v2, 23, v4
	v_or3_b32 v1, v3, v2, v1
.LBB388_270:                            ;   in Loop: Header=BB388_13 Depth=1
	s_or_b64 exec, exec, s[40:41]
.LBB388_271:                            ;   in Loop: Header=BB388_13 Depth=1
	s_or_b64 exec, exec, s[38:39]
.LBB388_272:                            ;   in Loop: Header=BB388_13 Depth=1
	s_or_b64 exec, exec, s[36:37]
	v_mul_f32_e32 v1, v0, v1
	v_and_b32_e32 v2, 0x7f800000, v1
	v_cmp_ne_u32_e32 vcc, s45, v2
                                        ; implicit-def: $vgpr2
                                        ; kill: killed $vgpr2
	s_and_saveexec_b64 s[36:37], vcc
	s_xor_b64 vcc, exec, s[36:37]
	s_cbranch_execz .LBB388_274
; %bb.273:                              ;   in Loop: Header=BB388_13 Depth=1
	v_bfe_u32 v2, v1, 16, 1
	v_add3_u32 v1, v1, v2, s46
	buffer_store_dword v1, off, s[0:3], s32 offset:464 ; 4-byte Folded Spill
                                        ; implicit-def: $vgpr1
.LBB388_274:                            ;   in Loop: Header=BB388_13 Depth=1
	s_andn2_saveexec_b64 s[36:37], vcc
	s_cbranch_execz .LBB388_276
; %bb.275:                              ;   in Loop: Header=BB388_13 Depth=1
	v_or_b32_e32 v2, 0x10000, v1
	v_cmp_eq_u32_sdwa vcc, v1, v30 src0_sel:WORD_0 src1_sel:DWORD
	v_cndmask_b32_e32 v1, v2, v1, vcc
	buffer_store_dword v1, off, s[0:3], s32 offset:464 ; 4-byte Folded Spill
.LBB388_276:                            ;   in Loop: Header=BB388_13 Depth=1
	s_or_b64 exec, exec, s[36:37]
	v_lshrrev_b32_e32 v58, 16, v56
	v_cmp_ne_u16_sdwa vcc, v58, v30 src0_sel:BYTE_0 src1_sel:DWORD
	v_mov_b32_e32 v1, 0
	s_and_saveexec_b64 s[36:37], vcc
	s_cbranch_execz .LBB388_282
; %bb.277:                              ;   in Loop: Header=BB388_13 Depth=1
	v_cmp_ne_u16_sdwa vcc, v58, s43 src0_sel:BYTE_0 src1_sel:DWORD
	v_bfrev_b32_e32 v1, 1
	s_and_saveexec_b64 s[38:39], vcc
	s_cbranch_execz .LBB388_281
; %bb.278:                              ;   in Loop: Header=BB388_13 Depth=1
	v_bfe_u32 v2, v56, 16, 7
	v_cmp_ne_u32_e32 vcc, s44, v2
	v_mov_b32_e32 v1, 0x7f800001
	s_and_saveexec_b64 s[40:41], vcc
	s_cbranch_execz .LBB388_280
; %bb.279:                              ;   in Loop: Header=BB388_13 Depth=1
	v_and_b32_e32 v1, 7, v58
	v_ffbh_u32_e32 v4, v1
	v_min_u32_e32 v6, 32, v4
	v_subrev_u32_e32 v4, 28, v6
	v_lshlrev_b64 v[4:5], v4, v[58:59]
	v_lshrrev_b32_e32 v3, 3, v2
	v_sub_u32_e32 v5, 29, v6
	v_and_b32_e32 v4, 7, v4
	v_cmp_gt_u32_e32 vcc, 8, v2
	v_cndmask_b32_e32 v2, v3, v5, vcc
	v_cndmask_b32_e32 v1, v1, v4, vcc
	v_lshlrev_b32_e32 v3, 24, v58
	v_bfrev_b32_e32 v4, 60
	v_lshlrev_b32_e32 v1, 20, v1
	v_and_b32_e32 v3, 0x80000000, v3
	v_lshl_add_u32 v2, v2, 23, v4
	v_or3_b32 v1, v3, v2, v1
.LBB388_280:                            ;   in Loop: Header=BB388_13 Depth=1
	s_or_b64 exec, exec, s[40:41]
.LBB388_281:                            ;   in Loop: Header=BB388_13 Depth=1
	s_or_b64 exec, exec, s[38:39]
.LBB388_282:                            ;   in Loop: Header=BB388_13 Depth=1
	s_or_b64 exec, exec, s[36:37]
	v_mul_f32_e32 v1, v0, v1
	v_and_b32_e32 v2, 0x7f800000, v1
	v_cmp_ne_u32_e32 vcc, s45, v2
                                        ; implicit-def: $vgpr2
                                        ; kill: killed $vgpr2
	s_and_saveexec_b64 s[36:37], vcc
	s_xor_b64 vcc, exec, s[36:37]
	s_cbranch_execz .LBB388_284
; %bb.283:                              ;   in Loop: Header=BB388_13 Depth=1
	v_bfe_u32 v2, v1, 16, 1
	v_add3_u32 v1, v1, v2, s46
	buffer_store_dword v1, off, s[0:3], s32 offset:468 ; 4-byte Folded Spill
                                        ; implicit-def: $vgpr1
.LBB388_284:                            ;   in Loop: Header=BB388_13 Depth=1
	s_andn2_saveexec_b64 s[36:37], vcc
	s_cbranch_execz .LBB388_286
; %bb.285:                              ;   in Loop: Header=BB388_13 Depth=1
	v_or_b32_e32 v2, 0x10000, v1
	v_cmp_eq_u32_sdwa vcc, v1, v30 src0_sel:WORD_0 src1_sel:DWORD
	v_cndmask_b32_e32 v1, v2, v1, vcc
	buffer_store_dword v1, off, s[0:3], s32 offset:468 ; 4-byte Folded Spill
.LBB388_286:                            ;   in Loop: Header=BB388_13 Depth=1
	s_or_b64 exec, exec, s[36:37]
	v_cmp_lt_u32_e32 vcc, s47, v56
	v_mov_b32_e32 v1, 0
	s_and_saveexec_b64 s[36:37], vcc
	s_cbranch_execz .LBB388_292
; %bb.287:                              ;   in Loop: Header=BB388_13 Depth=1
	v_lshrrev_b32_e32 v58, 24, v56
	v_cmp_ne_u32_e32 vcc, s43, v58
	v_bfrev_b32_e32 v1, 1
	s_and_saveexec_b64 s[38:39], vcc
	s_cbranch_execz .LBB388_291
; %bb.288:                              ;   in Loop: Header=BB388_13 Depth=1
	v_bfe_u32 v2, v56, 24, 7
	v_cmp_ne_u32_e32 vcc, s44, v2
	v_mov_b32_e32 v1, 0x7f800001
	s_and_saveexec_b64 s[40:41], vcc
	s_cbranch_execz .LBB388_290
; %bb.289:                              ;   in Loop: Header=BB388_13 Depth=1
	v_and_b32_e32 v1, 7, v58
	v_ffbh_u32_e32 v4, v1
	v_min_u32_e32 v6, 32, v4
	v_subrev_u32_e32 v4, 28, v6
	v_lshlrev_b64 v[4:5], v4, v[58:59]
	v_lshrrev_b32_e32 v3, 3, v2
	v_sub_u32_e32 v5, 29, v6
	v_and_b32_e32 v4, 7, v4
	v_cmp_gt_u32_e32 vcc, 8, v2
	v_cndmask_b32_e32 v2, v3, v5, vcc
	v_cndmask_b32_e32 v1, v1, v4, vcc
	v_lshlrev_b32_e32 v3, 24, v58
	v_bfrev_b32_e32 v4, 60
	v_lshlrev_b32_e32 v1, 20, v1
	v_and_b32_e32 v3, 0x80000000, v3
	v_lshl_add_u32 v2, v2, 23, v4
	v_or3_b32 v1, v3, v2, v1
.LBB388_290:                            ;   in Loop: Header=BB388_13 Depth=1
	s_or_b64 exec, exec, s[40:41]
.LBB388_291:                            ;   in Loop: Header=BB388_13 Depth=1
	s_or_b64 exec, exec, s[38:39]
.LBB388_292:                            ;   in Loop: Header=BB388_13 Depth=1
	s_or_b64 exec, exec, s[36:37]
	v_mul_f32_e32 v1, v0, v1
	v_and_b32_e32 v2, 0x7f800000, v1
	v_cmp_ne_u32_e32 vcc, s45, v2
                                        ; implicit-def: $vgpr2
                                        ; kill: killed $vgpr2
	s_and_saveexec_b64 s[36:37], vcc
	s_xor_b64 vcc, exec, s[36:37]
	s_cbranch_execz .LBB388_294
; %bb.293:                              ;   in Loop: Header=BB388_13 Depth=1
	v_bfe_u32 v2, v1, 16, 1
	v_add3_u32 v1, v1, v2, s46
	buffer_store_dword v1, off, s[0:3], s32 offset:472 ; 4-byte Folded Spill
                                        ; implicit-def: $vgpr1
.LBB388_294:                            ;   in Loop: Header=BB388_13 Depth=1
	s_andn2_saveexec_b64 s[36:37], vcc
	s_cbranch_execz .LBB388_296
; %bb.295:                              ;   in Loop: Header=BB388_13 Depth=1
	v_or_b32_e32 v2, 0x10000, v1
	v_cmp_eq_u32_sdwa vcc, v1, v30 src0_sel:WORD_0 src1_sel:DWORD
	v_cndmask_b32_e32 v1, v2, v1, vcc
	buffer_store_dword v1, off, s[0:3], s32 offset:472 ; 4-byte Folded Spill
.LBB388_296:                            ;   in Loop: Header=BB388_13 Depth=1
	s_or_b64 exec, exec, s[36:37]
	flat_load_dword v56, v[46:47] offset:1544
	v_mov_b32_e32 v1, 0
	s_waitcnt vmcnt(0) lgkmcnt(0)
	v_cmp_ne_u16_sdwa vcc, v56, v30 src0_sel:BYTE_0 src1_sel:DWORD
	s_and_saveexec_b64 s[36:37], vcc
	s_cbranch_execz .LBB388_302
; %bb.297:                              ;   in Loop: Header=BB388_13 Depth=1
	v_cmp_ne_u16_sdwa vcc, v56, s43 src0_sel:BYTE_0 src1_sel:DWORD
	v_bfrev_b32_e32 v1, 1
	s_and_saveexec_b64 s[38:39], vcc
	s_cbranch_execz .LBB388_301
; %bb.298:                              ;   in Loop: Header=BB388_13 Depth=1
	v_and_b32_e32 v2, 0x7f, v56
	v_cmp_ne_u32_e32 vcc, s44, v2
	v_mov_b32_e32 v1, 0x7f800001
	s_and_saveexec_b64 s[40:41], vcc
	s_cbranch_execz .LBB388_300
; %bb.299:                              ;   in Loop: Header=BB388_13 Depth=1
	v_and_b32_e32 v1, 7, v56
	v_ffbh_u32_e32 v4, v1
	v_min_u32_e32 v6, 32, v4
	v_subrev_u32_e32 v4, 28, v6
	v_lshlrev_b64 v[4:5], v4, v[56:57]
	v_lshrrev_b32_e32 v3, 3, v2
	v_sub_u32_e32 v5, 29, v6
	v_and_b32_e32 v4, 7, v4
	v_cmp_gt_u32_e32 vcc, 8, v2
	v_cndmask_b32_e32 v2, v3, v5, vcc
	v_cndmask_b32_e32 v1, v1, v4, vcc
	v_lshlrev_b32_e32 v3, 24, v56
	v_bfrev_b32_e32 v4, 60
	v_lshlrev_b32_e32 v1, 20, v1
	v_and_b32_e32 v3, 0x80000000, v3
	v_lshl_add_u32 v2, v2, 23, v4
	v_or3_b32 v1, v3, v2, v1
.LBB388_300:                            ;   in Loop: Header=BB388_13 Depth=1
	s_or_b64 exec, exec, s[40:41]
.LBB388_301:                            ;   in Loop: Header=BB388_13 Depth=1
	s_or_b64 exec, exec, s[38:39]
.LBB388_302:                            ;   in Loop: Header=BB388_13 Depth=1
	s_or_b64 exec, exec, s[36:37]
	v_mul_f32_e32 v1, v0, v1
	v_and_b32_e32 v2, 0x7f800000, v1
	v_cmp_ne_u32_e32 vcc, s45, v2
                                        ; implicit-def: $vgpr2
                                        ; kill: killed $vgpr2
	s_and_saveexec_b64 s[36:37], vcc
	s_xor_b64 vcc, exec, s[36:37]
	s_cbranch_execz .LBB388_304
; %bb.303:                              ;   in Loop: Header=BB388_13 Depth=1
	v_bfe_u32 v2, v1, 16, 1
	v_add3_u32 v1, v1, v2, s46
	buffer_store_dword v1, off, s[0:3], s32 offset:476 ; 4-byte Folded Spill
                                        ; implicit-def: $vgpr1
.LBB388_304:                            ;   in Loop: Header=BB388_13 Depth=1
	s_andn2_saveexec_b64 s[36:37], vcc
	s_cbranch_execz .LBB388_306
; %bb.305:                              ;   in Loop: Header=BB388_13 Depth=1
	v_or_b32_e32 v2, 0x10000, v1
	v_cmp_eq_u32_sdwa vcc, v1, v30 src0_sel:WORD_0 src1_sel:DWORD
	v_cndmask_b32_e32 v1, v2, v1, vcc
	buffer_store_dword v1, off, s[0:3], s32 offset:476 ; 4-byte Folded Spill
.LBB388_306:                            ;   in Loop: Header=BB388_13 Depth=1
	s_or_b64 exec, exec, s[36:37]
	v_lshrrev_b16_e32 v58, 8, v56
	v_cmp_ne_u16_e32 vcc, 0, v58
	v_mov_b32_e32 v1, 0
	s_and_saveexec_b64 s[36:37], vcc
	s_cbranch_execz .LBB388_312
; %bb.307:                              ;   in Loop: Header=BB388_13 Depth=1
	v_cmp_ne_u16_e32 vcc, s43, v58
	v_bfrev_b32_e32 v1, 1
	s_and_saveexec_b64 s[38:39], vcc
	s_cbranch_execz .LBB388_311
; %bb.308:                              ;   in Loop: Header=BB388_13 Depth=1
	v_and_b32_e32 v2, 0x7f, v58
	v_cmp_ne_u32_e32 vcc, s44, v2
	v_mov_b32_e32 v1, 0x7f800001
	s_and_saveexec_b64 s[40:41], vcc
	s_cbranch_execz .LBB388_310
; %bb.309:                              ;   in Loop: Header=BB388_13 Depth=1
	v_and_b32_e32 v1, 7, v58
	v_ffbh_u32_e32 v4, v1
	v_min_u32_e32 v6, 32, v4
	v_subrev_u32_e32 v4, 28, v6
	v_lshlrev_b64 v[4:5], v4, v[58:59]
	v_lshrrev_b32_e32 v3, 3, v2
	v_sub_u32_e32 v5, 29, v6
	v_and_b32_e32 v4, 7, v4
	v_cmp_gt_u32_e32 vcc, 8, v2
	v_cndmask_b32_e32 v2, v3, v5, vcc
	v_cndmask_b32_e32 v1, v1, v4, vcc
	v_lshlrev_b32_e32 v3, 16, v56
	v_bfrev_b32_e32 v4, 60
	v_lshlrev_b32_e32 v1, 20, v1
	v_and_b32_e32 v3, 0x80000000, v3
	v_lshl_add_u32 v2, v2, 23, v4
	v_or3_b32 v1, v3, v2, v1
.LBB388_310:                            ;   in Loop: Header=BB388_13 Depth=1
	s_or_b64 exec, exec, s[40:41]
.LBB388_311:                            ;   in Loop: Header=BB388_13 Depth=1
	s_or_b64 exec, exec, s[38:39]
.LBB388_312:                            ;   in Loop: Header=BB388_13 Depth=1
	s_or_b64 exec, exec, s[36:37]
	v_mul_f32_e32 v1, v0, v1
	v_and_b32_e32 v2, 0x7f800000, v1
	v_cmp_ne_u32_e32 vcc, s45, v2
                                        ; implicit-def: $vgpr2
                                        ; kill: killed $vgpr2
	s_and_saveexec_b64 s[36:37], vcc
	s_xor_b64 vcc, exec, s[36:37]
	s_cbranch_execz .LBB388_314
; %bb.313:                              ;   in Loop: Header=BB388_13 Depth=1
	v_bfe_u32 v2, v1, 16, 1
	v_add3_u32 v1, v1, v2, s46
	buffer_store_dword v1, off, s[0:3], s32 offset:480 ; 4-byte Folded Spill
                                        ; implicit-def: $vgpr1
.LBB388_314:                            ;   in Loop: Header=BB388_13 Depth=1
	s_andn2_saveexec_b64 s[36:37], vcc
	s_cbranch_execz .LBB388_316
; %bb.315:                              ;   in Loop: Header=BB388_13 Depth=1
	v_or_b32_e32 v2, 0x10000, v1
	v_cmp_eq_u32_sdwa vcc, v1, v30 src0_sel:WORD_0 src1_sel:DWORD
	v_cndmask_b32_e32 v1, v2, v1, vcc
	buffer_store_dword v1, off, s[0:3], s32 offset:480 ; 4-byte Folded Spill
.LBB388_316:                            ;   in Loop: Header=BB388_13 Depth=1
	s_or_b64 exec, exec, s[36:37]
	v_lshrrev_b32_e32 v58, 16, v56
	v_cmp_ne_u16_sdwa vcc, v58, v30 src0_sel:BYTE_0 src1_sel:DWORD
	v_mov_b32_e32 v1, 0
	s_and_saveexec_b64 s[36:37], vcc
	s_cbranch_execz .LBB388_322
; %bb.317:                              ;   in Loop: Header=BB388_13 Depth=1
	v_cmp_ne_u16_sdwa vcc, v58, s43 src0_sel:BYTE_0 src1_sel:DWORD
	v_bfrev_b32_e32 v1, 1
	s_and_saveexec_b64 s[38:39], vcc
	s_cbranch_execz .LBB388_321
; %bb.318:                              ;   in Loop: Header=BB388_13 Depth=1
	v_bfe_u32 v2, v56, 16, 7
	v_cmp_ne_u32_e32 vcc, s44, v2
	v_mov_b32_e32 v1, 0x7f800001
	s_and_saveexec_b64 s[40:41], vcc
	s_cbranch_execz .LBB388_320
; %bb.319:                              ;   in Loop: Header=BB388_13 Depth=1
	v_and_b32_e32 v1, 7, v58
	v_ffbh_u32_e32 v4, v1
	v_min_u32_e32 v6, 32, v4
	v_subrev_u32_e32 v4, 28, v6
	v_lshlrev_b64 v[4:5], v4, v[58:59]
	v_lshrrev_b32_e32 v3, 3, v2
	v_sub_u32_e32 v5, 29, v6
	v_and_b32_e32 v4, 7, v4
	v_cmp_gt_u32_e32 vcc, 8, v2
	v_cndmask_b32_e32 v2, v3, v5, vcc
	v_cndmask_b32_e32 v1, v1, v4, vcc
	v_lshlrev_b32_e32 v3, 24, v58
	v_bfrev_b32_e32 v4, 60
	v_lshlrev_b32_e32 v1, 20, v1
	v_and_b32_e32 v3, 0x80000000, v3
	v_lshl_add_u32 v2, v2, 23, v4
	v_or3_b32 v1, v3, v2, v1
.LBB388_320:                            ;   in Loop: Header=BB388_13 Depth=1
	s_or_b64 exec, exec, s[40:41]
.LBB388_321:                            ;   in Loop: Header=BB388_13 Depth=1
	s_or_b64 exec, exec, s[38:39]
.LBB388_322:                            ;   in Loop: Header=BB388_13 Depth=1
	s_or_b64 exec, exec, s[36:37]
	v_mul_f32_e32 v1, v0, v1
	v_and_b32_e32 v2, 0x7f800000, v1
	v_cmp_ne_u32_e32 vcc, s45, v2
                                        ; implicit-def: $vgpr2
                                        ; kill: killed $vgpr2
	s_and_saveexec_b64 s[36:37], vcc
	s_xor_b64 vcc, exec, s[36:37]
	s_cbranch_execz .LBB388_324
; %bb.323:                              ;   in Loop: Header=BB388_13 Depth=1
	v_bfe_u32 v2, v1, 16, 1
	v_add3_u32 v1, v1, v2, s46
	buffer_store_dword v1, off, s[0:3], s32 offset:484 ; 4-byte Folded Spill
                                        ; implicit-def: $vgpr1
.LBB388_324:                            ;   in Loop: Header=BB388_13 Depth=1
	s_andn2_saveexec_b64 s[36:37], vcc
	s_cbranch_execz .LBB388_326
; %bb.325:                              ;   in Loop: Header=BB388_13 Depth=1
	v_or_b32_e32 v2, 0x10000, v1
	v_cmp_eq_u32_sdwa vcc, v1, v30 src0_sel:WORD_0 src1_sel:DWORD
	v_cndmask_b32_e32 v1, v2, v1, vcc
	buffer_store_dword v1, off, s[0:3], s32 offset:484 ; 4-byte Folded Spill
.LBB388_326:                            ;   in Loop: Header=BB388_13 Depth=1
	s_or_b64 exec, exec, s[36:37]
	v_cmp_lt_u32_e32 vcc, s47, v56
	v_mov_b32_e32 v1, 0
	s_and_saveexec_b64 s[36:37], vcc
	s_cbranch_execz .LBB388_332
; %bb.327:                              ;   in Loop: Header=BB388_13 Depth=1
	v_lshrrev_b32_e32 v58, 24, v56
	v_cmp_ne_u32_e32 vcc, s43, v58
	v_bfrev_b32_e32 v1, 1
	s_and_saveexec_b64 s[38:39], vcc
	s_cbranch_execz .LBB388_331
; %bb.328:                              ;   in Loop: Header=BB388_13 Depth=1
	v_bfe_u32 v2, v56, 24, 7
	v_cmp_ne_u32_e32 vcc, s44, v2
	v_mov_b32_e32 v1, 0x7f800001
	s_and_saveexec_b64 s[40:41], vcc
	s_cbranch_execz .LBB388_330
; %bb.329:                              ;   in Loop: Header=BB388_13 Depth=1
	v_and_b32_e32 v1, 7, v58
	v_ffbh_u32_e32 v4, v1
	v_min_u32_e32 v6, 32, v4
	v_subrev_u32_e32 v4, 28, v6
	v_lshlrev_b64 v[4:5], v4, v[58:59]
	v_lshrrev_b32_e32 v3, 3, v2
	v_sub_u32_e32 v5, 29, v6
	v_and_b32_e32 v4, 7, v4
	v_cmp_gt_u32_e32 vcc, 8, v2
	v_cndmask_b32_e32 v2, v3, v5, vcc
	v_cndmask_b32_e32 v1, v1, v4, vcc
	v_lshlrev_b32_e32 v3, 24, v58
	v_bfrev_b32_e32 v4, 60
	v_lshlrev_b32_e32 v1, 20, v1
	v_and_b32_e32 v3, 0x80000000, v3
	v_lshl_add_u32 v2, v2, 23, v4
	v_or3_b32 v1, v3, v2, v1
.LBB388_330:                            ;   in Loop: Header=BB388_13 Depth=1
	s_or_b64 exec, exec, s[40:41]
.LBB388_331:                            ;   in Loop: Header=BB388_13 Depth=1
	s_or_b64 exec, exec, s[38:39]
.LBB388_332:                            ;   in Loop: Header=BB388_13 Depth=1
	s_or_b64 exec, exec, s[36:37]
	v_mul_f32_e32 v1, v0, v1
	v_and_b32_e32 v2, 0x7f800000, v1
	v_cmp_ne_u32_e32 vcc, s45, v2
                                        ; implicit-def: $vgpr2
                                        ; kill: killed $vgpr2
	s_and_saveexec_b64 s[36:37], vcc
	s_xor_b64 vcc, exec, s[36:37]
	s_cbranch_execz .LBB388_334
; %bb.333:                              ;   in Loop: Header=BB388_13 Depth=1
	v_bfe_u32 v2, v1, 16, 1
	v_add3_u32 v1, v1, v2, s46
	buffer_store_dword v1, off, s[0:3], s32 offset:488 ; 4-byte Folded Spill
                                        ; implicit-def: $vgpr1
.LBB388_334:                            ;   in Loop: Header=BB388_13 Depth=1
	s_andn2_saveexec_b64 s[36:37], vcc
	s_cbranch_execz .LBB388_336
; %bb.335:                              ;   in Loop: Header=BB388_13 Depth=1
	v_or_b32_e32 v2, 0x10000, v1
	v_cmp_eq_u32_sdwa vcc, v1, v30 src0_sel:WORD_0 src1_sel:DWORD
	v_cndmask_b32_e32 v1, v2, v1, vcc
	buffer_store_dword v1, off, s[0:3], s32 offset:488 ; 4-byte Folded Spill
.LBB388_336:                            ;   in Loop: Header=BB388_13 Depth=1
	s_or_b64 exec, exec, s[36:37]
	flat_load_dword v56, v[46:47] offset:2048
	v_mov_b32_e32 v1, 0
	s_waitcnt vmcnt(0) lgkmcnt(0)
	v_cmp_ne_u16_sdwa vcc, v56, v30 src0_sel:BYTE_0 src1_sel:DWORD
	s_and_saveexec_b64 s[36:37], vcc
	s_cbranch_execz .LBB388_342
; %bb.337:                              ;   in Loop: Header=BB388_13 Depth=1
	v_cmp_ne_u16_sdwa vcc, v56, s43 src0_sel:BYTE_0 src1_sel:DWORD
	v_bfrev_b32_e32 v1, 1
	s_and_saveexec_b64 s[38:39], vcc
	s_cbranch_execz .LBB388_341
; %bb.338:                              ;   in Loop: Header=BB388_13 Depth=1
	v_and_b32_e32 v2, 0x7f, v56
	v_cmp_ne_u32_e32 vcc, s44, v2
	v_mov_b32_e32 v1, 0x7f800001
	s_and_saveexec_b64 s[40:41], vcc
	s_cbranch_execz .LBB388_340
; %bb.339:                              ;   in Loop: Header=BB388_13 Depth=1
	v_and_b32_e32 v1, 7, v56
	v_ffbh_u32_e32 v4, v1
	v_min_u32_e32 v6, 32, v4
	v_subrev_u32_e32 v4, 28, v6
	v_lshlrev_b64 v[4:5], v4, v[56:57]
	v_lshrrev_b32_e32 v3, 3, v2
	v_sub_u32_e32 v5, 29, v6
	v_and_b32_e32 v4, 7, v4
	v_cmp_gt_u32_e32 vcc, 8, v2
	v_cndmask_b32_e32 v2, v3, v5, vcc
	v_cndmask_b32_e32 v1, v1, v4, vcc
	v_lshlrev_b32_e32 v3, 24, v56
	v_bfrev_b32_e32 v4, 60
	v_lshlrev_b32_e32 v1, 20, v1
	v_and_b32_e32 v3, 0x80000000, v3
	v_lshl_add_u32 v2, v2, 23, v4
	v_or3_b32 v1, v3, v2, v1
.LBB388_340:                            ;   in Loop: Header=BB388_13 Depth=1
	s_or_b64 exec, exec, s[40:41]
.LBB388_341:                            ;   in Loop: Header=BB388_13 Depth=1
	s_or_b64 exec, exec, s[38:39]
.LBB388_342:                            ;   in Loop: Header=BB388_13 Depth=1
	s_or_b64 exec, exec, s[36:37]
	v_mul_f32_e32 v1, v0, v1
	v_and_b32_e32 v2, 0x7f800000, v1
	v_cmp_ne_u32_e32 vcc, s45, v2
                                        ; implicit-def: $vgpr2
                                        ; kill: killed $vgpr2
	s_and_saveexec_b64 s[36:37], vcc
	s_xor_b64 vcc, exec, s[36:37]
	s_cbranch_execz .LBB388_344
; %bb.343:                              ;   in Loop: Header=BB388_13 Depth=1
	v_bfe_u32 v2, v1, 16, 1
	v_add3_u32 v1, v1, v2, s46
	buffer_store_dword v1, off, s[0:3], s32 offset:492 ; 4-byte Folded Spill
                                        ; implicit-def: $vgpr1
.LBB388_344:                            ;   in Loop: Header=BB388_13 Depth=1
	s_andn2_saveexec_b64 s[36:37], vcc
	s_cbranch_execz .LBB388_346
; %bb.345:                              ;   in Loop: Header=BB388_13 Depth=1
	v_or_b32_e32 v2, 0x10000, v1
	v_cmp_eq_u32_sdwa vcc, v1, v30 src0_sel:WORD_0 src1_sel:DWORD
	v_cndmask_b32_e32 v1, v2, v1, vcc
	buffer_store_dword v1, off, s[0:3], s32 offset:492 ; 4-byte Folded Spill
.LBB388_346:                            ;   in Loop: Header=BB388_13 Depth=1
	s_or_b64 exec, exec, s[36:37]
	v_lshrrev_b16_e32 v58, 8, v56
	v_cmp_ne_u16_e32 vcc, 0, v58
	v_mov_b32_e32 v1, 0
	s_and_saveexec_b64 s[36:37], vcc
	s_cbranch_execz .LBB388_352
; %bb.347:                              ;   in Loop: Header=BB388_13 Depth=1
	v_cmp_ne_u16_e32 vcc, s43, v58
	v_bfrev_b32_e32 v1, 1
	s_and_saveexec_b64 s[38:39], vcc
	s_cbranch_execz .LBB388_351
; %bb.348:                              ;   in Loop: Header=BB388_13 Depth=1
	v_and_b32_e32 v2, 0x7f, v58
	v_cmp_ne_u32_e32 vcc, s44, v2
	v_mov_b32_e32 v1, 0x7f800001
	s_and_saveexec_b64 s[40:41], vcc
	s_cbranch_execz .LBB388_350
; %bb.349:                              ;   in Loop: Header=BB388_13 Depth=1
	v_and_b32_e32 v1, 7, v58
	v_ffbh_u32_e32 v4, v1
	v_min_u32_e32 v6, 32, v4
	v_subrev_u32_e32 v4, 28, v6
	v_lshlrev_b64 v[4:5], v4, v[58:59]
	v_lshrrev_b32_e32 v3, 3, v2
	v_sub_u32_e32 v5, 29, v6
	v_and_b32_e32 v4, 7, v4
	v_cmp_gt_u32_e32 vcc, 8, v2
	v_cndmask_b32_e32 v2, v3, v5, vcc
	v_cndmask_b32_e32 v1, v1, v4, vcc
	v_lshlrev_b32_e32 v3, 16, v56
	v_bfrev_b32_e32 v4, 60
	v_lshlrev_b32_e32 v1, 20, v1
	v_and_b32_e32 v3, 0x80000000, v3
	v_lshl_add_u32 v2, v2, 23, v4
	v_or3_b32 v1, v3, v2, v1
.LBB388_350:                            ;   in Loop: Header=BB388_13 Depth=1
	s_or_b64 exec, exec, s[40:41]
.LBB388_351:                            ;   in Loop: Header=BB388_13 Depth=1
	s_or_b64 exec, exec, s[38:39]
.LBB388_352:                            ;   in Loop: Header=BB388_13 Depth=1
	s_or_b64 exec, exec, s[36:37]
	v_mul_f32_e32 v1, v0, v1
	v_and_b32_e32 v2, 0x7f800000, v1
	v_cmp_ne_u32_e32 vcc, s45, v2
                                        ; implicit-def: $vgpr2
                                        ; kill: killed $vgpr2
	s_and_saveexec_b64 s[36:37], vcc
	s_xor_b64 vcc, exec, s[36:37]
	s_cbranch_execz .LBB388_354
; %bb.353:                              ;   in Loop: Header=BB388_13 Depth=1
	v_bfe_u32 v2, v1, 16, 1
	v_add3_u32 v1, v1, v2, s46
	buffer_store_dword v1, off, s[0:3], s32 offset:496 ; 4-byte Folded Spill
                                        ; implicit-def: $vgpr1
.LBB388_354:                            ;   in Loop: Header=BB388_13 Depth=1
	s_andn2_saveexec_b64 s[36:37], vcc
	s_cbranch_execz .LBB388_356
; %bb.355:                              ;   in Loop: Header=BB388_13 Depth=1
	v_or_b32_e32 v2, 0x10000, v1
	v_cmp_eq_u32_sdwa vcc, v1, v30 src0_sel:WORD_0 src1_sel:DWORD
	v_cndmask_b32_e32 v1, v2, v1, vcc
	buffer_store_dword v1, off, s[0:3], s32 offset:496 ; 4-byte Folded Spill
.LBB388_356:                            ;   in Loop: Header=BB388_13 Depth=1
	s_or_b64 exec, exec, s[36:37]
	v_lshrrev_b32_e32 v58, 16, v56
	v_cmp_ne_u16_sdwa vcc, v58, v30 src0_sel:BYTE_0 src1_sel:DWORD
	v_mov_b32_e32 v1, 0
	s_and_saveexec_b64 s[36:37], vcc
	s_cbranch_execz .LBB388_362
; %bb.357:                              ;   in Loop: Header=BB388_13 Depth=1
	v_cmp_ne_u16_sdwa vcc, v58, s43 src0_sel:BYTE_0 src1_sel:DWORD
	v_bfrev_b32_e32 v1, 1
	s_and_saveexec_b64 s[38:39], vcc
	s_cbranch_execz .LBB388_361
; %bb.358:                              ;   in Loop: Header=BB388_13 Depth=1
	v_bfe_u32 v2, v56, 16, 7
	v_cmp_ne_u32_e32 vcc, s44, v2
	v_mov_b32_e32 v1, 0x7f800001
	s_and_saveexec_b64 s[40:41], vcc
	s_cbranch_execz .LBB388_360
; %bb.359:                              ;   in Loop: Header=BB388_13 Depth=1
	v_and_b32_e32 v1, 7, v58
	v_ffbh_u32_e32 v4, v1
	v_min_u32_e32 v6, 32, v4
	v_subrev_u32_e32 v4, 28, v6
	v_lshlrev_b64 v[4:5], v4, v[58:59]
	v_lshrrev_b32_e32 v3, 3, v2
	v_sub_u32_e32 v5, 29, v6
	v_and_b32_e32 v4, 7, v4
	v_cmp_gt_u32_e32 vcc, 8, v2
	v_cndmask_b32_e32 v2, v3, v5, vcc
	v_cndmask_b32_e32 v1, v1, v4, vcc
	v_lshlrev_b32_e32 v3, 24, v58
	v_bfrev_b32_e32 v4, 60
	v_lshlrev_b32_e32 v1, 20, v1
	v_and_b32_e32 v3, 0x80000000, v3
	v_lshl_add_u32 v2, v2, 23, v4
	v_or3_b32 v1, v3, v2, v1
.LBB388_360:                            ;   in Loop: Header=BB388_13 Depth=1
	s_or_b64 exec, exec, s[40:41]
.LBB388_361:                            ;   in Loop: Header=BB388_13 Depth=1
	s_or_b64 exec, exec, s[38:39]
.LBB388_362:                            ;   in Loop: Header=BB388_13 Depth=1
	s_or_b64 exec, exec, s[36:37]
	v_mul_f32_e32 v1, v0, v1
	v_and_b32_e32 v2, 0x7f800000, v1
	v_cmp_ne_u32_e32 vcc, s45, v2
                                        ; implicit-def: $vgpr2
                                        ; kill: killed $vgpr2
	s_and_saveexec_b64 s[36:37], vcc
	s_xor_b64 vcc, exec, s[36:37]
	s_cbranch_execz .LBB388_364
; %bb.363:                              ;   in Loop: Header=BB388_13 Depth=1
	v_bfe_u32 v2, v1, 16, 1
	v_add3_u32 v1, v1, v2, s46
	buffer_store_dword v1, off, s[0:3], s32 offset:500 ; 4-byte Folded Spill
                                        ; implicit-def: $vgpr1
.LBB388_364:                            ;   in Loop: Header=BB388_13 Depth=1
	s_andn2_saveexec_b64 s[36:37], vcc
	s_cbranch_execz .LBB388_366
; %bb.365:                              ;   in Loop: Header=BB388_13 Depth=1
	v_or_b32_e32 v2, 0x10000, v1
	v_cmp_eq_u32_sdwa vcc, v1, v30 src0_sel:WORD_0 src1_sel:DWORD
	v_cndmask_b32_e32 v1, v2, v1, vcc
	buffer_store_dword v1, off, s[0:3], s32 offset:500 ; 4-byte Folded Spill
.LBB388_366:                            ;   in Loop: Header=BB388_13 Depth=1
	s_or_b64 exec, exec, s[36:37]
	v_cmp_lt_u32_e32 vcc, s47, v56
	v_mov_b32_e32 v1, 0
	s_and_saveexec_b64 s[36:37], vcc
	s_cbranch_execz .LBB388_372
; %bb.367:                              ;   in Loop: Header=BB388_13 Depth=1
	v_lshrrev_b32_e32 v58, 24, v56
	v_cmp_ne_u32_e32 vcc, s43, v58
	v_bfrev_b32_e32 v1, 1
	s_and_saveexec_b64 s[38:39], vcc
	s_cbranch_execz .LBB388_371
; %bb.368:                              ;   in Loop: Header=BB388_13 Depth=1
	v_bfe_u32 v2, v56, 24, 7
	v_cmp_ne_u32_e32 vcc, s44, v2
	v_mov_b32_e32 v1, 0x7f800001
	s_and_saveexec_b64 s[40:41], vcc
	s_cbranch_execz .LBB388_370
; %bb.369:                              ;   in Loop: Header=BB388_13 Depth=1
	v_and_b32_e32 v1, 7, v58
	v_ffbh_u32_e32 v4, v1
	v_min_u32_e32 v6, 32, v4
	v_subrev_u32_e32 v4, 28, v6
	v_lshlrev_b64 v[4:5], v4, v[58:59]
	v_lshrrev_b32_e32 v3, 3, v2
	v_sub_u32_e32 v5, 29, v6
	v_and_b32_e32 v4, 7, v4
	v_cmp_gt_u32_e32 vcc, 8, v2
	v_cndmask_b32_e32 v2, v3, v5, vcc
	v_cndmask_b32_e32 v1, v1, v4, vcc
	v_lshlrev_b32_e32 v3, 24, v58
	v_bfrev_b32_e32 v4, 60
	v_lshlrev_b32_e32 v1, 20, v1
	v_and_b32_e32 v3, 0x80000000, v3
	v_lshl_add_u32 v2, v2, 23, v4
	v_or3_b32 v1, v3, v2, v1
.LBB388_370:                            ;   in Loop: Header=BB388_13 Depth=1
	s_or_b64 exec, exec, s[40:41]
.LBB388_371:                            ;   in Loop: Header=BB388_13 Depth=1
	s_or_b64 exec, exec, s[38:39]
.LBB388_372:                            ;   in Loop: Header=BB388_13 Depth=1
	s_or_b64 exec, exec, s[36:37]
	v_mul_f32_e32 v1, v0, v1
	v_and_b32_e32 v2, 0x7f800000, v1
	v_cmp_ne_u32_e32 vcc, s45, v2
                                        ; implicit-def: $vgpr2
                                        ; kill: killed $vgpr2
	s_and_saveexec_b64 s[36:37], vcc
	s_xor_b64 vcc, exec, s[36:37]
	s_cbranch_execz .LBB388_374
; %bb.373:                              ;   in Loop: Header=BB388_13 Depth=1
	v_bfe_u32 v2, v1, 16, 1
	v_add3_u32 v1, v1, v2, s46
	buffer_store_dword v1, off, s[0:3], s32 offset:504 ; 4-byte Folded Spill
                                        ; implicit-def: $vgpr1
.LBB388_374:                            ;   in Loop: Header=BB388_13 Depth=1
	s_andn2_saveexec_b64 s[36:37], vcc
	s_cbranch_execz .LBB388_376
; %bb.375:                              ;   in Loop: Header=BB388_13 Depth=1
	v_or_b32_e32 v2, 0x10000, v1
	v_cmp_eq_u32_sdwa vcc, v1, v30 src0_sel:WORD_0 src1_sel:DWORD
	v_cndmask_b32_e32 v1, v2, v1, vcc
	buffer_store_dword v1, off, s[0:3], s32 offset:504 ; 4-byte Folded Spill
.LBB388_376:                            ;   in Loop: Header=BB388_13 Depth=1
	s_or_b64 exec, exec, s[36:37]
	flat_load_dword v56, v[46:47] offset:2056
	v_mov_b32_e32 v1, 0
	s_waitcnt vmcnt(0) lgkmcnt(0)
	v_cmp_ne_u16_sdwa vcc, v56, v30 src0_sel:BYTE_0 src1_sel:DWORD
	s_and_saveexec_b64 s[36:37], vcc
	s_cbranch_execz .LBB388_382
; %bb.377:                              ;   in Loop: Header=BB388_13 Depth=1
	v_cmp_ne_u16_sdwa vcc, v56, s43 src0_sel:BYTE_0 src1_sel:DWORD
	v_bfrev_b32_e32 v1, 1
	s_and_saveexec_b64 s[38:39], vcc
	s_cbranch_execz .LBB388_381
; %bb.378:                              ;   in Loop: Header=BB388_13 Depth=1
	v_and_b32_e32 v2, 0x7f, v56
	v_cmp_ne_u32_e32 vcc, s44, v2
	v_mov_b32_e32 v1, 0x7f800001
	s_and_saveexec_b64 s[40:41], vcc
	s_cbranch_execz .LBB388_380
; %bb.379:                              ;   in Loop: Header=BB388_13 Depth=1
	v_and_b32_e32 v1, 7, v56
	v_lshrrev_b32_e32 v4, 3, v2
	v_cmp_gt_u32_e32 vcc, 8, v2
	v_ffbh_u32_e32 v2, v1
	v_min_u32_e32 v5, 32, v2
	v_subrev_u32_e32 v2, 28, v5
	v_lshlrev_b64 v[2:3], v2, v[56:57]
	v_sub_u32_e32 v3, 29, v5
	v_and_b32_e32 v2, 7, v2
	v_cndmask_b32_e32 v3, v4, v3, vcc
	v_cndmask_b32_e32 v1, v1, v2, vcc
	v_lshlrev_b32_e32 v2, 24, v56
	v_bfrev_b32_e32 v4, 60
	v_lshlrev_b32_e32 v1, 20, v1
	v_and_b32_e32 v2, 0x80000000, v2
	v_lshl_add_u32 v3, v3, 23, v4
	v_or3_b32 v1, v2, v3, v1
.LBB388_380:                            ;   in Loop: Header=BB388_13 Depth=1
	s_or_b64 exec, exec, s[40:41]
.LBB388_381:                            ;   in Loop: Header=BB388_13 Depth=1
	s_or_b64 exec, exec, s[38:39]
.LBB388_382:                            ;   in Loop: Header=BB388_13 Depth=1
	s_or_b64 exec, exec, s[36:37]
	v_mul_f32_e32 v1, v0, v1
	v_and_b32_e32 v2, 0x7f800000, v1
	v_cmp_ne_u32_e32 vcc, s45, v2
                                        ; implicit-def: $vgpr2
                                        ; kill: killed $vgpr2
	s_and_saveexec_b64 s[36:37], vcc
	s_xor_b64 vcc, exec, s[36:37]
	s_cbranch_execz .LBB388_384
; %bb.383:                              ;   in Loop: Header=BB388_13 Depth=1
	v_bfe_u32 v2, v1, 16, 1
	v_add3_u32 v1, v1, v2, s46
	buffer_store_dword v1, off, s[0:3], s32 offset:512 ; 4-byte Folded Spill
                                        ; implicit-def: $vgpr1
.LBB388_384:                            ;   in Loop: Header=BB388_13 Depth=1
	s_andn2_saveexec_b64 s[36:37], vcc
	s_cbranch_execz .LBB388_386
; %bb.385:                              ;   in Loop: Header=BB388_13 Depth=1
	v_or_b32_e32 v2, 0x10000, v1
	v_cmp_eq_u32_sdwa vcc, v1, v30 src0_sel:WORD_0 src1_sel:DWORD
	v_cndmask_b32_e32 v1, v2, v1, vcc
	buffer_store_dword v1, off, s[0:3], s32 offset:512 ; 4-byte Folded Spill
.LBB388_386:                            ;   in Loop: Header=BB388_13 Depth=1
	s_or_b64 exec, exec, s[36:37]
	v_lshrrev_b16_e32 v58, 8, v56
	v_cmp_ne_u16_e32 vcc, 0, v58
	v_mov_b32_e32 v1, 0
	s_and_saveexec_b64 s[36:37], vcc
	s_cbranch_execz .LBB388_392
; %bb.387:                              ;   in Loop: Header=BB388_13 Depth=1
	v_cmp_ne_u16_e32 vcc, s43, v58
	v_bfrev_b32_e32 v1, 1
	s_and_saveexec_b64 s[38:39], vcc
	s_cbranch_execz .LBB388_391
; %bb.388:                              ;   in Loop: Header=BB388_13 Depth=1
	v_and_b32_e32 v2, 0x7f, v58
	v_cmp_ne_u32_e32 vcc, s44, v2
	v_mov_b32_e32 v1, 0x7f800001
	s_and_saveexec_b64 s[40:41], vcc
	s_cbranch_execz .LBB388_390
; %bb.389:                              ;   in Loop: Header=BB388_13 Depth=1
	v_and_b32_e32 v1, 7, v58
	v_lshrrev_b32_e32 v4, 3, v2
	v_cmp_gt_u32_e32 vcc, 8, v2
	v_ffbh_u32_e32 v2, v1
	v_min_u32_e32 v5, 32, v2
	v_subrev_u32_e32 v2, 28, v5
	v_lshlrev_b64 v[2:3], v2, v[58:59]
	v_sub_u32_e32 v3, 29, v5
	v_and_b32_e32 v2, 7, v2
	v_cndmask_b32_e32 v3, v4, v3, vcc
	v_cndmask_b32_e32 v1, v1, v2, vcc
	v_lshlrev_b32_e32 v2, 16, v56
	v_bfrev_b32_e32 v4, 60
	v_lshlrev_b32_e32 v1, 20, v1
	v_and_b32_e32 v2, 0x80000000, v2
	v_lshl_add_u32 v3, v3, 23, v4
	v_or3_b32 v1, v2, v3, v1
.LBB388_390:                            ;   in Loop: Header=BB388_13 Depth=1
	s_or_b64 exec, exec, s[40:41]
.LBB388_391:                            ;   in Loop: Header=BB388_13 Depth=1
	s_or_b64 exec, exec, s[38:39]
.LBB388_392:                            ;   in Loop: Header=BB388_13 Depth=1
	s_or_b64 exec, exec, s[36:37]
	v_mul_f32_e32 v1, v0, v1
	v_and_b32_e32 v2, 0x7f800000, v1
	v_cmp_ne_u32_e32 vcc, s45, v2
                                        ; implicit-def: $vgpr2
                                        ; kill: killed $vgpr2
	s_and_saveexec_b64 s[36:37], vcc
	s_xor_b64 vcc, exec, s[36:37]
	s_cbranch_execz .LBB388_394
; %bb.393:                              ;   in Loop: Header=BB388_13 Depth=1
	v_bfe_u32 v2, v1, 16, 1
	v_add3_u32 v1, v1, v2, s46
	buffer_store_dword v1, off, s[0:3], s32 offset:520 ; 4-byte Folded Spill
                                        ; implicit-def: $vgpr1
.LBB388_394:                            ;   in Loop: Header=BB388_13 Depth=1
	s_andn2_saveexec_b64 s[36:37], vcc
	s_cbranch_execz .LBB388_396
; %bb.395:                              ;   in Loop: Header=BB388_13 Depth=1
	v_or_b32_e32 v2, 0x10000, v1
	v_cmp_eq_u32_sdwa vcc, v1, v30 src0_sel:WORD_0 src1_sel:DWORD
	v_cndmask_b32_e32 v1, v2, v1, vcc
	buffer_store_dword v1, off, s[0:3], s32 offset:520 ; 4-byte Folded Spill
.LBB388_396:                            ;   in Loop: Header=BB388_13 Depth=1
	s_or_b64 exec, exec, s[36:37]
	v_lshrrev_b32_e32 v58, 16, v56
	v_cmp_ne_u16_sdwa vcc, v58, v30 src0_sel:BYTE_0 src1_sel:DWORD
	v_mov_b32_e32 v1, 0
	s_and_saveexec_b64 s[36:37], vcc
	s_cbranch_execz .LBB388_402
; %bb.397:                              ;   in Loop: Header=BB388_13 Depth=1
	v_cmp_ne_u16_sdwa vcc, v58, s43 src0_sel:BYTE_0 src1_sel:DWORD
	v_bfrev_b32_e32 v1, 1
	s_and_saveexec_b64 s[38:39], vcc
	s_cbranch_execz .LBB388_401
; %bb.398:                              ;   in Loop: Header=BB388_13 Depth=1
	v_bfe_u32 v2, v56, 16, 7
	v_cmp_ne_u32_e32 vcc, s44, v2
	v_mov_b32_e32 v1, 0x7f800001
	s_and_saveexec_b64 s[40:41], vcc
	s_cbranch_execz .LBB388_400
; %bb.399:                              ;   in Loop: Header=BB388_13 Depth=1
	v_and_b32_e32 v1, 7, v58
	v_lshrrev_b32_e32 v4, 3, v2
	v_cmp_gt_u32_e32 vcc, 8, v2
	v_ffbh_u32_e32 v2, v1
	v_min_u32_e32 v5, 32, v2
	v_subrev_u32_e32 v2, 28, v5
	v_lshlrev_b64 v[2:3], v2, v[58:59]
	v_sub_u32_e32 v3, 29, v5
	v_and_b32_e32 v2, 7, v2
	v_cndmask_b32_e32 v3, v4, v3, vcc
	v_cndmask_b32_e32 v1, v1, v2, vcc
	v_lshlrev_b32_e32 v2, 24, v58
	v_bfrev_b32_e32 v4, 60
	v_lshlrev_b32_e32 v1, 20, v1
	v_and_b32_e32 v2, 0x80000000, v2
	v_lshl_add_u32 v3, v3, 23, v4
	v_or3_b32 v1, v2, v3, v1
.LBB388_400:                            ;   in Loop: Header=BB388_13 Depth=1
	s_or_b64 exec, exec, s[40:41]
.LBB388_401:                            ;   in Loop: Header=BB388_13 Depth=1
	s_or_b64 exec, exec, s[38:39]
.LBB388_402:                            ;   in Loop: Header=BB388_13 Depth=1
	s_or_b64 exec, exec, s[36:37]
	v_mul_f32_e32 v1, v0, v1
	v_and_b32_e32 v2, 0x7f800000, v1
	v_cmp_ne_u32_e32 vcc, s45, v2
                                        ; implicit-def: $vgpr2
                                        ; kill: killed $vgpr2
	s_and_saveexec_b64 s[36:37], vcc
	s_xor_b64 vcc, exec, s[36:37]
	s_cbranch_execz .LBB388_404
; %bb.403:                              ;   in Loop: Header=BB388_13 Depth=1
	v_bfe_u32 v2, v1, 16, 1
	v_add3_u32 v1, v1, v2, s46
	buffer_store_dword v1, off, s[0:3], s32 offset:528 ; 4-byte Folded Spill
                                        ; implicit-def: $vgpr1
.LBB388_404:                            ;   in Loop: Header=BB388_13 Depth=1
	s_andn2_saveexec_b64 s[36:37], vcc
	s_cbranch_execz .LBB388_406
; %bb.405:                              ;   in Loop: Header=BB388_13 Depth=1
	v_or_b32_e32 v2, 0x10000, v1
	v_cmp_eq_u32_sdwa vcc, v1, v30 src0_sel:WORD_0 src1_sel:DWORD
	v_cndmask_b32_e32 v1, v2, v1, vcc
	buffer_store_dword v1, off, s[0:3], s32 offset:528 ; 4-byte Folded Spill
.LBB388_406:                            ;   in Loop: Header=BB388_13 Depth=1
	s_or_b64 exec, exec, s[36:37]
	v_cmp_lt_u32_e32 vcc, s47, v56
	v_mov_b32_e32 v1, 0
	s_and_saveexec_b64 s[36:37], vcc
	s_cbranch_execz .LBB388_412
; %bb.407:                              ;   in Loop: Header=BB388_13 Depth=1
	v_lshrrev_b32_e32 v58, 24, v56
	v_cmp_ne_u32_e32 vcc, s43, v58
	v_bfrev_b32_e32 v1, 1
	s_and_saveexec_b64 s[38:39], vcc
	s_cbranch_execz .LBB388_411
; %bb.408:                              ;   in Loop: Header=BB388_13 Depth=1
	v_bfe_u32 v2, v56, 24, 7
	v_cmp_ne_u32_e32 vcc, s44, v2
	v_mov_b32_e32 v1, 0x7f800001
	s_and_saveexec_b64 s[40:41], vcc
	s_cbranch_execz .LBB388_410
; %bb.409:                              ;   in Loop: Header=BB388_13 Depth=1
	v_and_b32_e32 v1, 7, v58
	v_lshrrev_b32_e32 v4, 3, v2
	v_cmp_gt_u32_e32 vcc, 8, v2
	v_ffbh_u32_e32 v2, v1
	v_min_u32_e32 v5, 32, v2
	v_subrev_u32_e32 v2, 28, v5
	v_lshlrev_b64 v[2:3], v2, v[58:59]
	v_sub_u32_e32 v3, 29, v5
	v_and_b32_e32 v2, 7, v2
	v_cndmask_b32_e32 v3, v4, v3, vcc
	v_cndmask_b32_e32 v1, v1, v2, vcc
	v_lshlrev_b32_e32 v2, 24, v58
	v_bfrev_b32_e32 v4, 60
	v_lshlrev_b32_e32 v1, 20, v1
	v_and_b32_e32 v2, 0x80000000, v2
	v_lshl_add_u32 v3, v3, 23, v4
	v_or3_b32 v1, v2, v3, v1
.LBB388_410:                            ;   in Loop: Header=BB388_13 Depth=1
	s_or_b64 exec, exec, s[40:41]
.LBB388_411:                            ;   in Loop: Header=BB388_13 Depth=1
	s_or_b64 exec, exec, s[38:39]
.LBB388_412:                            ;   in Loop: Header=BB388_13 Depth=1
	s_or_b64 exec, exec, s[36:37]
	v_mul_f32_e32 v1, v0, v1
	v_and_b32_e32 v2, 0x7f800000, v1
	v_cmp_ne_u32_e32 vcc, s45, v2
                                        ; implicit-def: $vgpr2
                                        ; kill: killed $vgpr2
	s_and_saveexec_b64 s[36:37], vcc
	s_xor_b64 vcc, exec, s[36:37]
	s_cbranch_execz .LBB388_414
; %bb.413:                              ;   in Loop: Header=BB388_13 Depth=1
	v_bfe_u32 v2, v1, 16, 1
	v_add3_u32 v1, v1, v2, s46
	buffer_store_dword v1, off, s[0:3], s32 offset:536 ; 4-byte Folded Spill
                                        ; implicit-def: $vgpr1
.LBB388_414:                            ;   in Loop: Header=BB388_13 Depth=1
	s_andn2_saveexec_b64 s[36:37], vcc
	s_cbranch_execz .LBB388_416
; %bb.415:                              ;   in Loop: Header=BB388_13 Depth=1
	v_or_b32_e32 v2, 0x10000, v1
	v_cmp_eq_u32_sdwa vcc, v1, v30 src0_sel:WORD_0 src1_sel:DWORD
	v_cndmask_b32_e32 v1, v2, v1, vcc
	buffer_store_dword v1, off, s[0:3], s32 offset:536 ; 4-byte Folded Spill
.LBB388_416:                            ;   in Loop: Header=BB388_13 Depth=1
	s_or_b64 exec, exec, s[36:37]
	flat_load_dword v56, v[46:47] offset:2560
	v_mov_b32_e32 v1, 0
	s_waitcnt vmcnt(0) lgkmcnt(0)
	v_cmp_ne_u16_sdwa vcc, v56, v30 src0_sel:BYTE_0 src1_sel:DWORD
	s_and_saveexec_b64 s[36:37], vcc
	s_cbranch_execz .LBB388_422
; %bb.417:                              ;   in Loop: Header=BB388_13 Depth=1
	v_cmp_ne_u16_sdwa vcc, v56, s43 src0_sel:BYTE_0 src1_sel:DWORD
	v_bfrev_b32_e32 v1, 1
	s_and_saveexec_b64 s[38:39], vcc
	s_cbranch_execz .LBB388_421
; %bb.418:                              ;   in Loop: Header=BB388_13 Depth=1
	v_and_b32_e32 v2, 0x7f, v56
	v_cmp_ne_u32_e32 vcc, s44, v2
	v_mov_b32_e32 v1, 0x7f800001
	s_and_saveexec_b64 s[40:41], vcc
	s_cbranch_execz .LBB388_420
; %bb.419:                              ;   in Loop: Header=BB388_13 Depth=1
	v_and_b32_e32 v1, 7, v56
	v_lshrrev_b32_e32 v4, 3, v2
	v_cmp_gt_u32_e32 vcc, 8, v2
	v_ffbh_u32_e32 v2, v1
	v_min_u32_e32 v5, 32, v2
	v_subrev_u32_e32 v2, 28, v5
	v_lshlrev_b64 v[2:3], v2, v[56:57]
	v_sub_u32_e32 v3, 29, v5
	v_and_b32_e32 v2, 7, v2
	v_cndmask_b32_e32 v3, v4, v3, vcc
	v_cndmask_b32_e32 v1, v1, v2, vcc
	v_lshlrev_b32_e32 v2, 24, v56
	v_bfrev_b32_e32 v4, 60
	v_lshlrev_b32_e32 v1, 20, v1
	v_and_b32_e32 v2, 0x80000000, v2
	v_lshl_add_u32 v3, v3, 23, v4
	v_or3_b32 v1, v2, v3, v1
.LBB388_420:                            ;   in Loop: Header=BB388_13 Depth=1
	s_or_b64 exec, exec, s[40:41]
.LBB388_421:                            ;   in Loop: Header=BB388_13 Depth=1
	s_or_b64 exec, exec, s[38:39]
.LBB388_422:                            ;   in Loop: Header=BB388_13 Depth=1
	s_or_b64 exec, exec, s[36:37]
	v_mul_f32_e32 v1, v0, v1
	v_and_b32_e32 v2, 0x7f800000, v1
	v_cmp_ne_u32_e32 vcc, s45, v2
                                        ; implicit-def: $vgpr2
                                        ; kill: killed $vgpr2
	s_and_saveexec_b64 s[36:37], vcc
	s_xor_b64 vcc, exec, s[36:37]
	s_cbranch_execz .LBB388_424
; %bb.423:                              ;   in Loop: Header=BB388_13 Depth=1
	v_bfe_u32 v2, v1, 16, 1
	v_add3_u32 v1, v1, v2, s46
	buffer_store_dword v1, off, s[0:3], s32 offset:552 ; 4-byte Folded Spill
                                        ; implicit-def: $vgpr1
.LBB388_424:                            ;   in Loop: Header=BB388_13 Depth=1
	s_andn2_saveexec_b64 s[36:37], vcc
	s_cbranch_execz .LBB388_426
; %bb.425:                              ;   in Loop: Header=BB388_13 Depth=1
	v_or_b32_e32 v2, 0x10000, v1
	v_cmp_eq_u32_sdwa vcc, v1, v30 src0_sel:WORD_0 src1_sel:DWORD
	v_cndmask_b32_e32 v1, v2, v1, vcc
	buffer_store_dword v1, off, s[0:3], s32 offset:552 ; 4-byte Folded Spill
.LBB388_426:                            ;   in Loop: Header=BB388_13 Depth=1
	s_or_b64 exec, exec, s[36:37]
	v_lshrrev_b16_e32 v58, 8, v56
	v_cmp_ne_u16_e32 vcc, 0, v58
	v_mov_b32_e32 v1, 0
	s_and_saveexec_b64 s[36:37], vcc
	s_cbranch_execz .LBB388_432
; %bb.427:                              ;   in Loop: Header=BB388_13 Depth=1
	v_cmp_ne_u16_e32 vcc, s43, v58
	v_bfrev_b32_e32 v1, 1
	s_and_saveexec_b64 s[38:39], vcc
	s_cbranch_execz .LBB388_431
; %bb.428:                              ;   in Loop: Header=BB388_13 Depth=1
	v_and_b32_e32 v2, 0x7f, v58
	v_cmp_ne_u32_e32 vcc, s44, v2
	v_mov_b32_e32 v1, 0x7f800001
	s_and_saveexec_b64 s[40:41], vcc
	s_cbranch_execz .LBB388_430
; %bb.429:                              ;   in Loop: Header=BB388_13 Depth=1
	v_and_b32_e32 v1, 7, v58
	v_lshrrev_b32_e32 v4, 3, v2
	v_cmp_gt_u32_e32 vcc, 8, v2
	v_ffbh_u32_e32 v2, v1
	v_min_u32_e32 v5, 32, v2
	v_subrev_u32_e32 v2, 28, v5
	v_lshlrev_b64 v[2:3], v2, v[58:59]
	v_sub_u32_e32 v3, 29, v5
	v_and_b32_e32 v2, 7, v2
	v_cndmask_b32_e32 v3, v4, v3, vcc
	v_cndmask_b32_e32 v1, v1, v2, vcc
	v_lshlrev_b32_e32 v2, 16, v56
	v_bfrev_b32_e32 v4, 60
	v_lshlrev_b32_e32 v1, 20, v1
	v_and_b32_e32 v2, 0x80000000, v2
	v_lshl_add_u32 v3, v3, 23, v4
	v_or3_b32 v1, v2, v3, v1
.LBB388_430:                            ;   in Loop: Header=BB388_13 Depth=1
	s_or_b64 exec, exec, s[40:41]
.LBB388_431:                            ;   in Loop: Header=BB388_13 Depth=1
	s_or_b64 exec, exec, s[38:39]
.LBB388_432:                            ;   in Loop: Header=BB388_13 Depth=1
	s_or_b64 exec, exec, s[36:37]
	v_mul_f32_e32 v1, v0, v1
	v_and_b32_e32 v2, 0x7f800000, v1
	v_cmp_ne_u32_e32 vcc, s45, v2
                                        ; implicit-def: $vgpr2
                                        ; kill: killed $vgpr2
	s_and_saveexec_b64 s[36:37], vcc
	s_xor_b64 vcc, exec, s[36:37]
	s_cbranch_execz .LBB388_434
; %bb.433:                              ;   in Loop: Header=BB388_13 Depth=1
	v_bfe_u32 v2, v1, 16, 1
	v_add3_u32 v1, v1, v2, s46
	buffer_store_dword v1, off, s[0:3], s32 offset:560 ; 4-byte Folded Spill
                                        ; implicit-def: $vgpr1
.LBB388_434:                            ;   in Loop: Header=BB388_13 Depth=1
	s_andn2_saveexec_b64 s[36:37], vcc
	s_cbranch_execz .LBB388_436
; %bb.435:                              ;   in Loop: Header=BB388_13 Depth=1
	v_or_b32_e32 v2, 0x10000, v1
	v_cmp_eq_u32_sdwa vcc, v1, v30 src0_sel:WORD_0 src1_sel:DWORD
	v_cndmask_b32_e32 v1, v2, v1, vcc
	buffer_store_dword v1, off, s[0:3], s32 offset:560 ; 4-byte Folded Spill
.LBB388_436:                            ;   in Loop: Header=BB388_13 Depth=1
	s_or_b64 exec, exec, s[36:37]
	v_lshrrev_b32_e32 v58, 16, v56
	v_cmp_ne_u16_sdwa vcc, v58, v30 src0_sel:BYTE_0 src1_sel:DWORD
	v_mov_b32_e32 v1, 0
	s_and_saveexec_b64 s[36:37], vcc
	s_cbranch_execz .LBB388_442
; %bb.437:                              ;   in Loop: Header=BB388_13 Depth=1
	v_cmp_ne_u16_sdwa vcc, v58, s43 src0_sel:BYTE_0 src1_sel:DWORD
	v_bfrev_b32_e32 v1, 1
	s_and_saveexec_b64 s[38:39], vcc
	s_cbranch_execz .LBB388_441
; %bb.438:                              ;   in Loop: Header=BB388_13 Depth=1
	v_bfe_u32 v2, v56, 16, 7
	v_cmp_ne_u32_e32 vcc, s44, v2
	v_mov_b32_e32 v1, 0x7f800001
	s_and_saveexec_b64 s[40:41], vcc
	s_cbranch_execz .LBB388_440
; %bb.439:                              ;   in Loop: Header=BB388_13 Depth=1
	v_and_b32_e32 v1, 7, v58
	v_lshrrev_b32_e32 v4, 3, v2
	v_cmp_gt_u32_e32 vcc, 8, v2
	v_ffbh_u32_e32 v2, v1
	v_min_u32_e32 v5, 32, v2
	v_subrev_u32_e32 v2, 28, v5
	v_lshlrev_b64 v[2:3], v2, v[58:59]
	v_sub_u32_e32 v3, 29, v5
	v_and_b32_e32 v2, 7, v2
	v_cndmask_b32_e32 v3, v4, v3, vcc
	v_cndmask_b32_e32 v1, v1, v2, vcc
	v_lshlrev_b32_e32 v2, 24, v58
	v_bfrev_b32_e32 v4, 60
	v_lshlrev_b32_e32 v1, 20, v1
	v_and_b32_e32 v2, 0x80000000, v2
	v_lshl_add_u32 v3, v3, 23, v4
	v_or3_b32 v1, v2, v3, v1
.LBB388_440:                            ;   in Loop: Header=BB388_13 Depth=1
	s_or_b64 exec, exec, s[40:41]
.LBB388_441:                            ;   in Loop: Header=BB388_13 Depth=1
	s_or_b64 exec, exec, s[38:39]
.LBB388_442:                            ;   in Loop: Header=BB388_13 Depth=1
	s_or_b64 exec, exec, s[36:37]
	v_mul_f32_e32 v1, v0, v1
	v_and_b32_e32 v2, 0x7f800000, v1
	v_cmp_ne_u32_e32 vcc, s45, v2
                                        ; implicit-def: $vgpr2
                                        ; kill: killed $vgpr2
	s_and_saveexec_b64 s[36:37], vcc
	s_xor_b64 vcc, exec, s[36:37]
	s_cbranch_execz .LBB388_444
; %bb.443:                              ;   in Loop: Header=BB388_13 Depth=1
	v_bfe_u32 v2, v1, 16, 1
	v_add3_u32 v1, v1, v2, s46
	buffer_store_dword v1, off, s[0:3], s32 offset:568 ; 4-byte Folded Spill
                                        ; implicit-def: $vgpr1
.LBB388_444:                            ;   in Loop: Header=BB388_13 Depth=1
	s_andn2_saveexec_b64 s[36:37], vcc
	s_cbranch_execz .LBB388_446
; %bb.445:                              ;   in Loop: Header=BB388_13 Depth=1
	v_or_b32_e32 v2, 0x10000, v1
	v_cmp_eq_u32_sdwa vcc, v1, v30 src0_sel:WORD_0 src1_sel:DWORD
	v_cndmask_b32_e32 v1, v2, v1, vcc
	buffer_store_dword v1, off, s[0:3], s32 offset:568 ; 4-byte Folded Spill
.LBB388_446:                            ;   in Loop: Header=BB388_13 Depth=1
	s_or_b64 exec, exec, s[36:37]
	v_cmp_lt_u32_e32 vcc, s47, v56
	v_mov_b32_e32 v1, 0
	s_and_saveexec_b64 s[36:37], vcc
	s_cbranch_execz .LBB388_452
; %bb.447:                              ;   in Loop: Header=BB388_13 Depth=1
	v_lshrrev_b32_e32 v58, 24, v56
	v_cmp_ne_u32_e32 vcc, s43, v58
	v_bfrev_b32_e32 v1, 1
	s_and_saveexec_b64 s[38:39], vcc
	s_cbranch_execz .LBB388_451
; %bb.448:                              ;   in Loop: Header=BB388_13 Depth=1
	v_bfe_u32 v2, v56, 24, 7
	v_cmp_ne_u32_e32 vcc, s44, v2
	v_mov_b32_e32 v1, 0x7f800001
	s_and_saveexec_b64 s[40:41], vcc
	s_cbranch_execz .LBB388_450
; %bb.449:                              ;   in Loop: Header=BB388_13 Depth=1
	v_and_b32_e32 v1, 7, v58
	v_lshrrev_b32_e32 v4, 3, v2
	v_cmp_gt_u32_e32 vcc, 8, v2
	v_ffbh_u32_e32 v2, v1
	v_min_u32_e32 v5, 32, v2
	v_subrev_u32_e32 v2, 28, v5
	v_lshlrev_b64 v[2:3], v2, v[58:59]
	v_sub_u32_e32 v3, 29, v5
	v_and_b32_e32 v2, 7, v2
	v_cndmask_b32_e32 v3, v4, v3, vcc
	v_cndmask_b32_e32 v1, v1, v2, vcc
	v_lshlrev_b32_e32 v2, 24, v58
	v_bfrev_b32_e32 v4, 60
	v_lshlrev_b32_e32 v1, 20, v1
	v_and_b32_e32 v2, 0x80000000, v2
	v_lshl_add_u32 v3, v3, 23, v4
	v_or3_b32 v1, v2, v3, v1
.LBB388_450:                            ;   in Loop: Header=BB388_13 Depth=1
	s_or_b64 exec, exec, s[40:41]
.LBB388_451:                            ;   in Loop: Header=BB388_13 Depth=1
	s_or_b64 exec, exec, s[38:39]
.LBB388_452:                            ;   in Loop: Header=BB388_13 Depth=1
	s_or_b64 exec, exec, s[36:37]
	v_mul_f32_e32 v1, v0, v1
	v_and_b32_e32 v2, 0x7f800000, v1
	v_cmp_ne_u32_e32 vcc, s45, v2
                                        ; implicit-def: $vgpr2
                                        ; kill: killed $vgpr2
	s_and_saveexec_b64 s[36:37], vcc
	s_xor_b64 vcc, exec, s[36:37]
	s_cbranch_execz .LBB388_454
; %bb.453:                              ;   in Loop: Header=BB388_13 Depth=1
	v_bfe_u32 v2, v1, 16, 1
	v_add3_u32 v1, v1, v2, s46
	buffer_store_dword v1, off, s[0:3], s32 offset:576 ; 4-byte Folded Spill
                                        ; implicit-def: $vgpr1
.LBB388_454:                            ;   in Loop: Header=BB388_13 Depth=1
	s_andn2_saveexec_b64 s[36:37], vcc
	s_cbranch_execz .LBB388_456
; %bb.455:                              ;   in Loop: Header=BB388_13 Depth=1
	v_or_b32_e32 v2, 0x10000, v1
	v_cmp_eq_u32_sdwa vcc, v1, v30 src0_sel:WORD_0 src1_sel:DWORD
	v_cndmask_b32_e32 v1, v2, v1, vcc
	buffer_store_dword v1, off, s[0:3], s32 offset:576 ; 4-byte Folded Spill
.LBB388_456:                            ;   in Loop: Header=BB388_13 Depth=1
	s_or_b64 exec, exec, s[36:37]
	flat_load_dword v56, v[46:47] offset:2568
	v_mov_b32_e32 v1, 0
	s_waitcnt vmcnt(0) lgkmcnt(0)
	v_cmp_ne_u16_sdwa vcc, v56, v30 src0_sel:BYTE_0 src1_sel:DWORD
	s_and_saveexec_b64 s[36:37], vcc
	s_cbranch_execz .LBB388_462
; %bb.457:                              ;   in Loop: Header=BB388_13 Depth=1
	v_cmp_ne_u16_sdwa vcc, v56, s43 src0_sel:BYTE_0 src1_sel:DWORD
	v_bfrev_b32_e32 v1, 1
	s_and_saveexec_b64 s[38:39], vcc
	s_cbranch_execz .LBB388_461
; %bb.458:                              ;   in Loop: Header=BB388_13 Depth=1
	v_and_b32_e32 v2, 0x7f, v56
	v_cmp_ne_u32_e32 vcc, s44, v2
	v_mov_b32_e32 v1, 0x7f800001
	s_and_saveexec_b64 s[40:41], vcc
	s_cbranch_execz .LBB388_460
; %bb.459:                              ;   in Loop: Header=BB388_13 Depth=1
	v_and_b32_e32 v1, 7, v56
	v_lshrrev_b32_e32 v4, 3, v2
	v_cmp_gt_u32_e32 vcc, 8, v2
	v_ffbh_u32_e32 v2, v1
	v_min_u32_e32 v5, 32, v2
	v_subrev_u32_e32 v2, 28, v5
	v_lshlrev_b64 v[2:3], v2, v[56:57]
	v_sub_u32_e32 v3, 29, v5
	v_and_b32_e32 v2, 7, v2
	v_cndmask_b32_e32 v3, v4, v3, vcc
	v_cndmask_b32_e32 v1, v1, v2, vcc
	v_lshlrev_b32_e32 v2, 24, v56
	v_bfrev_b32_e32 v4, 60
	v_lshlrev_b32_e32 v1, 20, v1
	v_and_b32_e32 v2, 0x80000000, v2
	v_lshl_add_u32 v3, v3, 23, v4
	v_or3_b32 v1, v2, v3, v1
.LBB388_460:                            ;   in Loop: Header=BB388_13 Depth=1
	s_or_b64 exec, exec, s[40:41]
.LBB388_461:                            ;   in Loop: Header=BB388_13 Depth=1
	s_or_b64 exec, exec, s[38:39]
.LBB388_462:                            ;   in Loop: Header=BB388_13 Depth=1
	s_or_b64 exec, exec, s[36:37]
	v_mul_f32_e32 v1, v0, v1
	v_and_b32_e32 v2, 0x7f800000, v1
	v_cmp_ne_u32_e32 vcc, s45, v2
                                        ; implicit-def: $vgpr2
                                        ; kill: killed $vgpr2
	s_and_saveexec_b64 s[36:37], vcc
	s_xor_b64 vcc, exec, s[36:37]
	s_cbranch_execz .LBB388_464
; %bb.463:                              ;   in Loop: Header=BB388_13 Depth=1
	v_bfe_u32 v2, v1, 16, 1
	v_add3_u32 v1, v1, v2, s46
	buffer_store_dword v1, off, s[0:3], s32 offset:584 ; 4-byte Folded Spill
                                        ; implicit-def: $vgpr1
.LBB388_464:                            ;   in Loop: Header=BB388_13 Depth=1
	s_andn2_saveexec_b64 s[36:37], vcc
	s_cbranch_execz .LBB388_466
; %bb.465:                              ;   in Loop: Header=BB388_13 Depth=1
	v_or_b32_e32 v2, 0x10000, v1
	v_cmp_eq_u32_sdwa vcc, v1, v30 src0_sel:WORD_0 src1_sel:DWORD
	v_cndmask_b32_e32 v1, v2, v1, vcc
	buffer_store_dword v1, off, s[0:3], s32 offset:584 ; 4-byte Folded Spill
.LBB388_466:                            ;   in Loop: Header=BB388_13 Depth=1
	s_or_b64 exec, exec, s[36:37]
	v_lshrrev_b16_e32 v58, 8, v56
	v_cmp_ne_u16_e32 vcc, 0, v58
	v_mov_b32_e32 v1, 0
	s_and_saveexec_b64 s[36:37], vcc
	s_cbranch_execz .LBB388_472
; %bb.467:                              ;   in Loop: Header=BB388_13 Depth=1
	v_cmp_ne_u16_e32 vcc, s43, v58
	v_bfrev_b32_e32 v1, 1
	s_and_saveexec_b64 s[38:39], vcc
	s_cbranch_execz .LBB388_471
; %bb.468:                              ;   in Loop: Header=BB388_13 Depth=1
	v_and_b32_e32 v2, 0x7f, v58
	v_cmp_ne_u32_e32 vcc, s44, v2
	v_mov_b32_e32 v1, 0x7f800001
	s_and_saveexec_b64 s[40:41], vcc
	s_cbranch_execz .LBB388_470
; %bb.469:                              ;   in Loop: Header=BB388_13 Depth=1
	v_and_b32_e32 v1, 7, v58
	v_lshrrev_b32_e32 v4, 3, v2
	v_cmp_gt_u32_e32 vcc, 8, v2
	v_ffbh_u32_e32 v2, v1
	v_min_u32_e32 v5, 32, v2
	v_subrev_u32_e32 v2, 28, v5
	v_lshlrev_b64 v[2:3], v2, v[58:59]
	v_sub_u32_e32 v3, 29, v5
	v_and_b32_e32 v2, 7, v2
	v_cndmask_b32_e32 v3, v4, v3, vcc
	v_cndmask_b32_e32 v1, v1, v2, vcc
	v_lshlrev_b32_e32 v2, 16, v56
	v_bfrev_b32_e32 v4, 60
	v_lshlrev_b32_e32 v1, 20, v1
	v_and_b32_e32 v2, 0x80000000, v2
	v_lshl_add_u32 v3, v3, 23, v4
	v_or3_b32 v1, v2, v3, v1
.LBB388_470:                            ;   in Loop: Header=BB388_13 Depth=1
	s_or_b64 exec, exec, s[40:41]
.LBB388_471:                            ;   in Loop: Header=BB388_13 Depth=1
	s_or_b64 exec, exec, s[38:39]
.LBB388_472:                            ;   in Loop: Header=BB388_13 Depth=1
	s_or_b64 exec, exec, s[36:37]
	v_mul_f32_e32 v1, v0, v1
	v_and_b32_e32 v2, 0x7f800000, v1
	v_cmp_ne_u32_e32 vcc, s45, v2
                                        ; implicit-def: $vgpr2
                                        ; kill: killed $vgpr2
	s_and_saveexec_b64 s[36:37], vcc
	s_xor_b64 vcc, exec, s[36:37]
	s_cbranch_execz .LBB388_474
; %bb.473:                              ;   in Loop: Header=BB388_13 Depth=1
	v_bfe_u32 v2, v1, 16, 1
	v_add3_u32 v1, v1, v2, s46
	buffer_store_dword v1, off, s[0:3], s32 offset:588 ; 4-byte Folded Spill
                                        ; implicit-def: $vgpr1
.LBB388_474:                            ;   in Loop: Header=BB388_13 Depth=1
	s_andn2_saveexec_b64 s[36:37], vcc
	s_cbranch_execz .LBB388_476
; %bb.475:                              ;   in Loop: Header=BB388_13 Depth=1
	v_or_b32_e32 v2, 0x10000, v1
	v_cmp_eq_u32_sdwa vcc, v1, v30 src0_sel:WORD_0 src1_sel:DWORD
	v_cndmask_b32_e32 v1, v2, v1, vcc
	buffer_store_dword v1, off, s[0:3], s32 offset:588 ; 4-byte Folded Spill
.LBB388_476:                            ;   in Loop: Header=BB388_13 Depth=1
	s_or_b64 exec, exec, s[36:37]
	v_lshrrev_b32_e32 v58, 16, v56
	v_cmp_ne_u16_sdwa vcc, v58, v30 src0_sel:BYTE_0 src1_sel:DWORD
	v_mov_b32_e32 v1, 0
	s_and_saveexec_b64 s[36:37], vcc
	s_cbranch_execz .LBB388_482
; %bb.477:                              ;   in Loop: Header=BB388_13 Depth=1
	v_cmp_ne_u16_sdwa vcc, v58, s43 src0_sel:BYTE_0 src1_sel:DWORD
	v_bfrev_b32_e32 v1, 1
	s_and_saveexec_b64 s[38:39], vcc
	s_cbranch_execz .LBB388_481
; %bb.478:                              ;   in Loop: Header=BB388_13 Depth=1
	v_bfe_u32 v2, v56, 16, 7
	v_cmp_ne_u32_e32 vcc, s44, v2
	v_mov_b32_e32 v1, 0x7f800001
	s_and_saveexec_b64 s[40:41], vcc
	s_cbranch_execz .LBB388_480
; %bb.479:                              ;   in Loop: Header=BB388_13 Depth=1
	v_and_b32_e32 v1, 7, v58
	v_lshrrev_b32_e32 v4, 3, v2
	v_cmp_gt_u32_e32 vcc, 8, v2
	v_ffbh_u32_e32 v2, v1
	v_min_u32_e32 v5, 32, v2
	v_subrev_u32_e32 v2, 28, v5
	v_lshlrev_b64 v[2:3], v2, v[58:59]
	v_sub_u32_e32 v3, 29, v5
	v_and_b32_e32 v2, 7, v2
	v_cndmask_b32_e32 v3, v4, v3, vcc
	v_cndmask_b32_e32 v1, v1, v2, vcc
	v_lshlrev_b32_e32 v2, 24, v58
	v_bfrev_b32_e32 v4, 60
	v_lshlrev_b32_e32 v1, 20, v1
	v_and_b32_e32 v2, 0x80000000, v2
	v_lshl_add_u32 v3, v3, 23, v4
	v_or3_b32 v1, v2, v3, v1
.LBB388_480:                            ;   in Loop: Header=BB388_13 Depth=1
	s_or_b64 exec, exec, s[40:41]
.LBB388_481:                            ;   in Loop: Header=BB388_13 Depth=1
	s_or_b64 exec, exec, s[38:39]
.LBB388_482:                            ;   in Loop: Header=BB388_13 Depth=1
	s_or_b64 exec, exec, s[36:37]
	v_mul_f32_e32 v1, v0, v1
	v_and_b32_e32 v2, 0x7f800000, v1
	v_cmp_ne_u32_e32 vcc, s45, v2
                                        ; implicit-def: $vgpr2
                                        ; kill: killed $vgpr2
	s_and_saveexec_b64 s[36:37], vcc
	s_xor_b64 vcc, exec, s[36:37]
	s_cbranch_execz .LBB388_484
; %bb.483:                              ;   in Loop: Header=BB388_13 Depth=1
	v_bfe_u32 v2, v1, 16, 1
	v_add3_u32 v1, v1, v2, s46
	buffer_store_dword v1, off, s[0:3], s32 offset:592 ; 4-byte Folded Spill
                                        ; implicit-def: $vgpr1
.LBB388_484:                            ;   in Loop: Header=BB388_13 Depth=1
	s_andn2_saveexec_b64 s[36:37], vcc
	s_cbranch_execz .LBB388_486
; %bb.485:                              ;   in Loop: Header=BB388_13 Depth=1
	v_or_b32_e32 v2, 0x10000, v1
	v_cmp_eq_u32_sdwa vcc, v1, v30 src0_sel:WORD_0 src1_sel:DWORD
	v_cndmask_b32_e32 v1, v2, v1, vcc
	buffer_store_dword v1, off, s[0:3], s32 offset:592 ; 4-byte Folded Spill
.LBB388_486:                            ;   in Loop: Header=BB388_13 Depth=1
	s_or_b64 exec, exec, s[36:37]
	v_cmp_lt_u32_e32 vcc, s47, v56
	v_mov_b32_e32 v1, 0
	s_and_saveexec_b64 s[36:37], vcc
	s_cbranch_execz .LBB388_492
; %bb.487:                              ;   in Loop: Header=BB388_13 Depth=1
	v_lshrrev_b32_e32 v58, 24, v56
	v_cmp_ne_u32_e32 vcc, s43, v58
	v_bfrev_b32_e32 v1, 1
	s_and_saveexec_b64 s[38:39], vcc
	s_cbranch_execz .LBB388_491
; %bb.488:                              ;   in Loop: Header=BB388_13 Depth=1
	v_bfe_u32 v2, v56, 24, 7
	v_cmp_ne_u32_e32 vcc, s44, v2
	v_mov_b32_e32 v1, 0x7f800001
	s_and_saveexec_b64 s[40:41], vcc
	s_cbranch_execz .LBB388_490
; %bb.489:                              ;   in Loop: Header=BB388_13 Depth=1
	v_and_b32_e32 v1, 7, v58
	v_lshrrev_b32_e32 v4, 3, v2
	v_cmp_gt_u32_e32 vcc, 8, v2
	v_ffbh_u32_e32 v2, v1
	v_min_u32_e32 v5, 32, v2
	v_subrev_u32_e32 v2, 28, v5
	v_lshlrev_b64 v[2:3], v2, v[58:59]
	v_sub_u32_e32 v3, 29, v5
	v_and_b32_e32 v2, 7, v2
	v_cndmask_b32_e32 v3, v4, v3, vcc
	v_cndmask_b32_e32 v1, v1, v2, vcc
	v_lshlrev_b32_e32 v2, 24, v58
	v_bfrev_b32_e32 v4, 60
	v_lshlrev_b32_e32 v1, 20, v1
	v_and_b32_e32 v2, 0x80000000, v2
	v_lshl_add_u32 v3, v3, 23, v4
	v_or3_b32 v1, v2, v3, v1
.LBB388_490:                            ;   in Loop: Header=BB388_13 Depth=1
	s_or_b64 exec, exec, s[40:41]
.LBB388_491:                            ;   in Loop: Header=BB388_13 Depth=1
	s_or_b64 exec, exec, s[38:39]
.LBB388_492:                            ;   in Loop: Header=BB388_13 Depth=1
	s_or_b64 exec, exec, s[36:37]
	v_mul_f32_e32 v1, v0, v1
	v_and_b32_e32 v2, 0x7f800000, v1
	v_cmp_ne_u32_e32 vcc, s45, v2
                                        ; implicit-def: $vgpr2
                                        ; kill: killed $vgpr2
	s_and_saveexec_b64 s[36:37], vcc
	s_xor_b64 vcc, exec, s[36:37]
	s_cbranch_execz .LBB388_494
; %bb.493:                              ;   in Loop: Header=BB388_13 Depth=1
	v_bfe_u32 v2, v1, 16, 1
	v_add3_u32 v1, v1, v2, s46
	buffer_store_dword v1, off, s[0:3], s32 offset:596 ; 4-byte Folded Spill
                                        ; implicit-def: $vgpr1
.LBB388_494:                            ;   in Loop: Header=BB388_13 Depth=1
	s_andn2_saveexec_b64 s[36:37], vcc
	s_cbranch_execz .LBB388_496
; %bb.495:                              ;   in Loop: Header=BB388_13 Depth=1
	v_or_b32_e32 v2, 0x10000, v1
	v_cmp_eq_u32_sdwa vcc, v1, v30 src0_sel:WORD_0 src1_sel:DWORD
	v_cndmask_b32_e32 v1, v2, v1, vcc
	buffer_store_dword v1, off, s[0:3], s32 offset:596 ; 4-byte Folded Spill
.LBB388_496:                            ;   in Loop: Header=BB388_13 Depth=1
	s_or_b64 exec, exec, s[36:37]
	flat_load_dword v56, v[46:47] offset:3072
	v_mov_b32_e32 v1, 0
	s_waitcnt vmcnt(0) lgkmcnt(0)
	v_cmp_ne_u16_sdwa vcc, v56, v30 src0_sel:BYTE_0 src1_sel:DWORD
	s_and_saveexec_b64 s[36:37], vcc
	s_cbranch_execz .LBB388_502
; %bb.497:                              ;   in Loop: Header=BB388_13 Depth=1
	v_cmp_ne_u16_sdwa vcc, v56, s43 src0_sel:BYTE_0 src1_sel:DWORD
	v_bfrev_b32_e32 v1, 1
	s_and_saveexec_b64 s[38:39], vcc
	s_cbranch_execz .LBB388_501
; %bb.498:                              ;   in Loop: Header=BB388_13 Depth=1
	v_and_b32_e32 v2, 0x7f, v56
	v_cmp_ne_u32_e32 vcc, s44, v2
	v_mov_b32_e32 v1, 0x7f800001
	s_and_saveexec_b64 s[40:41], vcc
	s_cbranch_execz .LBB388_500
; %bb.499:                              ;   in Loop: Header=BB388_13 Depth=1
	v_and_b32_e32 v1, 7, v56
	v_lshrrev_b32_e32 v4, 3, v2
	v_cmp_gt_u32_e32 vcc, 8, v2
	v_ffbh_u32_e32 v2, v1
	v_min_u32_e32 v5, 32, v2
	v_subrev_u32_e32 v2, 28, v5
	v_lshlrev_b64 v[2:3], v2, v[56:57]
	v_sub_u32_e32 v3, 29, v5
	v_and_b32_e32 v2, 7, v2
	v_cndmask_b32_e32 v3, v4, v3, vcc
	v_cndmask_b32_e32 v1, v1, v2, vcc
	v_lshlrev_b32_e32 v2, 24, v56
	v_bfrev_b32_e32 v4, 60
	v_lshlrev_b32_e32 v1, 20, v1
	v_and_b32_e32 v2, 0x80000000, v2
	v_lshl_add_u32 v3, v3, 23, v4
	v_or3_b32 v1, v2, v3, v1
.LBB388_500:                            ;   in Loop: Header=BB388_13 Depth=1
	s_or_b64 exec, exec, s[40:41]
.LBB388_501:                            ;   in Loop: Header=BB388_13 Depth=1
	s_or_b64 exec, exec, s[38:39]
.LBB388_502:                            ;   in Loop: Header=BB388_13 Depth=1
	s_or_b64 exec, exec, s[36:37]
	v_mul_f32_e32 v1, v0, v1
	v_and_b32_e32 v2, 0x7f800000, v1
	v_cmp_ne_u32_e32 vcc, s45, v2
                                        ; implicit-def: $vgpr2
                                        ; kill: killed $vgpr2
	s_and_saveexec_b64 s[36:37], vcc
	s_xor_b64 vcc, exec, s[36:37]
	s_cbranch_execz .LBB388_504
; %bb.503:                              ;   in Loop: Header=BB388_13 Depth=1
	v_bfe_u32 v2, v1, 16, 1
	v_add3_u32 v1, v1, v2, s46
	buffer_store_dword v1, off, s[0:3], s32 offset:600 ; 4-byte Folded Spill
                                        ; implicit-def: $vgpr1
.LBB388_504:                            ;   in Loop: Header=BB388_13 Depth=1
	s_andn2_saveexec_b64 s[36:37], vcc
	s_cbranch_execz .LBB388_506
; %bb.505:                              ;   in Loop: Header=BB388_13 Depth=1
	v_or_b32_e32 v2, 0x10000, v1
	v_cmp_eq_u32_sdwa vcc, v1, v30 src0_sel:WORD_0 src1_sel:DWORD
	v_cndmask_b32_e32 v1, v2, v1, vcc
	buffer_store_dword v1, off, s[0:3], s32 offset:600 ; 4-byte Folded Spill
.LBB388_506:                            ;   in Loop: Header=BB388_13 Depth=1
	s_or_b64 exec, exec, s[36:37]
	v_lshrrev_b16_e32 v58, 8, v56
	v_cmp_ne_u16_e32 vcc, 0, v58
	v_mov_b32_e32 v1, 0
	s_and_saveexec_b64 s[36:37], vcc
	s_cbranch_execz .LBB388_512
; %bb.507:                              ;   in Loop: Header=BB388_13 Depth=1
	v_cmp_ne_u16_e32 vcc, s43, v58
	v_bfrev_b32_e32 v1, 1
	s_and_saveexec_b64 s[38:39], vcc
	s_cbranch_execz .LBB388_511
; %bb.508:                              ;   in Loop: Header=BB388_13 Depth=1
	v_and_b32_e32 v2, 0x7f, v58
	v_cmp_ne_u32_e32 vcc, s44, v2
	v_mov_b32_e32 v1, 0x7f800001
	s_and_saveexec_b64 s[40:41], vcc
	s_cbranch_execz .LBB388_510
; %bb.509:                              ;   in Loop: Header=BB388_13 Depth=1
	v_and_b32_e32 v1, 7, v58
	v_lshrrev_b32_e32 v4, 3, v2
	v_cmp_gt_u32_e32 vcc, 8, v2
	v_ffbh_u32_e32 v2, v1
	v_min_u32_e32 v5, 32, v2
	v_subrev_u32_e32 v2, 28, v5
	v_lshlrev_b64 v[2:3], v2, v[58:59]
	v_sub_u32_e32 v3, 29, v5
	v_and_b32_e32 v2, 7, v2
	v_cndmask_b32_e32 v3, v4, v3, vcc
	v_cndmask_b32_e32 v1, v1, v2, vcc
	v_lshlrev_b32_e32 v2, 16, v56
	v_bfrev_b32_e32 v4, 60
	v_lshlrev_b32_e32 v1, 20, v1
	v_and_b32_e32 v2, 0x80000000, v2
	v_lshl_add_u32 v3, v3, 23, v4
	v_or3_b32 v1, v2, v3, v1
.LBB388_510:                            ;   in Loop: Header=BB388_13 Depth=1
	s_or_b64 exec, exec, s[40:41]
.LBB388_511:                            ;   in Loop: Header=BB388_13 Depth=1
	s_or_b64 exec, exec, s[38:39]
.LBB388_512:                            ;   in Loop: Header=BB388_13 Depth=1
	s_or_b64 exec, exec, s[36:37]
	v_mul_f32_e32 v1, v0, v1
	v_and_b32_e32 v2, 0x7f800000, v1
	v_cmp_ne_u32_e32 vcc, s45, v2
                                        ; implicit-def: $vgpr2
                                        ; kill: killed $vgpr2
	s_and_saveexec_b64 s[36:37], vcc
	s_xor_b64 vcc, exec, s[36:37]
	s_cbranch_execz .LBB388_514
; %bb.513:                              ;   in Loop: Header=BB388_13 Depth=1
	v_bfe_u32 v2, v1, 16, 1
	v_add3_u32 v1, v1, v2, s46
	buffer_store_dword v1, off, s[0:3], s32 offset:604 ; 4-byte Folded Spill
                                        ; implicit-def: $vgpr1
.LBB388_514:                            ;   in Loop: Header=BB388_13 Depth=1
	s_andn2_saveexec_b64 s[36:37], vcc
	s_cbranch_execz .LBB388_516
; %bb.515:                              ;   in Loop: Header=BB388_13 Depth=1
	v_or_b32_e32 v2, 0x10000, v1
	v_cmp_eq_u32_sdwa vcc, v1, v30 src0_sel:WORD_0 src1_sel:DWORD
	v_cndmask_b32_e32 v1, v2, v1, vcc
	buffer_store_dword v1, off, s[0:3], s32 offset:604 ; 4-byte Folded Spill
.LBB388_516:                            ;   in Loop: Header=BB388_13 Depth=1
	s_or_b64 exec, exec, s[36:37]
	v_lshrrev_b32_e32 v58, 16, v56
	v_cmp_ne_u16_sdwa vcc, v58, v30 src0_sel:BYTE_0 src1_sel:DWORD
	v_mov_b32_e32 v1, 0
	s_and_saveexec_b64 s[36:37], vcc
	s_cbranch_execz .LBB388_522
; %bb.517:                              ;   in Loop: Header=BB388_13 Depth=1
	v_cmp_ne_u16_sdwa vcc, v58, s43 src0_sel:BYTE_0 src1_sel:DWORD
	v_bfrev_b32_e32 v1, 1
	s_and_saveexec_b64 s[38:39], vcc
	s_cbranch_execz .LBB388_521
; %bb.518:                              ;   in Loop: Header=BB388_13 Depth=1
	v_bfe_u32 v2, v56, 16, 7
	v_cmp_ne_u32_e32 vcc, s44, v2
	v_mov_b32_e32 v1, 0x7f800001
	s_and_saveexec_b64 s[40:41], vcc
	s_cbranch_execz .LBB388_520
; %bb.519:                              ;   in Loop: Header=BB388_13 Depth=1
	v_and_b32_e32 v1, 7, v58
	v_lshrrev_b32_e32 v4, 3, v2
	v_cmp_gt_u32_e32 vcc, 8, v2
	v_ffbh_u32_e32 v2, v1
	v_min_u32_e32 v5, 32, v2
	v_subrev_u32_e32 v2, 28, v5
	v_lshlrev_b64 v[2:3], v2, v[58:59]
	v_sub_u32_e32 v3, 29, v5
	v_and_b32_e32 v2, 7, v2
	v_cndmask_b32_e32 v3, v4, v3, vcc
	v_cndmask_b32_e32 v1, v1, v2, vcc
	v_lshlrev_b32_e32 v2, 24, v58
	v_bfrev_b32_e32 v4, 60
	v_lshlrev_b32_e32 v1, 20, v1
	v_and_b32_e32 v2, 0x80000000, v2
	v_lshl_add_u32 v3, v3, 23, v4
	v_or3_b32 v1, v2, v3, v1
.LBB388_520:                            ;   in Loop: Header=BB388_13 Depth=1
	s_or_b64 exec, exec, s[40:41]
.LBB388_521:                            ;   in Loop: Header=BB388_13 Depth=1
	s_or_b64 exec, exec, s[38:39]
.LBB388_522:                            ;   in Loop: Header=BB388_13 Depth=1
	s_or_b64 exec, exec, s[36:37]
	v_mul_f32_e32 v1, v0, v1
	v_and_b32_e32 v2, 0x7f800000, v1
	v_cmp_ne_u32_e32 vcc, s45, v2
                                        ; implicit-def: $vgpr2
                                        ; kill: killed $vgpr2
	s_and_saveexec_b64 s[36:37], vcc
	s_xor_b64 vcc, exec, s[36:37]
	s_cbranch_execz .LBB388_524
; %bb.523:                              ;   in Loop: Header=BB388_13 Depth=1
	v_bfe_u32 v2, v1, 16, 1
	v_add3_u32 v1, v1, v2, s46
	buffer_store_dword v1, off, s[0:3], s32 offset:608 ; 4-byte Folded Spill
                                        ; implicit-def: $vgpr1
.LBB388_524:                            ;   in Loop: Header=BB388_13 Depth=1
	s_andn2_saveexec_b64 s[36:37], vcc
	s_cbranch_execz .LBB388_526
; %bb.525:                              ;   in Loop: Header=BB388_13 Depth=1
	v_or_b32_e32 v2, 0x10000, v1
	v_cmp_eq_u32_sdwa vcc, v1, v30 src0_sel:WORD_0 src1_sel:DWORD
	v_cndmask_b32_e32 v1, v2, v1, vcc
	buffer_store_dword v1, off, s[0:3], s32 offset:608 ; 4-byte Folded Spill
.LBB388_526:                            ;   in Loop: Header=BB388_13 Depth=1
	s_or_b64 exec, exec, s[36:37]
	v_cmp_lt_u32_e32 vcc, s47, v56
	v_mov_b32_e32 v1, 0
	s_and_saveexec_b64 s[36:37], vcc
	s_cbranch_execz .LBB388_532
; %bb.527:                              ;   in Loop: Header=BB388_13 Depth=1
	v_lshrrev_b32_e32 v58, 24, v56
	v_cmp_ne_u32_e32 vcc, s43, v58
	v_bfrev_b32_e32 v1, 1
	s_and_saveexec_b64 s[38:39], vcc
	s_cbranch_execz .LBB388_531
; %bb.528:                              ;   in Loop: Header=BB388_13 Depth=1
	v_bfe_u32 v2, v56, 24, 7
	v_cmp_ne_u32_e32 vcc, s44, v2
	v_mov_b32_e32 v1, 0x7f800001
	s_and_saveexec_b64 s[40:41], vcc
	s_cbranch_execz .LBB388_530
; %bb.529:                              ;   in Loop: Header=BB388_13 Depth=1
	v_and_b32_e32 v1, 7, v58
	v_lshrrev_b32_e32 v4, 3, v2
	v_cmp_gt_u32_e32 vcc, 8, v2
	v_ffbh_u32_e32 v2, v1
	v_min_u32_e32 v5, 32, v2
	v_subrev_u32_e32 v2, 28, v5
	v_lshlrev_b64 v[2:3], v2, v[58:59]
	v_sub_u32_e32 v3, 29, v5
	v_and_b32_e32 v2, 7, v2
	v_cndmask_b32_e32 v3, v4, v3, vcc
	v_cndmask_b32_e32 v1, v1, v2, vcc
	v_lshlrev_b32_e32 v2, 24, v58
	v_bfrev_b32_e32 v4, 60
	v_lshlrev_b32_e32 v1, 20, v1
	v_and_b32_e32 v2, 0x80000000, v2
	v_lshl_add_u32 v3, v3, 23, v4
	v_or3_b32 v1, v2, v3, v1
.LBB388_530:                            ;   in Loop: Header=BB388_13 Depth=1
	s_or_b64 exec, exec, s[40:41]
.LBB388_531:                            ;   in Loop: Header=BB388_13 Depth=1
	s_or_b64 exec, exec, s[38:39]
.LBB388_532:                            ;   in Loop: Header=BB388_13 Depth=1
	s_or_b64 exec, exec, s[36:37]
	v_mul_f32_e32 v1, v0, v1
	v_and_b32_e32 v2, 0x7f800000, v1
	v_cmp_ne_u32_e32 vcc, s45, v2
                                        ; implicit-def: $vgpr2
                                        ; kill: killed $vgpr2
	s_and_saveexec_b64 s[36:37], vcc
	s_xor_b64 vcc, exec, s[36:37]
	s_cbranch_execz .LBB388_534
; %bb.533:                              ;   in Loop: Header=BB388_13 Depth=1
	v_bfe_u32 v2, v1, 16, 1
	v_add3_u32 v1, v1, v2, s46
	buffer_store_dword v1, off, s[0:3], s32 offset:612 ; 4-byte Folded Spill
                                        ; implicit-def: $vgpr1
.LBB388_534:                            ;   in Loop: Header=BB388_13 Depth=1
	s_andn2_saveexec_b64 s[36:37], vcc
	s_cbranch_execz .LBB388_536
; %bb.535:                              ;   in Loop: Header=BB388_13 Depth=1
	v_or_b32_e32 v2, 0x10000, v1
	v_cmp_eq_u32_sdwa vcc, v1, v30 src0_sel:WORD_0 src1_sel:DWORD
	v_cndmask_b32_e32 v1, v2, v1, vcc
	buffer_store_dword v1, off, s[0:3], s32 offset:612 ; 4-byte Folded Spill
.LBB388_536:                            ;   in Loop: Header=BB388_13 Depth=1
	s_or_b64 exec, exec, s[36:37]
	flat_load_dword v56, v[46:47] offset:3080
	v_mov_b32_e32 v1, 0
	s_waitcnt vmcnt(0) lgkmcnt(0)
	v_cmp_ne_u16_sdwa vcc, v56, v30 src0_sel:BYTE_0 src1_sel:DWORD
	s_and_saveexec_b64 s[36:37], vcc
	s_cbranch_execz .LBB388_542
; %bb.537:                              ;   in Loop: Header=BB388_13 Depth=1
	v_cmp_ne_u16_sdwa vcc, v56, s43 src0_sel:BYTE_0 src1_sel:DWORD
	v_bfrev_b32_e32 v1, 1
	s_and_saveexec_b64 s[38:39], vcc
	s_cbranch_execz .LBB388_541
; %bb.538:                              ;   in Loop: Header=BB388_13 Depth=1
	v_and_b32_e32 v2, 0x7f, v56
	v_cmp_ne_u32_e32 vcc, s44, v2
	v_mov_b32_e32 v1, 0x7f800001
	s_and_saveexec_b64 s[40:41], vcc
	s_cbranch_execz .LBB388_540
; %bb.539:                              ;   in Loop: Header=BB388_13 Depth=1
	v_and_b32_e32 v1, 7, v56
	v_lshrrev_b32_e32 v4, 3, v2
	v_cmp_gt_u32_e32 vcc, 8, v2
	v_ffbh_u32_e32 v2, v1
	v_min_u32_e32 v5, 32, v2
	v_subrev_u32_e32 v2, 28, v5
	v_lshlrev_b64 v[2:3], v2, v[56:57]
	v_sub_u32_e32 v3, 29, v5
	v_and_b32_e32 v2, 7, v2
	v_cndmask_b32_e32 v3, v4, v3, vcc
	v_cndmask_b32_e32 v1, v1, v2, vcc
	v_lshlrev_b32_e32 v2, 24, v56
	v_bfrev_b32_e32 v4, 60
	v_lshlrev_b32_e32 v1, 20, v1
	v_and_b32_e32 v2, 0x80000000, v2
	v_lshl_add_u32 v3, v3, 23, v4
	v_or3_b32 v1, v2, v3, v1
.LBB388_540:                            ;   in Loop: Header=BB388_13 Depth=1
	s_or_b64 exec, exec, s[40:41]
.LBB388_541:                            ;   in Loop: Header=BB388_13 Depth=1
	s_or_b64 exec, exec, s[38:39]
.LBB388_542:                            ;   in Loop: Header=BB388_13 Depth=1
	s_or_b64 exec, exec, s[36:37]
	v_mul_f32_e32 v1, v0, v1
	v_and_b32_e32 v2, 0x7f800000, v1
	v_cmp_ne_u32_e32 vcc, s45, v2
                                        ; implicit-def: $vgpr2
                                        ; kill: killed $vgpr2
	s_and_saveexec_b64 s[36:37], vcc
	s_xor_b64 vcc, exec, s[36:37]
	s_cbranch_execz .LBB388_544
; %bb.543:                              ;   in Loop: Header=BB388_13 Depth=1
	v_bfe_u32 v2, v1, 16, 1
	v_add3_u32 v1, v1, v2, s46
	buffer_store_dword v1, off, s[0:3], s32 offset:616 ; 4-byte Folded Spill
                                        ; implicit-def: $vgpr1
.LBB388_544:                            ;   in Loop: Header=BB388_13 Depth=1
	s_andn2_saveexec_b64 s[36:37], vcc
	s_cbranch_execz .LBB388_546
; %bb.545:                              ;   in Loop: Header=BB388_13 Depth=1
	v_or_b32_e32 v2, 0x10000, v1
	v_cmp_eq_u32_sdwa vcc, v1, v30 src0_sel:WORD_0 src1_sel:DWORD
	v_cndmask_b32_e32 v1, v2, v1, vcc
	buffer_store_dword v1, off, s[0:3], s32 offset:616 ; 4-byte Folded Spill
.LBB388_546:                            ;   in Loop: Header=BB388_13 Depth=1
	s_or_b64 exec, exec, s[36:37]
	v_lshrrev_b16_e32 v58, 8, v56
	v_cmp_ne_u16_e32 vcc, 0, v58
	v_mov_b32_e32 v1, 0
	s_and_saveexec_b64 s[36:37], vcc
	s_cbranch_execz .LBB388_552
; %bb.547:                              ;   in Loop: Header=BB388_13 Depth=1
	v_cmp_ne_u16_e32 vcc, s43, v58
	v_bfrev_b32_e32 v1, 1
	s_and_saveexec_b64 s[38:39], vcc
	s_cbranch_execz .LBB388_551
; %bb.548:                              ;   in Loop: Header=BB388_13 Depth=1
	v_and_b32_e32 v2, 0x7f, v58
	v_cmp_ne_u32_e32 vcc, s44, v2
	v_mov_b32_e32 v1, 0x7f800001
	s_and_saveexec_b64 s[40:41], vcc
	s_cbranch_execz .LBB388_550
; %bb.549:                              ;   in Loop: Header=BB388_13 Depth=1
	v_and_b32_e32 v1, 7, v58
	v_lshrrev_b32_e32 v4, 3, v2
	v_cmp_gt_u32_e32 vcc, 8, v2
	v_ffbh_u32_e32 v2, v1
	v_min_u32_e32 v5, 32, v2
	v_subrev_u32_e32 v2, 28, v5
	v_lshlrev_b64 v[2:3], v2, v[58:59]
	v_sub_u32_e32 v3, 29, v5
	v_and_b32_e32 v2, 7, v2
	v_cndmask_b32_e32 v3, v4, v3, vcc
	v_cndmask_b32_e32 v1, v1, v2, vcc
	v_lshlrev_b32_e32 v2, 16, v56
	v_bfrev_b32_e32 v4, 60
	v_lshlrev_b32_e32 v1, 20, v1
	v_and_b32_e32 v2, 0x80000000, v2
	v_lshl_add_u32 v3, v3, 23, v4
	v_or3_b32 v1, v2, v3, v1
.LBB388_550:                            ;   in Loop: Header=BB388_13 Depth=1
	s_or_b64 exec, exec, s[40:41]
.LBB388_551:                            ;   in Loop: Header=BB388_13 Depth=1
	s_or_b64 exec, exec, s[38:39]
.LBB388_552:                            ;   in Loop: Header=BB388_13 Depth=1
	s_or_b64 exec, exec, s[36:37]
	v_mul_f32_e32 v1, v0, v1
	v_and_b32_e32 v2, 0x7f800000, v1
	v_cmp_ne_u32_e32 vcc, s45, v2
                                        ; implicit-def: $vgpr2
                                        ; kill: killed $vgpr2
	s_and_saveexec_b64 s[36:37], vcc
	s_xor_b64 vcc, exec, s[36:37]
	s_cbranch_execz .LBB388_554
; %bb.553:                              ;   in Loop: Header=BB388_13 Depth=1
	v_bfe_u32 v2, v1, 16, 1
	v_add3_u32 v1, v1, v2, s46
	buffer_store_dword v1, off, s[0:3], s32 offset:620 ; 4-byte Folded Spill
                                        ; implicit-def: $vgpr1
.LBB388_554:                            ;   in Loop: Header=BB388_13 Depth=1
	s_andn2_saveexec_b64 s[36:37], vcc
	s_cbranch_execz .LBB388_556
; %bb.555:                              ;   in Loop: Header=BB388_13 Depth=1
	v_or_b32_e32 v2, 0x10000, v1
	v_cmp_eq_u32_sdwa vcc, v1, v30 src0_sel:WORD_0 src1_sel:DWORD
	v_cndmask_b32_e32 v1, v2, v1, vcc
	buffer_store_dword v1, off, s[0:3], s32 offset:620 ; 4-byte Folded Spill
.LBB388_556:                            ;   in Loop: Header=BB388_13 Depth=1
	s_or_b64 exec, exec, s[36:37]
	v_lshrrev_b32_e32 v58, 16, v56
	v_cmp_ne_u16_sdwa vcc, v58, v30 src0_sel:BYTE_0 src1_sel:DWORD
	v_mov_b32_e32 v1, 0
	s_and_saveexec_b64 s[36:37], vcc
	s_cbranch_execz .LBB388_562
; %bb.557:                              ;   in Loop: Header=BB388_13 Depth=1
	v_cmp_ne_u16_sdwa vcc, v58, s43 src0_sel:BYTE_0 src1_sel:DWORD
	v_bfrev_b32_e32 v1, 1
	s_and_saveexec_b64 s[38:39], vcc
	s_cbranch_execz .LBB388_561
; %bb.558:                              ;   in Loop: Header=BB388_13 Depth=1
	v_bfe_u32 v2, v56, 16, 7
	v_cmp_ne_u32_e32 vcc, s44, v2
	v_mov_b32_e32 v1, 0x7f800001
	s_and_saveexec_b64 s[40:41], vcc
	s_cbranch_execz .LBB388_560
; %bb.559:                              ;   in Loop: Header=BB388_13 Depth=1
	v_and_b32_e32 v1, 7, v58
	v_lshrrev_b32_e32 v4, 3, v2
	v_cmp_gt_u32_e32 vcc, 8, v2
	v_ffbh_u32_e32 v2, v1
	v_min_u32_e32 v5, 32, v2
	v_subrev_u32_e32 v2, 28, v5
	v_lshlrev_b64 v[2:3], v2, v[58:59]
	v_sub_u32_e32 v3, 29, v5
	v_and_b32_e32 v2, 7, v2
	v_cndmask_b32_e32 v3, v4, v3, vcc
	v_cndmask_b32_e32 v1, v1, v2, vcc
	v_lshlrev_b32_e32 v2, 24, v58
	v_bfrev_b32_e32 v4, 60
	v_lshlrev_b32_e32 v1, 20, v1
	v_and_b32_e32 v2, 0x80000000, v2
	v_lshl_add_u32 v3, v3, 23, v4
	v_or3_b32 v1, v2, v3, v1
.LBB388_560:                            ;   in Loop: Header=BB388_13 Depth=1
	s_or_b64 exec, exec, s[40:41]
.LBB388_561:                            ;   in Loop: Header=BB388_13 Depth=1
	s_or_b64 exec, exec, s[38:39]
.LBB388_562:                            ;   in Loop: Header=BB388_13 Depth=1
	s_or_b64 exec, exec, s[36:37]
	v_mul_f32_e32 v1, v0, v1
	v_and_b32_e32 v2, 0x7f800000, v1
	v_cmp_ne_u32_e32 vcc, s45, v2
                                        ; implicit-def: $vgpr2
                                        ; kill: killed $vgpr2
	s_and_saveexec_b64 s[36:37], vcc
	s_xor_b64 vcc, exec, s[36:37]
	s_cbranch_execz .LBB388_564
; %bb.563:                              ;   in Loop: Header=BB388_13 Depth=1
	v_bfe_u32 v2, v1, 16, 1
	v_add3_u32 v1, v1, v2, s46
	buffer_store_dword v1, off, s[0:3], s32 offset:624 ; 4-byte Folded Spill
                                        ; implicit-def: $vgpr1
.LBB388_564:                            ;   in Loop: Header=BB388_13 Depth=1
	s_andn2_saveexec_b64 s[36:37], vcc
	s_cbranch_execz .LBB388_566
; %bb.565:                              ;   in Loop: Header=BB388_13 Depth=1
	v_or_b32_e32 v2, 0x10000, v1
	v_cmp_eq_u32_sdwa vcc, v1, v30 src0_sel:WORD_0 src1_sel:DWORD
	v_cndmask_b32_e32 v1, v2, v1, vcc
	buffer_store_dword v1, off, s[0:3], s32 offset:624 ; 4-byte Folded Spill
.LBB388_566:                            ;   in Loop: Header=BB388_13 Depth=1
	s_or_b64 exec, exec, s[36:37]
	v_cmp_lt_u32_e32 vcc, s47, v56
	v_mov_b32_e32 v1, 0
	s_and_saveexec_b64 s[36:37], vcc
	s_cbranch_execz .LBB388_572
; %bb.567:                              ;   in Loop: Header=BB388_13 Depth=1
	v_lshrrev_b32_e32 v58, 24, v56
	v_cmp_ne_u32_e32 vcc, s43, v58
	v_bfrev_b32_e32 v1, 1
	s_and_saveexec_b64 s[38:39], vcc
	s_cbranch_execz .LBB388_571
; %bb.568:                              ;   in Loop: Header=BB388_13 Depth=1
	v_bfe_u32 v2, v56, 24, 7
	v_cmp_ne_u32_e32 vcc, s44, v2
	v_mov_b32_e32 v1, 0x7f800001
	s_and_saveexec_b64 s[40:41], vcc
	s_cbranch_execz .LBB388_570
; %bb.569:                              ;   in Loop: Header=BB388_13 Depth=1
	v_and_b32_e32 v1, 7, v58
	v_lshrrev_b32_e32 v4, 3, v2
	v_cmp_gt_u32_e32 vcc, 8, v2
	v_ffbh_u32_e32 v2, v1
	v_min_u32_e32 v5, 32, v2
	v_subrev_u32_e32 v2, 28, v5
	v_lshlrev_b64 v[2:3], v2, v[58:59]
	v_sub_u32_e32 v3, 29, v5
	v_and_b32_e32 v2, 7, v2
	v_cndmask_b32_e32 v3, v4, v3, vcc
	v_cndmask_b32_e32 v1, v1, v2, vcc
	v_lshlrev_b32_e32 v2, 24, v58
	v_bfrev_b32_e32 v4, 60
	v_lshlrev_b32_e32 v1, 20, v1
	v_and_b32_e32 v2, 0x80000000, v2
	v_lshl_add_u32 v3, v3, 23, v4
	v_or3_b32 v1, v2, v3, v1
.LBB388_570:                            ;   in Loop: Header=BB388_13 Depth=1
	s_or_b64 exec, exec, s[40:41]
.LBB388_571:                            ;   in Loop: Header=BB388_13 Depth=1
	s_or_b64 exec, exec, s[38:39]
.LBB388_572:                            ;   in Loop: Header=BB388_13 Depth=1
	s_or_b64 exec, exec, s[36:37]
	v_mul_f32_e32 v1, v0, v1
	v_and_b32_e32 v2, 0x7f800000, v1
	v_cmp_ne_u32_e32 vcc, s45, v2
                                        ; implicit-def: $vgpr2
                                        ; kill: killed $vgpr2
	s_and_saveexec_b64 s[36:37], vcc
	s_xor_b64 vcc, exec, s[36:37]
	s_cbranch_execz .LBB388_574
; %bb.573:                              ;   in Loop: Header=BB388_13 Depth=1
	v_bfe_u32 v2, v1, 16, 1
	v_add3_u32 v1, v1, v2, s46
	buffer_store_dword v1, off, s[0:3], s32 offset:628 ; 4-byte Folded Spill
                                        ; implicit-def: $vgpr1
.LBB388_574:                            ;   in Loop: Header=BB388_13 Depth=1
	s_andn2_saveexec_b64 s[36:37], vcc
	s_cbranch_execz .LBB388_576
; %bb.575:                              ;   in Loop: Header=BB388_13 Depth=1
	v_or_b32_e32 v2, 0x10000, v1
	v_cmp_eq_u32_sdwa vcc, v1, v30 src0_sel:WORD_0 src1_sel:DWORD
	v_cndmask_b32_e32 v1, v2, v1, vcc
	buffer_store_dword v1, off, s[0:3], s32 offset:628 ; 4-byte Folded Spill
.LBB388_576:                            ;   in Loop: Header=BB388_13 Depth=1
	s_or_b64 exec, exec, s[36:37]
	flat_load_dword v56, v[46:47] offset:3584
	v_mov_b32_e32 v1, 0
	s_waitcnt vmcnt(0) lgkmcnt(0)
	v_cmp_ne_u16_sdwa vcc, v56, v30 src0_sel:BYTE_0 src1_sel:DWORD
	s_and_saveexec_b64 s[36:37], vcc
	s_cbranch_execz .LBB388_582
; %bb.577:                              ;   in Loop: Header=BB388_13 Depth=1
	v_cmp_ne_u16_sdwa vcc, v56, s43 src0_sel:BYTE_0 src1_sel:DWORD
	v_bfrev_b32_e32 v1, 1
	s_and_saveexec_b64 s[38:39], vcc
	s_cbranch_execz .LBB388_581
; %bb.578:                              ;   in Loop: Header=BB388_13 Depth=1
	v_and_b32_e32 v2, 0x7f, v56
	v_cmp_ne_u32_e32 vcc, s44, v2
	v_mov_b32_e32 v1, 0x7f800001
	s_and_saveexec_b64 s[40:41], vcc
	s_cbranch_execz .LBB388_580
; %bb.579:                              ;   in Loop: Header=BB388_13 Depth=1
	v_and_b32_e32 v1, 7, v56
	v_lshrrev_b32_e32 v4, 3, v2
	v_cmp_gt_u32_e32 vcc, 8, v2
	v_ffbh_u32_e32 v2, v1
	v_min_u32_e32 v5, 32, v2
	v_subrev_u32_e32 v2, 28, v5
	v_lshlrev_b64 v[2:3], v2, v[56:57]
	v_sub_u32_e32 v3, 29, v5
	v_and_b32_e32 v2, 7, v2
	v_cndmask_b32_e32 v3, v4, v3, vcc
	v_cndmask_b32_e32 v1, v1, v2, vcc
	v_lshlrev_b32_e32 v2, 24, v56
	v_bfrev_b32_e32 v4, 60
	v_lshlrev_b32_e32 v1, 20, v1
	v_and_b32_e32 v2, 0x80000000, v2
	v_lshl_add_u32 v3, v3, 23, v4
	v_or3_b32 v1, v2, v3, v1
.LBB388_580:                            ;   in Loop: Header=BB388_13 Depth=1
	s_or_b64 exec, exec, s[40:41]
.LBB388_581:                            ;   in Loop: Header=BB388_13 Depth=1
	s_or_b64 exec, exec, s[38:39]
.LBB388_582:                            ;   in Loop: Header=BB388_13 Depth=1
	s_or_b64 exec, exec, s[36:37]
	v_mul_f32_e32 v1, v0, v1
	v_and_b32_e32 v2, 0x7f800000, v1
	v_cmp_ne_u32_e32 vcc, s45, v2
                                        ; implicit-def: $vgpr2
                                        ; kill: killed $vgpr2
	s_and_saveexec_b64 s[36:37], vcc
	s_xor_b64 vcc, exec, s[36:37]
	s_cbranch_execz .LBB388_584
; %bb.583:                              ;   in Loop: Header=BB388_13 Depth=1
	v_bfe_u32 v2, v1, 16, 1
	v_add3_u32 v1, v1, v2, s46
	buffer_store_dword v1, off, s[0:3], s32 offset:632 ; 4-byte Folded Spill
                                        ; implicit-def: $vgpr1
.LBB388_584:                            ;   in Loop: Header=BB388_13 Depth=1
	s_andn2_saveexec_b64 s[36:37], vcc
	s_cbranch_execz .LBB388_586
; %bb.585:                              ;   in Loop: Header=BB388_13 Depth=1
	v_or_b32_e32 v2, 0x10000, v1
	v_cmp_eq_u32_sdwa vcc, v1, v30 src0_sel:WORD_0 src1_sel:DWORD
	v_cndmask_b32_e32 v1, v2, v1, vcc
	buffer_store_dword v1, off, s[0:3], s32 offset:632 ; 4-byte Folded Spill
.LBB388_586:                            ;   in Loop: Header=BB388_13 Depth=1
	s_or_b64 exec, exec, s[36:37]
	v_lshrrev_b16_e32 v58, 8, v56
	v_cmp_ne_u16_e32 vcc, 0, v58
	v_mov_b32_e32 v1, 0
	s_and_saveexec_b64 s[36:37], vcc
	s_cbranch_execz .LBB388_592
; %bb.587:                              ;   in Loop: Header=BB388_13 Depth=1
	v_cmp_ne_u16_e32 vcc, s43, v58
	v_bfrev_b32_e32 v1, 1
	s_and_saveexec_b64 s[38:39], vcc
	s_cbranch_execz .LBB388_591
; %bb.588:                              ;   in Loop: Header=BB388_13 Depth=1
	v_and_b32_e32 v2, 0x7f, v58
	v_cmp_ne_u32_e32 vcc, s44, v2
	v_mov_b32_e32 v1, 0x7f800001
	s_and_saveexec_b64 s[40:41], vcc
	s_cbranch_execz .LBB388_590
; %bb.589:                              ;   in Loop: Header=BB388_13 Depth=1
	v_and_b32_e32 v1, 7, v58
	v_lshrrev_b32_e32 v4, 3, v2
	v_cmp_gt_u32_e32 vcc, 8, v2
	v_ffbh_u32_e32 v2, v1
	v_min_u32_e32 v5, 32, v2
	v_subrev_u32_e32 v2, 28, v5
	v_lshlrev_b64 v[2:3], v2, v[58:59]
	v_sub_u32_e32 v3, 29, v5
	v_and_b32_e32 v2, 7, v2
	v_cndmask_b32_e32 v3, v4, v3, vcc
	v_cndmask_b32_e32 v1, v1, v2, vcc
	v_lshlrev_b32_e32 v2, 16, v56
	v_bfrev_b32_e32 v4, 60
	v_lshlrev_b32_e32 v1, 20, v1
	v_and_b32_e32 v2, 0x80000000, v2
	v_lshl_add_u32 v3, v3, 23, v4
	v_or3_b32 v1, v2, v3, v1
.LBB388_590:                            ;   in Loop: Header=BB388_13 Depth=1
	s_or_b64 exec, exec, s[40:41]
.LBB388_591:                            ;   in Loop: Header=BB388_13 Depth=1
	s_or_b64 exec, exec, s[38:39]
.LBB388_592:                            ;   in Loop: Header=BB388_13 Depth=1
	s_or_b64 exec, exec, s[36:37]
	v_mul_f32_e32 v1, v0, v1
	v_and_b32_e32 v2, 0x7f800000, v1
	v_cmp_ne_u32_e32 vcc, s45, v2
                                        ; implicit-def: $vgpr2
                                        ; kill: killed $vgpr2
	s_and_saveexec_b64 s[36:37], vcc
	s_xor_b64 vcc, exec, s[36:37]
	s_cbranch_execz .LBB388_594
; %bb.593:                              ;   in Loop: Header=BB388_13 Depth=1
	v_bfe_u32 v2, v1, 16, 1
	v_add3_u32 v1, v1, v2, s46
	buffer_store_dword v1, off, s[0:3], s32 offset:636 ; 4-byte Folded Spill
                                        ; implicit-def: $vgpr1
.LBB388_594:                            ;   in Loop: Header=BB388_13 Depth=1
	s_andn2_saveexec_b64 s[36:37], vcc
	s_cbranch_execz .LBB388_596
; %bb.595:                              ;   in Loop: Header=BB388_13 Depth=1
	v_or_b32_e32 v2, 0x10000, v1
	v_cmp_eq_u32_sdwa vcc, v1, v30 src0_sel:WORD_0 src1_sel:DWORD
	v_cndmask_b32_e32 v1, v2, v1, vcc
	buffer_store_dword v1, off, s[0:3], s32 offset:636 ; 4-byte Folded Spill
.LBB388_596:                            ;   in Loop: Header=BB388_13 Depth=1
	s_or_b64 exec, exec, s[36:37]
	v_lshrrev_b32_e32 v58, 16, v56
	v_cmp_ne_u16_sdwa vcc, v58, v30 src0_sel:BYTE_0 src1_sel:DWORD
	v_mov_b32_e32 v1, 0
	s_and_saveexec_b64 s[36:37], vcc
	s_cbranch_execz .LBB388_602
; %bb.597:                              ;   in Loop: Header=BB388_13 Depth=1
	v_cmp_ne_u16_sdwa vcc, v58, s43 src0_sel:BYTE_0 src1_sel:DWORD
	v_bfrev_b32_e32 v1, 1
	s_and_saveexec_b64 s[38:39], vcc
	s_cbranch_execz .LBB388_601
; %bb.598:                              ;   in Loop: Header=BB388_13 Depth=1
	v_bfe_u32 v2, v56, 16, 7
	v_cmp_ne_u32_e32 vcc, s44, v2
	v_mov_b32_e32 v1, 0x7f800001
	s_and_saveexec_b64 s[40:41], vcc
	s_cbranch_execz .LBB388_600
; %bb.599:                              ;   in Loop: Header=BB388_13 Depth=1
	v_and_b32_e32 v1, 7, v58
	v_lshrrev_b32_e32 v4, 3, v2
	v_cmp_gt_u32_e32 vcc, 8, v2
	v_ffbh_u32_e32 v2, v1
	v_min_u32_e32 v5, 32, v2
	v_subrev_u32_e32 v2, 28, v5
	v_lshlrev_b64 v[2:3], v2, v[58:59]
	v_sub_u32_e32 v3, 29, v5
	v_and_b32_e32 v2, 7, v2
	v_cndmask_b32_e32 v3, v4, v3, vcc
	v_cndmask_b32_e32 v1, v1, v2, vcc
	v_lshlrev_b32_e32 v2, 24, v58
	v_bfrev_b32_e32 v4, 60
	v_lshlrev_b32_e32 v1, 20, v1
	v_and_b32_e32 v2, 0x80000000, v2
	v_lshl_add_u32 v3, v3, 23, v4
	v_or3_b32 v1, v2, v3, v1
.LBB388_600:                            ;   in Loop: Header=BB388_13 Depth=1
	s_or_b64 exec, exec, s[40:41]
.LBB388_601:                            ;   in Loop: Header=BB388_13 Depth=1
	s_or_b64 exec, exec, s[38:39]
.LBB388_602:                            ;   in Loop: Header=BB388_13 Depth=1
	s_or_b64 exec, exec, s[36:37]
	v_mul_f32_e32 v1, v0, v1
	v_and_b32_e32 v2, 0x7f800000, v1
	v_cmp_ne_u32_e32 vcc, s45, v2
                                        ; implicit-def: $vgpr2
                                        ; kill: killed $vgpr2
	s_and_saveexec_b64 s[36:37], vcc
	s_xor_b64 vcc, exec, s[36:37]
	s_cbranch_execz .LBB388_604
; %bb.603:                              ;   in Loop: Header=BB388_13 Depth=1
	v_bfe_u32 v2, v1, 16, 1
	v_add3_u32 v1, v1, v2, s46
	buffer_store_dword v1, off, s[0:3], s32 offset:640 ; 4-byte Folded Spill
                                        ; implicit-def: $vgpr1
.LBB388_604:                            ;   in Loop: Header=BB388_13 Depth=1
	s_andn2_saveexec_b64 s[36:37], vcc
	s_cbranch_execz .LBB388_606
; %bb.605:                              ;   in Loop: Header=BB388_13 Depth=1
	v_or_b32_e32 v2, 0x10000, v1
	v_cmp_eq_u32_sdwa vcc, v1, v30 src0_sel:WORD_0 src1_sel:DWORD
	v_cndmask_b32_e32 v1, v2, v1, vcc
	buffer_store_dword v1, off, s[0:3], s32 offset:640 ; 4-byte Folded Spill
.LBB388_606:                            ;   in Loop: Header=BB388_13 Depth=1
	s_or_b64 exec, exec, s[36:37]
	v_cmp_lt_u32_e32 vcc, s47, v56
	v_mov_b32_e32 v1, 0
	s_and_saveexec_b64 s[36:37], vcc
	s_cbranch_execz .LBB388_612
; %bb.607:                              ;   in Loop: Header=BB388_13 Depth=1
	v_lshrrev_b32_e32 v58, 24, v56
	v_cmp_ne_u32_e32 vcc, s43, v58
	v_bfrev_b32_e32 v1, 1
	s_and_saveexec_b64 s[38:39], vcc
	s_cbranch_execz .LBB388_611
; %bb.608:                              ;   in Loop: Header=BB388_13 Depth=1
	v_bfe_u32 v2, v56, 24, 7
	v_cmp_ne_u32_e32 vcc, s44, v2
	v_mov_b32_e32 v1, 0x7f800001
	s_and_saveexec_b64 s[40:41], vcc
	s_cbranch_execz .LBB388_610
; %bb.609:                              ;   in Loop: Header=BB388_13 Depth=1
	v_and_b32_e32 v1, 7, v58
	v_lshrrev_b32_e32 v4, 3, v2
	v_cmp_gt_u32_e32 vcc, 8, v2
	v_ffbh_u32_e32 v2, v1
	v_min_u32_e32 v5, 32, v2
	v_subrev_u32_e32 v2, 28, v5
	v_lshlrev_b64 v[2:3], v2, v[58:59]
	v_sub_u32_e32 v3, 29, v5
	v_and_b32_e32 v2, 7, v2
	v_cndmask_b32_e32 v3, v4, v3, vcc
	v_cndmask_b32_e32 v1, v1, v2, vcc
	v_lshlrev_b32_e32 v2, 24, v58
	v_bfrev_b32_e32 v4, 60
	v_lshlrev_b32_e32 v1, 20, v1
	v_and_b32_e32 v2, 0x80000000, v2
	v_lshl_add_u32 v3, v3, 23, v4
	v_or3_b32 v1, v2, v3, v1
.LBB388_610:                            ;   in Loop: Header=BB388_13 Depth=1
	s_or_b64 exec, exec, s[40:41]
.LBB388_611:                            ;   in Loop: Header=BB388_13 Depth=1
	s_or_b64 exec, exec, s[38:39]
.LBB388_612:                            ;   in Loop: Header=BB388_13 Depth=1
	s_or_b64 exec, exec, s[36:37]
	v_mul_f32_e32 v1, v0, v1
	v_and_b32_e32 v2, 0x7f800000, v1
	v_cmp_ne_u32_e32 vcc, s45, v2
                                        ; implicit-def: $vgpr2
                                        ; kill: killed $vgpr2
	s_and_saveexec_b64 s[36:37], vcc
	s_xor_b64 vcc, exec, s[36:37]
	s_cbranch_execz .LBB388_614
; %bb.613:                              ;   in Loop: Header=BB388_13 Depth=1
	v_bfe_u32 v2, v1, 16, 1
	v_add3_u32 v1, v1, v2, s46
	buffer_store_dword v1, off, s[0:3], s32 offset:644 ; 4-byte Folded Spill
                                        ; implicit-def: $vgpr1
.LBB388_614:                            ;   in Loop: Header=BB388_13 Depth=1
	s_andn2_saveexec_b64 s[36:37], vcc
	s_cbranch_execz .LBB388_616
; %bb.615:                              ;   in Loop: Header=BB388_13 Depth=1
	v_or_b32_e32 v2, 0x10000, v1
	v_cmp_eq_u32_sdwa vcc, v1, v30 src0_sel:WORD_0 src1_sel:DWORD
	v_cndmask_b32_e32 v1, v2, v1, vcc
	buffer_store_dword v1, off, s[0:3], s32 offset:644 ; 4-byte Folded Spill
.LBB388_616:                            ;   in Loop: Header=BB388_13 Depth=1
	s_or_b64 exec, exec, s[36:37]
	flat_load_dword v56, v[46:47] offset:3592
	v_mov_b32_e32 v1, 0
	s_waitcnt vmcnt(0) lgkmcnt(0)
	v_cmp_ne_u16_sdwa vcc, v56, v30 src0_sel:BYTE_0 src1_sel:DWORD
	s_and_saveexec_b64 s[36:37], vcc
	s_cbranch_execz .LBB388_622
; %bb.617:                              ;   in Loop: Header=BB388_13 Depth=1
	v_cmp_ne_u16_sdwa vcc, v56, s43 src0_sel:BYTE_0 src1_sel:DWORD
	v_bfrev_b32_e32 v1, 1
	s_and_saveexec_b64 s[38:39], vcc
	s_cbranch_execz .LBB388_621
; %bb.618:                              ;   in Loop: Header=BB388_13 Depth=1
	v_and_b32_e32 v2, 0x7f, v56
	v_cmp_ne_u32_e32 vcc, s44, v2
	v_mov_b32_e32 v1, 0x7f800001
	s_and_saveexec_b64 s[40:41], vcc
	s_cbranch_execz .LBB388_620
; %bb.619:                              ;   in Loop: Header=BB388_13 Depth=1
	v_and_b32_e32 v1, 7, v56
	v_lshrrev_b32_e32 v4, 3, v2
	v_cmp_gt_u32_e32 vcc, 8, v2
	v_ffbh_u32_e32 v2, v1
	v_min_u32_e32 v5, 32, v2
	v_subrev_u32_e32 v2, 28, v5
	v_lshlrev_b64 v[2:3], v2, v[56:57]
	v_sub_u32_e32 v3, 29, v5
	v_and_b32_e32 v2, 7, v2
	v_cndmask_b32_e32 v3, v4, v3, vcc
	v_cndmask_b32_e32 v1, v1, v2, vcc
	v_lshlrev_b32_e32 v2, 24, v56
	v_bfrev_b32_e32 v4, 60
	v_lshlrev_b32_e32 v1, 20, v1
	v_and_b32_e32 v2, 0x80000000, v2
	v_lshl_add_u32 v3, v3, 23, v4
	v_or3_b32 v1, v2, v3, v1
.LBB388_620:                            ;   in Loop: Header=BB388_13 Depth=1
	s_or_b64 exec, exec, s[40:41]
.LBB388_621:                            ;   in Loop: Header=BB388_13 Depth=1
	s_or_b64 exec, exec, s[38:39]
.LBB388_622:                            ;   in Loop: Header=BB388_13 Depth=1
	s_or_b64 exec, exec, s[36:37]
	v_mul_f32_e32 v1, v0, v1
	v_and_b32_e32 v2, 0x7f800000, v1
	v_cmp_ne_u32_e32 vcc, s45, v2
                                        ; implicit-def: $vgpr2
                                        ; kill: killed $vgpr2
	s_and_saveexec_b64 s[36:37], vcc
	s_xor_b64 vcc, exec, s[36:37]
	s_cbranch_execz .LBB388_624
; %bb.623:                              ;   in Loop: Header=BB388_13 Depth=1
	v_bfe_u32 v2, v1, 16, 1
	v_add3_u32 v1, v1, v2, s46
	buffer_store_dword v1, off, s[0:3], s32 offset:648 ; 4-byte Folded Spill
                                        ; implicit-def: $vgpr1
.LBB388_624:                            ;   in Loop: Header=BB388_13 Depth=1
	s_andn2_saveexec_b64 s[36:37], vcc
	s_cbranch_execz .LBB388_626
; %bb.625:                              ;   in Loop: Header=BB388_13 Depth=1
	v_or_b32_e32 v2, 0x10000, v1
	v_cmp_eq_u32_sdwa vcc, v1, v30 src0_sel:WORD_0 src1_sel:DWORD
	v_cndmask_b32_e32 v1, v2, v1, vcc
	buffer_store_dword v1, off, s[0:3], s32 offset:648 ; 4-byte Folded Spill
.LBB388_626:                            ;   in Loop: Header=BB388_13 Depth=1
	s_or_b64 exec, exec, s[36:37]
	v_lshrrev_b16_e32 v58, 8, v56
	v_cmp_ne_u16_e32 vcc, 0, v58
	v_mov_b32_e32 v1, 0
	s_and_saveexec_b64 s[36:37], vcc
	s_cbranch_execz .LBB388_632
; %bb.627:                              ;   in Loop: Header=BB388_13 Depth=1
	v_cmp_ne_u16_e32 vcc, s43, v58
	v_bfrev_b32_e32 v1, 1
	s_and_saveexec_b64 s[38:39], vcc
	s_cbranch_execz .LBB388_631
; %bb.628:                              ;   in Loop: Header=BB388_13 Depth=1
	v_and_b32_e32 v2, 0x7f, v58
	v_cmp_ne_u32_e32 vcc, s44, v2
	v_mov_b32_e32 v1, 0x7f800001
	s_and_saveexec_b64 s[40:41], vcc
	s_cbranch_execz .LBB388_630
; %bb.629:                              ;   in Loop: Header=BB388_13 Depth=1
	v_and_b32_e32 v1, 7, v58
	v_lshrrev_b32_e32 v4, 3, v2
	v_cmp_gt_u32_e32 vcc, 8, v2
	v_ffbh_u32_e32 v2, v1
	v_min_u32_e32 v5, 32, v2
	v_subrev_u32_e32 v2, 28, v5
	v_lshlrev_b64 v[2:3], v2, v[58:59]
	v_sub_u32_e32 v3, 29, v5
	v_and_b32_e32 v2, 7, v2
	v_cndmask_b32_e32 v3, v4, v3, vcc
	v_cndmask_b32_e32 v1, v1, v2, vcc
	v_lshlrev_b32_e32 v2, 16, v56
	v_bfrev_b32_e32 v4, 60
	v_lshlrev_b32_e32 v1, 20, v1
	v_and_b32_e32 v2, 0x80000000, v2
	v_lshl_add_u32 v3, v3, 23, v4
	v_or3_b32 v1, v2, v3, v1
.LBB388_630:                            ;   in Loop: Header=BB388_13 Depth=1
	s_or_b64 exec, exec, s[40:41]
.LBB388_631:                            ;   in Loop: Header=BB388_13 Depth=1
	s_or_b64 exec, exec, s[38:39]
.LBB388_632:                            ;   in Loop: Header=BB388_13 Depth=1
	s_or_b64 exec, exec, s[36:37]
	v_mul_f32_e32 v1, v0, v1
	v_and_b32_e32 v2, 0x7f800000, v1
	v_cmp_ne_u32_e32 vcc, s45, v2
                                        ; implicit-def: $vgpr2
                                        ; kill: killed $vgpr2
	s_and_saveexec_b64 s[36:37], vcc
	s_xor_b64 vcc, exec, s[36:37]
	s_cbranch_execz .LBB388_634
; %bb.633:                              ;   in Loop: Header=BB388_13 Depth=1
	v_bfe_u32 v2, v1, 16, 1
	v_add3_u32 v1, v1, v2, s46
	buffer_store_dword v1, off, s[0:3], s32 offset:652 ; 4-byte Folded Spill
                                        ; implicit-def: $vgpr1
.LBB388_634:                            ;   in Loop: Header=BB388_13 Depth=1
	s_andn2_saveexec_b64 s[36:37], vcc
	s_cbranch_execz .LBB388_636
; %bb.635:                              ;   in Loop: Header=BB388_13 Depth=1
	v_or_b32_e32 v2, 0x10000, v1
	v_cmp_eq_u32_sdwa vcc, v1, v30 src0_sel:WORD_0 src1_sel:DWORD
	v_cndmask_b32_e32 v1, v2, v1, vcc
	buffer_store_dword v1, off, s[0:3], s32 offset:652 ; 4-byte Folded Spill
.LBB388_636:                            ;   in Loop: Header=BB388_13 Depth=1
	s_or_b64 exec, exec, s[36:37]
	v_lshrrev_b32_e32 v58, 16, v56
	v_cmp_ne_u16_sdwa vcc, v58, v30 src0_sel:BYTE_0 src1_sel:DWORD
	v_mov_b32_e32 v1, 0
	s_and_saveexec_b64 s[36:37], vcc
	s_cbranch_execz .LBB388_642
; %bb.637:                              ;   in Loop: Header=BB388_13 Depth=1
	v_cmp_ne_u16_sdwa vcc, v58, s43 src0_sel:BYTE_0 src1_sel:DWORD
	v_bfrev_b32_e32 v1, 1
	s_and_saveexec_b64 s[38:39], vcc
	s_cbranch_execz .LBB388_641
; %bb.638:                              ;   in Loop: Header=BB388_13 Depth=1
	v_bfe_u32 v2, v56, 16, 7
	v_cmp_ne_u32_e32 vcc, s44, v2
	v_mov_b32_e32 v1, 0x7f800001
	s_and_saveexec_b64 s[40:41], vcc
	s_cbranch_execz .LBB388_640
; %bb.639:                              ;   in Loop: Header=BB388_13 Depth=1
	v_and_b32_e32 v1, 7, v58
	v_lshrrev_b32_e32 v4, 3, v2
	v_cmp_gt_u32_e32 vcc, 8, v2
	v_ffbh_u32_e32 v2, v1
	v_min_u32_e32 v5, 32, v2
	v_subrev_u32_e32 v2, 28, v5
	v_lshlrev_b64 v[2:3], v2, v[58:59]
	v_sub_u32_e32 v3, 29, v5
	v_and_b32_e32 v2, 7, v2
	v_cndmask_b32_e32 v3, v4, v3, vcc
	v_cndmask_b32_e32 v1, v1, v2, vcc
	v_lshlrev_b32_e32 v2, 24, v58
	v_bfrev_b32_e32 v4, 60
	v_lshlrev_b32_e32 v1, 20, v1
	v_and_b32_e32 v2, 0x80000000, v2
	v_lshl_add_u32 v3, v3, 23, v4
	v_or3_b32 v1, v2, v3, v1
.LBB388_640:                            ;   in Loop: Header=BB388_13 Depth=1
	s_or_b64 exec, exec, s[40:41]
.LBB388_641:                            ;   in Loop: Header=BB388_13 Depth=1
	s_or_b64 exec, exec, s[38:39]
.LBB388_642:                            ;   in Loop: Header=BB388_13 Depth=1
	s_or_b64 exec, exec, s[36:37]
	v_mul_f32_e32 v1, v0, v1
	v_and_b32_e32 v2, 0x7f800000, v1
	v_cmp_ne_u32_e32 vcc, s45, v2
                                        ; implicit-def: $vgpr2
                                        ; kill: killed $vgpr2
	s_and_saveexec_b64 s[36:37], vcc
	s_xor_b64 vcc, exec, s[36:37]
	s_cbranch_execz .LBB388_644
; %bb.643:                              ;   in Loop: Header=BB388_13 Depth=1
	v_bfe_u32 v2, v1, 16, 1
	v_add3_u32 v1, v1, v2, s46
	buffer_store_dword v1, off, s[0:3], s32 offset:656 ; 4-byte Folded Spill
                                        ; implicit-def: $vgpr1
.LBB388_644:                            ;   in Loop: Header=BB388_13 Depth=1
	s_andn2_saveexec_b64 s[36:37], vcc
	s_cbranch_execz .LBB388_646
; %bb.645:                              ;   in Loop: Header=BB388_13 Depth=1
	v_or_b32_e32 v2, 0x10000, v1
	v_cmp_eq_u32_sdwa vcc, v1, v30 src0_sel:WORD_0 src1_sel:DWORD
	v_cndmask_b32_e32 v1, v2, v1, vcc
	buffer_store_dword v1, off, s[0:3], s32 offset:656 ; 4-byte Folded Spill
.LBB388_646:                            ;   in Loop: Header=BB388_13 Depth=1
	s_or_b64 exec, exec, s[36:37]
	v_cmp_lt_u32_e32 vcc, s47, v56
	v_mov_b32_e32 v1, 0
	s_and_saveexec_b64 s[36:37], vcc
	s_cbranch_execz .LBB388_652
; %bb.647:                              ;   in Loop: Header=BB388_13 Depth=1
	v_lshrrev_b32_e32 v58, 24, v56
	v_cmp_ne_u32_e32 vcc, s43, v58
	v_bfrev_b32_e32 v1, 1
	s_and_saveexec_b64 s[38:39], vcc
	s_cbranch_execz .LBB388_651
; %bb.648:                              ;   in Loop: Header=BB388_13 Depth=1
	v_bfe_u32 v2, v56, 24, 7
	v_cmp_ne_u32_e32 vcc, s44, v2
	v_mov_b32_e32 v1, 0x7f800001
	s_and_saveexec_b64 s[40:41], vcc
	s_cbranch_execz .LBB388_650
; %bb.649:                              ;   in Loop: Header=BB388_13 Depth=1
	v_and_b32_e32 v1, 7, v58
	v_lshrrev_b32_e32 v4, 3, v2
	v_cmp_gt_u32_e32 vcc, 8, v2
	v_ffbh_u32_e32 v2, v1
	v_min_u32_e32 v5, 32, v2
	v_subrev_u32_e32 v2, 28, v5
	v_lshlrev_b64 v[2:3], v2, v[58:59]
	v_sub_u32_e32 v3, 29, v5
	v_and_b32_e32 v2, 7, v2
	v_cndmask_b32_e32 v3, v4, v3, vcc
	v_cndmask_b32_e32 v1, v1, v2, vcc
	v_lshlrev_b32_e32 v2, 24, v58
	v_bfrev_b32_e32 v4, 60
	v_lshlrev_b32_e32 v1, 20, v1
	v_and_b32_e32 v2, 0x80000000, v2
	v_lshl_add_u32 v3, v3, 23, v4
	v_or3_b32 v1, v2, v3, v1
.LBB388_650:                            ;   in Loop: Header=BB388_13 Depth=1
	s_or_b64 exec, exec, s[40:41]
.LBB388_651:                            ;   in Loop: Header=BB388_13 Depth=1
	s_or_b64 exec, exec, s[38:39]
.LBB388_652:                            ;   in Loop: Header=BB388_13 Depth=1
	s_or_b64 exec, exec, s[36:37]
	v_mul_f32_e32 v1, v0, v1
	v_and_b32_e32 v2, 0x7f800000, v1
	v_cmp_ne_u32_e32 vcc, s45, v2
                                        ; implicit-def: $vgpr13
	s_and_saveexec_b64 s[36:37], vcc
	s_xor_b64 vcc, exec, s[36:37]
; %bb.653:                              ;   in Loop: Header=BB388_13 Depth=1
	v_bfe_u32 v2, v1, 16, 1
	v_add3_u32 v13, v1, v2, s46
                                        ; implicit-def: $vgpr1
; %bb.654:                              ;   in Loop: Header=BB388_13 Depth=1
	s_andn2_saveexec_b64 s[36:37], vcc
; %bb.655:                              ;   in Loop: Header=BB388_13 Depth=1
	v_or_b32_e32 v2, 0x10000, v1
	v_cmp_eq_u32_sdwa vcc, v1, v30 src0_sel:WORD_0 src1_sel:DWORD
	v_cndmask_b32_e32 v13, v2, v1, vcc
; %bb.656:                              ;   in Loop: Header=BB388_13 Depth=1
	s_or_b64 exec, exec, s[36:37]
	v_add_co_u32_e32 v2, vcc, 0x1000, v46
	v_addc_co_u32_e32 v3, vcc, 0, v47, vcc
	flat_load_dword v56, v[2:3]
	v_mov_b32_e32 v1, 0
	s_waitcnt vmcnt(0) lgkmcnt(0)
	v_cmp_ne_u16_sdwa vcc, v56, v30 src0_sel:BYTE_0 src1_sel:DWORD
	s_and_saveexec_b64 s[36:37], vcc
	s_cbranch_execz .LBB388_662
; %bb.657:                              ;   in Loop: Header=BB388_13 Depth=1
	v_cmp_ne_u16_sdwa vcc, v56, s43 src0_sel:BYTE_0 src1_sel:DWORD
	v_bfrev_b32_e32 v1, 1
	s_and_saveexec_b64 s[38:39], vcc
	s_cbranch_execz .LBB388_661
; %bb.658:                              ;   in Loop: Header=BB388_13 Depth=1
	v_and_b32_e32 v2, 0x7f, v56
	v_cmp_ne_u32_e32 vcc, s44, v2
	v_mov_b32_e32 v1, 0x7f800001
	s_and_saveexec_b64 s[40:41], vcc
	s_cbranch_execz .LBB388_660
; %bb.659:                              ;   in Loop: Header=BB388_13 Depth=1
	v_and_b32_e32 v1, 7, v56
	v_lshrrev_b32_e32 v4, 3, v2
	v_cmp_gt_u32_e32 vcc, 8, v2
	v_ffbh_u32_e32 v2, v1
	v_min_u32_e32 v5, 32, v2
	v_subrev_u32_e32 v2, 28, v5
	v_lshlrev_b64 v[2:3], v2, v[56:57]
	v_sub_u32_e32 v3, 29, v5
	v_and_b32_e32 v2, 7, v2
	v_cndmask_b32_e32 v3, v4, v3, vcc
	v_cndmask_b32_e32 v1, v1, v2, vcc
	v_lshlrev_b32_e32 v2, 24, v56
	v_bfrev_b32_e32 v4, 60
	v_lshlrev_b32_e32 v1, 20, v1
	v_and_b32_e32 v2, 0x80000000, v2
	v_lshl_add_u32 v3, v3, 23, v4
	v_or3_b32 v1, v2, v3, v1
.LBB388_660:                            ;   in Loop: Header=BB388_13 Depth=1
	s_or_b64 exec, exec, s[40:41]
.LBB388_661:                            ;   in Loop: Header=BB388_13 Depth=1
	s_or_b64 exec, exec, s[38:39]
.LBB388_662:                            ;   in Loop: Header=BB388_13 Depth=1
	s_or_b64 exec, exec, s[36:37]
	v_mul_f32_e32 v1, v0, v1
	v_and_b32_e32 v2, 0x7f800000, v1
	v_cmp_ne_u32_e32 vcc, s45, v2
                                        ; implicit-def: $vgpr54
	s_and_saveexec_b64 s[36:37], vcc
	s_xor_b64 vcc, exec, s[36:37]
; %bb.663:                              ;   in Loop: Header=BB388_13 Depth=1
	v_bfe_u32 v2, v1, 16, 1
	v_add3_u32 v54, v1, v2, s46
                                        ; implicit-def: $vgpr1
; %bb.664:                              ;   in Loop: Header=BB388_13 Depth=1
	s_andn2_saveexec_b64 s[36:37], vcc
; %bb.665:                              ;   in Loop: Header=BB388_13 Depth=1
	v_or_b32_e32 v2, 0x10000, v1
	v_cmp_eq_u32_sdwa vcc, v1, v30 src0_sel:WORD_0 src1_sel:DWORD
	v_cndmask_b32_e32 v54, v2, v1, vcc
; %bb.666:                              ;   in Loop: Header=BB388_13 Depth=1
	s_or_b64 exec, exec, s[36:37]
	v_lshrrev_b16_e32 v58, 8, v56
	v_cmp_ne_u16_e32 vcc, 0, v58
	v_mov_b32_e32 v1, 0
	s_and_saveexec_b64 s[36:37], vcc
	s_cbranch_execz .LBB388_672
; %bb.667:                              ;   in Loop: Header=BB388_13 Depth=1
	v_cmp_ne_u16_e32 vcc, s43, v58
	v_bfrev_b32_e32 v1, 1
	s_and_saveexec_b64 s[38:39], vcc
	s_cbranch_execz .LBB388_671
; %bb.668:                              ;   in Loop: Header=BB388_13 Depth=1
	v_and_b32_e32 v2, 0x7f, v58
	v_cmp_ne_u32_e32 vcc, s44, v2
	v_mov_b32_e32 v1, 0x7f800001
	s_and_saveexec_b64 s[40:41], vcc
	s_cbranch_execz .LBB388_670
; %bb.669:                              ;   in Loop: Header=BB388_13 Depth=1
	v_and_b32_e32 v1, 7, v58
	v_lshrrev_b32_e32 v4, 3, v2
	v_cmp_gt_u32_e32 vcc, 8, v2
	v_ffbh_u32_e32 v2, v1
	v_min_u32_e32 v5, 32, v2
	v_subrev_u32_e32 v2, 28, v5
	v_lshlrev_b64 v[2:3], v2, v[58:59]
	v_sub_u32_e32 v3, 29, v5
	v_and_b32_e32 v2, 7, v2
	v_cndmask_b32_e32 v3, v4, v3, vcc
	v_cndmask_b32_e32 v1, v1, v2, vcc
	v_lshlrev_b32_e32 v2, 16, v56
	v_bfrev_b32_e32 v4, 60
	v_lshlrev_b32_e32 v1, 20, v1
	v_and_b32_e32 v2, 0x80000000, v2
	v_lshl_add_u32 v3, v3, 23, v4
	v_or3_b32 v1, v2, v3, v1
.LBB388_670:                            ;   in Loop: Header=BB388_13 Depth=1
	s_or_b64 exec, exec, s[40:41]
.LBB388_671:                            ;   in Loop: Header=BB388_13 Depth=1
	s_or_b64 exec, exec, s[38:39]
.LBB388_672:                            ;   in Loop: Header=BB388_13 Depth=1
	s_or_b64 exec, exec, s[36:37]
	v_mul_f32_e32 v1, v0, v1
	v_and_b32_e32 v2, 0x7f800000, v1
	v_cmp_ne_u32_e32 vcc, s45, v2
                                        ; implicit-def: $vgpr53
	s_and_saveexec_b64 s[36:37], vcc
	s_xor_b64 vcc, exec, s[36:37]
; %bb.673:                              ;   in Loop: Header=BB388_13 Depth=1
	v_bfe_u32 v2, v1, 16, 1
	v_add3_u32 v53, v1, v2, s46
                                        ; implicit-def: $vgpr1
; %bb.674:                              ;   in Loop: Header=BB388_13 Depth=1
	s_andn2_saveexec_b64 s[36:37], vcc
; %bb.675:                              ;   in Loop: Header=BB388_13 Depth=1
	v_or_b32_e32 v2, 0x10000, v1
	v_cmp_eq_u32_sdwa vcc, v1, v30 src0_sel:WORD_0 src1_sel:DWORD
	v_cndmask_b32_e32 v53, v2, v1, vcc
; %bb.676:                              ;   in Loop: Header=BB388_13 Depth=1
	s_or_b64 exec, exec, s[36:37]
	v_lshrrev_b32_e32 v58, 16, v56
	v_cmp_ne_u16_sdwa vcc, v58, v30 src0_sel:BYTE_0 src1_sel:DWORD
	v_mov_b32_e32 v1, 0
	s_and_saveexec_b64 s[36:37], vcc
	s_cbranch_execz .LBB388_682
; %bb.677:                              ;   in Loop: Header=BB388_13 Depth=1
	v_cmp_ne_u16_sdwa vcc, v58, s43 src0_sel:BYTE_0 src1_sel:DWORD
	v_bfrev_b32_e32 v1, 1
	s_and_saveexec_b64 s[38:39], vcc
	s_cbranch_execz .LBB388_681
; %bb.678:                              ;   in Loop: Header=BB388_13 Depth=1
	v_bfe_u32 v2, v56, 16, 7
	v_cmp_ne_u32_e32 vcc, s44, v2
	v_mov_b32_e32 v1, 0x7f800001
	s_and_saveexec_b64 s[40:41], vcc
	s_cbranch_execz .LBB388_680
; %bb.679:                              ;   in Loop: Header=BB388_13 Depth=1
	v_and_b32_e32 v1, 7, v58
	v_lshrrev_b32_e32 v4, 3, v2
	v_cmp_gt_u32_e32 vcc, 8, v2
	v_ffbh_u32_e32 v2, v1
	v_min_u32_e32 v5, 32, v2
	v_subrev_u32_e32 v2, 28, v5
	v_lshlrev_b64 v[2:3], v2, v[58:59]
	v_sub_u32_e32 v3, 29, v5
	v_and_b32_e32 v2, 7, v2
	v_cndmask_b32_e32 v3, v4, v3, vcc
	v_cndmask_b32_e32 v1, v1, v2, vcc
	v_lshlrev_b32_e32 v2, 24, v58
	v_bfrev_b32_e32 v4, 60
	v_lshlrev_b32_e32 v1, 20, v1
	v_and_b32_e32 v2, 0x80000000, v2
	v_lshl_add_u32 v3, v3, 23, v4
	v_or3_b32 v1, v2, v3, v1
.LBB388_680:                            ;   in Loop: Header=BB388_13 Depth=1
	s_or_b64 exec, exec, s[40:41]
.LBB388_681:                            ;   in Loop: Header=BB388_13 Depth=1
	s_or_b64 exec, exec, s[38:39]
.LBB388_682:                            ;   in Loop: Header=BB388_13 Depth=1
	s_or_b64 exec, exec, s[36:37]
	v_mul_f32_e32 v1, v0, v1
	v_and_b32_e32 v2, 0x7f800000, v1
	v_cmp_ne_u32_e32 vcc, s45, v2
                                        ; implicit-def: $vgpr55
	s_and_saveexec_b64 s[36:37], vcc
	s_xor_b64 vcc, exec, s[36:37]
; %bb.683:                              ;   in Loop: Header=BB388_13 Depth=1
	v_bfe_u32 v2, v1, 16, 1
	v_add3_u32 v55, v1, v2, s46
                                        ; implicit-def: $vgpr1
; %bb.684:                              ;   in Loop: Header=BB388_13 Depth=1
	s_andn2_saveexec_b64 s[36:37], vcc
; %bb.685:                              ;   in Loop: Header=BB388_13 Depth=1
	v_or_b32_e32 v2, 0x10000, v1
	v_cmp_eq_u32_sdwa vcc, v1, v30 src0_sel:WORD_0 src1_sel:DWORD
	v_cndmask_b32_e32 v55, v2, v1, vcc
; %bb.686:                              ;   in Loop: Header=BB388_13 Depth=1
	s_or_b64 exec, exec, s[36:37]
	v_cmp_lt_u32_e32 vcc, s47, v56
	v_mov_b32_e32 v1, 0
	s_and_saveexec_b64 s[36:37], vcc
	s_cbranch_execz .LBB388_692
; %bb.687:                              ;   in Loop: Header=BB388_13 Depth=1
	v_lshrrev_b32_e32 v58, 24, v56
	v_cmp_ne_u32_e32 vcc, s43, v58
	v_bfrev_b32_e32 v1, 1
	s_and_saveexec_b64 s[38:39], vcc
	s_cbranch_execz .LBB388_691
; %bb.688:                              ;   in Loop: Header=BB388_13 Depth=1
	v_bfe_u32 v2, v56, 24, 7
	v_cmp_ne_u32_e32 vcc, s44, v2
	v_mov_b32_e32 v1, 0x7f800001
	s_and_saveexec_b64 s[40:41], vcc
	s_cbranch_execz .LBB388_690
; %bb.689:                              ;   in Loop: Header=BB388_13 Depth=1
	v_and_b32_e32 v1, 7, v58
	v_lshrrev_b32_e32 v4, 3, v2
	v_cmp_gt_u32_e32 vcc, 8, v2
	v_ffbh_u32_e32 v2, v1
	v_min_u32_e32 v5, 32, v2
	v_subrev_u32_e32 v2, 28, v5
	v_lshlrev_b64 v[2:3], v2, v[58:59]
	v_sub_u32_e32 v3, 29, v5
	v_and_b32_e32 v2, 7, v2
	v_cndmask_b32_e32 v3, v4, v3, vcc
	v_cndmask_b32_e32 v1, v1, v2, vcc
	v_lshlrev_b32_e32 v2, 24, v58
	v_bfrev_b32_e32 v4, 60
	v_lshlrev_b32_e32 v1, 20, v1
	v_and_b32_e32 v2, 0x80000000, v2
	v_lshl_add_u32 v3, v3, 23, v4
	v_or3_b32 v1, v2, v3, v1
.LBB388_690:                            ;   in Loop: Header=BB388_13 Depth=1
	s_or_b64 exec, exec, s[40:41]
.LBB388_691:                            ;   in Loop: Header=BB388_13 Depth=1
	s_or_b64 exec, exec, s[38:39]
.LBB388_692:                            ;   in Loop: Header=BB388_13 Depth=1
	s_or_b64 exec, exec, s[36:37]
	v_mul_f32_e32 v1, v0, v1
	v_and_b32_e32 v2, 0x7f800000, v1
	v_cmp_ne_u32_e32 vcc, s45, v2
                                        ; implicit-def: $vgpr44
	s_and_saveexec_b64 s[36:37], vcc
	s_xor_b64 vcc, exec, s[36:37]
; %bb.693:                              ;   in Loop: Header=BB388_13 Depth=1
	v_bfe_u32 v2, v1, 16, 1
	v_add3_u32 v44, v1, v2, s46
                                        ; implicit-def: $vgpr1
; %bb.694:                              ;   in Loop: Header=BB388_13 Depth=1
	s_andn2_saveexec_b64 s[36:37], vcc
; %bb.695:                              ;   in Loop: Header=BB388_13 Depth=1
	v_or_b32_e32 v2, 0x10000, v1
	v_cmp_eq_u32_sdwa vcc, v1, v30 src0_sel:WORD_0 src1_sel:DWORD
	v_cndmask_b32_e32 v44, v2, v1, vcc
; %bb.696:                              ;   in Loop: Header=BB388_13 Depth=1
	s_or_b64 exec, exec, s[36:37]
	v_add_co_u32_e32 v2, vcc, 0x1000, v46
	v_addc_co_u32_e32 v3, vcc, 0, v47, vcc
	flat_load_dword v56, v[2:3] offset:8
	v_mov_b32_e32 v1, 0
	s_waitcnt vmcnt(0) lgkmcnt(0)
	v_cmp_ne_u16_sdwa vcc, v56, v30 src0_sel:BYTE_0 src1_sel:DWORD
	s_and_saveexec_b64 s[36:37], vcc
	s_cbranch_execz .LBB388_702
; %bb.697:                              ;   in Loop: Header=BB388_13 Depth=1
	v_cmp_ne_u16_sdwa vcc, v56, s43 src0_sel:BYTE_0 src1_sel:DWORD
	v_bfrev_b32_e32 v1, 1
	s_and_saveexec_b64 s[38:39], vcc
	s_cbranch_execz .LBB388_701
; %bb.698:                              ;   in Loop: Header=BB388_13 Depth=1
	v_and_b32_e32 v2, 0x7f, v56
	v_cmp_ne_u32_e32 vcc, s44, v2
	v_mov_b32_e32 v1, 0x7f800001
	s_and_saveexec_b64 s[40:41], vcc
	s_cbranch_execz .LBB388_700
; %bb.699:                              ;   in Loop: Header=BB388_13 Depth=1
	v_and_b32_e32 v1, 7, v56
	v_lshrrev_b32_e32 v4, 3, v2
	v_cmp_gt_u32_e32 vcc, 8, v2
	v_ffbh_u32_e32 v2, v1
	v_min_u32_e32 v5, 32, v2
	v_subrev_u32_e32 v2, 28, v5
	v_lshlrev_b64 v[2:3], v2, v[56:57]
	v_sub_u32_e32 v3, 29, v5
	v_and_b32_e32 v2, 7, v2
	v_cndmask_b32_e32 v3, v4, v3, vcc
	v_cndmask_b32_e32 v1, v1, v2, vcc
	v_lshlrev_b32_e32 v2, 24, v56
	v_bfrev_b32_e32 v4, 60
	v_lshlrev_b32_e32 v1, 20, v1
	v_and_b32_e32 v2, 0x80000000, v2
	v_lshl_add_u32 v3, v3, 23, v4
	v_or3_b32 v1, v2, v3, v1
.LBB388_700:                            ;   in Loop: Header=BB388_13 Depth=1
	s_or_b64 exec, exec, s[40:41]
.LBB388_701:                            ;   in Loop: Header=BB388_13 Depth=1
	s_or_b64 exec, exec, s[38:39]
.LBB388_702:                            ;   in Loop: Header=BB388_13 Depth=1
	s_or_b64 exec, exec, s[36:37]
	v_mul_f32_e32 v1, v0, v1
	v_and_b32_e32 v2, 0x7f800000, v1
	v_cmp_ne_u32_e32 vcc, s45, v2
                                        ; implicit-def: $vgpr45
	s_and_saveexec_b64 s[36:37], vcc
	s_xor_b64 vcc, exec, s[36:37]
; %bb.703:                              ;   in Loop: Header=BB388_13 Depth=1
	v_bfe_u32 v2, v1, 16, 1
	v_add3_u32 v45, v1, v2, s46
                                        ; implicit-def: $vgpr1
; %bb.704:                              ;   in Loop: Header=BB388_13 Depth=1
	s_andn2_saveexec_b64 s[36:37], vcc
; %bb.705:                              ;   in Loop: Header=BB388_13 Depth=1
	v_or_b32_e32 v2, 0x10000, v1
	v_cmp_eq_u32_sdwa vcc, v1, v30 src0_sel:WORD_0 src1_sel:DWORD
	v_cndmask_b32_e32 v45, v2, v1, vcc
; %bb.706:                              ;   in Loop: Header=BB388_13 Depth=1
	s_or_b64 exec, exec, s[36:37]
	v_lshrrev_b16_e32 v58, 8, v56
	v_cmp_ne_u16_e32 vcc, 0, v58
	v_mov_b32_e32 v1, 0
	s_and_saveexec_b64 s[36:37], vcc
	s_cbranch_execz .LBB388_712
; %bb.707:                              ;   in Loop: Header=BB388_13 Depth=1
	v_cmp_ne_u16_e32 vcc, s43, v58
	v_bfrev_b32_e32 v1, 1
	s_and_saveexec_b64 s[38:39], vcc
	s_cbranch_execz .LBB388_711
; %bb.708:                              ;   in Loop: Header=BB388_13 Depth=1
	v_and_b32_e32 v2, 0x7f, v58
	v_cmp_ne_u32_e32 vcc, s44, v2
	v_mov_b32_e32 v1, 0x7f800001
	s_and_saveexec_b64 s[40:41], vcc
	s_cbranch_execz .LBB388_710
; %bb.709:                              ;   in Loop: Header=BB388_13 Depth=1
	v_and_b32_e32 v1, 7, v58
	v_lshrrev_b32_e32 v4, 3, v2
	v_cmp_gt_u32_e32 vcc, 8, v2
	v_ffbh_u32_e32 v2, v1
	v_min_u32_e32 v5, 32, v2
	v_subrev_u32_e32 v2, 28, v5
	v_lshlrev_b64 v[2:3], v2, v[58:59]
	v_sub_u32_e32 v3, 29, v5
	v_and_b32_e32 v2, 7, v2
	v_cndmask_b32_e32 v3, v4, v3, vcc
	v_cndmask_b32_e32 v1, v1, v2, vcc
	v_lshlrev_b32_e32 v2, 16, v56
	v_bfrev_b32_e32 v4, 60
	v_lshlrev_b32_e32 v1, 20, v1
	v_and_b32_e32 v2, 0x80000000, v2
	v_lshl_add_u32 v3, v3, 23, v4
	v_or3_b32 v1, v2, v3, v1
.LBB388_710:                            ;   in Loop: Header=BB388_13 Depth=1
	s_or_b64 exec, exec, s[40:41]
.LBB388_711:                            ;   in Loop: Header=BB388_13 Depth=1
	s_or_b64 exec, exec, s[38:39]
.LBB388_712:                            ;   in Loop: Header=BB388_13 Depth=1
	s_or_b64 exec, exec, s[36:37]
	v_mul_f32_e32 v1, v0, v1
	v_and_b32_e32 v2, 0x7f800000, v1
	v_cmp_ne_u32_e32 vcc, s45, v2
                                        ; implicit-def: $vgpr57
	s_and_saveexec_b64 s[36:37], vcc
	s_xor_b64 vcc, exec, s[36:37]
; %bb.713:                              ;   in Loop: Header=BB388_13 Depth=1
	v_bfe_u32 v2, v1, 16, 1
	v_add3_u32 v57, v1, v2, s46
                                        ; implicit-def: $vgpr1
; %bb.714:                              ;   in Loop: Header=BB388_13 Depth=1
	s_andn2_saveexec_b64 s[36:37], vcc
; %bb.715:                              ;   in Loop: Header=BB388_13 Depth=1
	v_or_b32_e32 v2, 0x10000, v1
	v_cmp_eq_u32_sdwa vcc, v1, v30 src0_sel:WORD_0 src1_sel:DWORD
	v_cndmask_b32_e32 v57, v2, v1, vcc
; %bb.716:                              ;   in Loop: Header=BB388_13 Depth=1
	s_or_b64 exec, exec, s[36:37]
	v_lshrrev_b32_e32 v58, 16, v56
	v_cmp_ne_u16_sdwa vcc, v58, v30 src0_sel:BYTE_0 src1_sel:DWORD
	v_mov_b32_e32 v1, 0
	s_and_saveexec_b64 s[36:37], vcc
	s_cbranch_execz .LBB388_722
; %bb.717:                              ;   in Loop: Header=BB388_13 Depth=1
	v_cmp_ne_u16_sdwa vcc, v58, s43 src0_sel:BYTE_0 src1_sel:DWORD
	v_bfrev_b32_e32 v1, 1
	s_and_saveexec_b64 s[38:39], vcc
	s_cbranch_execz .LBB388_721
; %bb.718:                              ;   in Loop: Header=BB388_13 Depth=1
	v_bfe_u32 v2, v56, 16, 7
	v_cmp_ne_u32_e32 vcc, s44, v2
	v_mov_b32_e32 v1, 0x7f800001
	s_and_saveexec_b64 s[40:41], vcc
	s_cbranch_execz .LBB388_720
; %bb.719:                              ;   in Loop: Header=BB388_13 Depth=1
	v_and_b32_e32 v1, 7, v58
	v_lshrrev_b32_e32 v4, 3, v2
	v_cmp_gt_u32_e32 vcc, 8, v2
	v_ffbh_u32_e32 v2, v1
	v_min_u32_e32 v5, 32, v2
	v_subrev_u32_e32 v2, 28, v5
	v_lshlrev_b64 v[2:3], v2, v[58:59]
	v_sub_u32_e32 v3, 29, v5
	v_and_b32_e32 v2, 7, v2
	v_cndmask_b32_e32 v3, v4, v3, vcc
	v_cndmask_b32_e32 v1, v1, v2, vcc
	v_lshlrev_b32_e32 v2, 24, v58
	v_bfrev_b32_e32 v4, 60
	v_lshlrev_b32_e32 v1, 20, v1
	v_and_b32_e32 v2, 0x80000000, v2
	v_lshl_add_u32 v3, v3, 23, v4
	v_or3_b32 v1, v2, v3, v1
.LBB388_720:                            ;   in Loop: Header=BB388_13 Depth=1
	s_or_b64 exec, exec, s[40:41]
.LBB388_721:                            ;   in Loop: Header=BB388_13 Depth=1
	s_or_b64 exec, exec, s[38:39]
.LBB388_722:                            ;   in Loop: Header=BB388_13 Depth=1
	s_or_b64 exec, exec, s[36:37]
	v_mul_f32_e32 v1, v0, v1
	v_and_b32_e32 v2, 0x7f800000, v1
	v_cmp_ne_u32_e32 vcc, s45, v2
                                        ; implicit-def: $vgpr59
	s_and_saveexec_b64 s[36:37], vcc
	s_xor_b64 vcc, exec, s[36:37]
; %bb.723:                              ;   in Loop: Header=BB388_13 Depth=1
	v_bfe_u32 v2, v1, 16, 1
	v_add3_u32 v59, v1, v2, s46
                                        ; implicit-def: $vgpr1
; %bb.724:                              ;   in Loop: Header=BB388_13 Depth=1
	s_andn2_saveexec_b64 s[36:37], vcc
; %bb.725:                              ;   in Loop: Header=BB388_13 Depth=1
	v_or_b32_e32 v2, 0x10000, v1
	v_cmp_eq_u32_sdwa vcc, v1, v30 src0_sel:WORD_0 src1_sel:DWORD
	v_cndmask_b32_e32 v59, v2, v1, vcc
; %bb.726:                              ;   in Loop: Header=BB388_13 Depth=1
	s_or_b64 exec, exec, s[36:37]
	v_cmp_lt_u32_e32 vcc, s47, v56
	v_mov_b32_e32 v1, 0
	s_and_saveexec_b64 s[36:37], vcc
	s_cbranch_execz .LBB388_732
; %bb.727:                              ;   in Loop: Header=BB388_13 Depth=1
	v_lshrrev_b32_e32 v58, 24, v56
	v_cmp_ne_u32_e32 vcc, s43, v58
	v_bfrev_b32_e32 v1, 1
	s_and_saveexec_b64 s[38:39], vcc
	s_cbranch_execz .LBB388_731
; %bb.728:                              ;   in Loop: Header=BB388_13 Depth=1
	v_bfe_u32 v2, v56, 24, 7
	v_cmp_ne_u32_e32 vcc, s44, v2
	v_mov_b32_e32 v1, 0x7f800001
	s_and_saveexec_b64 s[40:41], vcc
	s_cbranch_execz .LBB388_730
; %bb.729:                              ;   in Loop: Header=BB388_13 Depth=1
	v_and_b32_e32 v1, 7, v58
	v_lshrrev_b32_e32 v4, 3, v2
	v_cmp_gt_u32_e32 vcc, 8, v2
	v_ffbh_u32_e32 v2, v1
	v_min_u32_e32 v5, 32, v2
	v_subrev_u32_e32 v2, 28, v5
	v_lshlrev_b64 v[2:3], v2, v[58:59]
	v_sub_u32_e32 v3, 29, v5
	v_and_b32_e32 v2, 7, v2
	v_cndmask_b32_e32 v3, v4, v3, vcc
	v_cndmask_b32_e32 v1, v1, v2, vcc
	v_lshlrev_b32_e32 v2, 24, v58
	v_bfrev_b32_e32 v4, 60
	v_lshlrev_b32_e32 v1, 20, v1
	v_and_b32_e32 v2, 0x80000000, v2
	v_lshl_add_u32 v3, v3, 23, v4
	v_or3_b32 v1, v2, v3, v1
.LBB388_730:                            ;   in Loop: Header=BB388_13 Depth=1
	s_or_b64 exec, exec, s[40:41]
.LBB388_731:                            ;   in Loop: Header=BB388_13 Depth=1
	s_or_b64 exec, exec, s[38:39]
.LBB388_732:                            ;   in Loop: Header=BB388_13 Depth=1
	s_or_b64 exec, exec, s[36:37]
	v_mul_f32_e32 v1, v0, v1
	v_and_b32_e32 v2, 0x7f800000, v1
	v_cmp_ne_u32_e32 vcc, s45, v2
                                        ; implicit-def: $vgpr60
	s_and_saveexec_b64 s[36:37], vcc
	s_xor_b64 vcc, exec, s[36:37]
; %bb.733:                              ;   in Loop: Header=BB388_13 Depth=1
	v_bfe_u32 v2, v1, 16, 1
	v_add3_u32 v60, v1, v2, s46
                                        ; implicit-def: $vgpr1
; %bb.734:                              ;   in Loop: Header=BB388_13 Depth=1
	s_andn2_saveexec_b64 s[36:37], vcc
; %bb.735:                              ;   in Loop: Header=BB388_13 Depth=1
	v_or_b32_e32 v2, 0x10000, v1
	v_cmp_eq_u32_sdwa vcc, v1, v30 src0_sel:WORD_0 src1_sel:DWORD
	v_cndmask_b32_e32 v60, v2, v1, vcc
; %bb.736:                              ;   in Loop: Header=BB388_13 Depth=1
	s_or_b64 exec, exec, s[36:37]
	v_add_co_u32_e32 v2, vcc, 0x1000, v46
	v_addc_co_u32_e32 v3, vcc, 0, v47, vcc
	flat_load_dword v56, v[2:3] offset:512
	v_mov_b32_e32 v1, 0
	s_waitcnt vmcnt(0) lgkmcnt(0)
	v_cmp_ne_u16_sdwa vcc, v56, v30 src0_sel:BYTE_0 src1_sel:DWORD
	s_and_saveexec_b64 s[36:37], vcc
	s_cbranch_execz .LBB388_742
; %bb.737:                              ;   in Loop: Header=BB388_13 Depth=1
	v_cmp_ne_u16_sdwa vcc, v56, s43 src0_sel:BYTE_0 src1_sel:DWORD
	v_bfrev_b32_e32 v1, 1
	s_and_saveexec_b64 s[38:39], vcc
	s_cbranch_execz .LBB388_741
; %bb.738:                              ;   in Loop: Header=BB388_13 Depth=1
	v_and_b32_e32 v2, 0x7f, v56
	v_cmp_ne_u32_e32 vcc, s44, v2
	v_mov_b32_e32 v1, 0x7f800001
	s_and_saveexec_b64 s[40:41], vcc
	s_cbranch_execz .LBB388_740
; %bb.739:                              ;   in Loop: Header=BB388_13 Depth=1
	v_and_b32_e32 v1, 7, v56
	v_lshrrev_b32_e32 v4, 3, v2
	v_cmp_gt_u32_e32 vcc, 8, v2
	v_ffbh_u32_e32 v2, v1
	v_min_u32_e32 v5, 32, v2
	v_subrev_u32_e32 v2, 28, v5
	v_lshlrev_b64 v[2:3], v2, v[56:57]
	v_sub_u32_e32 v3, 29, v5
	v_and_b32_e32 v2, 7, v2
	v_cndmask_b32_e32 v3, v4, v3, vcc
	v_cndmask_b32_e32 v1, v1, v2, vcc
	v_lshlrev_b32_e32 v2, 24, v56
	v_bfrev_b32_e32 v4, 60
	v_lshlrev_b32_e32 v1, 20, v1
	v_and_b32_e32 v2, 0x80000000, v2
	v_lshl_add_u32 v3, v3, 23, v4
	v_or3_b32 v1, v2, v3, v1
.LBB388_740:                            ;   in Loop: Header=BB388_13 Depth=1
	s_or_b64 exec, exec, s[40:41]
.LBB388_741:                            ;   in Loop: Header=BB388_13 Depth=1
	s_or_b64 exec, exec, s[38:39]
.LBB388_742:                            ;   in Loop: Header=BB388_13 Depth=1
	s_or_b64 exec, exec, s[36:37]
	v_mul_f32_e32 v1, v0, v1
	v_and_b32_e32 v2, 0x7f800000, v1
	v_cmp_ne_u32_e32 vcc, s45, v2
                                        ; implicit-def: $vgpr61
	s_and_saveexec_b64 s[36:37], vcc
	s_xor_b64 vcc, exec, s[36:37]
; %bb.743:                              ;   in Loop: Header=BB388_13 Depth=1
	v_bfe_u32 v2, v1, 16, 1
	v_add3_u32 v61, v1, v2, s46
                                        ; implicit-def: $vgpr1
; %bb.744:                              ;   in Loop: Header=BB388_13 Depth=1
	s_andn2_saveexec_b64 s[36:37], vcc
; %bb.745:                              ;   in Loop: Header=BB388_13 Depth=1
	v_or_b32_e32 v2, 0x10000, v1
	v_cmp_eq_u32_sdwa vcc, v1, v30 src0_sel:WORD_0 src1_sel:DWORD
	v_cndmask_b32_e32 v61, v2, v1, vcc
; %bb.746:                              ;   in Loop: Header=BB388_13 Depth=1
	s_or_b64 exec, exec, s[36:37]
	v_lshrrev_b16_e32 v58, 8, v56
	v_cmp_ne_u16_e32 vcc, 0, v58
	v_mov_b32_e32 v1, 0
	s_and_saveexec_b64 s[36:37], vcc
	s_cbranch_execz .LBB388_752
; %bb.747:                              ;   in Loop: Header=BB388_13 Depth=1
	v_cmp_ne_u16_e32 vcc, s43, v58
	v_bfrev_b32_e32 v1, 1
	s_and_saveexec_b64 s[38:39], vcc
	s_cbranch_execz .LBB388_751
; %bb.748:                              ;   in Loop: Header=BB388_13 Depth=1
	v_and_b32_e32 v2, 0x7f, v58
	v_cmp_ne_u32_e32 vcc, s44, v2
	v_mov_b32_e32 v1, 0x7f800001
	s_and_saveexec_b64 s[40:41], vcc
	s_cbranch_execz .LBB388_750
; %bb.749:                              ;   in Loop: Header=BB388_13 Depth=1
	v_and_b32_e32 v1, 7, v58
	v_lshrrev_b32_e32 v4, 3, v2
	v_cmp_gt_u32_e32 vcc, 8, v2
	v_ffbh_u32_e32 v2, v1
	v_min_u32_e32 v5, 32, v2
	v_subrev_u32_e32 v2, 28, v5
	v_lshlrev_b64 v[2:3], v2, v[58:59]
	v_sub_u32_e32 v3, 29, v5
	v_and_b32_e32 v2, 7, v2
	v_cndmask_b32_e32 v3, v4, v3, vcc
	v_cndmask_b32_e32 v1, v1, v2, vcc
	v_lshlrev_b32_e32 v2, 16, v56
	v_bfrev_b32_e32 v4, 60
	v_lshlrev_b32_e32 v1, 20, v1
	v_and_b32_e32 v2, 0x80000000, v2
	v_lshl_add_u32 v3, v3, 23, v4
	v_or3_b32 v1, v2, v3, v1
.LBB388_750:                            ;   in Loop: Header=BB388_13 Depth=1
	s_or_b64 exec, exec, s[40:41]
.LBB388_751:                            ;   in Loop: Header=BB388_13 Depth=1
	s_or_b64 exec, exec, s[38:39]
.LBB388_752:                            ;   in Loop: Header=BB388_13 Depth=1
	s_or_b64 exec, exec, s[36:37]
	v_mul_f32_e32 v1, v0, v1
	v_and_b32_e32 v2, 0x7f800000, v1
	v_cmp_ne_u32_e32 vcc, s45, v2
                                        ; implicit-def: $vgpr62
	s_and_saveexec_b64 s[36:37], vcc
	s_xor_b64 vcc, exec, s[36:37]
; %bb.753:                              ;   in Loop: Header=BB388_13 Depth=1
	v_bfe_u32 v2, v1, 16, 1
	v_add3_u32 v62, v1, v2, s46
                                        ; implicit-def: $vgpr1
; %bb.754:                              ;   in Loop: Header=BB388_13 Depth=1
	s_andn2_saveexec_b64 s[36:37], vcc
; %bb.755:                              ;   in Loop: Header=BB388_13 Depth=1
	v_or_b32_e32 v2, 0x10000, v1
	v_cmp_eq_u32_sdwa vcc, v1, v30 src0_sel:WORD_0 src1_sel:DWORD
	v_cndmask_b32_e32 v62, v2, v1, vcc
; %bb.756:                              ;   in Loop: Header=BB388_13 Depth=1
	s_or_b64 exec, exec, s[36:37]
	v_lshrrev_b32_e32 v58, 16, v56
	v_cmp_ne_u16_sdwa vcc, v58, v30 src0_sel:BYTE_0 src1_sel:DWORD
	v_mov_b32_e32 v1, 0
	s_and_saveexec_b64 s[36:37], vcc
	s_cbranch_execz .LBB388_762
; %bb.757:                              ;   in Loop: Header=BB388_13 Depth=1
	v_cmp_ne_u16_sdwa vcc, v58, s43 src0_sel:BYTE_0 src1_sel:DWORD
	v_bfrev_b32_e32 v1, 1
	s_and_saveexec_b64 s[38:39], vcc
	s_cbranch_execz .LBB388_761
; %bb.758:                              ;   in Loop: Header=BB388_13 Depth=1
	v_bfe_u32 v2, v56, 16, 7
	v_cmp_ne_u32_e32 vcc, s44, v2
	v_mov_b32_e32 v1, 0x7f800001
	s_and_saveexec_b64 s[40:41], vcc
	s_cbranch_execz .LBB388_760
; %bb.759:                              ;   in Loop: Header=BB388_13 Depth=1
	v_and_b32_e32 v1, 7, v58
	v_lshrrev_b32_e32 v4, 3, v2
	v_cmp_gt_u32_e32 vcc, 8, v2
	v_ffbh_u32_e32 v2, v1
	v_min_u32_e32 v5, 32, v2
	v_subrev_u32_e32 v2, 28, v5
	v_lshlrev_b64 v[2:3], v2, v[58:59]
	v_sub_u32_e32 v3, 29, v5
	v_and_b32_e32 v2, 7, v2
	v_cndmask_b32_e32 v3, v4, v3, vcc
	v_cndmask_b32_e32 v1, v1, v2, vcc
	v_lshlrev_b32_e32 v2, 24, v58
	v_bfrev_b32_e32 v4, 60
	v_lshlrev_b32_e32 v1, 20, v1
	v_and_b32_e32 v2, 0x80000000, v2
	v_lshl_add_u32 v3, v3, 23, v4
	v_or3_b32 v1, v2, v3, v1
.LBB388_760:                            ;   in Loop: Header=BB388_13 Depth=1
	s_or_b64 exec, exec, s[40:41]
.LBB388_761:                            ;   in Loop: Header=BB388_13 Depth=1
	s_or_b64 exec, exec, s[38:39]
.LBB388_762:                            ;   in Loop: Header=BB388_13 Depth=1
	s_or_b64 exec, exec, s[36:37]
	v_mul_f32_e32 v1, v0, v1
	v_and_b32_e32 v2, 0x7f800000, v1
	v_cmp_ne_u32_e32 vcc, s45, v2
                                        ; implicit-def: $agpr11
	s_and_saveexec_b64 s[36:37], vcc
	s_xor_b64 vcc, exec, s[36:37]
; %bb.763:                              ;   in Loop: Header=BB388_13 Depth=1
	v_bfe_u32 v2, v1, 16, 1
	v_add3_u32 v1, v1, v2, s46
	v_accvgpr_write_b32 a11, v1
                                        ; implicit-def: $vgpr1
; %bb.764:                              ;   in Loop: Header=BB388_13 Depth=1
	s_andn2_saveexec_b64 s[36:37], vcc
; %bb.765:                              ;   in Loop: Header=BB388_13 Depth=1
	v_or_b32_e32 v2, 0x10000, v1
	v_cmp_eq_u32_sdwa vcc, v1, v30 src0_sel:WORD_0 src1_sel:DWORD
	v_cndmask_b32_e32 v1, v2, v1, vcc
	v_accvgpr_write_b32 a11, v1
; %bb.766:                              ;   in Loop: Header=BB388_13 Depth=1
	s_or_b64 exec, exec, s[36:37]
	v_cmp_lt_u32_e32 vcc, s47, v56
	v_mov_b32_e32 v1, 0
	s_and_saveexec_b64 s[36:37], vcc
	s_cbranch_execz .LBB388_772
; %bb.767:                              ;   in Loop: Header=BB388_13 Depth=1
	v_lshrrev_b32_e32 v58, 24, v56
	v_cmp_ne_u32_e32 vcc, s43, v58
	v_bfrev_b32_e32 v1, 1
	s_and_saveexec_b64 s[38:39], vcc
	s_cbranch_execz .LBB388_771
; %bb.768:                              ;   in Loop: Header=BB388_13 Depth=1
	v_bfe_u32 v2, v56, 24, 7
	v_cmp_ne_u32_e32 vcc, s44, v2
	v_mov_b32_e32 v1, 0x7f800001
	s_and_saveexec_b64 s[40:41], vcc
	s_cbranch_execz .LBB388_770
; %bb.769:                              ;   in Loop: Header=BB388_13 Depth=1
	v_and_b32_e32 v1, 7, v58
	v_lshrrev_b32_e32 v4, 3, v2
	v_cmp_gt_u32_e32 vcc, 8, v2
	v_ffbh_u32_e32 v2, v1
	v_min_u32_e32 v5, 32, v2
	v_subrev_u32_e32 v2, 28, v5
	v_lshlrev_b64 v[2:3], v2, v[58:59]
	v_sub_u32_e32 v3, 29, v5
	v_and_b32_e32 v2, 7, v2
	v_cndmask_b32_e32 v3, v4, v3, vcc
	v_cndmask_b32_e32 v1, v1, v2, vcc
	v_lshlrev_b32_e32 v2, 24, v58
	v_bfrev_b32_e32 v4, 60
	v_lshlrev_b32_e32 v1, 20, v1
	v_and_b32_e32 v2, 0x80000000, v2
	v_lshl_add_u32 v3, v3, 23, v4
	v_or3_b32 v1, v2, v3, v1
.LBB388_770:                            ;   in Loop: Header=BB388_13 Depth=1
	s_or_b64 exec, exec, s[40:41]
.LBB388_771:                            ;   in Loop: Header=BB388_13 Depth=1
	s_or_b64 exec, exec, s[38:39]
.LBB388_772:                            ;   in Loop: Header=BB388_13 Depth=1
	s_or_b64 exec, exec, s[36:37]
	v_mul_f32_e32 v1, v0, v1
	v_and_b32_e32 v2, 0x7f800000, v1
	v_cmp_ne_u32_e32 vcc, s45, v2
                                        ; implicit-def: $agpr5
	s_and_saveexec_b64 s[36:37], vcc
	s_xor_b64 vcc, exec, s[36:37]
; %bb.773:                              ;   in Loop: Header=BB388_13 Depth=1
	v_bfe_u32 v2, v1, 16, 1
	v_add3_u32 v1, v1, v2, s46
	v_accvgpr_write_b32 a5, v1
                                        ; implicit-def: $vgpr1
; %bb.774:                              ;   in Loop: Header=BB388_13 Depth=1
	s_andn2_saveexec_b64 s[36:37], vcc
; %bb.775:                              ;   in Loop: Header=BB388_13 Depth=1
	v_or_b32_e32 v2, 0x10000, v1
	v_cmp_eq_u32_sdwa vcc, v1, v30 src0_sel:WORD_0 src1_sel:DWORD
	v_cndmask_b32_e32 v1, v2, v1, vcc
	v_accvgpr_write_b32 a5, v1
; %bb.776:                              ;   in Loop: Header=BB388_13 Depth=1
	s_or_b64 exec, exec, s[36:37]
	v_add_co_u32_e32 v2, vcc, 0x1200, v46
	v_addc_co_u32_e32 v3, vcc, 0, v47, vcc
	flat_load_dword v56, v[2:3] offset:8
	v_mov_b32_e32 v1, 0
	s_waitcnt vmcnt(0) lgkmcnt(0)
	v_cmp_ne_u16_sdwa vcc, v56, v30 src0_sel:BYTE_0 src1_sel:DWORD
	s_and_saveexec_b64 s[36:37], vcc
	s_cbranch_execz .LBB388_782
; %bb.777:                              ;   in Loop: Header=BB388_13 Depth=1
	v_cmp_ne_u16_sdwa vcc, v56, s43 src0_sel:BYTE_0 src1_sel:DWORD
	v_bfrev_b32_e32 v1, 1
	s_and_saveexec_b64 s[38:39], vcc
	s_cbranch_execz .LBB388_781
; %bb.778:                              ;   in Loop: Header=BB388_13 Depth=1
	v_and_b32_e32 v2, 0x7f, v56
	v_cmp_ne_u32_e32 vcc, s44, v2
	v_mov_b32_e32 v1, 0x7f800001
	s_and_saveexec_b64 s[40:41], vcc
	s_cbranch_execz .LBB388_780
; %bb.779:                              ;   in Loop: Header=BB388_13 Depth=1
	v_and_b32_e32 v1, 7, v56
	v_lshrrev_b32_e32 v4, 3, v2
	v_cmp_gt_u32_e32 vcc, 8, v2
	v_ffbh_u32_e32 v2, v1
	v_min_u32_e32 v5, 32, v2
	v_subrev_u32_e32 v2, 28, v5
	v_lshlrev_b64 v[2:3], v2, v[56:57]
	v_sub_u32_e32 v3, 29, v5
	v_and_b32_e32 v2, 7, v2
	v_cndmask_b32_e32 v3, v4, v3, vcc
	v_cndmask_b32_e32 v1, v1, v2, vcc
	v_lshlrev_b32_e32 v2, 24, v56
	v_bfrev_b32_e32 v4, 60
	v_lshlrev_b32_e32 v1, 20, v1
	v_and_b32_e32 v2, 0x80000000, v2
	v_lshl_add_u32 v3, v3, 23, v4
	v_or3_b32 v1, v2, v3, v1
.LBB388_780:                            ;   in Loop: Header=BB388_13 Depth=1
	s_or_b64 exec, exec, s[40:41]
.LBB388_781:                            ;   in Loop: Header=BB388_13 Depth=1
	s_or_b64 exec, exec, s[38:39]
.LBB388_782:                            ;   in Loop: Header=BB388_13 Depth=1
	s_or_b64 exec, exec, s[36:37]
	v_mul_f32_e32 v1, v0, v1
	v_and_b32_e32 v2, 0x7f800000, v1
	v_cmp_ne_u32_e32 vcc, s45, v2
                                        ; implicit-def: $agpr21
	s_and_saveexec_b64 s[36:37], vcc
	s_xor_b64 vcc, exec, s[36:37]
; %bb.783:                              ;   in Loop: Header=BB388_13 Depth=1
	v_bfe_u32 v2, v1, 16, 1
	v_add3_u32 v1, v1, v2, s46
	v_accvgpr_write_b32 a21, v1
                                        ; implicit-def: $vgpr1
; %bb.784:                              ;   in Loop: Header=BB388_13 Depth=1
	s_andn2_saveexec_b64 s[36:37], vcc
; %bb.785:                              ;   in Loop: Header=BB388_13 Depth=1
	v_or_b32_e32 v2, 0x10000, v1
	v_cmp_eq_u32_sdwa vcc, v1, v30 src0_sel:WORD_0 src1_sel:DWORD
	v_cndmask_b32_e32 v1, v2, v1, vcc
	v_accvgpr_write_b32 a21, v1
; %bb.786:                              ;   in Loop: Header=BB388_13 Depth=1
	s_or_b64 exec, exec, s[36:37]
	v_lshrrev_b16_e32 v58, 8, v56
	v_cmp_ne_u16_e32 vcc, 0, v58
	v_mov_b32_e32 v1, 0
	s_and_saveexec_b64 s[36:37], vcc
	s_cbranch_execz .LBB388_792
; %bb.787:                              ;   in Loop: Header=BB388_13 Depth=1
	v_cmp_ne_u16_e32 vcc, s43, v58
	v_bfrev_b32_e32 v1, 1
	s_and_saveexec_b64 s[38:39], vcc
	s_cbranch_execz .LBB388_791
; %bb.788:                              ;   in Loop: Header=BB388_13 Depth=1
	v_and_b32_e32 v2, 0x7f, v58
	v_cmp_ne_u32_e32 vcc, s44, v2
	v_mov_b32_e32 v1, 0x7f800001
	s_and_saveexec_b64 s[40:41], vcc
	s_cbranch_execz .LBB388_790
; %bb.789:                              ;   in Loop: Header=BB388_13 Depth=1
	v_and_b32_e32 v1, 7, v58
	v_lshrrev_b32_e32 v4, 3, v2
	v_cmp_gt_u32_e32 vcc, 8, v2
	v_ffbh_u32_e32 v2, v1
	v_min_u32_e32 v5, 32, v2
	v_subrev_u32_e32 v2, 28, v5
	v_lshlrev_b64 v[2:3], v2, v[58:59]
	v_sub_u32_e32 v3, 29, v5
	v_and_b32_e32 v2, 7, v2
	v_cndmask_b32_e32 v3, v4, v3, vcc
	v_cndmask_b32_e32 v1, v1, v2, vcc
	v_lshlrev_b32_e32 v2, 16, v56
	v_bfrev_b32_e32 v4, 60
	v_lshlrev_b32_e32 v1, 20, v1
	v_and_b32_e32 v2, 0x80000000, v2
	v_lshl_add_u32 v3, v3, 23, v4
	v_or3_b32 v1, v2, v3, v1
.LBB388_790:                            ;   in Loop: Header=BB388_13 Depth=1
	s_or_b64 exec, exec, s[40:41]
.LBB388_791:                            ;   in Loop: Header=BB388_13 Depth=1
	s_or_b64 exec, exec, s[38:39]
.LBB388_792:                            ;   in Loop: Header=BB388_13 Depth=1
	s_or_b64 exec, exec, s[36:37]
	v_mul_f32_e32 v1, v0, v1
	v_and_b32_e32 v2, 0x7f800000, v1
	v_cmp_ne_u32_e32 vcc, s45, v2
                                        ; implicit-def: $agpr14
	s_and_saveexec_b64 s[36:37], vcc
	s_xor_b64 vcc, exec, s[36:37]
; %bb.793:                              ;   in Loop: Header=BB388_13 Depth=1
	v_bfe_u32 v2, v1, 16, 1
	v_add3_u32 v1, v1, v2, s46
	v_accvgpr_write_b32 a14, v1
                                        ; implicit-def: $vgpr1
; %bb.794:                              ;   in Loop: Header=BB388_13 Depth=1
	s_andn2_saveexec_b64 s[36:37], vcc
; %bb.795:                              ;   in Loop: Header=BB388_13 Depth=1
	v_or_b32_e32 v2, 0x10000, v1
	v_cmp_eq_u32_sdwa vcc, v1, v30 src0_sel:WORD_0 src1_sel:DWORD
	v_cndmask_b32_e32 v1, v2, v1, vcc
	v_accvgpr_write_b32 a14, v1
; %bb.796:                              ;   in Loop: Header=BB388_13 Depth=1
	s_or_b64 exec, exec, s[36:37]
	v_lshrrev_b32_e32 v58, 16, v56
	v_cmp_ne_u16_sdwa vcc, v58, v30 src0_sel:BYTE_0 src1_sel:DWORD
	v_mov_b32_e32 v1, 0
	s_and_saveexec_b64 s[36:37], vcc
	s_cbranch_execz .LBB388_802
; %bb.797:                              ;   in Loop: Header=BB388_13 Depth=1
	v_cmp_ne_u16_sdwa vcc, v58, s43 src0_sel:BYTE_0 src1_sel:DWORD
	v_bfrev_b32_e32 v1, 1
	s_and_saveexec_b64 s[38:39], vcc
	s_cbranch_execz .LBB388_801
; %bb.798:                              ;   in Loop: Header=BB388_13 Depth=1
	v_bfe_u32 v2, v56, 16, 7
	v_cmp_ne_u32_e32 vcc, s44, v2
	v_mov_b32_e32 v1, 0x7f800001
	s_and_saveexec_b64 s[40:41], vcc
	s_cbranch_execz .LBB388_800
; %bb.799:                              ;   in Loop: Header=BB388_13 Depth=1
	v_and_b32_e32 v1, 7, v58
	v_lshrrev_b32_e32 v4, 3, v2
	v_cmp_gt_u32_e32 vcc, 8, v2
	v_ffbh_u32_e32 v2, v1
	v_min_u32_e32 v5, 32, v2
	v_subrev_u32_e32 v2, 28, v5
	v_lshlrev_b64 v[2:3], v2, v[58:59]
	v_sub_u32_e32 v3, 29, v5
	v_and_b32_e32 v2, 7, v2
	v_cndmask_b32_e32 v3, v4, v3, vcc
	v_cndmask_b32_e32 v1, v1, v2, vcc
	v_lshlrev_b32_e32 v2, 24, v58
	v_bfrev_b32_e32 v4, 60
	v_lshlrev_b32_e32 v1, 20, v1
	v_and_b32_e32 v2, 0x80000000, v2
	v_lshl_add_u32 v3, v3, 23, v4
	v_or3_b32 v1, v2, v3, v1
.LBB388_800:                            ;   in Loop: Header=BB388_13 Depth=1
	s_or_b64 exec, exec, s[40:41]
.LBB388_801:                            ;   in Loop: Header=BB388_13 Depth=1
	s_or_b64 exec, exec, s[38:39]
.LBB388_802:                            ;   in Loop: Header=BB388_13 Depth=1
	s_or_b64 exec, exec, s[36:37]
	v_mul_f32_e32 v1, v0, v1
	v_and_b32_e32 v2, 0x7f800000, v1
	v_cmp_ne_u32_e32 vcc, s45, v2
                                        ; implicit-def: $agpr28
	s_and_saveexec_b64 s[36:37], vcc
	s_xor_b64 vcc, exec, s[36:37]
; %bb.803:                              ;   in Loop: Header=BB388_13 Depth=1
	v_bfe_u32 v2, v1, 16, 1
	v_add3_u32 v1, v1, v2, s46
	v_accvgpr_write_b32 a28, v1
                                        ; implicit-def: $vgpr1
; %bb.804:                              ;   in Loop: Header=BB388_13 Depth=1
	s_andn2_saveexec_b64 s[36:37], vcc
; %bb.805:                              ;   in Loop: Header=BB388_13 Depth=1
	v_or_b32_e32 v2, 0x10000, v1
	v_cmp_eq_u32_sdwa vcc, v1, v30 src0_sel:WORD_0 src1_sel:DWORD
	v_cndmask_b32_e32 v1, v2, v1, vcc
	v_accvgpr_write_b32 a28, v1
; %bb.806:                              ;   in Loop: Header=BB388_13 Depth=1
	s_or_b64 exec, exec, s[36:37]
	v_cmp_lt_u32_e32 vcc, s47, v56
	v_mov_b32_e32 v1, 0
	s_and_saveexec_b64 s[36:37], vcc
	s_cbranch_execz .LBB388_812
; %bb.807:                              ;   in Loop: Header=BB388_13 Depth=1
	v_lshrrev_b32_e32 v58, 24, v56
	v_cmp_ne_u32_e32 vcc, s43, v58
	v_bfrev_b32_e32 v1, 1
	s_and_saveexec_b64 s[38:39], vcc
	s_cbranch_execz .LBB388_811
; %bb.808:                              ;   in Loop: Header=BB388_13 Depth=1
	v_bfe_u32 v2, v56, 24, 7
	v_cmp_ne_u32_e32 vcc, s44, v2
	v_mov_b32_e32 v1, 0x7f800001
	s_and_saveexec_b64 s[40:41], vcc
	s_cbranch_execz .LBB388_810
; %bb.809:                              ;   in Loop: Header=BB388_13 Depth=1
	v_and_b32_e32 v1, 7, v58
	v_lshrrev_b32_e32 v4, 3, v2
	v_cmp_gt_u32_e32 vcc, 8, v2
	v_ffbh_u32_e32 v2, v1
	v_min_u32_e32 v5, 32, v2
	v_subrev_u32_e32 v2, 28, v5
	v_lshlrev_b64 v[2:3], v2, v[58:59]
	v_sub_u32_e32 v3, 29, v5
	v_and_b32_e32 v2, 7, v2
	v_cndmask_b32_e32 v3, v4, v3, vcc
	v_cndmask_b32_e32 v1, v1, v2, vcc
	v_lshlrev_b32_e32 v2, 24, v58
	v_bfrev_b32_e32 v4, 60
	v_lshlrev_b32_e32 v1, 20, v1
	v_and_b32_e32 v2, 0x80000000, v2
	v_lshl_add_u32 v3, v3, 23, v4
	v_or3_b32 v1, v2, v3, v1
.LBB388_810:                            ;   in Loop: Header=BB388_13 Depth=1
	s_or_b64 exec, exec, s[40:41]
.LBB388_811:                            ;   in Loop: Header=BB388_13 Depth=1
	s_or_b64 exec, exec, s[38:39]
.LBB388_812:                            ;   in Loop: Header=BB388_13 Depth=1
	s_or_b64 exec, exec, s[36:37]
	v_mul_f32_e32 v1, v0, v1
	v_and_b32_e32 v2, 0x7f800000, v1
	v_cmp_ne_u32_e32 vcc, s45, v2
                                        ; implicit-def: $agpr22
	s_and_saveexec_b64 s[36:37], vcc
	s_xor_b64 vcc, exec, s[36:37]
; %bb.813:                              ;   in Loop: Header=BB388_13 Depth=1
	v_bfe_u32 v2, v1, 16, 1
	v_add3_u32 v1, v1, v2, s46
	v_accvgpr_write_b32 a22, v1
                                        ; implicit-def: $vgpr1
; %bb.814:                              ;   in Loop: Header=BB388_13 Depth=1
	s_andn2_saveexec_b64 s[36:37], vcc
; %bb.815:                              ;   in Loop: Header=BB388_13 Depth=1
	v_or_b32_e32 v2, 0x10000, v1
	v_cmp_eq_u32_sdwa vcc, v1, v30 src0_sel:WORD_0 src1_sel:DWORD
	v_cndmask_b32_e32 v1, v2, v1, vcc
	v_accvgpr_write_b32 a22, v1
; %bb.816:                              ;   in Loop: Header=BB388_13 Depth=1
	s_or_b64 exec, exec, s[36:37]
	v_add_co_u32_e32 v2, vcc, 0x1000, v46
	v_addc_co_u32_e32 v3, vcc, 0, v47, vcc
	flat_load_dword v56, v[2:3] offset:1024
	v_mov_b32_e32 v1, 0
	s_waitcnt vmcnt(0) lgkmcnt(0)
	v_cmp_ne_u16_sdwa vcc, v56, v30 src0_sel:BYTE_0 src1_sel:DWORD
	s_and_saveexec_b64 s[36:37], vcc
	s_cbranch_execz .LBB388_822
; %bb.817:                              ;   in Loop: Header=BB388_13 Depth=1
	v_cmp_ne_u16_sdwa vcc, v56, s43 src0_sel:BYTE_0 src1_sel:DWORD
	v_bfrev_b32_e32 v1, 1
	s_and_saveexec_b64 s[38:39], vcc
	s_cbranch_execz .LBB388_821
; %bb.818:                              ;   in Loop: Header=BB388_13 Depth=1
	v_and_b32_e32 v2, 0x7f, v56
	v_cmp_ne_u32_e32 vcc, s44, v2
	v_mov_b32_e32 v1, 0x7f800001
	s_and_saveexec_b64 s[40:41], vcc
	s_cbranch_execz .LBB388_820
; %bb.819:                              ;   in Loop: Header=BB388_13 Depth=1
	v_and_b32_e32 v1, 7, v56
	v_lshrrev_b32_e32 v4, 3, v2
	v_cmp_gt_u32_e32 vcc, 8, v2
	v_ffbh_u32_e32 v2, v1
	v_min_u32_e32 v5, 32, v2
	v_subrev_u32_e32 v2, 28, v5
	v_lshlrev_b64 v[2:3], v2, v[56:57]
	v_sub_u32_e32 v3, 29, v5
	v_and_b32_e32 v2, 7, v2
	v_cndmask_b32_e32 v3, v4, v3, vcc
	v_cndmask_b32_e32 v1, v1, v2, vcc
	v_lshlrev_b32_e32 v2, 24, v56
	v_bfrev_b32_e32 v4, 60
	v_lshlrev_b32_e32 v1, 20, v1
	v_and_b32_e32 v2, 0x80000000, v2
	v_lshl_add_u32 v3, v3, 23, v4
	v_or3_b32 v1, v2, v3, v1
.LBB388_820:                            ;   in Loop: Header=BB388_13 Depth=1
	s_or_b64 exec, exec, s[40:41]
.LBB388_821:                            ;   in Loop: Header=BB388_13 Depth=1
	s_or_b64 exec, exec, s[38:39]
.LBB388_822:                            ;   in Loop: Header=BB388_13 Depth=1
	s_or_b64 exec, exec, s[36:37]
	v_mul_f32_e32 v1, v0, v1
	v_and_b32_e32 v2, 0x7f800000, v1
	v_cmp_ne_u32_e32 vcc, s45, v2
                                        ; implicit-def: $agpr3
	s_and_saveexec_b64 s[36:37], vcc
	s_xor_b64 vcc, exec, s[36:37]
; %bb.823:                              ;   in Loop: Header=BB388_13 Depth=1
	v_bfe_u32 v2, v1, 16, 1
	v_add3_u32 v1, v1, v2, s46
	v_accvgpr_write_b32 a3, v1
                                        ; implicit-def: $vgpr1
; %bb.824:                              ;   in Loop: Header=BB388_13 Depth=1
	s_andn2_saveexec_b64 s[36:37], vcc
; %bb.825:                              ;   in Loop: Header=BB388_13 Depth=1
	v_or_b32_e32 v2, 0x10000, v1
	v_cmp_eq_u32_sdwa vcc, v1, v30 src0_sel:WORD_0 src1_sel:DWORD
	v_cndmask_b32_e32 v1, v2, v1, vcc
	v_accvgpr_write_b32 a3, v1
; %bb.826:                              ;   in Loop: Header=BB388_13 Depth=1
	s_or_b64 exec, exec, s[36:37]
	v_lshrrev_b16_e32 v58, 8, v56
	v_cmp_ne_u16_e32 vcc, 0, v58
	v_mov_b32_e32 v1, 0
	s_and_saveexec_b64 s[36:37], vcc
	s_cbranch_execz .LBB388_832
; %bb.827:                              ;   in Loop: Header=BB388_13 Depth=1
	v_cmp_ne_u16_e32 vcc, s43, v58
	v_bfrev_b32_e32 v1, 1
	s_and_saveexec_b64 s[38:39], vcc
	s_cbranch_execz .LBB388_831
; %bb.828:                              ;   in Loop: Header=BB388_13 Depth=1
	v_and_b32_e32 v2, 0x7f, v58
	v_cmp_ne_u32_e32 vcc, s44, v2
	v_mov_b32_e32 v1, 0x7f800001
	s_and_saveexec_b64 s[40:41], vcc
	s_cbranch_execz .LBB388_830
; %bb.829:                              ;   in Loop: Header=BB388_13 Depth=1
	v_and_b32_e32 v1, 7, v58
	v_lshrrev_b32_e32 v4, 3, v2
	v_cmp_gt_u32_e32 vcc, 8, v2
	v_ffbh_u32_e32 v2, v1
	v_min_u32_e32 v5, 32, v2
	v_subrev_u32_e32 v2, 28, v5
	v_lshlrev_b64 v[2:3], v2, v[58:59]
	v_sub_u32_e32 v3, 29, v5
	v_and_b32_e32 v2, 7, v2
	v_cndmask_b32_e32 v3, v4, v3, vcc
	v_cndmask_b32_e32 v1, v1, v2, vcc
	v_lshlrev_b32_e32 v2, 16, v56
	v_bfrev_b32_e32 v4, 60
	v_lshlrev_b32_e32 v1, 20, v1
	v_and_b32_e32 v2, 0x80000000, v2
	v_lshl_add_u32 v3, v3, 23, v4
	v_or3_b32 v1, v2, v3, v1
.LBB388_830:                            ;   in Loop: Header=BB388_13 Depth=1
	s_or_b64 exec, exec, s[40:41]
.LBB388_831:                            ;   in Loop: Header=BB388_13 Depth=1
	s_or_b64 exec, exec, s[38:39]
.LBB388_832:                            ;   in Loop: Header=BB388_13 Depth=1
	s_or_b64 exec, exec, s[36:37]
	v_mul_f32_e32 v1, v0, v1
	v_and_b32_e32 v2, 0x7f800000, v1
	v_cmp_ne_u32_e32 vcc, s45, v2
                                        ; implicit-def: $agpr8
	s_and_saveexec_b64 s[36:37], vcc
	s_xor_b64 vcc, exec, s[36:37]
; %bb.833:                              ;   in Loop: Header=BB388_13 Depth=1
	v_bfe_u32 v2, v1, 16, 1
	v_add3_u32 v1, v1, v2, s46
	v_accvgpr_write_b32 a8, v1
                                        ; implicit-def: $vgpr1
; %bb.834:                              ;   in Loop: Header=BB388_13 Depth=1
	s_andn2_saveexec_b64 s[36:37], vcc
; %bb.835:                              ;   in Loop: Header=BB388_13 Depth=1
	v_or_b32_e32 v2, 0x10000, v1
	v_cmp_eq_u32_sdwa vcc, v1, v30 src0_sel:WORD_0 src1_sel:DWORD
	v_cndmask_b32_e32 v1, v2, v1, vcc
	v_accvgpr_write_b32 a8, v1
; %bb.836:                              ;   in Loop: Header=BB388_13 Depth=1
	s_or_b64 exec, exec, s[36:37]
	v_lshrrev_b32_e32 v58, 16, v56
	v_cmp_ne_u16_sdwa vcc, v58, v30 src0_sel:BYTE_0 src1_sel:DWORD
	v_mov_b32_e32 v1, 0
	s_and_saveexec_b64 s[36:37], vcc
	s_cbranch_execz .LBB388_842
; %bb.837:                              ;   in Loop: Header=BB388_13 Depth=1
	v_cmp_ne_u16_sdwa vcc, v58, s43 src0_sel:BYTE_0 src1_sel:DWORD
	v_bfrev_b32_e32 v1, 1
	s_and_saveexec_b64 s[38:39], vcc
	s_cbranch_execz .LBB388_841
; %bb.838:                              ;   in Loop: Header=BB388_13 Depth=1
	v_bfe_u32 v2, v56, 16, 7
	v_cmp_ne_u32_e32 vcc, s44, v2
	v_mov_b32_e32 v1, 0x7f800001
	s_and_saveexec_b64 s[40:41], vcc
	s_cbranch_execz .LBB388_840
; %bb.839:                              ;   in Loop: Header=BB388_13 Depth=1
	v_and_b32_e32 v1, 7, v58
	v_lshrrev_b32_e32 v4, 3, v2
	v_cmp_gt_u32_e32 vcc, 8, v2
	v_ffbh_u32_e32 v2, v1
	v_min_u32_e32 v5, 32, v2
	v_subrev_u32_e32 v2, 28, v5
	v_lshlrev_b64 v[2:3], v2, v[58:59]
	v_sub_u32_e32 v3, 29, v5
	v_and_b32_e32 v2, 7, v2
	v_cndmask_b32_e32 v3, v4, v3, vcc
	v_cndmask_b32_e32 v1, v1, v2, vcc
	v_lshlrev_b32_e32 v2, 24, v58
	v_bfrev_b32_e32 v4, 60
	v_lshlrev_b32_e32 v1, 20, v1
	v_and_b32_e32 v2, 0x80000000, v2
	v_lshl_add_u32 v3, v3, 23, v4
	v_or3_b32 v1, v2, v3, v1
.LBB388_840:                            ;   in Loop: Header=BB388_13 Depth=1
	s_or_b64 exec, exec, s[40:41]
.LBB388_841:                            ;   in Loop: Header=BB388_13 Depth=1
	s_or_b64 exec, exec, s[38:39]
.LBB388_842:                            ;   in Loop: Header=BB388_13 Depth=1
	s_or_b64 exec, exec, s[36:37]
	v_mul_f32_e32 v1, v0, v1
	v_and_b32_e32 v2, 0x7f800000, v1
	v_cmp_ne_u32_e32 vcc, s45, v2
                                        ; implicit-def: $agpr16
	s_and_saveexec_b64 s[36:37], vcc
	s_xor_b64 vcc, exec, s[36:37]
; %bb.843:                              ;   in Loop: Header=BB388_13 Depth=1
	v_bfe_u32 v2, v1, 16, 1
	v_add3_u32 v1, v1, v2, s46
	v_accvgpr_write_b32 a16, v1
                                        ; implicit-def: $vgpr1
; %bb.844:                              ;   in Loop: Header=BB388_13 Depth=1
	s_andn2_saveexec_b64 s[36:37], vcc
; %bb.845:                              ;   in Loop: Header=BB388_13 Depth=1
	v_or_b32_e32 v2, 0x10000, v1
	v_cmp_eq_u32_sdwa vcc, v1, v30 src0_sel:WORD_0 src1_sel:DWORD
	v_cndmask_b32_e32 v1, v2, v1, vcc
	v_accvgpr_write_b32 a16, v1
; %bb.846:                              ;   in Loop: Header=BB388_13 Depth=1
	s_or_b64 exec, exec, s[36:37]
	v_cmp_lt_u32_e32 vcc, s47, v56
	v_mov_b32_e32 v1, 0
	s_and_saveexec_b64 s[36:37], vcc
	s_cbranch_execz .LBB388_852
; %bb.847:                              ;   in Loop: Header=BB388_13 Depth=1
	v_lshrrev_b32_e32 v58, 24, v56
	v_cmp_ne_u32_e32 vcc, s43, v58
	v_bfrev_b32_e32 v1, 1
	s_and_saveexec_b64 s[38:39], vcc
	s_cbranch_execz .LBB388_851
; %bb.848:                              ;   in Loop: Header=BB388_13 Depth=1
	v_bfe_u32 v2, v56, 24, 7
	v_cmp_ne_u32_e32 vcc, s44, v2
	v_mov_b32_e32 v1, 0x7f800001
	s_and_saveexec_b64 s[40:41], vcc
	s_cbranch_execz .LBB388_850
; %bb.849:                              ;   in Loop: Header=BB388_13 Depth=1
	v_and_b32_e32 v1, 7, v58
	v_lshrrev_b32_e32 v4, 3, v2
	v_cmp_gt_u32_e32 vcc, 8, v2
	v_ffbh_u32_e32 v2, v1
	v_min_u32_e32 v5, 32, v2
	v_subrev_u32_e32 v2, 28, v5
	v_lshlrev_b64 v[2:3], v2, v[58:59]
	v_sub_u32_e32 v3, 29, v5
	v_and_b32_e32 v2, 7, v2
	v_cndmask_b32_e32 v3, v4, v3, vcc
	v_cndmask_b32_e32 v1, v1, v2, vcc
	v_lshlrev_b32_e32 v2, 24, v58
	v_bfrev_b32_e32 v4, 60
	v_lshlrev_b32_e32 v1, 20, v1
	v_and_b32_e32 v2, 0x80000000, v2
	v_lshl_add_u32 v3, v3, 23, v4
	v_or3_b32 v1, v2, v3, v1
.LBB388_850:                            ;   in Loop: Header=BB388_13 Depth=1
	s_or_b64 exec, exec, s[40:41]
.LBB388_851:                            ;   in Loop: Header=BB388_13 Depth=1
	s_or_b64 exec, exec, s[38:39]
.LBB388_852:                            ;   in Loop: Header=BB388_13 Depth=1
	s_or_b64 exec, exec, s[36:37]
	v_mul_f32_e32 v1, v0, v1
	v_and_b32_e32 v2, 0x7f800000, v1
	v_cmp_ne_u32_e32 vcc, s45, v2
                                        ; implicit-def: $agpr18
	s_and_saveexec_b64 s[36:37], vcc
	s_xor_b64 vcc, exec, s[36:37]
; %bb.853:                              ;   in Loop: Header=BB388_13 Depth=1
	v_bfe_u32 v2, v1, 16, 1
	v_add3_u32 v1, v1, v2, s46
	v_accvgpr_write_b32 a18, v1
                                        ; implicit-def: $vgpr1
; %bb.854:                              ;   in Loop: Header=BB388_13 Depth=1
	s_andn2_saveexec_b64 s[36:37], vcc
; %bb.855:                              ;   in Loop: Header=BB388_13 Depth=1
	v_or_b32_e32 v2, 0x10000, v1
	v_cmp_eq_u32_sdwa vcc, v1, v30 src0_sel:WORD_0 src1_sel:DWORD
	v_cndmask_b32_e32 v1, v2, v1, vcc
	v_accvgpr_write_b32 a18, v1
; %bb.856:                              ;   in Loop: Header=BB388_13 Depth=1
	s_or_b64 exec, exec, s[36:37]
	v_add_co_u32_e32 v2, vcc, 0x1400, v46
	v_addc_co_u32_e32 v3, vcc, 0, v47, vcc
	flat_load_dword v56, v[2:3] offset:8
	v_mov_b32_e32 v1, 0
	s_waitcnt vmcnt(0) lgkmcnt(0)
	v_cmp_ne_u16_sdwa vcc, v56, v30 src0_sel:BYTE_0 src1_sel:DWORD
	s_and_saveexec_b64 s[36:37], vcc
	s_cbranch_execz .LBB388_862
; %bb.857:                              ;   in Loop: Header=BB388_13 Depth=1
	v_cmp_ne_u16_sdwa vcc, v56, s43 src0_sel:BYTE_0 src1_sel:DWORD
	v_bfrev_b32_e32 v1, 1
	s_and_saveexec_b64 s[38:39], vcc
	s_cbranch_execz .LBB388_861
; %bb.858:                              ;   in Loop: Header=BB388_13 Depth=1
	v_and_b32_e32 v2, 0x7f, v56
	v_cmp_ne_u32_e32 vcc, s44, v2
	v_mov_b32_e32 v1, 0x7f800001
	s_and_saveexec_b64 s[40:41], vcc
	s_cbranch_execz .LBB388_860
; %bb.859:                              ;   in Loop: Header=BB388_13 Depth=1
	v_and_b32_e32 v1, 7, v56
	v_lshrrev_b32_e32 v4, 3, v2
	v_cmp_gt_u32_e32 vcc, 8, v2
	v_ffbh_u32_e32 v2, v1
	v_min_u32_e32 v5, 32, v2
	v_subrev_u32_e32 v2, 28, v5
	v_lshlrev_b64 v[2:3], v2, v[56:57]
	v_sub_u32_e32 v3, 29, v5
	v_and_b32_e32 v2, 7, v2
	v_cndmask_b32_e32 v3, v4, v3, vcc
	v_cndmask_b32_e32 v1, v1, v2, vcc
	v_lshlrev_b32_e32 v2, 24, v56
	v_bfrev_b32_e32 v4, 60
	v_lshlrev_b32_e32 v1, 20, v1
	v_and_b32_e32 v2, 0x80000000, v2
	v_lshl_add_u32 v3, v3, 23, v4
	v_or3_b32 v1, v2, v3, v1
.LBB388_860:                            ;   in Loop: Header=BB388_13 Depth=1
	s_or_b64 exec, exec, s[40:41]
.LBB388_861:                            ;   in Loop: Header=BB388_13 Depth=1
	s_or_b64 exec, exec, s[38:39]
.LBB388_862:                            ;   in Loop: Header=BB388_13 Depth=1
	s_or_b64 exec, exec, s[36:37]
	v_mul_f32_e32 v1, v0, v1
	v_and_b32_e32 v2, 0x7f800000, v1
	v_cmp_ne_u32_e32 vcc, s45, v2
                                        ; implicit-def: $agpr4
	s_and_saveexec_b64 s[36:37], vcc
	s_xor_b64 vcc, exec, s[36:37]
; %bb.863:                              ;   in Loop: Header=BB388_13 Depth=1
	v_bfe_u32 v2, v1, 16, 1
	v_add3_u32 v1, v1, v2, s46
	v_accvgpr_write_b32 a4, v1
                                        ; implicit-def: $vgpr1
; %bb.864:                              ;   in Loop: Header=BB388_13 Depth=1
	s_andn2_saveexec_b64 s[36:37], vcc
; %bb.865:                              ;   in Loop: Header=BB388_13 Depth=1
	v_or_b32_e32 v2, 0x10000, v1
	v_cmp_eq_u32_sdwa vcc, v1, v30 src0_sel:WORD_0 src1_sel:DWORD
	v_cndmask_b32_e32 v1, v2, v1, vcc
	v_accvgpr_write_b32 a4, v1
; %bb.866:                              ;   in Loop: Header=BB388_13 Depth=1
	s_or_b64 exec, exec, s[36:37]
	v_lshrrev_b16_e32 v58, 8, v56
	v_cmp_ne_u16_e32 vcc, 0, v58
	v_mov_b32_e32 v1, 0
	s_and_saveexec_b64 s[36:37], vcc
	s_cbranch_execz .LBB388_872
; %bb.867:                              ;   in Loop: Header=BB388_13 Depth=1
	v_cmp_ne_u16_e32 vcc, s43, v58
	v_bfrev_b32_e32 v1, 1
	s_and_saveexec_b64 s[38:39], vcc
	s_cbranch_execz .LBB388_871
; %bb.868:                              ;   in Loop: Header=BB388_13 Depth=1
	v_and_b32_e32 v2, 0x7f, v58
	v_cmp_ne_u32_e32 vcc, s44, v2
	v_mov_b32_e32 v1, 0x7f800001
	s_and_saveexec_b64 s[40:41], vcc
	s_cbranch_execz .LBB388_870
; %bb.869:                              ;   in Loop: Header=BB388_13 Depth=1
	v_and_b32_e32 v1, 7, v58
	v_lshrrev_b32_e32 v4, 3, v2
	v_cmp_gt_u32_e32 vcc, 8, v2
	v_ffbh_u32_e32 v2, v1
	v_min_u32_e32 v5, 32, v2
	v_subrev_u32_e32 v2, 28, v5
	v_lshlrev_b64 v[2:3], v2, v[58:59]
	v_sub_u32_e32 v3, 29, v5
	v_and_b32_e32 v2, 7, v2
	v_cndmask_b32_e32 v3, v4, v3, vcc
	v_cndmask_b32_e32 v1, v1, v2, vcc
	v_lshlrev_b32_e32 v2, 16, v56
	v_bfrev_b32_e32 v4, 60
	v_lshlrev_b32_e32 v1, 20, v1
	v_and_b32_e32 v2, 0x80000000, v2
	v_lshl_add_u32 v3, v3, 23, v4
	v_or3_b32 v1, v2, v3, v1
.LBB388_870:                            ;   in Loop: Header=BB388_13 Depth=1
	s_or_b64 exec, exec, s[40:41]
.LBB388_871:                            ;   in Loop: Header=BB388_13 Depth=1
	s_or_b64 exec, exec, s[38:39]
.LBB388_872:                            ;   in Loop: Header=BB388_13 Depth=1
	s_or_b64 exec, exec, s[36:37]
	v_mul_f32_e32 v1, v0, v1
	v_and_b32_e32 v2, 0x7f800000, v1
	v_cmp_ne_u32_e32 vcc, s45, v2
                                        ; implicit-def: $agpr12
	s_and_saveexec_b64 s[36:37], vcc
	s_xor_b64 vcc, exec, s[36:37]
; %bb.873:                              ;   in Loop: Header=BB388_13 Depth=1
	v_bfe_u32 v2, v1, 16, 1
	v_add3_u32 v1, v1, v2, s46
	v_accvgpr_write_b32 a12, v1
                                        ; implicit-def: $vgpr1
; %bb.874:                              ;   in Loop: Header=BB388_13 Depth=1
	s_andn2_saveexec_b64 s[36:37], vcc
; %bb.875:                              ;   in Loop: Header=BB388_13 Depth=1
	v_or_b32_e32 v2, 0x10000, v1
	v_cmp_eq_u32_sdwa vcc, v1, v30 src0_sel:WORD_0 src1_sel:DWORD
	v_cndmask_b32_e32 v1, v2, v1, vcc
	v_accvgpr_write_b32 a12, v1
; %bb.876:                              ;   in Loop: Header=BB388_13 Depth=1
	s_or_b64 exec, exec, s[36:37]
	v_lshrrev_b32_e32 v58, 16, v56
	v_cmp_ne_u16_sdwa vcc, v58, v30 src0_sel:BYTE_0 src1_sel:DWORD
	v_mov_b32_e32 v1, 0
	s_and_saveexec_b64 s[36:37], vcc
	s_cbranch_execz .LBB388_882
; %bb.877:                              ;   in Loop: Header=BB388_13 Depth=1
	v_cmp_ne_u16_sdwa vcc, v58, s43 src0_sel:BYTE_0 src1_sel:DWORD
	v_bfrev_b32_e32 v1, 1
	s_and_saveexec_b64 s[38:39], vcc
	s_cbranch_execz .LBB388_881
; %bb.878:                              ;   in Loop: Header=BB388_13 Depth=1
	v_bfe_u32 v2, v56, 16, 7
	v_cmp_ne_u32_e32 vcc, s44, v2
	v_mov_b32_e32 v1, 0x7f800001
	s_and_saveexec_b64 s[40:41], vcc
	s_cbranch_execz .LBB388_880
; %bb.879:                              ;   in Loop: Header=BB388_13 Depth=1
	v_and_b32_e32 v1, 7, v58
	v_lshrrev_b32_e32 v4, 3, v2
	v_cmp_gt_u32_e32 vcc, 8, v2
	v_ffbh_u32_e32 v2, v1
	v_min_u32_e32 v5, 32, v2
	v_subrev_u32_e32 v2, 28, v5
	v_lshlrev_b64 v[2:3], v2, v[58:59]
	v_sub_u32_e32 v3, 29, v5
	v_and_b32_e32 v2, 7, v2
	v_cndmask_b32_e32 v3, v4, v3, vcc
	v_cndmask_b32_e32 v1, v1, v2, vcc
	v_lshlrev_b32_e32 v2, 24, v58
	v_bfrev_b32_e32 v4, 60
	v_lshlrev_b32_e32 v1, 20, v1
	v_and_b32_e32 v2, 0x80000000, v2
	v_lshl_add_u32 v3, v3, 23, v4
	v_or3_b32 v1, v2, v3, v1
.LBB388_880:                            ;   in Loop: Header=BB388_13 Depth=1
	s_or_b64 exec, exec, s[40:41]
.LBB388_881:                            ;   in Loop: Header=BB388_13 Depth=1
	s_or_b64 exec, exec, s[38:39]
.LBB388_882:                            ;   in Loop: Header=BB388_13 Depth=1
	s_or_b64 exec, exec, s[36:37]
	v_mul_f32_e32 v1, v0, v1
	v_and_b32_e32 v2, 0x7f800000, v1
	v_cmp_ne_u32_e32 vcc, s45, v2
                                        ; implicit-def: $agpr13
	s_and_saveexec_b64 s[36:37], vcc
	s_xor_b64 vcc, exec, s[36:37]
; %bb.883:                              ;   in Loop: Header=BB388_13 Depth=1
	v_bfe_u32 v2, v1, 16, 1
	v_add3_u32 v1, v1, v2, s46
	v_accvgpr_write_b32 a13, v1
                                        ; implicit-def: $vgpr1
; %bb.884:                              ;   in Loop: Header=BB388_13 Depth=1
	s_andn2_saveexec_b64 s[36:37], vcc
; %bb.885:                              ;   in Loop: Header=BB388_13 Depth=1
	v_or_b32_e32 v2, 0x10000, v1
	v_cmp_eq_u32_sdwa vcc, v1, v30 src0_sel:WORD_0 src1_sel:DWORD
	v_cndmask_b32_e32 v1, v2, v1, vcc
	v_accvgpr_write_b32 a13, v1
; %bb.886:                              ;   in Loop: Header=BB388_13 Depth=1
	s_or_b64 exec, exec, s[36:37]
	v_cmp_lt_u32_e32 vcc, s47, v56
	v_mov_b32_e32 v1, 0
	s_and_saveexec_b64 s[36:37], vcc
	s_cbranch_execz .LBB388_892
; %bb.887:                              ;   in Loop: Header=BB388_13 Depth=1
	v_lshrrev_b32_e32 v58, 24, v56
	v_cmp_ne_u32_e32 vcc, s43, v58
	v_bfrev_b32_e32 v1, 1
	s_and_saveexec_b64 s[38:39], vcc
	s_cbranch_execz .LBB388_891
; %bb.888:                              ;   in Loop: Header=BB388_13 Depth=1
	v_bfe_u32 v2, v56, 24, 7
	v_cmp_ne_u32_e32 vcc, s44, v2
	v_mov_b32_e32 v1, 0x7f800001
	s_and_saveexec_b64 s[40:41], vcc
	s_cbranch_execz .LBB388_890
; %bb.889:                              ;   in Loop: Header=BB388_13 Depth=1
	v_and_b32_e32 v1, 7, v58
	v_lshrrev_b32_e32 v4, 3, v2
	v_cmp_gt_u32_e32 vcc, 8, v2
	v_ffbh_u32_e32 v2, v1
	v_min_u32_e32 v5, 32, v2
	v_subrev_u32_e32 v2, 28, v5
	v_lshlrev_b64 v[2:3], v2, v[58:59]
	v_sub_u32_e32 v3, 29, v5
	v_and_b32_e32 v2, 7, v2
	v_cndmask_b32_e32 v3, v4, v3, vcc
	v_cndmask_b32_e32 v1, v1, v2, vcc
	v_lshlrev_b32_e32 v2, 24, v58
	v_bfrev_b32_e32 v4, 60
	v_lshlrev_b32_e32 v1, 20, v1
	v_and_b32_e32 v2, 0x80000000, v2
	v_lshl_add_u32 v3, v3, 23, v4
	v_or3_b32 v1, v2, v3, v1
.LBB388_890:                            ;   in Loop: Header=BB388_13 Depth=1
	s_or_b64 exec, exec, s[40:41]
.LBB388_891:                            ;   in Loop: Header=BB388_13 Depth=1
	s_or_b64 exec, exec, s[38:39]
.LBB388_892:                            ;   in Loop: Header=BB388_13 Depth=1
	s_or_b64 exec, exec, s[36:37]
	v_mul_f32_e32 v1, v0, v1
	v_and_b32_e32 v2, 0x7f800000, v1
	v_cmp_ne_u32_e32 vcc, s45, v2
                                        ; implicit-def: $agpr1
	s_and_saveexec_b64 s[36:37], vcc
	s_xor_b64 vcc, exec, s[36:37]
; %bb.893:                              ;   in Loop: Header=BB388_13 Depth=1
	v_bfe_u32 v2, v1, 16, 1
	v_add3_u32 v1, v1, v2, s46
	v_accvgpr_write_b32 a1, v1
                                        ; implicit-def: $vgpr1
; %bb.894:                              ;   in Loop: Header=BB388_13 Depth=1
	s_andn2_saveexec_b64 s[36:37], vcc
; %bb.895:                              ;   in Loop: Header=BB388_13 Depth=1
	v_or_b32_e32 v2, 0x10000, v1
	v_cmp_eq_u32_sdwa vcc, v1, v30 src0_sel:WORD_0 src1_sel:DWORD
	v_cndmask_b32_e32 v1, v2, v1, vcc
	v_accvgpr_write_b32 a1, v1
; %bb.896:                              ;   in Loop: Header=BB388_13 Depth=1
	s_or_b64 exec, exec, s[36:37]
	v_add_co_u32_e32 v2, vcc, 0x1000, v46
	v_addc_co_u32_e32 v3, vcc, 0, v47, vcc
	flat_load_dword v56, v[2:3] offset:1536
	v_mov_b32_e32 v1, 0
	s_waitcnt vmcnt(0) lgkmcnt(0)
	v_cmp_ne_u16_sdwa vcc, v56, v30 src0_sel:BYTE_0 src1_sel:DWORD
	s_and_saveexec_b64 s[36:37], vcc
	s_cbranch_execz .LBB388_902
; %bb.897:                              ;   in Loop: Header=BB388_13 Depth=1
	v_cmp_ne_u16_sdwa vcc, v56, s43 src0_sel:BYTE_0 src1_sel:DWORD
	v_bfrev_b32_e32 v1, 1
	s_and_saveexec_b64 s[38:39], vcc
	s_cbranch_execz .LBB388_901
; %bb.898:                              ;   in Loop: Header=BB388_13 Depth=1
	v_and_b32_e32 v2, 0x7f, v56
	v_cmp_ne_u32_e32 vcc, s44, v2
	v_mov_b32_e32 v1, 0x7f800001
	s_and_saveexec_b64 s[40:41], vcc
	s_cbranch_execz .LBB388_900
; %bb.899:                              ;   in Loop: Header=BB388_13 Depth=1
	v_and_b32_e32 v1, 7, v56
	v_lshrrev_b32_e32 v4, 3, v2
	v_cmp_gt_u32_e32 vcc, 8, v2
	v_ffbh_u32_e32 v2, v1
	v_min_u32_e32 v5, 32, v2
	v_subrev_u32_e32 v2, 28, v5
	v_lshlrev_b64 v[2:3], v2, v[56:57]
	v_sub_u32_e32 v3, 29, v5
	v_and_b32_e32 v2, 7, v2
	v_cndmask_b32_e32 v3, v4, v3, vcc
	v_cndmask_b32_e32 v1, v1, v2, vcc
	v_lshlrev_b32_e32 v2, 24, v56
	v_bfrev_b32_e32 v4, 60
	v_lshlrev_b32_e32 v1, 20, v1
	v_and_b32_e32 v2, 0x80000000, v2
	v_lshl_add_u32 v3, v3, 23, v4
	v_or3_b32 v1, v2, v3, v1
.LBB388_900:                            ;   in Loop: Header=BB388_13 Depth=1
	s_or_b64 exec, exec, s[40:41]
.LBB388_901:                            ;   in Loop: Header=BB388_13 Depth=1
	s_or_b64 exec, exec, s[38:39]
.LBB388_902:                            ;   in Loop: Header=BB388_13 Depth=1
	s_or_b64 exec, exec, s[36:37]
	v_mul_f32_e32 v1, v0, v1
	v_and_b32_e32 v2, 0x7f800000, v1
	v_cmp_ne_u32_e32 vcc, s45, v2
                                        ; implicit-def: $agpr10
	s_and_saveexec_b64 s[36:37], vcc
	s_xor_b64 vcc, exec, s[36:37]
; %bb.903:                              ;   in Loop: Header=BB388_13 Depth=1
	v_bfe_u32 v2, v1, 16, 1
	v_add3_u32 v1, v1, v2, s46
	v_accvgpr_write_b32 a10, v1
                                        ; implicit-def: $vgpr1
; %bb.904:                              ;   in Loop: Header=BB388_13 Depth=1
	s_andn2_saveexec_b64 s[36:37], vcc
; %bb.905:                              ;   in Loop: Header=BB388_13 Depth=1
	v_or_b32_e32 v2, 0x10000, v1
	v_cmp_eq_u32_sdwa vcc, v1, v30 src0_sel:WORD_0 src1_sel:DWORD
	v_cndmask_b32_e32 v1, v2, v1, vcc
	v_accvgpr_write_b32 a10, v1
; %bb.906:                              ;   in Loop: Header=BB388_13 Depth=1
	s_or_b64 exec, exec, s[36:37]
	v_lshrrev_b16_e32 v58, 8, v56
	v_cmp_ne_u16_e32 vcc, 0, v58
	v_mov_b32_e32 v1, 0
	s_and_saveexec_b64 s[36:37], vcc
	s_cbranch_execz .LBB388_912
; %bb.907:                              ;   in Loop: Header=BB388_13 Depth=1
	v_cmp_ne_u16_e32 vcc, s43, v58
	v_bfrev_b32_e32 v1, 1
	s_and_saveexec_b64 s[38:39], vcc
	s_cbranch_execz .LBB388_911
; %bb.908:                              ;   in Loop: Header=BB388_13 Depth=1
	v_and_b32_e32 v2, 0x7f, v58
	v_cmp_ne_u32_e32 vcc, s44, v2
	v_mov_b32_e32 v1, 0x7f800001
	s_and_saveexec_b64 s[40:41], vcc
	s_cbranch_execz .LBB388_910
; %bb.909:                              ;   in Loop: Header=BB388_13 Depth=1
	v_and_b32_e32 v1, 7, v58
	v_lshrrev_b32_e32 v4, 3, v2
	v_cmp_gt_u32_e32 vcc, 8, v2
	v_ffbh_u32_e32 v2, v1
	v_min_u32_e32 v5, 32, v2
	v_subrev_u32_e32 v2, 28, v5
	v_lshlrev_b64 v[2:3], v2, v[58:59]
	v_sub_u32_e32 v3, 29, v5
	v_and_b32_e32 v2, 7, v2
	v_cndmask_b32_e32 v3, v4, v3, vcc
	v_cndmask_b32_e32 v1, v1, v2, vcc
	v_lshlrev_b32_e32 v2, 16, v56
	v_bfrev_b32_e32 v4, 60
	v_lshlrev_b32_e32 v1, 20, v1
	v_and_b32_e32 v2, 0x80000000, v2
	v_lshl_add_u32 v3, v3, 23, v4
	v_or3_b32 v1, v2, v3, v1
.LBB388_910:                            ;   in Loop: Header=BB388_13 Depth=1
	s_or_b64 exec, exec, s[40:41]
.LBB388_911:                            ;   in Loop: Header=BB388_13 Depth=1
	s_or_b64 exec, exec, s[38:39]
.LBB388_912:                            ;   in Loop: Header=BB388_13 Depth=1
	s_or_b64 exec, exec, s[36:37]
	v_mul_f32_e32 v1, v0, v1
	v_and_b32_e32 v2, 0x7f800000, v1
	v_cmp_ne_u32_e32 vcc, s45, v2
                                        ; implicit-def: $agpr0
	s_and_saveexec_b64 s[36:37], vcc
	s_xor_b64 vcc, exec, s[36:37]
; %bb.913:                              ;   in Loop: Header=BB388_13 Depth=1
	v_bfe_u32 v2, v1, 16, 1
	v_add3_u32 v1, v1, v2, s46
	v_accvgpr_write_b32 a0, v1
                                        ; implicit-def: $vgpr1
; %bb.914:                              ;   in Loop: Header=BB388_13 Depth=1
	s_andn2_saveexec_b64 s[36:37], vcc
; %bb.915:                              ;   in Loop: Header=BB388_13 Depth=1
	v_or_b32_e32 v2, 0x10000, v1
	v_cmp_eq_u32_sdwa vcc, v1, v30 src0_sel:WORD_0 src1_sel:DWORD
	v_cndmask_b32_e32 v1, v2, v1, vcc
	v_accvgpr_write_b32 a0, v1
; %bb.916:                              ;   in Loop: Header=BB388_13 Depth=1
	s_or_b64 exec, exec, s[36:37]
	v_lshrrev_b32_e32 v58, 16, v56
	v_cmp_ne_u16_sdwa vcc, v58, v30 src0_sel:BYTE_0 src1_sel:DWORD
	v_mov_b32_e32 v1, 0
	s_and_saveexec_b64 s[36:37], vcc
	s_cbranch_execz .LBB388_922
; %bb.917:                              ;   in Loop: Header=BB388_13 Depth=1
	v_cmp_ne_u16_sdwa vcc, v58, s43 src0_sel:BYTE_0 src1_sel:DWORD
	v_bfrev_b32_e32 v1, 1
	s_and_saveexec_b64 s[38:39], vcc
	s_cbranch_execz .LBB388_921
; %bb.918:                              ;   in Loop: Header=BB388_13 Depth=1
	v_bfe_u32 v2, v56, 16, 7
	v_cmp_ne_u32_e32 vcc, s44, v2
	v_mov_b32_e32 v1, 0x7f800001
	s_and_saveexec_b64 s[40:41], vcc
	s_cbranch_execz .LBB388_920
; %bb.919:                              ;   in Loop: Header=BB388_13 Depth=1
	v_and_b32_e32 v1, 7, v58
	v_lshrrev_b32_e32 v4, 3, v2
	v_cmp_gt_u32_e32 vcc, 8, v2
	v_ffbh_u32_e32 v2, v1
	v_min_u32_e32 v5, 32, v2
	v_subrev_u32_e32 v2, 28, v5
	v_lshlrev_b64 v[2:3], v2, v[58:59]
	v_sub_u32_e32 v3, 29, v5
	v_and_b32_e32 v2, 7, v2
	v_cndmask_b32_e32 v3, v4, v3, vcc
	v_cndmask_b32_e32 v1, v1, v2, vcc
	v_lshlrev_b32_e32 v2, 24, v58
	v_bfrev_b32_e32 v4, 60
	v_lshlrev_b32_e32 v1, 20, v1
	v_and_b32_e32 v2, 0x80000000, v2
	v_lshl_add_u32 v3, v3, 23, v4
	v_or3_b32 v1, v2, v3, v1
.LBB388_920:                            ;   in Loop: Header=BB388_13 Depth=1
	s_or_b64 exec, exec, s[40:41]
.LBB388_921:                            ;   in Loop: Header=BB388_13 Depth=1
	s_or_b64 exec, exec, s[38:39]
.LBB388_922:                            ;   in Loop: Header=BB388_13 Depth=1
	s_or_b64 exec, exec, s[36:37]
	v_mul_f32_e32 v1, v0, v1
	v_and_b32_e32 v2, 0x7f800000, v1
	v_cmp_ne_u32_e32 vcc, s45, v2
                                        ; implicit-def: $agpr2
	s_and_saveexec_b64 s[36:37], vcc
	s_xor_b64 vcc, exec, s[36:37]
; %bb.923:                              ;   in Loop: Header=BB388_13 Depth=1
	v_bfe_u32 v2, v1, 16, 1
	v_add3_u32 v1, v1, v2, s46
	v_accvgpr_write_b32 a2, v1
                                        ; implicit-def: $vgpr1
; %bb.924:                              ;   in Loop: Header=BB388_13 Depth=1
	s_andn2_saveexec_b64 s[36:37], vcc
; %bb.925:                              ;   in Loop: Header=BB388_13 Depth=1
	v_or_b32_e32 v2, 0x10000, v1
	v_cmp_eq_u32_sdwa vcc, v1, v30 src0_sel:WORD_0 src1_sel:DWORD
	v_cndmask_b32_e32 v1, v2, v1, vcc
	v_accvgpr_write_b32 a2, v1
; %bb.926:                              ;   in Loop: Header=BB388_13 Depth=1
	s_or_b64 exec, exec, s[36:37]
	v_cmp_lt_u32_e32 vcc, s47, v56
	v_mov_b32_e32 v1, 0
	s_and_saveexec_b64 s[36:37], vcc
	s_cbranch_execz .LBB388_932
; %bb.927:                              ;   in Loop: Header=BB388_13 Depth=1
	v_lshrrev_b32_e32 v58, 24, v56
	v_cmp_ne_u32_e32 vcc, s43, v58
	v_bfrev_b32_e32 v1, 1
	s_and_saveexec_b64 s[38:39], vcc
	s_cbranch_execz .LBB388_931
; %bb.928:                              ;   in Loop: Header=BB388_13 Depth=1
	v_bfe_u32 v2, v56, 24, 7
	v_cmp_ne_u32_e32 vcc, s44, v2
	v_mov_b32_e32 v1, 0x7f800001
	s_and_saveexec_b64 s[40:41], vcc
	s_cbranch_execz .LBB388_930
; %bb.929:                              ;   in Loop: Header=BB388_13 Depth=1
	v_and_b32_e32 v1, 7, v58
	v_lshrrev_b32_e32 v4, 3, v2
	v_cmp_gt_u32_e32 vcc, 8, v2
	v_ffbh_u32_e32 v2, v1
	v_min_u32_e32 v5, 32, v2
	v_subrev_u32_e32 v2, 28, v5
	v_lshlrev_b64 v[2:3], v2, v[58:59]
	v_sub_u32_e32 v3, 29, v5
	v_and_b32_e32 v2, 7, v2
	v_cndmask_b32_e32 v3, v4, v3, vcc
	v_cndmask_b32_e32 v1, v1, v2, vcc
	v_lshlrev_b32_e32 v2, 24, v58
	v_bfrev_b32_e32 v4, 60
	v_lshlrev_b32_e32 v1, 20, v1
	v_and_b32_e32 v2, 0x80000000, v2
	v_lshl_add_u32 v3, v3, 23, v4
	v_or3_b32 v1, v2, v3, v1
.LBB388_930:                            ;   in Loop: Header=BB388_13 Depth=1
	s_or_b64 exec, exec, s[40:41]
.LBB388_931:                            ;   in Loop: Header=BB388_13 Depth=1
	s_or_b64 exec, exec, s[38:39]
.LBB388_932:                            ;   in Loop: Header=BB388_13 Depth=1
	s_or_b64 exec, exec, s[36:37]
	v_mul_f32_e32 v1, v0, v1
	v_and_b32_e32 v2, 0x7f800000, v1
	v_cmp_ne_u32_e32 vcc, s45, v2
                                        ; implicit-def: $vgpr12
	s_and_saveexec_b64 s[36:37], vcc
	s_xor_b64 vcc, exec, s[36:37]
; %bb.933:                              ;   in Loop: Header=BB388_13 Depth=1
	v_bfe_u32 v2, v1, 16, 1
	v_add3_u32 v12, v1, v2, s46
                                        ; implicit-def: $vgpr1
; %bb.934:                              ;   in Loop: Header=BB388_13 Depth=1
	s_andn2_saveexec_b64 s[36:37], vcc
; %bb.935:                              ;   in Loop: Header=BB388_13 Depth=1
	v_or_b32_e32 v2, 0x10000, v1
	v_cmp_eq_u32_sdwa vcc, v1, v30 src0_sel:WORD_0 src1_sel:DWORD
	v_cndmask_b32_e32 v12, v2, v1, vcc
; %bb.936:                              ;   in Loop: Header=BB388_13 Depth=1
	s_or_b64 exec, exec, s[36:37]
	v_add_co_u32_e32 v2, vcc, 0x1600, v46
	v_addc_co_u32_e32 v3, vcc, 0, v47, vcc
	flat_load_dword v56, v[2:3] offset:8
	v_mov_b32_e32 v1, 0
	s_waitcnt vmcnt(0) lgkmcnt(0)
	v_cmp_ne_u16_sdwa vcc, v56, v30 src0_sel:BYTE_0 src1_sel:DWORD
	s_and_saveexec_b64 s[36:37], vcc
	s_cbranch_execz .LBB388_942
; %bb.937:                              ;   in Loop: Header=BB388_13 Depth=1
	v_cmp_ne_u16_sdwa vcc, v56, s43 src0_sel:BYTE_0 src1_sel:DWORD
	v_bfrev_b32_e32 v1, 1
	s_and_saveexec_b64 s[38:39], vcc
	s_cbranch_execz .LBB388_941
; %bb.938:                              ;   in Loop: Header=BB388_13 Depth=1
	v_and_b32_e32 v2, 0x7f, v56
	v_cmp_ne_u32_e32 vcc, s44, v2
	v_mov_b32_e32 v1, 0x7f800001
	s_and_saveexec_b64 s[40:41], vcc
	s_cbranch_execz .LBB388_940
; %bb.939:                              ;   in Loop: Header=BB388_13 Depth=1
	v_and_b32_e32 v1, 7, v56
	v_lshrrev_b32_e32 v4, 3, v2
	v_cmp_gt_u32_e32 vcc, 8, v2
	v_ffbh_u32_e32 v2, v1
	v_min_u32_e32 v5, 32, v2
	v_subrev_u32_e32 v2, 28, v5
	v_lshlrev_b64 v[2:3], v2, v[56:57]
	v_sub_u32_e32 v3, 29, v5
	v_and_b32_e32 v2, 7, v2
	v_cndmask_b32_e32 v3, v4, v3, vcc
	v_cndmask_b32_e32 v1, v1, v2, vcc
	v_lshlrev_b32_e32 v2, 24, v56
	v_bfrev_b32_e32 v4, 60
	v_lshlrev_b32_e32 v1, 20, v1
	v_and_b32_e32 v2, 0x80000000, v2
	v_lshl_add_u32 v3, v3, 23, v4
	v_or3_b32 v1, v2, v3, v1
.LBB388_940:                            ;   in Loop: Header=BB388_13 Depth=1
	s_or_b64 exec, exec, s[40:41]
.LBB388_941:                            ;   in Loop: Header=BB388_13 Depth=1
	s_or_b64 exec, exec, s[38:39]
.LBB388_942:                            ;   in Loop: Header=BB388_13 Depth=1
	s_or_b64 exec, exec, s[36:37]
	v_mul_f32_e32 v1, v0, v1
	v_and_b32_e32 v2, 0x7f800000, v1
	v_cmp_ne_u32_e32 vcc, s45, v2
                                        ; implicit-def: $vgpr20
	s_and_saveexec_b64 s[36:37], vcc
	s_xor_b64 vcc, exec, s[36:37]
; %bb.943:                              ;   in Loop: Header=BB388_13 Depth=1
	v_bfe_u32 v2, v1, 16, 1
	v_add3_u32 v20, v1, v2, s46
                                        ; implicit-def: $vgpr1
; %bb.944:                              ;   in Loop: Header=BB388_13 Depth=1
	s_andn2_saveexec_b64 s[36:37], vcc
; %bb.945:                              ;   in Loop: Header=BB388_13 Depth=1
	v_or_b32_e32 v2, 0x10000, v1
	v_cmp_eq_u32_sdwa vcc, v1, v30 src0_sel:WORD_0 src1_sel:DWORD
	v_cndmask_b32_e32 v20, v2, v1, vcc
; %bb.946:                              ;   in Loop: Header=BB388_13 Depth=1
	s_or_b64 exec, exec, s[36:37]
	v_lshrrev_b16_e32 v58, 8, v56
	v_cmp_ne_u16_e32 vcc, 0, v58
	v_mov_b32_e32 v1, 0
	s_and_saveexec_b64 s[36:37], vcc
	s_cbranch_execz .LBB388_952
; %bb.947:                              ;   in Loop: Header=BB388_13 Depth=1
	v_cmp_ne_u16_e32 vcc, s43, v58
	v_bfrev_b32_e32 v1, 1
	s_and_saveexec_b64 s[38:39], vcc
	s_cbranch_execz .LBB388_951
; %bb.948:                              ;   in Loop: Header=BB388_13 Depth=1
	v_and_b32_e32 v2, 0x7f, v58
	v_cmp_ne_u32_e32 vcc, s44, v2
	v_mov_b32_e32 v1, 0x7f800001
	s_and_saveexec_b64 s[40:41], vcc
	s_cbranch_execz .LBB388_950
; %bb.949:                              ;   in Loop: Header=BB388_13 Depth=1
	v_and_b32_e32 v1, 7, v58
	v_lshrrev_b32_e32 v4, 3, v2
	v_cmp_gt_u32_e32 vcc, 8, v2
	v_ffbh_u32_e32 v2, v1
	v_min_u32_e32 v5, 32, v2
	v_subrev_u32_e32 v2, 28, v5
	v_lshlrev_b64 v[2:3], v2, v[58:59]
	v_sub_u32_e32 v3, 29, v5
	v_and_b32_e32 v2, 7, v2
	v_cndmask_b32_e32 v3, v4, v3, vcc
	v_cndmask_b32_e32 v1, v1, v2, vcc
	v_lshlrev_b32_e32 v2, 16, v56
	v_bfrev_b32_e32 v4, 60
	v_lshlrev_b32_e32 v1, 20, v1
	v_and_b32_e32 v2, 0x80000000, v2
	v_lshl_add_u32 v3, v3, 23, v4
	v_or3_b32 v1, v2, v3, v1
.LBB388_950:                            ;   in Loop: Header=BB388_13 Depth=1
	s_or_b64 exec, exec, s[40:41]
.LBB388_951:                            ;   in Loop: Header=BB388_13 Depth=1
	s_or_b64 exec, exec, s[38:39]
.LBB388_952:                            ;   in Loop: Header=BB388_13 Depth=1
	s_or_b64 exec, exec, s[36:37]
	v_mul_f32_e32 v1, v0, v1
	v_and_b32_e32 v2, 0x7f800000, v1
	v_cmp_ne_u32_e32 vcc, s45, v2
                                        ; implicit-def: $vgpr3
	s_and_saveexec_b64 s[36:37], vcc
	s_xor_b64 vcc, exec, s[36:37]
; %bb.953:                              ;   in Loop: Header=BB388_13 Depth=1
	v_bfe_u32 v2, v1, 16, 1
	v_add3_u32 v3, v1, v2, s46
                                        ; implicit-def: $vgpr1
; %bb.954:                              ;   in Loop: Header=BB388_13 Depth=1
	s_andn2_saveexec_b64 s[36:37], vcc
; %bb.955:                              ;   in Loop: Header=BB388_13 Depth=1
	v_or_b32_e32 v2, 0x10000, v1
	v_cmp_eq_u32_sdwa vcc, v1, v30 src0_sel:WORD_0 src1_sel:DWORD
	v_cndmask_b32_e32 v3, v2, v1, vcc
; %bb.956:                              ;   in Loop: Header=BB388_13 Depth=1
	s_or_b64 exec, exec, s[36:37]
	v_lshrrev_b32_e32 v58, 16, v56
	v_cmp_ne_u16_sdwa vcc, v58, v30 src0_sel:BYTE_0 src1_sel:DWORD
	v_mov_b32_e32 v1, 0
	s_and_saveexec_b64 s[36:37], vcc
	s_cbranch_execz .LBB388_962
; %bb.957:                              ;   in Loop: Header=BB388_13 Depth=1
	v_cmp_ne_u16_sdwa vcc, v58, s43 src0_sel:BYTE_0 src1_sel:DWORD
	v_bfrev_b32_e32 v1, 1
	s_and_saveexec_b64 s[38:39], vcc
	s_cbranch_execz .LBB388_961
; %bb.958:                              ;   in Loop: Header=BB388_13 Depth=1
	v_bfe_u32 v2, v56, 16, 7
	v_cmp_ne_u32_e32 vcc, s44, v2
	v_mov_b32_e32 v1, 0x7f800001
	s_and_saveexec_b64 s[40:41], vcc
	s_cbranch_execz .LBB388_960
; %bb.959:                              ;   in Loop: Header=BB388_13 Depth=1
	v_and_b32_e32 v1, 7, v58
	v_lshrrev_b32_e32 v6, 3, v2
	v_cmp_gt_u32_e32 vcc, 8, v2
	v_ffbh_u32_e32 v2, v1
	v_min_u32_e32 v2, 32, v2
	v_subrev_u32_e32 v4, 28, v2
	v_lshlrev_b64 v[4:5], v4, v[58:59]
	v_sub_u32_e32 v2, 29, v2
	v_and_b32_e32 v4, 7, v4
	v_cndmask_b32_e32 v2, v6, v2, vcc
	v_cndmask_b32_e32 v1, v1, v4, vcc
	v_lshlrev_b32_e32 v4, 24, v58
	v_bfrev_b32_e32 v5, 60
	v_lshlrev_b32_e32 v1, 20, v1
	v_and_b32_e32 v4, 0x80000000, v4
	v_lshl_add_u32 v2, v2, 23, v5
	v_or3_b32 v1, v4, v2, v1
.LBB388_960:                            ;   in Loop: Header=BB388_13 Depth=1
	s_or_b64 exec, exec, s[40:41]
.LBB388_961:                            ;   in Loop: Header=BB388_13 Depth=1
	s_or_b64 exec, exec, s[38:39]
.LBB388_962:                            ;   in Loop: Header=BB388_13 Depth=1
	s_or_b64 exec, exec, s[36:37]
	v_mul_f32_e32 v1, v0, v1
	v_and_b32_e32 v2, 0x7f800000, v1
	v_cmp_ne_u32_e32 vcc, s45, v2
                                        ; implicit-def: $vgpr38
	s_and_saveexec_b64 s[36:37], vcc
	s_xor_b64 vcc, exec, s[36:37]
; %bb.963:                              ;   in Loop: Header=BB388_13 Depth=1
	v_bfe_u32 v2, v1, 16, 1
	v_add3_u32 v38, v1, v2, s46
                                        ; implicit-def: $vgpr1
; %bb.964:                              ;   in Loop: Header=BB388_13 Depth=1
	s_andn2_saveexec_b64 s[36:37], vcc
; %bb.965:                              ;   in Loop: Header=BB388_13 Depth=1
	v_or_b32_e32 v2, 0x10000, v1
	v_cmp_eq_u32_sdwa vcc, v1, v30 src0_sel:WORD_0 src1_sel:DWORD
	v_cndmask_b32_e32 v38, v2, v1, vcc
; %bb.966:                              ;   in Loop: Header=BB388_13 Depth=1
	s_or_b64 exec, exec, s[36:37]
	v_cmp_lt_u32_e32 vcc, s47, v56
	v_mov_b32_e32 v1, 0
	s_and_saveexec_b64 s[36:37], vcc
	s_cbranch_execz .LBB388_972
; %bb.967:                              ;   in Loop: Header=BB388_13 Depth=1
	v_lshrrev_b32_e32 v58, 24, v56
	v_cmp_ne_u32_e32 vcc, s43, v58
	v_bfrev_b32_e32 v1, 1
	s_and_saveexec_b64 s[38:39], vcc
	s_cbranch_execz .LBB388_971
; %bb.968:                              ;   in Loop: Header=BB388_13 Depth=1
	v_bfe_u32 v2, v56, 24, 7
	v_cmp_ne_u32_e32 vcc, s44, v2
	v_mov_b32_e32 v1, 0x7f800001
	s_and_saveexec_b64 s[40:41], vcc
	s_cbranch_execz .LBB388_970
; %bb.969:                              ;   in Loop: Header=BB388_13 Depth=1
	v_and_b32_e32 v1, 7, v58
	v_lshrrev_b32_e32 v6, 3, v2
	v_cmp_gt_u32_e32 vcc, 8, v2
	v_ffbh_u32_e32 v2, v1
	v_min_u32_e32 v2, 32, v2
	v_subrev_u32_e32 v4, 28, v2
	v_lshlrev_b64 v[4:5], v4, v[58:59]
	v_sub_u32_e32 v2, 29, v2
	v_and_b32_e32 v4, 7, v4
	v_cndmask_b32_e32 v2, v6, v2, vcc
	v_cndmask_b32_e32 v1, v1, v4, vcc
	v_lshlrev_b32_e32 v4, 24, v58
	v_bfrev_b32_e32 v5, 60
	v_lshlrev_b32_e32 v1, 20, v1
	v_and_b32_e32 v4, 0x80000000, v4
	v_lshl_add_u32 v2, v2, 23, v5
	v_or3_b32 v1, v4, v2, v1
.LBB388_970:                            ;   in Loop: Header=BB388_13 Depth=1
	s_or_b64 exec, exec, s[40:41]
.LBB388_971:                            ;   in Loop: Header=BB388_13 Depth=1
	s_or_b64 exec, exec, s[38:39]
.LBB388_972:                            ;   in Loop: Header=BB388_13 Depth=1
	s_or_b64 exec, exec, s[36:37]
	v_mul_f32_e32 v1, v0, v1
	v_and_b32_e32 v2, 0x7f800000, v1
	v_cmp_ne_u32_e32 vcc, s45, v2
                                        ; implicit-def: $vgpr6
	s_and_saveexec_b64 s[36:37], vcc
	s_xor_b64 vcc, exec, s[36:37]
; %bb.973:                              ;   in Loop: Header=BB388_13 Depth=1
	v_bfe_u32 v2, v1, 16, 1
	v_add3_u32 v6, v1, v2, s46
                                        ; implicit-def: $vgpr1
; %bb.974:                              ;   in Loop: Header=BB388_13 Depth=1
	s_andn2_saveexec_b64 s[36:37], vcc
; %bb.975:                              ;   in Loop: Header=BB388_13 Depth=1
	v_or_b32_e32 v2, 0x10000, v1
	v_cmp_eq_u32_sdwa vcc, v1, v30 src0_sel:WORD_0 src1_sel:DWORD
	v_cndmask_b32_e32 v6, v2, v1, vcc
; %bb.976:                              ;   in Loop: Header=BB388_13 Depth=1
	s_or_b64 exec, exec, s[36:37]
	v_add_co_u32_e32 v4, vcc, 0x1000, v46
	v_addc_co_u32_e32 v5, vcc, 0, v47, vcc
	flat_load_dword v56, v[4:5] offset:2048
	v_mov_b32_e32 v1, 0
	s_waitcnt vmcnt(0) lgkmcnt(0)
	v_cmp_ne_u16_sdwa vcc, v56, v30 src0_sel:BYTE_0 src1_sel:DWORD
	s_and_saveexec_b64 s[36:37], vcc
	s_cbranch_execz .LBB388_982
; %bb.977:                              ;   in Loop: Header=BB388_13 Depth=1
	v_cmp_ne_u16_sdwa vcc, v56, s43 src0_sel:BYTE_0 src1_sel:DWORD
	v_bfrev_b32_e32 v1, 1
	s_and_saveexec_b64 s[38:39], vcc
	s_cbranch_execz .LBB388_981
; %bb.978:                              ;   in Loop: Header=BB388_13 Depth=1
	v_and_b32_e32 v2, 0x7f, v56
	v_cmp_ne_u32_e32 vcc, s44, v2
	v_mov_b32_e32 v1, 0x7f800001
	s_and_saveexec_b64 s[40:41], vcc
	s_cbranch_execz .LBB388_980
; %bb.979:                              ;   in Loop: Header=BB388_13 Depth=1
	v_and_b32_e32 v1, 7, v56
	v_lshrrev_b32_e32 v7, 3, v2
	v_cmp_gt_u32_e32 vcc, 8, v2
	v_ffbh_u32_e32 v2, v1
	v_min_u32_e32 v2, 32, v2
	v_subrev_u32_e32 v4, 28, v2
	v_lshlrev_b64 v[4:5], v4, v[56:57]
	v_sub_u32_e32 v2, 29, v2
	v_and_b32_e32 v4, 7, v4
	v_cndmask_b32_e32 v2, v7, v2, vcc
	v_cndmask_b32_e32 v1, v1, v4, vcc
	v_lshlrev_b32_e32 v4, 24, v56
	v_bfrev_b32_e32 v5, 60
	v_lshlrev_b32_e32 v1, 20, v1
	v_and_b32_e32 v4, 0x80000000, v4
	v_lshl_add_u32 v2, v2, 23, v5
	v_or3_b32 v1, v4, v2, v1
.LBB388_980:                            ;   in Loop: Header=BB388_13 Depth=1
	s_or_b64 exec, exec, s[40:41]
.LBB388_981:                            ;   in Loop: Header=BB388_13 Depth=1
	s_or_b64 exec, exec, s[38:39]
.LBB388_982:                            ;   in Loop: Header=BB388_13 Depth=1
	s_or_b64 exec, exec, s[36:37]
	v_mul_f32_e32 v2, v0, v1
	v_and_b32_e32 v1, 0x7f800000, v2
	v_cmp_ne_u32_e32 vcc, s45, v1
                                        ; implicit-def: $vgpr1
	s_and_saveexec_b64 s[36:37], vcc
	s_xor_b64 vcc, exec, s[36:37]
; %bb.983:                              ;   in Loop: Header=BB388_13 Depth=1
	v_bfe_u32 v1, v2, 16, 1
	v_add3_u32 v1, v2, v1, s46
                                        ; implicit-def: $vgpr2
; %bb.984:                              ;   in Loop: Header=BB388_13 Depth=1
	s_andn2_saveexec_b64 s[36:37], vcc
; %bb.985:                              ;   in Loop: Header=BB388_13 Depth=1
	v_or_b32_e32 v1, 0x10000, v2
	v_cmp_eq_u32_sdwa vcc, v2, v30 src0_sel:WORD_0 src1_sel:DWORD
	v_cndmask_b32_e32 v1, v1, v2, vcc
; %bb.986:                              ;   in Loop: Header=BB388_13 Depth=1
	s_or_b64 exec, exec, s[36:37]
	v_lshrrev_b16_e32 v58, 8, v56
	v_cmp_ne_u16_e32 vcc, 0, v58
	v_mov_b32_e32 v2, 0
	s_and_saveexec_b64 s[36:37], vcc
	s_cbranch_execz .LBB388_992
; %bb.987:                              ;   in Loop: Header=BB388_13 Depth=1
	v_cmp_ne_u16_e32 vcc, s43, v58
	v_bfrev_b32_e32 v2, 1
	s_and_saveexec_b64 s[38:39], vcc
	s_cbranch_execz .LBB388_991
; %bb.988:                              ;   in Loop: Header=BB388_13 Depth=1
	v_and_b32_e32 v4, 0x7f, v58
	v_cmp_ne_u32_e32 vcc, s44, v4
	v_mov_b32_e32 v2, 0x7f800001
	s_and_saveexec_b64 s[40:41], vcc
	s_cbranch_execz .LBB388_990
; %bb.989:                              ;   in Loop: Header=BB388_13 Depth=1
	v_and_b32_e32 v2, 7, v58
	v_lshrrev_b32_e32 v7, 3, v4
	v_cmp_gt_u32_e32 vcc, 8, v4
	v_ffbh_u32_e32 v4, v2
	v_min_u32_e32 v8, 32, v4
	v_subrev_u32_e32 v4, 28, v8
	v_lshlrev_b64 v[4:5], v4, v[58:59]
	v_sub_u32_e32 v5, 29, v8
	v_and_b32_e32 v4, 7, v4
	v_cndmask_b32_e32 v5, v7, v5, vcc
	v_cndmask_b32_e32 v2, v2, v4, vcc
	v_lshlrev_b32_e32 v4, 16, v56
	v_bfrev_b32_e32 v7, 60
	v_lshlrev_b32_e32 v2, 20, v2
	v_and_b32_e32 v4, 0x80000000, v4
	v_lshl_add_u32 v5, v5, 23, v7
	v_or3_b32 v2, v4, v5, v2
.LBB388_990:                            ;   in Loop: Header=BB388_13 Depth=1
	s_or_b64 exec, exec, s[40:41]
.LBB388_991:                            ;   in Loop: Header=BB388_13 Depth=1
	s_or_b64 exec, exec, s[38:39]
.LBB388_992:                            ;   in Loop: Header=BB388_13 Depth=1
	s_or_b64 exec, exec, s[36:37]
	v_mul_f32_e32 v2, v0, v2
	v_and_b32_e32 v4, 0x7f800000, v2
	v_cmp_ne_u32_e32 vcc, s45, v4
                                        ; implicit-def: $vgpr9
	s_and_saveexec_b64 s[36:37], vcc
	s_xor_b64 vcc, exec, s[36:37]
; %bb.993:                              ;   in Loop: Header=BB388_13 Depth=1
	v_bfe_u32 v4, v2, 16, 1
	v_add3_u32 v9, v2, v4, s46
                                        ; implicit-def: $vgpr2
; %bb.994:                              ;   in Loop: Header=BB388_13 Depth=1
	s_andn2_saveexec_b64 s[36:37], vcc
; %bb.995:                              ;   in Loop: Header=BB388_13 Depth=1
	v_or_b32_e32 v4, 0x10000, v2
	v_cmp_eq_u32_sdwa vcc, v2, v30 src0_sel:WORD_0 src1_sel:DWORD
	v_cndmask_b32_e32 v9, v4, v2, vcc
; %bb.996:                              ;   in Loop: Header=BB388_13 Depth=1
	s_or_b64 exec, exec, s[36:37]
	v_lshrrev_b32_e32 v58, 16, v56
	v_cmp_ne_u16_sdwa vcc, v58, v30 src0_sel:BYTE_0 src1_sel:DWORD
	v_mov_b32_e32 v2, 0
	s_and_saveexec_b64 s[36:37], vcc
	s_cbranch_execz .LBB388_1002
; %bb.997:                              ;   in Loop: Header=BB388_13 Depth=1
	v_cmp_ne_u16_sdwa vcc, v58, s43 src0_sel:BYTE_0 src1_sel:DWORD
	v_bfrev_b32_e32 v2, 1
	s_and_saveexec_b64 s[38:39], vcc
	s_cbranch_execz .LBB388_1001
; %bb.998:                              ;   in Loop: Header=BB388_13 Depth=1
	v_bfe_u32 v4, v56, 16, 7
	v_cmp_ne_u32_e32 vcc, s44, v4
	v_mov_b32_e32 v2, 0x7f800001
	s_and_saveexec_b64 s[40:41], vcc
	s_cbranch_execz .LBB388_1000
; %bb.999:                              ;   in Loop: Header=BB388_13 Depth=1
	v_and_b32_e32 v2, 7, v58
	v_lshrrev_b32_e32 v7, 3, v4
	v_cmp_gt_u32_e32 vcc, 8, v4
	v_ffbh_u32_e32 v4, v2
	v_min_u32_e32 v8, 32, v4
	v_subrev_u32_e32 v4, 28, v8
	v_lshlrev_b64 v[4:5], v4, v[58:59]
	v_sub_u32_e32 v5, 29, v8
	v_and_b32_e32 v4, 7, v4
	v_cndmask_b32_e32 v5, v7, v5, vcc
	v_cndmask_b32_e32 v2, v2, v4, vcc
	v_lshlrev_b32_e32 v4, 24, v58
	v_bfrev_b32_e32 v7, 60
	v_lshlrev_b32_e32 v2, 20, v2
	v_and_b32_e32 v4, 0x80000000, v4
	v_lshl_add_u32 v5, v5, 23, v7
	v_or3_b32 v2, v4, v5, v2
.LBB388_1000:                           ;   in Loop: Header=BB388_13 Depth=1
	s_or_b64 exec, exec, s[40:41]
.LBB388_1001:                           ;   in Loop: Header=BB388_13 Depth=1
	s_or_b64 exec, exec, s[38:39]
.LBB388_1002:                           ;   in Loop: Header=BB388_13 Depth=1
	s_or_b64 exec, exec, s[36:37]
	v_mul_f32_e32 v2, v0, v2
	v_and_b32_e32 v4, 0x7f800000, v2
	v_cmp_ne_u32_e32 vcc, s45, v4
                                        ; implicit-def: $vgpr16
	s_and_saveexec_b64 s[36:37], vcc
	s_xor_b64 vcc, exec, s[36:37]
; %bb.1003:                             ;   in Loop: Header=BB388_13 Depth=1
	v_bfe_u32 v4, v2, 16, 1
	v_add3_u32 v16, v2, v4, s46
                                        ; implicit-def: $vgpr2
; %bb.1004:                             ;   in Loop: Header=BB388_13 Depth=1
	s_andn2_saveexec_b64 s[36:37], vcc
; %bb.1005:                             ;   in Loop: Header=BB388_13 Depth=1
	v_or_b32_e32 v4, 0x10000, v2
	v_cmp_eq_u32_sdwa vcc, v2, v30 src0_sel:WORD_0 src1_sel:DWORD
	v_cndmask_b32_e32 v16, v4, v2, vcc
; %bb.1006:                             ;   in Loop: Header=BB388_13 Depth=1
	s_or_b64 exec, exec, s[36:37]
	v_cmp_lt_u32_e32 vcc, s47, v56
	v_mov_b32_e32 v2, 0
	s_and_saveexec_b64 s[36:37], vcc
	s_cbranch_execz .LBB388_1012
; %bb.1007:                             ;   in Loop: Header=BB388_13 Depth=1
	v_lshrrev_b32_e32 v58, 24, v56
	v_cmp_ne_u32_e32 vcc, s43, v58
	v_bfrev_b32_e32 v2, 1
	s_and_saveexec_b64 s[38:39], vcc
	s_cbranch_execz .LBB388_1011
; %bb.1008:                             ;   in Loop: Header=BB388_13 Depth=1
	v_bfe_u32 v4, v56, 24, 7
	v_cmp_ne_u32_e32 vcc, s44, v4
	v_mov_b32_e32 v2, 0x7f800001
	s_and_saveexec_b64 s[40:41], vcc
	s_cbranch_execz .LBB388_1010
; %bb.1009:                             ;   in Loop: Header=BB388_13 Depth=1
	v_and_b32_e32 v2, 7, v58
	v_lshrrev_b32_e32 v7, 3, v4
	v_cmp_gt_u32_e32 vcc, 8, v4
	v_ffbh_u32_e32 v4, v2
	v_min_u32_e32 v8, 32, v4
	v_subrev_u32_e32 v4, 28, v8
	v_lshlrev_b64 v[4:5], v4, v[58:59]
	v_sub_u32_e32 v5, 29, v8
	v_and_b32_e32 v4, 7, v4
	v_cndmask_b32_e32 v5, v7, v5, vcc
	v_cndmask_b32_e32 v2, v2, v4, vcc
	v_lshlrev_b32_e32 v4, 24, v58
	v_bfrev_b32_e32 v7, 60
	v_lshlrev_b32_e32 v2, 20, v2
	v_and_b32_e32 v4, 0x80000000, v4
	v_lshl_add_u32 v5, v5, 23, v7
	v_or3_b32 v2, v4, v5, v2
.LBB388_1010:                           ;   in Loop: Header=BB388_13 Depth=1
	s_or_b64 exec, exec, s[40:41]
.LBB388_1011:                           ;   in Loop: Header=BB388_13 Depth=1
	s_or_b64 exec, exec, s[38:39]
.LBB388_1012:                           ;   in Loop: Header=BB388_13 Depth=1
	s_or_b64 exec, exec, s[36:37]
	v_mul_f32_e32 v2, v0, v2
	v_and_b32_e32 v4, 0x7f800000, v2
	v_cmp_ne_u32_e32 vcc, s45, v4
                                        ; implicit-def: $vgpr37
	s_and_saveexec_b64 s[36:37], vcc
	s_xor_b64 vcc, exec, s[36:37]
; %bb.1013:                             ;   in Loop: Header=BB388_13 Depth=1
	v_bfe_u32 v4, v2, 16, 1
	v_add3_u32 v37, v2, v4, s46
                                        ; implicit-def: $vgpr2
; %bb.1014:                             ;   in Loop: Header=BB388_13 Depth=1
	s_andn2_saveexec_b64 s[36:37], vcc
; %bb.1015:                             ;   in Loop: Header=BB388_13 Depth=1
	v_or_b32_e32 v4, 0x10000, v2
	v_cmp_eq_u32_sdwa vcc, v2, v30 src0_sel:WORD_0 src1_sel:DWORD
	v_cndmask_b32_e32 v37, v4, v2, vcc
; %bb.1016:                             ;   in Loop: Header=BB388_13 Depth=1
	s_or_b64 exec, exec, s[36:37]
	v_add_co_u32_e32 v4, vcc, 0x1800, v46
	v_addc_co_u32_e32 v5, vcc, 0, v47, vcc
	flat_load_dword v56, v[4:5] offset:8
	v_mov_b32_e32 v2, 0
	s_waitcnt vmcnt(0) lgkmcnt(0)
	v_cmp_ne_u16_sdwa vcc, v56, v30 src0_sel:BYTE_0 src1_sel:DWORD
	s_and_saveexec_b64 s[36:37], vcc
	s_cbranch_execz .LBB388_1022
; %bb.1017:                             ;   in Loop: Header=BB388_13 Depth=1
	v_cmp_ne_u16_sdwa vcc, v56, s43 src0_sel:BYTE_0 src1_sel:DWORD
	v_bfrev_b32_e32 v2, 1
	s_and_saveexec_b64 s[38:39], vcc
	s_cbranch_execz .LBB388_1021
; %bb.1018:                             ;   in Loop: Header=BB388_13 Depth=1
	v_and_b32_e32 v4, 0x7f, v56
	v_cmp_ne_u32_e32 vcc, s44, v4
	v_mov_b32_e32 v2, 0x7f800001
	s_and_saveexec_b64 s[40:41], vcc
	s_cbranch_execz .LBB388_1020
; %bb.1019:                             ;   in Loop: Header=BB388_13 Depth=1
	v_and_b32_e32 v2, 7, v56
	v_lshrrev_b32_e32 v7, 3, v4
	v_cmp_gt_u32_e32 vcc, 8, v4
	v_ffbh_u32_e32 v4, v2
	v_min_u32_e32 v8, 32, v4
	v_subrev_u32_e32 v4, 28, v8
	v_lshlrev_b64 v[4:5], v4, v[56:57]
	v_sub_u32_e32 v5, 29, v8
	v_and_b32_e32 v4, 7, v4
	v_cndmask_b32_e32 v5, v7, v5, vcc
	v_cndmask_b32_e32 v2, v2, v4, vcc
	v_lshlrev_b32_e32 v4, 24, v56
	v_bfrev_b32_e32 v7, 60
	v_lshlrev_b32_e32 v2, 20, v2
	v_and_b32_e32 v4, 0x80000000, v4
	v_lshl_add_u32 v5, v5, 23, v7
	v_or3_b32 v2, v4, v5, v2
.LBB388_1020:                           ;   in Loop: Header=BB388_13 Depth=1
	s_or_b64 exec, exec, s[40:41]
.LBB388_1021:                           ;   in Loop: Header=BB388_13 Depth=1
	s_or_b64 exec, exec, s[38:39]
.LBB388_1022:                           ;   in Loop: Header=BB388_13 Depth=1
	s_or_b64 exec, exec, s[36:37]
	v_mul_f32_e32 v2, v0, v2
	v_and_b32_e32 v4, 0x7f800000, v2
	v_cmp_ne_u32_e32 vcc, s45, v4
                                        ; implicit-def: $vgpr17
	s_and_saveexec_b64 s[36:37], vcc
	s_xor_b64 vcc, exec, s[36:37]
; %bb.1023:                             ;   in Loop: Header=BB388_13 Depth=1
	v_bfe_u32 v4, v2, 16, 1
	v_add3_u32 v17, v2, v4, s46
                                        ; implicit-def: $vgpr2
; %bb.1024:                             ;   in Loop: Header=BB388_13 Depth=1
	s_andn2_saveexec_b64 s[36:37], vcc
; %bb.1025:                             ;   in Loop: Header=BB388_13 Depth=1
	v_or_b32_e32 v4, 0x10000, v2
	v_cmp_eq_u32_sdwa vcc, v2, v30 src0_sel:WORD_0 src1_sel:DWORD
	v_cndmask_b32_e32 v17, v4, v2, vcc
; %bb.1026:                             ;   in Loop: Header=BB388_13 Depth=1
	s_or_b64 exec, exec, s[36:37]
	v_lshrrev_b16_e32 v58, 8, v56
	v_cmp_ne_u16_e32 vcc, 0, v58
	v_mov_b32_e32 v2, 0
	s_and_saveexec_b64 s[36:37], vcc
	s_cbranch_execz .LBB388_1032
; %bb.1027:                             ;   in Loop: Header=BB388_13 Depth=1
	v_cmp_ne_u16_e32 vcc, s43, v58
	v_bfrev_b32_e32 v2, 1
	s_and_saveexec_b64 s[38:39], vcc
	s_cbranch_execz .LBB388_1031
; %bb.1028:                             ;   in Loop: Header=BB388_13 Depth=1
	v_and_b32_e32 v4, 0x7f, v58
	v_cmp_ne_u32_e32 vcc, s44, v4
	v_mov_b32_e32 v2, 0x7f800001
	s_and_saveexec_b64 s[40:41], vcc
	s_cbranch_execz .LBB388_1030
; %bb.1029:                             ;   in Loop: Header=BB388_13 Depth=1
	v_and_b32_e32 v2, 7, v58
	v_lshrrev_b32_e32 v7, 3, v4
	v_cmp_gt_u32_e32 vcc, 8, v4
	v_ffbh_u32_e32 v4, v2
	v_min_u32_e32 v8, 32, v4
	v_subrev_u32_e32 v4, 28, v8
	v_lshlrev_b64 v[4:5], v4, v[58:59]
	v_sub_u32_e32 v5, 29, v8
	v_and_b32_e32 v4, 7, v4
	v_cndmask_b32_e32 v5, v7, v5, vcc
	v_cndmask_b32_e32 v2, v2, v4, vcc
	v_lshlrev_b32_e32 v4, 16, v56
	v_bfrev_b32_e32 v7, 60
	v_lshlrev_b32_e32 v2, 20, v2
	v_and_b32_e32 v4, 0x80000000, v4
	v_lshl_add_u32 v5, v5, 23, v7
	v_or3_b32 v2, v4, v5, v2
.LBB388_1030:                           ;   in Loop: Header=BB388_13 Depth=1
	s_or_b64 exec, exec, s[40:41]
.LBB388_1031:                           ;   in Loop: Header=BB388_13 Depth=1
	s_or_b64 exec, exec, s[38:39]
.LBB388_1032:                           ;   in Loop: Header=BB388_13 Depth=1
	s_or_b64 exec, exec, s[36:37]
	v_mul_f32_e32 v2, v0, v2
	v_and_b32_e32 v4, 0x7f800000, v2
	v_cmp_ne_u32_e32 vcc, s45, v4
                                        ; implicit-def: $vgpr28
	s_and_saveexec_b64 s[36:37], vcc
	s_xor_b64 vcc, exec, s[36:37]
; %bb.1033:                             ;   in Loop: Header=BB388_13 Depth=1
	v_bfe_u32 v4, v2, 16, 1
	v_add3_u32 v28, v2, v4, s46
                                        ; implicit-def: $vgpr2
; %bb.1034:                             ;   in Loop: Header=BB388_13 Depth=1
	s_andn2_saveexec_b64 s[36:37], vcc
; %bb.1035:                             ;   in Loop: Header=BB388_13 Depth=1
	v_or_b32_e32 v4, 0x10000, v2
	v_cmp_eq_u32_sdwa vcc, v2, v30 src0_sel:WORD_0 src1_sel:DWORD
	v_cndmask_b32_e32 v28, v4, v2, vcc
; %bb.1036:                             ;   in Loop: Header=BB388_13 Depth=1
	s_or_b64 exec, exec, s[36:37]
	v_lshrrev_b32_e32 v58, 16, v56
	v_cmp_ne_u16_sdwa vcc, v58, v30 src0_sel:BYTE_0 src1_sel:DWORD
	v_mov_b32_e32 v2, 0
	s_and_saveexec_b64 s[36:37], vcc
	s_cbranch_execz .LBB388_1042
; %bb.1037:                             ;   in Loop: Header=BB388_13 Depth=1
	v_cmp_ne_u16_sdwa vcc, v58, s43 src0_sel:BYTE_0 src1_sel:DWORD
	v_bfrev_b32_e32 v2, 1
	s_and_saveexec_b64 s[38:39], vcc
	s_cbranch_execz .LBB388_1041
; %bb.1038:                             ;   in Loop: Header=BB388_13 Depth=1
	v_bfe_u32 v4, v56, 16, 7
	v_cmp_ne_u32_e32 vcc, s44, v4
	v_mov_b32_e32 v2, 0x7f800001
	s_and_saveexec_b64 s[40:41], vcc
	s_cbranch_execz .LBB388_1040
; %bb.1039:                             ;   in Loop: Header=BB388_13 Depth=1
	v_and_b32_e32 v2, 7, v58
	v_lshrrev_b32_e32 v7, 3, v4
	v_cmp_gt_u32_e32 vcc, 8, v4
	v_ffbh_u32_e32 v4, v2
	v_min_u32_e32 v8, 32, v4
	v_subrev_u32_e32 v4, 28, v8
	v_lshlrev_b64 v[4:5], v4, v[58:59]
	v_sub_u32_e32 v5, 29, v8
	v_and_b32_e32 v4, 7, v4
	v_cndmask_b32_e32 v5, v7, v5, vcc
	v_cndmask_b32_e32 v2, v2, v4, vcc
	v_lshlrev_b32_e32 v4, 24, v58
	v_bfrev_b32_e32 v7, 60
	v_lshlrev_b32_e32 v2, 20, v2
	v_and_b32_e32 v4, 0x80000000, v4
	v_lshl_add_u32 v5, v5, 23, v7
	v_or3_b32 v2, v4, v5, v2
.LBB388_1040:                           ;   in Loop: Header=BB388_13 Depth=1
	s_or_b64 exec, exec, s[40:41]
.LBB388_1041:                           ;   in Loop: Header=BB388_13 Depth=1
	s_or_b64 exec, exec, s[38:39]
.LBB388_1042:                           ;   in Loop: Header=BB388_13 Depth=1
	s_or_b64 exec, exec, s[36:37]
	v_mul_f32_e32 v2, v0, v2
	v_and_b32_e32 v4, 0x7f800000, v2
	v_cmp_ne_u32_e32 vcc, s45, v4
                                        ; implicit-def: $vgpr31
	s_and_saveexec_b64 s[36:37], vcc
	s_xor_b64 vcc, exec, s[36:37]
; %bb.1043:                             ;   in Loop: Header=BB388_13 Depth=1
	v_bfe_u32 v4, v2, 16, 1
	v_add3_u32 v31, v2, v4, s46
                                        ; implicit-def: $vgpr2
; %bb.1044:                             ;   in Loop: Header=BB388_13 Depth=1
	s_andn2_saveexec_b64 s[36:37], vcc
; %bb.1045:                             ;   in Loop: Header=BB388_13 Depth=1
	v_or_b32_e32 v4, 0x10000, v2
	v_cmp_eq_u32_sdwa vcc, v2, v30 src0_sel:WORD_0 src1_sel:DWORD
	v_cndmask_b32_e32 v31, v4, v2, vcc
; %bb.1046:                             ;   in Loop: Header=BB388_13 Depth=1
	s_or_b64 exec, exec, s[36:37]
	v_cmp_lt_u32_e32 vcc, s47, v56
	v_mov_b32_e32 v2, 0
	s_and_saveexec_b64 s[36:37], vcc
	s_cbranch_execz .LBB388_1052
; %bb.1047:                             ;   in Loop: Header=BB388_13 Depth=1
	v_lshrrev_b32_e32 v58, 24, v56
	v_cmp_ne_u32_e32 vcc, s43, v58
	v_bfrev_b32_e32 v2, 1
	s_and_saveexec_b64 s[38:39], vcc
	s_cbranch_execz .LBB388_1051
; %bb.1048:                             ;   in Loop: Header=BB388_13 Depth=1
	v_bfe_u32 v4, v56, 24, 7
	v_cmp_ne_u32_e32 vcc, s44, v4
	v_mov_b32_e32 v2, 0x7f800001
	s_and_saveexec_b64 s[40:41], vcc
	s_cbranch_execz .LBB388_1050
; %bb.1049:                             ;   in Loop: Header=BB388_13 Depth=1
	v_and_b32_e32 v2, 7, v58
	v_lshrrev_b32_e32 v7, 3, v4
	v_cmp_gt_u32_e32 vcc, 8, v4
	v_ffbh_u32_e32 v4, v2
	v_min_u32_e32 v8, 32, v4
	v_subrev_u32_e32 v4, 28, v8
	v_lshlrev_b64 v[4:5], v4, v[58:59]
	v_sub_u32_e32 v5, 29, v8
	v_and_b32_e32 v4, 7, v4
	v_cndmask_b32_e32 v5, v7, v5, vcc
	v_cndmask_b32_e32 v2, v2, v4, vcc
	v_lshlrev_b32_e32 v4, 24, v58
	v_bfrev_b32_e32 v7, 60
	v_lshlrev_b32_e32 v2, 20, v2
	v_and_b32_e32 v4, 0x80000000, v4
	v_lshl_add_u32 v5, v5, 23, v7
	v_or3_b32 v2, v4, v5, v2
.LBB388_1050:                           ;   in Loop: Header=BB388_13 Depth=1
	s_or_b64 exec, exec, s[40:41]
.LBB388_1051:                           ;   in Loop: Header=BB388_13 Depth=1
	s_or_b64 exec, exec, s[38:39]
.LBB388_1052:                           ;   in Loop: Header=BB388_13 Depth=1
	s_or_b64 exec, exec, s[36:37]
	v_mul_f32_e32 v2, v0, v2
	v_and_b32_e32 v4, 0x7f800000, v2
	v_cmp_ne_u32_e32 vcc, s45, v4
                                        ; implicit-def: $vgpr8
	s_and_saveexec_b64 s[36:37], vcc
	s_xor_b64 vcc, exec, s[36:37]
; %bb.1053:                             ;   in Loop: Header=BB388_13 Depth=1
	v_bfe_u32 v4, v2, 16, 1
	v_add3_u32 v8, v2, v4, s46
                                        ; implicit-def: $vgpr2
; %bb.1054:                             ;   in Loop: Header=BB388_13 Depth=1
	s_andn2_saveexec_b64 s[36:37], vcc
; %bb.1055:                             ;   in Loop: Header=BB388_13 Depth=1
	v_or_b32_e32 v4, 0x10000, v2
	v_cmp_eq_u32_sdwa vcc, v2, v30 src0_sel:WORD_0 src1_sel:DWORD
	v_cndmask_b32_e32 v8, v4, v2, vcc
; %bb.1056:                             ;   in Loop: Header=BB388_13 Depth=1
	s_or_b64 exec, exec, s[36:37]
	v_add_co_u32_e32 v4, vcc, 0x1000, v46
	v_addc_co_u32_e32 v5, vcc, 0, v47, vcc
	flat_load_dword v56, v[4:5] offset:2560
	v_mov_b32_e32 v2, 0
	s_waitcnt vmcnt(0) lgkmcnt(0)
	v_cmp_ne_u16_sdwa vcc, v56, v30 src0_sel:BYTE_0 src1_sel:DWORD
	s_and_saveexec_b64 s[36:37], vcc
	s_cbranch_execz .LBB388_1062
; %bb.1057:                             ;   in Loop: Header=BB388_13 Depth=1
	v_cmp_ne_u16_sdwa vcc, v56, s43 src0_sel:BYTE_0 src1_sel:DWORD
	v_bfrev_b32_e32 v2, 1
	s_and_saveexec_b64 s[38:39], vcc
	s_cbranch_execz .LBB388_1061
; %bb.1058:                             ;   in Loop: Header=BB388_13 Depth=1
	v_and_b32_e32 v4, 0x7f, v56
	v_cmp_ne_u32_e32 vcc, s44, v4
	v_mov_b32_e32 v2, 0x7f800001
	s_and_saveexec_b64 s[40:41], vcc
	s_cbranch_execz .LBB388_1060
; %bb.1059:                             ;   in Loop: Header=BB388_13 Depth=1
	v_and_b32_e32 v2, 7, v56
	v_lshrrev_b32_e32 v7, 3, v4
	v_cmp_gt_u32_e32 vcc, 8, v4
	v_ffbh_u32_e32 v4, v2
	v_min_u32_e32 v10, 32, v4
	v_subrev_u32_e32 v4, 28, v10
	v_lshlrev_b64 v[4:5], v4, v[56:57]
	v_sub_u32_e32 v5, 29, v10
	v_and_b32_e32 v4, 7, v4
	v_cndmask_b32_e32 v5, v7, v5, vcc
	v_cndmask_b32_e32 v2, v2, v4, vcc
	v_lshlrev_b32_e32 v4, 24, v56
	v_bfrev_b32_e32 v7, 60
	v_lshlrev_b32_e32 v2, 20, v2
	v_and_b32_e32 v4, 0x80000000, v4
	v_lshl_add_u32 v5, v5, 23, v7
	v_or3_b32 v2, v4, v5, v2
.LBB388_1060:                           ;   in Loop: Header=BB388_13 Depth=1
	s_or_b64 exec, exec, s[40:41]
.LBB388_1061:                           ;   in Loop: Header=BB388_13 Depth=1
	s_or_b64 exec, exec, s[38:39]
.LBB388_1062:                           ;   in Loop: Header=BB388_13 Depth=1
	s_or_b64 exec, exec, s[36:37]
	v_mul_f32_e32 v2, v0, v2
	v_and_b32_e32 v4, 0x7f800000, v2
	v_cmp_ne_u32_e32 vcc, s45, v4
                                        ; implicit-def: $vgpr19
	s_and_saveexec_b64 s[36:37], vcc
	s_xor_b64 vcc, exec, s[36:37]
; %bb.1063:                             ;   in Loop: Header=BB388_13 Depth=1
	v_bfe_u32 v4, v2, 16, 1
	v_add3_u32 v19, v2, v4, s46
                                        ; implicit-def: $vgpr2
; %bb.1064:                             ;   in Loop: Header=BB388_13 Depth=1
	s_andn2_saveexec_b64 s[36:37], vcc
; %bb.1065:                             ;   in Loop: Header=BB388_13 Depth=1
	v_or_b32_e32 v4, 0x10000, v2
	v_cmp_eq_u32_sdwa vcc, v2, v30 src0_sel:WORD_0 src1_sel:DWORD
	v_cndmask_b32_e32 v19, v4, v2, vcc
; %bb.1066:                             ;   in Loop: Header=BB388_13 Depth=1
	s_or_b64 exec, exec, s[36:37]
	v_lshrrev_b16_e32 v58, 8, v56
	v_cmp_ne_u16_e32 vcc, 0, v58
	v_mov_b32_e32 v2, 0
	s_and_saveexec_b64 s[36:37], vcc
	s_cbranch_execz .LBB388_1072
; %bb.1067:                             ;   in Loop: Header=BB388_13 Depth=1
	v_cmp_ne_u16_e32 vcc, s43, v58
	v_bfrev_b32_e32 v2, 1
	s_and_saveexec_b64 s[38:39], vcc
	s_cbranch_execz .LBB388_1071
; %bb.1068:                             ;   in Loop: Header=BB388_13 Depth=1
	v_and_b32_e32 v4, 0x7f, v58
	v_cmp_ne_u32_e32 vcc, s44, v4
	v_mov_b32_e32 v2, 0x7f800001
	s_and_saveexec_b64 s[40:41], vcc
	s_cbranch_execz .LBB388_1070
; %bb.1069:                             ;   in Loop: Header=BB388_13 Depth=1
	v_and_b32_e32 v2, 7, v58
	v_lshrrev_b32_e32 v7, 3, v4
	v_cmp_gt_u32_e32 vcc, 8, v4
	v_ffbh_u32_e32 v4, v2
	v_min_u32_e32 v10, 32, v4
	v_subrev_u32_e32 v4, 28, v10
	v_lshlrev_b64 v[4:5], v4, v[58:59]
	v_sub_u32_e32 v5, 29, v10
	v_and_b32_e32 v4, 7, v4
	v_cndmask_b32_e32 v5, v7, v5, vcc
	v_cndmask_b32_e32 v2, v2, v4, vcc
	v_lshlrev_b32_e32 v4, 16, v56
	v_bfrev_b32_e32 v7, 60
	v_lshlrev_b32_e32 v2, 20, v2
	v_and_b32_e32 v4, 0x80000000, v4
	v_lshl_add_u32 v5, v5, 23, v7
	v_or3_b32 v2, v4, v5, v2
.LBB388_1070:                           ;   in Loop: Header=BB388_13 Depth=1
	s_or_b64 exec, exec, s[40:41]
.LBB388_1071:                           ;   in Loop: Header=BB388_13 Depth=1
	s_or_b64 exec, exec, s[38:39]
.LBB388_1072:                           ;   in Loop: Header=BB388_13 Depth=1
	s_or_b64 exec, exec, s[36:37]
	v_mul_f32_e32 v2, v0, v2
	v_and_b32_e32 v4, 0x7f800000, v2
	v_cmp_ne_u32_e32 vcc, s45, v4
                                        ; implicit-def: $vgpr49
	s_and_saveexec_b64 s[36:37], vcc
	s_xor_b64 vcc, exec, s[36:37]
; %bb.1073:                             ;   in Loop: Header=BB388_13 Depth=1
	v_bfe_u32 v4, v2, 16, 1
	v_add3_u32 v49, v2, v4, s46
                                        ; implicit-def: $vgpr2
; %bb.1074:                             ;   in Loop: Header=BB388_13 Depth=1
	s_andn2_saveexec_b64 s[36:37], vcc
; %bb.1075:                             ;   in Loop: Header=BB388_13 Depth=1
	v_or_b32_e32 v4, 0x10000, v2
	v_cmp_eq_u32_sdwa vcc, v2, v30 src0_sel:WORD_0 src1_sel:DWORD
	v_cndmask_b32_e32 v49, v4, v2, vcc
; %bb.1076:                             ;   in Loop: Header=BB388_13 Depth=1
	s_or_b64 exec, exec, s[36:37]
	v_lshrrev_b32_e32 v58, 16, v56
	v_cmp_ne_u16_sdwa vcc, v58, v30 src0_sel:BYTE_0 src1_sel:DWORD
	v_mov_b32_e32 v2, 0
	s_and_saveexec_b64 s[36:37], vcc
	s_cbranch_execz .LBB388_1082
; %bb.1077:                             ;   in Loop: Header=BB388_13 Depth=1
	v_cmp_ne_u16_sdwa vcc, v58, s43 src0_sel:BYTE_0 src1_sel:DWORD
	v_bfrev_b32_e32 v2, 1
	s_and_saveexec_b64 s[38:39], vcc
	s_cbranch_execz .LBB388_1081
; %bb.1078:                             ;   in Loop: Header=BB388_13 Depth=1
	v_bfe_u32 v4, v56, 16, 7
	v_cmp_ne_u32_e32 vcc, s44, v4
	v_mov_b32_e32 v2, 0x7f800001
	s_and_saveexec_b64 s[40:41], vcc
	s_cbranch_execz .LBB388_1080
; %bb.1079:                             ;   in Loop: Header=BB388_13 Depth=1
	v_and_b32_e32 v2, 7, v58
	v_lshrrev_b32_e32 v7, 3, v4
	v_cmp_gt_u32_e32 vcc, 8, v4
	v_ffbh_u32_e32 v4, v2
	v_min_u32_e32 v10, 32, v4
	v_subrev_u32_e32 v4, 28, v10
	v_lshlrev_b64 v[4:5], v4, v[58:59]
	v_sub_u32_e32 v5, 29, v10
	v_and_b32_e32 v4, 7, v4
	v_cndmask_b32_e32 v5, v7, v5, vcc
	v_cndmask_b32_e32 v2, v2, v4, vcc
	v_lshlrev_b32_e32 v4, 24, v58
	v_bfrev_b32_e32 v7, 60
	v_lshlrev_b32_e32 v2, 20, v2
	v_and_b32_e32 v4, 0x80000000, v4
	v_lshl_add_u32 v5, v5, 23, v7
	v_or3_b32 v2, v4, v5, v2
.LBB388_1080:                           ;   in Loop: Header=BB388_13 Depth=1
	s_or_b64 exec, exec, s[40:41]
.LBB388_1081:                           ;   in Loop: Header=BB388_13 Depth=1
	s_or_b64 exec, exec, s[38:39]
.LBB388_1082:                           ;   in Loop: Header=BB388_13 Depth=1
	s_or_b64 exec, exec, s[36:37]
	v_mul_f32_e32 v2, v0, v2
	v_and_b32_e32 v4, 0x7f800000, v2
	v_cmp_ne_u32_e32 vcc, s45, v4
                                        ; implicit-def: $vgpr7
	s_and_saveexec_b64 s[36:37], vcc
	s_xor_b64 vcc, exec, s[36:37]
; %bb.1083:                             ;   in Loop: Header=BB388_13 Depth=1
	v_bfe_u32 v4, v2, 16, 1
	v_add3_u32 v7, v2, v4, s46
                                        ; implicit-def: $vgpr2
; %bb.1084:                             ;   in Loop: Header=BB388_13 Depth=1
	s_andn2_saveexec_b64 s[36:37], vcc
; %bb.1085:                             ;   in Loop: Header=BB388_13 Depth=1
	v_or_b32_e32 v4, 0x10000, v2
	v_cmp_eq_u32_sdwa vcc, v2, v30 src0_sel:WORD_0 src1_sel:DWORD
	v_cndmask_b32_e32 v7, v4, v2, vcc
; %bb.1086:                             ;   in Loop: Header=BB388_13 Depth=1
	s_or_b64 exec, exec, s[36:37]
	v_cmp_lt_u32_e32 vcc, s47, v56
	v_mov_b32_e32 v2, 0
	s_and_saveexec_b64 s[36:37], vcc
	s_cbranch_execz .LBB388_1092
; %bb.1087:                             ;   in Loop: Header=BB388_13 Depth=1
	v_lshrrev_b32_e32 v58, 24, v56
	v_cmp_ne_u32_e32 vcc, s43, v58
	v_bfrev_b32_e32 v2, 1
	s_and_saveexec_b64 s[38:39], vcc
	s_cbranch_execz .LBB388_1091
; %bb.1088:                             ;   in Loop: Header=BB388_13 Depth=1
	v_bfe_u32 v4, v56, 24, 7
	v_cmp_ne_u32_e32 vcc, s44, v4
	v_mov_b32_e32 v2, 0x7f800001
	s_and_saveexec_b64 s[40:41], vcc
	s_cbranch_execz .LBB388_1090
; %bb.1089:                             ;   in Loop: Header=BB388_13 Depth=1
	v_and_b32_e32 v2, 7, v58
	v_lshrrev_b32_e32 v10, 3, v4
	v_cmp_gt_u32_e32 vcc, 8, v4
	v_ffbh_u32_e32 v4, v2
	v_min_u32_e32 v11, 32, v4
	v_subrev_u32_e32 v4, 28, v11
	v_lshlrev_b64 v[4:5], v4, v[58:59]
	v_sub_u32_e32 v5, 29, v11
	v_and_b32_e32 v4, 7, v4
	v_cndmask_b32_e32 v5, v10, v5, vcc
	v_cndmask_b32_e32 v2, v2, v4, vcc
	v_lshlrev_b32_e32 v4, 24, v58
	v_bfrev_b32_e32 v10, 60
	v_lshlrev_b32_e32 v2, 20, v2
	v_and_b32_e32 v4, 0x80000000, v4
	v_lshl_add_u32 v5, v5, 23, v10
	v_or3_b32 v2, v4, v5, v2
.LBB388_1090:                           ;   in Loop: Header=BB388_13 Depth=1
	s_or_b64 exec, exec, s[40:41]
.LBB388_1091:                           ;   in Loop: Header=BB388_13 Depth=1
	s_or_b64 exec, exec, s[38:39]
.LBB388_1092:                           ;   in Loop: Header=BB388_13 Depth=1
	s_or_b64 exec, exec, s[36:37]
	v_mul_f32_e32 v2, v0, v2
	v_and_b32_e32 v4, 0x7f800000, v2
	v_cmp_ne_u32_e32 vcc, s45, v4
                                        ; implicit-def: $vgpr10
	s_and_saveexec_b64 s[36:37], vcc
	s_xor_b64 vcc, exec, s[36:37]
; %bb.1093:                             ;   in Loop: Header=BB388_13 Depth=1
	v_bfe_u32 v4, v2, 16, 1
	v_add3_u32 v10, v2, v4, s46
                                        ; implicit-def: $vgpr2
; %bb.1094:                             ;   in Loop: Header=BB388_13 Depth=1
	s_andn2_saveexec_b64 s[36:37], vcc
; %bb.1095:                             ;   in Loop: Header=BB388_13 Depth=1
	v_or_b32_e32 v4, 0x10000, v2
	v_cmp_eq_u32_sdwa vcc, v2, v30 src0_sel:WORD_0 src1_sel:DWORD
	v_cndmask_b32_e32 v10, v4, v2, vcc
; %bb.1096:                             ;   in Loop: Header=BB388_13 Depth=1
	s_or_b64 exec, exec, s[36:37]
	v_add_co_u32_e32 v4, vcc, 0x1a00, v46
	v_addc_co_u32_e32 v5, vcc, 0, v47, vcc
	flat_load_dword v56, v[4:5] offset:8
	v_mov_b32_e32 v2, 0
	s_waitcnt vmcnt(0) lgkmcnt(0)
	v_cmp_ne_u16_sdwa vcc, v56, v30 src0_sel:BYTE_0 src1_sel:DWORD
	s_and_saveexec_b64 s[36:37], vcc
	s_cbranch_execz .LBB388_1102
; %bb.1097:                             ;   in Loop: Header=BB388_13 Depth=1
	v_cmp_ne_u16_sdwa vcc, v56, s43 src0_sel:BYTE_0 src1_sel:DWORD
	v_bfrev_b32_e32 v2, 1
	s_and_saveexec_b64 s[38:39], vcc
	s_cbranch_execz .LBB388_1101
; %bb.1098:                             ;   in Loop: Header=BB388_13 Depth=1
	v_and_b32_e32 v4, 0x7f, v56
	v_cmp_ne_u32_e32 vcc, s44, v4
	v_mov_b32_e32 v2, 0x7f800001
	s_and_saveexec_b64 s[40:41], vcc
	s_cbranch_execz .LBB388_1100
; %bb.1099:                             ;   in Loop: Header=BB388_13 Depth=1
	v_and_b32_e32 v2, 7, v56
	v_lshrrev_b32_e32 v11, 3, v4
	v_cmp_gt_u32_e32 vcc, 8, v4
	v_ffbh_u32_e32 v4, v2
	v_min_u32_e32 v14, 32, v4
	v_subrev_u32_e32 v4, 28, v14
	v_lshlrev_b64 v[4:5], v4, v[56:57]
	v_sub_u32_e32 v5, 29, v14
	v_and_b32_e32 v4, 7, v4
	v_cndmask_b32_e32 v5, v11, v5, vcc
	v_cndmask_b32_e32 v2, v2, v4, vcc
	v_lshlrev_b32_e32 v4, 24, v56
	v_bfrev_b32_e32 v11, 60
	v_lshlrev_b32_e32 v2, 20, v2
	v_and_b32_e32 v4, 0x80000000, v4
	v_lshl_add_u32 v5, v5, 23, v11
	v_or3_b32 v2, v4, v5, v2
.LBB388_1100:                           ;   in Loop: Header=BB388_13 Depth=1
	s_or_b64 exec, exec, s[40:41]
.LBB388_1101:                           ;   in Loop: Header=BB388_13 Depth=1
	s_or_b64 exec, exec, s[38:39]
.LBB388_1102:                           ;   in Loop: Header=BB388_13 Depth=1
	s_or_b64 exec, exec, s[36:37]
	v_mul_f32_e32 v2, v0, v2
	v_and_b32_e32 v4, 0x7f800000, v2
	v_cmp_ne_u32_e32 vcc, s45, v4
                                        ; implicit-def: $vgpr18
	s_and_saveexec_b64 s[36:37], vcc
	s_xor_b64 vcc, exec, s[36:37]
; %bb.1103:                             ;   in Loop: Header=BB388_13 Depth=1
	v_bfe_u32 v4, v2, 16, 1
	v_add3_u32 v18, v2, v4, s46
                                        ; implicit-def: $vgpr2
; %bb.1104:                             ;   in Loop: Header=BB388_13 Depth=1
	s_andn2_saveexec_b64 s[36:37], vcc
; %bb.1105:                             ;   in Loop: Header=BB388_13 Depth=1
	v_or_b32_e32 v4, 0x10000, v2
	v_cmp_eq_u32_sdwa vcc, v2, v30 src0_sel:WORD_0 src1_sel:DWORD
	v_cndmask_b32_e32 v18, v4, v2, vcc
; %bb.1106:                             ;   in Loop: Header=BB388_13 Depth=1
	s_or_b64 exec, exec, s[36:37]
	v_lshrrev_b16_e32 v58, 8, v56
	v_cmp_ne_u16_e32 vcc, 0, v58
	v_mov_b32_e32 v2, 0
	s_and_saveexec_b64 s[36:37], vcc
	s_cbranch_execz .LBB388_1112
; %bb.1107:                             ;   in Loop: Header=BB388_13 Depth=1
	v_cmp_ne_u16_e32 vcc, s43, v58
	v_bfrev_b32_e32 v2, 1
	s_and_saveexec_b64 s[38:39], vcc
	s_cbranch_execz .LBB388_1111
; %bb.1108:                             ;   in Loop: Header=BB388_13 Depth=1
	v_and_b32_e32 v4, 0x7f, v58
	v_cmp_ne_u32_e32 vcc, s44, v4
	v_mov_b32_e32 v2, 0x7f800001
	s_and_saveexec_b64 s[40:41], vcc
	s_cbranch_execz .LBB388_1110
; %bb.1109:                             ;   in Loop: Header=BB388_13 Depth=1
	v_and_b32_e32 v2, 7, v58
	v_lshrrev_b32_e32 v11, 3, v4
	v_cmp_gt_u32_e32 vcc, 8, v4
	v_ffbh_u32_e32 v4, v2
	v_min_u32_e32 v14, 32, v4
	v_subrev_u32_e32 v4, 28, v14
	v_lshlrev_b64 v[4:5], v4, v[58:59]
	v_sub_u32_e32 v5, 29, v14
	v_and_b32_e32 v4, 7, v4
	v_cndmask_b32_e32 v5, v11, v5, vcc
	v_cndmask_b32_e32 v2, v2, v4, vcc
	v_lshlrev_b32_e32 v4, 16, v56
	v_bfrev_b32_e32 v11, 60
	v_lshlrev_b32_e32 v2, 20, v2
	v_and_b32_e32 v4, 0x80000000, v4
	v_lshl_add_u32 v5, v5, 23, v11
	v_or3_b32 v2, v4, v5, v2
.LBB388_1110:                           ;   in Loop: Header=BB388_13 Depth=1
	s_or_b64 exec, exec, s[40:41]
.LBB388_1111:                           ;   in Loop: Header=BB388_13 Depth=1
	s_or_b64 exec, exec, s[38:39]
.LBB388_1112:                           ;   in Loop: Header=BB388_13 Depth=1
	s_or_b64 exec, exec, s[36:37]
	v_mul_f32_e32 v2, v0, v2
	v_and_b32_e32 v4, 0x7f800000, v2
	v_cmp_ne_u32_e32 vcc, s45, v4
                                        ; implicit-def: $vgpr27
	s_and_saveexec_b64 s[36:37], vcc
	s_xor_b64 vcc, exec, s[36:37]
; %bb.1113:                             ;   in Loop: Header=BB388_13 Depth=1
	v_bfe_u32 v4, v2, 16, 1
	v_add3_u32 v27, v2, v4, s46
                                        ; implicit-def: $vgpr2
; %bb.1114:                             ;   in Loop: Header=BB388_13 Depth=1
	s_andn2_saveexec_b64 s[36:37], vcc
; %bb.1115:                             ;   in Loop: Header=BB388_13 Depth=1
	v_or_b32_e32 v4, 0x10000, v2
	v_cmp_eq_u32_sdwa vcc, v2, v30 src0_sel:WORD_0 src1_sel:DWORD
	v_cndmask_b32_e32 v27, v4, v2, vcc
; %bb.1116:                             ;   in Loop: Header=BB388_13 Depth=1
	s_or_b64 exec, exec, s[36:37]
	v_lshrrev_b32_e32 v58, 16, v56
	v_cmp_ne_u16_sdwa vcc, v58, v30 src0_sel:BYTE_0 src1_sel:DWORD
	v_mov_b32_e32 v2, 0
	s_and_saveexec_b64 s[36:37], vcc
	s_cbranch_execz .LBB388_1122
; %bb.1117:                             ;   in Loop: Header=BB388_13 Depth=1
	v_cmp_ne_u16_sdwa vcc, v58, s43 src0_sel:BYTE_0 src1_sel:DWORD
	v_bfrev_b32_e32 v2, 1
	s_and_saveexec_b64 s[38:39], vcc
	s_cbranch_execz .LBB388_1121
; %bb.1118:                             ;   in Loop: Header=BB388_13 Depth=1
	v_bfe_u32 v4, v56, 16, 7
	v_cmp_ne_u32_e32 vcc, s44, v4
	v_mov_b32_e32 v2, 0x7f800001
	s_and_saveexec_b64 s[40:41], vcc
	s_cbranch_execz .LBB388_1120
; %bb.1119:                             ;   in Loop: Header=BB388_13 Depth=1
	v_and_b32_e32 v2, 7, v58
	v_lshrrev_b32_e32 v11, 3, v4
	v_cmp_gt_u32_e32 vcc, 8, v4
	v_ffbh_u32_e32 v4, v2
	v_min_u32_e32 v14, 32, v4
	v_subrev_u32_e32 v4, 28, v14
	v_lshlrev_b64 v[4:5], v4, v[58:59]
	v_sub_u32_e32 v5, 29, v14
	v_and_b32_e32 v4, 7, v4
	v_cndmask_b32_e32 v5, v11, v5, vcc
	v_cndmask_b32_e32 v2, v2, v4, vcc
	v_lshlrev_b32_e32 v4, 24, v58
	v_bfrev_b32_e32 v11, 60
	v_lshlrev_b32_e32 v2, 20, v2
	v_and_b32_e32 v4, 0x80000000, v4
	v_lshl_add_u32 v5, v5, 23, v11
	v_or3_b32 v2, v4, v5, v2
.LBB388_1120:                           ;   in Loop: Header=BB388_13 Depth=1
	s_or_b64 exec, exec, s[40:41]
.LBB388_1121:                           ;   in Loop: Header=BB388_13 Depth=1
	s_or_b64 exec, exec, s[38:39]
.LBB388_1122:                           ;   in Loop: Header=BB388_13 Depth=1
	s_or_b64 exec, exec, s[36:37]
	v_mul_f32_e32 v2, v0, v2
	v_and_b32_e32 v4, 0x7f800000, v2
	v_cmp_ne_u32_e32 vcc, s45, v4
                                        ; implicit-def: $vgpr22
	s_and_saveexec_b64 s[36:37], vcc
	s_xor_b64 vcc, exec, s[36:37]
; %bb.1123:                             ;   in Loop: Header=BB388_13 Depth=1
	v_bfe_u32 v4, v2, 16, 1
	v_add3_u32 v22, v2, v4, s46
                                        ; implicit-def: $vgpr2
; %bb.1124:                             ;   in Loop: Header=BB388_13 Depth=1
	s_andn2_saveexec_b64 s[36:37], vcc
; %bb.1125:                             ;   in Loop: Header=BB388_13 Depth=1
	v_or_b32_e32 v4, 0x10000, v2
	v_cmp_eq_u32_sdwa vcc, v2, v30 src0_sel:WORD_0 src1_sel:DWORD
	v_cndmask_b32_e32 v22, v4, v2, vcc
; %bb.1126:                             ;   in Loop: Header=BB388_13 Depth=1
	s_or_b64 exec, exec, s[36:37]
	v_cmp_lt_u32_e32 vcc, s47, v56
	v_mov_b32_e32 v2, 0
	s_and_saveexec_b64 s[36:37], vcc
	s_cbranch_execz .LBB388_1132
; %bb.1127:                             ;   in Loop: Header=BB388_13 Depth=1
	v_lshrrev_b32_e32 v58, 24, v56
	v_cmp_ne_u32_e32 vcc, s43, v58
	v_bfrev_b32_e32 v2, 1
	s_and_saveexec_b64 s[38:39], vcc
	s_cbranch_execz .LBB388_1131
; %bb.1128:                             ;   in Loop: Header=BB388_13 Depth=1
	v_bfe_u32 v4, v56, 24, 7
	v_cmp_ne_u32_e32 vcc, s44, v4
	v_mov_b32_e32 v2, 0x7f800001
	s_and_saveexec_b64 s[40:41], vcc
	s_cbranch_execz .LBB388_1130
; %bb.1129:                             ;   in Loop: Header=BB388_13 Depth=1
	v_and_b32_e32 v2, 7, v58
	v_lshrrev_b32_e32 v11, 3, v4
	v_cmp_gt_u32_e32 vcc, 8, v4
	v_ffbh_u32_e32 v4, v2
	v_min_u32_e32 v14, 32, v4
	v_subrev_u32_e32 v4, 28, v14
	v_lshlrev_b64 v[4:5], v4, v[58:59]
	v_sub_u32_e32 v5, 29, v14
	v_and_b32_e32 v4, 7, v4
	v_cndmask_b32_e32 v5, v11, v5, vcc
	v_cndmask_b32_e32 v2, v2, v4, vcc
	v_lshlrev_b32_e32 v4, 24, v58
	v_bfrev_b32_e32 v11, 60
	v_lshlrev_b32_e32 v2, 20, v2
	v_and_b32_e32 v4, 0x80000000, v4
	v_lshl_add_u32 v5, v5, 23, v11
	v_or3_b32 v2, v4, v5, v2
.LBB388_1130:                           ;   in Loop: Header=BB388_13 Depth=1
	s_or_b64 exec, exec, s[40:41]
.LBB388_1131:                           ;   in Loop: Header=BB388_13 Depth=1
	s_or_b64 exec, exec, s[38:39]
.LBB388_1132:                           ;   in Loop: Header=BB388_13 Depth=1
	s_or_b64 exec, exec, s[36:37]
	v_mul_f32_e32 v2, v0, v2
	v_and_b32_e32 v4, 0x7f800000, v2
	v_cmp_ne_u32_e32 vcc, s45, v4
                                        ; implicit-def: $vgpr26
	s_and_saveexec_b64 s[36:37], vcc
	s_xor_b64 vcc, exec, s[36:37]
; %bb.1133:                             ;   in Loop: Header=BB388_13 Depth=1
	v_bfe_u32 v4, v2, 16, 1
	v_add3_u32 v26, v2, v4, s46
                                        ; implicit-def: $vgpr2
; %bb.1134:                             ;   in Loop: Header=BB388_13 Depth=1
	s_andn2_saveexec_b64 s[36:37], vcc
; %bb.1135:                             ;   in Loop: Header=BB388_13 Depth=1
	v_or_b32_e32 v4, 0x10000, v2
	v_cmp_eq_u32_sdwa vcc, v2, v30 src0_sel:WORD_0 src1_sel:DWORD
	v_cndmask_b32_e32 v26, v4, v2, vcc
; %bb.1136:                             ;   in Loop: Header=BB388_13 Depth=1
	s_or_b64 exec, exec, s[36:37]
	v_add_co_u32_e32 v4, vcc, 0x1000, v46
	v_addc_co_u32_e32 v5, vcc, 0, v47, vcc
	flat_load_dword v56, v[4:5] offset:3072
	v_mov_b32_e32 v2, 0
	s_waitcnt vmcnt(0) lgkmcnt(0)
	v_cmp_ne_u16_sdwa vcc, v56, v30 src0_sel:BYTE_0 src1_sel:DWORD
	s_and_saveexec_b64 s[36:37], vcc
	s_cbranch_execz .LBB388_1142
; %bb.1137:                             ;   in Loop: Header=BB388_13 Depth=1
	v_cmp_ne_u16_sdwa vcc, v56, s43 src0_sel:BYTE_0 src1_sel:DWORD
	v_bfrev_b32_e32 v2, 1
	s_and_saveexec_b64 s[38:39], vcc
	s_cbranch_execz .LBB388_1141
; %bb.1138:                             ;   in Loop: Header=BB388_13 Depth=1
	v_and_b32_e32 v4, 0x7f, v56
	v_cmp_ne_u32_e32 vcc, s44, v4
	v_mov_b32_e32 v2, 0x7f800001
	s_and_saveexec_b64 s[40:41], vcc
	s_cbranch_execz .LBB388_1140
; %bb.1139:                             ;   in Loop: Header=BB388_13 Depth=1
	v_and_b32_e32 v2, 7, v56
	v_lshrrev_b32_e32 v11, 3, v4
	v_cmp_gt_u32_e32 vcc, 8, v4
	v_ffbh_u32_e32 v4, v2
	v_min_u32_e32 v14, 32, v4
	v_subrev_u32_e32 v4, 28, v14
	v_lshlrev_b64 v[4:5], v4, v[56:57]
	v_sub_u32_e32 v5, 29, v14
	v_and_b32_e32 v4, 7, v4
	v_cndmask_b32_e32 v5, v11, v5, vcc
	v_cndmask_b32_e32 v2, v2, v4, vcc
	v_lshlrev_b32_e32 v4, 24, v56
	v_bfrev_b32_e32 v11, 60
	v_lshlrev_b32_e32 v2, 20, v2
	v_and_b32_e32 v4, 0x80000000, v4
	v_lshl_add_u32 v5, v5, 23, v11
	v_or3_b32 v2, v4, v5, v2
.LBB388_1140:                           ;   in Loop: Header=BB388_13 Depth=1
	s_or_b64 exec, exec, s[40:41]
.LBB388_1141:                           ;   in Loop: Header=BB388_13 Depth=1
	s_or_b64 exec, exec, s[38:39]
.LBB388_1142:                           ;   in Loop: Header=BB388_13 Depth=1
	s_or_b64 exec, exec, s[36:37]
	v_mul_f32_e32 v2, v0, v2
	v_and_b32_e32 v4, 0x7f800000, v2
	v_cmp_ne_u32_e32 vcc, s45, v4
                                        ; implicit-def: $vgpr29
	s_and_saveexec_b64 s[36:37], vcc
	s_xor_b64 vcc, exec, s[36:37]
; %bb.1143:                             ;   in Loop: Header=BB388_13 Depth=1
	v_bfe_u32 v4, v2, 16, 1
	v_add3_u32 v29, v2, v4, s46
                                        ; implicit-def: $vgpr2
; %bb.1144:                             ;   in Loop: Header=BB388_13 Depth=1
	s_andn2_saveexec_b64 s[36:37], vcc
; %bb.1145:                             ;   in Loop: Header=BB388_13 Depth=1
	v_or_b32_e32 v4, 0x10000, v2
	v_cmp_eq_u32_sdwa vcc, v2, v30 src0_sel:WORD_0 src1_sel:DWORD
	v_cndmask_b32_e32 v29, v4, v2, vcc
; %bb.1146:                             ;   in Loop: Header=BB388_13 Depth=1
	s_or_b64 exec, exec, s[36:37]
	v_lshrrev_b16_e32 v58, 8, v56
	v_cmp_ne_u16_e32 vcc, 0, v58
	v_mov_b32_e32 v2, 0
	s_and_saveexec_b64 s[36:37], vcc
	s_cbranch_execz .LBB388_1152
; %bb.1147:                             ;   in Loop: Header=BB388_13 Depth=1
	v_cmp_ne_u16_e32 vcc, s43, v58
	v_bfrev_b32_e32 v2, 1
	s_and_saveexec_b64 s[38:39], vcc
	s_cbranch_execz .LBB388_1151
; %bb.1148:                             ;   in Loop: Header=BB388_13 Depth=1
	v_and_b32_e32 v4, 0x7f, v58
	v_cmp_ne_u32_e32 vcc, s44, v4
	v_mov_b32_e32 v2, 0x7f800001
	s_and_saveexec_b64 s[40:41], vcc
	s_cbranch_execz .LBB388_1150
; %bb.1149:                             ;   in Loop: Header=BB388_13 Depth=1
	v_and_b32_e32 v2, 7, v58
	v_lshrrev_b32_e32 v11, 3, v4
	v_cmp_gt_u32_e32 vcc, 8, v4
	v_ffbh_u32_e32 v4, v2
	v_min_u32_e32 v14, 32, v4
	v_subrev_u32_e32 v4, 28, v14
	v_lshlrev_b64 v[4:5], v4, v[58:59]
	v_sub_u32_e32 v5, 29, v14
	v_and_b32_e32 v4, 7, v4
	v_cndmask_b32_e32 v5, v11, v5, vcc
	v_cndmask_b32_e32 v2, v2, v4, vcc
	v_lshlrev_b32_e32 v4, 16, v56
	v_bfrev_b32_e32 v11, 60
	v_lshlrev_b32_e32 v2, 20, v2
	v_and_b32_e32 v4, 0x80000000, v4
	v_lshl_add_u32 v5, v5, 23, v11
	v_or3_b32 v2, v4, v5, v2
.LBB388_1150:                           ;   in Loop: Header=BB388_13 Depth=1
	s_or_b64 exec, exec, s[40:41]
.LBB388_1151:                           ;   in Loop: Header=BB388_13 Depth=1
	s_or_b64 exec, exec, s[38:39]
.LBB388_1152:                           ;   in Loop: Header=BB388_13 Depth=1
	s_or_b64 exec, exec, s[36:37]
	v_mul_f32_e32 v2, v0, v2
	v_and_b32_e32 v4, 0x7f800000, v2
	v_cmp_ne_u32_e32 vcc, s45, v4
                                        ; implicit-def: $vgpr14
	s_and_saveexec_b64 s[36:37], vcc
	s_xor_b64 vcc, exec, s[36:37]
; %bb.1153:                             ;   in Loop: Header=BB388_13 Depth=1
	v_bfe_u32 v4, v2, 16, 1
	v_add3_u32 v14, v2, v4, s46
                                        ; implicit-def: $vgpr2
; %bb.1154:                             ;   in Loop: Header=BB388_13 Depth=1
	s_andn2_saveexec_b64 s[36:37], vcc
; %bb.1155:                             ;   in Loop: Header=BB388_13 Depth=1
	v_or_b32_e32 v4, 0x10000, v2
	v_cmp_eq_u32_sdwa vcc, v2, v30 src0_sel:WORD_0 src1_sel:DWORD
	v_cndmask_b32_e32 v14, v4, v2, vcc
; %bb.1156:                             ;   in Loop: Header=BB388_13 Depth=1
	s_or_b64 exec, exec, s[36:37]
	v_lshrrev_b32_e32 v58, 16, v56
	v_cmp_ne_u16_sdwa vcc, v58, v30 src0_sel:BYTE_0 src1_sel:DWORD
	v_mov_b32_e32 v2, 0
	s_and_saveexec_b64 s[36:37], vcc
	s_cbranch_execz .LBB388_1162
; %bb.1157:                             ;   in Loop: Header=BB388_13 Depth=1
	v_cmp_ne_u16_sdwa vcc, v58, s43 src0_sel:BYTE_0 src1_sel:DWORD
	v_bfrev_b32_e32 v2, 1
	s_and_saveexec_b64 s[38:39], vcc
	s_cbranch_execz .LBB388_1161
; %bb.1158:                             ;   in Loop: Header=BB388_13 Depth=1
	v_bfe_u32 v4, v56, 16, 7
	v_cmp_ne_u32_e32 vcc, s44, v4
	v_mov_b32_e32 v2, 0x7f800001
	s_and_saveexec_b64 s[40:41], vcc
	s_cbranch_execz .LBB388_1160
; %bb.1159:                             ;   in Loop: Header=BB388_13 Depth=1
	v_and_b32_e32 v2, 7, v58
	v_lshrrev_b32_e32 v11, 3, v4
	v_cmp_gt_u32_e32 vcc, 8, v4
	v_ffbh_u32_e32 v4, v2
	v_min_u32_e32 v21, 32, v4
	v_subrev_u32_e32 v4, 28, v21
	v_lshlrev_b64 v[4:5], v4, v[58:59]
	v_sub_u32_e32 v5, 29, v21
	v_and_b32_e32 v4, 7, v4
	v_cndmask_b32_e32 v5, v11, v5, vcc
	v_cndmask_b32_e32 v2, v2, v4, vcc
	v_lshlrev_b32_e32 v4, 24, v58
	v_bfrev_b32_e32 v11, 60
	v_lshlrev_b32_e32 v2, 20, v2
	v_and_b32_e32 v4, 0x80000000, v4
	v_lshl_add_u32 v5, v5, 23, v11
	v_or3_b32 v2, v4, v5, v2
.LBB388_1160:                           ;   in Loop: Header=BB388_13 Depth=1
	s_or_b64 exec, exec, s[40:41]
.LBB388_1161:                           ;   in Loop: Header=BB388_13 Depth=1
	s_or_b64 exec, exec, s[38:39]
.LBB388_1162:                           ;   in Loop: Header=BB388_13 Depth=1
	s_or_b64 exec, exec, s[36:37]
	v_mul_f32_e32 v2, v0, v2
	v_and_b32_e32 v4, 0x7f800000, v2
	v_cmp_ne_u32_e32 vcc, s45, v4
                                        ; implicit-def: $vgpr11
	s_and_saveexec_b64 s[36:37], vcc
	s_xor_b64 vcc, exec, s[36:37]
; %bb.1163:                             ;   in Loop: Header=BB388_13 Depth=1
	v_bfe_u32 v4, v2, 16, 1
	v_add3_u32 v11, v2, v4, s46
                                        ; implicit-def: $vgpr2
; %bb.1164:                             ;   in Loop: Header=BB388_13 Depth=1
	s_andn2_saveexec_b64 s[36:37], vcc
; %bb.1165:                             ;   in Loop: Header=BB388_13 Depth=1
	v_or_b32_e32 v4, 0x10000, v2
	v_cmp_eq_u32_sdwa vcc, v2, v30 src0_sel:WORD_0 src1_sel:DWORD
	v_cndmask_b32_e32 v11, v4, v2, vcc
; %bb.1166:                             ;   in Loop: Header=BB388_13 Depth=1
	s_or_b64 exec, exec, s[36:37]
	v_cmp_lt_u32_e32 vcc, s47, v56
	v_mov_b32_e32 v2, 0
	s_and_saveexec_b64 s[36:37], vcc
	s_cbranch_execz .LBB388_1172
; %bb.1167:                             ;   in Loop: Header=BB388_13 Depth=1
	v_lshrrev_b32_e32 v58, 24, v56
	v_cmp_ne_u32_e32 vcc, s43, v58
	v_bfrev_b32_e32 v2, 1
	s_and_saveexec_b64 s[38:39], vcc
	s_cbranch_execz .LBB388_1171
; %bb.1168:                             ;   in Loop: Header=BB388_13 Depth=1
	v_bfe_u32 v4, v56, 24, 7
	v_cmp_ne_u32_e32 vcc, s44, v4
	v_mov_b32_e32 v2, 0x7f800001
	s_and_saveexec_b64 s[40:41], vcc
	s_cbranch_execz .LBB388_1170
; %bb.1169:                             ;   in Loop: Header=BB388_13 Depth=1
	v_and_b32_e32 v2, 7, v58
	v_lshrrev_b32_e32 v21, 3, v4
	v_cmp_gt_u32_e32 vcc, 8, v4
	v_ffbh_u32_e32 v4, v2
	v_min_u32_e32 v23, 32, v4
	v_subrev_u32_e32 v4, 28, v23
	v_lshlrev_b64 v[4:5], v4, v[58:59]
	v_sub_u32_e32 v5, 29, v23
	v_and_b32_e32 v4, 7, v4
	v_cndmask_b32_e32 v5, v21, v5, vcc
	v_cndmask_b32_e32 v2, v2, v4, vcc
	v_lshlrev_b32_e32 v4, 24, v58
	v_bfrev_b32_e32 v15, 60
	v_lshlrev_b32_e32 v2, 20, v2
	v_and_b32_e32 v4, 0x80000000, v4
	v_lshl_add_u32 v5, v5, 23, v15
	v_or3_b32 v2, v4, v5, v2
.LBB388_1170:                           ;   in Loop: Header=BB388_13 Depth=1
	s_or_b64 exec, exec, s[40:41]
.LBB388_1171:                           ;   in Loop: Header=BB388_13 Depth=1
	s_or_b64 exec, exec, s[38:39]
.LBB388_1172:                           ;   in Loop: Header=BB388_13 Depth=1
	s_or_b64 exec, exec, s[36:37]
	v_mul_f32_e32 v2, v0, v2
	v_and_b32_e32 v4, 0x7f800000, v2
	v_cmp_ne_u32_e32 vcc, s45, v4
                                        ; implicit-def: $vgpr4
	s_and_saveexec_b64 s[36:37], vcc
	s_xor_b64 vcc, exec, s[36:37]
; %bb.1173:                             ;   in Loop: Header=BB388_13 Depth=1
	v_bfe_u32 v4, v2, 16, 1
	v_add3_u32 v4, v2, v4, s46
                                        ; implicit-def: $vgpr2
; %bb.1174:                             ;   in Loop: Header=BB388_13 Depth=1
	s_andn2_saveexec_b64 s[36:37], vcc
; %bb.1175:                             ;   in Loop: Header=BB388_13 Depth=1
	v_or_b32_e32 v4, 0x10000, v2
	v_cmp_eq_u32_sdwa vcc, v2, v30 src0_sel:WORD_0 src1_sel:DWORD
	v_cndmask_b32_e32 v4, v4, v2, vcc
; %bb.1176:                             ;   in Loop: Header=BB388_13 Depth=1
	s_or_b64 exec, exec, s[36:37]
	v_add_co_u32_e32 v24, vcc, 0x1c00, v46
	v_addc_co_u32_e32 v25, vcc, 0, v47, vcc
	flat_load_dword v56, v[24:25] offset:8
	v_mov_b32_e32 v2, 0
	s_waitcnt vmcnt(0) lgkmcnt(0)
	v_cmp_ne_u16_sdwa vcc, v56, v30 src0_sel:BYTE_0 src1_sel:DWORD
	s_and_saveexec_b64 s[36:37], vcc
	s_cbranch_execz .LBB388_1182
; %bb.1177:                             ;   in Loop: Header=BB388_13 Depth=1
	v_cmp_ne_u16_sdwa vcc, v56, s43 src0_sel:BYTE_0 src1_sel:DWORD
	v_bfrev_b32_e32 v2, 1
	s_and_saveexec_b64 s[38:39], vcc
	s_cbranch_execz .LBB388_1181
; %bb.1178:                             ;   in Loop: Header=BB388_13 Depth=1
	v_and_b32_e32 v5, 0x7f, v56
	v_cmp_ne_u32_e32 vcc, s44, v5
	v_mov_b32_e32 v2, 0x7f800001
	s_and_saveexec_b64 s[40:41], vcc
	s_cbranch_execz .LBB388_1180
; %bb.1179:                             ;   in Loop: Header=BB388_13 Depth=1
	v_and_b32_e32 v2, 7, v56
	v_lshrrev_b32_e32 v21, 3, v5
	v_cmp_gt_u32_e32 vcc, 8, v5
	v_ffbh_u32_e32 v5, v2
	v_min_u32_e32 v5, 32, v5
	v_subrev_u32_e32 v23, 28, v5
	v_lshlrev_b64 v[24:25], v23, v[56:57]
	v_sub_u32_e32 v5, 29, v5
	v_and_b32_e32 v23, 7, v24
	v_cndmask_b32_e32 v5, v21, v5, vcc
	v_cndmask_b32_e32 v2, v2, v23, vcc
	v_lshlrev_b32_e32 v21, 24, v56
	v_bfrev_b32_e32 v15, 60
	v_lshlrev_b32_e32 v2, 20, v2
	v_and_b32_e32 v21, 0x80000000, v21
	v_lshl_add_u32 v5, v5, 23, v15
	v_or3_b32 v2, v21, v5, v2
.LBB388_1180:                           ;   in Loop: Header=BB388_13 Depth=1
	s_or_b64 exec, exec, s[40:41]
.LBB388_1181:                           ;   in Loop: Header=BB388_13 Depth=1
	s_or_b64 exec, exec, s[38:39]
.LBB388_1182:                           ;   in Loop: Header=BB388_13 Depth=1
	s_or_b64 exec, exec, s[36:37]
	v_mul_f32_e32 v2, v0, v2
	v_and_b32_e32 v5, 0x7f800000, v2
	v_cmp_ne_u32_e32 vcc, s45, v5
                                        ; implicit-def: $vgpr5
	s_and_saveexec_b64 s[36:37], vcc
	s_xor_b64 vcc, exec, s[36:37]
; %bb.1183:                             ;   in Loop: Header=BB388_13 Depth=1
	v_bfe_u32 v5, v2, 16, 1
	v_add3_u32 v5, v2, v5, s46
                                        ; implicit-def: $vgpr2
; %bb.1184:                             ;   in Loop: Header=BB388_13 Depth=1
	s_andn2_saveexec_b64 s[36:37], vcc
; %bb.1185:                             ;   in Loop: Header=BB388_13 Depth=1
	v_or_b32_e32 v5, 0x10000, v2
	v_cmp_eq_u32_sdwa vcc, v2, v30 src0_sel:WORD_0 src1_sel:DWORD
	v_cndmask_b32_e32 v5, v5, v2, vcc
; %bb.1186:                             ;   in Loop: Header=BB388_13 Depth=1
	s_or_b64 exec, exec, s[36:37]
	v_lshrrev_b16_e32 v58, 8, v56
	v_cmp_ne_u16_e32 vcc, 0, v58
	v_mov_b32_e32 v2, 0
	s_and_saveexec_b64 s[36:37], vcc
	s_cbranch_execz .LBB388_1192
; %bb.1187:                             ;   in Loop: Header=BB388_13 Depth=1
	v_cmp_ne_u16_e32 vcc, s43, v58
	v_bfrev_b32_e32 v2, 1
	s_and_saveexec_b64 s[38:39], vcc
	s_cbranch_execz .LBB388_1191
; %bb.1188:                             ;   in Loop: Header=BB388_13 Depth=1
	v_and_b32_e32 v21, 0x7f, v58
	v_cmp_ne_u32_e32 vcc, s44, v21
	v_mov_b32_e32 v2, 0x7f800001
	s_and_saveexec_b64 s[40:41], vcc
	s_cbranch_execz .LBB388_1190
; %bb.1189:                             ;   in Loop: Header=BB388_13 Depth=1
	v_and_b32_e32 v2, 7, v58
	v_lshrrev_b32_e32 v23, 3, v21
	v_cmp_gt_u32_e32 vcc, 8, v21
	v_ffbh_u32_e32 v21, v2
	v_min_u32_e32 v21, 32, v21
	v_subrev_u32_e32 v24, 28, v21
	v_lshlrev_b64 v[24:25], v24, v[58:59]
	v_sub_u32_e32 v21, 29, v21
	v_and_b32_e32 v24, 7, v24
	v_cndmask_b32_e32 v21, v23, v21, vcc
	v_cndmask_b32_e32 v2, v2, v24, vcc
	v_lshlrev_b32_e32 v23, 16, v56
	v_bfrev_b32_e32 v15, 60
	v_lshlrev_b32_e32 v2, 20, v2
	v_and_b32_e32 v23, 0x80000000, v23
	v_lshl_add_u32 v21, v21, 23, v15
	v_or3_b32 v2, v23, v21, v2
.LBB388_1190:                           ;   in Loop: Header=BB388_13 Depth=1
	s_or_b64 exec, exec, s[40:41]
.LBB388_1191:                           ;   in Loop: Header=BB388_13 Depth=1
	s_or_b64 exec, exec, s[38:39]
.LBB388_1192:                           ;   in Loop: Header=BB388_13 Depth=1
	s_or_b64 exec, exec, s[36:37]
	v_mul_f32_e32 v2, v0, v2
	v_and_b32_e32 v21, 0x7f800000, v2
	v_cmp_ne_u32_e32 vcc, s45, v21
                                        ; implicit-def: $vgpr15
	s_and_saveexec_b64 s[36:37], vcc
	s_xor_b64 vcc, exec, s[36:37]
; %bb.1193:                             ;   in Loop: Header=BB388_13 Depth=1
	v_bfe_u32 v21, v2, 16, 1
	v_add3_u32 v15, v2, v21, s46
                                        ; implicit-def: $vgpr2
; %bb.1194:                             ;   in Loop: Header=BB388_13 Depth=1
	s_andn2_saveexec_b64 s[36:37], vcc
; %bb.1195:                             ;   in Loop: Header=BB388_13 Depth=1
	v_or_b32_e32 v21, 0x10000, v2
	v_cmp_eq_u32_sdwa vcc, v2, v30 src0_sel:WORD_0 src1_sel:DWORD
	v_cndmask_b32_e32 v15, v21, v2, vcc
; %bb.1196:                             ;   in Loop: Header=BB388_13 Depth=1
	s_or_b64 exec, exec, s[36:37]
	v_lshrrev_b32_e32 v58, 16, v56
	v_cmp_ne_u16_sdwa vcc, v58, v30 src0_sel:BYTE_0 src1_sel:DWORD
	v_mov_b32_e32 v2, 0
	s_and_saveexec_b64 s[36:37], vcc
	s_cbranch_execz .LBB388_1202
; %bb.1197:                             ;   in Loop: Header=BB388_13 Depth=1
	v_cmp_ne_u16_sdwa vcc, v58, s43 src0_sel:BYTE_0 src1_sel:DWORD
	v_bfrev_b32_e32 v2, 1
	s_and_saveexec_b64 s[38:39], vcc
	s_cbranch_execz .LBB388_1201
; %bb.1198:                             ;   in Loop: Header=BB388_13 Depth=1
	v_bfe_u32 v21, v56, 16, 7
	v_cmp_ne_u32_e32 vcc, s44, v21
	v_mov_b32_e32 v2, 0x7f800001
	s_and_saveexec_b64 s[40:41], vcc
	s_cbranch_execz .LBB388_1200
; %bb.1199:                             ;   in Loop: Header=BB388_13 Depth=1
	v_and_b32_e32 v2, 7, v58
	v_lshrrev_b32_e32 v23, 3, v21
	v_cmp_gt_u32_e32 vcc, 8, v21
	v_ffbh_u32_e32 v21, v2
	v_min_u32_e32 v21, 32, v21
	v_subrev_u32_e32 v24, 28, v21
	v_lshlrev_b64 v[24:25], v24, v[58:59]
	v_sub_u32_e32 v21, 29, v21
	v_and_b32_e32 v24, 7, v24
	v_cndmask_b32_e32 v21, v23, v21, vcc
	v_cndmask_b32_e32 v2, v2, v24, vcc
	v_lshlrev_b32_e32 v23, 24, v58
	v_bfrev_b32_e32 v24, 60
	v_lshlrev_b32_e32 v2, 20, v2
	v_and_b32_e32 v23, 0x80000000, v23
	v_lshl_add_u32 v21, v21, 23, v24
	v_or3_b32 v2, v23, v21, v2
.LBB388_1200:                           ;   in Loop: Header=BB388_13 Depth=1
	s_or_b64 exec, exec, s[40:41]
.LBB388_1201:                           ;   in Loop: Header=BB388_13 Depth=1
	s_or_b64 exec, exec, s[38:39]
.LBB388_1202:                           ;   in Loop: Header=BB388_13 Depth=1
	s_or_b64 exec, exec, s[36:37]
	v_mul_f32_e32 v2, v0, v2
	v_and_b32_e32 v21, 0x7f800000, v2
	v_cmp_ne_u32_e32 vcc, s45, v21
                                        ; implicit-def: $vgpr50
	s_and_saveexec_b64 s[36:37], vcc
	s_xor_b64 vcc, exec, s[36:37]
; %bb.1203:                             ;   in Loop: Header=BB388_13 Depth=1
	v_bfe_u32 v21, v2, 16, 1
	v_add3_u32 v50, v2, v21, s46
                                        ; implicit-def: $vgpr2
; %bb.1204:                             ;   in Loop: Header=BB388_13 Depth=1
	s_andn2_saveexec_b64 s[36:37], vcc
; %bb.1205:                             ;   in Loop: Header=BB388_13 Depth=1
	v_or_b32_e32 v21, 0x10000, v2
	v_cmp_eq_u32_sdwa vcc, v2, v30 src0_sel:WORD_0 src1_sel:DWORD
	v_cndmask_b32_e32 v50, v21, v2, vcc
; %bb.1206:                             ;   in Loop: Header=BB388_13 Depth=1
	s_or_b64 exec, exec, s[36:37]
	v_cmp_lt_u32_e32 vcc, s47, v56
	v_mov_b32_e32 v2, 0
	s_and_saveexec_b64 s[36:37], vcc
	s_cbranch_execz .LBB388_1212
; %bb.1207:                             ;   in Loop: Header=BB388_13 Depth=1
	v_lshrrev_b32_e32 v58, 24, v56
	v_cmp_ne_u32_e32 vcc, s43, v58
	v_bfrev_b32_e32 v2, 1
	s_and_saveexec_b64 s[38:39], vcc
	s_cbranch_execz .LBB388_1211
; %bb.1208:                             ;   in Loop: Header=BB388_13 Depth=1
	v_bfe_u32 v21, v56, 24, 7
	v_cmp_ne_u32_e32 vcc, s44, v21
	v_mov_b32_e32 v2, 0x7f800001
	s_and_saveexec_b64 s[40:41], vcc
	s_cbranch_execz .LBB388_1210
; %bb.1209:                             ;   in Loop: Header=BB388_13 Depth=1
	v_and_b32_e32 v2, 7, v58
	v_lshrrev_b32_e32 v23, 3, v21
	v_cmp_gt_u32_e32 vcc, 8, v21
	v_ffbh_u32_e32 v21, v2
	v_min_u32_e32 v21, 32, v21
	v_subrev_u32_e32 v24, 28, v21
	v_lshlrev_b64 v[24:25], v24, v[58:59]
	v_sub_u32_e32 v21, 29, v21
	v_and_b32_e32 v24, 7, v24
	v_cndmask_b32_e32 v21, v23, v21, vcc
	v_cndmask_b32_e32 v2, v2, v24, vcc
	v_lshlrev_b32_e32 v23, 24, v58
	v_bfrev_b32_e32 v24, 60
	v_lshlrev_b32_e32 v2, 20, v2
	v_and_b32_e32 v23, 0x80000000, v23
	v_lshl_add_u32 v21, v21, 23, v24
	v_or3_b32 v2, v23, v21, v2
.LBB388_1210:                           ;   in Loop: Header=BB388_13 Depth=1
	s_or_b64 exec, exec, s[40:41]
.LBB388_1211:                           ;   in Loop: Header=BB388_13 Depth=1
	s_or_b64 exec, exec, s[38:39]
.LBB388_1212:                           ;   in Loop: Header=BB388_13 Depth=1
	s_or_b64 exec, exec, s[36:37]
	v_mul_f32_e32 v2, v0, v2
	v_and_b32_e32 v21, 0x7f800000, v2
	v_cmp_ne_u32_e32 vcc, s45, v21
                                        ; implicit-def: $vgpr51
	s_and_saveexec_b64 s[36:37], vcc
	s_xor_b64 vcc, exec, s[36:37]
; %bb.1213:                             ;   in Loop: Header=BB388_13 Depth=1
	v_bfe_u32 v21, v2, 16, 1
	v_add3_u32 v51, v2, v21, s46
                                        ; implicit-def: $vgpr2
; %bb.1214:                             ;   in Loop: Header=BB388_13 Depth=1
	s_andn2_saveexec_b64 s[36:37], vcc
; %bb.1215:                             ;   in Loop: Header=BB388_13 Depth=1
	v_or_b32_e32 v21, 0x10000, v2
	v_cmp_eq_u32_sdwa vcc, v2, v30 src0_sel:WORD_0 src1_sel:DWORD
	v_cndmask_b32_e32 v51, v21, v2, vcc
; %bb.1216:                             ;   in Loop: Header=BB388_13 Depth=1
	s_or_b64 exec, exec, s[36:37]
	v_add_co_u32_e32 v24, vcc, 0x1000, v46
	v_addc_co_u32_e32 v25, vcc, 0, v47, vcc
	flat_load_dword v56, v[24:25] offset:3584
	v_mov_b32_e32 v2, 0
	s_waitcnt vmcnt(0) lgkmcnt(0)
	v_cmp_ne_u16_sdwa vcc, v56, v30 src0_sel:BYTE_0 src1_sel:DWORD
	s_and_saveexec_b64 s[36:37], vcc
	s_cbranch_execz .LBB388_1222
; %bb.1217:                             ;   in Loop: Header=BB388_13 Depth=1
	v_cmp_ne_u16_sdwa vcc, v56, s43 src0_sel:BYTE_0 src1_sel:DWORD
	v_bfrev_b32_e32 v2, 1
	s_and_saveexec_b64 s[38:39], vcc
	s_cbranch_execz .LBB388_1221
; %bb.1218:                             ;   in Loop: Header=BB388_13 Depth=1
	v_and_b32_e32 v21, 0x7f, v56
	v_cmp_ne_u32_e32 vcc, s44, v21
	v_mov_b32_e32 v2, 0x7f800001
	s_and_saveexec_b64 s[40:41], vcc
	s_cbranch_execz .LBB388_1220
; %bb.1219:                             ;   in Loop: Header=BB388_13 Depth=1
	v_and_b32_e32 v2, 7, v56
	v_lshrrev_b32_e32 v23, 3, v21
	v_cmp_gt_u32_e32 vcc, 8, v21
	v_ffbh_u32_e32 v21, v2
	v_min_u32_e32 v21, 32, v21
	v_subrev_u32_e32 v24, 28, v21
	v_lshlrev_b64 v[24:25], v24, v[56:57]
	v_sub_u32_e32 v21, 29, v21
	v_and_b32_e32 v24, 7, v24
	v_cndmask_b32_e32 v21, v23, v21, vcc
	v_cndmask_b32_e32 v2, v2, v24, vcc
	v_lshlrev_b32_e32 v23, 24, v56
	v_bfrev_b32_e32 v24, 60
	v_lshlrev_b32_e32 v2, 20, v2
	v_and_b32_e32 v23, 0x80000000, v23
	v_lshl_add_u32 v21, v21, 23, v24
	v_or3_b32 v2, v23, v21, v2
.LBB388_1220:                           ;   in Loop: Header=BB388_13 Depth=1
	s_or_b64 exec, exec, s[40:41]
.LBB388_1221:                           ;   in Loop: Header=BB388_13 Depth=1
	s_or_b64 exec, exec, s[38:39]
.LBB388_1222:                           ;   in Loop: Header=BB388_13 Depth=1
	s_or_b64 exec, exec, s[36:37]
	v_mul_f32_e32 v2, v0, v2
	v_and_b32_e32 v21, 0x7f800000, v2
	v_cmp_ne_u32_e32 vcc, s45, v21
                                        ; implicit-def: $vgpr52
	s_and_saveexec_b64 s[36:37], vcc
	s_xor_b64 vcc, exec, s[36:37]
; %bb.1223:                             ;   in Loop: Header=BB388_13 Depth=1
	v_bfe_u32 v21, v2, 16, 1
	v_add3_u32 v52, v2, v21, s46
                                        ; implicit-def: $vgpr2
; %bb.1224:                             ;   in Loop: Header=BB388_13 Depth=1
	s_andn2_saveexec_b64 s[36:37], vcc
; %bb.1225:                             ;   in Loop: Header=BB388_13 Depth=1
	v_or_b32_e32 v21, 0x10000, v2
	v_cmp_eq_u32_sdwa vcc, v2, v30 src0_sel:WORD_0 src1_sel:DWORD
	v_cndmask_b32_e32 v52, v21, v2, vcc
; %bb.1226:                             ;   in Loop: Header=BB388_13 Depth=1
	s_or_b64 exec, exec, s[36:37]
	v_lshrrev_b16_e32 v58, 8, v56
	v_cmp_ne_u16_e32 vcc, 0, v58
	v_mov_b32_e32 v2, 0
	s_and_saveexec_b64 s[36:37], vcc
	s_cbranch_execz .LBB388_1232
; %bb.1227:                             ;   in Loop: Header=BB388_13 Depth=1
	v_cmp_ne_u16_e32 vcc, s43, v58
	v_bfrev_b32_e32 v2, 1
	s_and_saveexec_b64 s[38:39], vcc
	s_cbranch_execz .LBB388_1231
; %bb.1228:                             ;   in Loop: Header=BB388_13 Depth=1
	v_and_b32_e32 v21, 0x7f, v58
	v_cmp_ne_u32_e32 vcc, s44, v21
	v_mov_b32_e32 v2, 0x7f800001
	s_and_saveexec_b64 s[40:41], vcc
	s_cbranch_execz .LBB388_1230
; %bb.1229:                             ;   in Loop: Header=BB388_13 Depth=1
	v_and_b32_e32 v2, 7, v58
	v_lshrrev_b32_e32 v23, 3, v21
	v_cmp_gt_u32_e32 vcc, 8, v21
	v_ffbh_u32_e32 v21, v2
	v_min_u32_e32 v21, 32, v21
	v_subrev_u32_e32 v24, 28, v21
	v_lshlrev_b64 v[24:25], v24, v[58:59]
	v_sub_u32_e32 v21, 29, v21
	v_and_b32_e32 v24, 7, v24
	v_cndmask_b32_e32 v21, v23, v21, vcc
	v_cndmask_b32_e32 v2, v2, v24, vcc
	v_lshlrev_b32_e32 v23, 16, v56
	v_bfrev_b32_e32 v24, 60
	v_lshlrev_b32_e32 v2, 20, v2
	v_and_b32_e32 v23, 0x80000000, v23
	v_lshl_add_u32 v21, v21, 23, v24
	v_or3_b32 v2, v23, v21, v2
.LBB388_1230:                           ;   in Loop: Header=BB388_13 Depth=1
	s_or_b64 exec, exec, s[40:41]
.LBB388_1231:                           ;   in Loop: Header=BB388_13 Depth=1
	s_or_b64 exec, exec, s[38:39]
.LBB388_1232:                           ;   in Loop: Header=BB388_13 Depth=1
	s_or_b64 exec, exec, s[36:37]
	v_mul_f32_e32 v21, v0, v2
	v_and_b32_e32 v2, 0x7f800000, v21
	v_cmp_ne_u32_e32 vcc, s45, v2
                                        ; implicit-def: $vgpr2
	s_and_saveexec_b64 s[36:37], vcc
	s_xor_b64 vcc, exec, s[36:37]
; %bb.1233:                             ;   in Loop: Header=BB388_13 Depth=1
	v_bfe_u32 v2, v21, 16, 1
	v_add3_u32 v2, v21, v2, s46
                                        ; implicit-def: $vgpr21
; %bb.1234:                             ;   in Loop: Header=BB388_13 Depth=1
	s_andn2_saveexec_b64 s[36:37], vcc
; %bb.1235:                             ;   in Loop: Header=BB388_13 Depth=1
	v_or_b32_e32 v2, 0x10000, v21
	v_cmp_eq_u32_sdwa vcc, v21, v30 src0_sel:WORD_0 src1_sel:DWORD
	v_cndmask_b32_e32 v2, v2, v21, vcc
; %bb.1236:                             ;   in Loop: Header=BB388_13 Depth=1
	s_or_b64 exec, exec, s[36:37]
	v_lshrrev_b32_e32 v58, 16, v56
	v_cmp_ne_u16_sdwa vcc, v58, v30 src0_sel:BYTE_0 src1_sel:DWORD
	v_mov_b32_e32 v21, 0
	s_and_saveexec_b64 s[36:37], vcc
	s_cbranch_execz .LBB388_1242
; %bb.1237:                             ;   in Loop: Header=BB388_13 Depth=1
	v_cmp_ne_u16_sdwa vcc, v58, s43 src0_sel:BYTE_0 src1_sel:DWORD
	v_bfrev_b32_e32 v21, 1
	s_and_saveexec_b64 s[38:39], vcc
	s_cbranch_execz .LBB388_1241
; %bb.1238:                             ;   in Loop: Header=BB388_13 Depth=1
	v_bfe_u32 v23, v56, 16, 7
	v_cmp_ne_u32_e32 vcc, s44, v23
	v_mov_b32_e32 v21, 0x7f800001
	s_and_saveexec_b64 s[40:41], vcc
	s_cbranch_execz .LBB388_1240
; %bb.1239:                             ;   in Loop: Header=BB388_13 Depth=1
	v_and_b32_e32 v21, 7, v58
	v_lshrrev_b32_e32 v32, 3, v23
	v_cmp_gt_u32_e32 vcc, 8, v23
	v_ffbh_u32_e32 v23, v21
	v_min_u32_e32 v23, 32, v23
	v_subrev_u32_e32 v24, 28, v23
	v_lshlrev_b64 v[24:25], v24, v[58:59]
	v_sub_u32_e32 v23, 29, v23
	v_and_b32_e32 v24, 7, v24
	v_cndmask_b32_e32 v23, v32, v23, vcc
	v_cndmask_b32_e32 v21, v21, v24, vcc
	v_lshlrev_b32_e32 v24, 24, v58
	v_bfrev_b32_e32 v25, 60
	v_lshlrev_b32_e32 v21, 20, v21
	v_and_b32_e32 v24, 0x80000000, v24
	v_lshl_add_u32 v23, v23, 23, v25
	v_or3_b32 v21, v24, v23, v21
.LBB388_1240:                           ;   in Loop: Header=BB388_13 Depth=1
	s_or_b64 exec, exec, s[40:41]
.LBB388_1241:                           ;   in Loop: Header=BB388_13 Depth=1
	s_or_b64 exec, exec, s[38:39]
.LBB388_1242:                           ;   in Loop: Header=BB388_13 Depth=1
	s_or_b64 exec, exec, s[36:37]
	v_mul_f32_e32 v21, v0, v21
	v_and_b32_e32 v23, 0x7f800000, v21
	v_cmp_ne_u32_e32 vcc, s45, v23
                                        ; implicit-def: $vgpr23
	s_and_saveexec_b64 s[36:37], vcc
	s_xor_b64 vcc, exec, s[36:37]
; %bb.1243:                             ;   in Loop: Header=BB388_13 Depth=1
	v_bfe_u32 v23, v21, 16, 1
	v_add3_u32 v23, v21, v23, s46
                                        ; implicit-def: $vgpr21
; %bb.1244:                             ;   in Loop: Header=BB388_13 Depth=1
	s_andn2_saveexec_b64 s[36:37], vcc
; %bb.1245:                             ;   in Loop: Header=BB388_13 Depth=1
	v_or_b32_e32 v23, 0x10000, v21
	v_cmp_eq_u32_sdwa vcc, v21, v30 src0_sel:WORD_0 src1_sel:DWORD
	v_cndmask_b32_e32 v23, v23, v21, vcc
; %bb.1246:                             ;   in Loop: Header=BB388_13 Depth=1
	s_or_b64 exec, exec, s[36:37]
	v_cmp_lt_u32_e32 vcc, s47, v56
	v_mov_b32_e32 v21, 0
	s_and_saveexec_b64 s[36:37], vcc
	s_cbranch_execz .LBB388_1252
; %bb.1247:                             ;   in Loop: Header=BB388_13 Depth=1
	v_lshrrev_b32_e32 v58, 24, v56
	v_cmp_ne_u32_e32 vcc, s43, v58
	v_bfrev_b32_e32 v21, 1
	s_and_saveexec_b64 s[38:39], vcc
	s_cbranch_execz .LBB388_1251
; %bb.1248:                             ;   in Loop: Header=BB388_13 Depth=1
	v_bfe_u32 v24, v56, 24, 7
	v_cmp_ne_u32_e32 vcc, s44, v24
	v_mov_b32_e32 v21, 0x7f800001
	s_and_saveexec_b64 s[40:41], vcc
	s_cbranch_execz .LBB388_1250
; %bb.1249:                             ;   in Loop: Header=BB388_13 Depth=1
	v_and_b32_e32 v21, 7, v58
	v_lshrrev_b32_e32 v32, 3, v24
	v_cmp_gt_u32_e32 vcc, 8, v24
	v_ffbh_u32_e32 v24, v21
	v_min_u32_e32 v33, 32, v24
	v_subrev_u32_e32 v24, 28, v33
	v_lshlrev_b64 v[24:25], v24, v[58:59]
	v_sub_u32_e32 v25, 29, v33
	v_and_b32_e32 v24, 7, v24
	v_cndmask_b32_e32 v25, v32, v25, vcc
	v_cndmask_b32_e32 v21, v21, v24, vcc
	v_lshlrev_b32_e32 v24, 24, v58
	v_bfrev_b32_e32 v32, 60
	v_lshlrev_b32_e32 v21, 20, v21
	v_and_b32_e32 v24, 0x80000000, v24
	v_lshl_add_u32 v25, v25, 23, v32
	v_or3_b32 v21, v24, v25, v21
.LBB388_1250:                           ;   in Loop: Header=BB388_13 Depth=1
	s_or_b64 exec, exec, s[40:41]
.LBB388_1251:                           ;   in Loop: Header=BB388_13 Depth=1
	s_or_b64 exec, exec, s[38:39]
.LBB388_1252:                           ;   in Loop: Header=BB388_13 Depth=1
	s_or_b64 exec, exec, s[36:37]
	v_mul_f32_e32 v21, v0, v21
	v_and_b32_e32 v24, 0x7f800000, v21
	v_cmp_ne_u32_e32 vcc, s45, v24
                                        ; implicit-def: $vgpr24
	s_and_saveexec_b64 s[36:37], vcc
	s_xor_b64 vcc, exec, s[36:37]
; %bb.1253:                             ;   in Loop: Header=BB388_13 Depth=1
	v_bfe_u32 v24, v21, 16, 1
	v_add3_u32 v24, v21, v24, s46
                                        ; implicit-def: $vgpr21
; %bb.1254:                             ;   in Loop: Header=BB388_13 Depth=1
	s_andn2_saveexec_b64 s[36:37], vcc
; %bb.1255:                             ;   in Loop: Header=BB388_13 Depth=1
	v_or_b32_e32 v24, 0x10000, v21
	v_cmp_eq_u32_sdwa vcc, v21, v30 src0_sel:WORD_0 src1_sel:DWORD
	v_cndmask_b32_e32 v24, v24, v21, vcc
; %bb.1256:                             ;   in Loop: Header=BB388_13 Depth=1
	s_or_b64 exec, exec, s[36:37]
	v_add_co_u32_e32 v32, vcc, 0x1e00, v46
	v_addc_co_u32_e32 v33, vcc, 0, v47, vcc
	flat_load_dword v46, v[32:33] offset:8
	v_mov_b32_e32 v21, 0
	s_waitcnt vmcnt(0) lgkmcnt(0)
	v_cmp_ne_u16_sdwa vcc, v46, v30 src0_sel:BYTE_0 src1_sel:DWORD
	s_and_saveexec_b64 s[36:37], vcc
	s_cbranch_execz .LBB388_1262
; %bb.1257:                             ;   in Loop: Header=BB388_13 Depth=1
	v_cmp_ne_u16_sdwa vcc, v46, s43 src0_sel:BYTE_0 src1_sel:DWORD
	v_bfrev_b32_e32 v21, 1
	s_and_saveexec_b64 s[38:39], vcc
	s_cbranch_execz .LBB388_1261
; %bb.1258:                             ;   in Loop: Header=BB388_13 Depth=1
	v_and_b32_e32 v25, 0x7f, v46
	v_cmp_ne_u32_e32 vcc, s44, v25
	v_mov_b32_e32 v21, 0x7f800001
	s_and_saveexec_b64 s[40:41], vcc
	s_cbranch_execz .LBB388_1260
; %bb.1259:                             ;   in Loop: Header=BB388_13 Depth=1
	v_and_b32_e32 v21, 7, v46
	v_mov_b32_e32 v39, v34
	v_lshrrev_b32_e32 v34, 3, v25
	v_cmp_gt_u32_e32 vcc, 8, v25
	v_ffbh_u32_e32 v25, v21
	v_min_u32_e32 v25, 32, v25
	v_subrev_u32_e32 v32, 28, v25
	v_lshlrev_b64 v[32:33], v32, v[46:47]
	v_sub_u32_e32 v25, 29, v25
	v_and_b32_e32 v32, 7, v32
	v_cndmask_b32_e32 v25, v34, v25, vcc
	v_cndmask_b32_e32 v21, v21, v32, vcc
	v_lshlrev_b32_e32 v32, 24, v46
	v_bfrev_b32_e32 v33, 60
	v_lshlrev_b32_e32 v21, 20, v21
	v_and_b32_e32 v32, 0x80000000, v32
	v_lshl_add_u32 v25, v25, 23, v33
	v_mov_b32_e32 v34, v39
	v_or3_b32 v21, v32, v25, v21
.LBB388_1260:                           ;   in Loop: Header=BB388_13 Depth=1
	s_or_b64 exec, exec, s[40:41]
.LBB388_1261:                           ;   in Loop: Header=BB388_13 Depth=1
	s_or_b64 exec, exec, s[38:39]
.LBB388_1262:                           ;   in Loop: Header=BB388_13 Depth=1
	s_or_b64 exec, exec, s[36:37]
	v_mul_f32_e32 v21, v0, v21
	v_and_b32_e32 v25, 0x7f800000, v21
	v_cmp_ne_u32_e32 vcc, s45, v25
                                        ; implicit-def: $vgpr25
	s_and_saveexec_b64 s[36:37], vcc
	s_xor_b64 vcc, exec, s[36:37]
; %bb.1263:                             ;   in Loop: Header=BB388_13 Depth=1
	v_bfe_u32 v25, v21, 16, 1
	v_add3_u32 v25, v21, v25, s46
                                        ; implicit-def: $vgpr21
; %bb.1264:                             ;   in Loop: Header=BB388_13 Depth=1
	s_andn2_saveexec_b64 s[36:37], vcc
; %bb.1265:                             ;   in Loop: Header=BB388_13 Depth=1
	v_or_b32_e32 v25, 0x10000, v21
	v_cmp_eq_u32_sdwa vcc, v21, v30 src0_sel:WORD_0 src1_sel:DWORD
	v_cndmask_b32_e32 v25, v25, v21, vcc
; %bb.1266:                             ;   in Loop: Header=BB388_13 Depth=1
	s_or_b64 exec, exec, s[36:37]
	v_lshrrev_b16_e32 v56, 8, v46
	v_cmp_ne_u16_e32 vcc, 0, v56
	v_mov_b32_e32 v21, 0
	s_and_saveexec_b64 s[36:37], vcc
	s_cbranch_execz .LBB388_1272
; %bb.1267:                             ;   in Loop: Header=BB388_13 Depth=1
	v_cmp_ne_u16_e32 vcc, s43, v56
	v_bfrev_b32_e32 v21, 1
	s_and_saveexec_b64 s[38:39], vcc
	s_cbranch_execz .LBB388_1271
; %bb.1268:                             ;   in Loop: Header=BB388_13 Depth=1
	v_and_b32_e32 v32, 0x7f, v56
	v_cmp_ne_u32_e32 vcc, s44, v32
	v_mov_b32_e32 v21, 0x7f800001
	s_and_saveexec_b64 s[40:41], vcc
	s_cbranch_execz .LBB388_1270
; %bb.1269:                             ;   in Loop: Header=BB388_13 Depth=1
	v_and_b32_e32 v21, 7, v56
	v_accvgpr_write_b32 a6, v34
	v_lshrrev_b32_e32 v34, 3, v32
	v_cmp_gt_u32_e32 vcc, 8, v32
	v_ffbh_u32_e32 v32, v21
	v_mov_b32_e32 v39, v35
	v_min_u32_e32 v35, 32, v32
	v_subrev_u32_e32 v32, 28, v35
	v_lshlrev_b64 v[32:33], v32, v[56:57]
	v_sub_u32_e32 v33, 29, v35
	v_and_b32_e32 v32, 7, v32
	v_cndmask_b32_e32 v33, v34, v33, vcc
	v_cndmask_b32_e32 v21, v21, v32, vcc
	v_lshlrev_b32_e32 v32, 16, v46
	v_bfrev_b32_e32 v34, 60
	v_lshlrev_b32_e32 v21, 20, v21
	v_and_b32_e32 v32, 0x80000000, v32
	v_lshl_add_u32 v33, v33, 23, v34
	v_mov_b32_e32 v35, v39
	v_accvgpr_read_b32 v34, a6
	v_or3_b32 v21, v32, v33, v21
.LBB388_1270:                           ;   in Loop: Header=BB388_13 Depth=1
	s_or_b64 exec, exec, s[40:41]
.LBB388_1271:                           ;   in Loop: Header=BB388_13 Depth=1
	s_or_b64 exec, exec, s[38:39]
.LBB388_1272:                           ;   in Loop: Header=BB388_13 Depth=1
	s_or_b64 exec, exec, s[36:37]
	v_mul_f32_e32 v32, v0, v21
	v_and_b32_e32 v21, 0x7f800000, v32
	v_cmp_ne_u32_e32 vcc, s45, v21
                                        ; implicit-def: $vgpr21
	s_and_saveexec_b64 s[36:37], vcc
	s_xor_b64 vcc, exec, s[36:37]
; %bb.1273:                             ;   in Loop: Header=BB388_13 Depth=1
	v_bfe_u32 v21, v32, 16, 1
	v_add3_u32 v21, v32, v21, s46
                                        ; implicit-def: $vgpr32
; %bb.1274:                             ;   in Loop: Header=BB388_13 Depth=1
	s_andn2_saveexec_b64 s[36:37], vcc
; %bb.1275:                             ;   in Loop: Header=BB388_13 Depth=1
	v_or_b32_e32 v21, 0x10000, v32
	v_cmp_eq_u32_sdwa vcc, v32, v30 src0_sel:WORD_0 src1_sel:DWORD
	v_cndmask_b32_e32 v21, v21, v32, vcc
; %bb.1276:                             ;   in Loop: Header=BB388_13 Depth=1
	s_or_b64 exec, exec, s[36:37]
	v_lshrrev_b32_e32 v56, 16, v46
	v_cmp_ne_u16_sdwa vcc, v56, v30 src0_sel:BYTE_0 src1_sel:DWORD
	v_mov_b32_e32 v32, 0
	s_and_saveexec_b64 s[36:37], vcc
	s_cbranch_execz .LBB388_1282
; %bb.1277:                             ;   in Loop: Header=BB388_13 Depth=1
	v_cmp_ne_u16_sdwa vcc, v56, s43 src0_sel:BYTE_0 src1_sel:DWORD
	v_bfrev_b32_e32 v32, 1
	s_and_saveexec_b64 s[38:39], vcc
	s_cbranch_execz .LBB388_1281
; %bb.1278:                             ;   in Loop: Header=BB388_13 Depth=1
	v_bfe_u32 v33, v46, 16, 7
	v_cmp_ne_u32_e32 vcc, s44, v33
	v_mov_b32_e32 v32, 0x7f800001
	s_and_saveexec_b64 s[40:41], vcc
	s_cbranch_execz .LBB388_1280
; %bb.1279:                             ;   in Loop: Header=BB388_13 Depth=1
	v_accvgpr_write_b32 a7, v34
	v_and_b32_e32 v34, 7, v56
	v_ffbh_u32_e32 v32, v34
	v_mov_b32_e32 v39, v36
	v_min_u32_e32 v36, 32, v32
	v_subrev_u32_e32 v32, 28, v36
	v_accvgpr_write_b32 a6, v35
	v_lshrrev_b32_e32 v35, 3, v33
	v_cmp_gt_u32_e32 vcc, 8, v33
	v_lshlrev_b64 v[32:33], v32, v[56:57]
	v_sub_u32_e32 v33, 29, v36
	v_and_b32_e32 v32, 7, v32
	v_cndmask_b32_e32 v33, v35, v33, vcc
	v_cndmask_b32_e32 v32, v34, v32, vcc
	v_lshlrev_b32_e32 v34, 24, v56
	v_bfrev_b32_e32 v35, 60
	v_lshlrev_b32_e32 v32, 20, v32
	v_and_b32_e32 v34, 0x80000000, v34
	v_lshl_add_u32 v33, v33, 23, v35
	v_mov_b32_e32 v36, v39
	v_accvgpr_read_b32 v35, a6
	v_or3_b32 v32, v34, v33, v32
	v_accvgpr_read_b32 v34, a7
.LBB388_1280:                           ;   in Loop: Header=BB388_13 Depth=1
	s_or_b64 exec, exec, s[40:41]
.LBB388_1281:                           ;   in Loop: Header=BB388_13 Depth=1
	s_or_b64 exec, exec, s[38:39]
.LBB388_1282:                           ;   in Loop: Header=BB388_13 Depth=1
	s_or_b64 exec, exec, s[36:37]
	v_mul_f32_e32 v32, v0, v32
	v_and_b32_e32 v33, 0x7f800000, v32
	v_cmp_ne_u32_e32 vcc, s45, v33
                                        ; implicit-def: $vgpr39
	s_and_saveexec_b64 s[36:37], vcc
	s_xor_b64 vcc, exec, s[36:37]
; %bb.1283:                             ;   in Loop: Header=BB388_13 Depth=1
	v_bfe_u32 v33, v32, 16, 1
	v_add3_u32 v39, v32, v33, s46
                                        ; implicit-def: $vgpr32
; %bb.1284:                             ;   in Loop: Header=BB388_13 Depth=1
	s_andn2_saveexec_b64 s[36:37], vcc
; %bb.1285:                             ;   in Loop: Header=BB388_13 Depth=1
	v_or_b32_e32 v33, 0x10000, v32
	v_cmp_eq_u32_sdwa vcc, v32, v30 src0_sel:WORD_0 src1_sel:DWORD
	v_cndmask_b32_e32 v39, v33, v32, vcc
; %bb.1286:                             ;   in Loop: Header=BB388_13 Depth=1
	s_or_b64 exec, exec, s[36:37]
	v_cmp_lt_u32_e32 vcc, s47, v46
	v_mov_b32_e32 v32, 0
	s_and_saveexec_b64 s[36:37], vcc
	s_cbranch_execz .LBB388_1292
; %bb.1287:                             ;   in Loop: Header=BB388_13 Depth=1
	v_lshrrev_b32_e32 v56, 24, v46
	v_cmp_ne_u32_e32 vcc, s43, v56
	v_bfrev_b32_e32 v32, 1
	s_and_saveexec_b64 s[38:39], vcc
	s_cbranch_execz .LBB388_1291
; %bb.1288:                             ;   in Loop: Header=BB388_13 Depth=1
	v_bfe_u32 v33, v46, 24, 7
	v_cmp_ne_u32_e32 vcc, s44, v33
	v_mov_b32_e32 v32, 0x7f800001
	s_and_saveexec_b64 s[40:41], vcc
	s_cbranch_execz .LBB388_1290
; %bb.1289:                             ;   in Loop: Header=BB388_13 Depth=1
	v_accvgpr_write_b32 a9, v34
	v_and_b32_e32 v34, 7, v56
	v_ffbh_u32_e32 v32, v34
	v_accvgpr_write_b32 a6, v36
	v_min_u32_e32 v36, 32, v32
	v_subrev_u32_e32 v32, 28, v36
	v_accvgpr_write_b32 a7, v35
	v_lshrrev_b32_e32 v35, 3, v33
	v_cmp_gt_u32_e32 vcc, 8, v33
	v_lshlrev_b64 v[32:33], v32, v[56:57]
	v_sub_u32_e32 v33, 29, v36
	v_and_b32_e32 v32, 7, v32
	v_cndmask_b32_e32 v33, v35, v33, vcc
	v_cndmask_b32_e32 v32, v34, v32, vcc
	v_lshlrev_b32_e32 v34, 24, v56
	v_bfrev_b32_e32 v35, 60
	v_lshlrev_b32_e32 v32, 20, v32
	v_and_b32_e32 v34, 0x80000000, v34
	v_lshl_add_u32 v33, v33, 23, v35
	v_accvgpr_read_b32 v36, a6
	v_accvgpr_read_b32 v35, a7
	v_or3_b32 v32, v34, v33, v32
	v_accvgpr_read_b32 v34, a9
.LBB388_1290:                           ;   in Loop: Header=BB388_13 Depth=1
	s_or_b64 exec, exec, s[40:41]
.LBB388_1291:                           ;   in Loop: Header=BB388_13 Depth=1
	s_or_b64 exec, exec, s[38:39]
.LBB388_1292:                           ;   in Loop: Header=BB388_13 Depth=1
	s_or_b64 exec, exec, s[36:37]
	v_mul_f32_e32 v0, v0, v32
	v_and_b32_e32 v32, 0x7f800000, v0
	v_cmp_ne_u32_e32 vcc, s45, v32
                                        ; implicit-def: $vgpr47
	s_and_saveexec_b64 s[36:37], vcc
	s_xor_b64 vcc, exec, s[36:37]
; %bb.1293:                             ;   in Loop: Header=BB388_13 Depth=1
	v_bfe_u32 v32, v0, 16, 1
	v_add3_u32 v47, v0, v32, s46
                                        ; implicit-def: $vgpr0
; %bb.1294:                             ;   in Loop: Header=BB388_13 Depth=1
	s_or_saveexec_b64 s[36:37], vcc
	v_accvgpr_write_b32 a40, v48
	s_xor_b64 exec, exec, s[36:37]
; %bb.1295:                             ;   in Loop: Header=BB388_13 Depth=1
	v_or_b32_e32 v32, 0x10000, v0
	v_cmp_eq_u32_sdwa vcc, v0, v30 src0_sel:WORD_0 src1_sel:DWORD
	v_cndmask_b32_e32 v47, v32, v0, vcc
; %bb.1296:                             ;   in Loop: Header=BB388_13 Depth=1
	s_or_b64 exec, exec, s[36:37]
	v_and_b32_e32 v0, 0xffff0000, v21
	buffer_store_dword v0, off, s[0:3], s32 offset:660 ; 4-byte Folded Spill
	v_and_b32_e32 v0, 0xffff0000, v25
	buffer_store_dword v0, off, s[0:3], s32 offset:664 ; 4-byte Folded Spill
	;; [unrolled: 2-line block ×34, first 2 shown]
	v_accvgpr_read_b32 v0, a2
	v_and_b32_e32 v0, 0xffff0000, v0
	buffer_store_dword v0, off, s[0:3], s32 offset:800 ; 4-byte Folded Spill
	v_and_b32_e32 v0, 0xffff0000, v12
	buffer_store_dword v0, off, s[0:3], s32 offset:796 ; 4-byte Folded Spill
	v_accvgpr_read_b32 v0, a0
	v_and_b32_e32 v0, 0xffff0000, v0
	buffer_store_dword v0, off, s[0:3], s32 offset:804 ; 4-byte Folded Spill
	v_accvgpr_read_b32 v0, a10
	;; [unrolled: 3-line block ×16, first 2 shown]
	v_and_b32_e32 v0, 0xffff0000, v0
	buffer_store_dword v0, off, s[0:3], s32 offset:860 ; 4-byte Folded Spill
	v_and_b32_e32 v0, 0xffff0000, v62
	buffer_store_dword v0, off, s[0:3], s32 offset:868 ; 4-byte Folded Spill
	v_and_b32_e32 v0, 0xffff0000, v61
	buffer_store_dword v0, off, s[0:3], s32 offset:872 ; 4-byte Folded Spill
	v_and_b32_e32 v0, 0xffff0000, v59
	buffer_store_dword v0, off, s[0:3], s32 offset:876 ; 4-byte Folded Spill
	v_and_b32_e32 v0, 0xffff0000, v60
	buffer_store_dword v0, off, s[0:3], s32 offset:880 ; 4-byte Folded Spill
	v_and_b32_e32 v0, 0xffff0000, v57
	buffer_store_dword v0, off, s[0:3], s32 offset:884 ; 4-byte Folded Spill
	v_and_b32_e32 v0, 0xffff0000, v45
	buffer_store_dword v0, off, s[0:3], s32 offset:888 ; 4-byte Folded Spill
	v_and_b32_e32 v0, 0xffff0000, v55
	buffer_store_dword v0, off, s[0:3], s32 offset:896 ; 4-byte Folded Spill
	v_and_b32_e32 v0, 0xffff0000, v44
	buffer_store_dword v0, off, s[0:3], s32 offset:892 ; 4-byte Folded Spill
	v_and_b32_e32 v0, 0xffff0000, v53
	buffer_store_dword v0, off, s[0:3], s32 offset:900 ; 4-byte Folded Spill
	v_and_b32_e32 v0, 0xffff0000, v54
	buffer_store_dword v0, off, s[0:3], s32 offset:904 ; 4-byte Folded Spill
	buffer_load_dword v0, off, s[0:3], s32 offset:656 ; 4-byte Folded Reload
	v_and_b32_e32 v20, 0xffff0000, v40
	v_and_b32_e32 v57, 0xffff0000, v41
	v_lshlrev_b32_e32 v37, 16, v42
	v_and_b32_e32 v48, 0xffff0000, v42
	v_lshlrev_b32_e32 v38, 16, v43
	s_waitcnt vmcnt(0)
	v_and_b32_e32 v0, 0xffff0000, v0
	buffer_store_dword v0, off, s[0:3], s32 offset:908 ; 4-byte Folded Spill
	v_and_b32_e32 v0, 0xffff0000, v13
	buffer_store_dword v0, off, s[0:3], s32 offset:656 ; 4-byte Folded Spill
	buffer_load_dword v0, off, s[0:3], s32 offset:652 ; 4-byte Folded Reload
	s_waitcnt vmcnt(0)
	v_and_b32_e32 v0, 0xffff0000, v0
	buffer_store_dword v0, off, s[0:3], s32 offset:652 ; 4-byte Folded Spill
	buffer_load_dword v0, off, s[0:3], s32 offset:648 ; 4-byte Folded Reload
	s_waitcnt vmcnt(0)
	;; [unrolled: 4-line block ×7, first 2 shown]
	v_and_b32_e32 v0, 0xffff0000, v0
	v_accvgpr_write_b32 a56, v0
	buffer_load_dword v0, off, s[0:3], s32 offset:628 ; 4-byte Folded Reload
	s_waitcnt vmcnt(0)
	v_and_b32_e32 v0, 0xffff0000, v0
	v_accvgpr_write_b32 a54, v0
	buffer_load_dword v0, off, s[0:3], s32 offset:620 ; 4-byte Folded Reload
	s_waitcnt vmcnt(0)
	;; [unrolled: 4-line block ×43, first 2 shown]
	v_and_b32_e32 v0, 0xffff0000, v0
	v_accvgpr_write_b32 a11, v0
	v_and_b32_e32 v0, 0xffff0000, v35
	v_accvgpr_write_b32 a9, v0
	;; [unrolled: 2-line block ×4, first 2 shown]
	buffer_load_dword v0, off, s[0:3], s32 offset:408 ; 4-byte Folded Reload
	v_lshlrev_b32_e32 v36, 16, v40
	s_waitcnt vmcnt(0)
	v_and_b32_e32 v0, 0xffff0000, v0
	v_accvgpr_write_b32 a7, v0
	buffer_load_dword v0, off, s[0:3], s32 offset:400 ; 4-byte Folded Reload
	s_waitcnt vmcnt(0)
	v_and_b32_e32 v51, 0xffff0000, v0
	buffer_load_dword v0, off, s[0:3], s32 offset:404 ; 4-byte Folded Reload
	v_accvgpr_write_b32 a5, v51
	s_waitcnt vmcnt(0)
	v_and_b32_e32 v0, 0xffff0000, v0
	v_accvgpr_write_b32 a6, v0
	buffer_load_dword v0, off, s[0:3], s32 offset:396 ; 4-byte Folded Reload
	s_waitcnt vmcnt(0)
	v_and_b32_e32 v51, 0xffff0000, v0
	buffer_load_dword v0, off, s[0:3], s32 offset:392 ; 4-byte Folded Reload
	v_accvgpr_write_b32 a2, v51
	s_waitcnt vmcnt(0)
	v_and_b32_e32 v49, 0xffff0000, v0
	buffer_load_dword v0, off, s[0:3], s32 offset:384 ; 4-byte Folded Reload
	s_waitcnt vmcnt(0)
	v_and_b32_e32 v0, 0xffff0000, v0
	v_accvgpr_write_b32 a3, v0
	buffer_load_dword v0, off, s[0:3], s32 offset:388 ; 4-byte Folded Reload
	s_waitcnt vmcnt(0)
	v_and_b32_e32 v0, 0xffff0000, v0
	v_accvgpr_write_b32 a4, v0
	;; [unrolled: 4-line block ×3, first 2 shown]
	buffer_load_dword v0, off, s[0:3], s32 offset:376 ; 4-byte Folded Reload
	s_waitcnt vmcnt(0)
	v_and_b32_e32 v51, 0xffff0000, v0
	buffer_load_dword v0, off, s[0:3], s32 offset:360 ; 4-byte Folded Reload
	buffer_load_dword v1, off, s[0:3], s32 offset:364 ; 4-byte Folded Reload
	;; [unrolled: 1-line block ×12, first 2 shown]
	s_waitcnt vmcnt(9)
	v_lshlrev_b32_e32 v21, 16, v2
	s_waitcnt vmcnt(6)
	v_lshlrev_b32_e32 v8, 16, v5
	v_accvgpr_write_b32 a50, v8
	s_waitcnt vmcnt(5)
	v_lshlrev_b32_e32 v8, 16, v6
	v_accvgpr_write_b32 a52, v8
	;; [unrolled: 3-line block ×5, first 2 shown]
	buffer_load_dword v8, off, s[0:3], s32 offset:312 ; 4-byte Folded Reload
	buffer_load_dword v9, off, s[0:3], s32 offset:316 ; 4-byte Folded Reload
	;; [unrolled: 1-line block ×9, first 2 shown]
	v_lshlrev_b32_e32 v50, 16, v0
	v_mul_f32_e32 v49, v21, v49
	v_and_b32_e32 v62, 0xffff0000, v2
	v_fmac_f32_e32 v49, v50, v51
	v_accvgpr_read_b32 v51, a2
	v_lshlrev_b32_e32 v52, 16, v3
	v_lshlrev_b32_e32 v46, 16, v4
	v_mul_f32_e32 v50, v62, v51
	v_accvgpr_read_b32 v51, a5
	v_lshlrev_b32_e32 v60, 16, v1
	v_mul_f32_e32 v51, v52, v51
	v_and_b32_e32 v45, 0xffff0000, v3
	v_and_b32_e32 v13, 0xffff0000, v6
	;; [unrolled: 1-line block ×5, first 2 shown]
	s_waitcnt vmcnt(10)
	v_lshlrev_b32_e32 v18, 16, v28
	v_and_b32_e32 v55, 0xffff0000, v28
	s_waitcnt vmcnt(9)
	v_lshlrev_b32_e32 v19, 16, v29
	v_and_b32_e32 v59, 0xffff0000, v29
	s_waitcnt vmcnt(7)
	v_lshlrev_b32_e32 v12, 16, v9
	v_accvgpr_write_b32 a61, v12
	v_lshlrev_b32_e32 v12, 16, v41
	v_accvgpr_write_b32 a58, v12
	s_waitcnt vmcnt(0)
	v_lshlrev_b32_e32 v12, 16, v53
	v_accvgpr_write_b32 a37, v12
	buffer_load_dword v12, off, s[0:3], s32 offset:292 ; 4-byte Folded Reload
	v_lshlrev_b32_e32 v23, 16, v8
	v_and_b32_e32 v27, 0xffff0000, v8
	v_and_b32_e32 v3, 0xffff0000, v9
	v_lshlrev_b32_e32 v24, 16, v10
	v_and_b32_e32 v44, 0xffff0000, v10
	v_lshlrev_b32_e32 v25, 16, v11
	v_lshlrev_b32_e32 v32, 16, v14
	v_and_b32_e32 v54, 0xffff0000, v14
	v_lshlrev_b32_e32 v33, 16, v15
	v_and_b32_e32 v28, 0xffff0000, v15
	v_lshlrev_b32_e32 v34, 16, v16
	v_lshlrev_b32_e32 v35, 16, v17
	v_and_b32_e32 v2, 0xffff0000, v17
	v_mov_b32_e32 v40, v53
	v_and_b32_e32 v53, 0xffff0000, v43
	v_and_b32_e32 v40, 0xffff0000, v40
	s_waitcnt vmcnt(0)
	v_lshlrev_b32_e32 v12, 16, v12
	v_accvgpr_write_b32 a0, v12
	buffer_load_dword v12, off, s[0:3], s32 offset:940 ; 4-byte Folded Reload
	s_waitcnt vmcnt(0)
	v_and_b32_e32 v56, 64, v12
	v_xor_b32_e32 v58, 1, v12
	v_add_u32_e32 v56, 64, v56
	v_cmp_lt_i32_e32 vcc, v58, v56
	v_cndmask_b32_e32 v58, v12, v58, vcc
	v_and_b32_e32 v12, 0xffff0000, v39
	buffer_store_dword v12, off, s[0:3], s32 offset:376 ; 4-byte Folded Spill
	v_and_b32_e32 v12, 0xffff0000, v47
	v_and_b32_e32 v39, 0xffff0000, v0
	;; [unrolled: 1-line block ×3, first 2 shown]
	v_accvgpr_read_b32 v4, a1
	v_fmac_f32_e32 v50, v39, v4
	v_accvgpr_read_b32 v4, a3
	v_fmac_f32_e32 v51, v60, v4
	v_accvgpr_read_b32 v4, a6
	v_and_b32_e32 v56, 0xffff0000, v1
	v_mul_f32_e32 v52, v45, v4
	v_accvgpr_read_b32 v4, a4
	v_fmac_f32_e32 v52, v56, v4
	v_accvgpr_read_b32 v4, a7
	v_fmac_f32_e32 v49, v46, v4
	v_accvgpr_read_b32 v4, a8
	v_and_b32_e32 v1, 0xffff0000, v5
	v_fmac_f32_e32 v50, v47, v4
	v_accvgpr_read_b32 v4, a9
	v_accvgpr_read_b32 v5, a50
	v_fmac_f32_e32 v51, v5, v4
	v_accvgpr_read_b32 v4, a10
	v_fmac_f32_e32 v52, v1, v4
	v_accvgpr_read_b32 v1, a11
	v_accvgpr_read_b32 v4, a52
	v_fmac_f32_e32 v49, v4, v1
	v_accvgpr_read_b32 v1, a12
	v_fmac_f32_e32 v50, v13, v1
	v_accvgpr_read_b32 v1, a14
	v_accvgpr_read_b32 v4, a44
	v_fmac_f32_e32 v51, v4, v1
	v_accvgpr_read_b32 v1, a13
	v_fmac_f32_e32 v52, v22, v1
	v_accvgpr_read_b32 v1, a15
	v_accvgpr_read_b32 v4, a46
	v_fmac_f32_e32 v49, v4, v1
	v_accvgpr_read_b32 v1, a16
	v_fmac_f32_e32 v50, v31, v1
	v_accvgpr_read_b32 v1, a18
	v_accvgpr_read_b32 v4, a48
	v_fmac_f32_e32 v51, v4, v1
	v_accvgpr_read_b32 v1, a17
	v_fmac_f32_e32 v52, v61, v1
	v_accvgpr_read_b32 v1, a60
	v_fmac_f32_e32 v49, v18, v1
	v_accvgpr_read_b32 v1, a19
	;; [unrolled: 2-line block ×7, first 2 shown]
	v_accvgpr_read_b32 v4, a61
	v_fmac_f32_e32 v51, v4, v1
	v_accvgpr_read_b32 v1, a24
	v_fmac_f32_e32 v52, v3, v1
	;; [unrolled: 2-line block ×4, first 2 shown]
	v_accvgpr_read_b32 v1, a55
	buffer_store_dword v12, off, s[0:3], s32 offset:292 ; 4-byte Folded Spill
	v_and_b32_e32 v12, 0xffff0000, v11
	v_fmac_f32_e32 v51, v25, v1
	v_accvgpr_read_b32 v1, a59
	v_fmac_f32_e32 v52, v12, v1
	v_accvgpr_read_b32 v1, a28
	;; [unrolled: 2-line block ×6, first 2 shown]
	v_and_b32_e32 v0, 0xffff0000, v16
	v_fmac_f32_e32 v49, v34, v1
	v_accvgpr_read_b32 v1, a33
	v_fmac_f32_e32 v50, v0, v1
	v_accvgpr_read_b32 v0, a35
	;; [unrolled: 2-line block ×6, first 2 shown]
	v_accvgpr_read_b32 v1, a58
	v_fmac_f32_e32 v51, v1, v0
	v_accvgpr_read_b32 v0, a45
	v_fmac_f32_e32 v52, v57, v0
	;; [unrolled: 2-line block ×5, first 2 shown]
	v_accvgpr_read_b32 v0, a49
	v_accvgpr_read_b32 v48, a40
	v_fmac_f32_e32 v52, v53, v0
	ds_read_b128 v[36:39], v48 offset:102
	ds_read_b128 v[32:35], v48 offset:118
	;; [unrolled: 1-line block ×4, first 2 shown]
	v_accvgpr_read_b32 v0, a42
	v_accvgpr_read_b32 v1, a37
	v_fmac_f32_e32 v49, v1, v0
	v_accvgpr_read_b32 v0, a63
	v_accvgpr_read_b32 v1, a32
	;; [unrolled: 1-line block ×3, first 2 shown]
	v_fmac_f32_e32 v50, v40, v0
	s_waitcnt lgkmcnt(3)
	v_lshlrev_b32_e32 v0, 16, v36
	v_fmac_f32_e32 v51, v2, v1
	v_accvgpr_read_b32 v1, a62
	v_fmac_f32_e32 v52, v0, v1
	v_and_b32_e32 v0, 0xffff0000, v36
	v_accvgpr_read_b32 v2, a34
	v_lshlrev_b32_e32 v1, 16, v37
	v_fmac_f32_e32 v49, v0, v2
	v_accvgpr_read_b32 v0, a39
	v_fmac_f32_e32 v50, v1, v0
	v_and_b32_e32 v0, 0xffff0000, v37
	v_accvgpr_read_b32 v2, a56
	v_fmac_f32_e32 v51, v0, v2
	buffer_load_dword v2, off, s[0:3], s32 offset:632 ; 4-byte Folded Reload
	v_lshlrev_b32_e32 v1, 16, v38
	v_accvgpr_read_b32 v0, a54
	v_fmac_f32_e32 v52, v1, v0
	v_and_b32_e32 v0, 0xffff0000, v38
	v_lshlrev_b32_e32 v1, 16, v39
	v_lshlrev_b32_e32 v58, 2, v58
	s_waitcnt vmcnt(0)
	v_fmac_f32_e32 v49, v0, v2
	buffer_load_dword v0, off, s[0:3], s32 offset:636 ; 4-byte Folded Reload
	buffer_load_dword v2, off, s[0:3], s32 offset:912 ; 4-byte Folded Reload
	s_waitcnt vmcnt(1)
	v_fmac_f32_e32 v50, v1, v0
	v_and_b32_e32 v0, 0xffff0000, v39
	s_waitcnt vmcnt(0)
	v_fmac_f32_e32 v51, v0, v2
	buffer_load_dword v0, off, s[0:3], s32 offset:640 ; 4-byte Folded Reload
	buffer_load_dword v2, off, s[0:3], s32 offset:648 ; 4-byte Folded Reload
	s_waitcnt lgkmcnt(2)
	v_lshlrev_b32_e32 v1, 16, v32
	s_waitcnt vmcnt(1)
	v_fmac_f32_e32 v52, v1, v0
	v_and_b32_e32 v0, 0xffff0000, v32
	s_waitcnt vmcnt(0)
	v_fmac_f32_e32 v49, v0, v2
	buffer_load_dword v0, off, s[0:3], s32 offset:652 ; 4-byte Folded Reload
	buffer_load_dword v2, off, s[0:3], s32 offset:908 ; 4-byte Folded Reload
	v_lshlrev_b32_e32 v1, 16, v33
	s_waitcnt vmcnt(1)
	v_fmac_f32_e32 v50, v1, v0
	v_and_b32_e32 v0, 0xffff0000, v33
	s_waitcnt vmcnt(0)
	v_fmac_f32_e32 v51, v0, v2
	buffer_load_dword v0, off, s[0:3], s32 offset:656 ; 4-byte Folded Reload
	buffer_load_dword v2, off, s[0:3], s32 offset:904 ; 4-byte Folded Reload
	;; [unrolled: 8-line block ×4, first 2 shown]
	s_waitcnt lgkmcnt(1)
	v_lshlrev_b32_e32 v1, 16, v16
	s_waitcnt vmcnt(1)
	v_fmac_f32_e32 v52, v1, v0
	v_and_b32_e32 v0, 0xffff0000, v16
	s_waitcnt vmcnt(0)
	v_fmac_f32_e32 v49, v0, v2
	buffer_load_dword v0, off, s[0:3], s32 offset:884 ; 4-byte Folded Reload
	buffer_load_dword v2, off, s[0:3], s32 offset:876 ; 4-byte Folded Reload
	v_lshlrev_b32_e32 v1, 16, v17
	s_waitcnt vmcnt(1)
	v_fmac_f32_e32 v50, v1, v0
	v_and_b32_e32 v0, 0xffff0000, v17
	s_waitcnt vmcnt(0)
	v_fmac_f32_e32 v51, v0, v2
	buffer_load_dword v0, off, s[0:3], s32 offset:880 ; 4-byte Folded Reload
	buffer_load_dword v2, off, s[0:3], s32 offset:872 ; 4-byte Folded Reload
	;; [unrolled: 8-line block ×4, first 2 shown]
	s_waitcnt lgkmcnt(0)
	v_lshlrev_b32_e32 v0, 16, v6
	ds_read_b128 v[16:19], v48 offset:166
	s_waitcnt vmcnt(1)
	v_fmac_f32_e32 v52, v0, v1
	v_and_b32_e32 v0, 0xffff0000, v6
	s_waitcnt vmcnt(0)
	v_fmac_f32_e32 v49, v0, v2
	buffer_load_dword v0, off, s[0:3], s32 offset:852 ; 4-byte Folded Reload
	buffer_load_dword v2, off, s[0:3], s32 offset:848 ; 4-byte Folded Reload
	v_lshlrev_b32_e32 v1, 16, v7
	s_waitcnt vmcnt(1)
	v_fmac_f32_e32 v50, v1, v0
	v_and_b32_e32 v0, 0xffff0000, v7
	s_waitcnt vmcnt(0)
	v_fmac_f32_e32 v51, v0, v2
	buffer_load_dword v0, off, s[0:3], s32 offset:844 ; 4-byte Folded Reload
	buffer_load_dword v2, off, s[0:3], s32 offset:840 ; 4-byte Folded Reload
	v_lshlrev_b32_e32 v1, 16, v8
	;; [unrolled: 8-line block ×3, first 2 shown]
	s_waitcnt vmcnt(1)
	v_fmac_f32_e32 v50, v1, v0
	v_and_b32_e32 v0, 0xffff0000, v9
	s_waitcnt vmcnt(0)
	v_fmac_f32_e32 v51, v0, v2
	buffer_load_dword v0, off, s[0:3], s32 offset:832 ; 4-byte Folded Reload
	buffer_load_dword v2, off, s[0:3], s32 offset:824 ; 4-byte Folded Reload
	ds_read_b128 v[6:9], v48 offset:182
	s_waitcnt lgkmcnt(1)
	v_lshlrev_b32_e32 v1, 16, v16
	s_waitcnt vmcnt(1)
	v_fmac_f32_e32 v52, v1, v0
	v_and_b32_e32 v0, 0xffff0000, v16
	s_waitcnt vmcnt(0)
	v_fmac_f32_e32 v49, v0, v2
	buffer_load_dword v0, off, s[0:3], s32 offset:820 ; 4-byte Folded Reload
	buffer_load_dword v2, off, s[0:3], s32 offset:812 ; 4-byte Folded Reload
	v_lshlrev_b32_e32 v1, 16, v17
	s_waitcnt vmcnt(1)
	v_fmac_f32_e32 v50, v1, v0
	v_and_b32_e32 v0, 0xffff0000, v17
	s_waitcnt vmcnt(0)
	v_fmac_f32_e32 v51, v0, v2
	buffer_load_dword v0, off, s[0:3], s32 offset:816 ; 4-byte Folded Reload
	buffer_load_dword v2, off, s[0:3], s32 offset:808 ; 4-byte Folded Reload
	;; [unrolled: 8-line block ×4, first 2 shown]
	s_waitcnt lgkmcnt(0)
	v_lshlrev_b32_e32 v1, 16, v6
	ds_read_b128 v[16:19], v48 offset:198
	s_waitcnt lgkmcnt(0)
	v_and_b32_e32 v4, 0xffff0000, v18
	v_lshlrev_b32_e32 v5, 16, v19
	s_waitcnt vmcnt(1)
	v_fmac_f32_e32 v52, v1, v0
	v_and_b32_e32 v0, 0xffff0000, v6
	s_waitcnt vmcnt(0)
	v_fmac_f32_e32 v49, v0, v2
	buffer_load_dword v0, off, s[0:3], s32 offset:788 ; 4-byte Folded Reload
	buffer_load_dword v2, off, s[0:3], s32 offset:784 ; 4-byte Folded Reload
	v_lshlrev_b32_e32 v1, 16, v7
	buffer_load_dword v6, off, s[0:3], s32 offset:744 ; 4-byte Folded Reload
	s_waitcnt vmcnt(2)
	v_fmac_f32_e32 v50, v1, v0
	v_and_b32_e32 v0, 0xffff0000, v7
	s_waitcnt vmcnt(1)
	v_fmac_f32_e32 v51, v0, v2
	buffer_load_dword v0, off, s[0:3], s32 offset:780 ; 4-byte Folded Reload
	buffer_load_dword v2, off, s[0:3], s32 offset:776 ; 4-byte Folded Reload
	v_lshlrev_b32_e32 v1, 16, v8
	s_waitcnt vmcnt(1)
	v_fmac_f32_e32 v52, v1, v0
	v_and_b32_e32 v0, 0xffff0000, v8
	s_waitcnt vmcnt(0)
	v_fmac_f32_e32 v49, v0, v2
	buffer_load_dword v0, off, s[0:3], s32 offset:772 ; 4-byte Folded Reload
	buffer_load_dword v2, off, s[0:3], s32 offset:764 ; 4-byte Folded Reload
	v_lshlrev_b32_e32 v1, 16, v9
	;; [unrolled: 8-line block ×3, first 2 shown]
	s_waitcnt vmcnt(1)
	v_fmac_f32_e32 v52, v1, v0
	v_and_b32_e32 v0, 0xffff0000, v16
	s_waitcnt vmcnt(0)
	v_fmac_f32_e32 v49, v0, v2
	buffer_load_dword v0, off, s[0:3], s32 offset:756 ; 4-byte Folded Reload
	buffer_load_dword v2, off, s[0:3], s32 offset:748 ; 4-byte Folded Reload
	v_fmac_f32_e32 v49, v4, v6
	buffer_load_dword v4, off, s[0:3], s32 offset:740 ; 4-byte Folded Reload
	buffer_load_dword v6, off, s[0:3], s32 offset:736 ; 4-byte Folded Reload
	v_lshlrev_b32_e32 v1, 16, v17
	s_waitcnt vmcnt(3)
	v_fmac_f32_e32 v50, v1, v0
	v_and_b32_e32 v0, 0xffff0000, v17
	s_waitcnt vmcnt(2)
	v_fmac_f32_e32 v51, v0, v2
	buffer_load_dword v0, off, s[0:3], s32 offset:752 ; 4-byte Folded Reload
	s_waitcnt vmcnt(2)
	v_fmac_f32_e32 v50, v5, v4
	v_and_b32_e32 v4, 0xffff0000, v19
	s_waitcnt vmcnt(1)
	v_fmac_f32_e32 v51, v4, v6
	buffer_load_dword v4, off, s[0:3], s32 offset:732 ; 4-byte Folded Reload
	v_lshlrev_b32_e32 v1, 16, v18
	ds_read_b128 v[6:9], v48 offset:230
	s_waitcnt vmcnt(1)
	v_fmac_f32_e32 v52, v1, v0
	ds_read_b128 v[0:3], v48 offset:214
	s_waitcnt lgkmcnt(0)
	v_lshlrev_b32_e32 v5, 16, v0
	s_waitcnt vmcnt(0)
	v_fmac_f32_e32 v52, v5, v4
	buffer_load_dword v5, off, s[0:3], s32 offset:728 ; 4-byte Folded Reload
	v_and_b32_e32 v0, 0xffff0000, v0
	v_lshlrev_b32_e32 v4, 16, v1
	s_waitcnt vmcnt(0)
	v_fmac_f32_e32 v49, v0, v5
	buffer_load_dword v0, off, s[0:3], s32 offset:724 ; 4-byte Folded Reload
	s_waitcnt vmcnt(0)
	v_fmac_f32_e32 v50, v4, v0
	buffer_load_dword v4, off, s[0:3], s32 offset:720 ; 4-byte Folded Reload
	v_and_b32_e32 v0, 0xffff0000, v1
	v_lshlrev_b32_e32 v1, 16, v2
	s_waitcnt vmcnt(0)
	v_fmac_f32_e32 v51, v0, v4
	buffer_load_dword v0, off, s[0:3], s32 offset:716 ; 4-byte Folded Reload
	buffer_load_dword v4, off, s[0:3], s32 offset:680 ; 4-byte Folded Reload
	s_waitcnt vmcnt(1)
	v_fmac_f32_e32 v52, v1, v0
	v_and_b32_e32 v0, 0xffff0000, v2
	buffer_load_dword v2, off, s[0:3], s32 offset:712 ; 4-byte Folded Reload
	v_lshlrev_b32_e32 v1, 16, v3
	s_waitcnt vmcnt(0)
	v_fmac_f32_e32 v49, v0, v2
	buffer_load_dword v0, off, s[0:3], s32 offset:708 ; 4-byte Folded Reload
	buffer_load_dword v2, off, s[0:3], s32 offset:704 ; 4-byte Folded Reload
	s_waitcnt vmcnt(1)
	v_fmac_f32_e32 v50, v1, v0
	v_and_b32_e32 v0, 0xffff0000, v3
	s_waitcnt vmcnt(0)
	v_fmac_f32_e32 v51, v0, v2
	buffer_load_dword v0, off, s[0:3], s32 offset:700 ; 4-byte Folded Reload
	buffer_load_dword v2, off, s[0:3], s32 offset:692 ; 4-byte Folded Reload
	v_lshlrev_b32_e32 v1, 16, v6
	v_lshlrev_b32_e32 v3, 16, v9
	s_waitcnt vmcnt(1)
	v_fmac_f32_e32 v52, v1, v0
	v_and_b32_e32 v0, 0xffff0000, v6
	s_waitcnt vmcnt(0)
	v_fmac_f32_e32 v49, v0, v2
	buffer_load_dword v0, off, s[0:3], s32 offset:696 ; 4-byte Folded Reload
	buffer_load_dword v2, off, s[0:3], s32 offset:684 ; 4-byte Folded Reload
	v_lshlrev_b32_e32 v1, 16, v7
	s_waitcnt vmcnt(1)
	v_fmac_f32_e32 v50, v1, v0
	v_and_b32_e32 v0, 0xffff0000, v7
	s_waitcnt vmcnt(0)
	v_fmac_f32_e32 v51, v0, v2
	v_and_b32_e32 v2, 0xffff0000, v8
	v_fmac_f32_e32 v49, v2, v4
	buffer_load_dword v2, off, s[0:3], s32 offset:676 ; 4-byte Folded Reload
	buffer_load_dword v4, off, s[0:3], s32 offset:672 ; 4-byte Folded Reload
	;; [unrolled: 1-line block ×3, first 2 shown]
	v_lshlrev_b32_e32 v1, 16, v8
	s_waitcnt vmcnt(2)
	v_fmac_f32_e32 v50, v3, v2
	v_and_b32_e32 v2, 0xffff0000, v9
	s_waitcnt vmcnt(1)
	v_fmac_f32_e32 v51, v2, v4
	buffer_load_dword v2, off, s[0:3], s32 offset:668 ; 4-byte Folded Reload
	s_waitcnt vmcnt(1)
	v_fmac_f32_e32 v52, v1, v0
	ds_read_b64 v[0:1], v48 offset:246
	s_waitcnt lgkmcnt(0)
	v_lshlrev_b32_e32 v3, 16, v0
	v_and_b32_e32 v0, 0xffff0000, v0
	s_waitcnt vmcnt(0)
	v_fmac_f32_e32 v52, v3, v2
	buffer_load_dword v3, off, s[0:3], s32 offset:664 ; 4-byte Folded Reload
	v_lshlrev_b32_e32 v2, 16, v1
	s_waitcnt vmcnt(0)
	v_fmac_f32_e32 v49, v0, v3
	buffer_load_dword v0, off, s[0:3], s32 offset:660 ; 4-byte Folded Reload
	s_waitcnt vmcnt(0)
	v_fmac_f32_e32 v50, v2, v0
	buffer_load_dword v2, off, s[0:3], s32 offset:376 ; 4-byte Folded Reload
	v_and_b32_e32 v0, 0xffff0000, v1
	ds_read_u16 v1, v48 offset:254
	s_waitcnt lgkmcnt(0)
	v_lshlrev_b32_e32 v1, 16, v1
	s_waitcnt vmcnt(0)
	v_fmac_f32_e32 v51, v0, v2
	buffer_load_dword v0, off, s[0:3], s32 offset:292 ; 4-byte Folded Reload
	s_waitcnt vmcnt(0)
	v_fmac_f32_e32 v52, v1, v0
	v_add_f32_e32 v0, v49, v50
	v_add_f32_e32 v0, v0, v51
	;; [unrolled: 1-line block ×3, first 2 shown]
	ds_bpermute_b32 v1, v58, v0
	s_and_saveexec_b64 s[36:37], s[10:11]
	s_cbranch_execz .LBB388_11
; %bb.1297:                             ;   in Loop: Header=BB388_13 Depth=1
	buffer_load_dword v4, off, s[0:3], s32 offset:224 ; 4-byte Folded Reload
	buffer_load_dword v2, off, s[0:3], s32 offset:972 ; 4-byte Folded Reload
	;; [unrolled: 1-line block ×3, first 2 shown]
	s_waitcnt lgkmcnt(0)
	v_add_f32_e32 v0, v0, v1
	s_load_dword vcc_lo, s[30:31], 0x0
	buffer_load_dword v1, off, s[0:3], s32 offset:964 ; 4-byte Folded Reload
	s_waitcnt vmcnt(2)
	v_add_u32_e32 v2, v2, v4
	s_waitcnt vmcnt(1)
	v_add_u32_e32 v3, v3, v4
	buffer_load_dword v4, off, s[0:3], s32 offset:960 ; 4-byte Folded Reload
	v_cvt_f32_i32_e32 v2, v2
	s_waitcnt vmcnt(0)
	v_mul_f32_e32 v2, v4, v2
	v_cndmask_b32_e64 v2, 0, v2, s[16:17]
	buffer_load_dword v4, off, s[0:3], s32 offset:200 ; 4-byte Folded Reload
	v_fmac_f32_e32 v2, v0, v1
	buffer_load_dword v1, off, s[0:3], s32 offset:936 ; 4-byte Folded Reload
	buffer_load_dword v0, off, s[0:3], s32 offset:196 ; 4-byte Folded Reload
	s_waitcnt vmcnt(2) lgkmcnt(0)
	v_add_u32_e32 v4, vcc_lo, v4
	s_waitcnt vmcnt(0)
	v_cmp_lt_i32_e32 vcc, v3, v0
	v_cndmask_b32_e32 v0, 0, v2, vcc
	ds_write_b32 v4, v0
	v_max_f32_e32 v0, v1, v1
	v_max_f32_e32 v0, v0, v2
	v_cndmask_b32_e32 v1, v1, v0, vcc
	buffer_store_dword v1, off, s[0:3], s32 offset:936 ; 4-byte Folded Spill
	s_branch .LBB388_11
.LBB388_1298:
	s_or_b64 exec, exec, s[34:35]
	buffer_load_dword v15, off, s[0:3], s32 offset:1052 ; 4-byte Folded Reload
	buffer_load_dword v22, off, s[0:3], s32 offset:1044 ; 4-byte Folded Reload
	;; [unrolled: 1-line block ×13, first 2 shown]
	v_mbcnt_lo_u32_b32 v5, -1, 0
.LBB388_1299:
	s_or_b64 exec, exec, s[28:29]
	v_mbcnt_hi_u32_b32 v0, -1, v5
	v_and_b32_e32 v1, 64, v0
	v_add_u32_e32 v1, 64, v1
	v_xor_b32_e32 v2, 32, v0
	v_cmp_lt_i32_e32 vcc, v2, v1
	v_cndmask_b32_e32 v2, v0, v2, vcc
	v_lshlrev_b32_e32 v2, 2, v2
	s_waitcnt vmcnt(0)
	ds_bpermute_b32 v3, v2, v13
	v_xor_b32_e32 v5, 16, v0
	v_max_f32_e32 v4, v13, v13
	v_cmp_lt_i32_e32 vcc, v5, v1
	v_xor_b32_e32 v6, 8, v0
	s_waitcnt lgkmcnt(0)
	v_max_f32_e32 v3, v3, v3
	v_max_f32_e32 v4, v4, v3
	v_cndmask_b32_e32 v3, v0, v5, vcc
	v_lshlrev_b32_e32 v3, 2, v3
	ds_bpermute_b32 v5, v3, v4
	v_cmp_lt_i32_e32 vcc, v6, v1
	v_xor_b32_e32 v7, 4, v0
	v_xor_b32_e32 v8, 2, v0
	s_lshr_b32 s34, s42, 16
	s_waitcnt lgkmcnt(0)
	v_max_f32_e32 v5, v5, v5
	v_max_f32_e32 v5, v4, v5
	v_cndmask_b32_e32 v4, v0, v6, vcc
	v_lshlrev_b32_e32 v4, 2, v4
	ds_bpermute_b32 v6, v4, v5
	v_cmp_lt_i32_e32 vcc, v7, v1
	s_waitcnt lgkmcnt(0)
	v_max_f32_e32 v6, v6, v6
	v_max_f32_e32 v6, v5, v6
	v_cndmask_b32_e32 v5, v0, v7, vcc
	v_lshlrev_b32_e32 v5, 2, v5
	ds_bpermute_b32 v7, v5, v6
	v_cmp_lt_i32_e32 vcc, v8, v1
	s_waitcnt lgkmcnt(0)
	v_max_f32_e32 v7, v7, v7
	v_max_f32_e32 v7, v6, v7
	v_cndmask_b32_e32 v6, v0, v8, vcc
	v_lshlrev_b32_e32 v25, 2, v6
	buffer_load_dword v6, off, s[0:3], s32 offset:916 ; 4-byte Folded Reload
	ds_bpermute_b32 v8, v25, v7
	s_waitcnt vmcnt(0)
	v_and_b32_e32 v26, 63, v6
	v_cmp_eq_u32_e32 vcc, 0, v26
	v_lshlrev_b32_e32 v6, 2, v36
	s_and_saveexec_b64 s[10:11], vcc
	s_cbranch_execz .LBB388_1301
; %bb.1300:
	s_waitcnt lgkmcnt(0)
	v_max_f32_e32 v8, v8, v8
	v_max_f32_e32 v7, v7, v7
	;; [unrolled: 1-line block ×3, first 2 shown]
	ds_write_b32 v6, v7 offset:512
.LBB388_1301:
	s_or_b64 exec, exec, s[10:11]
	v_cmp_gt_u32_e64 s[10:11], 2, v26
	s_waitcnt lgkmcnt(0)
	v_mov_b32_e32 v8, 0xff7fffff
	v_lshlrev_b32_e32 v7, 2, v26
	s_barrier
	s_and_saveexec_b64 s[16:17], s[10:11]
	s_cbranch_execz .LBB388_1303
; %bb.1302:
	ds_read_b32 v8, v7 offset:512
.LBB388_1303:
	s_or_b64 exec, exec, s[16:17]
	v_xor_b32_e32 v9, 1, v0
	v_cmp_lt_i32_e64 s[16:17], v9, v1
	v_cndmask_b32_e64 v1, v0, v9, s[16:17]
	buffer_load_dword v9, off, s[0:3], s32 offset:240 ; 4-byte Folded Reload
	v_lshlrev_b32_e32 v28, 2, v1
	s_waitcnt lgkmcnt(0)
	ds_bpermute_b32 v1, v28, v8
	v_max_f32_e32 v8, v8, v8
	v_lshlrev_b32_e32 v0, 2, v0
	s_waitcnt lgkmcnt(0)
	v_max_f32_e32 v1, v1, v1
	v_max_f32_e32 v1, v8, v1
	s_waitcnt vmcnt(0)
	v_subrev_u32_e32 v9, s25, v9
	v_lshl_add_u32 v10, v9, 5, s15
	v_and_b32_e32 v9, 0x100, v0
	ds_bpermute_b32 v0, v9, v1
	buffer_load_dword v1, off, s[0:3], s32 offset:196 ; 4-byte Folded Reload
	s_waitcnt vmcnt(0)
	v_min_i32_e32 v8, v10, v1
	buffer_load_dword v10, off, s[0:3], s32 offset:916 ; 4-byte Folded Reload
	v_subrev_u32_e32 v1, s15, v8
	s_waitcnt vmcnt(0)
	v_cmp_lt_i32_e64 s[16:17], v10, v1
	v_mov_b32_e32 v10, 0
	s_and_saveexec_b64 s[28:29], s[16:17]
	s_cbranch_execz .LBB388_1307
; %bb.1304:
	buffer_load_dword v12, off, s[0:3], s32 offset:916 ; 4-byte Folded Reload
	s_ashr_i32 s27, s26, 31
	s_lshl_b64 s[18:19], s[26:27], 2
	s_getpc_b64 s[30:31]
	s_add_u32 s30, s30, llvm.amdgcn.dynlds.offset.table@rel32@lo+4
	s_addc_u32 s31, s31, llvm.amdgcn.dynlds.offset.table@rel32@hi+12
	s_add_u32 s18, s18, s30
	s_addc_u32 s19, s19, s31
	s_load_dword s18, s[18:19], 0x0
	s_mov_b64 s[30:31], 0
	v_mov_b32_e32 v10, 0
	s_waitcnt vmcnt(0) lgkmcnt(0)
	v_lshl_add_u32 v11, v12, 2, s18
.LBB388_1305:                           ; =>This Inner Loop Header: Depth=1
	ds_read_b32 v13, v11
	v_add_u32_e32 v12, 0x80, v12
	v_cmp_ge_i32_e64 s[18:19], v12, v1
	s_or_b64 s[30:31], s[18:19], s[30:31]
	s_waitcnt lgkmcnt(0)
	v_sub_f32_e32 v13, v13, v0
	v_mul_f32_e32 v13, 0x3fb8aa3b, v13
	v_exp_f32_e32 v13, v13
	ds_write_b32 v11, v13
	v_add_f32_e32 v10, v10, v13
	v_add_u32_e32 v11, 0x200, v11
	s_andn2_b64 exec, exec, s[30:31]
	s_cbranch_execnz .LBB388_1305
; %bb.1306:
	s_or_b64 exec, exec, s[30:31]
.LBB388_1307:
	s_or_b64 exec, exec, s[28:29]
	ds_bpermute_b32 v2, v2, v10
	s_waitcnt lgkmcnt(0)
	v_add_f32_e32 v2, v10, v2
	ds_bpermute_b32 v3, v3, v2
	s_waitcnt lgkmcnt(0)
	v_add_f32_e32 v2, v2, v3
	;; [unrolled: 3-line block ×6, first 2 shown]
	s_and_saveexec_b64 s[18:19], vcc
	s_cbranch_execz .LBB388_1309
; %bb.1308:
	ds_write_b32 v6, v2 offset:520
.LBB388_1309:
	s_or_b64 exec, exec, s[18:19]
	s_waitcnt lgkmcnt(0)
	s_barrier
	s_and_saveexec_b64 s[18:19], s[10:11]
	s_cbranch_execz .LBB388_1311
; %bb.1310:
	ds_read_b32 v2, v7 offset:520
.LBB388_1311:
	s_or_b64 exec, exec, s[18:19]
	s_waitcnt lgkmcnt(0)
	ds_bpermute_b32 v3, v28, v2
	s_waitcnt lgkmcnt(0)
	v_add_f32_e32 v2, v2, v3
	ds_bpermute_b32 v2, v9, v2
	s_and_saveexec_b64 s[10:11], s[16:17]
	s_cbranch_execz .LBB388_1324
; %bb.1312:
	s_waitcnt lgkmcnt(0)
	v_add_f32_e32 v3, 0x358637bd, v2
	v_div_scale_f32 v4, s[16:17], v3, v3, 1.0
	v_rcp_f32_e32 v5, v4
	v_div_scale_f32 v6, vcc, 1.0, v3, 1.0
	s_mov_b64 s[18:19], -1
	v_fma_f32 v7, -v4, v5, 1.0
	v_fmac_f32_e32 v5, v7, v5
	v_mul_f32_e32 v7, v6, v5
	v_fma_f32 v9, -v4, v7, v6
	v_fmac_f32_e32 v7, v9, v5
	v_fma_f32 v4, -v4, v7, v6
	v_div_fmas_f32 v4, v4, v5, v7
	buffer_load_dword v5, off, s[0:3], s32 offset:916 ; 4-byte Folded Reload
	v_div_fixup_f32 v6, v4, v3, 1.0
	s_waitcnt vmcnt(0)
	v_xad_u32 v3, v5, -1, v8
	v_subrev_u32_e32 v4, s15, v3
	s_movk_i32 s15, 0x7f
	v_cmp_lt_u32_e32 vcc, s15, v4
	v_mov_b32_e32 v3, v5
	s_and_saveexec_b64 s[16:17], vcc
	s_cbranch_execz .LBB388_1321
; %bb.1313:
	v_lshrrev_b32_e32 v3, 7, v4
	v_add_u32_e32 v5, -1, v3
	v_lshrrev_b32_e32 v4, 1, v5
	v_mov_b32_e32 v7, v6
	v_add_u32_e32 v4, 1, v4
	v_cmp_lt_u32_e32 vcc, 13, v5
	v_mov_b32_e32 v9, 0
	s_and_saveexec_b64 s[18:19], vcc
	s_cbranch_execz .LBB388_1317
; %bb.1314:
	buffer_load_dword v8, off, s[0:3], s32 offset:916 ; 4-byte Folded Reload
	s_ashr_i32 s27, s26, 31
	s_lshl_b64 s[28:29], s[26:27], 2
	s_getpc_b64 vcc
	s_add_u32 vcc_lo, vcc_lo, llvm.amdgcn.dynlds.offset.table@rel32@lo+4
	s_addc_u32 vcc_hi, vcc_hi, llvm.amdgcn.dynlds.offset.table@rel32@hi+12
	s_add_u32 s28, s28, vcc_lo
	s_addc_u32 s29, s29, vcc_hi
	s_load_dword s25, s[28:29], 0x0
	v_mov_b32_e32 v18, v15
	v_and_b32_e32 v5, -8, v4
	s_mov_b32 s15, 0
	s_mov_b64 s[28:29], 0
	s_waitcnt vmcnt(0) lgkmcnt(0)
	v_lshl_add_u32 v8, v8, 2, s25
.LBB388_1315:                           ; =>This Inner Loop Header: Depth=1
	ds_read2st64_b32 v[10:11], v8 offset1:2
	ds_read2st64_b32 v[12:13], v8 offset0:4 offset1:6
	ds_read2st64_b32 v[14:15], v8 offset0:8 offset1:10
	;; [unrolled: 1-line block ×3, first 2 shown]
	v_add_u32_e32 v5, -8, v5
	s_waitcnt lgkmcnt(3)
	v_pk_mul_f32 v[10:11], v[6:7], v[10:11]
	s_waitcnt lgkmcnt(2)
	v_pk_mul_f32 v[12:13], v[6:7], v[12:13]
	ds_write2st64_b32 v8, v10, v11 offset1:2
	ds_write2st64_b32 v8, v12, v13 offset0:4 offset1:6
	ds_read2st64_b32 v[12:13], v8 offset0:16 offset1:18
	s_waitcnt lgkmcnt(4)
	v_pk_mul_f32 v[10:11], v[6:7], v[14:15]
	ds_write2st64_b32 v8, v10, v11 offset0:8 offset1:10
	s_waitcnt lgkmcnt(4)
	v_pk_mul_f32 v[10:11], v[6:7], v[16:17]
	ds_write2st64_b32 v8, v10, v11 offset0:12 offset1:14
	ds_read2st64_b32 v[10:11], v8 offset0:20 offset1:22
	s_waitcnt lgkmcnt(3)
	v_pk_mul_f32 v[12:13], v[6:7], v[12:13]
	ds_read2st64_b32 v[14:15], v8 offset0:24 offset1:26
	ds_write2st64_b32 v8, v12, v13 offset0:16 offset1:18
	ds_read2st64_b32 v[12:13], v8 offset0:28 offset1:30
	s_waitcnt lgkmcnt(3)
	v_pk_mul_f32 v[10:11], v[6:7], v[10:11]
	ds_write2st64_b32 v8, v10, v11 offset0:20 offset1:22
	s_waitcnt lgkmcnt(3)
	v_pk_mul_f32 v[10:11], v[6:7], v[14:15]
	ds_write2st64_b32 v8, v10, v11 offset0:24 offset1:26
	s_waitcnt lgkmcnt(2)
	v_pk_mul_f32 v[10:11], v[6:7], v[12:13]
	s_add_i32 s15, s15, 16
	v_cmp_eq_u32_e32 vcc, 0, v5
	ds_write2st64_b32 v8, v10, v11 offset0:28 offset1:30
	v_add_u32_e32 v8, 0x2000, v8
	s_or_b64 s[28:29], vcc, s[28:29]
	v_mov_b32_e32 v9, s15
	s_andn2_b64 exec, exec, s[28:29]
	s_cbranch_execnz .LBB388_1315
; %bb.1316:
	s_or_b64 exec, exec, s[28:29]
	v_mov_b32_e32 v15, v18
.LBB388_1317:
	s_or_b64 exec, exec, s[18:19]
	v_and_b32_e32 v4, 7, v4
	v_cmp_ne_u32_e32 vcc, 0, v4
	s_and_saveexec_b64 s[18:19], vcc
	s_cbranch_execz .LBB388_1320
; %bb.1318:
	buffer_load_dword v8, off, s[0:3], s32 offset:916 ; 4-byte Folded Reload
	s_ashr_i32 s27, s26, 31
	s_lshl_b64 s[28:29], s[26:27], 2
	s_getpc_b64 vcc
	s_add_u32 vcc_lo, vcc_lo, llvm.amdgcn.dynlds.offset.table@rel32@lo+4
	s_addc_u32 vcc_hi, vcc_hi, llvm.amdgcn.dynlds.offset.table@rel32@hi+12
	s_add_u32 s28, s28, vcc_lo
	s_addc_u32 s29, s29, vcc_hi
	s_load_dword s15, s[28:29], 0x0
	v_lshlrev_b32_e32 v5, 9, v9
	s_mov_b64 s[28:29], 0
	s_waitcnt vmcnt(0)
	v_lshlrev_b32_e32 v8, 2, v8
	s_waitcnt lgkmcnt(0)
	v_add3_u32 v5, v5, v8, s15
.LBB388_1319:                           ; =>This Inner Loop Header: Depth=1
	ds_read2st64_b32 v[8:9], v5 offset1:2
	v_add_u32_e32 v4, -1, v4
	v_cmp_eq_u32_e32 vcc, 0, v4
	s_or_b64 s[28:29], vcc, s[28:29]
	s_waitcnt lgkmcnt(0)
	v_pk_mul_f32 v[8:9], v[6:7], v[8:9]
	ds_write2st64_b32 v5, v8, v9 offset1:2
	v_add_u32_e32 v5, 0x400, v5
	s_andn2_b64 exec, exec, s[28:29]
	s_cbranch_execnz .LBB388_1319
.LBB388_1320:
	s_or_b64 exec, exec, s[18:19]
	v_add_u32_e32 v4, 1, v3
	buffer_load_dword v3, off, s[0:3], s32 offset:916 ; 4-byte Folded Reload
	v_and_b32_e32 v5, 0x3fffffe, v4
	v_cmp_ne_u32_e32 vcc, v4, v5
	s_orn2_b64 s[18:19], vcc, exec
	s_waitcnt vmcnt(0)
	v_lshl_add_u32 v3, v5, 7, v3
.LBB388_1321:
	s_or_b64 exec, exec, s[16:17]
	s_and_b64 exec, exec, s[18:19]
	s_cbranch_execz .LBB388_1324
; %bb.1322:
	s_ashr_i32 s27, s26, 31
	s_lshl_b64 s[16:17], s[26:27], 2
	s_getpc_b64 s[18:19]
	s_add_u32 s18, s18, llvm.amdgcn.dynlds.offset.table@rel32@lo+4
	s_addc_u32 s19, s19, llvm.amdgcn.dynlds.offset.table@rel32@hi+12
	s_add_u32 s16, s16, s18
	s_addc_u32 s17, s17, s19
	s_load_dword s15, s[16:17], 0x0
	s_mov_b64 s[16:17], 0
	s_waitcnt lgkmcnt(0)
	v_lshl_add_u32 v4, v3, 2, s15
.LBB388_1323:                           ; =>This Inner Loop Header: Depth=1
	ds_read_b32 v5, v4
	v_add_u32_e32 v3, 0x80, v3
	v_cmp_ge_i32_e32 vcc, v3, v1
	s_or_b64 s[16:17], vcc, s[16:17]
	s_waitcnt lgkmcnt(0)
	v_mul_f32_e32 v5, v6, v5
	ds_write_b32 v4, v5
	v_add_u32_e32 v4, 0x200, v4
	s_andn2_b64 exec, exec, s[16:17]
	s_cbranch_execnz .LBB388_1323
.LBB388_1324:
	s_or_b64 exec, exec, s[10:11]
	s_waitcnt lgkmcnt(0)
	s_barrier
	buffer_load_dword v1, off, s[0:3], s32 offset:916 ; 4-byte Folded Reload
	v_cmp_ne_u16_e64 s[10:11], s34, 0
	s_cmp_lg_u64 s[10:11], 0
	s_addc_u32 s25, s13, 0
	s_waitcnt vmcnt(0)
	v_cmp_eq_u32_e32 vcc, 0, v1
	s_and_saveexec_b64 s[10:11], vcc
	s_cbranch_execz .LBB388_1326
; %bb.1325:
	s_mul_i32 s13, s25, s22
	s_mul_i32 s16, s13, s23
	;; [unrolled: 1-line block ×3, first 2 shown]
	s_ashr_i32 s17, s16, 31
	s_ashr_i32 s13, s12, 31
	;; [unrolled: 1-line block ×3, first 2 shown]
	s_lshl_b64 s[16:17], s[16:17], 2
	s_lshl_b64 s[12:13], s[12:13], 2
	;; [unrolled: 1-line block ×3, first 2 shown]
	s_add_u32 s12, s18, s12
	s_addc_u32 s13, s19, s13
	s_add_u32 s12, s12, s16
	s_addc_u32 s13, s13, s17
	v_mov_b32_e32 v1, s13
	v_add_co_u32_e32 v4, vcc, s12, v34
	v_addc_co_u32_e32 v5, vcc, v1, v27, vcc
	flat_store_dword v[4:5], v0
	v_add_co_u32_e32 v0, vcc, s12, v20
	v_addc_co_u32_e32 v1, vcc, v1, v19, vcc
	flat_store_dword v[0:1], v2
.LBB388_1326:
	s_or_b64 exec, exec, s[10:11]
	buffer_load_dword v0, off, s[0:3], s32 offset:916 ; 4-byte Folded Reload
	s_ashr_i32 s27, s26, 31
	s_lshl_b64 s[10:11], s[26:27], 2
	s_getpc_b64 s[12:13]
	s_add_u32 s12, s12, llvm.amdgcn.dynlds.offset.table@rel32@lo+4
	s_addc_u32 s13, s13, llvm.amdgcn.dynlds.offset.table@rel32@hi+12
	s_add_u32 s10, s10, s12
	s_addc_u32 s11, s11, s13
	v_mov_b32_e32 v4, 0
	v_mov_b32_e32 v5, 0
	;; [unrolled: 1-line block ×16, first 2 shown]
	s_waitcnt vmcnt(0)
	v_and_b32_e32 v27, 3, v0
	s_and_saveexec_b64 s[12:13], s[8:9]
	s_cbranch_execz .LBB388_3188
; %bb.1327:
	v_and_b32_e32 v0, 24, v35
	buffer_store_dword v28, off, s[0:3], s32 offset:588 ; 4-byte Folded Spill
	buffer_store_dword v25, off, s[0:3], s32 offset:584 ; 4-byte Folded Spill
	;; [unrolled: 1-line block ×4, first 2 shown]
	v_add_co_u32_e32 v0, vcc, v24, v23
	v_addc_co_u32_e32 v1, vcc, v22, v29, vcc
	s_load_dword s8, s[10:11], 0x0
	buffer_store_dword v0, off, s[0:3], s32 offset:504 ; 4-byte Folded Spill
	s_nop 0
	buffer_store_dword v1, off, s[0:3], s32 offset:508 ; 4-byte Folded Spill
	v_add_u32_e32 v0, -1, v31
	v_and_b32_e32 v2, 0x1f8, v35
	buffer_store_dword v0, off, s[0:3], s32 offset:500 ; 4-byte Folded Spill
	v_or_b32_e32 v4, 0x1000, v2
	buffer_load_dword v0, off, s[0:3], s32 offset:1000 ; 4-byte Folded Reload
	buffer_load_dword v1, off, s[0:3], s32 offset:976 ; 4-byte Folded Reload
	s_nop 0
	buffer_store_dword v4, off, s[0:3], s32 offset:512 ; 4-byte Folded Spill
	s_nop 0
	buffer_store_dword v5, off, s[0:3], s32 offset:516 ; 4-byte Folded Spill
	v_or_b32_e32 v4, 0x1200, v2
	s_mov_b32 s16, -1
	s_mov_b32 s17, 0xffffff
	v_mov_b32_e32 v31, 0
	s_mov_b64 s[18:19], 0
	s_mov_b32 s15, 0x7f800000
	s_movk_i32 s36, 0x7fff
	s_movk_i32 s37, 0x80
	;; [unrolled: 1-line block ×3, first 2 shown]
	v_bfrev_b32_e32 v61, 60
	v_mov_b32_e32 v19, 0
	v_mov_b32_e32 v18, 0
	;; [unrolled: 1-line block ×4, first 2 shown]
	buffer_store_dword v4, off, s[0:3], s32 offset:520 ; 4-byte Folded Spill
	s_nop 0
	buffer_store_dword v5, off, s[0:3], s32 offset:524 ; 4-byte Folded Spill
	v_or_b32_e32 v4, 0x1400, v2
	s_waitcnt vmcnt(0)
	v_max_i32_e32 v1, v1, v0
	v_cvt_f32_u32_e32 v0, v1
	buffer_store_dword v4, off, s[0:3], s32 offset:528 ; 4-byte Folded Spill
	s_nop 0
	buffer_store_dword v5, off, s[0:3], s32 offset:532 ; 4-byte Folded Spill
	v_or_b32_e32 v4, 0x1600, v2
	v_rcp_iflag_f32_e32 v0, v0
	buffer_store_dword v4, off, s[0:3], s32 offset:536 ; 4-byte Folded Spill
	s_nop 0
	buffer_store_dword v5, off, s[0:3], s32 offset:540 ; 4-byte Folded Spill
	v_or_b32_e32 v4, 0x1800, v2
	v_mul_f32_e32 v0, 0x4f7ffffe, v0
	v_cvt_u32_f32_e32 v0, v0
	buffer_store_dword v4, off, s[0:3], s32 offset:544 ; 4-byte Folded Spill
	s_nop 0
	buffer_store_dword v5, off, s[0:3], s32 offset:548 ; 4-byte Folded Spill
	v_or_b32_e32 v4, 0x1a00, v2
	buffer_store_dword v4, off, s[0:3], s32 offset:552 ; 4-byte Folded Spill
	s_nop 0
	buffer_store_dword v5, off, s[0:3], s32 offset:556 ; 4-byte Folded Spill
	v_mov_b32_e32 v4, v2
	v_or_b32_e32 v2, 0x1c00, v2
	buffer_store_dword v4, off, s[0:3], s32 offset:560 ; 4-byte Folded Spill
	s_nop 0
	buffer_store_dword v5, off, s[0:3], s32 offset:564 ; 4-byte Folded Spill
	buffer_store_dword v2, off, s[0:3], s32 offset:568 ; 4-byte Folded Spill
	s_nop 0
	buffer_store_dword v3, off, s[0:3], s32 offset:572 ; 4-byte Folded Spill
	v_or_b32_e32 v2, 0x1e00, v35
	buffer_store_dword v2, off, s[0:3], s32 offset:576 ; 4-byte Folded Spill
	s_nop 0
	buffer_store_dword v3, off, s[0:3], s32 offset:580 ; 4-byte Folded Spill
	buffer_store_dword v1, off, s[0:3], s32 offset:292 ; 4-byte Folded Spill
	v_sub_u32_e32 v1, 0, v1
	v_mul_lo_u32 v1, v1, v0
	v_mul_hi_u32 v1, v0, v1
	v_add_u32_e32 v0, v0, v1
	buffer_store_dword v0, off, s[0:3], s32 offset:296 ; 4-byte Folded Spill
	s_nop 0
	buffer_store_dword v1, off, s[0:3], s32 offset:300 ; 4-byte Folded Spill
	buffer_load_dword v0, off, s[0:3], s32 offset:208 ; 4-byte Folded Reload
	s_nop 0
	buffer_load_dword v1, off, s[0:3], s32 offset:212 ; 4-byte Folded Reload
	buffer_load_dword v2, off, s[0:3], s32 offset:992 ; 4-byte Folded Reload
	;; [unrolled: 1-line block ×3, first 2 shown]
	s_waitcnt vmcnt(0)
	v_lshlrev_b64 v[0:1], 2, v[0:1]
	v_add_co_u32_e32 v0, vcc, v2, v0
	buffer_load_dword v2, off, s[0:3], s32 offset:980 ; 4-byte Folded Reload
	v_addc_co_u32_e32 v1, vcc, v3, v1, vcc
	buffer_store_dword v27, off, s[0:3], s32 offset:596 ; 4-byte Folded Spill
	s_waitcnt vmcnt(0)
	v_add_co_u32_e32 v52, vcc, v2, v0
	v_lshlrev_b32_e32 v0, 5, v27
	v_lshl_or_b32 v0, v36, 7, v0
	v_addc_co_u32_e32 v53, vcc, v15, v1, vcc
	s_waitcnt lgkmcnt(0)
	v_add_u32_e32 v4, s8, v0
	v_mov_b32_e32 v1, 0
	v_mov_b32_e32 v0, 0
	buffer_store_dword v0, off, s[0:3], s32 offset:284 ; 4-byte Folded Spill
	s_nop 0
	buffer_store_dword v1, off, s[0:3], s32 offset:288 ; 4-byte Folded Spill
	v_mov_b32_e32 v1, 0
	v_mov_b32_e32 v0, 0
	buffer_store_dword v0, off, s[0:3], s32 offset:200 ; 4-byte Folded Spill
	s_nop 0
	buffer_store_dword v1, off, s[0:3], s32 offset:204 ; 4-byte Folded Spill
	;; [unrolled: 5-line block ×6, first 2 shown]
	buffer_load_dword v1, off, s[0:3], s32 offset:1004 ; 4-byte Folded Reload
	s_branch .LBB388_1330
.LBB388_1328:                           ;   in Loop: Header=BB388_1330 Depth=1
	s_or_b64 exec, exec, s[8:9]
	v_and_b32_e32 v5, 0xffff0000, v6
	v_and_b32_e32 v6, 0xffff0000, v26
	buffer_load_dword v26, off, s[0:3], s32 offset:284 ; 4-byte Folded Reload
	buffer_load_dword v27, off, s[0:3], s32 offset:288 ; 4-byte Folded Reload
	;; [unrolled: 1-line block ×4, first 2 shown]
	v_and_b32_e32 v3, 0xffff0000, v3
	v_add_f32_e32 v3, v3, v5
	v_and_b32_e32 v5, 0xffff0000, v28
	v_add_f32_e32 v5, v6, v5
	v_add_f32_e32 v3, v3, v5
	v_and_b32_e32 v5, 0xffff0000, v29
	v_and_b32_e32 v6, 0xffff0000, v15
	v_add_f32_e32 v5, v6, v5
	v_add_f32_e32 v3, v3, v5
	v_and_b32_e32 v5, 0xffff0000, v22
	v_and_b32_e32 v6, 0xffff0000, v7
	v_add_f32_e32 v5, v5, v6
	v_add_f32_e32 v3, v3, v5
	v_and_b32_e32 v5, 0xffff0000, v44
	v_and_b32_e32 v6, 0xffff0000, v56
	v_accvgpr_read_b32 v7, a25
	v_and_b32_e32 v7, 0xffff0000, v7
	v_and_b32_e32 v0, 0xffff0000, v0
	s_waitcnt vmcnt(3)
	v_add_f32_e32 v26, v26, v3
	v_and_b32_e32 v3, 0xffff0000, v46
	v_add_f32_e32 v3, v5, v3
	v_and_b32_e32 v5, 0xffff0000, v49
	v_add_f32_e32 v5, v6, v5
	v_add_f32_e32 v3, v3, v5
	v_and_b32_e32 v5, 0xffff0000, v58
	v_and_b32_e32 v6, 0xffff0000, v57
	v_add_f32_e32 v5, v6, v5
	v_add_f32_e32 v3, v3, v5
	v_and_b32_e32 v5, 0xffff0000, v47
	v_and_b32_e32 v6, 0xffff0000, v21
	v_add_f32_e32 v5, v5, v6
	v_add_f32_e32 v3, v3, v5
	s_waitcnt vmcnt(0)
	v_add_f32_e32 v13, v13, v3
	v_and_b32_e32 v3, 0xffff0000, v34
	v_and_b32_e32 v5, 0xffff0000, v33
	v_add_f32_e32 v3, v5, v3
	v_and_b32_e32 v5, 0xffff0000, v36
	v_and_b32_e32 v6, 0xffff0000, v35
	v_add_f32_e32 v5, v6, v5
	v_add_f32_e32 v3, v3, v5
	v_and_b32_e32 v5, 0xffff0000, v38
	v_and_b32_e32 v6, 0xffff0000, v37
	v_add_f32_e32 v5, v6, v5
	;; [unrolled: 4-line block ×3, first 2 shown]
	v_add_f32_e32 v3, v3, v5
	v_add_f32_e32 v12, v12, v3
	v_and_b32_e32 v3, 0xffff0000, v16
	v_and_b32_e32 v5, 0xffff0000, v54
	buffer_store_dword v12, off, s[0:3], s32 offset:200 ; 4-byte Folded Spill
	s_nop 0
	buffer_store_dword v13, off, s[0:3], s32 offset:204 ; 4-byte Folded Spill
	v_add_f32_e32 v3, v5, v3
	v_and_b32_e32 v5, 0xffff0000, v18
	v_and_b32_e32 v6, 0xffff0000, v17
	v_add_f32_e32 v5, v6, v5
	v_and_b32_e32 v6, 0xffff0000, v19
	buffer_load_dword v18, off, s[0:3], s32 offset:328 ; 4-byte Folded Reload
	buffer_load_dword v19, off, s[0:3], s32 offset:332 ; 4-byte Folded Reload
	;; [unrolled: 1-line block ×4, first 2 shown]
	v_add_f32_e32 v3, v3, v5
	v_and_b32_e32 v5, 0xffff0000, v24
	v_add_f32_e32 v5, v6, v5
	v_add_f32_e32 v3, v3, v5
	v_and_b32_e32 v5, 0xffff0000, v25
	v_and_b32_e32 v6, 0xffff0000, v32
	v_add_f32_e32 v5, v5, v6
	v_add_f32_e32 v3, v3, v5
	v_accvgpr_read_b32 v5, a52
	v_and_b32_e32 v5, 0xffff0000, v5
	v_accvgpr_read_b32 v6, a54
	v_and_b32_e32 v6, 0xffff0000, v6
	s_waitcnt vmcnt(2)
	v_add_f32_e32 v19, v19, v3
	v_accvgpr_read_b32 v3, a40
	v_and_b32_e32 v3, 0xffff0000, v3
	v_add_f32_e32 v3, v5, v3
	v_accvgpr_read_b32 v5, a56
	v_and_b32_e32 v5, 0xffff0000, v5
	v_add_f32_e32 v5, v6, v5
	v_add_f32_e32 v3, v3, v5
	v_accvgpr_read_b32 v5, a14
	v_accvgpr_read_b32 v6, a8
	v_and_b32_e32 v5, 0xffff0000, v5
	v_and_b32_e32 v6, 0xffff0000, v6
	v_add_f32_e32 v5, v6, v5
	v_add_f32_e32 v3, v3, v5
	v_and_b32_e32 v5, 0xffff0000, v20
	v_and_b32_e32 v6, 0xffff0000, v14
	v_add_f32_e32 v5, v5, v6
	v_add_f32_e32 v3, v3, v5
	;; [unrolled: 1-line block ×3, first 2 shown]
	v_accvgpr_read_b32 v3, a36
	v_accvgpr_read_b32 v5, a41
	v_and_b32_e32 v3, 0xffff0000, v3
	v_and_b32_e32 v5, 0xffff0000, v5
	v_add_f32_e32 v3, v5, v3
	v_accvgpr_read_b32 v5, a42
	v_accvgpr_read_b32 v6, a37
	v_and_b32_e32 v5, 0xffff0000, v5
	v_and_b32_e32 v6, 0xffff0000, v6
	v_add_f32_e32 v5, v6, v5
	v_add_f32_e32 v3, v3, v5
	v_accvgpr_read_b32 v5, a46
	v_accvgpr_read_b32 v6, a44
	v_and_b32_e32 v5, 0xffff0000, v5
	v_and_b32_e32 v6, 0xffff0000, v6
	v_add_f32_e32 v5, v6, v5
	;; [unrolled: 6-line block ×3, first 2 shown]
	v_add_f32_e32 v3, v3, v5
	s_waitcnt vmcnt(0)
	v_add_f32_e32 v13, v13, v3
	v_accvgpr_read_b32 v3, a0
	v_accvgpr_read_b32 v5, a17
	v_and_b32_e32 v3, 0xffff0000, v3
	v_and_b32_e32 v5, 0xffff0000, v5
	v_add_f32_e32 v3, v5, v3
	v_accvgpr_read_b32 v5, a2
	v_accvgpr_read_b32 v6, a1
	v_and_b32_e32 v5, 0xffff0000, v5
	v_and_b32_e32 v6, 0xffff0000, v6
	v_add_f32_e32 v5, v6, v5
	v_add_f32_e32 v3, v3, v5
	v_accvgpr_read_b32 v5, a35
	v_accvgpr_read_b32 v6, a34
	v_and_b32_e32 v5, 0xffff0000, v5
	v_and_b32_e32 v6, 0xffff0000, v6
	v_add_f32_e32 v5, v6, v5
	;; [unrolled: 6-line block ×3, first 2 shown]
	v_add_f32_e32 v3, v3, v5
	v_add_f32_e32 v12, v12, v3
	buffer_store_dword v12, off, s[0:3], s32 offset:224 ; 4-byte Folded Spill
	s_nop 0
	buffer_store_dword v13, off, s[0:3], s32 offset:228 ; 4-byte Folded Spill
	buffer_load_dword v20, off, s[0:3], s32 offset:312 ; 4-byte Folded Reload
	buffer_load_dword v21, off, s[0:3], s32 offset:316 ; 4-byte Folded Reload
	s_nop 0
	buffer_load_dword v12, off, s[0:3], s32 offset:276 ; 4-byte Folded Reload
	buffer_load_dword v13, off, s[0:3], s32 offset:280 ; 4-byte Folded Reload
	v_accvgpr_read_b32 v3, a49
	v_accvgpr_read_b32 v5, a47
	v_and_b32_e32 v3, 0xffff0000, v3
	v_and_b32_e32 v5, 0xffff0000, v5
	v_add_f32_e32 v3, v5, v3
	v_accvgpr_read_b32 v5, a53
	v_accvgpr_read_b32 v6, a51
	v_and_b32_e32 v5, 0xffff0000, v5
	v_and_b32_e32 v6, 0xffff0000, v6
	v_add_f32_e32 v5, v6, v5
	v_add_f32_e32 v3, v3, v5
	v_accvgpr_read_b32 v5, a10
	v_accvgpr_read_b32 v6, a55
	v_and_b32_e32 v5, 0xffff0000, v5
	v_and_b32_e32 v6, 0xffff0000, v6
	v_add_f32_e32 v5, v6, v5
	;; [unrolled: 6-line block ×3, first 2 shown]
	v_add_f32_e32 v3, v3, v5
	v_accvgpr_read_b32 v5, a39
	v_and_b32_e32 v5, 0xffff0000, v5
	v_accvgpr_read_b32 v6, a31
	v_and_b32_e32 v6, 0xffff0000, v6
	s_waitcnt vmcnt(2)
	v_add_f32_e32 v21, v21, v3
	v_accvgpr_read_b32 v3, a30
	v_and_b32_e32 v3, 0xffff0000, v3
	v_add_f32_e32 v3, v5, v3
	v_accvgpr_read_b32 v5, a15
	v_and_b32_e32 v5, 0xffff0000, v5
	v_add_f32_e32 v5, v6, v5
	v_add_f32_e32 v3, v3, v5
	v_accvgpr_read_b32 v5, a45
	v_accvgpr_read_b32 v6, a43
	v_and_b32_e32 v5, 0xffff0000, v5
	v_and_b32_e32 v6, 0xffff0000, v6
	v_add_f32_e32 v5, v6, v5
	v_add_f32_e32 v3, v3, v5
	v_accvgpr_read_b32 v5, a20
	v_accvgpr_read_b32 v6, a21
	v_and_b32_e32 v5, 0xffff0000, v5
	v_and_b32_e32 v6, 0xffff0000, v6
	v_add_f32_e32 v5, v5, v6
	v_add_f32_e32 v3, v3, v5
	;; [unrolled: 1-line block ×3, first 2 shown]
	v_accvgpr_read_b32 v3, a22
	v_accvgpr_read_b32 v5, a58
	v_and_b32_e32 v3, 0xffff0000, v3
	v_and_b32_e32 v5, 0xffff0000, v5
	v_add_f32_e32 v3, v5, v3
	v_accvgpr_read_b32 v5, a32
	v_accvgpr_read_b32 v6, a23
	v_and_b32_e32 v5, 0xffff0000, v5
	v_and_b32_e32 v6, 0xffff0000, v6
	v_add_f32_e32 v5, v6, v5
	v_add_f32_e32 v3, v3, v5
	v_accvgpr_read_b32 v5, a26
	v_accvgpr_read_b32 v6, a33
	v_and_b32_e32 v5, 0xffff0000, v5
	v_and_b32_e32 v6, 0xffff0000, v6
	v_add_f32_e32 v5, v6, v5
	;; [unrolled: 6-line block ×3, first 2 shown]
	v_add_f32_e32 v3, v3, v5
	s_waitcnt vmcnt(0)
	v_add_f32_e32 v13, v13, v3
	v_accvgpr_read_b32 v3, a9
	v_accvgpr_read_b32 v5, a7
	v_and_b32_e32 v3, 0xffff0000, v3
	v_and_b32_e32 v5, 0xffff0000, v5
	v_add_f32_e32 v3, v5, v3
	v_accvgpr_read_b32 v5, a6
	v_accvgpr_read_b32 v6, a11
	v_and_b32_e32 v5, 0xffff0000, v5
	v_and_b32_e32 v6, 0xffff0000, v6
	v_add_f32_e32 v5, v6, v5
	v_add_f32_e32 v3, v3, v5
	v_accvgpr_read_b32 v5, a29
	v_accvgpr_read_b32 v6, a28
	v_and_b32_e32 v5, 0xffff0000, v5
	v_and_b32_e32 v6, 0xffff0000, v6
	v_add_f32_e32 v5, v6, v5
	v_accvgpr_read_b32 v6, a24
	v_and_b32_e32 v6, 0xffff0000, v6
	v_add_f32_e32 v3, v3, v5
	v_add_f32_e32 v5, v6, v7
	;; [unrolled: 1-line block ×4, first 2 shown]
	buffer_store_dword v12, off, s[0:3], s32 offset:276 ; 4-byte Folded Spill
	s_nop 0
	buffer_store_dword v13, off, s[0:3], s32 offset:280 ; 4-byte Folded Spill
	buffer_load_dword v3, off, s[0:3], s32 offset:484 ; 4-byte Folded Reload
	buffer_load_dword v14, off, s[0:3], s32 offset:488 ; 4-byte Folded Reload
	;; [unrolled: 1-line block ×6, first 2 shown]
	s_waitcnt vmcnt(5)
	v_and_b32_e32 v3, 0xffff0000, v3
	buffer_load_dword v12, off, s[0:3], s32 offset:468 ; 4-byte Folded Reload
	buffer_load_dword v13, off, s[0:3], s32 offset:464 ; 4-byte Folded Reload
	;; [unrolled: 1-line block ×4, first 2 shown]
	s_waitcnt vmcnt(5)
	v_and_b32_e32 v6, 0xffff0000, v6
	s_waitcnt vmcnt(4)
	v_and_b32_e32 v7, 0xffff0000, v7
	v_and_b32_e32 v5, 0xffff0000, v5
	v_add_f32_e32 v6, v7, v6
	v_and_b32_e32 v14, 0xffff0000, v14
	v_and_b32_e32 v15, 0xffff0000, v15
	v_add_f32_e32 v3, v5, v3
	v_add_f32_e32 v5, v14, v15
	buffer_load_dword v7, off, s[0:3], s32 offset:440 ; 4-byte Folded Reload
	buffer_load_dword v14, off, s[0:3], s32 offset:456 ; 4-byte Folded Reload
	;; [unrolled: 1-line block ×3, first 2 shown]
	s_waitcnt vmcnt(6)
	v_and_b32_e32 v12, 0xffff0000, v12
	s_waitcnt vmcnt(5)
	v_and_b32_e32 v13, 0xffff0000, v13
	v_add_f32_e32 v12, v13, v12
	v_add_f32_e32 v6, v12, v6
	v_add_f32_e32 v3, v6, v3
	v_add_f32_e32 v3, v3, v5
	s_waitcnt vmcnt(3)
	v_add_f32_e32 v17, v17, v3
	buffer_load_dword v3, off, s[0:3], s32 offset:452 ; 4-byte Folded Reload
	buffer_load_dword v5, off, s[0:3], s32 offset:448 ; 4-byte Folded Reload
	;; [unrolled: 1-line block ×5, first 2 shown]
	s_waitcnt vmcnt(7)
	v_and_b32_e32 v7, 0xffff0000, v7
	s_waitcnt vmcnt(6)
	v_and_b32_e32 v14, 0xffff0000, v14
	;; [unrolled: 2-line block ×8, first 2 shown]
	v_add_f32_e32 v12, v13, v12
	v_add_f32_e32 v6, v7, v6
	;; [unrolled: 1-line block ×8, first 2 shown]
	buffer_store_dword v16, off, s[0:3], s32 offset:216 ; 4-byte Folded Spill
	s_nop 0
	buffer_store_dword v17, off, s[0:3], s32 offset:220 ; 4-byte Folded Spill
	buffer_load_dword v3, off, s[0:3], s32 offset:420 ; 4-byte Folded Reload
	buffer_load_dword v14, off, s[0:3], s32 offset:424 ; 4-byte Folded Reload
	;; [unrolled: 1-line block ×8, first 2 shown]
	s_nop 0
	buffer_load_dword v16, off, s[0:3], s32 offset:260 ; 4-byte Folded Reload
	buffer_load_dword v17, off, s[0:3], s32 offset:264 ; 4-byte Folded Reload
	s_waitcnt vmcnt(9)
	v_and_b32_e32 v3, 0xffff0000, v3
	s_waitcnt vmcnt(8)
	v_and_b32_e32 v14, 0xffff0000, v14
	;; [unrolled: 2-line block ×8, first 2 shown]
	v_add_f32_e32 v12, v13, v12
	v_add_f32_e32 v6, v7, v6
	;; [unrolled: 1-line block ×7, first 2 shown]
	s_waitcnt vmcnt(0)
	v_add_f32_e32 v17, v17, v3
	buffer_load_dword v3, off, s[0:3], s32 offset:388 ; 4-byte Folded Reload
	buffer_load_dword v14, off, s[0:3], s32 offset:392 ; 4-byte Folded Reload
	buffer_load_dword v15, off, s[0:3], s32 offset:396 ; 4-byte Folded Reload
	buffer_load_dword v5, off, s[0:3], s32 offset:384 ; 4-byte Folded Reload
	buffer_load_dword v6, off, s[0:3], s32 offset:380 ; 4-byte Folded Reload
	buffer_load_dword v7, off, s[0:3], s32 offset:376 ; 4-byte Folded Reload
	buffer_load_dword v12, off, s[0:3], s32 offset:360 ; 4-byte Folded Reload
	buffer_load_dword v13, off, s[0:3], s32 offset:344 ; 4-byte Folded Reload
	s_waitcnt vmcnt(7)
	v_and_b32_e32 v3, 0xffff0000, v3
	s_waitcnt vmcnt(6)
	v_and_b32_e32 v14, 0xffff0000, v14
	;; [unrolled: 2-line block ×8, first 2 shown]
	v_add_f32_e32 v12, v13, v12
	v_add_f32_e32 v6, v7, v6
	;; [unrolled: 1-line block ×6, first 2 shown]
	v_and_b32_e32 v7, 0xffff0000, v11
	v_and_b32_e32 v11, 0xffff0000, v10
	;; [unrolled: 1-line block ×6, first 2 shown]
	v_add_f32_e32 v3, v3, v5
	v_and_b32_e32 v6, 0xffff0000, v23
	v_pk_add_f32 v[0:1], v[0:1], v[8:9]
	v_add_f32_e32 v16, v16, v3
	v_pk_add_f32 v[2:3], v[10:11], v[6:7]
	v_add_f32_e32 v0, v0, v1
	v_add_f32_e32 v0, v0, v2
	;; [unrolled: 1-line block ×4, first 2 shown]
	buffer_store_dword v16, off, s[0:3], s32 offset:260 ; 4-byte Folded Spill
	s_nop 0
	buffer_store_dword v17, off, s[0:3], s32 offset:264 ; 4-byte Folded Spill
	buffer_store_dword v26, off, s[0:3], s32 offset:284 ; 4-byte Folded Spill
	s_nop 0
	buffer_store_dword v27, off, s[0:3], s32 offset:288 ; 4-byte Folded Spill
.LBB388_1329:                           ;   in Loop: Header=BB388_1330 Depth=1
	s_or_b64 exec, exec, s[26:27]
	buffer_load_dword v2, off, s[0:3], s32 offset:208 ; 4-byte Folded Reload
	buffer_load_dword v3, off, s[0:3], s32 offset:212 ; 4-byte Folded Reload
	v_accvgpr_read_b32 v1, a13
	v_add_u32_e32 v1, 64, v1
	v_add_co_u32_e32 v52, vcc, 8, v52
	v_addc_co_u32_e32 v53, vcc, 0, v53, vcc
	v_add_u32_e32 v4, 0x100, v4
	s_waitcnt vmcnt(1)
	v_add_u32_e32 v2, 2, v2
	v_mov_b32_e32 v0, v2
	buffer_store_dword v0, off, s[0:3], s32 offset:208 ; 4-byte Folded Spill
	s_nop 0
	buffer_store_dword v1, off, s[0:3], s32 offset:212 ; 4-byte Folded Spill
	buffer_load_dword v0, off, s[0:3], s32 offset:240 ; 4-byte Folded Reload
	s_waitcnt vmcnt(0)
	v_cmp_ge_i32_e32 vcc, v2, v0
	s_or_b64 s[18:19], vcc, s[18:19]
	s_andn2_b64 exec, exec, s[18:19]
	s_cbranch_execz .LBB388_3187
.LBB388_1330:                           ; =>This Inner Loop Header: Depth=1
	s_waitcnt vmcnt(0)
	v_ashrrev_i32_e32 v0, 31, v1
	v_mov_b32_e32 v2, v1
	buffer_load_dword v1, off, s[0:3], s32 offset:236 ; 4-byte Folded Reload
	buffer_load_dword v5, off, s[0:3], s32 offset:232 ; 4-byte Folded Reload
	v_accvgpr_write_b32 a13, v2
	s_waitcnt vmcnt(1)
	v_xor_b32_e32 v0, v0, v1
	v_sub_u32_e32 v1, 0, v2
	v_max_i32_e32 v1, v2, v1
	buffer_load_dword v2, off, s[0:3], s32 offset:252 ; 4-byte Folded Reload
	s_waitcnt vmcnt(0)
	v_mul_hi_u32 v2, v1, v2
	v_mul_lo_u32 v3, v2, v5
	v_sub_u32_e32 v1, v1, v3
	v_add_u32_e32 v3, 1, v2
	v_cmp_ge_u32_e32 vcc, v1, v5
	v_cndmask_b32_e32 v2, v2, v3, vcc
	v_sub_u32_e32 v3, v1, v5
	v_cndmask_b32_e32 v1, v1, v3, vcc
	v_add_u32_e32 v3, 1, v2
	v_cmp_ge_u32_e32 vcc, v1, v5
	v_cndmask_b32_e32 v1, v2, v3, vcc
	buffer_load_dword v2, off, s[0:3], s32 offset:244 ; 4-byte Folded Reload
	buffer_load_dword v3, off, s[0:3], s32 offset:248 ; 4-byte Folded Reload
	;; [unrolled: 1-line block ×5, first 2 shown]
	v_xor_b32_e32 v1, v1, v0
	v_sub_u32_e32 v0, v1, v0
	s_waitcnt vmcnt(4)
	v_add_u32_e32 v1, v0, v2
	s_waitcnt vmcnt(3)
	v_sub_u32_e32 v3, 0, v1
	v_ashrrev_i32_e32 v2, 31, v1
	v_max_i32_e32 v1, v1, v3
	s_waitcnt vmcnt(2)
	v_mul_hi_u32 v3, v1, v6
	s_waitcnt vmcnt(0)
	v_mul_lo_u32 v3, v3, v5
	v_sub_u32_e32 v1, v1, v3
	v_sub_u32_e32 v3, v1, v5
	v_cmp_ge_u32_e32 vcc, v1, v5
	v_cndmask_b32_e32 v1, v1, v3, vcc
	v_sub_u32_e32 v3, v1, v5
	v_cmp_ge_u32_e32 vcc, v1, v5
	v_cndmask_b32_e32 v1, v1, v3, vcc
	v_xor_b32_e32 v1, v1, v2
	v_sub_u32_e32 v1, v1, v2
	v_cmp_eq_u32_e32 vcc, 0, v1
	buffer_load_dword v1, off, s[0:3], s32 offset:256 ; 4-byte Folded Reload
	s_waitcnt vmcnt(0)
	v_cmp_gt_i32_e64 s[8:9], v0, v1
	s_or_b64 s[8:9], vcc, s[8:9]
	s_and_saveexec_b64 s[26:27], s[8:9]
	s_cbranch_execz .LBB388_1329
; %bb.1331:                             ;   in Loop: Header=BB388_1330 Depth=1
	buffer_store_dword v20, off, s[0:3], s32 offset:312 ; 4-byte Folded Spill
	s_nop 0
	buffer_store_dword v21, off, s[0:3], s32 offset:316 ; 4-byte Folded Spill
	buffer_store_dword v18, off, s[0:3], s32 offset:328 ; 4-byte Folded Spill
	s_nop 0
	buffer_store_dword v19, off, s[0:3], s32 offset:332 ; 4-byte Folded Spill
	flat_load_dword v20, v[52:53]
	ds_read2_b64 v[6:9], v4 offset1:1
	ds_read2_b64 v[0:3], v4 offset0:2 offset1:3
                                        ; implicit-def: $vgpr19
	s_waitcnt lgkmcnt(0)
	v_and_b32_e32 v5, 0x7f800000, v6
	v_cmp_ne_u32_e32 vcc, s15, v5
	s_and_saveexec_b64 s[8:9], vcc
	s_xor_b64 s[8:9], exec, s[8:9]
; %bb.1332:                             ;   in Loop: Header=BB388_1330 Depth=1
	v_bfe_u32 v5, v6, 16, 1
	v_add3_u32 v19, v6, v5, s36
; %bb.1333:                             ;   in Loop: Header=BB388_1330 Depth=1
	s_andn2_saveexec_b64 s[8:9], s[8:9]
; %bb.1334:                             ;   in Loop: Header=BB388_1330 Depth=1
	v_or_b32_e32 v5, 0x10000, v6
	v_cmp_eq_u32_sdwa vcc, v6, v31 src0_sel:WORD_0 src1_sel:DWORD
	v_cndmask_b32_e32 v19, v5, v6, vcc
; %bb.1335:                             ;   in Loop: Header=BB388_1330 Depth=1
	s_or_b64 exec, exec, s[8:9]
	v_and_b32_e32 v5, 0x7f800000, v7
	v_cmp_ne_u32_e32 vcc, s15, v5
                                        ; implicit-def: $vgpr18
	s_and_saveexec_b64 s[8:9], vcc
	s_xor_b64 s[8:9], exec, s[8:9]
; %bb.1336:                             ;   in Loop: Header=BB388_1330 Depth=1
	v_bfe_u32 v5, v7, 16, 1
	v_add3_u32 v18, v7, v5, s36
; %bb.1337:                             ;   in Loop: Header=BB388_1330 Depth=1
	s_andn2_saveexec_b64 s[8:9], s[8:9]
; %bb.1338:                             ;   in Loop: Header=BB388_1330 Depth=1
	v_or_b32_e32 v5, 0x10000, v7
	v_cmp_eq_u32_sdwa vcc, v7, v31 src0_sel:WORD_0 src1_sel:DWORD
	v_cndmask_b32_e32 v18, v5, v7, vcc
; %bb.1339:                             ;   in Loop: Header=BB388_1330 Depth=1
	s_or_b64 exec, exec, s[8:9]
	v_and_b32_e32 v5, 0x7f800000, v8
	v_cmp_ne_u32_e32 vcc, s15, v5
                                        ; implicit-def: $vgpr17
	s_and_saveexec_b64 s[8:9], vcc
	s_xor_b64 s[8:9], exec, s[8:9]
; %bb.1340:                             ;   in Loop: Header=BB388_1330 Depth=1
	v_bfe_u32 v5, v8, 16, 1
	v_add3_u32 v17, v8, v5, s36
; %bb.1341:                             ;   in Loop: Header=BB388_1330 Depth=1
	s_andn2_saveexec_b64 s[8:9], s[8:9]
; %bb.1342:                             ;   in Loop: Header=BB388_1330 Depth=1
	v_or_b32_e32 v5, 0x10000, v8
	v_cmp_eq_u32_sdwa vcc, v8, v31 src0_sel:WORD_0 src1_sel:DWORD
	v_cndmask_b32_e32 v17, v5, v8, vcc
; %bb.1343:                             ;   in Loop: Header=BB388_1330 Depth=1
	s_or_b64 exec, exec, s[8:9]
	v_and_b32_e32 v5, 0x7f800000, v9
	v_cmp_ne_u32_e32 vcc, s15, v5
                                        ; implicit-def: $vgpr16
	s_and_saveexec_b64 s[8:9], vcc
	s_xor_b64 s[8:9], exec, s[8:9]
; %bb.1344:                             ;   in Loop: Header=BB388_1330 Depth=1
	v_bfe_u32 v5, v9, 16, 1
	v_add3_u32 v16, v9, v5, s36
                                        ; implicit-def: $vgpr6_vgpr7_vgpr8_vgpr9
; %bb.1345:                             ;   in Loop: Header=BB388_1330 Depth=1
	s_andn2_saveexec_b64 s[8:9], s[8:9]
; %bb.1346:                             ;   in Loop: Header=BB388_1330 Depth=1
	v_or_b32_e32 v5, 0x10000, v9
	v_cmp_eq_u32_sdwa vcc, v9, v31 src0_sel:WORD_0 src1_sel:DWORD
	v_cndmask_b32_e32 v16, v5, v9, vcc
; %bb.1347:                             ;   in Loop: Header=BB388_1330 Depth=1
	s_or_b64 exec, exec, s[8:9]
	v_and_b32_e32 v5, 0x7f800000, v0
	v_cmp_ne_u32_e32 vcc, s15, v5
                                        ; implicit-def: $vgpr13
	s_and_saveexec_b64 s[8:9], vcc
	s_xor_b64 s[8:9], exec, s[8:9]
; %bb.1348:                             ;   in Loop: Header=BB388_1330 Depth=1
	v_bfe_u32 v5, v0, 16, 1
	v_add3_u32 v13, v0, v5, s36
; %bb.1349:                             ;   in Loop: Header=BB388_1330 Depth=1
	s_andn2_saveexec_b64 s[8:9], s[8:9]
; %bb.1350:                             ;   in Loop: Header=BB388_1330 Depth=1
	v_or_b32_e32 v5, 0x10000, v0
	v_cmp_eq_u32_sdwa vcc, v0, v31 src0_sel:WORD_0 src1_sel:DWORD
	v_cndmask_b32_e32 v13, v5, v0, vcc
; %bb.1351:                             ;   in Loop: Header=BB388_1330 Depth=1
	s_or_b64 exec, exec, s[8:9]
	v_and_b32_e32 v0, 0x7f800000, v1
	v_cmp_ne_u32_e32 vcc, s15, v0
                                        ; implicit-def: $vgpr12
	s_and_saveexec_b64 s[8:9], vcc
	s_xor_b64 s[8:9], exec, s[8:9]
; %bb.1352:                             ;   in Loop: Header=BB388_1330 Depth=1
	v_bfe_u32 v0, v1, 16, 1
	v_add3_u32 v12, v1, v0, s36
; %bb.1353:                             ;   in Loop: Header=BB388_1330 Depth=1
	s_andn2_saveexec_b64 s[8:9], s[8:9]
; %bb.1354:                             ;   in Loop: Header=BB388_1330 Depth=1
	v_or_b32_e32 v0, 0x10000, v1
	v_cmp_eq_u32_sdwa vcc, v1, v31 src0_sel:WORD_0 src1_sel:DWORD
	v_cndmask_b32_e32 v12, v0, v1, vcc
; %bb.1355:                             ;   in Loop: Header=BB388_1330 Depth=1
	s_or_b64 exec, exec, s[8:9]
	v_and_b32_e32 v0, 0x7f800000, v2
	v_cmp_ne_u32_e32 vcc, s15, v0
                                        ; implicit-def: $vgpr10
	s_and_saveexec_b64 s[8:9], vcc
	s_xor_b64 s[8:9], exec, s[8:9]
; %bb.1356:                             ;   in Loop: Header=BB388_1330 Depth=1
	v_bfe_u32 v0, v2, 16, 1
	v_add3_u32 v10, v2, v0, s36
; %bb.1357:                             ;   in Loop: Header=BB388_1330 Depth=1
	s_andn2_saveexec_b64 s[8:9], s[8:9]
; %bb.1358:                             ;   in Loop: Header=BB388_1330 Depth=1
	v_or_b32_e32 v0, 0x10000, v2
	v_cmp_eq_u32_sdwa vcc, v2, v31 src0_sel:WORD_0 src1_sel:DWORD
	v_cndmask_b32_e32 v10, v0, v2, vcc
; %bb.1359:                             ;   in Loop: Header=BB388_1330 Depth=1
	s_or_b64 exec, exec, s[8:9]
	v_and_b32_e32 v0, 0x7f800000, v3
	v_cmp_ne_u32_e32 vcc, s15, v0
                                        ; implicit-def: $vgpr11
	s_and_saveexec_b64 s[8:9], vcc
	s_xor_b64 s[8:9], exec, s[8:9]
; %bb.1360:                             ;   in Loop: Header=BB388_1330 Depth=1
	v_bfe_u32 v0, v3, 16, 1
	v_add3_u32 v11, v3, v0, s36
                                        ; implicit-def: $vgpr0_vgpr1_vgpr2_vgpr3
; %bb.1361:                             ;   in Loop: Header=BB388_1330 Depth=1
	s_andn2_saveexec_b64 s[8:9], s[8:9]
; %bb.1362:                             ;   in Loop: Header=BB388_1330 Depth=1
	v_or_b32_e32 v0, 0x10000, v3
	v_cmp_eq_u32_sdwa vcc, v3, v31 src0_sel:WORD_0 src1_sel:DWORD
	v_cndmask_b32_e32 v11, v0, v3, vcc
; %bb.1363:                             ;   in Loop: Header=BB388_1330 Depth=1
	s_or_b64 exec, exec, s[8:9]
	buffer_load_dword v2, off, s[0:3], s32 offset:504 ; 4-byte Folded Reload
	buffer_load_dword v3, off, s[0:3], s32 offset:508 ; 4-byte Folded Reload
	;; [unrolled: 1-line block ×4, first 2 shown]
	v_mov_b32_e32 v5, 0
	s_waitcnt vmcnt(0)
	v_mad_i64_i32 v[0:1], s[8:9], v20, v0, v[2:3]
	buffer_load_dword v2, off, s[0:3], s32 offset:560 ; 4-byte Folded Reload
	buffer_load_dword v3, off, s[0:3], s32 offset:564 ; 4-byte Folded Reload
	s_waitcnt vmcnt(1)
	v_add_co_u32_e32 v2, vcc, v0, v2
	s_waitcnt vmcnt(0)
	v_addc_co_u32_e32 v3, vcc, 0, v1, vcc
	flat_load_dwordx2 v[6:7], v[2:3]
	buffer_load_dword v8, off, s[0:3], s32 offset:920 ; 4-byte Folded Reload
	buffer_load_dword v9, off, s[0:3], s32 offset:924 ; 4-byte Folded Reload
	s_waitcnt vmcnt(0) lgkmcnt(0)
	v_cmp_ne_u16_sdwa s[28:29], v6, v31 src0_sel:BYTE_0 src1_sel:DWORD
	flat_load_dword v9, v[8:9]
	s_and_saveexec_b64 s[8:9], s[28:29]
	s_cbranch_execz .LBB388_1369
; %bb.1364:                             ;   in Loop: Header=BB388_1330 Depth=1
	v_cmp_ne_u16_sdwa vcc, v6, s37 src0_sel:BYTE_0 src1_sel:DWORD
	v_bfrev_b32_e32 v5, 1
	s_and_saveexec_b64 s[28:29], vcc
	s_cbranch_execz .LBB388_1368
; %bb.1365:                             ;   in Loop: Header=BB388_1330 Depth=1
	v_and_b32_e32 v8, 0x7f, v6
	v_cmp_ne_u32_e32 vcc, s38, v8
	v_mov_b32_e32 v5, 0x7f800001
	s_and_saveexec_b64 s[30:31], vcc
	s_cbranch_execz .LBB388_1367
; %bb.1366:                             ;   in Loop: Header=BB388_1330 Depth=1
	v_and_b32_e32 v5, 7, v6
	v_ffbh_u32_e32 v5, v5
	v_min_u32_e32 v5, 32, v5
	v_subrev_u32_e32 v15, 28, v5
	v_cmp_gt_u32_e32 vcc, 8, v8
	v_lshrrev_b32_e32 v14, 3, v8
	v_sub_u32_e32 v5, 29, v5
	v_cndmask_b32_e32 v8, 0, v15, vcc
	v_cndmask_b32_e32 v5, v14, v5, vcc
	v_lshlrev_b64 v[14:15], v8, v[6:7]
	v_lshlrev_b32_e32 v8, 20, v14
	v_lshlrev_b32_e32 v14, 24, v6
	v_and_b32_e32 v8, 0x700000, v8
	v_and_b32_e32 v14, 0x80000000, v14
	v_lshl_add_u32 v5, v5, 23, v61
	v_or3_b32 v5, v14, v5, v8
.LBB388_1367:                           ;   in Loop: Header=BB388_1330 Depth=1
	s_or_b64 exec, exec, s[30:31]
.LBB388_1368:                           ;   in Loop: Header=BB388_1330 Depth=1
	s_or_b64 exec, exec, s[28:29]
.LBB388_1369:                           ;   in Loop: Header=BB388_1330 Depth=1
	s_or_b64 exec, exec, s[8:9]
	s_waitcnt vmcnt(0) lgkmcnt(0)
	v_mul_f32_e32 v5, v9, v5
	v_and_b32_e32 v8, 0x7f800000, v5
	v_cmp_ne_u32_e32 vcc, s15, v8
                                        ; implicit-def: $vgpr20
	s_and_saveexec_b64 s[8:9], vcc
	s_xor_b64 s[8:9], exec, s[8:9]
; %bb.1370:                             ;   in Loop: Header=BB388_1330 Depth=1
	v_bfe_u32 v8, v5, 16, 1
	v_add3_u32 v20, v5, v8, s36
                                        ; implicit-def: $vgpr5
; %bb.1371:                             ;   in Loop: Header=BB388_1330 Depth=1
	s_andn2_saveexec_b64 s[8:9], s[8:9]
; %bb.1372:                             ;   in Loop: Header=BB388_1330 Depth=1
	v_or_b32_e32 v8, 0x10000, v5
	v_cmp_eq_u32_sdwa vcc, v5, v31 src0_sel:WORD_0 src1_sel:DWORD
	v_cndmask_b32_e32 v20, v8, v5, vcc
; %bb.1373:                             ;   in Loop: Header=BB388_1330 Depth=1
	s_or_b64 exec, exec, s[8:9]
	v_lshrrev_b16_e32 v8, 8, v6
	v_cmp_ne_u16_e32 vcc, 0, v8
	v_mov_b32_e32 v5, 0
	s_and_saveexec_b64 s[8:9], vcc
	s_cbranch_execz .LBB388_1379
; %bb.1374:                             ;   in Loop: Header=BB388_1330 Depth=1
	v_cmp_ne_u16_e32 vcc, s37, v8
	v_bfrev_b32_e32 v5, 1
	s_and_saveexec_b64 s[28:29], vcc
	s_cbranch_execz .LBB388_1378
; %bb.1375:                             ;   in Loop: Header=BB388_1330 Depth=1
	v_and_b32_e32 v14, 0x7f, v8
	v_cmp_ne_u32_e32 vcc, s38, v14
	v_mov_b32_e32 v5, 0x7f800001
	s_and_saveexec_b64 s[30:31], vcc
	s_cbranch_execz .LBB388_1377
; %bb.1376:                             ;   in Loop: Header=BB388_1330 Depth=1
	v_and_b32_e32 v5, 7, v8
	v_ffbh_u32_e32 v21, v5
	v_min_u32_e32 v21, 32, v21
	v_subrev_u32_e32 v22, 28, v21
	v_lshlrev_b64 v[22:23], v22, v[8:9]
	v_lshrrev_b32_e32 v15, 3, v14
	v_sub_u32_e32 v8, 29, v21
	v_and_b32_e32 v21, 7, v22
	v_cmp_gt_u32_e32 vcc, 8, v14
	v_cndmask_b32_e32 v8, v15, v8, vcc
	v_cndmask_b32_e32 v5, v5, v21, vcc
	v_lshlrev_b32_e32 v14, 16, v6
	v_lshlrev_b32_e32 v5, 20, v5
	v_and_b32_e32 v14, 0x80000000, v14
	v_lshl_add_u32 v8, v8, 23, v61
	v_or3_b32 v5, v14, v8, v5
.LBB388_1377:                           ;   in Loop: Header=BB388_1330 Depth=1
	s_or_b64 exec, exec, s[30:31]
.LBB388_1378:                           ;   in Loop: Header=BB388_1330 Depth=1
	s_or_b64 exec, exec, s[28:29]
.LBB388_1379:                           ;   in Loop: Header=BB388_1330 Depth=1
	s_or_b64 exec, exec, s[8:9]
	v_mul_f32_e32 v5, v9, v5
	v_and_b32_e32 v8, 0x7f800000, v5
	v_cmp_ne_u32_e32 vcc, s15, v8
                                        ; implicit-def: $vgpr21
	s_and_saveexec_b64 s[8:9], vcc
	s_xor_b64 s[8:9], exec, s[8:9]
; %bb.1380:                             ;   in Loop: Header=BB388_1330 Depth=1
	v_bfe_u32 v8, v5, 16, 1
	v_add3_u32 v21, v5, v8, s36
                                        ; implicit-def: $vgpr5
; %bb.1381:                             ;   in Loop: Header=BB388_1330 Depth=1
	s_andn2_saveexec_b64 s[8:9], s[8:9]
; %bb.1382:                             ;   in Loop: Header=BB388_1330 Depth=1
	v_or_b32_e32 v8, 0x10000, v5
	v_cmp_eq_u32_sdwa vcc, v5, v31 src0_sel:WORD_0 src1_sel:DWORD
	v_cndmask_b32_e32 v21, v8, v5, vcc
; %bb.1383:                             ;   in Loop: Header=BB388_1330 Depth=1
	s_or_b64 exec, exec, s[8:9]
	v_lshrrev_b32_e32 v8, 16, v6
	v_cmp_ne_u16_sdwa s[28:29], v8, v31 src0_sel:BYTE_0 src1_sel:DWORD
	v_mov_b32_e32 v5, 0
	s_and_saveexec_b64 s[8:9], s[28:29]
	s_cbranch_execz .LBB388_1389
; %bb.1384:                             ;   in Loop: Header=BB388_1330 Depth=1
	v_cmp_ne_u16_sdwa vcc, v8, s37 src0_sel:BYTE_0 src1_sel:DWORD
	v_bfrev_b32_e32 v5, 1
	s_and_saveexec_b64 s[28:29], vcc
	s_cbranch_execz .LBB388_1388
; %bb.1385:                             ;   in Loop: Header=BB388_1330 Depth=1
	v_bfe_u32 v14, v6, 16, 7
	v_cmp_ne_u32_e32 vcc, s38, v14
	v_mov_b32_e32 v5, 0x7f800001
	s_and_saveexec_b64 s[30:31], vcc
	s_cbranch_execz .LBB388_1387
; %bb.1386:                             ;   in Loop: Header=BB388_1330 Depth=1
	v_and_b32_e32 v5, 7, v8
	v_ffbh_u32_e32 v22, v5
	v_min_u32_e32 v24, 32, v22
	v_subrev_u32_e32 v22, 28, v24
	v_lshlrev_b64 v[22:23], v22, v[8:9]
	v_lshrrev_b32_e32 v15, 3, v14
	v_sub_u32_e32 v23, 29, v24
	v_and_b32_e32 v22, 7, v22
	v_cmp_gt_u32_e32 vcc, 8, v14
	v_cndmask_b32_e32 v14, v15, v23, vcc
	v_cndmask_b32_e32 v5, v5, v22, vcc
	v_lshlrev_b32_e32 v8, 24, v8
	v_lshlrev_b32_e32 v5, 20, v5
	v_and_b32_e32 v8, 0x80000000, v8
	v_lshl_add_u32 v14, v14, 23, v61
	v_or3_b32 v5, v8, v14, v5
.LBB388_1387:                           ;   in Loop: Header=BB388_1330 Depth=1
	s_or_b64 exec, exec, s[30:31]
.LBB388_1388:                           ;   in Loop: Header=BB388_1330 Depth=1
	s_or_b64 exec, exec, s[28:29]
.LBB388_1389:                           ;   in Loop: Header=BB388_1330 Depth=1
	s_or_b64 exec, exec, s[8:9]
	v_mul_f32_e32 v5, v9, v5
	v_and_b32_e32 v8, 0x7f800000, v5
	v_cmp_ne_u32_e32 vcc, s15, v8
                                        ; implicit-def: $vgpr22
	s_and_saveexec_b64 s[8:9], vcc
	s_xor_b64 s[8:9], exec, s[8:9]
; %bb.1390:                             ;   in Loop: Header=BB388_1330 Depth=1
	v_bfe_u32 v8, v5, 16, 1
	v_add3_u32 v22, v5, v8, s36
                                        ; implicit-def: $vgpr5
; %bb.1391:                             ;   in Loop: Header=BB388_1330 Depth=1
	s_andn2_saveexec_b64 s[8:9], s[8:9]
; %bb.1392:                             ;   in Loop: Header=BB388_1330 Depth=1
	v_or_b32_e32 v8, 0x10000, v5
	v_cmp_eq_u32_sdwa vcc, v5, v31 src0_sel:WORD_0 src1_sel:DWORD
	v_cndmask_b32_e32 v22, v8, v5, vcc
; %bb.1393:                             ;   in Loop: Header=BB388_1330 Depth=1
	s_or_b64 exec, exec, s[8:9]
	v_cmp_lt_u32_e32 vcc, s17, v6
	v_mov_b32_e32 v5, 0
	s_and_saveexec_b64 s[8:9], vcc
	s_cbranch_execz .LBB388_1399
; %bb.1394:                             ;   in Loop: Header=BB388_1330 Depth=1
	v_lshrrev_b32_e32 v8, 24, v6
	v_cmp_ne_u32_e32 vcc, s37, v8
	v_bfrev_b32_e32 v5, 1
	s_and_saveexec_b64 s[28:29], vcc
	s_cbranch_execz .LBB388_1398
; %bb.1395:                             ;   in Loop: Header=BB388_1330 Depth=1
	v_bfe_u32 v14, v6, 24, 7
	v_cmp_ne_u32_e32 vcc, s38, v14
	v_mov_b32_e32 v5, 0x7f800001
	s_and_saveexec_b64 s[30:31], vcc
	s_cbranch_execz .LBB388_1397
; %bb.1396:                             ;   in Loop: Header=BB388_1330 Depth=1
	v_and_b32_e32 v5, 7, v8
	v_ffbh_u32_e32 v23, v5
	v_min_u32_e32 v23, 32, v23
	v_subrev_u32_e32 v24, 28, v23
	v_lshlrev_b64 v[24:25], v24, v[8:9]
	v_lshrrev_b32_e32 v15, 3, v14
	v_sub_u32_e32 v23, 29, v23
	v_and_b32_e32 v24, 7, v24
	v_cmp_gt_u32_e32 vcc, 8, v14
	v_cndmask_b32_e32 v14, v15, v23, vcc
	v_cndmask_b32_e32 v5, v5, v24, vcc
	v_lshlrev_b32_e32 v8, 24, v8
	v_lshlrev_b32_e32 v5, 20, v5
	v_and_b32_e32 v8, 0x80000000, v8
	v_lshl_add_u32 v14, v14, 23, v61
	v_or3_b32 v5, v8, v14, v5
.LBB388_1397:                           ;   in Loop: Header=BB388_1330 Depth=1
	s_or_b64 exec, exec, s[30:31]
.LBB388_1398:                           ;   in Loop: Header=BB388_1330 Depth=1
	s_or_b64 exec, exec, s[28:29]
.LBB388_1399:                           ;   in Loop: Header=BB388_1330 Depth=1
	s_or_b64 exec, exec, s[8:9]
	v_mul_f32_e32 v5, v9, v5
	v_and_b32_e32 v8, 0x7f800000, v5
	v_cmp_ne_u32_e32 vcc, s15, v8
                                        ; implicit-def: $vgpr23
	s_and_saveexec_b64 s[8:9], vcc
	s_xor_b64 s[8:9], exec, s[8:9]
; %bb.1400:                             ;   in Loop: Header=BB388_1330 Depth=1
	v_bfe_u32 v8, v5, 16, 1
	v_add3_u32 v23, v5, v8, s36
                                        ; implicit-def: $vgpr5
; %bb.1401:                             ;   in Loop: Header=BB388_1330 Depth=1
	s_andn2_saveexec_b64 s[8:9], s[8:9]
; %bb.1402:                             ;   in Loop: Header=BB388_1330 Depth=1
	v_or_b32_e32 v8, 0x10000, v5
	v_cmp_eq_u32_sdwa vcc, v5, v31 src0_sel:WORD_0 src1_sel:DWORD
	v_cndmask_b32_e32 v23, v8, v5, vcc
; %bb.1403:                             ;   in Loop: Header=BB388_1330 Depth=1
	s_or_b64 exec, exec, s[8:9]
	v_mov_b32_e32 v30, v7
	v_cmp_ne_u16_sdwa s[28:29], v7, v31 src0_sel:BYTE_0 src1_sel:DWORD
	v_mov_b32_e32 v5, 0
	s_and_saveexec_b64 s[8:9], s[28:29]
	s_cbranch_execz .LBB388_1409
; %bb.1404:                             ;   in Loop: Header=BB388_1330 Depth=1
	v_cmp_ne_u16_sdwa vcc, v7, s37 src0_sel:BYTE_0 src1_sel:DWORD
	v_bfrev_b32_e32 v5, 1
	s_and_saveexec_b64 s[28:29], vcc
	s_cbranch_execz .LBB388_1408
; %bb.1405:                             ;   in Loop: Header=BB388_1330 Depth=1
	v_and_b32_e32 v8, 0x7f, v7
	v_cmp_ne_u32_e32 vcc, s38, v8
	v_mov_b32_e32 v5, 0x7f800001
	s_and_saveexec_b64 s[30:31], vcc
	s_cbranch_execz .LBB388_1407
; %bb.1406:                             ;   in Loop: Header=BB388_1330 Depth=1
	v_and_b32_e32 v5, 7, v7
	v_ffbh_u32_e32 v5, v5
	v_min_u32_e32 v5, 32, v5
	v_subrev_u32_e32 v15, 28, v5
	v_cmp_gt_u32_e32 vcc, 8, v8
	v_lshrrev_b32_e32 v14, 3, v8
	v_sub_u32_e32 v5, 29, v5
	v_cndmask_b32_e32 v8, 0, v15, vcc
	v_cndmask_b32_e32 v5, v14, v5, vcc
	v_lshlrev_b64 v[14:15], v8, v[30:31]
	v_lshlrev_b32_e32 v8, 20, v14
	v_lshlrev_b32_e32 v14, 24, v30
	v_and_b32_e32 v8, 0x700000, v8
	v_and_b32_e32 v14, 0x80000000, v14
	v_lshl_add_u32 v5, v5, 23, v61
	v_or3_b32 v5, v14, v5, v8
.LBB388_1407:                           ;   in Loop: Header=BB388_1330 Depth=1
	s_or_b64 exec, exec, s[30:31]
.LBB388_1408:                           ;   in Loop: Header=BB388_1330 Depth=1
	s_or_b64 exec, exec, s[28:29]
.LBB388_1409:                           ;   in Loop: Header=BB388_1330 Depth=1
	s_or_b64 exec, exec, s[8:9]
	v_mul_f32_e32 v5, v9, v5
	v_and_b32_e32 v8, 0x7f800000, v5
	v_cmp_ne_u32_e32 vcc, s15, v8
                                        ; implicit-def: $vgpr24
	s_and_saveexec_b64 s[8:9], vcc
	s_xor_b64 s[8:9], exec, s[8:9]
; %bb.1410:                             ;   in Loop: Header=BB388_1330 Depth=1
	v_bfe_u32 v8, v5, 16, 1
	v_add3_u32 v24, v5, v8, s36
                                        ; implicit-def: $vgpr5
; %bb.1411:                             ;   in Loop: Header=BB388_1330 Depth=1
	s_andn2_saveexec_b64 s[8:9], s[8:9]
; %bb.1412:                             ;   in Loop: Header=BB388_1330 Depth=1
	v_or_b32_e32 v8, 0x10000, v5
	v_cmp_eq_u32_sdwa vcc, v5, v31 src0_sel:WORD_0 src1_sel:DWORD
	v_cndmask_b32_e32 v24, v8, v5, vcc
; %bb.1413:                             ;   in Loop: Header=BB388_1330 Depth=1
	s_or_b64 exec, exec, s[8:9]
	v_lshrrev_b16_e32 v8, 8, v30
	v_cmp_ne_u16_e32 vcc, 0, v8
	v_mov_b32_e32 v5, 0
	s_and_saveexec_b64 s[8:9], vcc
	s_cbranch_execz .LBB388_1419
; %bb.1414:                             ;   in Loop: Header=BB388_1330 Depth=1
	v_cmp_ne_u16_e32 vcc, s37, v8
	v_bfrev_b32_e32 v5, 1
	s_and_saveexec_b64 s[28:29], vcc
	s_cbranch_execz .LBB388_1418
; %bb.1415:                             ;   in Loop: Header=BB388_1330 Depth=1
	v_and_b32_e32 v14, 0x7f, v8
	v_cmp_ne_u32_e32 vcc, s38, v14
	v_mov_b32_e32 v5, 0x7f800001
	s_and_saveexec_b64 s[30:31], vcc
	s_cbranch_execz .LBB388_1417
; %bb.1416:                             ;   in Loop: Header=BB388_1330 Depth=1
	v_and_b32_e32 v5, 7, v8
	v_ffbh_u32_e32 v25, v5
	v_min_u32_e32 v25, 32, v25
	v_subrev_u32_e32 v26, 28, v25
	v_lshlrev_b64 v[26:27], v26, v[8:9]
	v_lshrrev_b32_e32 v15, 3, v14
	v_sub_u32_e32 v8, 29, v25
	v_and_b32_e32 v25, 7, v26
	v_cmp_gt_u32_e32 vcc, 8, v14
	v_cndmask_b32_e32 v8, v15, v8, vcc
	v_cndmask_b32_e32 v5, v5, v25, vcc
	v_lshlrev_b32_e32 v14, 16, v30
	v_lshlrev_b32_e32 v5, 20, v5
	v_and_b32_e32 v14, 0x80000000, v14
	v_lshl_add_u32 v8, v8, 23, v61
	v_or3_b32 v5, v14, v8, v5
.LBB388_1417:                           ;   in Loop: Header=BB388_1330 Depth=1
	s_or_b64 exec, exec, s[30:31]
.LBB388_1418:                           ;   in Loop: Header=BB388_1330 Depth=1
	s_or_b64 exec, exec, s[28:29]
.LBB388_1419:                           ;   in Loop: Header=BB388_1330 Depth=1
	s_or_b64 exec, exec, s[8:9]
	v_mul_f32_e32 v5, v9, v5
	v_and_b32_e32 v8, 0x7f800000, v5
	v_cmp_ne_u32_e32 vcc, s15, v8
                                        ; implicit-def: $vgpr14
	s_and_saveexec_b64 s[8:9], vcc
	s_xor_b64 s[8:9], exec, s[8:9]
; %bb.1420:                             ;   in Loop: Header=BB388_1330 Depth=1
	v_bfe_u32 v8, v5, 16, 1
	v_add3_u32 v14, v5, v8, s36
                                        ; implicit-def: $vgpr5
; %bb.1421:                             ;   in Loop: Header=BB388_1330 Depth=1
	s_andn2_saveexec_b64 s[8:9], s[8:9]
; %bb.1422:                             ;   in Loop: Header=BB388_1330 Depth=1
	v_or_b32_e32 v8, 0x10000, v5
	v_cmp_eq_u32_sdwa vcc, v5, v31 src0_sel:WORD_0 src1_sel:DWORD
	v_cndmask_b32_e32 v14, v8, v5, vcc
; %bb.1423:                             ;   in Loop: Header=BB388_1330 Depth=1
	s_or_b64 exec, exec, s[8:9]
	v_lshrrev_b32_e32 v8, 16, v7
	v_cmp_ne_u16_sdwa s[28:29], v8, v31 src0_sel:BYTE_0 src1_sel:DWORD
	v_mov_b32_e32 v5, 0
	s_and_saveexec_b64 s[8:9], s[28:29]
	s_cbranch_execz .LBB388_1429
; %bb.1424:                             ;   in Loop: Header=BB388_1330 Depth=1
	v_cmp_ne_u16_sdwa vcc, v8, s37 src0_sel:BYTE_0 src1_sel:DWORD
	v_bfrev_b32_e32 v5, 1
	s_and_saveexec_b64 s[28:29], vcc
	s_cbranch_execz .LBB388_1428
; %bb.1425:                             ;   in Loop: Header=BB388_1330 Depth=1
	v_bfe_u32 v15, v7, 16, 7
	v_cmp_ne_u32_e32 vcc, s38, v15
	v_mov_b32_e32 v5, 0x7f800001
	s_and_saveexec_b64 s[30:31], vcc
	s_cbranch_execz .LBB388_1427
; %bb.1426:                             ;   in Loop: Header=BB388_1330 Depth=1
	v_and_b32_e32 v5, 7, v8
	v_ffbh_u32_e32 v26, v5
	v_min_u32_e32 v28, 32, v26
	v_subrev_u32_e32 v26, 28, v28
	v_lshlrev_b64 v[26:27], v26, v[8:9]
	v_lshrrev_b32_e32 v25, 3, v15
	v_sub_u32_e32 v27, 29, v28
	v_and_b32_e32 v26, 7, v26
	v_cmp_gt_u32_e32 vcc, 8, v15
	v_cndmask_b32_e32 v15, v25, v27, vcc
	v_cndmask_b32_e32 v5, v5, v26, vcc
	v_lshlrev_b32_e32 v8, 24, v8
	v_lshlrev_b32_e32 v5, 20, v5
	v_and_b32_e32 v8, 0x80000000, v8
	v_lshl_add_u32 v15, v15, 23, v61
	v_or3_b32 v5, v8, v15, v5
.LBB388_1427:                           ;   in Loop: Header=BB388_1330 Depth=1
	s_or_b64 exec, exec, s[30:31]
.LBB388_1428:                           ;   in Loop: Header=BB388_1330 Depth=1
	s_or_b64 exec, exec, s[28:29]
.LBB388_1429:                           ;   in Loop: Header=BB388_1330 Depth=1
	s_or_b64 exec, exec, s[8:9]
	v_mul_f32_e32 v5, v9, v5
	v_and_b32_e32 v8, 0x7f800000, v5
	v_cmp_ne_u32_e32 vcc, s15, v8
                                        ; implicit-def: $vgpr25
	s_and_saveexec_b64 s[8:9], vcc
	s_xor_b64 s[8:9], exec, s[8:9]
; %bb.1430:                             ;   in Loop: Header=BB388_1330 Depth=1
	v_bfe_u32 v8, v5, 16, 1
	v_add3_u32 v25, v5, v8, s36
                                        ; implicit-def: $vgpr5
; %bb.1431:                             ;   in Loop: Header=BB388_1330 Depth=1
	s_andn2_saveexec_b64 s[8:9], s[8:9]
; %bb.1432:                             ;   in Loop: Header=BB388_1330 Depth=1
	v_or_b32_e32 v8, 0x10000, v5
	v_cmp_eq_u32_sdwa vcc, v5, v31 src0_sel:WORD_0 src1_sel:DWORD
	v_cndmask_b32_e32 v25, v8, v5, vcc
; %bb.1433:                             ;   in Loop: Header=BB388_1330 Depth=1
	s_or_b64 exec, exec, s[8:9]
	v_cmp_lt_u64_e32 vcc, s[16:17], v[6:7]
	v_mov_b32_e32 v5, 0
	s_and_saveexec_b64 s[8:9], vcc
	s_cbranch_execz .LBB388_1439
; %bb.1434:                             ;   in Loop: Header=BB388_1330 Depth=1
	v_lshrrev_b32_e32 v6, 24, v7
	v_cmp_ne_u32_e32 vcc, s37, v6
	v_bfrev_b32_e32 v5, 1
	s_and_saveexec_b64 s[28:29], vcc
	s_cbranch_execz .LBB388_1438
; %bb.1435:                             ;   in Loop: Header=BB388_1330 Depth=1
	v_bfe_u32 v7, v7, 24, 7
	v_cmp_ne_u32_e32 vcc, s38, v7
	v_mov_b32_e32 v5, 0x7f800001
	s_and_saveexec_b64 s[30:31], vcc
	s_cbranch_execz .LBB388_1437
; %bb.1436:                             ;   in Loop: Header=BB388_1330 Depth=1
	v_and_b32_e32 v5, 7, v6
	v_ffbh_u32_e32 v15, v5
	v_min_u32_e32 v15, 32, v15
	v_subrev_u32_e32 v26, 28, v15
	v_lshlrev_b64 v[26:27], v26, v[6:7]
	v_lshrrev_b32_e32 v8, 3, v7
	v_sub_u32_e32 v15, 29, v15
	v_and_b32_e32 v26, 7, v26
	v_cmp_gt_u32_e32 vcc, 8, v7
	v_cndmask_b32_e32 v7, v8, v15, vcc
	v_cndmask_b32_e32 v5, v5, v26, vcc
	v_lshlrev_b32_e32 v6, 24, v6
	v_lshlrev_b32_e32 v5, 20, v5
	v_and_b32_e32 v6, 0x80000000, v6
	v_lshl_add_u32 v7, v7, 23, v61
	v_or3_b32 v5, v6, v7, v5
.LBB388_1437:                           ;   in Loop: Header=BB388_1330 Depth=1
	s_or_b64 exec, exec, s[30:31]
.LBB388_1438:                           ;   in Loop: Header=BB388_1330 Depth=1
	s_or_b64 exec, exec, s[28:29]
.LBB388_1439:                           ;   in Loop: Header=BB388_1330 Depth=1
	s_or_b64 exec, exec, s[8:9]
	v_mul_f32_e32 v5, v9, v5
	v_and_b32_e32 v6, 0x7f800000, v5
	v_cmp_ne_u32_e32 vcc, s15, v6
                                        ; implicit-def: $vgpr6
	s_and_saveexec_b64 s[8:9], vcc
	s_xor_b64 s[8:9], exec, s[8:9]
; %bb.1440:                             ;   in Loop: Header=BB388_1330 Depth=1
	v_bfe_u32 v6, v5, 16, 1
	v_add3_u32 v6, v5, v6, s36
                                        ; implicit-def: $vgpr5
; %bb.1441:                             ;   in Loop: Header=BB388_1330 Depth=1
	s_andn2_saveexec_b64 s[8:9], s[8:9]
; %bb.1442:                             ;   in Loop: Header=BB388_1330 Depth=1
	v_or_b32_e32 v6, 0x10000, v5
	v_cmp_eq_u32_sdwa vcc, v5, v31 src0_sel:WORD_0 src1_sel:DWORD
	v_cndmask_b32_e32 v6, v6, v5, vcc
; %bb.1443:                             ;   in Loop: Header=BB388_1330 Depth=1
	s_or_b64 exec, exec, s[8:9]
	buffer_load_dword v5, off, s[0:3], s32 offset:500 ; 4-byte Folded Reload
	buffer_load_dword v26, off, s[0:3], s32 offset:208 ; 4-byte Folded Reload
	;; [unrolled: 1-line block ×4, first 2 shown]
	v_lshrrev_b32_e32 v15, 16, v22
	v_lshrrev_b32_e32 v8, 16, v14
	;; [unrolled: 1-line block ×6, first 2 shown]
	s_waitcnt vmcnt(2)
	v_cmp_eq_u32_e32 vcc, v5, v26
	v_accvgpr_read_b32 v5, a13
	s_waitcnt vmcnt(0)
	v_add_u32_e32 v40, v7, v5
	v_add_u32_e32 v22, 1, v40
	v_accvgpr_write_b32 a18, v22
	v_add_u32_e32 v22, 2, v40
	v_accvgpr_write_b32 a63, v22
	;; [unrolled: 2-line block ×5, first 2 shown]
	v_add_u32_e32 v22, 6, v40
	v_lshrrev_b32_e32 v5, 16, v24
	v_lshrrev_b32_e32 v7, 16, v25
	v_accvgpr_write_b32 a59, v22
	v_add_u32_e32 v50, 7, v40
	s_and_saveexec_b64 s[28:29], vcc
	s_cbranch_execz .LBB388_1445
; %bb.1444:                             ;   in Loop: Header=BB388_1330 Depth=1
	buffer_load_dword v22, off, s[0:3], s32 offset:196 ; 4-byte Folded Reload
	v_accvgpr_read_b32 v23, a18
	s_waitcnt vmcnt(0)
	v_cmp_lt_i32_e64 s[8:9], v40, v22
	v_cndmask_b32_e64 v20, 0, v20, s[8:9]
	v_cmp_lt_i32_e64 s[8:9], v23, v22
	v_accvgpr_read_b32 v23, a63
	v_cndmask_b32_e64 v21, 0, v21, s[8:9]
	v_cmp_lt_i32_e64 s[8:9], v23, v22
	v_accvgpr_read_b32 v23, a62
	;; [unrolled: 3-line block ×5, first 2 shown]
	v_cndmask_b32_e64 v8, 0, v8, s[8:9]
	v_cmp_lt_i32_e64 s[8:9], v23, v22
	v_cndmask_b32_e64 v7, 0, v7, s[8:9]
	v_cmp_lt_i32_e64 s[8:9], v50, v22
	v_cndmask_b32_e64 v6, 0, v6, s[8:9]
.LBB388_1445:                           ;   in Loop: Header=BB388_1330 Depth=1
	s_or_b64 exec, exec, s[28:29]
	v_and_b32_e32 v27, 0xffff0000, v19
	v_lshlrev_b32_e32 v19, 16, v20
	v_mul_f32_e32 v19, v27, v19
	v_and_b32_e32 v20, 0x7f800000, v19
	v_cmp_ne_u32_e64 s[8:9], s15, v20
                                        ; implicit-def: $vgpr20
                                        ; kill: killed $vgpr20
	s_and_saveexec_b64 s[28:29], s[8:9]
	s_xor_b64 s[8:9], exec, s[28:29]
	s_cbranch_execz .LBB388_1447
; %bb.1446:                             ;   in Loop: Header=BB388_1330 Depth=1
	v_bfe_u32 v20, v19, 16, 1
	v_add3_u32 v19, v19, v20, s36
	buffer_store_dword v19, off, s[0:3], s32 offset:344 ; 4-byte Folded Spill
                                        ; implicit-def: $vgpr19
.LBB388_1447:                           ;   in Loop: Header=BB388_1330 Depth=1
	s_andn2_saveexec_b64 s[28:29], s[8:9]
	s_cbranch_execz .LBB388_1449
; %bb.1448:                             ;   in Loop: Header=BB388_1330 Depth=1
	v_or_b32_e32 v20, 0x10000, v19
	v_cmp_eq_u32_sdwa s[8:9], v19, v31 src0_sel:WORD_0 src1_sel:DWORD
	v_cndmask_b32_e64 v19, v20, v19, s[8:9]
	buffer_store_dword v19, off, s[0:3], s32 offset:344 ; 4-byte Folded Spill
.LBB388_1449:                           ;   in Loop: Header=BB388_1330 Depth=1
	s_or_b64 exec, exec, s[28:29]
	v_and_b32_e32 v23, 0xffff0000, v18
	v_lshlrev_b32_e32 v18, 16, v21
	v_mul_f32_e32 v18, v23, v18
	v_and_b32_e32 v19, 0x7f800000, v18
	v_cmp_ne_u32_e64 s[8:9], s15, v19
                                        ; implicit-def: $vgpr19
                                        ; kill: killed $vgpr19
	s_and_saveexec_b64 s[28:29], s[8:9]
	s_xor_b64 s[8:9], exec, s[28:29]
	s_cbranch_execz .LBB388_1451
; %bb.1450:                             ;   in Loop: Header=BB388_1330 Depth=1
	v_bfe_u32 v19, v18, 16, 1
	v_add3_u32 v18, v18, v19, s36
	buffer_store_dword v18, off, s[0:3], s32 offset:360 ; 4-byte Folded Spill
                                        ; implicit-def: $vgpr18
.LBB388_1451:                           ;   in Loop: Header=BB388_1330 Depth=1
	s_andn2_saveexec_b64 s[28:29], s[8:9]
	s_cbranch_execz .LBB388_1453
; %bb.1452:                             ;   in Loop: Header=BB388_1330 Depth=1
	v_or_b32_e32 v19, 0x10000, v18
	v_cmp_eq_u32_sdwa s[8:9], v18, v31 src0_sel:WORD_0 src1_sel:DWORD
	v_cndmask_b32_e64 v18, v19, v18, s[8:9]
	buffer_store_dword v18, off, s[0:3], s32 offset:360 ; 4-byte Folded Spill
.LBB388_1453:                           ;   in Loop: Header=BB388_1330 Depth=1
	s_or_b64 exec, exec, s[28:29]
	v_and_b32_e32 v55, 0xffff0000, v17
	v_lshlrev_b32_e32 v15, 16, v15
	v_mul_f32_e32 v15, v55, v15
	v_and_b32_e32 v17, 0x7f800000, v15
	v_cmp_ne_u32_e64 s[8:9], s15, v17
                                        ; implicit-def: $vgpr17
                                        ; kill: killed $vgpr17
	s_and_saveexec_b64 s[28:29], s[8:9]
	s_xor_b64 s[8:9], exec, s[28:29]
	s_cbranch_execz .LBB388_1455
; %bb.1454:                             ;   in Loop: Header=BB388_1330 Depth=1
	v_bfe_u32 v17, v15, 16, 1
	v_add3_u32 v15, v15, v17, s36
	buffer_store_dword v15, off, s[0:3], s32 offset:376 ; 4-byte Folded Spill
                                        ; implicit-def: $vgpr15
.LBB388_1455:                           ;   in Loop: Header=BB388_1330 Depth=1
	s_andn2_saveexec_b64 s[28:29], s[8:9]
	s_cbranch_execz .LBB388_1457
; %bb.1456:                             ;   in Loop: Header=BB388_1330 Depth=1
	v_or_b32_e32 v17, 0x10000, v15
	v_cmp_eq_u32_sdwa s[8:9], v15, v31 src0_sel:WORD_0 src1_sel:DWORD
	v_cndmask_b32_e64 v15, v17, v15, s[8:9]
	buffer_store_dword v15, off, s[0:3], s32 offset:376 ; 4-byte Folded Spill
.LBB388_1457:                           ;   in Loop: Header=BB388_1330 Depth=1
	s_or_b64 exec, exec, s[28:29]
	v_and_b32_e32 v48, 0xffff0000, v16
	v_lshlrev_b32_e32 v14, 16, v14
	v_mul_f32_e32 v14, v48, v14
	v_and_b32_e32 v15, 0x7f800000, v14
	v_cmp_ne_u32_e64 s[8:9], s15, v15
                                        ; implicit-def: $vgpr15
                                        ; kill: killed $vgpr15
	s_and_saveexec_b64 s[28:29], s[8:9]
	s_xor_b64 s[8:9], exec, s[28:29]
	s_cbranch_execz .LBB388_1459
; %bb.1458:                             ;   in Loop: Header=BB388_1330 Depth=1
	v_bfe_u32 v15, v14, 16, 1
	v_add3_u32 v14, v14, v15, s36
	buffer_store_dword v14, off, s[0:3], s32 offset:380 ; 4-byte Folded Spill
                                        ; implicit-def: $vgpr14
.LBB388_1459:                           ;   in Loop: Header=BB388_1330 Depth=1
	s_andn2_saveexec_b64 s[28:29], s[8:9]
	s_cbranch_execz .LBB388_1461
; %bb.1460:                             ;   in Loop: Header=BB388_1330 Depth=1
	v_or_b32_e32 v15, 0x10000, v14
	v_cmp_eq_u32_sdwa s[8:9], v14, v31 src0_sel:WORD_0 src1_sel:DWORD
	v_cndmask_b32_e64 v14, v15, v14, s[8:9]
	buffer_store_dword v14, off, s[0:3], s32 offset:380 ; 4-byte Folded Spill
.LBB388_1461:                           ;   in Loop: Header=BB388_1330 Depth=1
	s_or_b64 exec, exec, s[28:29]
	v_and_b32_e32 v62, 0xffff0000, v13
	v_lshlrev_b32_e32 v5, 16, v5
	v_mul_f32_e32 v5, v62, v5
	v_and_b32_e32 v13, 0x7f800000, v5
	v_cmp_ne_u32_e64 s[8:9], s15, v13
                                        ; implicit-def: $vgpr13
                                        ; kill: killed $vgpr13
	s_and_saveexec_b64 s[28:29], s[8:9]
	s_xor_b64 s[8:9], exec, s[28:29]
	s_cbranch_execz .LBB388_1463
; %bb.1462:                             ;   in Loop: Header=BB388_1330 Depth=1
	v_bfe_u32 v13, v5, 16, 1
	v_add3_u32 v5, v5, v13, s36
	buffer_store_dword v5, off, s[0:3], s32 offset:384 ; 4-byte Folded Spill
                                        ; implicit-def: $vgpr5
.LBB388_1463:                           ;   in Loop: Header=BB388_1330 Depth=1
	s_andn2_saveexec_b64 s[28:29], s[8:9]
	s_cbranch_execz .LBB388_1465
; %bb.1464:                             ;   in Loop: Header=BB388_1330 Depth=1
	v_or_b32_e32 v13, 0x10000, v5
	v_cmp_eq_u32_sdwa s[8:9], v5, v31 src0_sel:WORD_0 src1_sel:DWORD
	v_cndmask_b32_e64 v5, v13, v5, s[8:9]
	buffer_store_dword v5, off, s[0:3], s32 offset:384 ; 4-byte Folded Spill
.LBB388_1465:                           ;   in Loop: Header=BB388_1330 Depth=1
	s_or_b64 exec, exec, s[28:29]
	v_and_b32_e32 v5, 0xffff0000, v12
	v_lshlrev_b32_e32 v8, 16, v8
	v_mul_f32_e32 v8, v5, v8
	v_and_b32_e32 v12, 0x7f800000, v8
	v_cmp_ne_u32_e64 s[8:9], s15, v12
                                        ; implicit-def: $vgpr12
                                        ; kill: killed $vgpr12
	s_and_saveexec_b64 s[28:29], s[8:9]
	s_xor_b64 s[8:9], exec, s[28:29]
	s_cbranch_execz .LBB388_1467
; %bb.1466:                             ;   in Loop: Header=BB388_1330 Depth=1
	v_bfe_u32 v12, v8, 16, 1
	v_add3_u32 v8, v8, v12, s36
	buffer_store_dword v8, off, s[0:3], s32 offset:388 ; 4-byte Folded Spill
                                        ; implicit-def: $vgpr8
.LBB388_1467:                           ;   in Loop: Header=BB388_1330 Depth=1
	s_andn2_saveexec_b64 s[28:29], s[8:9]
	s_cbranch_execz .LBB388_1469
; %bb.1468:                             ;   in Loop: Header=BB388_1330 Depth=1
	v_or_b32_e32 v12, 0x10000, v8
	v_cmp_eq_u32_sdwa s[8:9], v8, v31 src0_sel:WORD_0 src1_sel:DWORD
	v_cndmask_b32_e64 v8, v12, v8, s[8:9]
	buffer_store_dword v8, off, s[0:3], s32 offset:388 ; 4-byte Folded Spill
.LBB388_1469:                           ;   in Loop: Header=BB388_1330 Depth=1
	s_or_b64 exec, exec, s[28:29]
	v_and_b32_e32 v10, 0xffff0000, v10
	v_lshlrev_b32_e32 v7, 16, v7
	v_mul_f32_e32 v7, v10, v7
	v_and_b32_e32 v8, 0x7f800000, v7
	v_cmp_ne_u32_e64 s[8:9], s15, v8
                                        ; implicit-def: $vgpr8
                                        ; kill: killed $vgpr8
	s_and_saveexec_b64 s[28:29], s[8:9]
	s_xor_b64 s[8:9], exec, s[28:29]
	s_cbranch_execz .LBB388_1471
; %bb.1470:                             ;   in Loop: Header=BB388_1330 Depth=1
	v_bfe_u32 v8, v7, 16, 1
	v_add3_u32 v7, v7, v8, s36
	buffer_store_dword v7, off, s[0:3], s32 offset:392 ; 4-byte Folded Spill
                                        ; implicit-def: $vgpr7
.LBB388_1471:                           ;   in Loop: Header=BB388_1330 Depth=1
	s_andn2_saveexec_b64 s[28:29], s[8:9]
	s_cbranch_execz .LBB388_1473
; %bb.1472:                             ;   in Loop: Header=BB388_1330 Depth=1
	v_or_b32_e32 v8, 0x10000, v7
	v_cmp_eq_u32_sdwa s[8:9], v7, v31 src0_sel:WORD_0 src1_sel:DWORD
	v_cndmask_b32_e64 v7, v8, v7, s[8:9]
	buffer_store_dword v7, off, s[0:3], s32 offset:392 ; 4-byte Folded Spill
.LBB388_1473:                           ;   in Loop: Header=BB388_1330 Depth=1
	s_or_b64 exec, exec, s[28:29]
	v_and_b32_e32 v11, 0xffff0000, v11
	v_lshlrev_b32_e32 v6, 16, v6
	v_mul_f32_e32 v6, v11, v6
	v_and_b32_e32 v7, 0x7f800000, v6
	v_cmp_ne_u32_e64 s[8:9], s15, v7
                                        ; implicit-def: $vgpr7
                                        ; kill: killed $vgpr7
	s_and_saveexec_b64 s[28:29], s[8:9]
	s_xor_b64 s[8:9], exec, s[28:29]
	s_cbranch_execz .LBB388_1475
; %bb.1474:                             ;   in Loop: Header=BB388_1330 Depth=1
	v_bfe_u32 v7, v6, 16, 1
	v_add3_u32 v6, v6, v7, s36
	buffer_store_dword v6, off, s[0:3], s32 offset:396 ; 4-byte Folded Spill
                                        ; implicit-def: $vgpr6
.LBB388_1475:                           ;   in Loop: Header=BB388_1330 Depth=1
	s_andn2_saveexec_b64 s[28:29], s[8:9]
	s_cbranch_execz .LBB388_1477
; %bb.1476:                             ;   in Loop: Header=BB388_1330 Depth=1
	v_or_b32_e32 v7, 0x10000, v6
	v_cmp_eq_u32_sdwa s[8:9], v6, v31 src0_sel:WORD_0 src1_sel:DWORD
	v_cndmask_b32_e64 v6, v7, v6, s[8:9]
	buffer_store_dword v6, off, s[0:3], s32 offset:396 ; 4-byte Folded Spill
.LBB388_1477:                           ;   in Loop: Header=BB388_1330 Depth=1
	s_or_b64 exec, exec, s[28:29]
	flat_load_dwordx2 v[6:7], v[2:3] offset:512
	v_mov_b32_e32 v8, 0
	s_waitcnt vmcnt(0) lgkmcnt(0)
	v_cmp_ne_u16_sdwa s[8:9], v6, v31 src0_sel:BYTE_0 src1_sel:DWORD
	s_and_saveexec_b64 s[28:29], s[8:9]
	s_cbranch_execz .LBB388_1483
; %bb.1478:                             ;   in Loop: Header=BB388_1330 Depth=1
	v_cmp_ne_u16_sdwa s[8:9], v6, s37 src0_sel:BYTE_0 src1_sel:DWORD
	v_bfrev_b32_e32 v8, 1
	s_and_saveexec_b64 s[30:31], s[8:9]
	s_cbranch_execz .LBB388_1482
; %bb.1479:                             ;   in Loop: Header=BB388_1330 Depth=1
	v_and_b32_e32 v12, 0x7f, v6
	v_cmp_ne_u32_e64 s[8:9], s38, v12
	v_mov_b32_e32 v8, 0x7f800001
	s_and_saveexec_b64 s[34:35], s[8:9]
	s_cbranch_execz .LBB388_1481
; %bb.1480:                             ;   in Loop: Header=BB388_1330 Depth=1
	v_and_b32_e32 v8, 7, v6
	v_ffbh_u32_e32 v8, v8
	v_min_u32_e32 v8, 32, v8
	v_subrev_u32_e32 v14, 28, v8
	v_cmp_gt_u32_e64 s[8:9], 8, v12
	v_lshrrev_b32_e32 v13, 3, v12
	v_sub_u32_e32 v8, 29, v8
	v_cndmask_b32_e64 v12, 0, v14, s[8:9]
	v_cndmask_b32_e64 v8, v13, v8, s[8:9]
	v_lshlrev_b64 v[12:13], v12, v[6:7]
	v_lshlrev_b32_e32 v12, 20, v12
	v_lshlrev_b32_e32 v13, 24, v6
	v_and_b32_e32 v12, 0x700000, v12
	v_and_b32_e32 v13, 0x80000000, v13
	v_lshl_add_u32 v8, v8, 23, v61
	v_or3_b32 v8, v13, v8, v12
.LBB388_1481:                           ;   in Loop: Header=BB388_1330 Depth=1
	s_or_b64 exec, exec, s[34:35]
.LBB388_1482:                           ;   in Loop: Header=BB388_1330 Depth=1
	s_or_b64 exec, exec, s[30:31]
.LBB388_1483:                           ;   in Loop: Header=BB388_1330 Depth=1
	s_or_b64 exec, exec, s[28:29]
	v_mul_f32_e32 v8, v9, v8
	v_and_b32_e32 v12, 0x7f800000, v8
	v_cmp_ne_u32_e64 s[8:9], s15, v12
                                        ; implicit-def: $vgpr12
	s_and_saveexec_b64 s[28:29], s[8:9]
	s_xor_b64 s[8:9], exec, s[28:29]
; %bb.1484:                             ;   in Loop: Header=BB388_1330 Depth=1
	v_bfe_u32 v12, v8, 16, 1
	v_add3_u32 v12, v8, v12, s36
                                        ; implicit-def: $vgpr8
; %bb.1485:                             ;   in Loop: Header=BB388_1330 Depth=1
	s_andn2_saveexec_b64 s[28:29], s[8:9]
; %bb.1486:                             ;   in Loop: Header=BB388_1330 Depth=1
	v_or_b32_e32 v12, 0x10000, v8
	v_cmp_eq_u32_sdwa s[8:9], v8, v31 src0_sel:WORD_0 src1_sel:DWORD
	v_cndmask_b32_e64 v12, v12, v8, s[8:9]
; %bb.1487:                             ;   in Loop: Header=BB388_1330 Depth=1
	s_or_b64 exec, exec, s[28:29]
	v_lshrrev_b16_e32 v8, 8, v6
	v_cmp_ne_u16_e64 s[8:9], 0, v8
	v_mov_b32_e32 v13, 0
	s_and_saveexec_b64 s[28:29], s[8:9]
	s_cbranch_execz .LBB388_1493
; %bb.1488:                             ;   in Loop: Header=BB388_1330 Depth=1
	v_cmp_ne_u16_e64 s[8:9], s37, v8
	v_bfrev_b32_e32 v13, 1
	s_and_saveexec_b64 s[30:31], s[8:9]
	s_cbranch_execz .LBB388_1492
; %bb.1489:                             ;   in Loop: Header=BB388_1330 Depth=1
	v_and_b32_e32 v14, 0x7f, v8
	v_cmp_ne_u32_e64 s[8:9], s38, v14
	v_mov_b32_e32 v13, 0x7f800001
	s_and_saveexec_b64 s[34:35], s[8:9]
	s_cbranch_execz .LBB388_1491
; %bb.1490:                             ;   in Loop: Header=BB388_1330 Depth=1
	v_and_b32_e32 v13, 7, v8
	v_ffbh_u32_e32 v16, v13
	v_min_u32_e32 v18, 32, v16
	v_subrev_u32_e32 v16, 28, v18
	v_lshlrev_b64 v[16:17], v16, v[8:9]
	v_lshrrev_b32_e32 v15, 3, v14
	v_sub_u32_e32 v8, 29, v18
	v_and_b32_e32 v16, 7, v16
	v_cmp_gt_u32_e64 s[8:9], 8, v14
	v_cndmask_b32_e64 v8, v15, v8, s[8:9]
	v_cndmask_b32_e64 v13, v13, v16, s[8:9]
	v_lshlrev_b32_e32 v14, 16, v6
	v_lshlrev_b32_e32 v13, 20, v13
	v_and_b32_e32 v14, 0x80000000, v14
	v_lshl_add_u32 v8, v8, 23, v61
	v_or3_b32 v13, v14, v8, v13
.LBB388_1491:                           ;   in Loop: Header=BB388_1330 Depth=1
	s_or_b64 exec, exec, s[34:35]
.LBB388_1492:                           ;   in Loop: Header=BB388_1330 Depth=1
	s_or_b64 exec, exec, s[30:31]
.LBB388_1493:                           ;   in Loop: Header=BB388_1330 Depth=1
	s_or_b64 exec, exec, s[28:29]
	v_mul_f32_e32 v8, v9, v13
	v_and_b32_e32 v13, 0x7f800000, v8
	v_cmp_ne_u32_e64 s[8:9], s15, v13
                                        ; implicit-def: $vgpr13
	s_and_saveexec_b64 s[28:29], s[8:9]
	s_xor_b64 s[8:9], exec, s[28:29]
; %bb.1494:                             ;   in Loop: Header=BB388_1330 Depth=1
	v_bfe_u32 v13, v8, 16, 1
	v_add3_u32 v13, v8, v13, s36
                                        ; implicit-def: $vgpr8
; %bb.1495:                             ;   in Loop: Header=BB388_1330 Depth=1
	s_andn2_saveexec_b64 s[28:29], s[8:9]
; %bb.1496:                             ;   in Loop: Header=BB388_1330 Depth=1
	v_or_b32_e32 v13, 0x10000, v8
	v_cmp_eq_u32_sdwa s[8:9], v8, v31 src0_sel:WORD_0 src1_sel:DWORD
	v_cndmask_b32_e64 v13, v13, v8, s[8:9]
; %bb.1497:                             ;   in Loop: Header=BB388_1330 Depth=1
	s_or_b64 exec, exec, s[28:29]
	v_lshrrev_b32_e32 v8, 16, v6
	v_cmp_ne_u16_sdwa s[8:9], v8, v31 src0_sel:BYTE_0 src1_sel:DWORD
	v_mov_b32_e32 v14, 0
	s_and_saveexec_b64 s[28:29], s[8:9]
	s_cbranch_execz .LBB388_1503
; %bb.1498:                             ;   in Loop: Header=BB388_1330 Depth=1
	v_cmp_ne_u16_sdwa s[8:9], v8, s37 src0_sel:BYTE_0 src1_sel:DWORD
	v_bfrev_b32_e32 v14, 1
	s_and_saveexec_b64 s[30:31], s[8:9]
	s_cbranch_execz .LBB388_1502
; %bb.1499:                             ;   in Loop: Header=BB388_1330 Depth=1
	v_bfe_u32 v15, v6, 16, 7
	v_cmp_ne_u32_e64 s[8:9], s38, v15
	v_mov_b32_e32 v14, 0x7f800001
	s_and_saveexec_b64 s[34:35], s[8:9]
	s_cbranch_execz .LBB388_1501
; %bb.1500:                             ;   in Loop: Header=BB388_1330 Depth=1
	v_and_b32_e32 v14, 7, v8
	v_ffbh_u32_e32 v16, v14
	v_min_u32_e32 v19, 32, v16
	v_subrev_u32_e32 v16, 28, v19
	v_lshlrev_b64 v[16:17], v16, v[8:9]
	v_lshrrev_b32_e32 v18, 3, v15
	v_sub_u32_e32 v17, 29, v19
	v_and_b32_e32 v16, 7, v16
	v_cmp_gt_u32_e64 s[8:9], 8, v15
	v_cndmask_b32_e64 v15, v18, v17, s[8:9]
	v_cndmask_b32_e64 v14, v14, v16, s[8:9]
	v_lshlrev_b32_e32 v8, 24, v8
	v_lshlrev_b32_e32 v14, 20, v14
	v_and_b32_e32 v8, 0x80000000, v8
	v_lshl_add_u32 v15, v15, 23, v61
	v_or3_b32 v14, v8, v15, v14
.LBB388_1501:                           ;   in Loop: Header=BB388_1330 Depth=1
	s_or_b64 exec, exec, s[34:35]
.LBB388_1502:                           ;   in Loop: Header=BB388_1330 Depth=1
	s_or_b64 exec, exec, s[30:31]
.LBB388_1503:                           ;   in Loop: Header=BB388_1330 Depth=1
	s_or_b64 exec, exec, s[28:29]
	v_mul_f32_e32 v8, v9, v14
	v_and_b32_e32 v14, 0x7f800000, v8
	v_cmp_ne_u32_e64 s[8:9], s15, v14
                                        ; implicit-def: $vgpr16
	s_and_saveexec_b64 s[28:29], s[8:9]
	s_xor_b64 s[8:9], exec, s[28:29]
; %bb.1504:                             ;   in Loop: Header=BB388_1330 Depth=1
	v_bfe_u32 v14, v8, 16, 1
	v_add3_u32 v16, v8, v14, s36
                                        ; implicit-def: $vgpr8
; %bb.1505:                             ;   in Loop: Header=BB388_1330 Depth=1
	s_andn2_saveexec_b64 s[28:29], s[8:9]
; %bb.1506:                             ;   in Loop: Header=BB388_1330 Depth=1
	v_or_b32_e32 v14, 0x10000, v8
	v_cmp_eq_u32_sdwa s[8:9], v8, v31 src0_sel:WORD_0 src1_sel:DWORD
	v_cndmask_b32_e64 v16, v14, v8, s[8:9]
; %bb.1507:                             ;   in Loop: Header=BB388_1330 Depth=1
	s_or_b64 exec, exec, s[28:29]
	v_cmp_lt_u32_e64 s[8:9], s17, v6
	v_mov_b32_e32 v14, 0
	s_and_saveexec_b64 s[28:29], s[8:9]
	s_cbranch_execz .LBB388_1513
; %bb.1508:                             ;   in Loop: Header=BB388_1330 Depth=1
	v_lshrrev_b32_e32 v8, 24, v6
	v_cmp_ne_u32_e64 s[8:9], s37, v8
	v_bfrev_b32_e32 v14, 1
	s_and_saveexec_b64 s[30:31], s[8:9]
	s_cbranch_execz .LBB388_1512
; %bb.1509:                             ;   in Loop: Header=BB388_1330 Depth=1
	v_bfe_u32 v15, v6, 24, 7
	v_cmp_ne_u32_e64 s[8:9], s38, v15
	v_mov_b32_e32 v14, 0x7f800001
	s_and_saveexec_b64 s[34:35], s[8:9]
	s_cbranch_execz .LBB388_1511
; %bb.1510:                             ;   in Loop: Header=BB388_1330 Depth=1
	v_and_b32_e32 v14, 7, v8
	v_ffbh_u32_e32 v18, v14
	v_min_u32_e32 v20, 32, v18
	v_subrev_u32_e32 v18, 28, v20
	v_lshlrev_b64 v[18:19], v18, v[8:9]
	v_lshrrev_b32_e32 v17, 3, v15
	v_sub_u32_e32 v19, 29, v20
	v_and_b32_e32 v18, 7, v18
	v_cmp_gt_u32_e64 s[8:9], 8, v15
	v_cndmask_b32_e64 v15, v17, v19, s[8:9]
	v_cndmask_b32_e64 v14, v14, v18, s[8:9]
	v_lshlrev_b32_e32 v8, 24, v8
	v_lshlrev_b32_e32 v14, 20, v14
	v_and_b32_e32 v8, 0x80000000, v8
	v_lshl_add_u32 v15, v15, 23, v61
	v_or3_b32 v14, v8, v15, v14
.LBB388_1511:                           ;   in Loop: Header=BB388_1330 Depth=1
	s_or_b64 exec, exec, s[34:35]
.LBB388_1512:                           ;   in Loop: Header=BB388_1330 Depth=1
	s_or_b64 exec, exec, s[30:31]
.LBB388_1513:                           ;   in Loop: Header=BB388_1330 Depth=1
	s_or_b64 exec, exec, s[28:29]
	v_mul_f32_e32 v8, v9, v14
	v_and_b32_e32 v14, 0x7f800000, v8
	v_cmp_ne_u32_e64 s[8:9], s15, v14
                                        ; implicit-def: $vgpr17
	s_and_saveexec_b64 s[28:29], s[8:9]
	s_xor_b64 s[8:9], exec, s[28:29]
; %bb.1514:                             ;   in Loop: Header=BB388_1330 Depth=1
	v_bfe_u32 v14, v8, 16, 1
	v_add3_u32 v17, v8, v14, s36
                                        ; implicit-def: $vgpr8
; %bb.1515:                             ;   in Loop: Header=BB388_1330 Depth=1
	s_andn2_saveexec_b64 s[28:29], s[8:9]
; %bb.1516:                             ;   in Loop: Header=BB388_1330 Depth=1
	v_or_b32_e32 v14, 0x10000, v8
	v_cmp_eq_u32_sdwa s[8:9], v8, v31 src0_sel:WORD_0 src1_sel:DWORD
	v_cndmask_b32_e64 v17, v14, v8, s[8:9]
; %bb.1517:                             ;   in Loop: Header=BB388_1330 Depth=1
	s_or_b64 exec, exec, s[28:29]
	v_mov_b32_e32 v30, v7
	v_cmp_ne_u16_sdwa s[8:9], v7, v31 src0_sel:BYTE_0 src1_sel:DWORD
	v_mov_b32_e32 v8, 0
	s_and_saveexec_b64 s[28:29], s[8:9]
	s_cbranch_execz .LBB388_1523
; %bb.1518:                             ;   in Loop: Header=BB388_1330 Depth=1
	v_cmp_ne_u16_sdwa s[8:9], v7, s37 src0_sel:BYTE_0 src1_sel:DWORD
	v_bfrev_b32_e32 v8, 1
	s_and_saveexec_b64 s[30:31], s[8:9]
	s_cbranch_execz .LBB388_1522
; %bb.1519:                             ;   in Loop: Header=BB388_1330 Depth=1
	v_and_b32_e32 v14, 0x7f, v7
	v_cmp_ne_u32_e64 s[8:9], s38, v14
	v_mov_b32_e32 v8, 0x7f800001
	s_and_saveexec_b64 s[34:35], s[8:9]
	s_cbranch_execz .LBB388_1521
; %bb.1520:                             ;   in Loop: Header=BB388_1330 Depth=1
	v_and_b32_e32 v8, 7, v7
	v_ffbh_u32_e32 v8, v8
	v_min_u32_e32 v8, 32, v8
	v_subrev_u32_e32 v18, 28, v8
	v_cmp_gt_u32_e64 s[8:9], 8, v14
	v_lshrrev_b32_e32 v15, 3, v14
	v_sub_u32_e32 v8, 29, v8
	v_cndmask_b32_e64 v14, 0, v18, s[8:9]
	v_cndmask_b32_e64 v8, v15, v8, s[8:9]
	v_lshlrev_b64 v[14:15], v14, v[30:31]
	v_lshlrev_b32_e32 v14, 20, v14
	v_lshlrev_b32_e32 v15, 24, v30
	v_and_b32_e32 v14, 0x700000, v14
	v_and_b32_e32 v15, 0x80000000, v15
	v_lshl_add_u32 v8, v8, 23, v61
	v_or3_b32 v8, v15, v8, v14
.LBB388_1521:                           ;   in Loop: Header=BB388_1330 Depth=1
	s_or_b64 exec, exec, s[34:35]
.LBB388_1522:                           ;   in Loop: Header=BB388_1330 Depth=1
	s_or_b64 exec, exec, s[30:31]
.LBB388_1523:                           ;   in Loop: Header=BB388_1330 Depth=1
	s_or_b64 exec, exec, s[28:29]
	v_mul_f32_e32 v8, v9, v8
	v_and_b32_e32 v14, 0x7f800000, v8
	v_cmp_ne_u32_e64 s[8:9], s15, v14
                                        ; implicit-def: $vgpr18
	s_and_saveexec_b64 s[28:29], s[8:9]
	s_xor_b64 s[8:9], exec, s[28:29]
; %bb.1524:                             ;   in Loop: Header=BB388_1330 Depth=1
	v_bfe_u32 v14, v8, 16, 1
	v_add3_u32 v18, v8, v14, s36
                                        ; implicit-def: $vgpr8
; %bb.1525:                             ;   in Loop: Header=BB388_1330 Depth=1
	s_andn2_saveexec_b64 s[28:29], s[8:9]
; %bb.1526:                             ;   in Loop: Header=BB388_1330 Depth=1
	v_or_b32_e32 v14, 0x10000, v8
	v_cmp_eq_u32_sdwa s[8:9], v8, v31 src0_sel:WORD_0 src1_sel:DWORD
	v_cndmask_b32_e64 v18, v14, v8, s[8:9]
; %bb.1527:                             ;   in Loop: Header=BB388_1330 Depth=1
	s_or_b64 exec, exec, s[28:29]
	v_lshrrev_b16_e32 v8, 8, v30
	v_cmp_ne_u16_e64 s[8:9], 0, v8
	v_mov_b32_e32 v14, 0
	s_and_saveexec_b64 s[28:29], s[8:9]
	s_cbranch_execz .LBB388_1533
; %bb.1528:                             ;   in Loop: Header=BB388_1330 Depth=1
	v_cmp_ne_u16_e64 s[8:9], s37, v8
	v_bfrev_b32_e32 v14, 1
	s_and_saveexec_b64 s[30:31], s[8:9]
	s_cbranch_execz .LBB388_1532
; %bb.1529:                             ;   in Loop: Header=BB388_1330 Depth=1
	v_and_b32_e32 v15, 0x7f, v8
	v_cmp_ne_u32_e64 s[8:9], s38, v15
	v_mov_b32_e32 v14, 0x7f800001
	s_and_saveexec_b64 s[34:35], s[8:9]
	s_cbranch_execz .LBB388_1531
; %bb.1530:                             ;   in Loop: Header=BB388_1330 Depth=1
	v_and_b32_e32 v14, 7, v8
	v_ffbh_u32_e32 v20, v14
	v_min_u32_e32 v22, 32, v20
	v_subrev_u32_e32 v20, 28, v22
	v_lshlrev_b64 v[20:21], v20, v[8:9]
	v_lshrrev_b32_e32 v19, 3, v15
	v_sub_u32_e32 v8, 29, v22
	v_and_b32_e32 v20, 7, v20
	v_cmp_gt_u32_e64 s[8:9], 8, v15
	v_cndmask_b32_e64 v8, v19, v8, s[8:9]
	v_cndmask_b32_e64 v14, v14, v20, s[8:9]
	v_lshlrev_b32_e32 v15, 16, v30
	v_lshlrev_b32_e32 v14, 20, v14
	v_and_b32_e32 v15, 0x80000000, v15
	v_lshl_add_u32 v8, v8, 23, v61
	v_or3_b32 v14, v15, v8, v14
.LBB388_1531:                           ;   in Loop: Header=BB388_1330 Depth=1
	s_or_b64 exec, exec, s[34:35]
.LBB388_1532:                           ;   in Loop: Header=BB388_1330 Depth=1
	s_or_b64 exec, exec, s[30:31]
.LBB388_1533:                           ;   in Loop: Header=BB388_1330 Depth=1
	s_or_b64 exec, exec, s[28:29]
	v_mul_f32_e32 v8, v9, v14
	v_and_b32_e32 v14, 0x7f800000, v8
	v_cmp_ne_u32_e64 s[8:9], s15, v14
                                        ; implicit-def: $vgpr14
	s_and_saveexec_b64 s[28:29], s[8:9]
	s_xor_b64 s[8:9], exec, s[28:29]
; %bb.1534:                             ;   in Loop: Header=BB388_1330 Depth=1
	v_bfe_u32 v14, v8, 16, 1
	v_add3_u32 v14, v8, v14, s36
                                        ; implicit-def: $vgpr8
; %bb.1535:                             ;   in Loop: Header=BB388_1330 Depth=1
	s_andn2_saveexec_b64 s[28:29], s[8:9]
; %bb.1536:                             ;   in Loop: Header=BB388_1330 Depth=1
	v_or_b32_e32 v14, 0x10000, v8
	v_cmp_eq_u32_sdwa s[8:9], v8, v31 src0_sel:WORD_0 src1_sel:DWORD
	v_cndmask_b32_e64 v14, v14, v8, s[8:9]
; %bb.1537:                             ;   in Loop: Header=BB388_1330 Depth=1
	s_or_b64 exec, exec, s[28:29]
	v_lshrrev_b32_e32 v8, 16, v7
	v_cmp_ne_u16_sdwa s[8:9], v8, v31 src0_sel:BYTE_0 src1_sel:DWORD
	v_mov_b32_e32 v15, 0
	s_and_saveexec_b64 s[28:29], s[8:9]
	s_cbranch_execz .LBB388_1543
; %bb.1538:                             ;   in Loop: Header=BB388_1330 Depth=1
	v_cmp_ne_u16_sdwa s[8:9], v8, s37 src0_sel:BYTE_0 src1_sel:DWORD
	v_bfrev_b32_e32 v15, 1
	s_and_saveexec_b64 s[30:31], s[8:9]
	s_cbranch_execz .LBB388_1542
; %bb.1539:                             ;   in Loop: Header=BB388_1330 Depth=1
	v_bfe_u32 v19, v7, 16, 7
	v_cmp_ne_u32_e64 s[8:9], s38, v19
	v_mov_b32_e32 v15, 0x7f800001
	s_and_saveexec_b64 s[34:35], s[8:9]
	s_cbranch_execz .LBB388_1541
; %bb.1540:                             ;   in Loop: Header=BB388_1330 Depth=1
	v_and_b32_e32 v15, 7, v8
	v_ffbh_u32_e32 v20, v15
	v_min_u32_e32 v24, 32, v20
	v_subrev_u32_e32 v20, 28, v24
	v_lshlrev_b64 v[20:21], v20, v[8:9]
	v_lshrrev_b32_e32 v22, 3, v19
	v_sub_u32_e32 v21, 29, v24
	v_and_b32_e32 v20, 7, v20
	v_cmp_gt_u32_e64 s[8:9], 8, v19
	v_cndmask_b32_e64 v19, v22, v21, s[8:9]
	v_cndmask_b32_e64 v15, v15, v20, s[8:9]
	v_lshlrev_b32_e32 v8, 24, v8
	v_lshlrev_b32_e32 v15, 20, v15
	v_and_b32_e32 v8, 0x80000000, v8
	v_lshl_add_u32 v19, v19, 23, v61
	v_or3_b32 v15, v8, v19, v15
.LBB388_1541:                           ;   in Loop: Header=BB388_1330 Depth=1
	s_or_b64 exec, exec, s[34:35]
.LBB388_1542:                           ;   in Loop: Header=BB388_1330 Depth=1
	s_or_b64 exec, exec, s[30:31]
.LBB388_1543:                           ;   in Loop: Header=BB388_1330 Depth=1
	s_or_b64 exec, exec, s[28:29]
	v_mul_f32_e32 v8, v9, v15
	v_and_b32_e32 v15, 0x7f800000, v8
	v_cmp_ne_u32_e64 s[8:9], s15, v15
                                        ; implicit-def: $vgpr19
	s_and_saveexec_b64 s[28:29], s[8:9]
	s_xor_b64 s[8:9], exec, s[28:29]
; %bb.1544:                             ;   in Loop: Header=BB388_1330 Depth=1
	v_bfe_u32 v15, v8, 16, 1
	v_add3_u32 v19, v8, v15, s36
                                        ; implicit-def: $vgpr8
; %bb.1545:                             ;   in Loop: Header=BB388_1330 Depth=1
	s_andn2_saveexec_b64 s[28:29], s[8:9]
; %bb.1546:                             ;   in Loop: Header=BB388_1330 Depth=1
	v_or_b32_e32 v15, 0x10000, v8
	v_cmp_eq_u32_sdwa s[8:9], v8, v31 src0_sel:WORD_0 src1_sel:DWORD
	v_cndmask_b32_e64 v19, v15, v8, s[8:9]
; %bb.1547:                             ;   in Loop: Header=BB388_1330 Depth=1
	s_or_b64 exec, exec, s[28:29]
	v_cmp_lt_u64_e64 s[8:9], s[16:17], v[6:7]
	v_mov_b32_e32 v8, 0
	s_and_saveexec_b64 s[28:29], s[8:9]
	s_cbranch_execz .LBB388_1553
; %bb.1548:                             ;   in Loop: Header=BB388_1330 Depth=1
	v_lshrrev_b32_e32 v6, 24, v7
	v_cmp_ne_u32_e64 s[8:9], s37, v6
	v_bfrev_b32_e32 v8, 1
	s_and_saveexec_b64 s[30:31], s[8:9]
	s_cbranch_execz .LBB388_1552
; %bb.1549:                             ;   in Loop: Header=BB388_1330 Depth=1
	v_bfe_u32 v7, v7, 24, 7
	v_cmp_ne_u32_e64 s[8:9], s38, v7
	v_mov_b32_e32 v8, 0x7f800001
	s_and_saveexec_b64 s[34:35], s[8:9]
	s_cbranch_execz .LBB388_1551
; %bb.1550:                             ;   in Loop: Header=BB388_1330 Depth=1
	v_and_b32_e32 v8, 7, v6
	v_ffbh_u32_e32 v20, v8
	v_min_u32_e32 v22, 32, v20
	v_subrev_u32_e32 v20, 28, v22
	v_lshlrev_b64 v[20:21], v20, v[6:7]
	v_lshrrev_b32_e32 v15, 3, v7
	v_sub_u32_e32 v21, 29, v22
	v_and_b32_e32 v20, 7, v20
	v_cmp_gt_u32_e64 s[8:9], 8, v7
	v_cndmask_b32_e64 v7, v15, v21, s[8:9]
	v_cndmask_b32_e64 v8, v8, v20, s[8:9]
	v_lshlrev_b32_e32 v6, 24, v6
	v_lshlrev_b32_e32 v8, 20, v8
	v_and_b32_e32 v6, 0x80000000, v6
	v_lshl_add_u32 v7, v7, 23, v61
	v_or3_b32 v8, v6, v7, v8
.LBB388_1551:                           ;   in Loop: Header=BB388_1330 Depth=1
	s_or_b64 exec, exec, s[34:35]
.LBB388_1552:                           ;   in Loop: Header=BB388_1330 Depth=1
	s_or_b64 exec, exec, s[30:31]
.LBB388_1553:                           ;   in Loop: Header=BB388_1330 Depth=1
	s_or_b64 exec, exec, s[28:29]
	v_mul_f32_e32 v7, v9, v8
	v_and_b32_e32 v6, 0x7f800000, v7
	v_cmp_ne_u32_e64 s[8:9], s15, v6
                                        ; implicit-def: $vgpr6
	s_and_saveexec_b64 s[28:29], s[8:9]
	s_xor_b64 s[8:9], exec, s[28:29]
; %bb.1554:                             ;   in Loop: Header=BB388_1330 Depth=1
	v_bfe_u32 v6, v7, 16, 1
	v_add3_u32 v6, v7, v6, s36
                                        ; implicit-def: $vgpr7
; %bb.1555:                             ;   in Loop: Header=BB388_1330 Depth=1
	s_andn2_saveexec_b64 s[28:29], s[8:9]
; %bb.1556:                             ;   in Loop: Header=BB388_1330 Depth=1
	v_or_b32_e32 v6, 0x10000, v7
	v_cmp_eq_u32_sdwa s[8:9], v7, v31 src0_sel:WORD_0 src1_sel:DWORD
	v_cndmask_b32_e64 v6, v6, v7, s[8:9]
; %bb.1557:                             ;   in Loop: Header=BB388_1330 Depth=1
	s_or_b64 exec, exec, s[28:29]
	v_lshrrev_b32_e32 v8, 16, v14
	v_lshrrev_b32_e32 v14, 16, v18
	;; [unrolled: 1-line block ×8, first 2 shown]
	s_and_saveexec_b64 s[28:29], vcc
	s_cbranch_execz .LBB388_1559
; %bb.1558:                             ;   in Loop: Header=BB388_1330 Depth=1
	buffer_load_dword v17, off, s[0:3], s32 offset:196 ; 4-byte Folded Reload
	v_accvgpr_read_b32 v18, a18
	s_waitcnt vmcnt(0)
	v_cmp_lt_i32_e64 s[8:9], v40, v17
	v_cndmask_b32_e64 v12, 0, v12, s[8:9]
	v_cmp_lt_i32_e64 s[8:9], v18, v17
	v_accvgpr_read_b32 v18, a63
	v_cndmask_b32_e64 v13, 0, v13, s[8:9]
	v_cmp_lt_i32_e64 s[8:9], v18, v17
	v_accvgpr_read_b32 v18, a62
	;; [unrolled: 3-line block ×5, first 2 shown]
	v_cndmask_b32_e64 v8, 0, v8, s[8:9]
	v_cmp_lt_i32_e64 s[8:9], v18, v17
	v_cndmask_b32_e64 v7, 0, v7, s[8:9]
	v_cmp_lt_i32_e64 s[8:9], v50, v17
	v_cndmask_b32_e64 v6, 0, v6, s[8:9]
.LBB388_1559:                           ;   in Loop: Header=BB388_1330 Depth=1
	s_or_b64 exec, exec, s[28:29]
	v_lshlrev_b32_e32 v12, 16, v12
	v_mul_f32_e32 v12, v27, v12
	v_and_b32_e32 v17, 0x7f800000, v12
	v_cmp_ne_u32_e64 s[8:9], s15, v17
                                        ; implicit-def: $vgpr17
                                        ; kill: killed $vgpr17
	s_and_saveexec_b64 s[28:29], s[8:9]
	s_xor_b64 s[8:9], exec, s[28:29]
	s_cbranch_execz .LBB388_1561
; %bb.1560:                             ;   in Loop: Header=BB388_1330 Depth=1
	v_bfe_u32 v17, v12, 16, 1
	v_add3_u32 v12, v12, v17, s36
	buffer_store_dword v12, off, s[0:3], s32 offset:400 ; 4-byte Folded Spill
                                        ; implicit-def: $vgpr12
.LBB388_1561:                           ;   in Loop: Header=BB388_1330 Depth=1
	s_andn2_saveexec_b64 s[28:29], s[8:9]
	s_cbranch_execz .LBB388_1563
; %bb.1562:                             ;   in Loop: Header=BB388_1330 Depth=1
	v_or_b32_e32 v17, 0x10000, v12
	v_cmp_eq_u32_sdwa s[8:9], v12, v31 src0_sel:WORD_0 src1_sel:DWORD
	v_cndmask_b32_e64 v12, v17, v12, s[8:9]
	buffer_store_dword v12, off, s[0:3], s32 offset:400 ; 4-byte Folded Spill
.LBB388_1563:                           ;   in Loop: Header=BB388_1330 Depth=1
	s_or_b64 exec, exec, s[28:29]
	v_lshlrev_b32_e32 v12, 16, v13
	v_mul_f32_e32 v12, v23, v12
	v_and_b32_e32 v13, 0x7f800000, v12
	v_cmp_ne_u32_e64 s[8:9], s15, v13
                                        ; implicit-def: $vgpr13
                                        ; kill: killed $vgpr13
	s_and_saveexec_b64 s[28:29], s[8:9]
	s_xor_b64 s[8:9], exec, s[28:29]
	s_cbranch_execz .LBB388_1565
; %bb.1564:                             ;   in Loop: Header=BB388_1330 Depth=1
	v_bfe_u32 v13, v12, 16, 1
	v_add3_u32 v12, v12, v13, s36
	buffer_store_dword v12, off, s[0:3], s32 offset:404 ; 4-byte Folded Spill
                                        ; implicit-def: $vgpr12
.LBB388_1565:                           ;   in Loop: Header=BB388_1330 Depth=1
	s_andn2_saveexec_b64 s[28:29], s[8:9]
	s_cbranch_execz .LBB388_1567
; %bb.1566:                             ;   in Loop: Header=BB388_1330 Depth=1
	v_or_b32_e32 v13, 0x10000, v12
	v_cmp_eq_u32_sdwa s[8:9], v12, v31 src0_sel:WORD_0 src1_sel:DWORD
	v_cndmask_b32_e64 v12, v13, v12, s[8:9]
	buffer_store_dword v12, off, s[0:3], s32 offset:404 ; 4-byte Folded Spill
.LBB388_1567:                           ;   in Loop: Header=BB388_1330 Depth=1
	s_or_b64 exec, exec, s[28:29]
	v_lshlrev_b32_e32 v12, 16, v16
	v_mul_f32_e32 v12, v55, v12
	v_and_b32_e32 v13, 0x7f800000, v12
	v_cmp_ne_u32_e64 s[8:9], s15, v13
                                        ; implicit-def: $vgpr13
                                        ; kill: killed $vgpr13
	;; [unrolled: 24-line block ×4, first 2 shown]
	s_and_saveexec_b64 s[28:29], s[8:9]
	s_xor_b64 s[8:9], exec, s[28:29]
	s_cbranch_execz .LBB388_1577
; %bb.1576:                             ;   in Loop: Header=BB388_1330 Depth=1
	v_bfe_u32 v13, v12, 16, 1
	v_add3_u32 v12, v12, v13, s36
	buffer_store_dword v12, off, s[0:3], s32 offset:416 ; 4-byte Folded Spill
                                        ; implicit-def: $vgpr12
.LBB388_1577:                           ;   in Loop: Header=BB388_1330 Depth=1
	s_andn2_saveexec_b64 s[28:29], s[8:9]
	s_cbranch_execz .LBB388_1579
; %bb.1578:                             ;   in Loop: Header=BB388_1330 Depth=1
	v_or_b32_e32 v13, 0x10000, v12
	v_cmp_eq_u32_sdwa s[8:9], v12, v31 src0_sel:WORD_0 src1_sel:DWORD
	v_cndmask_b32_e64 v12, v13, v12, s[8:9]
	buffer_store_dword v12, off, s[0:3], s32 offset:416 ; 4-byte Folded Spill
.LBB388_1579:                           ;   in Loop: Header=BB388_1330 Depth=1
	s_or_b64 exec, exec, s[28:29]
	v_lshlrev_b32_e32 v8, 16, v8
	v_mul_f32_e32 v8, v5, v8
	v_and_b32_e32 v12, 0x7f800000, v8
	v_cmp_ne_u32_e64 s[8:9], s15, v12
                                        ; implicit-def: $vgpr12
                                        ; kill: killed $vgpr12
	s_and_saveexec_b64 s[28:29], s[8:9]
	s_xor_b64 s[8:9], exec, s[28:29]
	s_cbranch_execz .LBB388_1581
; %bb.1580:                             ;   in Loop: Header=BB388_1330 Depth=1
	v_bfe_u32 v12, v8, 16, 1
	v_add3_u32 v8, v8, v12, s36
	buffer_store_dword v8, off, s[0:3], s32 offset:420 ; 4-byte Folded Spill
                                        ; implicit-def: $vgpr8
.LBB388_1581:                           ;   in Loop: Header=BB388_1330 Depth=1
	s_andn2_saveexec_b64 s[28:29], s[8:9]
	s_cbranch_execz .LBB388_1583
; %bb.1582:                             ;   in Loop: Header=BB388_1330 Depth=1
	v_or_b32_e32 v12, 0x10000, v8
	v_cmp_eq_u32_sdwa s[8:9], v8, v31 src0_sel:WORD_0 src1_sel:DWORD
	v_cndmask_b32_e64 v8, v12, v8, s[8:9]
	buffer_store_dword v8, off, s[0:3], s32 offset:420 ; 4-byte Folded Spill
.LBB388_1583:                           ;   in Loop: Header=BB388_1330 Depth=1
	s_or_b64 exec, exec, s[28:29]
	v_lshlrev_b32_e32 v7, 16, v7
	v_mul_f32_e32 v7, v10, v7
	v_and_b32_e32 v8, 0x7f800000, v7
	v_cmp_ne_u32_e64 s[8:9], s15, v8
                                        ; implicit-def: $vgpr8
                                        ; kill: killed $vgpr8
	s_and_saveexec_b64 s[28:29], s[8:9]
	s_xor_b64 s[8:9], exec, s[28:29]
	s_cbranch_execz .LBB388_1585
; %bb.1584:                             ;   in Loop: Header=BB388_1330 Depth=1
	v_bfe_u32 v8, v7, 16, 1
	v_add3_u32 v7, v7, v8, s36
	buffer_store_dword v7, off, s[0:3], s32 offset:424 ; 4-byte Folded Spill
                                        ; implicit-def: $vgpr7
.LBB388_1585:                           ;   in Loop: Header=BB388_1330 Depth=1
	s_andn2_saveexec_b64 s[28:29], s[8:9]
	s_cbranch_execz .LBB388_1587
; %bb.1586:                             ;   in Loop: Header=BB388_1330 Depth=1
	v_or_b32_e32 v8, 0x10000, v7
	v_cmp_eq_u32_sdwa s[8:9], v7, v31 src0_sel:WORD_0 src1_sel:DWORD
	v_cndmask_b32_e64 v7, v8, v7, s[8:9]
	buffer_store_dword v7, off, s[0:3], s32 offset:424 ; 4-byte Folded Spill
.LBB388_1587:                           ;   in Loop: Header=BB388_1330 Depth=1
	s_or_b64 exec, exec, s[28:29]
	v_lshlrev_b32_e32 v6, 16, v6
	v_mul_f32_e32 v6, v11, v6
	v_and_b32_e32 v7, 0x7f800000, v6
	v_cmp_ne_u32_e64 s[8:9], s15, v7
                                        ; implicit-def: $vgpr7
                                        ; kill: killed $vgpr7
	s_and_saveexec_b64 s[28:29], s[8:9]
	s_xor_b64 s[8:9], exec, s[28:29]
	s_cbranch_execz .LBB388_1589
; %bb.1588:                             ;   in Loop: Header=BB388_1330 Depth=1
	v_bfe_u32 v7, v6, 16, 1
	v_add3_u32 v6, v6, v7, s36
	buffer_store_dword v6, off, s[0:3], s32 offset:428 ; 4-byte Folded Spill
                                        ; implicit-def: $vgpr6
.LBB388_1589:                           ;   in Loop: Header=BB388_1330 Depth=1
	s_andn2_saveexec_b64 s[28:29], s[8:9]
	s_cbranch_execz .LBB388_1591
; %bb.1590:                             ;   in Loop: Header=BB388_1330 Depth=1
	v_or_b32_e32 v7, 0x10000, v6
	v_cmp_eq_u32_sdwa s[8:9], v6, v31 src0_sel:WORD_0 src1_sel:DWORD
	v_cndmask_b32_e64 v6, v7, v6, s[8:9]
	buffer_store_dword v6, off, s[0:3], s32 offset:428 ; 4-byte Folded Spill
.LBB388_1591:                           ;   in Loop: Header=BB388_1330 Depth=1
	s_or_b64 exec, exec, s[28:29]
	flat_load_dwordx2 v[6:7], v[2:3] offset:1024
	v_mov_b32_e32 v8, 0
	s_waitcnt vmcnt(0) lgkmcnt(0)
	v_cmp_ne_u16_sdwa s[8:9], v6, v31 src0_sel:BYTE_0 src1_sel:DWORD
	s_and_saveexec_b64 s[28:29], s[8:9]
	s_cbranch_execz .LBB388_1597
; %bb.1592:                             ;   in Loop: Header=BB388_1330 Depth=1
	v_cmp_ne_u16_sdwa s[8:9], v6, s37 src0_sel:BYTE_0 src1_sel:DWORD
	v_bfrev_b32_e32 v8, 1
	s_and_saveexec_b64 s[30:31], s[8:9]
	s_cbranch_execz .LBB388_1596
; %bb.1593:                             ;   in Loop: Header=BB388_1330 Depth=1
	v_and_b32_e32 v12, 0x7f, v6
	v_cmp_ne_u32_e64 s[8:9], s38, v12
	v_mov_b32_e32 v8, 0x7f800001
	s_and_saveexec_b64 s[34:35], s[8:9]
	s_cbranch_execz .LBB388_1595
; %bb.1594:                             ;   in Loop: Header=BB388_1330 Depth=1
	v_and_b32_e32 v8, 7, v6
	v_ffbh_u32_e32 v8, v8
	v_min_u32_e32 v8, 32, v8
	v_subrev_u32_e32 v14, 28, v8
	v_cmp_gt_u32_e64 s[8:9], 8, v12
	v_lshrrev_b32_e32 v13, 3, v12
	v_sub_u32_e32 v8, 29, v8
	v_cndmask_b32_e64 v12, 0, v14, s[8:9]
	v_cndmask_b32_e64 v8, v13, v8, s[8:9]
	v_lshlrev_b64 v[12:13], v12, v[6:7]
	v_lshlrev_b32_e32 v12, 20, v12
	v_lshlrev_b32_e32 v13, 24, v6
	v_and_b32_e32 v12, 0x700000, v12
	v_and_b32_e32 v13, 0x80000000, v13
	v_lshl_add_u32 v8, v8, 23, v61
	v_or3_b32 v8, v13, v8, v12
.LBB388_1595:                           ;   in Loop: Header=BB388_1330 Depth=1
	s_or_b64 exec, exec, s[34:35]
.LBB388_1596:                           ;   in Loop: Header=BB388_1330 Depth=1
	s_or_b64 exec, exec, s[30:31]
.LBB388_1597:                           ;   in Loop: Header=BB388_1330 Depth=1
	s_or_b64 exec, exec, s[28:29]
	v_mul_f32_e32 v8, v9, v8
	v_and_b32_e32 v12, 0x7f800000, v8
	v_cmp_ne_u32_e64 s[8:9], s15, v12
                                        ; implicit-def: $vgpr12
	s_and_saveexec_b64 s[28:29], s[8:9]
	s_xor_b64 s[8:9], exec, s[28:29]
; %bb.1598:                             ;   in Loop: Header=BB388_1330 Depth=1
	v_bfe_u32 v12, v8, 16, 1
	v_add3_u32 v12, v8, v12, s36
                                        ; implicit-def: $vgpr8
; %bb.1599:                             ;   in Loop: Header=BB388_1330 Depth=1
	s_andn2_saveexec_b64 s[28:29], s[8:9]
; %bb.1600:                             ;   in Loop: Header=BB388_1330 Depth=1
	v_or_b32_e32 v12, 0x10000, v8
	v_cmp_eq_u32_sdwa s[8:9], v8, v31 src0_sel:WORD_0 src1_sel:DWORD
	v_cndmask_b32_e64 v12, v12, v8, s[8:9]
; %bb.1601:                             ;   in Loop: Header=BB388_1330 Depth=1
	s_or_b64 exec, exec, s[28:29]
	v_lshrrev_b16_e32 v8, 8, v6
	v_cmp_ne_u16_e64 s[8:9], 0, v8
	v_mov_b32_e32 v13, 0
	s_and_saveexec_b64 s[28:29], s[8:9]
	s_cbranch_execz .LBB388_1607
; %bb.1602:                             ;   in Loop: Header=BB388_1330 Depth=1
	v_cmp_ne_u16_e64 s[8:9], s37, v8
	v_bfrev_b32_e32 v13, 1
	s_and_saveexec_b64 s[30:31], s[8:9]
	s_cbranch_execz .LBB388_1606
; %bb.1603:                             ;   in Loop: Header=BB388_1330 Depth=1
	v_and_b32_e32 v14, 0x7f, v8
	v_cmp_ne_u32_e64 s[8:9], s38, v14
	v_mov_b32_e32 v13, 0x7f800001
	s_and_saveexec_b64 s[34:35], s[8:9]
	s_cbranch_execz .LBB388_1605
; %bb.1604:                             ;   in Loop: Header=BB388_1330 Depth=1
	v_and_b32_e32 v13, 7, v8
	v_ffbh_u32_e32 v16, v13
	v_min_u32_e32 v18, 32, v16
	v_subrev_u32_e32 v16, 28, v18
	v_lshlrev_b64 v[16:17], v16, v[8:9]
	v_lshrrev_b32_e32 v15, 3, v14
	v_sub_u32_e32 v8, 29, v18
	v_and_b32_e32 v16, 7, v16
	v_cmp_gt_u32_e64 s[8:9], 8, v14
	v_cndmask_b32_e64 v8, v15, v8, s[8:9]
	v_cndmask_b32_e64 v13, v13, v16, s[8:9]
	v_lshlrev_b32_e32 v14, 16, v6
	v_lshlrev_b32_e32 v13, 20, v13
	v_and_b32_e32 v14, 0x80000000, v14
	v_lshl_add_u32 v8, v8, 23, v61
	v_or3_b32 v13, v14, v8, v13
.LBB388_1605:                           ;   in Loop: Header=BB388_1330 Depth=1
	s_or_b64 exec, exec, s[34:35]
.LBB388_1606:                           ;   in Loop: Header=BB388_1330 Depth=1
	s_or_b64 exec, exec, s[30:31]
.LBB388_1607:                           ;   in Loop: Header=BB388_1330 Depth=1
	s_or_b64 exec, exec, s[28:29]
	v_mul_f32_e32 v8, v9, v13
	v_and_b32_e32 v13, 0x7f800000, v8
	v_cmp_ne_u32_e64 s[8:9], s15, v13
                                        ; implicit-def: $vgpr13
	s_and_saveexec_b64 s[28:29], s[8:9]
	s_xor_b64 s[8:9], exec, s[28:29]
; %bb.1608:                             ;   in Loop: Header=BB388_1330 Depth=1
	v_bfe_u32 v13, v8, 16, 1
	v_add3_u32 v13, v8, v13, s36
                                        ; implicit-def: $vgpr8
; %bb.1609:                             ;   in Loop: Header=BB388_1330 Depth=1
	s_andn2_saveexec_b64 s[28:29], s[8:9]
; %bb.1610:                             ;   in Loop: Header=BB388_1330 Depth=1
	v_or_b32_e32 v13, 0x10000, v8
	v_cmp_eq_u32_sdwa s[8:9], v8, v31 src0_sel:WORD_0 src1_sel:DWORD
	v_cndmask_b32_e64 v13, v13, v8, s[8:9]
; %bb.1611:                             ;   in Loop: Header=BB388_1330 Depth=1
	s_or_b64 exec, exec, s[28:29]
	v_lshrrev_b32_e32 v8, 16, v6
	v_cmp_ne_u16_sdwa s[8:9], v8, v31 src0_sel:BYTE_0 src1_sel:DWORD
	v_mov_b32_e32 v14, 0
	s_and_saveexec_b64 s[28:29], s[8:9]
	s_cbranch_execz .LBB388_1617
; %bb.1612:                             ;   in Loop: Header=BB388_1330 Depth=1
	v_cmp_ne_u16_sdwa s[8:9], v8, s37 src0_sel:BYTE_0 src1_sel:DWORD
	v_bfrev_b32_e32 v14, 1
	s_and_saveexec_b64 s[30:31], s[8:9]
	s_cbranch_execz .LBB388_1616
; %bb.1613:                             ;   in Loop: Header=BB388_1330 Depth=1
	v_bfe_u32 v15, v6, 16, 7
	v_cmp_ne_u32_e64 s[8:9], s38, v15
	v_mov_b32_e32 v14, 0x7f800001
	s_and_saveexec_b64 s[34:35], s[8:9]
	s_cbranch_execz .LBB388_1615
; %bb.1614:                             ;   in Loop: Header=BB388_1330 Depth=1
	v_and_b32_e32 v14, 7, v8
	v_ffbh_u32_e32 v16, v14
	v_min_u32_e32 v19, 32, v16
	v_subrev_u32_e32 v16, 28, v19
	v_lshlrev_b64 v[16:17], v16, v[8:9]
	v_lshrrev_b32_e32 v18, 3, v15
	v_sub_u32_e32 v17, 29, v19
	v_and_b32_e32 v16, 7, v16
	v_cmp_gt_u32_e64 s[8:9], 8, v15
	v_cndmask_b32_e64 v15, v18, v17, s[8:9]
	v_cndmask_b32_e64 v14, v14, v16, s[8:9]
	v_lshlrev_b32_e32 v8, 24, v8
	v_lshlrev_b32_e32 v14, 20, v14
	v_and_b32_e32 v8, 0x80000000, v8
	v_lshl_add_u32 v15, v15, 23, v61
	v_or3_b32 v14, v8, v15, v14
.LBB388_1615:                           ;   in Loop: Header=BB388_1330 Depth=1
	s_or_b64 exec, exec, s[34:35]
.LBB388_1616:                           ;   in Loop: Header=BB388_1330 Depth=1
	s_or_b64 exec, exec, s[30:31]
.LBB388_1617:                           ;   in Loop: Header=BB388_1330 Depth=1
	s_or_b64 exec, exec, s[28:29]
	v_mul_f32_e32 v8, v9, v14
	v_and_b32_e32 v14, 0x7f800000, v8
	v_cmp_ne_u32_e64 s[8:9], s15, v14
                                        ; implicit-def: $vgpr16
	s_and_saveexec_b64 s[28:29], s[8:9]
	s_xor_b64 s[8:9], exec, s[28:29]
; %bb.1618:                             ;   in Loop: Header=BB388_1330 Depth=1
	v_bfe_u32 v14, v8, 16, 1
	v_add3_u32 v16, v8, v14, s36
                                        ; implicit-def: $vgpr8
; %bb.1619:                             ;   in Loop: Header=BB388_1330 Depth=1
	s_andn2_saveexec_b64 s[28:29], s[8:9]
; %bb.1620:                             ;   in Loop: Header=BB388_1330 Depth=1
	v_or_b32_e32 v14, 0x10000, v8
	v_cmp_eq_u32_sdwa s[8:9], v8, v31 src0_sel:WORD_0 src1_sel:DWORD
	v_cndmask_b32_e64 v16, v14, v8, s[8:9]
; %bb.1621:                             ;   in Loop: Header=BB388_1330 Depth=1
	s_or_b64 exec, exec, s[28:29]
	v_cmp_lt_u32_e64 s[8:9], s17, v6
	v_mov_b32_e32 v14, 0
	s_and_saveexec_b64 s[28:29], s[8:9]
	s_cbranch_execz .LBB388_1627
; %bb.1622:                             ;   in Loop: Header=BB388_1330 Depth=1
	v_lshrrev_b32_e32 v8, 24, v6
	v_cmp_ne_u32_e64 s[8:9], s37, v8
	v_bfrev_b32_e32 v14, 1
	s_and_saveexec_b64 s[30:31], s[8:9]
	s_cbranch_execz .LBB388_1626
; %bb.1623:                             ;   in Loop: Header=BB388_1330 Depth=1
	v_bfe_u32 v15, v6, 24, 7
	v_cmp_ne_u32_e64 s[8:9], s38, v15
	v_mov_b32_e32 v14, 0x7f800001
	s_and_saveexec_b64 s[34:35], s[8:9]
	s_cbranch_execz .LBB388_1625
; %bb.1624:                             ;   in Loop: Header=BB388_1330 Depth=1
	v_and_b32_e32 v14, 7, v8
	v_ffbh_u32_e32 v18, v14
	v_min_u32_e32 v20, 32, v18
	v_subrev_u32_e32 v18, 28, v20
	v_lshlrev_b64 v[18:19], v18, v[8:9]
	v_lshrrev_b32_e32 v17, 3, v15
	v_sub_u32_e32 v19, 29, v20
	v_and_b32_e32 v18, 7, v18
	v_cmp_gt_u32_e64 s[8:9], 8, v15
	v_cndmask_b32_e64 v15, v17, v19, s[8:9]
	v_cndmask_b32_e64 v14, v14, v18, s[8:9]
	v_lshlrev_b32_e32 v8, 24, v8
	v_lshlrev_b32_e32 v14, 20, v14
	v_and_b32_e32 v8, 0x80000000, v8
	v_lshl_add_u32 v15, v15, 23, v61
	v_or3_b32 v14, v8, v15, v14
.LBB388_1625:                           ;   in Loop: Header=BB388_1330 Depth=1
	s_or_b64 exec, exec, s[34:35]
.LBB388_1626:                           ;   in Loop: Header=BB388_1330 Depth=1
	s_or_b64 exec, exec, s[30:31]
.LBB388_1627:                           ;   in Loop: Header=BB388_1330 Depth=1
	s_or_b64 exec, exec, s[28:29]
	v_mul_f32_e32 v8, v9, v14
	v_and_b32_e32 v14, 0x7f800000, v8
	v_cmp_ne_u32_e64 s[8:9], s15, v14
                                        ; implicit-def: $vgpr17
	s_and_saveexec_b64 s[28:29], s[8:9]
	s_xor_b64 s[8:9], exec, s[28:29]
; %bb.1628:                             ;   in Loop: Header=BB388_1330 Depth=1
	v_bfe_u32 v14, v8, 16, 1
	v_add3_u32 v17, v8, v14, s36
                                        ; implicit-def: $vgpr8
; %bb.1629:                             ;   in Loop: Header=BB388_1330 Depth=1
	s_andn2_saveexec_b64 s[28:29], s[8:9]
; %bb.1630:                             ;   in Loop: Header=BB388_1330 Depth=1
	v_or_b32_e32 v14, 0x10000, v8
	v_cmp_eq_u32_sdwa s[8:9], v8, v31 src0_sel:WORD_0 src1_sel:DWORD
	v_cndmask_b32_e64 v17, v14, v8, s[8:9]
; %bb.1631:                             ;   in Loop: Header=BB388_1330 Depth=1
	s_or_b64 exec, exec, s[28:29]
	v_mov_b32_e32 v30, v7
	v_cmp_ne_u16_sdwa s[8:9], v7, v31 src0_sel:BYTE_0 src1_sel:DWORD
	v_mov_b32_e32 v8, 0
	s_and_saveexec_b64 s[28:29], s[8:9]
	s_cbranch_execz .LBB388_1637
; %bb.1632:                             ;   in Loop: Header=BB388_1330 Depth=1
	v_cmp_ne_u16_sdwa s[8:9], v7, s37 src0_sel:BYTE_0 src1_sel:DWORD
	v_bfrev_b32_e32 v8, 1
	s_and_saveexec_b64 s[30:31], s[8:9]
	s_cbranch_execz .LBB388_1636
; %bb.1633:                             ;   in Loop: Header=BB388_1330 Depth=1
	v_and_b32_e32 v14, 0x7f, v7
	v_cmp_ne_u32_e64 s[8:9], s38, v14
	v_mov_b32_e32 v8, 0x7f800001
	s_and_saveexec_b64 s[34:35], s[8:9]
	s_cbranch_execz .LBB388_1635
; %bb.1634:                             ;   in Loop: Header=BB388_1330 Depth=1
	v_and_b32_e32 v8, 7, v7
	v_ffbh_u32_e32 v8, v8
	v_min_u32_e32 v8, 32, v8
	v_subrev_u32_e32 v18, 28, v8
	v_cmp_gt_u32_e64 s[8:9], 8, v14
	v_lshrrev_b32_e32 v15, 3, v14
	v_sub_u32_e32 v8, 29, v8
	v_cndmask_b32_e64 v14, 0, v18, s[8:9]
	v_cndmask_b32_e64 v8, v15, v8, s[8:9]
	v_lshlrev_b64 v[14:15], v14, v[30:31]
	v_lshlrev_b32_e32 v14, 20, v14
	v_lshlrev_b32_e32 v15, 24, v30
	v_and_b32_e32 v14, 0x700000, v14
	v_and_b32_e32 v15, 0x80000000, v15
	v_lshl_add_u32 v8, v8, 23, v61
	v_or3_b32 v8, v15, v8, v14
.LBB388_1635:                           ;   in Loop: Header=BB388_1330 Depth=1
	s_or_b64 exec, exec, s[34:35]
.LBB388_1636:                           ;   in Loop: Header=BB388_1330 Depth=1
	s_or_b64 exec, exec, s[30:31]
.LBB388_1637:                           ;   in Loop: Header=BB388_1330 Depth=1
	s_or_b64 exec, exec, s[28:29]
	v_mul_f32_e32 v8, v9, v8
	v_and_b32_e32 v14, 0x7f800000, v8
	v_cmp_ne_u32_e64 s[8:9], s15, v14
                                        ; implicit-def: $vgpr18
	s_and_saveexec_b64 s[28:29], s[8:9]
	s_xor_b64 s[8:9], exec, s[28:29]
; %bb.1638:                             ;   in Loop: Header=BB388_1330 Depth=1
	v_bfe_u32 v14, v8, 16, 1
	v_add3_u32 v18, v8, v14, s36
                                        ; implicit-def: $vgpr8
; %bb.1639:                             ;   in Loop: Header=BB388_1330 Depth=1
	s_andn2_saveexec_b64 s[28:29], s[8:9]
; %bb.1640:                             ;   in Loop: Header=BB388_1330 Depth=1
	v_or_b32_e32 v14, 0x10000, v8
	v_cmp_eq_u32_sdwa s[8:9], v8, v31 src0_sel:WORD_0 src1_sel:DWORD
	v_cndmask_b32_e64 v18, v14, v8, s[8:9]
; %bb.1641:                             ;   in Loop: Header=BB388_1330 Depth=1
	s_or_b64 exec, exec, s[28:29]
	v_lshrrev_b16_e32 v8, 8, v30
	v_cmp_ne_u16_e64 s[8:9], 0, v8
	v_mov_b32_e32 v14, 0
	s_and_saveexec_b64 s[28:29], s[8:9]
	s_cbranch_execz .LBB388_1647
; %bb.1642:                             ;   in Loop: Header=BB388_1330 Depth=1
	v_cmp_ne_u16_e64 s[8:9], s37, v8
	v_bfrev_b32_e32 v14, 1
	s_and_saveexec_b64 s[30:31], s[8:9]
	s_cbranch_execz .LBB388_1646
; %bb.1643:                             ;   in Loop: Header=BB388_1330 Depth=1
	v_and_b32_e32 v15, 0x7f, v8
	v_cmp_ne_u32_e64 s[8:9], s38, v15
	v_mov_b32_e32 v14, 0x7f800001
	s_and_saveexec_b64 s[34:35], s[8:9]
	s_cbranch_execz .LBB388_1645
; %bb.1644:                             ;   in Loop: Header=BB388_1330 Depth=1
	v_and_b32_e32 v14, 7, v8
	v_ffbh_u32_e32 v20, v14
	v_min_u32_e32 v22, 32, v20
	v_subrev_u32_e32 v20, 28, v22
	v_lshlrev_b64 v[20:21], v20, v[8:9]
	v_lshrrev_b32_e32 v19, 3, v15
	v_sub_u32_e32 v8, 29, v22
	v_and_b32_e32 v20, 7, v20
	v_cmp_gt_u32_e64 s[8:9], 8, v15
	v_cndmask_b32_e64 v8, v19, v8, s[8:9]
	v_cndmask_b32_e64 v14, v14, v20, s[8:9]
	v_lshlrev_b32_e32 v15, 16, v30
	v_lshlrev_b32_e32 v14, 20, v14
	v_and_b32_e32 v15, 0x80000000, v15
	v_lshl_add_u32 v8, v8, 23, v61
	v_or3_b32 v14, v15, v8, v14
.LBB388_1645:                           ;   in Loop: Header=BB388_1330 Depth=1
	s_or_b64 exec, exec, s[34:35]
.LBB388_1646:                           ;   in Loop: Header=BB388_1330 Depth=1
	s_or_b64 exec, exec, s[30:31]
.LBB388_1647:                           ;   in Loop: Header=BB388_1330 Depth=1
	s_or_b64 exec, exec, s[28:29]
	v_mul_f32_e32 v8, v9, v14
	v_and_b32_e32 v14, 0x7f800000, v8
	v_cmp_ne_u32_e64 s[8:9], s15, v14
                                        ; implicit-def: $vgpr14
	s_and_saveexec_b64 s[28:29], s[8:9]
	s_xor_b64 s[8:9], exec, s[28:29]
; %bb.1648:                             ;   in Loop: Header=BB388_1330 Depth=1
	v_bfe_u32 v14, v8, 16, 1
	v_add3_u32 v14, v8, v14, s36
                                        ; implicit-def: $vgpr8
; %bb.1649:                             ;   in Loop: Header=BB388_1330 Depth=1
	s_andn2_saveexec_b64 s[28:29], s[8:9]
; %bb.1650:                             ;   in Loop: Header=BB388_1330 Depth=1
	v_or_b32_e32 v14, 0x10000, v8
	v_cmp_eq_u32_sdwa s[8:9], v8, v31 src0_sel:WORD_0 src1_sel:DWORD
	v_cndmask_b32_e64 v14, v14, v8, s[8:9]
; %bb.1651:                             ;   in Loop: Header=BB388_1330 Depth=1
	s_or_b64 exec, exec, s[28:29]
	v_lshrrev_b32_e32 v8, 16, v7
	v_cmp_ne_u16_sdwa s[8:9], v8, v31 src0_sel:BYTE_0 src1_sel:DWORD
	v_mov_b32_e32 v15, 0
	s_and_saveexec_b64 s[28:29], s[8:9]
	s_cbranch_execz .LBB388_1657
; %bb.1652:                             ;   in Loop: Header=BB388_1330 Depth=1
	v_cmp_ne_u16_sdwa s[8:9], v8, s37 src0_sel:BYTE_0 src1_sel:DWORD
	v_bfrev_b32_e32 v15, 1
	s_and_saveexec_b64 s[30:31], s[8:9]
	s_cbranch_execz .LBB388_1656
; %bb.1653:                             ;   in Loop: Header=BB388_1330 Depth=1
	v_bfe_u32 v19, v7, 16, 7
	v_cmp_ne_u32_e64 s[8:9], s38, v19
	v_mov_b32_e32 v15, 0x7f800001
	s_and_saveexec_b64 s[34:35], s[8:9]
	s_cbranch_execz .LBB388_1655
; %bb.1654:                             ;   in Loop: Header=BB388_1330 Depth=1
	v_and_b32_e32 v15, 7, v8
	v_ffbh_u32_e32 v20, v15
	v_min_u32_e32 v24, 32, v20
	v_subrev_u32_e32 v20, 28, v24
	v_lshlrev_b64 v[20:21], v20, v[8:9]
	v_lshrrev_b32_e32 v22, 3, v19
	v_sub_u32_e32 v21, 29, v24
	v_and_b32_e32 v20, 7, v20
	v_cmp_gt_u32_e64 s[8:9], 8, v19
	v_cndmask_b32_e64 v19, v22, v21, s[8:9]
	v_cndmask_b32_e64 v15, v15, v20, s[8:9]
	v_lshlrev_b32_e32 v8, 24, v8
	v_lshlrev_b32_e32 v15, 20, v15
	v_and_b32_e32 v8, 0x80000000, v8
	v_lshl_add_u32 v19, v19, 23, v61
	v_or3_b32 v15, v8, v19, v15
.LBB388_1655:                           ;   in Loop: Header=BB388_1330 Depth=1
	s_or_b64 exec, exec, s[34:35]
.LBB388_1656:                           ;   in Loop: Header=BB388_1330 Depth=1
	s_or_b64 exec, exec, s[30:31]
.LBB388_1657:                           ;   in Loop: Header=BB388_1330 Depth=1
	s_or_b64 exec, exec, s[28:29]
	v_mul_f32_e32 v8, v9, v15
	v_and_b32_e32 v15, 0x7f800000, v8
	v_cmp_ne_u32_e64 s[8:9], s15, v15
                                        ; implicit-def: $vgpr19
	s_and_saveexec_b64 s[28:29], s[8:9]
	s_xor_b64 s[8:9], exec, s[28:29]
; %bb.1658:                             ;   in Loop: Header=BB388_1330 Depth=1
	v_bfe_u32 v15, v8, 16, 1
	v_add3_u32 v19, v8, v15, s36
                                        ; implicit-def: $vgpr8
; %bb.1659:                             ;   in Loop: Header=BB388_1330 Depth=1
	s_andn2_saveexec_b64 s[28:29], s[8:9]
; %bb.1660:                             ;   in Loop: Header=BB388_1330 Depth=1
	v_or_b32_e32 v15, 0x10000, v8
	v_cmp_eq_u32_sdwa s[8:9], v8, v31 src0_sel:WORD_0 src1_sel:DWORD
	v_cndmask_b32_e64 v19, v15, v8, s[8:9]
; %bb.1661:                             ;   in Loop: Header=BB388_1330 Depth=1
	s_or_b64 exec, exec, s[28:29]
	v_cmp_lt_u64_e64 s[8:9], s[16:17], v[6:7]
	v_mov_b32_e32 v8, 0
	s_and_saveexec_b64 s[28:29], s[8:9]
	s_cbranch_execz .LBB388_1667
; %bb.1662:                             ;   in Loop: Header=BB388_1330 Depth=1
	v_lshrrev_b32_e32 v6, 24, v7
	v_cmp_ne_u32_e64 s[8:9], s37, v6
	v_bfrev_b32_e32 v8, 1
	s_and_saveexec_b64 s[30:31], s[8:9]
	s_cbranch_execz .LBB388_1666
; %bb.1663:                             ;   in Loop: Header=BB388_1330 Depth=1
	v_bfe_u32 v7, v7, 24, 7
	v_cmp_ne_u32_e64 s[8:9], s38, v7
	v_mov_b32_e32 v8, 0x7f800001
	s_and_saveexec_b64 s[34:35], s[8:9]
	s_cbranch_execz .LBB388_1665
; %bb.1664:                             ;   in Loop: Header=BB388_1330 Depth=1
	v_and_b32_e32 v8, 7, v6
	v_ffbh_u32_e32 v20, v8
	v_min_u32_e32 v22, 32, v20
	v_subrev_u32_e32 v20, 28, v22
	v_lshlrev_b64 v[20:21], v20, v[6:7]
	v_lshrrev_b32_e32 v15, 3, v7
	v_sub_u32_e32 v21, 29, v22
	v_and_b32_e32 v20, 7, v20
	v_cmp_gt_u32_e64 s[8:9], 8, v7
	v_cndmask_b32_e64 v7, v15, v21, s[8:9]
	v_cndmask_b32_e64 v8, v8, v20, s[8:9]
	v_lshlrev_b32_e32 v6, 24, v6
	v_lshlrev_b32_e32 v8, 20, v8
	v_and_b32_e32 v6, 0x80000000, v6
	v_lshl_add_u32 v7, v7, 23, v61
	v_or3_b32 v8, v6, v7, v8
.LBB388_1665:                           ;   in Loop: Header=BB388_1330 Depth=1
	s_or_b64 exec, exec, s[34:35]
.LBB388_1666:                           ;   in Loop: Header=BB388_1330 Depth=1
	s_or_b64 exec, exec, s[30:31]
.LBB388_1667:                           ;   in Loop: Header=BB388_1330 Depth=1
	s_or_b64 exec, exec, s[28:29]
	v_mul_f32_e32 v7, v9, v8
	v_and_b32_e32 v6, 0x7f800000, v7
	v_cmp_ne_u32_e64 s[8:9], s15, v6
                                        ; implicit-def: $vgpr6
	s_and_saveexec_b64 s[28:29], s[8:9]
	s_xor_b64 s[8:9], exec, s[28:29]
; %bb.1668:                             ;   in Loop: Header=BB388_1330 Depth=1
	v_bfe_u32 v6, v7, 16, 1
	v_add3_u32 v6, v7, v6, s36
                                        ; implicit-def: $vgpr7
; %bb.1669:                             ;   in Loop: Header=BB388_1330 Depth=1
	s_andn2_saveexec_b64 s[28:29], s[8:9]
; %bb.1670:                             ;   in Loop: Header=BB388_1330 Depth=1
	v_or_b32_e32 v6, 0x10000, v7
	v_cmp_eq_u32_sdwa s[8:9], v7, v31 src0_sel:WORD_0 src1_sel:DWORD
	v_cndmask_b32_e64 v6, v6, v7, s[8:9]
; %bb.1671:                             ;   in Loop: Header=BB388_1330 Depth=1
	s_or_b64 exec, exec, s[28:29]
	v_lshrrev_b32_e32 v8, 16, v14
	v_lshrrev_b32_e32 v14, 16, v18
	;; [unrolled: 1-line block ×8, first 2 shown]
	s_and_saveexec_b64 s[28:29], vcc
	s_cbranch_execz .LBB388_1673
; %bb.1672:                             ;   in Loop: Header=BB388_1330 Depth=1
	buffer_load_dword v17, off, s[0:3], s32 offset:196 ; 4-byte Folded Reload
	v_accvgpr_read_b32 v18, a18
	s_waitcnt vmcnt(0)
	v_cmp_lt_i32_e64 s[8:9], v40, v17
	v_cndmask_b32_e64 v12, 0, v12, s[8:9]
	v_cmp_lt_i32_e64 s[8:9], v18, v17
	v_accvgpr_read_b32 v18, a63
	v_cndmask_b32_e64 v13, 0, v13, s[8:9]
	v_cmp_lt_i32_e64 s[8:9], v18, v17
	v_accvgpr_read_b32 v18, a62
	v_cndmask_b32_e64 v16, 0, v16, s[8:9]
	v_cmp_lt_i32_e64 s[8:9], v18, v17
	v_accvgpr_read_b32 v18, a61
	v_cndmask_b32_e64 v15, 0, v15, s[8:9]
	v_cmp_lt_i32_e64 s[8:9], v18, v17
	v_accvgpr_read_b32 v18, a60
	v_cndmask_b32_e64 v14, 0, v14, s[8:9]
	v_cmp_lt_i32_e64 s[8:9], v18, v17
	v_accvgpr_read_b32 v18, a59
	v_cndmask_b32_e64 v8, 0, v8, s[8:9]
	v_cmp_lt_i32_e64 s[8:9], v18, v17
	v_cndmask_b32_e64 v7, 0, v7, s[8:9]
	v_cmp_lt_i32_e64 s[8:9], v50, v17
	v_cndmask_b32_e64 v6, 0, v6, s[8:9]
.LBB388_1673:                           ;   in Loop: Header=BB388_1330 Depth=1
	s_or_b64 exec, exec, s[28:29]
	v_lshlrev_b32_e32 v12, 16, v12
	v_mul_f32_e32 v12, v27, v12
	v_and_b32_e32 v17, 0x7f800000, v12
	v_cmp_ne_u32_e64 s[8:9], s15, v17
                                        ; implicit-def: $vgpr17
                                        ; kill: killed $vgpr17
	s_and_saveexec_b64 s[28:29], s[8:9]
	s_xor_b64 s[8:9], exec, s[28:29]
	s_cbranch_execz .LBB388_1675
; %bb.1674:                             ;   in Loop: Header=BB388_1330 Depth=1
	v_bfe_u32 v17, v12, 16, 1
	v_add3_u32 v12, v12, v17, s36
	buffer_store_dword v12, off, s[0:3], s32 offset:432 ; 4-byte Folded Spill
                                        ; implicit-def: $vgpr12
.LBB388_1675:                           ;   in Loop: Header=BB388_1330 Depth=1
	s_andn2_saveexec_b64 s[28:29], s[8:9]
	s_cbranch_execz .LBB388_1677
; %bb.1676:                             ;   in Loop: Header=BB388_1330 Depth=1
	v_or_b32_e32 v17, 0x10000, v12
	v_cmp_eq_u32_sdwa s[8:9], v12, v31 src0_sel:WORD_0 src1_sel:DWORD
	v_cndmask_b32_e64 v12, v17, v12, s[8:9]
	buffer_store_dword v12, off, s[0:3], s32 offset:432 ; 4-byte Folded Spill
.LBB388_1677:                           ;   in Loop: Header=BB388_1330 Depth=1
	s_or_b64 exec, exec, s[28:29]
	v_lshlrev_b32_e32 v12, 16, v13
	v_mul_f32_e32 v12, v23, v12
	v_and_b32_e32 v13, 0x7f800000, v12
	v_cmp_ne_u32_e64 s[8:9], s15, v13
                                        ; implicit-def: $vgpr13
                                        ; kill: killed $vgpr13
	s_and_saveexec_b64 s[28:29], s[8:9]
	s_xor_b64 s[8:9], exec, s[28:29]
	s_cbranch_execz .LBB388_1679
; %bb.1678:                             ;   in Loop: Header=BB388_1330 Depth=1
	v_bfe_u32 v13, v12, 16, 1
	v_add3_u32 v12, v12, v13, s36
	buffer_store_dword v12, off, s[0:3], s32 offset:436 ; 4-byte Folded Spill
                                        ; implicit-def: $vgpr12
.LBB388_1679:                           ;   in Loop: Header=BB388_1330 Depth=1
	s_andn2_saveexec_b64 s[28:29], s[8:9]
	s_cbranch_execz .LBB388_1681
; %bb.1680:                             ;   in Loop: Header=BB388_1330 Depth=1
	v_or_b32_e32 v13, 0x10000, v12
	v_cmp_eq_u32_sdwa s[8:9], v12, v31 src0_sel:WORD_0 src1_sel:DWORD
	v_cndmask_b32_e64 v12, v13, v12, s[8:9]
	buffer_store_dword v12, off, s[0:3], s32 offset:436 ; 4-byte Folded Spill
.LBB388_1681:                           ;   in Loop: Header=BB388_1330 Depth=1
	s_or_b64 exec, exec, s[28:29]
	v_lshlrev_b32_e32 v12, 16, v16
	v_mul_f32_e32 v12, v55, v12
	v_and_b32_e32 v13, 0x7f800000, v12
	v_cmp_ne_u32_e64 s[8:9], s15, v13
                                        ; implicit-def: $vgpr13
                                        ; kill: killed $vgpr13
	;; [unrolled: 24-line block ×4, first 2 shown]
	s_and_saveexec_b64 s[28:29], s[8:9]
	s_xor_b64 s[8:9], exec, s[28:29]
	s_cbranch_execz .LBB388_1691
; %bb.1690:                             ;   in Loop: Header=BB388_1330 Depth=1
	v_bfe_u32 v13, v12, 16, 1
	v_add3_u32 v12, v12, v13, s36
	buffer_store_dword v12, off, s[0:3], s32 offset:448 ; 4-byte Folded Spill
                                        ; implicit-def: $vgpr12
.LBB388_1691:                           ;   in Loop: Header=BB388_1330 Depth=1
	s_andn2_saveexec_b64 s[28:29], s[8:9]
	s_cbranch_execz .LBB388_1693
; %bb.1692:                             ;   in Loop: Header=BB388_1330 Depth=1
	v_or_b32_e32 v13, 0x10000, v12
	v_cmp_eq_u32_sdwa s[8:9], v12, v31 src0_sel:WORD_0 src1_sel:DWORD
	v_cndmask_b32_e64 v12, v13, v12, s[8:9]
	buffer_store_dword v12, off, s[0:3], s32 offset:448 ; 4-byte Folded Spill
.LBB388_1693:                           ;   in Loop: Header=BB388_1330 Depth=1
	s_or_b64 exec, exec, s[28:29]
	v_lshlrev_b32_e32 v8, 16, v8
	v_mul_f32_e32 v8, v5, v8
	v_and_b32_e32 v12, 0x7f800000, v8
	v_cmp_ne_u32_e64 s[8:9], s15, v12
                                        ; implicit-def: $vgpr12
                                        ; kill: killed $vgpr12
	s_and_saveexec_b64 s[28:29], s[8:9]
	s_xor_b64 s[8:9], exec, s[28:29]
	s_cbranch_execz .LBB388_1695
; %bb.1694:                             ;   in Loop: Header=BB388_1330 Depth=1
	v_bfe_u32 v12, v8, 16, 1
	v_add3_u32 v8, v8, v12, s36
	buffer_store_dword v8, off, s[0:3], s32 offset:452 ; 4-byte Folded Spill
                                        ; implicit-def: $vgpr8
.LBB388_1695:                           ;   in Loop: Header=BB388_1330 Depth=1
	s_andn2_saveexec_b64 s[28:29], s[8:9]
	s_cbranch_execz .LBB388_1697
; %bb.1696:                             ;   in Loop: Header=BB388_1330 Depth=1
	v_or_b32_e32 v12, 0x10000, v8
	v_cmp_eq_u32_sdwa s[8:9], v8, v31 src0_sel:WORD_0 src1_sel:DWORD
	v_cndmask_b32_e64 v8, v12, v8, s[8:9]
	buffer_store_dword v8, off, s[0:3], s32 offset:452 ; 4-byte Folded Spill
.LBB388_1697:                           ;   in Loop: Header=BB388_1330 Depth=1
	s_or_b64 exec, exec, s[28:29]
	v_lshlrev_b32_e32 v7, 16, v7
	v_mul_f32_e32 v7, v10, v7
	v_and_b32_e32 v8, 0x7f800000, v7
	v_cmp_ne_u32_e64 s[8:9], s15, v8
                                        ; implicit-def: $vgpr8
                                        ; kill: killed $vgpr8
	s_and_saveexec_b64 s[28:29], s[8:9]
	s_xor_b64 s[8:9], exec, s[28:29]
	s_cbranch_execz .LBB388_1699
; %bb.1698:                             ;   in Loop: Header=BB388_1330 Depth=1
	v_bfe_u32 v8, v7, 16, 1
	v_add3_u32 v7, v7, v8, s36
	buffer_store_dword v7, off, s[0:3], s32 offset:456 ; 4-byte Folded Spill
                                        ; implicit-def: $vgpr7
.LBB388_1699:                           ;   in Loop: Header=BB388_1330 Depth=1
	s_andn2_saveexec_b64 s[28:29], s[8:9]
	s_cbranch_execz .LBB388_1701
; %bb.1700:                             ;   in Loop: Header=BB388_1330 Depth=1
	v_or_b32_e32 v8, 0x10000, v7
	v_cmp_eq_u32_sdwa s[8:9], v7, v31 src0_sel:WORD_0 src1_sel:DWORD
	v_cndmask_b32_e64 v7, v8, v7, s[8:9]
	buffer_store_dword v7, off, s[0:3], s32 offset:456 ; 4-byte Folded Spill
.LBB388_1701:                           ;   in Loop: Header=BB388_1330 Depth=1
	s_or_b64 exec, exec, s[28:29]
	v_lshlrev_b32_e32 v6, 16, v6
	v_mul_f32_e32 v6, v11, v6
	v_and_b32_e32 v7, 0x7f800000, v6
	v_cmp_ne_u32_e64 s[8:9], s15, v7
                                        ; implicit-def: $vgpr7
                                        ; kill: killed $vgpr7
	s_and_saveexec_b64 s[28:29], s[8:9]
	s_xor_b64 s[8:9], exec, s[28:29]
	s_cbranch_execz .LBB388_1703
; %bb.1702:                             ;   in Loop: Header=BB388_1330 Depth=1
	v_bfe_u32 v7, v6, 16, 1
	v_add3_u32 v6, v6, v7, s36
	buffer_store_dword v6, off, s[0:3], s32 offset:460 ; 4-byte Folded Spill
                                        ; implicit-def: $vgpr6
.LBB388_1703:                           ;   in Loop: Header=BB388_1330 Depth=1
	s_andn2_saveexec_b64 s[28:29], s[8:9]
	s_cbranch_execz .LBB388_1705
; %bb.1704:                             ;   in Loop: Header=BB388_1330 Depth=1
	v_or_b32_e32 v7, 0x10000, v6
	v_cmp_eq_u32_sdwa s[8:9], v6, v31 src0_sel:WORD_0 src1_sel:DWORD
	v_cndmask_b32_e64 v6, v7, v6, s[8:9]
	buffer_store_dword v6, off, s[0:3], s32 offset:460 ; 4-byte Folded Spill
.LBB388_1705:                           ;   in Loop: Header=BB388_1330 Depth=1
	s_or_b64 exec, exec, s[28:29]
	flat_load_dwordx2 v[6:7], v[2:3] offset:1536
	v_mov_b32_e32 v8, 0
	s_waitcnt vmcnt(0) lgkmcnt(0)
	v_cmp_ne_u16_sdwa s[8:9], v6, v31 src0_sel:BYTE_0 src1_sel:DWORD
	s_and_saveexec_b64 s[28:29], s[8:9]
	s_cbranch_execz .LBB388_1711
; %bb.1706:                             ;   in Loop: Header=BB388_1330 Depth=1
	v_cmp_ne_u16_sdwa s[8:9], v6, s37 src0_sel:BYTE_0 src1_sel:DWORD
	v_bfrev_b32_e32 v8, 1
	s_and_saveexec_b64 s[30:31], s[8:9]
	s_cbranch_execz .LBB388_1710
; %bb.1707:                             ;   in Loop: Header=BB388_1330 Depth=1
	v_and_b32_e32 v12, 0x7f, v6
	v_cmp_ne_u32_e64 s[8:9], s38, v12
	v_mov_b32_e32 v8, 0x7f800001
	s_and_saveexec_b64 s[34:35], s[8:9]
	s_cbranch_execz .LBB388_1709
; %bb.1708:                             ;   in Loop: Header=BB388_1330 Depth=1
	v_and_b32_e32 v8, 7, v6
	v_ffbh_u32_e32 v8, v8
	v_min_u32_e32 v8, 32, v8
	v_subrev_u32_e32 v14, 28, v8
	v_cmp_gt_u32_e64 s[8:9], 8, v12
	v_lshrrev_b32_e32 v13, 3, v12
	v_sub_u32_e32 v8, 29, v8
	v_cndmask_b32_e64 v12, 0, v14, s[8:9]
	v_cndmask_b32_e64 v8, v13, v8, s[8:9]
	v_lshlrev_b64 v[12:13], v12, v[6:7]
	v_lshlrev_b32_e32 v12, 20, v12
	v_lshlrev_b32_e32 v13, 24, v6
	v_and_b32_e32 v12, 0x700000, v12
	v_and_b32_e32 v13, 0x80000000, v13
	v_lshl_add_u32 v8, v8, 23, v61
	v_or3_b32 v8, v13, v8, v12
.LBB388_1709:                           ;   in Loop: Header=BB388_1330 Depth=1
	s_or_b64 exec, exec, s[34:35]
.LBB388_1710:                           ;   in Loop: Header=BB388_1330 Depth=1
	s_or_b64 exec, exec, s[30:31]
.LBB388_1711:                           ;   in Loop: Header=BB388_1330 Depth=1
	s_or_b64 exec, exec, s[28:29]
	v_mul_f32_e32 v8, v9, v8
	v_and_b32_e32 v12, 0x7f800000, v8
	v_cmp_ne_u32_e64 s[8:9], s15, v12
                                        ; implicit-def: $vgpr12
	s_and_saveexec_b64 s[28:29], s[8:9]
	s_xor_b64 s[8:9], exec, s[28:29]
; %bb.1712:                             ;   in Loop: Header=BB388_1330 Depth=1
	v_bfe_u32 v12, v8, 16, 1
	v_add3_u32 v12, v8, v12, s36
                                        ; implicit-def: $vgpr8
; %bb.1713:                             ;   in Loop: Header=BB388_1330 Depth=1
	s_andn2_saveexec_b64 s[28:29], s[8:9]
; %bb.1714:                             ;   in Loop: Header=BB388_1330 Depth=1
	v_or_b32_e32 v12, 0x10000, v8
	v_cmp_eq_u32_sdwa s[8:9], v8, v31 src0_sel:WORD_0 src1_sel:DWORD
	v_cndmask_b32_e64 v12, v12, v8, s[8:9]
; %bb.1715:                             ;   in Loop: Header=BB388_1330 Depth=1
	s_or_b64 exec, exec, s[28:29]
	v_lshrrev_b16_e32 v8, 8, v6
	v_cmp_ne_u16_e64 s[8:9], 0, v8
	v_mov_b32_e32 v13, 0
	s_and_saveexec_b64 s[28:29], s[8:9]
	s_cbranch_execz .LBB388_1721
; %bb.1716:                             ;   in Loop: Header=BB388_1330 Depth=1
	v_cmp_ne_u16_e64 s[8:9], s37, v8
	v_bfrev_b32_e32 v13, 1
	s_and_saveexec_b64 s[30:31], s[8:9]
	s_cbranch_execz .LBB388_1720
; %bb.1717:                             ;   in Loop: Header=BB388_1330 Depth=1
	v_and_b32_e32 v14, 0x7f, v8
	v_cmp_ne_u32_e64 s[8:9], s38, v14
	v_mov_b32_e32 v13, 0x7f800001
	s_and_saveexec_b64 s[34:35], s[8:9]
	s_cbranch_execz .LBB388_1719
; %bb.1718:                             ;   in Loop: Header=BB388_1330 Depth=1
	v_and_b32_e32 v13, 7, v8
	v_ffbh_u32_e32 v16, v13
	v_min_u32_e32 v18, 32, v16
	v_subrev_u32_e32 v16, 28, v18
	v_lshlrev_b64 v[16:17], v16, v[8:9]
	v_lshrrev_b32_e32 v15, 3, v14
	v_sub_u32_e32 v8, 29, v18
	v_and_b32_e32 v16, 7, v16
	v_cmp_gt_u32_e64 s[8:9], 8, v14
	v_cndmask_b32_e64 v8, v15, v8, s[8:9]
	v_cndmask_b32_e64 v13, v13, v16, s[8:9]
	v_lshlrev_b32_e32 v14, 16, v6
	v_lshlrev_b32_e32 v13, 20, v13
	v_and_b32_e32 v14, 0x80000000, v14
	v_lshl_add_u32 v8, v8, 23, v61
	v_or3_b32 v13, v14, v8, v13
.LBB388_1719:                           ;   in Loop: Header=BB388_1330 Depth=1
	s_or_b64 exec, exec, s[34:35]
.LBB388_1720:                           ;   in Loop: Header=BB388_1330 Depth=1
	s_or_b64 exec, exec, s[30:31]
.LBB388_1721:                           ;   in Loop: Header=BB388_1330 Depth=1
	s_or_b64 exec, exec, s[28:29]
	v_mul_f32_e32 v8, v9, v13
	v_and_b32_e32 v13, 0x7f800000, v8
	v_cmp_ne_u32_e64 s[8:9], s15, v13
                                        ; implicit-def: $vgpr13
	s_and_saveexec_b64 s[28:29], s[8:9]
	s_xor_b64 s[8:9], exec, s[28:29]
; %bb.1722:                             ;   in Loop: Header=BB388_1330 Depth=1
	v_bfe_u32 v13, v8, 16, 1
	v_add3_u32 v13, v8, v13, s36
                                        ; implicit-def: $vgpr8
; %bb.1723:                             ;   in Loop: Header=BB388_1330 Depth=1
	s_andn2_saveexec_b64 s[28:29], s[8:9]
; %bb.1724:                             ;   in Loop: Header=BB388_1330 Depth=1
	v_or_b32_e32 v13, 0x10000, v8
	v_cmp_eq_u32_sdwa s[8:9], v8, v31 src0_sel:WORD_0 src1_sel:DWORD
	v_cndmask_b32_e64 v13, v13, v8, s[8:9]
; %bb.1725:                             ;   in Loop: Header=BB388_1330 Depth=1
	s_or_b64 exec, exec, s[28:29]
	v_lshrrev_b32_e32 v8, 16, v6
	v_cmp_ne_u16_sdwa s[8:9], v8, v31 src0_sel:BYTE_0 src1_sel:DWORD
	v_mov_b32_e32 v14, 0
	s_and_saveexec_b64 s[28:29], s[8:9]
	s_cbranch_execz .LBB388_1731
; %bb.1726:                             ;   in Loop: Header=BB388_1330 Depth=1
	v_cmp_ne_u16_sdwa s[8:9], v8, s37 src0_sel:BYTE_0 src1_sel:DWORD
	v_bfrev_b32_e32 v14, 1
	s_and_saveexec_b64 s[30:31], s[8:9]
	s_cbranch_execz .LBB388_1730
; %bb.1727:                             ;   in Loop: Header=BB388_1330 Depth=1
	v_bfe_u32 v15, v6, 16, 7
	v_cmp_ne_u32_e64 s[8:9], s38, v15
	v_mov_b32_e32 v14, 0x7f800001
	s_and_saveexec_b64 s[34:35], s[8:9]
	s_cbranch_execz .LBB388_1729
; %bb.1728:                             ;   in Loop: Header=BB388_1330 Depth=1
	v_and_b32_e32 v14, 7, v8
	v_ffbh_u32_e32 v16, v14
	v_min_u32_e32 v19, 32, v16
	v_subrev_u32_e32 v16, 28, v19
	v_lshlrev_b64 v[16:17], v16, v[8:9]
	v_lshrrev_b32_e32 v18, 3, v15
	v_sub_u32_e32 v17, 29, v19
	v_and_b32_e32 v16, 7, v16
	v_cmp_gt_u32_e64 s[8:9], 8, v15
	v_cndmask_b32_e64 v15, v18, v17, s[8:9]
	v_cndmask_b32_e64 v14, v14, v16, s[8:9]
	v_lshlrev_b32_e32 v8, 24, v8
	v_lshlrev_b32_e32 v14, 20, v14
	v_and_b32_e32 v8, 0x80000000, v8
	v_lshl_add_u32 v15, v15, 23, v61
	v_or3_b32 v14, v8, v15, v14
.LBB388_1729:                           ;   in Loop: Header=BB388_1330 Depth=1
	s_or_b64 exec, exec, s[34:35]
.LBB388_1730:                           ;   in Loop: Header=BB388_1330 Depth=1
	s_or_b64 exec, exec, s[30:31]
.LBB388_1731:                           ;   in Loop: Header=BB388_1330 Depth=1
	s_or_b64 exec, exec, s[28:29]
	v_mul_f32_e32 v8, v9, v14
	v_and_b32_e32 v14, 0x7f800000, v8
	v_cmp_ne_u32_e64 s[8:9], s15, v14
                                        ; implicit-def: $vgpr16
	s_and_saveexec_b64 s[28:29], s[8:9]
	s_xor_b64 s[8:9], exec, s[28:29]
; %bb.1732:                             ;   in Loop: Header=BB388_1330 Depth=1
	v_bfe_u32 v14, v8, 16, 1
	v_add3_u32 v16, v8, v14, s36
                                        ; implicit-def: $vgpr8
; %bb.1733:                             ;   in Loop: Header=BB388_1330 Depth=1
	s_andn2_saveexec_b64 s[28:29], s[8:9]
; %bb.1734:                             ;   in Loop: Header=BB388_1330 Depth=1
	v_or_b32_e32 v14, 0x10000, v8
	v_cmp_eq_u32_sdwa s[8:9], v8, v31 src0_sel:WORD_0 src1_sel:DWORD
	v_cndmask_b32_e64 v16, v14, v8, s[8:9]
; %bb.1735:                             ;   in Loop: Header=BB388_1330 Depth=1
	s_or_b64 exec, exec, s[28:29]
	v_cmp_lt_u32_e64 s[8:9], s17, v6
	v_mov_b32_e32 v14, 0
	s_and_saveexec_b64 s[28:29], s[8:9]
	s_cbranch_execz .LBB388_1741
; %bb.1736:                             ;   in Loop: Header=BB388_1330 Depth=1
	v_lshrrev_b32_e32 v8, 24, v6
	v_cmp_ne_u32_e64 s[8:9], s37, v8
	v_bfrev_b32_e32 v14, 1
	s_and_saveexec_b64 s[30:31], s[8:9]
	s_cbranch_execz .LBB388_1740
; %bb.1737:                             ;   in Loop: Header=BB388_1330 Depth=1
	v_bfe_u32 v15, v6, 24, 7
	v_cmp_ne_u32_e64 s[8:9], s38, v15
	v_mov_b32_e32 v14, 0x7f800001
	s_and_saveexec_b64 s[34:35], s[8:9]
	s_cbranch_execz .LBB388_1739
; %bb.1738:                             ;   in Loop: Header=BB388_1330 Depth=1
	v_and_b32_e32 v14, 7, v8
	v_ffbh_u32_e32 v18, v14
	v_min_u32_e32 v20, 32, v18
	v_subrev_u32_e32 v18, 28, v20
	v_lshlrev_b64 v[18:19], v18, v[8:9]
	v_lshrrev_b32_e32 v17, 3, v15
	v_sub_u32_e32 v19, 29, v20
	v_and_b32_e32 v18, 7, v18
	v_cmp_gt_u32_e64 s[8:9], 8, v15
	v_cndmask_b32_e64 v15, v17, v19, s[8:9]
	v_cndmask_b32_e64 v14, v14, v18, s[8:9]
	v_lshlrev_b32_e32 v8, 24, v8
	v_lshlrev_b32_e32 v14, 20, v14
	v_and_b32_e32 v8, 0x80000000, v8
	v_lshl_add_u32 v15, v15, 23, v61
	v_or3_b32 v14, v8, v15, v14
.LBB388_1739:                           ;   in Loop: Header=BB388_1330 Depth=1
	s_or_b64 exec, exec, s[34:35]
.LBB388_1740:                           ;   in Loop: Header=BB388_1330 Depth=1
	s_or_b64 exec, exec, s[30:31]
.LBB388_1741:                           ;   in Loop: Header=BB388_1330 Depth=1
	s_or_b64 exec, exec, s[28:29]
	v_mul_f32_e32 v8, v9, v14
	v_and_b32_e32 v14, 0x7f800000, v8
	v_cmp_ne_u32_e64 s[8:9], s15, v14
                                        ; implicit-def: $vgpr17
	s_and_saveexec_b64 s[28:29], s[8:9]
	s_xor_b64 s[8:9], exec, s[28:29]
; %bb.1742:                             ;   in Loop: Header=BB388_1330 Depth=1
	v_bfe_u32 v14, v8, 16, 1
	v_add3_u32 v17, v8, v14, s36
                                        ; implicit-def: $vgpr8
; %bb.1743:                             ;   in Loop: Header=BB388_1330 Depth=1
	s_andn2_saveexec_b64 s[28:29], s[8:9]
; %bb.1744:                             ;   in Loop: Header=BB388_1330 Depth=1
	v_or_b32_e32 v14, 0x10000, v8
	v_cmp_eq_u32_sdwa s[8:9], v8, v31 src0_sel:WORD_0 src1_sel:DWORD
	v_cndmask_b32_e64 v17, v14, v8, s[8:9]
; %bb.1745:                             ;   in Loop: Header=BB388_1330 Depth=1
	s_or_b64 exec, exec, s[28:29]
	v_mov_b32_e32 v30, v7
	v_cmp_ne_u16_sdwa s[8:9], v7, v31 src0_sel:BYTE_0 src1_sel:DWORD
	v_mov_b32_e32 v8, 0
	s_and_saveexec_b64 s[28:29], s[8:9]
	s_cbranch_execz .LBB388_1751
; %bb.1746:                             ;   in Loop: Header=BB388_1330 Depth=1
	v_cmp_ne_u16_sdwa s[8:9], v7, s37 src0_sel:BYTE_0 src1_sel:DWORD
	v_bfrev_b32_e32 v8, 1
	s_and_saveexec_b64 s[30:31], s[8:9]
	s_cbranch_execz .LBB388_1750
; %bb.1747:                             ;   in Loop: Header=BB388_1330 Depth=1
	v_and_b32_e32 v14, 0x7f, v7
	v_cmp_ne_u32_e64 s[8:9], s38, v14
	v_mov_b32_e32 v8, 0x7f800001
	s_and_saveexec_b64 s[34:35], s[8:9]
	s_cbranch_execz .LBB388_1749
; %bb.1748:                             ;   in Loop: Header=BB388_1330 Depth=1
	v_and_b32_e32 v8, 7, v7
	v_ffbh_u32_e32 v8, v8
	v_min_u32_e32 v8, 32, v8
	v_subrev_u32_e32 v18, 28, v8
	v_cmp_gt_u32_e64 s[8:9], 8, v14
	v_lshrrev_b32_e32 v15, 3, v14
	v_sub_u32_e32 v8, 29, v8
	v_cndmask_b32_e64 v14, 0, v18, s[8:9]
	v_cndmask_b32_e64 v8, v15, v8, s[8:9]
	v_lshlrev_b64 v[14:15], v14, v[30:31]
	v_lshlrev_b32_e32 v14, 20, v14
	v_lshlrev_b32_e32 v15, 24, v30
	v_and_b32_e32 v14, 0x700000, v14
	v_and_b32_e32 v15, 0x80000000, v15
	v_lshl_add_u32 v8, v8, 23, v61
	v_or3_b32 v8, v15, v8, v14
.LBB388_1749:                           ;   in Loop: Header=BB388_1330 Depth=1
	s_or_b64 exec, exec, s[34:35]
.LBB388_1750:                           ;   in Loop: Header=BB388_1330 Depth=1
	s_or_b64 exec, exec, s[30:31]
.LBB388_1751:                           ;   in Loop: Header=BB388_1330 Depth=1
	s_or_b64 exec, exec, s[28:29]
	v_mul_f32_e32 v8, v9, v8
	v_and_b32_e32 v14, 0x7f800000, v8
	v_cmp_ne_u32_e64 s[8:9], s15, v14
                                        ; implicit-def: $vgpr18
	s_and_saveexec_b64 s[28:29], s[8:9]
	s_xor_b64 s[8:9], exec, s[28:29]
; %bb.1752:                             ;   in Loop: Header=BB388_1330 Depth=1
	v_bfe_u32 v14, v8, 16, 1
	v_add3_u32 v18, v8, v14, s36
                                        ; implicit-def: $vgpr8
; %bb.1753:                             ;   in Loop: Header=BB388_1330 Depth=1
	s_andn2_saveexec_b64 s[28:29], s[8:9]
; %bb.1754:                             ;   in Loop: Header=BB388_1330 Depth=1
	v_or_b32_e32 v14, 0x10000, v8
	v_cmp_eq_u32_sdwa s[8:9], v8, v31 src0_sel:WORD_0 src1_sel:DWORD
	v_cndmask_b32_e64 v18, v14, v8, s[8:9]
; %bb.1755:                             ;   in Loop: Header=BB388_1330 Depth=1
	s_or_b64 exec, exec, s[28:29]
	v_lshrrev_b16_e32 v8, 8, v30
	v_cmp_ne_u16_e64 s[8:9], 0, v8
	v_mov_b32_e32 v14, 0
	s_and_saveexec_b64 s[28:29], s[8:9]
	s_cbranch_execz .LBB388_1761
; %bb.1756:                             ;   in Loop: Header=BB388_1330 Depth=1
	v_cmp_ne_u16_e64 s[8:9], s37, v8
	v_bfrev_b32_e32 v14, 1
	s_and_saveexec_b64 s[30:31], s[8:9]
	s_cbranch_execz .LBB388_1760
; %bb.1757:                             ;   in Loop: Header=BB388_1330 Depth=1
	v_and_b32_e32 v15, 0x7f, v8
	v_cmp_ne_u32_e64 s[8:9], s38, v15
	v_mov_b32_e32 v14, 0x7f800001
	s_and_saveexec_b64 s[34:35], s[8:9]
	s_cbranch_execz .LBB388_1759
; %bb.1758:                             ;   in Loop: Header=BB388_1330 Depth=1
	v_and_b32_e32 v14, 7, v8
	v_ffbh_u32_e32 v20, v14
	v_min_u32_e32 v22, 32, v20
	v_subrev_u32_e32 v20, 28, v22
	v_lshlrev_b64 v[20:21], v20, v[8:9]
	v_lshrrev_b32_e32 v19, 3, v15
	v_sub_u32_e32 v8, 29, v22
	v_and_b32_e32 v20, 7, v20
	v_cmp_gt_u32_e64 s[8:9], 8, v15
	v_cndmask_b32_e64 v8, v19, v8, s[8:9]
	v_cndmask_b32_e64 v14, v14, v20, s[8:9]
	v_lshlrev_b32_e32 v15, 16, v30
	v_lshlrev_b32_e32 v14, 20, v14
	v_and_b32_e32 v15, 0x80000000, v15
	v_lshl_add_u32 v8, v8, 23, v61
	v_or3_b32 v14, v15, v8, v14
.LBB388_1759:                           ;   in Loop: Header=BB388_1330 Depth=1
	s_or_b64 exec, exec, s[34:35]
.LBB388_1760:                           ;   in Loop: Header=BB388_1330 Depth=1
	s_or_b64 exec, exec, s[30:31]
.LBB388_1761:                           ;   in Loop: Header=BB388_1330 Depth=1
	s_or_b64 exec, exec, s[28:29]
	v_mul_f32_e32 v8, v9, v14
	v_and_b32_e32 v14, 0x7f800000, v8
	v_cmp_ne_u32_e64 s[8:9], s15, v14
                                        ; implicit-def: $vgpr14
	s_and_saveexec_b64 s[28:29], s[8:9]
	s_xor_b64 s[8:9], exec, s[28:29]
; %bb.1762:                             ;   in Loop: Header=BB388_1330 Depth=1
	v_bfe_u32 v14, v8, 16, 1
	v_add3_u32 v14, v8, v14, s36
                                        ; implicit-def: $vgpr8
; %bb.1763:                             ;   in Loop: Header=BB388_1330 Depth=1
	s_andn2_saveexec_b64 s[28:29], s[8:9]
; %bb.1764:                             ;   in Loop: Header=BB388_1330 Depth=1
	v_or_b32_e32 v14, 0x10000, v8
	v_cmp_eq_u32_sdwa s[8:9], v8, v31 src0_sel:WORD_0 src1_sel:DWORD
	v_cndmask_b32_e64 v14, v14, v8, s[8:9]
; %bb.1765:                             ;   in Loop: Header=BB388_1330 Depth=1
	s_or_b64 exec, exec, s[28:29]
	v_lshrrev_b32_e32 v8, 16, v7
	v_cmp_ne_u16_sdwa s[8:9], v8, v31 src0_sel:BYTE_0 src1_sel:DWORD
	v_mov_b32_e32 v15, 0
	s_and_saveexec_b64 s[28:29], s[8:9]
	s_cbranch_execz .LBB388_1771
; %bb.1766:                             ;   in Loop: Header=BB388_1330 Depth=1
	v_cmp_ne_u16_sdwa s[8:9], v8, s37 src0_sel:BYTE_0 src1_sel:DWORD
	v_bfrev_b32_e32 v15, 1
	s_and_saveexec_b64 s[30:31], s[8:9]
	s_cbranch_execz .LBB388_1770
; %bb.1767:                             ;   in Loop: Header=BB388_1330 Depth=1
	v_bfe_u32 v19, v7, 16, 7
	v_cmp_ne_u32_e64 s[8:9], s38, v19
	v_mov_b32_e32 v15, 0x7f800001
	s_and_saveexec_b64 s[34:35], s[8:9]
	s_cbranch_execz .LBB388_1769
; %bb.1768:                             ;   in Loop: Header=BB388_1330 Depth=1
	v_and_b32_e32 v15, 7, v8
	v_ffbh_u32_e32 v20, v15
	v_min_u32_e32 v24, 32, v20
	v_subrev_u32_e32 v20, 28, v24
	v_lshlrev_b64 v[20:21], v20, v[8:9]
	v_lshrrev_b32_e32 v22, 3, v19
	v_sub_u32_e32 v21, 29, v24
	v_and_b32_e32 v20, 7, v20
	v_cmp_gt_u32_e64 s[8:9], 8, v19
	v_cndmask_b32_e64 v19, v22, v21, s[8:9]
	v_cndmask_b32_e64 v15, v15, v20, s[8:9]
	v_lshlrev_b32_e32 v8, 24, v8
	v_lshlrev_b32_e32 v15, 20, v15
	v_and_b32_e32 v8, 0x80000000, v8
	v_lshl_add_u32 v19, v19, 23, v61
	v_or3_b32 v15, v8, v19, v15
.LBB388_1769:                           ;   in Loop: Header=BB388_1330 Depth=1
	s_or_b64 exec, exec, s[34:35]
.LBB388_1770:                           ;   in Loop: Header=BB388_1330 Depth=1
	s_or_b64 exec, exec, s[30:31]
.LBB388_1771:                           ;   in Loop: Header=BB388_1330 Depth=1
	s_or_b64 exec, exec, s[28:29]
	v_mul_f32_e32 v8, v9, v15
	v_and_b32_e32 v15, 0x7f800000, v8
	v_cmp_ne_u32_e64 s[8:9], s15, v15
                                        ; implicit-def: $vgpr19
	s_and_saveexec_b64 s[28:29], s[8:9]
	s_xor_b64 s[8:9], exec, s[28:29]
; %bb.1772:                             ;   in Loop: Header=BB388_1330 Depth=1
	v_bfe_u32 v15, v8, 16, 1
	v_add3_u32 v19, v8, v15, s36
                                        ; implicit-def: $vgpr8
; %bb.1773:                             ;   in Loop: Header=BB388_1330 Depth=1
	s_andn2_saveexec_b64 s[28:29], s[8:9]
; %bb.1774:                             ;   in Loop: Header=BB388_1330 Depth=1
	v_or_b32_e32 v15, 0x10000, v8
	v_cmp_eq_u32_sdwa s[8:9], v8, v31 src0_sel:WORD_0 src1_sel:DWORD
	v_cndmask_b32_e64 v19, v15, v8, s[8:9]
; %bb.1775:                             ;   in Loop: Header=BB388_1330 Depth=1
	s_or_b64 exec, exec, s[28:29]
	v_cmp_lt_u64_e64 s[8:9], s[16:17], v[6:7]
	v_mov_b32_e32 v8, 0
	s_and_saveexec_b64 s[28:29], s[8:9]
	s_cbranch_execz .LBB388_1781
; %bb.1776:                             ;   in Loop: Header=BB388_1330 Depth=1
	v_lshrrev_b32_e32 v6, 24, v7
	v_cmp_ne_u32_e64 s[8:9], s37, v6
	v_bfrev_b32_e32 v8, 1
	s_and_saveexec_b64 s[30:31], s[8:9]
	s_cbranch_execz .LBB388_1780
; %bb.1777:                             ;   in Loop: Header=BB388_1330 Depth=1
	v_bfe_u32 v7, v7, 24, 7
	v_cmp_ne_u32_e64 s[8:9], s38, v7
	v_mov_b32_e32 v8, 0x7f800001
	s_and_saveexec_b64 s[34:35], s[8:9]
	s_cbranch_execz .LBB388_1779
; %bb.1778:                             ;   in Loop: Header=BB388_1330 Depth=1
	v_and_b32_e32 v8, 7, v6
	v_ffbh_u32_e32 v20, v8
	v_min_u32_e32 v22, 32, v20
	v_subrev_u32_e32 v20, 28, v22
	v_lshlrev_b64 v[20:21], v20, v[6:7]
	v_lshrrev_b32_e32 v15, 3, v7
	v_sub_u32_e32 v21, 29, v22
	v_and_b32_e32 v20, 7, v20
	v_cmp_gt_u32_e64 s[8:9], 8, v7
	v_cndmask_b32_e64 v7, v15, v21, s[8:9]
	v_cndmask_b32_e64 v8, v8, v20, s[8:9]
	v_lshlrev_b32_e32 v6, 24, v6
	v_lshlrev_b32_e32 v8, 20, v8
	v_and_b32_e32 v6, 0x80000000, v6
	v_lshl_add_u32 v7, v7, 23, v61
	v_or3_b32 v8, v6, v7, v8
.LBB388_1779:                           ;   in Loop: Header=BB388_1330 Depth=1
	s_or_b64 exec, exec, s[34:35]
.LBB388_1780:                           ;   in Loop: Header=BB388_1330 Depth=1
	s_or_b64 exec, exec, s[30:31]
.LBB388_1781:                           ;   in Loop: Header=BB388_1330 Depth=1
	s_or_b64 exec, exec, s[28:29]
	v_mul_f32_e32 v7, v9, v8
	v_and_b32_e32 v6, 0x7f800000, v7
	v_cmp_ne_u32_e64 s[8:9], s15, v6
                                        ; implicit-def: $vgpr6
	s_and_saveexec_b64 s[28:29], s[8:9]
	s_xor_b64 s[8:9], exec, s[28:29]
; %bb.1782:                             ;   in Loop: Header=BB388_1330 Depth=1
	v_bfe_u32 v6, v7, 16, 1
	v_add3_u32 v6, v7, v6, s36
                                        ; implicit-def: $vgpr7
; %bb.1783:                             ;   in Loop: Header=BB388_1330 Depth=1
	s_andn2_saveexec_b64 s[28:29], s[8:9]
; %bb.1784:                             ;   in Loop: Header=BB388_1330 Depth=1
	v_or_b32_e32 v6, 0x10000, v7
	v_cmp_eq_u32_sdwa s[8:9], v7, v31 src0_sel:WORD_0 src1_sel:DWORD
	v_cndmask_b32_e64 v6, v6, v7, s[8:9]
; %bb.1785:                             ;   in Loop: Header=BB388_1330 Depth=1
	s_or_b64 exec, exec, s[28:29]
	v_lshrrev_b32_e32 v8, 16, v14
	v_lshrrev_b32_e32 v14, 16, v18
	;; [unrolled: 1-line block ×8, first 2 shown]
	s_and_saveexec_b64 s[28:29], vcc
	s_cbranch_execz .LBB388_1787
; %bb.1786:                             ;   in Loop: Header=BB388_1330 Depth=1
	buffer_load_dword v17, off, s[0:3], s32 offset:196 ; 4-byte Folded Reload
	v_accvgpr_read_b32 v18, a18
	s_waitcnt vmcnt(0)
	v_cmp_lt_i32_e64 s[8:9], v40, v17
	v_cndmask_b32_e64 v12, 0, v12, s[8:9]
	v_cmp_lt_i32_e64 s[8:9], v18, v17
	v_accvgpr_read_b32 v18, a63
	v_cndmask_b32_e64 v13, 0, v13, s[8:9]
	v_cmp_lt_i32_e64 s[8:9], v18, v17
	v_accvgpr_read_b32 v18, a62
	;; [unrolled: 3-line block ×5, first 2 shown]
	v_cndmask_b32_e64 v8, 0, v8, s[8:9]
	v_cmp_lt_i32_e64 s[8:9], v18, v17
	v_cndmask_b32_e64 v7, 0, v7, s[8:9]
	v_cmp_lt_i32_e64 s[8:9], v50, v17
	v_cndmask_b32_e64 v6, 0, v6, s[8:9]
.LBB388_1787:                           ;   in Loop: Header=BB388_1330 Depth=1
	s_or_b64 exec, exec, s[28:29]
	v_lshlrev_b32_e32 v12, 16, v12
	v_mul_f32_e32 v12, v27, v12
	v_and_b32_e32 v17, 0x7f800000, v12
	v_cmp_ne_u32_e64 s[8:9], s15, v17
                                        ; implicit-def: $vgpr17
                                        ; kill: killed $vgpr17
	s_and_saveexec_b64 s[28:29], s[8:9]
	s_xor_b64 s[8:9], exec, s[28:29]
	s_cbranch_execz .LBB388_1789
; %bb.1788:                             ;   in Loop: Header=BB388_1330 Depth=1
	v_bfe_u32 v17, v12, 16, 1
	v_add3_u32 v12, v12, v17, s36
	buffer_store_dword v12, off, s[0:3], s32 offset:464 ; 4-byte Folded Spill
                                        ; implicit-def: $vgpr12
.LBB388_1789:                           ;   in Loop: Header=BB388_1330 Depth=1
	s_andn2_saveexec_b64 s[28:29], s[8:9]
	s_cbranch_execz .LBB388_1791
; %bb.1790:                             ;   in Loop: Header=BB388_1330 Depth=1
	v_or_b32_e32 v17, 0x10000, v12
	v_cmp_eq_u32_sdwa s[8:9], v12, v31 src0_sel:WORD_0 src1_sel:DWORD
	v_cndmask_b32_e64 v12, v17, v12, s[8:9]
	buffer_store_dword v12, off, s[0:3], s32 offset:464 ; 4-byte Folded Spill
.LBB388_1791:                           ;   in Loop: Header=BB388_1330 Depth=1
	s_or_b64 exec, exec, s[28:29]
	v_lshlrev_b32_e32 v12, 16, v13
	v_mul_f32_e32 v12, v23, v12
	v_and_b32_e32 v13, 0x7f800000, v12
	v_cmp_ne_u32_e64 s[8:9], s15, v13
                                        ; implicit-def: $vgpr13
                                        ; kill: killed $vgpr13
	s_and_saveexec_b64 s[28:29], s[8:9]
	s_xor_b64 s[8:9], exec, s[28:29]
	s_cbranch_execz .LBB388_1793
; %bb.1792:                             ;   in Loop: Header=BB388_1330 Depth=1
	v_bfe_u32 v13, v12, 16, 1
	v_add3_u32 v12, v12, v13, s36
	buffer_store_dword v12, off, s[0:3], s32 offset:468 ; 4-byte Folded Spill
                                        ; implicit-def: $vgpr12
.LBB388_1793:                           ;   in Loop: Header=BB388_1330 Depth=1
	s_andn2_saveexec_b64 s[28:29], s[8:9]
	s_cbranch_execz .LBB388_1795
; %bb.1794:                             ;   in Loop: Header=BB388_1330 Depth=1
	v_or_b32_e32 v13, 0x10000, v12
	v_cmp_eq_u32_sdwa s[8:9], v12, v31 src0_sel:WORD_0 src1_sel:DWORD
	v_cndmask_b32_e64 v12, v13, v12, s[8:9]
	buffer_store_dword v12, off, s[0:3], s32 offset:468 ; 4-byte Folded Spill
.LBB388_1795:                           ;   in Loop: Header=BB388_1330 Depth=1
	s_or_b64 exec, exec, s[28:29]
	v_lshlrev_b32_e32 v12, 16, v16
	v_mul_f32_e32 v12, v55, v12
	v_and_b32_e32 v13, 0x7f800000, v12
	v_cmp_ne_u32_e64 s[8:9], s15, v13
                                        ; implicit-def: $vgpr13
                                        ; kill: killed $vgpr13
	;; [unrolled: 24-line block ×4, first 2 shown]
	s_and_saveexec_b64 s[28:29], s[8:9]
	s_xor_b64 s[8:9], exec, s[28:29]
	s_cbranch_execz .LBB388_1805
; %bb.1804:                             ;   in Loop: Header=BB388_1330 Depth=1
	v_bfe_u32 v13, v12, 16, 1
	v_add3_u32 v12, v12, v13, s36
	buffer_store_dword v12, off, s[0:3], s32 offset:480 ; 4-byte Folded Spill
                                        ; implicit-def: $vgpr12
.LBB388_1805:                           ;   in Loop: Header=BB388_1330 Depth=1
	s_andn2_saveexec_b64 s[28:29], s[8:9]
	s_cbranch_execz .LBB388_1807
; %bb.1806:                             ;   in Loop: Header=BB388_1330 Depth=1
	v_or_b32_e32 v13, 0x10000, v12
	v_cmp_eq_u32_sdwa s[8:9], v12, v31 src0_sel:WORD_0 src1_sel:DWORD
	v_cndmask_b32_e64 v12, v13, v12, s[8:9]
	buffer_store_dword v12, off, s[0:3], s32 offset:480 ; 4-byte Folded Spill
.LBB388_1807:                           ;   in Loop: Header=BB388_1330 Depth=1
	s_or_b64 exec, exec, s[28:29]
	v_lshlrev_b32_e32 v8, 16, v8
	v_mul_f32_e32 v8, v5, v8
	v_and_b32_e32 v12, 0x7f800000, v8
	v_cmp_ne_u32_e64 s[8:9], s15, v12
                                        ; implicit-def: $vgpr12
                                        ; kill: killed $vgpr12
	s_and_saveexec_b64 s[28:29], s[8:9]
	s_xor_b64 s[8:9], exec, s[28:29]
	s_cbranch_execz .LBB388_1809
; %bb.1808:                             ;   in Loop: Header=BB388_1330 Depth=1
	v_bfe_u32 v12, v8, 16, 1
	v_add3_u32 v8, v8, v12, s36
	buffer_store_dword v8, off, s[0:3], s32 offset:484 ; 4-byte Folded Spill
                                        ; implicit-def: $vgpr8
.LBB388_1809:                           ;   in Loop: Header=BB388_1330 Depth=1
	s_andn2_saveexec_b64 s[28:29], s[8:9]
	s_cbranch_execz .LBB388_1811
; %bb.1810:                             ;   in Loop: Header=BB388_1330 Depth=1
	v_or_b32_e32 v12, 0x10000, v8
	v_cmp_eq_u32_sdwa s[8:9], v8, v31 src0_sel:WORD_0 src1_sel:DWORD
	v_cndmask_b32_e64 v8, v12, v8, s[8:9]
	buffer_store_dword v8, off, s[0:3], s32 offset:484 ; 4-byte Folded Spill
.LBB388_1811:                           ;   in Loop: Header=BB388_1330 Depth=1
	s_or_b64 exec, exec, s[28:29]
	v_lshlrev_b32_e32 v7, 16, v7
	v_mul_f32_e32 v7, v10, v7
	v_and_b32_e32 v8, 0x7f800000, v7
	v_cmp_ne_u32_e64 s[8:9], s15, v8
                                        ; implicit-def: $vgpr8
                                        ; kill: killed $vgpr8
	s_and_saveexec_b64 s[28:29], s[8:9]
	s_xor_b64 s[8:9], exec, s[28:29]
	s_cbranch_execz .LBB388_1813
; %bb.1812:                             ;   in Loop: Header=BB388_1330 Depth=1
	v_bfe_u32 v8, v7, 16, 1
	v_add3_u32 v7, v7, v8, s36
	buffer_store_dword v7, off, s[0:3], s32 offset:488 ; 4-byte Folded Spill
                                        ; implicit-def: $vgpr7
.LBB388_1813:                           ;   in Loop: Header=BB388_1330 Depth=1
	s_andn2_saveexec_b64 s[28:29], s[8:9]
	s_cbranch_execz .LBB388_1815
; %bb.1814:                             ;   in Loop: Header=BB388_1330 Depth=1
	v_or_b32_e32 v8, 0x10000, v7
	v_cmp_eq_u32_sdwa s[8:9], v7, v31 src0_sel:WORD_0 src1_sel:DWORD
	v_cndmask_b32_e64 v7, v8, v7, s[8:9]
	buffer_store_dword v7, off, s[0:3], s32 offset:488 ; 4-byte Folded Spill
.LBB388_1815:                           ;   in Loop: Header=BB388_1330 Depth=1
	s_or_b64 exec, exec, s[28:29]
	v_lshlrev_b32_e32 v6, 16, v6
	v_mul_f32_e32 v6, v11, v6
	v_and_b32_e32 v7, 0x7f800000, v6
	v_cmp_ne_u32_e64 s[8:9], s15, v7
                                        ; implicit-def: $vgpr7
                                        ; kill: killed $vgpr7
	s_and_saveexec_b64 s[28:29], s[8:9]
	s_xor_b64 s[8:9], exec, s[28:29]
	s_cbranch_execz .LBB388_1817
; %bb.1816:                             ;   in Loop: Header=BB388_1330 Depth=1
	v_bfe_u32 v7, v6, 16, 1
	v_add3_u32 v6, v6, v7, s36
	buffer_store_dword v6, off, s[0:3], s32 offset:492 ; 4-byte Folded Spill
                                        ; implicit-def: $vgpr6
.LBB388_1817:                           ;   in Loop: Header=BB388_1330 Depth=1
	s_andn2_saveexec_b64 s[28:29], s[8:9]
	s_cbranch_execz .LBB388_1819
; %bb.1818:                             ;   in Loop: Header=BB388_1330 Depth=1
	v_or_b32_e32 v7, 0x10000, v6
	v_cmp_eq_u32_sdwa s[8:9], v6, v31 src0_sel:WORD_0 src1_sel:DWORD
	v_cndmask_b32_e64 v6, v7, v6, s[8:9]
	buffer_store_dword v6, off, s[0:3], s32 offset:492 ; 4-byte Folded Spill
.LBB388_1819:                           ;   in Loop: Header=BB388_1330 Depth=1
	s_or_b64 exec, exec, s[28:29]
	flat_load_dwordx2 v[6:7], v[2:3] offset:2048
	v_mov_b32_e32 v8, 0
	s_waitcnt vmcnt(0) lgkmcnt(0)
	v_cmp_ne_u16_sdwa s[8:9], v6, v31 src0_sel:BYTE_0 src1_sel:DWORD
	s_and_saveexec_b64 s[28:29], s[8:9]
	s_cbranch_execz .LBB388_1825
; %bb.1820:                             ;   in Loop: Header=BB388_1330 Depth=1
	v_cmp_ne_u16_sdwa s[8:9], v6, s37 src0_sel:BYTE_0 src1_sel:DWORD
	v_bfrev_b32_e32 v8, 1
	s_and_saveexec_b64 s[30:31], s[8:9]
	s_cbranch_execz .LBB388_1824
; %bb.1821:                             ;   in Loop: Header=BB388_1330 Depth=1
	v_and_b32_e32 v12, 0x7f, v6
	v_cmp_ne_u32_e64 s[8:9], s38, v12
	v_mov_b32_e32 v8, 0x7f800001
	s_and_saveexec_b64 s[34:35], s[8:9]
	s_cbranch_execz .LBB388_1823
; %bb.1822:                             ;   in Loop: Header=BB388_1330 Depth=1
	v_and_b32_e32 v8, 7, v6
	v_ffbh_u32_e32 v8, v8
	v_min_u32_e32 v8, 32, v8
	v_subrev_u32_e32 v14, 28, v8
	v_cmp_gt_u32_e64 s[8:9], 8, v12
	v_lshrrev_b32_e32 v13, 3, v12
	v_sub_u32_e32 v8, 29, v8
	v_cndmask_b32_e64 v12, 0, v14, s[8:9]
	v_cndmask_b32_e64 v8, v13, v8, s[8:9]
	v_lshlrev_b64 v[12:13], v12, v[6:7]
	v_lshlrev_b32_e32 v12, 20, v12
	v_lshlrev_b32_e32 v13, 24, v6
	v_and_b32_e32 v12, 0x700000, v12
	v_and_b32_e32 v13, 0x80000000, v13
	v_lshl_add_u32 v8, v8, 23, v61
	v_or3_b32 v8, v13, v8, v12
.LBB388_1823:                           ;   in Loop: Header=BB388_1330 Depth=1
	s_or_b64 exec, exec, s[34:35]
.LBB388_1824:                           ;   in Loop: Header=BB388_1330 Depth=1
	s_or_b64 exec, exec, s[30:31]
.LBB388_1825:                           ;   in Loop: Header=BB388_1330 Depth=1
	s_or_b64 exec, exec, s[28:29]
	v_mul_f32_e32 v8, v9, v8
	v_and_b32_e32 v12, 0x7f800000, v8
	v_cmp_ne_u32_e64 s[8:9], s15, v12
                                        ; implicit-def: $vgpr12
	s_and_saveexec_b64 s[28:29], s[8:9]
	s_xor_b64 s[8:9], exec, s[28:29]
; %bb.1826:                             ;   in Loop: Header=BB388_1330 Depth=1
	v_bfe_u32 v12, v8, 16, 1
	v_add3_u32 v12, v8, v12, s36
                                        ; implicit-def: $vgpr8
; %bb.1827:                             ;   in Loop: Header=BB388_1330 Depth=1
	s_andn2_saveexec_b64 s[28:29], s[8:9]
; %bb.1828:                             ;   in Loop: Header=BB388_1330 Depth=1
	v_or_b32_e32 v12, 0x10000, v8
	v_cmp_eq_u32_sdwa s[8:9], v8, v31 src0_sel:WORD_0 src1_sel:DWORD
	v_cndmask_b32_e64 v12, v12, v8, s[8:9]
; %bb.1829:                             ;   in Loop: Header=BB388_1330 Depth=1
	s_or_b64 exec, exec, s[28:29]
	v_lshrrev_b16_e32 v8, 8, v6
	v_cmp_ne_u16_e64 s[8:9], 0, v8
	v_mov_b32_e32 v13, 0
	s_and_saveexec_b64 s[28:29], s[8:9]
	s_cbranch_execz .LBB388_1835
; %bb.1830:                             ;   in Loop: Header=BB388_1330 Depth=1
	v_cmp_ne_u16_e64 s[8:9], s37, v8
	v_bfrev_b32_e32 v13, 1
	s_and_saveexec_b64 s[30:31], s[8:9]
	s_cbranch_execz .LBB388_1834
; %bb.1831:                             ;   in Loop: Header=BB388_1330 Depth=1
	v_and_b32_e32 v14, 0x7f, v8
	v_cmp_ne_u32_e64 s[8:9], s38, v14
	v_mov_b32_e32 v13, 0x7f800001
	s_and_saveexec_b64 s[34:35], s[8:9]
	s_cbranch_execz .LBB388_1833
; %bb.1832:                             ;   in Loop: Header=BB388_1330 Depth=1
	v_and_b32_e32 v13, 7, v8
	v_ffbh_u32_e32 v16, v13
	v_min_u32_e32 v18, 32, v16
	v_subrev_u32_e32 v16, 28, v18
	v_lshlrev_b64 v[16:17], v16, v[8:9]
	v_lshrrev_b32_e32 v15, 3, v14
	v_sub_u32_e32 v8, 29, v18
	v_and_b32_e32 v16, 7, v16
	v_cmp_gt_u32_e64 s[8:9], 8, v14
	v_cndmask_b32_e64 v8, v15, v8, s[8:9]
	v_cndmask_b32_e64 v13, v13, v16, s[8:9]
	v_lshlrev_b32_e32 v14, 16, v6
	v_lshlrev_b32_e32 v13, 20, v13
	v_and_b32_e32 v14, 0x80000000, v14
	v_lshl_add_u32 v8, v8, 23, v61
	v_or3_b32 v13, v14, v8, v13
.LBB388_1833:                           ;   in Loop: Header=BB388_1330 Depth=1
	s_or_b64 exec, exec, s[34:35]
.LBB388_1834:                           ;   in Loop: Header=BB388_1330 Depth=1
	s_or_b64 exec, exec, s[30:31]
.LBB388_1835:                           ;   in Loop: Header=BB388_1330 Depth=1
	s_or_b64 exec, exec, s[28:29]
	v_mul_f32_e32 v8, v9, v13
	v_and_b32_e32 v13, 0x7f800000, v8
	v_cmp_ne_u32_e64 s[8:9], s15, v13
                                        ; implicit-def: $vgpr13
	s_and_saveexec_b64 s[28:29], s[8:9]
	s_xor_b64 s[8:9], exec, s[28:29]
; %bb.1836:                             ;   in Loop: Header=BB388_1330 Depth=1
	v_bfe_u32 v13, v8, 16, 1
	v_add3_u32 v13, v8, v13, s36
                                        ; implicit-def: $vgpr8
; %bb.1837:                             ;   in Loop: Header=BB388_1330 Depth=1
	s_andn2_saveexec_b64 s[28:29], s[8:9]
; %bb.1838:                             ;   in Loop: Header=BB388_1330 Depth=1
	v_or_b32_e32 v13, 0x10000, v8
	v_cmp_eq_u32_sdwa s[8:9], v8, v31 src0_sel:WORD_0 src1_sel:DWORD
	v_cndmask_b32_e64 v13, v13, v8, s[8:9]
; %bb.1839:                             ;   in Loop: Header=BB388_1330 Depth=1
	s_or_b64 exec, exec, s[28:29]
	v_lshrrev_b32_e32 v8, 16, v6
	v_cmp_ne_u16_sdwa s[8:9], v8, v31 src0_sel:BYTE_0 src1_sel:DWORD
	v_mov_b32_e32 v14, 0
	s_and_saveexec_b64 s[28:29], s[8:9]
	s_cbranch_execz .LBB388_1845
; %bb.1840:                             ;   in Loop: Header=BB388_1330 Depth=1
	v_cmp_ne_u16_sdwa s[8:9], v8, s37 src0_sel:BYTE_0 src1_sel:DWORD
	v_bfrev_b32_e32 v14, 1
	s_and_saveexec_b64 s[30:31], s[8:9]
	s_cbranch_execz .LBB388_1844
; %bb.1841:                             ;   in Loop: Header=BB388_1330 Depth=1
	v_bfe_u32 v15, v6, 16, 7
	v_cmp_ne_u32_e64 s[8:9], s38, v15
	v_mov_b32_e32 v14, 0x7f800001
	s_and_saveexec_b64 s[34:35], s[8:9]
	s_cbranch_execz .LBB388_1843
; %bb.1842:                             ;   in Loop: Header=BB388_1330 Depth=1
	v_and_b32_e32 v14, 7, v8
	v_ffbh_u32_e32 v16, v14
	v_min_u32_e32 v19, 32, v16
	v_subrev_u32_e32 v16, 28, v19
	v_lshlrev_b64 v[16:17], v16, v[8:9]
	v_lshrrev_b32_e32 v18, 3, v15
	v_sub_u32_e32 v17, 29, v19
	v_and_b32_e32 v16, 7, v16
	v_cmp_gt_u32_e64 s[8:9], 8, v15
	v_cndmask_b32_e64 v15, v18, v17, s[8:9]
	v_cndmask_b32_e64 v14, v14, v16, s[8:9]
	v_lshlrev_b32_e32 v8, 24, v8
	v_lshlrev_b32_e32 v14, 20, v14
	v_and_b32_e32 v8, 0x80000000, v8
	v_lshl_add_u32 v15, v15, 23, v61
	v_or3_b32 v14, v8, v15, v14
.LBB388_1843:                           ;   in Loop: Header=BB388_1330 Depth=1
	s_or_b64 exec, exec, s[34:35]
.LBB388_1844:                           ;   in Loop: Header=BB388_1330 Depth=1
	s_or_b64 exec, exec, s[30:31]
.LBB388_1845:                           ;   in Loop: Header=BB388_1330 Depth=1
	s_or_b64 exec, exec, s[28:29]
	v_mul_f32_e32 v8, v9, v14
	v_and_b32_e32 v14, 0x7f800000, v8
	v_cmp_ne_u32_e64 s[8:9], s15, v14
                                        ; implicit-def: $vgpr16
	s_and_saveexec_b64 s[28:29], s[8:9]
	s_xor_b64 s[8:9], exec, s[28:29]
; %bb.1846:                             ;   in Loop: Header=BB388_1330 Depth=1
	v_bfe_u32 v14, v8, 16, 1
	v_add3_u32 v16, v8, v14, s36
                                        ; implicit-def: $vgpr8
; %bb.1847:                             ;   in Loop: Header=BB388_1330 Depth=1
	s_andn2_saveexec_b64 s[28:29], s[8:9]
; %bb.1848:                             ;   in Loop: Header=BB388_1330 Depth=1
	v_or_b32_e32 v14, 0x10000, v8
	v_cmp_eq_u32_sdwa s[8:9], v8, v31 src0_sel:WORD_0 src1_sel:DWORD
	v_cndmask_b32_e64 v16, v14, v8, s[8:9]
; %bb.1849:                             ;   in Loop: Header=BB388_1330 Depth=1
	s_or_b64 exec, exec, s[28:29]
	v_cmp_lt_u32_e64 s[8:9], s17, v6
	v_mov_b32_e32 v14, 0
	s_and_saveexec_b64 s[28:29], s[8:9]
	s_cbranch_execz .LBB388_1855
; %bb.1850:                             ;   in Loop: Header=BB388_1330 Depth=1
	v_lshrrev_b32_e32 v8, 24, v6
	v_cmp_ne_u32_e64 s[8:9], s37, v8
	v_bfrev_b32_e32 v14, 1
	s_and_saveexec_b64 s[30:31], s[8:9]
	s_cbranch_execz .LBB388_1854
; %bb.1851:                             ;   in Loop: Header=BB388_1330 Depth=1
	v_bfe_u32 v15, v6, 24, 7
	v_cmp_ne_u32_e64 s[8:9], s38, v15
	v_mov_b32_e32 v14, 0x7f800001
	s_and_saveexec_b64 s[34:35], s[8:9]
	s_cbranch_execz .LBB388_1853
; %bb.1852:                             ;   in Loop: Header=BB388_1330 Depth=1
	v_and_b32_e32 v14, 7, v8
	v_ffbh_u32_e32 v18, v14
	v_min_u32_e32 v20, 32, v18
	v_subrev_u32_e32 v18, 28, v20
	v_lshlrev_b64 v[18:19], v18, v[8:9]
	v_lshrrev_b32_e32 v17, 3, v15
	v_sub_u32_e32 v19, 29, v20
	v_and_b32_e32 v18, 7, v18
	v_cmp_gt_u32_e64 s[8:9], 8, v15
	v_cndmask_b32_e64 v15, v17, v19, s[8:9]
	v_cndmask_b32_e64 v14, v14, v18, s[8:9]
	v_lshlrev_b32_e32 v8, 24, v8
	v_lshlrev_b32_e32 v14, 20, v14
	v_and_b32_e32 v8, 0x80000000, v8
	v_lshl_add_u32 v15, v15, 23, v61
	v_or3_b32 v14, v8, v15, v14
.LBB388_1853:                           ;   in Loop: Header=BB388_1330 Depth=1
	s_or_b64 exec, exec, s[34:35]
.LBB388_1854:                           ;   in Loop: Header=BB388_1330 Depth=1
	s_or_b64 exec, exec, s[30:31]
.LBB388_1855:                           ;   in Loop: Header=BB388_1330 Depth=1
	s_or_b64 exec, exec, s[28:29]
	v_mul_f32_e32 v8, v9, v14
	v_and_b32_e32 v14, 0x7f800000, v8
	v_cmp_ne_u32_e64 s[8:9], s15, v14
                                        ; implicit-def: $vgpr17
	s_and_saveexec_b64 s[28:29], s[8:9]
	s_xor_b64 s[8:9], exec, s[28:29]
; %bb.1856:                             ;   in Loop: Header=BB388_1330 Depth=1
	v_bfe_u32 v14, v8, 16, 1
	v_add3_u32 v17, v8, v14, s36
                                        ; implicit-def: $vgpr8
; %bb.1857:                             ;   in Loop: Header=BB388_1330 Depth=1
	s_andn2_saveexec_b64 s[28:29], s[8:9]
; %bb.1858:                             ;   in Loop: Header=BB388_1330 Depth=1
	v_or_b32_e32 v14, 0x10000, v8
	v_cmp_eq_u32_sdwa s[8:9], v8, v31 src0_sel:WORD_0 src1_sel:DWORD
	v_cndmask_b32_e64 v17, v14, v8, s[8:9]
; %bb.1859:                             ;   in Loop: Header=BB388_1330 Depth=1
	s_or_b64 exec, exec, s[28:29]
	v_mov_b32_e32 v30, v7
	v_cmp_ne_u16_sdwa s[8:9], v7, v31 src0_sel:BYTE_0 src1_sel:DWORD
	v_mov_b32_e32 v8, 0
	s_and_saveexec_b64 s[28:29], s[8:9]
	s_cbranch_execz .LBB388_1865
; %bb.1860:                             ;   in Loop: Header=BB388_1330 Depth=1
	v_cmp_ne_u16_sdwa s[8:9], v7, s37 src0_sel:BYTE_0 src1_sel:DWORD
	v_bfrev_b32_e32 v8, 1
	s_and_saveexec_b64 s[30:31], s[8:9]
	s_cbranch_execz .LBB388_1864
; %bb.1861:                             ;   in Loop: Header=BB388_1330 Depth=1
	v_and_b32_e32 v14, 0x7f, v7
	v_cmp_ne_u32_e64 s[8:9], s38, v14
	v_mov_b32_e32 v8, 0x7f800001
	s_and_saveexec_b64 s[34:35], s[8:9]
	s_cbranch_execz .LBB388_1863
; %bb.1862:                             ;   in Loop: Header=BB388_1330 Depth=1
	v_and_b32_e32 v8, 7, v7
	v_ffbh_u32_e32 v8, v8
	v_min_u32_e32 v8, 32, v8
	v_subrev_u32_e32 v18, 28, v8
	v_cmp_gt_u32_e64 s[8:9], 8, v14
	v_lshrrev_b32_e32 v15, 3, v14
	v_sub_u32_e32 v8, 29, v8
	v_cndmask_b32_e64 v14, 0, v18, s[8:9]
	v_cndmask_b32_e64 v8, v15, v8, s[8:9]
	v_lshlrev_b64 v[14:15], v14, v[30:31]
	v_lshlrev_b32_e32 v14, 20, v14
	v_lshlrev_b32_e32 v15, 24, v30
	v_and_b32_e32 v14, 0x700000, v14
	v_and_b32_e32 v15, 0x80000000, v15
	v_lshl_add_u32 v8, v8, 23, v61
	v_or3_b32 v8, v15, v8, v14
.LBB388_1863:                           ;   in Loop: Header=BB388_1330 Depth=1
	s_or_b64 exec, exec, s[34:35]
.LBB388_1864:                           ;   in Loop: Header=BB388_1330 Depth=1
	s_or_b64 exec, exec, s[30:31]
.LBB388_1865:                           ;   in Loop: Header=BB388_1330 Depth=1
	s_or_b64 exec, exec, s[28:29]
	v_mul_f32_e32 v8, v9, v8
	v_and_b32_e32 v14, 0x7f800000, v8
	v_cmp_ne_u32_e64 s[8:9], s15, v14
                                        ; implicit-def: $vgpr18
	s_and_saveexec_b64 s[28:29], s[8:9]
	s_xor_b64 s[8:9], exec, s[28:29]
; %bb.1866:                             ;   in Loop: Header=BB388_1330 Depth=1
	v_bfe_u32 v14, v8, 16, 1
	v_add3_u32 v18, v8, v14, s36
                                        ; implicit-def: $vgpr8
; %bb.1867:                             ;   in Loop: Header=BB388_1330 Depth=1
	s_andn2_saveexec_b64 s[28:29], s[8:9]
; %bb.1868:                             ;   in Loop: Header=BB388_1330 Depth=1
	v_or_b32_e32 v14, 0x10000, v8
	v_cmp_eq_u32_sdwa s[8:9], v8, v31 src0_sel:WORD_0 src1_sel:DWORD
	v_cndmask_b32_e64 v18, v14, v8, s[8:9]
; %bb.1869:                             ;   in Loop: Header=BB388_1330 Depth=1
	s_or_b64 exec, exec, s[28:29]
	v_lshrrev_b16_e32 v8, 8, v30
	v_cmp_ne_u16_e64 s[8:9], 0, v8
	v_mov_b32_e32 v14, 0
	s_and_saveexec_b64 s[28:29], s[8:9]
	s_cbranch_execz .LBB388_1875
; %bb.1870:                             ;   in Loop: Header=BB388_1330 Depth=1
	v_cmp_ne_u16_e64 s[8:9], s37, v8
	v_bfrev_b32_e32 v14, 1
	s_and_saveexec_b64 s[30:31], s[8:9]
	s_cbranch_execz .LBB388_1874
; %bb.1871:                             ;   in Loop: Header=BB388_1330 Depth=1
	v_and_b32_e32 v15, 0x7f, v8
	v_cmp_ne_u32_e64 s[8:9], s38, v15
	v_mov_b32_e32 v14, 0x7f800001
	s_and_saveexec_b64 s[34:35], s[8:9]
	s_cbranch_execz .LBB388_1873
; %bb.1872:                             ;   in Loop: Header=BB388_1330 Depth=1
	v_and_b32_e32 v14, 7, v8
	v_ffbh_u32_e32 v20, v14
	v_min_u32_e32 v22, 32, v20
	v_subrev_u32_e32 v20, 28, v22
	v_lshlrev_b64 v[20:21], v20, v[8:9]
	v_lshrrev_b32_e32 v19, 3, v15
	v_sub_u32_e32 v8, 29, v22
	v_and_b32_e32 v20, 7, v20
	v_cmp_gt_u32_e64 s[8:9], 8, v15
	v_cndmask_b32_e64 v8, v19, v8, s[8:9]
	v_cndmask_b32_e64 v14, v14, v20, s[8:9]
	v_lshlrev_b32_e32 v15, 16, v30
	v_lshlrev_b32_e32 v14, 20, v14
	v_and_b32_e32 v15, 0x80000000, v15
	v_lshl_add_u32 v8, v8, 23, v61
	v_or3_b32 v14, v15, v8, v14
.LBB388_1873:                           ;   in Loop: Header=BB388_1330 Depth=1
	s_or_b64 exec, exec, s[34:35]
.LBB388_1874:                           ;   in Loop: Header=BB388_1330 Depth=1
	s_or_b64 exec, exec, s[30:31]
.LBB388_1875:                           ;   in Loop: Header=BB388_1330 Depth=1
	s_or_b64 exec, exec, s[28:29]
	v_mul_f32_e32 v8, v9, v14
	v_and_b32_e32 v14, 0x7f800000, v8
	v_cmp_ne_u32_e64 s[8:9], s15, v14
                                        ; implicit-def: $vgpr14
	s_and_saveexec_b64 s[28:29], s[8:9]
	s_xor_b64 s[8:9], exec, s[28:29]
; %bb.1876:                             ;   in Loop: Header=BB388_1330 Depth=1
	v_bfe_u32 v14, v8, 16, 1
	v_add3_u32 v14, v8, v14, s36
                                        ; implicit-def: $vgpr8
; %bb.1877:                             ;   in Loop: Header=BB388_1330 Depth=1
	s_andn2_saveexec_b64 s[28:29], s[8:9]
; %bb.1878:                             ;   in Loop: Header=BB388_1330 Depth=1
	v_or_b32_e32 v14, 0x10000, v8
	v_cmp_eq_u32_sdwa s[8:9], v8, v31 src0_sel:WORD_0 src1_sel:DWORD
	v_cndmask_b32_e64 v14, v14, v8, s[8:9]
; %bb.1879:                             ;   in Loop: Header=BB388_1330 Depth=1
	s_or_b64 exec, exec, s[28:29]
	v_lshrrev_b32_e32 v8, 16, v7
	v_cmp_ne_u16_sdwa s[8:9], v8, v31 src0_sel:BYTE_0 src1_sel:DWORD
	v_mov_b32_e32 v15, 0
	s_and_saveexec_b64 s[28:29], s[8:9]
	s_cbranch_execz .LBB388_1885
; %bb.1880:                             ;   in Loop: Header=BB388_1330 Depth=1
	v_cmp_ne_u16_sdwa s[8:9], v8, s37 src0_sel:BYTE_0 src1_sel:DWORD
	v_bfrev_b32_e32 v15, 1
	s_and_saveexec_b64 s[30:31], s[8:9]
	s_cbranch_execz .LBB388_1884
; %bb.1881:                             ;   in Loop: Header=BB388_1330 Depth=1
	v_bfe_u32 v19, v7, 16, 7
	v_cmp_ne_u32_e64 s[8:9], s38, v19
	v_mov_b32_e32 v15, 0x7f800001
	s_and_saveexec_b64 s[34:35], s[8:9]
	s_cbranch_execz .LBB388_1883
; %bb.1882:                             ;   in Loop: Header=BB388_1330 Depth=1
	v_and_b32_e32 v15, 7, v8
	v_ffbh_u32_e32 v20, v15
	v_min_u32_e32 v24, 32, v20
	v_subrev_u32_e32 v20, 28, v24
	v_lshlrev_b64 v[20:21], v20, v[8:9]
	v_lshrrev_b32_e32 v22, 3, v19
	v_sub_u32_e32 v21, 29, v24
	v_and_b32_e32 v20, 7, v20
	v_cmp_gt_u32_e64 s[8:9], 8, v19
	v_cndmask_b32_e64 v19, v22, v21, s[8:9]
	v_cndmask_b32_e64 v15, v15, v20, s[8:9]
	v_lshlrev_b32_e32 v8, 24, v8
	v_lshlrev_b32_e32 v15, 20, v15
	v_and_b32_e32 v8, 0x80000000, v8
	v_lshl_add_u32 v19, v19, 23, v61
	v_or3_b32 v15, v8, v19, v15
.LBB388_1883:                           ;   in Loop: Header=BB388_1330 Depth=1
	s_or_b64 exec, exec, s[34:35]
.LBB388_1884:                           ;   in Loop: Header=BB388_1330 Depth=1
	s_or_b64 exec, exec, s[30:31]
.LBB388_1885:                           ;   in Loop: Header=BB388_1330 Depth=1
	s_or_b64 exec, exec, s[28:29]
	v_mul_f32_e32 v8, v9, v15
	v_and_b32_e32 v15, 0x7f800000, v8
	v_cmp_ne_u32_e64 s[8:9], s15, v15
                                        ; implicit-def: $vgpr19
	s_and_saveexec_b64 s[28:29], s[8:9]
	s_xor_b64 s[8:9], exec, s[28:29]
; %bb.1886:                             ;   in Loop: Header=BB388_1330 Depth=1
	v_bfe_u32 v15, v8, 16, 1
	v_add3_u32 v19, v8, v15, s36
                                        ; implicit-def: $vgpr8
; %bb.1887:                             ;   in Loop: Header=BB388_1330 Depth=1
	s_andn2_saveexec_b64 s[28:29], s[8:9]
; %bb.1888:                             ;   in Loop: Header=BB388_1330 Depth=1
	v_or_b32_e32 v15, 0x10000, v8
	v_cmp_eq_u32_sdwa s[8:9], v8, v31 src0_sel:WORD_0 src1_sel:DWORD
	v_cndmask_b32_e64 v19, v15, v8, s[8:9]
; %bb.1889:                             ;   in Loop: Header=BB388_1330 Depth=1
	s_or_b64 exec, exec, s[28:29]
	v_cmp_lt_u64_e64 s[8:9], s[16:17], v[6:7]
	v_mov_b32_e32 v8, 0
	s_and_saveexec_b64 s[28:29], s[8:9]
	s_cbranch_execz .LBB388_1895
; %bb.1890:                             ;   in Loop: Header=BB388_1330 Depth=1
	v_lshrrev_b32_e32 v6, 24, v7
	v_cmp_ne_u32_e64 s[8:9], s37, v6
	v_bfrev_b32_e32 v8, 1
	s_and_saveexec_b64 s[30:31], s[8:9]
	s_cbranch_execz .LBB388_1894
; %bb.1891:                             ;   in Loop: Header=BB388_1330 Depth=1
	v_bfe_u32 v7, v7, 24, 7
	v_cmp_ne_u32_e64 s[8:9], s38, v7
	v_mov_b32_e32 v8, 0x7f800001
	s_and_saveexec_b64 s[34:35], s[8:9]
	s_cbranch_execz .LBB388_1893
; %bb.1892:                             ;   in Loop: Header=BB388_1330 Depth=1
	v_and_b32_e32 v8, 7, v6
	v_ffbh_u32_e32 v20, v8
	v_min_u32_e32 v22, 32, v20
	v_subrev_u32_e32 v20, 28, v22
	v_lshlrev_b64 v[20:21], v20, v[6:7]
	v_lshrrev_b32_e32 v15, 3, v7
	v_sub_u32_e32 v21, 29, v22
	v_and_b32_e32 v20, 7, v20
	v_cmp_gt_u32_e64 s[8:9], 8, v7
	v_cndmask_b32_e64 v7, v15, v21, s[8:9]
	v_cndmask_b32_e64 v8, v8, v20, s[8:9]
	v_lshlrev_b32_e32 v6, 24, v6
	v_lshlrev_b32_e32 v8, 20, v8
	v_and_b32_e32 v6, 0x80000000, v6
	v_lshl_add_u32 v7, v7, 23, v61
	v_or3_b32 v8, v6, v7, v8
.LBB388_1893:                           ;   in Loop: Header=BB388_1330 Depth=1
	s_or_b64 exec, exec, s[34:35]
.LBB388_1894:                           ;   in Loop: Header=BB388_1330 Depth=1
	s_or_b64 exec, exec, s[30:31]
.LBB388_1895:                           ;   in Loop: Header=BB388_1330 Depth=1
	s_or_b64 exec, exec, s[28:29]
	v_mul_f32_e32 v7, v9, v8
	v_and_b32_e32 v6, 0x7f800000, v7
	v_cmp_ne_u32_e64 s[8:9], s15, v6
                                        ; implicit-def: $vgpr6
	s_and_saveexec_b64 s[28:29], s[8:9]
	s_xor_b64 s[8:9], exec, s[28:29]
; %bb.1896:                             ;   in Loop: Header=BB388_1330 Depth=1
	v_bfe_u32 v6, v7, 16, 1
	v_add3_u32 v6, v7, v6, s36
                                        ; implicit-def: $vgpr7
; %bb.1897:                             ;   in Loop: Header=BB388_1330 Depth=1
	s_andn2_saveexec_b64 s[28:29], s[8:9]
; %bb.1898:                             ;   in Loop: Header=BB388_1330 Depth=1
	v_or_b32_e32 v6, 0x10000, v7
	v_cmp_eq_u32_sdwa s[8:9], v7, v31 src0_sel:WORD_0 src1_sel:DWORD
	v_cndmask_b32_e64 v6, v6, v7, s[8:9]
; %bb.1899:                             ;   in Loop: Header=BB388_1330 Depth=1
	s_or_b64 exec, exec, s[28:29]
	v_lshrrev_b32_e32 v8, 16, v14
	v_lshrrev_b32_e32 v14, 16, v18
	;; [unrolled: 1-line block ×8, first 2 shown]
	s_and_saveexec_b64 s[28:29], vcc
	s_cbranch_execz .LBB388_1901
; %bb.1900:                             ;   in Loop: Header=BB388_1330 Depth=1
	buffer_load_dword v17, off, s[0:3], s32 offset:196 ; 4-byte Folded Reload
	v_accvgpr_read_b32 v18, a18
	s_waitcnt vmcnt(0)
	v_cmp_lt_i32_e64 s[8:9], v40, v17
	v_cndmask_b32_e64 v12, 0, v12, s[8:9]
	v_cmp_lt_i32_e64 s[8:9], v18, v17
	v_accvgpr_read_b32 v18, a63
	v_cndmask_b32_e64 v13, 0, v13, s[8:9]
	v_cmp_lt_i32_e64 s[8:9], v18, v17
	v_accvgpr_read_b32 v18, a62
	;; [unrolled: 3-line block ×5, first 2 shown]
	v_cndmask_b32_e64 v8, 0, v8, s[8:9]
	v_cmp_lt_i32_e64 s[8:9], v18, v17
	v_cndmask_b32_e64 v7, 0, v7, s[8:9]
	v_cmp_lt_i32_e64 s[8:9], v50, v17
	v_cndmask_b32_e64 v6, 0, v6, s[8:9]
.LBB388_1901:                           ;   in Loop: Header=BB388_1330 Depth=1
	s_or_b64 exec, exec, s[28:29]
	v_lshlrev_b32_e32 v12, 16, v12
	v_mul_f32_e32 v12, v27, v12
	v_and_b32_e32 v17, 0x7f800000, v12
	v_cmp_ne_u32_e64 s[8:9], s15, v17
                                        ; implicit-def: $agpr7
	s_and_saveexec_b64 s[28:29], s[8:9]
	s_xor_b64 s[8:9], exec, s[28:29]
; %bb.1902:                             ;   in Loop: Header=BB388_1330 Depth=1
	v_bfe_u32 v17, v12, 16, 1
	v_add3_u32 v12, v12, v17, s36
	v_accvgpr_write_b32 a7, v12
                                        ; implicit-def: $vgpr12
; %bb.1903:                             ;   in Loop: Header=BB388_1330 Depth=1
	s_andn2_saveexec_b64 s[28:29], s[8:9]
; %bb.1904:                             ;   in Loop: Header=BB388_1330 Depth=1
	v_or_b32_e32 v17, 0x10000, v12
	v_cmp_eq_u32_sdwa s[8:9], v12, v31 src0_sel:WORD_0 src1_sel:DWORD
	v_cndmask_b32_e64 v12, v17, v12, s[8:9]
	v_accvgpr_write_b32 a7, v12
; %bb.1905:                             ;   in Loop: Header=BB388_1330 Depth=1
	s_or_b64 exec, exec, s[28:29]
	v_lshlrev_b32_e32 v12, 16, v13
	v_mul_f32_e32 v12, v23, v12
	v_and_b32_e32 v13, 0x7f800000, v12
	v_cmp_ne_u32_e64 s[8:9], s15, v13
                                        ; implicit-def: $agpr9
	s_and_saveexec_b64 s[28:29], s[8:9]
	s_xor_b64 s[8:9], exec, s[28:29]
; %bb.1906:                             ;   in Loop: Header=BB388_1330 Depth=1
	v_bfe_u32 v13, v12, 16, 1
	v_add3_u32 v12, v12, v13, s36
	v_accvgpr_write_b32 a9, v12
                                        ; implicit-def: $vgpr12
; %bb.1907:                             ;   in Loop: Header=BB388_1330 Depth=1
	s_andn2_saveexec_b64 s[28:29], s[8:9]
; %bb.1908:                             ;   in Loop: Header=BB388_1330 Depth=1
	v_or_b32_e32 v13, 0x10000, v12
	v_cmp_eq_u32_sdwa s[8:9], v12, v31 src0_sel:WORD_0 src1_sel:DWORD
	v_cndmask_b32_e64 v12, v13, v12, s[8:9]
	v_accvgpr_write_b32 a9, v12
; %bb.1909:                             ;   in Loop: Header=BB388_1330 Depth=1
	s_or_b64 exec, exec, s[28:29]
	v_lshlrev_b32_e32 v12, 16, v16
	v_mul_f32_e32 v12, v55, v12
	v_and_b32_e32 v13, 0x7f800000, v12
	v_cmp_ne_u32_e64 s[8:9], s15, v13
                                        ; implicit-def: $agpr11
	s_and_saveexec_b64 s[28:29], s[8:9]
	s_xor_b64 s[8:9], exec, s[28:29]
; %bb.1910:                             ;   in Loop: Header=BB388_1330 Depth=1
	v_bfe_u32 v13, v12, 16, 1
	v_add3_u32 v12, v12, v13, s36
	v_accvgpr_write_b32 a11, v12
                                        ; implicit-def: $vgpr12
; %bb.1911:                             ;   in Loop: Header=BB388_1330 Depth=1
	s_andn2_saveexec_b64 s[28:29], s[8:9]
; %bb.1912:                             ;   in Loop: Header=BB388_1330 Depth=1
	v_or_b32_e32 v13, 0x10000, v12
	v_cmp_eq_u32_sdwa s[8:9], v12, v31 src0_sel:WORD_0 src1_sel:DWORD
	v_cndmask_b32_e64 v12, v13, v12, s[8:9]
	v_accvgpr_write_b32 a11, v12
; %bb.1913:                             ;   in Loop: Header=BB388_1330 Depth=1
	s_or_b64 exec, exec, s[28:29]
	v_lshlrev_b32_e32 v12, 16, v15
	v_mul_f32_e32 v12, v48, v12
	v_and_b32_e32 v13, 0x7f800000, v12
	v_cmp_ne_u32_e64 s[8:9], s15, v13
                                        ; implicit-def: $agpr6
	s_and_saveexec_b64 s[28:29], s[8:9]
	s_xor_b64 s[8:9], exec, s[28:29]
; %bb.1914:                             ;   in Loop: Header=BB388_1330 Depth=1
	v_bfe_u32 v13, v12, 16, 1
	v_add3_u32 v12, v12, v13, s36
	v_accvgpr_write_b32 a6, v12
                                        ; implicit-def: $vgpr12
; %bb.1915:                             ;   in Loop: Header=BB388_1330 Depth=1
	s_andn2_saveexec_b64 s[28:29], s[8:9]
; %bb.1916:                             ;   in Loop: Header=BB388_1330 Depth=1
	v_or_b32_e32 v13, 0x10000, v12
	v_cmp_eq_u32_sdwa s[8:9], v12, v31 src0_sel:WORD_0 src1_sel:DWORD
	v_cndmask_b32_e64 v12, v13, v12, s[8:9]
	v_accvgpr_write_b32 a6, v12
; %bb.1917:                             ;   in Loop: Header=BB388_1330 Depth=1
	s_or_b64 exec, exec, s[28:29]
	v_lshlrev_b32_e32 v12, 16, v14
	v_mul_f32_e32 v12, v62, v12
	v_and_b32_e32 v13, 0x7f800000, v12
	v_cmp_ne_u32_e64 s[8:9], s15, v13
                                        ; implicit-def: $agpr28
	s_and_saveexec_b64 s[28:29], s[8:9]
	s_xor_b64 s[8:9], exec, s[28:29]
; %bb.1918:                             ;   in Loop: Header=BB388_1330 Depth=1
	v_bfe_u32 v13, v12, 16, 1
	v_add3_u32 v12, v12, v13, s36
	v_accvgpr_write_b32 a28, v12
                                        ; implicit-def: $vgpr12
; %bb.1919:                             ;   in Loop: Header=BB388_1330 Depth=1
	s_andn2_saveexec_b64 s[28:29], s[8:9]
; %bb.1920:                             ;   in Loop: Header=BB388_1330 Depth=1
	v_or_b32_e32 v13, 0x10000, v12
	v_cmp_eq_u32_sdwa s[8:9], v12, v31 src0_sel:WORD_0 src1_sel:DWORD
	v_cndmask_b32_e64 v12, v13, v12, s[8:9]
	v_accvgpr_write_b32 a28, v12
; %bb.1921:                             ;   in Loop: Header=BB388_1330 Depth=1
	s_or_b64 exec, exec, s[28:29]
	v_lshlrev_b32_e32 v8, 16, v8
	v_mul_f32_e32 v8, v5, v8
	v_and_b32_e32 v12, 0x7f800000, v8
	v_cmp_ne_u32_e64 s[8:9], s15, v12
                                        ; implicit-def: $agpr29
	s_and_saveexec_b64 s[28:29], s[8:9]
	s_xor_b64 s[8:9], exec, s[28:29]
; %bb.1922:                             ;   in Loop: Header=BB388_1330 Depth=1
	v_bfe_u32 v12, v8, 16, 1
	v_add3_u32 v8, v8, v12, s36
	v_accvgpr_write_b32 a29, v8
                                        ; implicit-def: $vgpr8
; %bb.1923:                             ;   in Loop: Header=BB388_1330 Depth=1
	s_andn2_saveexec_b64 s[28:29], s[8:9]
; %bb.1924:                             ;   in Loop: Header=BB388_1330 Depth=1
	v_or_b32_e32 v12, 0x10000, v8
	v_cmp_eq_u32_sdwa s[8:9], v8, v31 src0_sel:WORD_0 src1_sel:DWORD
	v_cndmask_b32_e64 v8, v12, v8, s[8:9]
	v_accvgpr_write_b32 a29, v8
; %bb.1925:                             ;   in Loop: Header=BB388_1330 Depth=1
	s_or_b64 exec, exec, s[28:29]
	v_lshlrev_b32_e32 v7, 16, v7
	v_mul_f32_e32 v7, v10, v7
	v_and_b32_e32 v8, 0x7f800000, v7
	v_cmp_ne_u32_e64 s[8:9], s15, v8
                                        ; implicit-def: $agpr24
	s_and_saveexec_b64 s[28:29], s[8:9]
	s_xor_b64 s[8:9], exec, s[28:29]
; %bb.1926:                             ;   in Loop: Header=BB388_1330 Depth=1
	v_bfe_u32 v8, v7, 16, 1
	v_add3_u32 v7, v7, v8, s36
	v_accvgpr_write_b32 a24, v7
                                        ; implicit-def: $vgpr7
; %bb.1927:                             ;   in Loop: Header=BB388_1330 Depth=1
	s_andn2_saveexec_b64 s[28:29], s[8:9]
; %bb.1928:                             ;   in Loop: Header=BB388_1330 Depth=1
	v_or_b32_e32 v8, 0x10000, v7
	v_cmp_eq_u32_sdwa s[8:9], v7, v31 src0_sel:WORD_0 src1_sel:DWORD
	v_cndmask_b32_e64 v7, v8, v7, s[8:9]
	v_accvgpr_write_b32 a24, v7
; %bb.1929:                             ;   in Loop: Header=BB388_1330 Depth=1
	s_or_b64 exec, exec, s[28:29]
	v_lshlrev_b32_e32 v6, 16, v6
	v_mul_f32_e32 v6, v11, v6
	v_and_b32_e32 v7, 0x7f800000, v6
	v_cmp_ne_u32_e64 s[8:9], s15, v7
                                        ; implicit-def: $agpr25
	s_and_saveexec_b64 s[28:29], s[8:9]
	s_xor_b64 s[8:9], exec, s[28:29]
; %bb.1930:                             ;   in Loop: Header=BB388_1330 Depth=1
	v_bfe_u32 v7, v6, 16, 1
	v_add3_u32 v6, v6, v7, s36
	v_accvgpr_write_b32 a25, v6
                                        ; implicit-def: $vgpr6
; %bb.1931:                             ;   in Loop: Header=BB388_1330 Depth=1
	s_andn2_saveexec_b64 s[28:29], s[8:9]
; %bb.1932:                             ;   in Loop: Header=BB388_1330 Depth=1
	v_or_b32_e32 v7, 0x10000, v6
	v_cmp_eq_u32_sdwa s[8:9], v6, v31 src0_sel:WORD_0 src1_sel:DWORD
	v_cndmask_b32_e64 v6, v7, v6, s[8:9]
	v_accvgpr_write_b32 a25, v6
; %bb.1933:                             ;   in Loop: Header=BB388_1330 Depth=1
	s_or_b64 exec, exec, s[28:29]
	flat_load_dwordx2 v[6:7], v[2:3] offset:2560
	v_mov_b32_e32 v8, 0
	s_waitcnt vmcnt(0) lgkmcnt(0)
	v_cmp_ne_u16_sdwa s[8:9], v6, v31 src0_sel:BYTE_0 src1_sel:DWORD
	s_and_saveexec_b64 s[28:29], s[8:9]
	s_cbranch_execz .LBB388_1939
; %bb.1934:                             ;   in Loop: Header=BB388_1330 Depth=1
	v_cmp_ne_u16_sdwa s[8:9], v6, s37 src0_sel:BYTE_0 src1_sel:DWORD
	v_bfrev_b32_e32 v8, 1
	s_and_saveexec_b64 s[30:31], s[8:9]
	s_cbranch_execz .LBB388_1938
; %bb.1935:                             ;   in Loop: Header=BB388_1330 Depth=1
	v_and_b32_e32 v12, 0x7f, v6
	v_cmp_ne_u32_e64 s[8:9], s38, v12
	v_mov_b32_e32 v8, 0x7f800001
	s_and_saveexec_b64 s[34:35], s[8:9]
	s_cbranch_execz .LBB388_1937
; %bb.1936:                             ;   in Loop: Header=BB388_1330 Depth=1
	v_and_b32_e32 v8, 7, v6
	v_ffbh_u32_e32 v8, v8
	v_min_u32_e32 v8, 32, v8
	v_subrev_u32_e32 v14, 28, v8
	v_cmp_gt_u32_e64 s[8:9], 8, v12
	v_lshrrev_b32_e32 v13, 3, v12
	v_sub_u32_e32 v8, 29, v8
	v_cndmask_b32_e64 v12, 0, v14, s[8:9]
	v_cndmask_b32_e64 v8, v13, v8, s[8:9]
	v_lshlrev_b64 v[12:13], v12, v[6:7]
	v_lshlrev_b32_e32 v12, 20, v12
	v_lshlrev_b32_e32 v13, 24, v6
	v_and_b32_e32 v12, 0x700000, v12
	v_and_b32_e32 v13, 0x80000000, v13
	v_lshl_add_u32 v8, v8, 23, v61
	v_or3_b32 v8, v13, v8, v12
.LBB388_1937:                           ;   in Loop: Header=BB388_1330 Depth=1
	s_or_b64 exec, exec, s[34:35]
.LBB388_1938:                           ;   in Loop: Header=BB388_1330 Depth=1
	s_or_b64 exec, exec, s[30:31]
.LBB388_1939:                           ;   in Loop: Header=BB388_1330 Depth=1
	s_or_b64 exec, exec, s[28:29]
	v_mul_f32_e32 v8, v9, v8
	v_and_b32_e32 v12, 0x7f800000, v8
	v_cmp_ne_u32_e64 s[8:9], s15, v12
                                        ; implicit-def: $vgpr12
	s_and_saveexec_b64 s[28:29], s[8:9]
	s_xor_b64 s[8:9], exec, s[28:29]
; %bb.1940:                             ;   in Loop: Header=BB388_1330 Depth=1
	v_bfe_u32 v12, v8, 16, 1
	v_add3_u32 v12, v8, v12, s36
                                        ; implicit-def: $vgpr8
; %bb.1941:                             ;   in Loop: Header=BB388_1330 Depth=1
	s_andn2_saveexec_b64 s[28:29], s[8:9]
; %bb.1942:                             ;   in Loop: Header=BB388_1330 Depth=1
	v_or_b32_e32 v12, 0x10000, v8
	v_cmp_eq_u32_sdwa s[8:9], v8, v31 src0_sel:WORD_0 src1_sel:DWORD
	v_cndmask_b32_e64 v12, v12, v8, s[8:9]
; %bb.1943:                             ;   in Loop: Header=BB388_1330 Depth=1
	s_or_b64 exec, exec, s[28:29]
	v_lshrrev_b16_e32 v8, 8, v6
	v_cmp_ne_u16_e64 s[8:9], 0, v8
	v_mov_b32_e32 v13, 0
	s_and_saveexec_b64 s[28:29], s[8:9]
	s_cbranch_execz .LBB388_1949
; %bb.1944:                             ;   in Loop: Header=BB388_1330 Depth=1
	v_cmp_ne_u16_e64 s[8:9], s37, v8
	v_bfrev_b32_e32 v13, 1
	s_and_saveexec_b64 s[30:31], s[8:9]
	s_cbranch_execz .LBB388_1948
; %bb.1945:                             ;   in Loop: Header=BB388_1330 Depth=1
	v_and_b32_e32 v14, 0x7f, v8
	v_cmp_ne_u32_e64 s[8:9], s38, v14
	v_mov_b32_e32 v13, 0x7f800001
	s_and_saveexec_b64 s[34:35], s[8:9]
	s_cbranch_execz .LBB388_1947
; %bb.1946:                             ;   in Loop: Header=BB388_1330 Depth=1
	v_and_b32_e32 v13, 7, v8
	v_ffbh_u32_e32 v16, v13
	v_min_u32_e32 v18, 32, v16
	v_subrev_u32_e32 v16, 28, v18
	v_lshlrev_b64 v[16:17], v16, v[8:9]
	v_lshrrev_b32_e32 v15, 3, v14
	v_sub_u32_e32 v8, 29, v18
	v_and_b32_e32 v16, 7, v16
	v_cmp_gt_u32_e64 s[8:9], 8, v14
	v_cndmask_b32_e64 v8, v15, v8, s[8:9]
	v_cndmask_b32_e64 v13, v13, v16, s[8:9]
	v_lshlrev_b32_e32 v14, 16, v6
	v_lshlrev_b32_e32 v13, 20, v13
	v_and_b32_e32 v14, 0x80000000, v14
	v_lshl_add_u32 v8, v8, 23, v61
	v_or3_b32 v13, v14, v8, v13
.LBB388_1947:                           ;   in Loop: Header=BB388_1330 Depth=1
	s_or_b64 exec, exec, s[34:35]
.LBB388_1948:                           ;   in Loop: Header=BB388_1330 Depth=1
	s_or_b64 exec, exec, s[30:31]
.LBB388_1949:                           ;   in Loop: Header=BB388_1330 Depth=1
	s_or_b64 exec, exec, s[28:29]
	v_mul_f32_e32 v8, v9, v13
	v_and_b32_e32 v13, 0x7f800000, v8
	v_cmp_ne_u32_e64 s[8:9], s15, v13
                                        ; implicit-def: $vgpr13
	s_and_saveexec_b64 s[28:29], s[8:9]
	s_xor_b64 s[8:9], exec, s[28:29]
; %bb.1950:                             ;   in Loop: Header=BB388_1330 Depth=1
	v_bfe_u32 v13, v8, 16, 1
	v_add3_u32 v13, v8, v13, s36
                                        ; implicit-def: $vgpr8
; %bb.1951:                             ;   in Loop: Header=BB388_1330 Depth=1
	s_andn2_saveexec_b64 s[28:29], s[8:9]
; %bb.1952:                             ;   in Loop: Header=BB388_1330 Depth=1
	v_or_b32_e32 v13, 0x10000, v8
	v_cmp_eq_u32_sdwa s[8:9], v8, v31 src0_sel:WORD_0 src1_sel:DWORD
	v_cndmask_b32_e64 v13, v13, v8, s[8:9]
; %bb.1953:                             ;   in Loop: Header=BB388_1330 Depth=1
	s_or_b64 exec, exec, s[28:29]
	v_lshrrev_b32_e32 v8, 16, v6
	v_cmp_ne_u16_sdwa s[8:9], v8, v31 src0_sel:BYTE_0 src1_sel:DWORD
	v_mov_b32_e32 v14, 0
	s_and_saveexec_b64 s[28:29], s[8:9]
	s_cbranch_execz .LBB388_1959
; %bb.1954:                             ;   in Loop: Header=BB388_1330 Depth=1
	v_cmp_ne_u16_sdwa s[8:9], v8, s37 src0_sel:BYTE_0 src1_sel:DWORD
	v_bfrev_b32_e32 v14, 1
	s_and_saveexec_b64 s[30:31], s[8:9]
	s_cbranch_execz .LBB388_1958
; %bb.1955:                             ;   in Loop: Header=BB388_1330 Depth=1
	v_bfe_u32 v15, v6, 16, 7
	v_cmp_ne_u32_e64 s[8:9], s38, v15
	v_mov_b32_e32 v14, 0x7f800001
	s_and_saveexec_b64 s[34:35], s[8:9]
	s_cbranch_execz .LBB388_1957
; %bb.1956:                             ;   in Loop: Header=BB388_1330 Depth=1
	v_and_b32_e32 v14, 7, v8
	v_ffbh_u32_e32 v16, v14
	v_min_u32_e32 v19, 32, v16
	v_subrev_u32_e32 v16, 28, v19
	v_lshlrev_b64 v[16:17], v16, v[8:9]
	v_lshrrev_b32_e32 v18, 3, v15
	v_sub_u32_e32 v17, 29, v19
	v_and_b32_e32 v16, 7, v16
	v_cmp_gt_u32_e64 s[8:9], 8, v15
	v_cndmask_b32_e64 v15, v18, v17, s[8:9]
	v_cndmask_b32_e64 v14, v14, v16, s[8:9]
	v_lshlrev_b32_e32 v8, 24, v8
	v_lshlrev_b32_e32 v14, 20, v14
	v_and_b32_e32 v8, 0x80000000, v8
	v_lshl_add_u32 v15, v15, 23, v61
	v_or3_b32 v14, v8, v15, v14
.LBB388_1957:                           ;   in Loop: Header=BB388_1330 Depth=1
	s_or_b64 exec, exec, s[34:35]
.LBB388_1958:                           ;   in Loop: Header=BB388_1330 Depth=1
	s_or_b64 exec, exec, s[30:31]
.LBB388_1959:                           ;   in Loop: Header=BB388_1330 Depth=1
	s_or_b64 exec, exec, s[28:29]
	v_mul_f32_e32 v8, v9, v14
	v_and_b32_e32 v14, 0x7f800000, v8
	v_cmp_ne_u32_e64 s[8:9], s15, v14
                                        ; implicit-def: $vgpr16
	s_and_saveexec_b64 s[28:29], s[8:9]
	s_xor_b64 s[8:9], exec, s[28:29]
; %bb.1960:                             ;   in Loop: Header=BB388_1330 Depth=1
	v_bfe_u32 v14, v8, 16, 1
	v_add3_u32 v16, v8, v14, s36
                                        ; implicit-def: $vgpr8
; %bb.1961:                             ;   in Loop: Header=BB388_1330 Depth=1
	s_andn2_saveexec_b64 s[28:29], s[8:9]
; %bb.1962:                             ;   in Loop: Header=BB388_1330 Depth=1
	v_or_b32_e32 v14, 0x10000, v8
	v_cmp_eq_u32_sdwa s[8:9], v8, v31 src0_sel:WORD_0 src1_sel:DWORD
	v_cndmask_b32_e64 v16, v14, v8, s[8:9]
; %bb.1963:                             ;   in Loop: Header=BB388_1330 Depth=1
	s_or_b64 exec, exec, s[28:29]
	v_cmp_lt_u32_e64 s[8:9], s17, v6
	v_mov_b32_e32 v14, 0
	s_and_saveexec_b64 s[28:29], s[8:9]
	s_cbranch_execz .LBB388_1969
; %bb.1964:                             ;   in Loop: Header=BB388_1330 Depth=1
	v_lshrrev_b32_e32 v8, 24, v6
	v_cmp_ne_u32_e64 s[8:9], s37, v8
	v_bfrev_b32_e32 v14, 1
	s_and_saveexec_b64 s[30:31], s[8:9]
	s_cbranch_execz .LBB388_1968
; %bb.1965:                             ;   in Loop: Header=BB388_1330 Depth=1
	v_bfe_u32 v15, v6, 24, 7
	v_cmp_ne_u32_e64 s[8:9], s38, v15
	v_mov_b32_e32 v14, 0x7f800001
	s_and_saveexec_b64 s[34:35], s[8:9]
	s_cbranch_execz .LBB388_1967
; %bb.1966:                             ;   in Loop: Header=BB388_1330 Depth=1
	v_and_b32_e32 v17, 7, v8
	v_ffbh_u32_e32 v14, v17
	v_min_u32_e32 v19, 32, v14
	v_subrev_u32_e32 v14, 28, v19
	v_lshrrev_b32_e32 v18, 3, v15
	v_cmp_gt_u32_e64 s[8:9], 8, v15
	v_lshlrev_b64 v[14:15], v14, v[8:9]
	v_sub_u32_e32 v15, 29, v19
	v_and_b32_e32 v14, 7, v14
	v_cndmask_b32_e64 v15, v18, v15, s[8:9]
	v_cndmask_b32_e64 v14, v17, v14, s[8:9]
	v_lshlrev_b32_e32 v8, 24, v8
	v_lshlrev_b32_e32 v14, 20, v14
	v_and_b32_e32 v8, 0x80000000, v8
	v_lshl_add_u32 v15, v15, 23, v61
	v_or3_b32 v14, v8, v15, v14
.LBB388_1967:                           ;   in Loop: Header=BB388_1330 Depth=1
	s_or_b64 exec, exec, s[34:35]
.LBB388_1968:                           ;   in Loop: Header=BB388_1330 Depth=1
	s_or_b64 exec, exec, s[30:31]
.LBB388_1969:                           ;   in Loop: Header=BB388_1330 Depth=1
	s_or_b64 exec, exec, s[28:29]
	v_mul_f32_e32 v8, v9, v14
	v_and_b32_e32 v14, 0x7f800000, v8
	v_cmp_ne_u32_e64 s[8:9], s15, v14
                                        ; implicit-def: $vgpr17
	s_and_saveexec_b64 s[28:29], s[8:9]
	s_xor_b64 s[8:9], exec, s[28:29]
; %bb.1970:                             ;   in Loop: Header=BB388_1330 Depth=1
	v_bfe_u32 v14, v8, 16, 1
	v_add3_u32 v17, v8, v14, s36
                                        ; implicit-def: $vgpr8
; %bb.1971:                             ;   in Loop: Header=BB388_1330 Depth=1
	s_andn2_saveexec_b64 s[28:29], s[8:9]
; %bb.1972:                             ;   in Loop: Header=BB388_1330 Depth=1
	v_or_b32_e32 v14, 0x10000, v8
	v_cmp_eq_u32_sdwa s[8:9], v8, v31 src0_sel:WORD_0 src1_sel:DWORD
	v_cndmask_b32_e64 v17, v14, v8, s[8:9]
; %bb.1973:                             ;   in Loop: Header=BB388_1330 Depth=1
	s_or_b64 exec, exec, s[28:29]
	v_mov_b32_e32 v30, v7
	v_cmp_ne_u16_sdwa s[8:9], v7, v31 src0_sel:BYTE_0 src1_sel:DWORD
	v_mov_b32_e32 v8, 0
	s_and_saveexec_b64 s[28:29], s[8:9]
	s_cbranch_execz .LBB388_1979
; %bb.1974:                             ;   in Loop: Header=BB388_1330 Depth=1
	v_cmp_ne_u16_sdwa s[8:9], v7, s37 src0_sel:BYTE_0 src1_sel:DWORD
	v_bfrev_b32_e32 v8, 1
	s_and_saveexec_b64 s[30:31], s[8:9]
	s_cbranch_execz .LBB388_1978
; %bb.1975:                             ;   in Loop: Header=BB388_1330 Depth=1
	v_and_b32_e32 v14, 0x7f, v7
	v_cmp_ne_u32_e64 s[8:9], s38, v14
	v_mov_b32_e32 v8, 0x7f800001
	s_and_saveexec_b64 s[34:35], s[8:9]
	s_cbranch_execz .LBB388_1977
; %bb.1976:                             ;   in Loop: Header=BB388_1330 Depth=1
	v_and_b32_e32 v8, 7, v7
	v_ffbh_u32_e32 v8, v8
	v_min_u32_e32 v8, 32, v8
	v_subrev_u32_e32 v18, 28, v8
	v_cmp_gt_u32_e64 s[8:9], 8, v14
	v_lshrrev_b32_e32 v15, 3, v14
	v_sub_u32_e32 v8, 29, v8
	v_cndmask_b32_e64 v14, 0, v18, s[8:9]
	v_cndmask_b32_e64 v8, v15, v8, s[8:9]
	v_lshlrev_b64 v[14:15], v14, v[30:31]
	v_lshlrev_b32_e32 v14, 20, v14
	v_lshlrev_b32_e32 v15, 24, v30
	v_and_b32_e32 v14, 0x700000, v14
	v_and_b32_e32 v15, 0x80000000, v15
	v_lshl_add_u32 v8, v8, 23, v61
	v_or3_b32 v8, v15, v8, v14
.LBB388_1977:                           ;   in Loop: Header=BB388_1330 Depth=1
	s_or_b64 exec, exec, s[34:35]
.LBB388_1978:                           ;   in Loop: Header=BB388_1330 Depth=1
	s_or_b64 exec, exec, s[30:31]
.LBB388_1979:                           ;   in Loop: Header=BB388_1330 Depth=1
	s_or_b64 exec, exec, s[28:29]
	v_mul_f32_e32 v8, v9, v8
	v_and_b32_e32 v14, 0x7f800000, v8
	v_cmp_ne_u32_e64 s[8:9], s15, v14
                                        ; implicit-def: $vgpr18
	s_and_saveexec_b64 s[28:29], s[8:9]
	s_xor_b64 s[8:9], exec, s[28:29]
; %bb.1980:                             ;   in Loop: Header=BB388_1330 Depth=1
	v_bfe_u32 v14, v8, 16, 1
	v_add3_u32 v18, v8, v14, s36
                                        ; implicit-def: $vgpr8
; %bb.1981:                             ;   in Loop: Header=BB388_1330 Depth=1
	s_andn2_saveexec_b64 s[28:29], s[8:9]
; %bb.1982:                             ;   in Loop: Header=BB388_1330 Depth=1
	v_or_b32_e32 v14, 0x10000, v8
	v_cmp_eq_u32_sdwa s[8:9], v8, v31 src0_sel:WORD_0 src1_sel:DWORD
	v_cndmask_b32_e64 v18, v14, v8, s[8:9]
; %bb.1983:                             ;   in Loop: Header=BB388_1330 Depth=1
	s_or_b64 exec, exec, s[28:29]
	v_lshrrev_b16_e32 v8, 8, v30
	v_cmp_ne_u16_e64 s[8:9], 0, v8
	v_mov_b32_e32 v14, 0
	s_and_saveexec_b64 s[28:29], s[8:9]
	s_cbranch_execz .LBB388_1989
; %bb.1984:                             ;   in Loop: Header=BB388_1330 Depth=1
	v_cmp_ne_u16_e64 s[8:9], s37, v8
	v_bfrev_b32_e32 v14, 1
	s_and_saveexec_b64 s[30:31], s[8:9]
	s_cbranch_execz .LBB388_1988
; %bb.1985:                             ;   in Loop: Header=BB388_1330 Depth=1
	v_and_b32_e32 v15, 0x7f, v8
	v_cmp_ne_u32_e64 s[8:9], s38, v15
	v_mov_b32_e32 v14, 0x7f800001
	s_and_saveexec_b64 s[34:35], s[8:9]
	s_cbranch_execz .LBB388_1987
; %bb.1986:                             ;   in Loop: Header=BB388_1330 Depth=1
	v_and_b32_e32 v19, 7, v8
	v_ffbh_u32_e32 v14, v19
	v_min_u32_e32 v21, 32, v14
	v_subrev_u32_e32 v14, 28, v21
	v_lshrrev_b32_e32 v20, 3, v15
	v_cmp_gt_u32_e64 s[8:9], 8, v15
	v_lshlrev_b64 v[14:15], v14, v[8:9]
	v_sub_u32_e32 v8, 29, v21
	v_and_b32_e32 v14, 7, v14
	v_cndmask_b32_e64 v8, v20, v8, s[8:9]
	v_cndmask_b32_e64 v14, v19, v14, s[8:9]
	v_lshlrev_b32_e32 v15, 16, v30
	v_lshlrev_b32_e32 v14, 20, v14
	v_and_b32_e32 v15, 0x80000000, v15
	v_lshl_add_u32 v8, v8, 23, v61
	v_or3_b32 v14, v15, v8, v14
.LBB388_1987:                           ;   in Loop: Header=BB388_1330 Depth=1
	s_or_b64 exec, exec, s[34:35]
.LBB388_1988:                           ;   in Loop: Header=BB388_1330 Depth=1
	s_or_b64 exec, exec, s[30:31]
.LBB388_1989:                           ;   in Loop: Header=BB388_1330 Depth=1
	s_or_b64 exec, exec, s[28:29]
	v_mul_f32_e32 v8, v9, v14
	v_and_b32_e32 v14, 0x7f800000, v8
	v_cmp_ne_u32_e64 s[8:9], s15, v14
                                        ; implicit-def: $vgpr19
	s_and_saveexec_b64 s[28:29], s[8:9]
	s_xor_b64 s[8:9], exec, s[28:29]
; %bb.1990:                             ;   in Loop: Header=BB388_1330 Depth=1
	v_bfe_u32 v14, v8, 16, 1
	v_add3_u32 v19, v8, v14, s36
                                        ; implicit-def: $vgpr8
; %bb.1991:                             ;   in Loop: Header=BB388_1330 Depth=1
	s_andn2_saveexec_b64 s[28:29], s[8:9]
; %bb.1992:                             ;   in Loop: Header=BB388_1330 Depth=1
	v_or_b32_e32 v14, 0x10000, v8
	v_cmp_eq_u32_sdwa s[8:9], v8, v31 src0_sel:WORD_0 src1_sel:DWORD
	v_cndmask_b32_e64 v19, v14, v8, s[8:9]
; %bb.1993:                             ;   in Loop: Header=BB388_1330 Depth=1
	s_or_b64 exec, exec, s[28:29]
	v_lshrrev_b32_e32 v8, 16, v7
	v_cmp_ne_u16_sdwa s[8:9], v8, v31 src0_sel:BYTE_0 src1_sel:DWORD
	v_mov_b32_e32 v14, 0
	s_and_saveexec_b64 s[28:29], s[8:9]
	s_cbranch_execz .LBB388_1999
; %bb.1994:                             ;   in Loop: Header=BB388_1330 Depth=1
	v_cmp_ne_u16_sdwa s[8:9], v8, s37 src0_sel:BYTE_0 src1_sel:DWORD
	v_bfrev_b32_e32 v14, 1
	s_and_saveexec_b64 s[30:31], s[8:9]
	s_cbranch_execz .LBB388_1998
; %bb.1995:                             ;   in Loop: Header=BB388_1330 Depth=1
	v_bfe_u32 v15, v7, 16, 7
	v_cmp_ne_u32_e64 s[8:9], s38, v15
	v_mov_b32_e32 v14, 0x7f800001
	s_and_saveexec_b64 s[34:35], s[8:9]
	s_cbranch_execz .LBB388_1997
; %bb.1996:                             ;   in Loop: Header=BB388_1330 Depth=1
	v_and_b32_e32 v20, 7, v8
	v_ffbh_u32_e32 v14, v20
	v_min_u32_e32 v22, 32, v14
	v_subrev_u32_e32 v14, 28, v22
	v_lshrrev_b32_e32 v21, 3, v15
	v_cmp_gt_u32_e64 s[8:9], 8, v15
	v_lshlrev_b64 v[14:15], v14, v[8:9]
	v_sub_u32_e32 v15, 29, v22
	v_and_b32_e32 v14, 7, v14
	v_cndmask_b32_e64 v15, v21, v15, s[8:9]
	v_cndmask_b32_e64 v14, v20, v14, s[8:9]
	v_lshlrev_b32_e32 v8, 24, v8
	v_lshlrev_b32_e32 v14, 20, v14
	v_and_b32_e32 v8, 0x80000000, v8
	v_lshl_add_u32 v15, v15, 23, v61
	v_or3_b32 v14, v8, v15, v14
.LBB388_1997:                           ;   in Loop: Header=BB388_1330 Depth=1
	s_or_b64 exec, exec, s[34:35]
.LBB388_1998:                           ;   in Loop: Header=BB388_1330 Depth=1
	s_or_b64 exec, exec, s[30:31]
.LBB388_1999:                           ;   in Loop: Header=BB388_1330 Depth=1
	s_or_b64 exec, exec, s[28:29]
	v_mul_f32_e32 v8, v9, v14
	v_and_b32_e32 v14, 0x7f800000, v8
	v_cmp_ne_u32_e64 s[8:9], s15, v14
                                        ; implicit-def: $vgpr20
	s_and_saveexec_b64 s[28:29], s[8:9]
	s_xor_b64 s[8:9], exec, s[28:29]
; %bb.2000:                             ;   in Loop: Header=BB388_1330 Depth=1
	v_bfe_u32 v14, v8, 16, 1
	v_add3_u32 v20, v8, v14, s36
                                        ; implicit-def: $vgpr8
; %bb.2001:                             ;   in Loop: Header=BB388_1330 Depth=1
	s_andn2_saveexec_b64 s[28:29], s[8:9]
; %bb.2002:                             ;   in Loop: Header=BB388_1330 Depth=1
	v_or_b32_e32 v14, 0x10000, v8
	v_cmp_eq_u32_sdwa s[8:9], v8, v31 src0_sel:WORD_0 src1_sel:DWORD
	v_cndmask_b32_e64 v20, v14, v8, s[8:9]
; %bb.2003:                             ;   in Loop: Header=BB388_1330 Depth=1
	s_or_b64 exec, exec, s[28:29]
	v_cmp_lt_u64_e64 s[8:9], s[16:17], v[6:7]
	v_mov_b32_e32 v8, 0
	s_and_saveexec_b64 s[28:29], s[8:9]
	s_cbranch_execz .LBB388_2009
; %bb.2004:                             ;   in Loop: Header=BB388_1330 Depth=1
	v_lshrrev_b32_e32 v6, 24, v7
	v_cmp_ne_u32_e64 s[8:9], s37, v6
	v_bfrev_b32_e32 v8, 1
	s_and_saveexec_b64 s[30:31], s[8:9]
	s_cbranch_execz .LBB388_2008
; %bb.2005:                             ;   in Loop: Header=BB388_1330 Depth=1
	v_bfe_u32 v7, v7, 24, 7
	v_cmp_ne_u32_e64 s[8:9], s38, v7
	v_mov_b32_e32 v8, 0x7f800001
	s_and_saveexec_b64 s[34:35], s[8:9]
	s_cbranch_execz .LBB388_2007
; %bb.2006:                             ;   in Loop: Header=BB388_1330 Depth=1
	v_and_b32_e32 v8, 7, v6
	v_lshrrev_b32_e32 v21, 3, v7
	v_cmp_gt_u32_e64 s[8:9], 8, v7
	v_ffbh_u32_e32 v7, v8
	v_min_u32_e32 v7, 32, v7
	v_subrev_u32_e32 v14, 28, v7
	v_lshlrev_b64 v[14:15], v14, v[6:7]
	v_sub_u32_e32 v7, 29, v7
	v_and_b32_e32 v14, 7, v14
	v_cndmask_b32_e64 v7, v21, v7, s[8:9]
	v_cndmask_b32_e64 v8, v8, v14, s[8:9]
	v_lshlrev_b32_e32 v6, 24, v6
	v_lshlrev_b32_e32 v8, 20, v8
	v_and_b32_e32 v6, 0x80000000, v6
	v_lshl_add_u32 v7, v7, 23, v61
	v_or3_b32 v8, v6, v7, v8
.LBB388_2007:                           ;   in Loop: Header=BB388_1330 Depth=1
	s_or_b64 exec, exec, s[34:35]
.LBB388_2008:                           ;   in Loop: Header=BB388_1330 Depth=1
	s_or_b64 exec, exec, s[30:31]
.LBB388_2009:                           ;   in Loop: Header=BB388_1330 Depth=1
	s_or_b64 exec, exec, s[28:29]
	v_mul_f32_e32 v7, v9, v8
	v_and_b32_e32 v6, 0x7f800000, v7
	v_cmp_ne_u32_e64 s[8:9], s15, v6
                                        ; implicit-def: $vgpr6
	s_and_saveexec_b64 s[28:29], s[8:9]
	s_xor_b64 s[8:9], exec, s[28:29]
; %bb.2010:                             ;   in Loop: Header=BB388_1330 Depth=1
	v_bfe_u32 v6, v7, 16, 1
	v_add3_u32 v6, v7, v6, s36
                                        ; implicit-def: $vgpr7
; %bb.2011:                             ;   in Loop: Header=BB388_1330 Depth=1
	s_andn2_saveexec_b64 s[28:29], s[8:9]
; %bb.2012:                             ;   in Loop: Header=BB388_1330 Depth=1
	v_or_b32_e32 v6, 0x10000, v7
	v_cmp_eq_u32_sdwa s[8:9], v7, v31 src0_sel:WORD_0 src1_sel:DWORD
	v_cndmask_b32_e64 v6, v6, v7, s[8:9]
; %bb.2013:                             ;   in Loop: Header=BB388_1330 Depth=1
	s_or_b64 exec, exec, s[28:29]
	v_lshrrev_b32_e32 v8, 16, v19
	v_lshrrev_b32_e32 v14, 16, v18
	;; [unrolled: 1-line block ×8, first 2 shown]
	s_and_saveexec_b64 s[28:29], vcc
	s_cbranch_execz .LBB388_2015
; %bb.2014:                             ;   in Loop: Header=BB388_1330 Depth=1
	buffer_load_dword v17, off, s[0:3], s32 offset:196 ; 4-byte Folded Reload
	v_accvgpr_read_b32 v18, a18
	s_waitcnt vmcnt(0)
	v_cmp_lt_i32_e64 s[8:9], v40, v17
	v_cndmask_b32_e64 v12, 0, v12, s[8:9]
	v_cmp_lt_i32_e64 s[8:9], v18, v17
	v_accvgpr_read_b32 v18, a63
	v_cndmask_b32_e64 v13, 0, v13, s[8:9]
	v_cmp_lt_i32_e64 s[8:9], v18, v17
	v_accvgpr_read_b32 v18, a62
	;; [unrolled: 3-line block ×5, first 2 shown]
	v_cndmask_b32_e64 v8, 0, v8, s[8:9]
	v_cmp_lt_i32_e64 s[8:9], v18, v17
	v_cndmask_b32_e64 v7, 0, v7, s[8:9]
	v_cmp_lt_i32_e64 s[8:9], v50, v17
	v_cndmask_b32_e64 v6, 0, v6, s[8:9]
.LBB388_2015:                           ;   in Loop: Header=BB388_1330 Depth=1
	s_or_b64 exec, exec, s[28:29]
	v_lshlrev_b32_e32 v12, 16, v12
	v_mul_f32_e32 v12, v27, v12
	v_and_b32_e32 v17, 0x7f800000, v12
	v_cmp_ne_u32_e64 s[8:9], s15, v17
                                        ; implicit-def: $agpr58
	s_and_saveexec_b64 s[28:29], s[8:9]
	s_xor_b64 s[8:9], exec, s[28:29]
; %bb.2016:                             ;   in Loop: Header=BB388_1330 Depth=1
	v_bfe_u32 v17, v12, 16, 1
	v_add3_u32 v12, v12, v17, s36
	v_accvgpr_write_b32 a58, v12
                                        ; implicit-def: $vgpr12
; %bb.2017:                             ;   in Loop: Header=BB388_1330 Depth=1
	s_andn2_saveexec_b64 s[28:29], s[8:9]
; %bb.2018:                             ;   in Loop: Header=BB388_1330 Depth=1
	v_or_b32_e32 v17, 0x10000, v12
	v_cmp_eq_u32_sdwa s[8:9], v12, v31 src0_sel:WORD_0 src1_sel:DWORD
	v_cndmask_b32_e64 v12, v17, v12, s[8:9]
	v_accvgpr_write_b32 a58, v12
; %bb.2019:                             ;   in Loop: Header=BB388_1330 Depth=1
	s_or_b64 exec, exec, s[28:29]
	v_lshlrev_b32_e32 v12, 16, v13
	v_mul_f32_e32 v12, v23, v12
	v_and_b32_e32 v13, 0x7f800000, v12
	v_cmp_ne_u32_e64 s[8:9], s15, v13
                                        ; implicit-def: $agpr22
	s_and_saveexec_b64 s[28:29], s[8:9]
	s_xor_b64 s[8:9], exec, s[28:29]
; %bb.2020:                             ;   in Loop: Header=BB388_1330 Depth=1
	v_bfe_u32 v13, v12, 16, 1
	v_add3_u32 v12, v12, v13, s36
	v_accvgpr_write_b32 a22, v12
                                        ; implicit-def: $vgpr12
; %bb.2021:                             ;   in Loop: Header=BB388_1330 Depth=1
	s_andn2_saveexec_b64 s[28:29], s[8:9]
; %bb.2022:                             ;   in Loop: Header=BB388_1330 Depth=1
	v_or_b32_e32 v13, 0x10000, v12
	v_cmp_eq_u32_sdwa s[8:9], v12, v31 src0_sel:WORD_0 src1_sel:DWORD
	v_cndmask_b32_e64 v12, v13, v12, s[8:9]
	v_accvgpr_write_b32 a22, v12
; %bb.2023:                             ;   in Loop: Header=BB388_1330 Depth=1
	s_or_b64 exec, exec, s[28:29]
	v_lshlrev_b32_e32 v12, 16, v16
	v_mul_f32_e32 v12, v55, v12
	v_and_b32_e32 v13, 0x7f800000, v12
	v_cmp_ne_u32_e64 s[8:9], s15, v13
                                        ; implicit-def: $agpr23
	s_and_saveexec_b64 s[28:29], s[8:9]
	s_xor_b64 s[8:9], exec, s[28:29]
; %bb.2024:                             ;   in Loop: Header=BB388_1330 Depth=1
	v_bfe_u32 v13, v12, 16, 1
	v_add3_u32 v12, v12, v13, s36
	v_accvgpr_write_b32 a23, v12
                                        ; implicit-def: $vgpr12
; %bb.2025:                             ;   in Loop: Header=BB388_1330 Depth=1
	s_andn2_saveexec_b64 s[28:29], s[8:9]
; %bb.2026:                             ;   in Loop: Header=BB388_1330 Depth=1
	v_or_b32_e32 v13, 0x10000, v12
	v_cmp_eq_u32_sdwa s[8:9], v12, v31 src0_sel:WORD_0 src1_sel:DWORD
	v_cndmask_b32_e64 v12, v13, v12, s[8:9]
	v_accvgpr_write_b32 a23, v12
; %bb.2027:                             ;   in Loop: Header=BB388_1330 Depth=1
	s_or_b64 exec, exec, s[28:29]
	v_lshlrev_b32_e32 v12, 16, v15
	v_mul_f32_e32 v12, v48, v12
	v_and_b32_e32 v13, 0x7f800000, v12
	v_cmp_ne_u32_e64 s[8:9], s15, v13
                                        ; implicit-def: $agpr32
	s_and_saveexec_b64 s[28:29], s[8:9]
	s_xor_b64 s[8:9], exec, s[28:29]
; %bb.2028:                             ;   in Loop: Header=BB388_1330 Depth=1
	v_bfe_u32 v13, v12, 16, 1
	v_add3_u32 v12, v12, v13, s36
	v_accvgpr_write_b32 a32, v12
                                        ; implicit-def: $vgpr12
; %bb.2029:                             ;   in Loop: Header=BB388_1330 Depth=1
	s_andn2_saveexec_b64 s[28:29], s[8:9]
; %bb.2030:                             ;   in Loop: Header=BB388_1330 Depth=1
	v_or_b32_e32 v13, 0x10000, v12
	v_cmp_eq_u32_sdwa s[8:9], v12, v31 src0_sel:WORD_0 src1_sel:DWORD
	v_cndmask_b32_e64 v12, v13, v12, s[8:9]
	v_accvgpr_write_b32 a32, v12
; %bb.2031:                             ;   in Loop: Header=BB388_1330 Depth=1
	s_or_b64 exec, exec, s[28:29]
	v_lshlrev_b32_e32 v12, 16, v14
	v_mul_f32_e32 v12, v62, v12
	v_and_b32_e32 v13, 0x7f800000, v12
	v_cmp_ne_u32_e64 s[8:9], s15, v13
                                        ; implicit-def: $agpr33
	s_and_saveexec_b64 s[28:29], s[8:9]
	s_xor_b64 s[8:9], exec, s[28:29]
; %bb.2032:                             ;   in Loop: Header=BB388_1330 Depth=1
	v_bfe_u32 v13, v12, 16, 1
	v_add3_u32 v12, v12, v13, s36
	v_accvgpr_write_b32 a33, v12
                                        ; implicit-def: $vgpr12
; %bb.2033:                             ;   in Loop: Header=BB388_1330 Depth=1
	s_andn2_saveexec_b64 s[28:29], s[8:9]
; %bb.2034:                             ;   in Loop: Header=BB388_1330 Depth=1
	v_or_b32_e32 v13, 0x10000, v12
	v_cmp_eq_u32_sdwa s[8:9], v12, v31 src0_sel:WORD_0 src1_sel:DWORD
	v_cndmask_b32_e64 v12, v13, v12, s[8:9]
	v_accvgpr_write_b32 a33, v12
; %bb.2035:                             ;   in Loop: Header=BB388_1330 Depth=1
	s_or_b64 exec, exec, s[28:29]
	v_lshlrev_b32_e32 v8, 16, v8
	v_mul_f32_e32 v8, v5, v8
	v_and_b32_e32 v12, 0x7f800000, v8
	v_cmp_ne_u32_e64 s[8:9], s15, v12
                                        ; implicit-def: $agpr26
	s_and_saveexec_b64 s[28:29], s[8:9]
	s_xor_b64 s[8:9], exec, s[28:29]
; %bb.2036:                             ;   in Loop: Header=BB388_1330 Depth=1
	v_bfe_u32 v12, v8, 16, 1
	v_add3_u32 v8, v8, v12, s36
	v_accvgpr_write_b32 a26, v8
                                        ; implicit-def: $vgpr8
; %bb.2037:                             ;   in Loop: Header=BB388_1330 Depth=1
	s_andn2_saveexec_b64 s[28:29], s[8:9]
; %bb.2038:                             ;   in Loop: Header=BB388_1330 Depth=1
	v_or_b32_e32 v12, 0x10000, v8
	v_cmp_eq_u32_sdwa s[8:9], v8, v31 src0_sel:WORD_0 src1_sel:DWORD
	v_cndmask_b32_e64 v8, v12, v8, s[8:9]
	v_accvgpr_write_b32 a26, v8
; %bb.2039:                             ;   in Loop: Header=BB388_1330 Depth=1
	s_or_b64 exec, exec, s[28:29]
	v_lshlrev_b32_e32 v7, 16, v7
	v_mul_f32_e32 v7, v10, v7
	v_and_b32_e32 v8, 0x7f800000, v7
	v_cmp_ne_u32_e64 s[8:9], s15, v8
                                        ; implicit-def: $agpr27
	s_and_saveexec_b64 s[28:29], s[8:9]
	s_xor_b64 s[8:9], exec, s[28:29]
; %bb.2040:                             ;   in Loop: Header=BB388_1330 Depth=1
	v_bfe_u32 v8, v7, 16, 1
	v_add3_u32 v7, v7, v8, s36
	v_accvgpr_write_b32 a27, v7
                                        ; implicit-def: $vgpr7
; %bb.2041:                             ;   in Loop: Header=BB388_1330 Depth=1
	s_andn2_saveexec_b64 s[28:29], s[8:9]
; %bb.2042:                             ;   in Loop: Header=BB388_1330 Depth=1
	v_or_b32_e32 v8, 0x10000, v7
	v_cmp_eq_u32_sdwa s[8:9], v7, v31 src0_sel:WORD_0 src1_sel:DWORD
	v_cndmask_b32_e64 v7, v8, v7, s[8:9]
	v_accvgpr_write_b32 a27, v7
; %bb.2043:                             ;   in Loop: Header=BB388_1330 Depth=1
	s_or_b64 exec, exec, s[28:29]
	v_lshlrev_b32_e32 v6, 16, v6
	v_mul_f32_e32 v6, v11, v6
	v_and_b32_e32 v7, 0x7f800000, v6
	v_cmp_ne_u32_e64 s[8:9], s15, v7
                                        ; implicit-def: $agpr38
	s_and_saveexec_b64 s[28:29], s[8:9]
	s_xor_b64 s[8:9], exec, s[28:29]
; %bb.2044:                             ;   in Loop: Header=BB388_1330 Depth=1
	v_bfe_u32 v7, v6, 16, 1
	v_add3_u32 v6, v6, v7, s36
	v_accvgpr_write_b32 a38, v6
                                        ; implicit-def: $vgpr6
; %bb.2045:                             ;   in Loop: Header=BB388_1330 Depth=1
	s_andn2_saveexec_b64 s[28:29], s[8:9]
; %bb.2046:                             ;   in Loop: Header=BB388_1330 Depth=1
	v_or_b32_e32 v7, 0x10000, v6
	v_cmp_eq_u32_sdwa s[8:9], v6, v31 src0_sel:WORD_0 src1_sel:DWORD
	v_cndmask_b32_e64 v6, v7, v6, s[8:9]
	v_accvgpr_write_b32 a38, v6
; %bb.2047:                             ;   in Loop: Header=BB388_1330 Depth=1
	s_or_b64 exec, exec, s[28:29]
	flat_load_dwordx2 v[6:7], v[2:3] offset:3072
	v_mov_b32_e32 v8, 0
	s_waitcnt vmcnt(0) lgkmcnt(0)
	v_cmp_ne_u16_sdwa s[8:9], v6, v31 src0_sel:BYTE_0 src1_sel:DWORD
	s_and_saveexec_b64 s[28:29], s[8:9]
	s_cbranch_execz .LBB388_2053
; %bb.2048:                             ;   in Loop: Header=BB388_1330 Depth=1
	v_cmp_ne_u16_sdwa s[8:9], v6, s37 src0_sel:BYTE_0 src1_sel:DWORD
	v_bfrev_b32_e32 v8, 1
	s_and_saveexec_b64 s[30:31], s[8:9]
	s_cbranch_execz .LBB388_2052
; %bb.2049:                             ;   in Loop: Header=BB388_1330 Depth=1
	v_and_b32_e32 v12, 0x7f, v6
	v_cmp_ne_u32_e64 s[8:9], s38, v12
	v_mov_b32_e32 v8, 0x7f800001
	s_and_saveexec_b64 s[34:35], s[8:9]
	s_cbranch_execz .LBB388_2051
; %bb.2050:                             ;   in Loop: Header=BB388_1330 Depth=1
	v_and_b32_e32 v8, 7, v6
	v_ffbh_u32_e32 v8, v8
	v_min_u32_e32 v8, 32, v8
	v_lshrrev_b32_e32 v13, 3, v12
	v_cmp_gt_u32_e64 s[8:9], 8, v12
	v_subrev_u32_e32 v12, 28, v8
	v_sub_u32_e32 v8, 29, v8
	v_cndmask_b32_e64 v12, 0, v12, s[8:9]
	v_cndmask_b32_e64 v8, v13, v8, s[8:9]
	v_lshlrev_b64 v[12:13], v12, v[6:7]
	v_lshlrev_b32_e32 v12, 20, v12
	v_lshlrev_b32_e32 v13, 24, v6
	v_and_b32_e32 v12, 0x700000, v12
	v_and_b32_e32 v13, 0x80000000, v13
	v_lshl_add_u32 v8, v8, 23, v61
	v_or3_b32 v8, v13, v8, v12
.LBB388_2051:                           ;   in Loop: Header=BB388_1330 Depth=1
	s_or_b64 exec, exec, s[34:35]
.LBB388_2052:                           ;   in Loop: Header=BB388_1330 Depth=1
	s_or_b64 exec, exec, s[30:31]
.LBB388_2053:                           ;   in Loop: Header=BB388_1330 Depth=1
	s_or_b64 exec, exec, s[28:29]
	v_mul_f32_e32 v8, v9, v8
	v_and_b32_e32 v12, 0x7f800000, v8
	v_cmp_ne_u32_e64 s[8:9], s15, v12
                                        ; implicit-def: $vgpr12
	s_and_saveexec_b64 s[28:29], s[8:9]
	s_xor_b64 s[8:9], exec, s[28:29]
; %bb.2054:                             ;   in Loop: Header=BB388_1330 Depth=1
	v_bfe_u32 v12, v8, 16, 1
	v_add3_u32 v12, v8, v12, s36
                                        ; implicit-def: $vgpr8
; %bb.2055:                             ;   in Loop: Header=BB388_1330 Depth=1
	s_andn2_saveexec_b64 s[28:29], s[8:9]
; %bb.2056:                             ;   in Loop: Header=BB388_1330 Depth=1
	v_or_b32_e32 v12, 0x10000, v8
	v_cmp_eq_u32_sdwa s[8:9], v8, v31 src0_sel:WORD_0 src1_sel:DWORD
	v_cndmask_b32_e64 v12, v12, v8, s[8:9]
; %bb.2057:                             ;   in Loop: Header=BB388_1330 Depth=1
	s_or_b64 exec, exec, s[28:29]
	v_lshrrev_b16_e32 v8, 8, v6
	v_cmp_ne_u16_e64 s[8:9], 0, v8
	v_mov_b32_e32 v13, 0
	s_and_saveexec_b64 s[28:29], s[8:9]
	s_cbranch_execz .LBB388_2063
; %bb.2058:                             ;   in Loop: Header=BB388_1330 Depth=1
	v_cmp_ne_u16_e64 s[8:9], s37, v8
	v_bfrev_b32_e32 v13, 1
	s_and_saveexec_b64 s[30:31], s[8:9]
	s_cbranch_execz .LBB388_2062
; %bb.2059:                             ;   in Loop: Header=BB388_1330 Depth=1
	v_and_b32_e32 v14, 0x7f, v8
	v_cmp_ne_u32_e64 s[8:9], s38, v14
	v_mov_b32_e32 v13, 0x7f800001
	s_and_saveexec_b64 s[34:35], s[8:9]
	s_cbranch_execz .LBB388_2061
; %bb.2060:                             ;   in Loop: Header=BB388_1330 Depth=1
	v_and_b32_e32 v13, 7, v8
	v_lshrrev_b32_e32 v16, 3, v14
	v_cmp_gt_u32_e64 s[8:9], 8, v14
	v_ffbh_u32_e32 v14, v13
	v_min_u32_e32 v17, 32, v14
	v_subrev_u32_e32 v14, 28, v17
	v_lshlrev_b64 v[14:15], v14, v[8:9]
	v_sub_u32_e32 v8, 29, v17
	v_and_b32_e32 v14, 7, v14
	v_cndmask_b32_e64 v8, v16, v8, s[8:9]
	v_cndmask_b32_e64 v13, v13, v14, s[8:9]
	v_lshlrev_b32_e32 v14, 16, v6
	v_lshlrev_b32_e32 v13, 20, v13
	v_and_b32_e32 v14, 0x80000000, v14
	v_lshl_add_u32 v8, v8, 23, v61
	v_or3_b32 v13, v14, v8, v13
.LBB388_2061:                           ;   in Loop: Header=BB388_1330 Depth=1
	s_or_b64 exec, exec, s[34:35]
.LBB388_2062:                           ;   in Loop: Header=BB388_1330 Depth=1
	s_or_b64 exec, exec, s[30:31]
.LBB388_2063:                           ;   in Loop: Header=BB388_1330 Depth=1
	s_or_b64 exec, exec, s[28:29]
	v_mul_f32_e32 v8, v9, v13
	v_and_b32_e32 v13, 0x7f800000, v8
	v_cmp_ne_u32_e64 s[8:9], s15, v13
                                        ; implicit-def: $vgpr13
	s_and_saveexec_b64 s[28:29], s[8:9]
	s_xor_b64 s[8:9], exec, s[28:29]
; %bb.2064:                             ;   in Loop: Header=BB388_1330 Depth=1
	v_bfe_u32 v13, v8, 16, 1
	v_add3_u32 v13, v8, v13, s36
                                        ; implicit-def: $vgpr8
; %bb.2065:                             ;   in Loop: Header=BB388_1330 Depth=1
	s_andn2_saveexec_b64 s[28:29], s[8:9]
; %bb.2066:                             ;   in Loop: Header=BB388_1330 Depth=1
	v_or_b32_e32 v13, 0x10000, v8
	v_cmp_eq_u32_sdwa s[8:9], v8, v31 src0_sel:WORD_0 src1_sel:DWORD
	v_cndmask_b32_e64 v13, v13, v8, s[8:9]
; %bb.2067:                             ;   in Loop: Header=BB388_1330 Depth=1
	s_or_b64 exec, exec, s[28:29]
	v_lshrrev_b32_e32 v8, 16, v6
	v_cmp_ne_u16_sdwa s[8:9], v8, v31 src0_sel:BYTE_0 src1_sel:DWORD
	v_mov_b32_e32 v14, 0
	s_and_saveexec_b64 s[28:29], s[8:9]
	s_cbranch_execz .LBB388_2073
; %bb.2068:                             ;   in Loop: Header=BB388_1330 Depth=1
	v_cmp_ne_u16_sdwa s[8:9], v8, s37 src0_sel:BYTE_0 src1_sel:DWORD
	v_bfrev_b32_e32 v14, 1
	s_and_saveexec_b64 s[30:31], s[8:9]
	s_cbranch_execz .LBB388_2072
; %bb.2069:                             ;   in Loop: Header=BB388_1330 Depth=1
	v_bfe_u32 v15, v6, 16, 7
	v_cmp_ne_u32_e64 s[8:9], s38, v15
	v_mov_b32_e32 v14, 0x7f800001
	s_and_saveexec_b64 s[34:35], s[8:9]
	s_cbranch_execz .LBB388_2071
; %bb.2070:                             ;   in Loop: Header=BB388_1330 Depth=1
	v_and_b32_e32 v16, 7, v8
	v_ffbh_u32_e32 v14, v16
	v_min_u32_e32 v18, 32, v14
	v_subrev_u32_e32 v14, 28, v18
	v_lshrrev_b32_e32 v17, 3, v15
	v_cmp_gt_u32_e64 s[8:9], 8, v15
	v_lshlrev_b64 v[14:15], v14, v[8:9]
	v_sub_u32_e32 v15, 29, v18
	v_and_b32_e32 v14, 7, v14
	v_cndmask_b32_e64 v15, v17, v15, s[8:9]
	v_cndmask_b32_e64 v14, v16, v14, s[8:9]
	v_lshlrev_b32_e32 v8, 24, v8
	v_lshlrev_b32_e32 v14, 20, v14
	v_and_b32_e32 v8, 0x80000000, v8
	v_lshl_add_u32 v15, v15, 23, v61
	v_or3_b32 v14, v8, v15, v14
.LBB388_2071:                           ;   in Loop: Header=BB388_1330 Depth=1
	s_or_b64 exec, exec, s[34:35]
.LBB388_2072:                           ;   in Loop: Header=BB388_1330 Depth=1
	s_or_b64 exec, exec, s[30:31]
.LBB388_2073:                           ;   in Loop: Header=BB388_1330 Depth=1
	s_or_b64 exec, exec, s[28:29]
	v_mul_f32_e32 v8, v9, v14
	v_and_b32_e32 v14, 0x7f800000, v8
	v_cmp_ne_u32_e64 s[8:9], s15, v14
                                        ; implicit-def: $vgpr16
	s_and_saveexec_b64 s[28:29], s[8:9]
	s_xor_b64 s[8:9], exec, s[28:29]
; %bb.2074:                             ;   in Loop: Header=BB388_1330 Depth=1
	v_bfe_u32 v14, v8, 16, 1
	v_add3_u32 v16, v8, v14, s36
                                        ; implicit-def: $vgpr8
; %bb.2075:                             ;   in Loop: Header=BB388_1330 Depth=1
	s_andn2_saveexec_b64 s[28:29], s[8:9]
; %bb.2076:                             ;   in Loop: Header=BB388_1330 Depth=1
	v_or_b32_e32 v14, 0x10000, v8
	v_cmp_eq_u32_sdwa s[8:9], v8, v31 src0_sel:WORD_0 src1_sel:DWORD
	v_cndmask_b32_e64 v16, v14, v8, s[8:9]
; %bb.2077:                             ;   in Loop: Header=BB388_1330 Depth=1
	s_or_b64 exec, exec, s[28:29]
	v_cmp_lt_u32_e64 s[8:9], s17, v6
	v_mov_b32_e32 v14, 0
	s_and_saveexec_b64 s[28:29], s[8:9]
	s_cbranch_execz .LBB388_2083
; %bb.2078:                             ;   in Loop: Header=BB388_1330 Depth=1
	v_lshrrev_b32_e32 v8, 24, v6
	v_cmp_ne_u32_e64 s[8:9], s37, v8
	v_bfrev_b32_e32 v14, 1
	s_and_saveexec_b64 s[30:31], s[8:9]
	s_cbranch_execz .LBB388_2082
; %bb.2079:                             ;   in Loop: Header=BB388_1330 Depth=1
	v_bfe_u32 v15, v6, 24, 7
	v_cmp_ne_u32_e64 s[8:9], s38, v15
	v_mov_b32_e32 v14, 0x7f800001
	s_and_saveexec_b64 s[34:35], s[8:9]
	s_cbranch_execz .LBB388_2081
; %bb.2080:                             ;   in Loop: Header=BB388_1330 Depth=1
	v_and_b32_e32 v17, 7, v8
	v_ffbh_u32_e32 v14, v17
	v_min_u32_e32 v19, 32, v14
	v_subrev_u32_e32 v14, 28, v19
	v_lshrrev_b32_e32 v18, 3, v15
	v_cmp_gt_u32_e64 s[8:9], 8, v15
	v_lshlrev_b64 v[14:15], v14, v[8:9]
	v_sub_u32_e32 v15, 29, v19
	v_and_b32_e32 v14, 7, v14
	v_cndmask_b32_e64 v15, v18, v15, s[8:9]
	v_cndmask_b32_e64 v14, v17, v14, s[8:9]
	v_lshlrev_b32_e32 v8, 24, v8
	v_lshlrev_b32_e32 v14, 20, v14
	v_and_b32_e32 v8, 0x80000000, v8
	v_lshl_add_u32 v15, v15, 23, v61
	v_or3_b32 v14, v8, v15, v14
.LBB388_2081:                           ;   in Loop: Header=BB388_1330 Depth=1
	s_or_b64 exec, exec, s[34:35]
.LBB388_2082:                           ;   in Loop: Header=BB388_1330 Depth=1
	s_or_b64 exec, exec, s[30:31]
.LBB388_2083:                           ;   in Loop: Header=BB388_1330 Depth=1
	s_or_b64 exec, exec, s[28:29]
	v_mul_f32_e32 v8, v9, v14
	v_and_b32_e32 v14, 0x7f800000, v8
	v_cmp_ne_u32_e64 s[8:9], s15, v14
                                        ; implicit-def: $vgpr17
	s_and_saveexec_b64 s[28:29], s[8:9]
	s_xor_b64 s[8:9], exec, s[28:29]
; %bb.2084:                             ;   in Loop: Header=BB388_1330 Depth=1
	v_bfe_u32 v14, v8, 16, 1
	v_add3_u32 v17, v8, v14, s36
                                        ; implicit-def: $vgpr8
; %bb.2085:                             ;   in Loop: Header=BB388_1330 Depth=1
	s_andn2_saveexec_b64 s[28:29], s[8:9]
; %bb.2086:                             ;   in Loop: Header=BB388_1330 Depth=1
	v_or_b32_e32 v14, 0x10000, v8
	v_cmp_eq_u32_sdwa s[8:9], v8, v31 src0_sel:WORD_0 src1_sel:DWORD
	v_cndmask_b32_e64 v17, v14, v8, s[8:9]
; %bb.2087:                             ;   in Loop: Header=BB388_1330 Depth=1
	s_or_b64 exec, exec, s[28:29]
	v_mov_b32_e32 v30, v7
	v_cmp_ne_u16_sdwa s[8:9], v7, v31 src0_sel:BYTE_0 src1_sel:DWORD
	v_mov_b32_e32 v8, 0
	s_and_saveexec_b64 s[28:29], s[8:9]
	s_cbranch_execz .LBB388_2093
; %bb.2088:                             ;   in Loop: Header=BB388_1330 Depth=1
	v_cmp_ne_u16_sdwa s[8:9], v7, s37 src0_sel:BYTE_0 src1_sel:DWORD
	v_bfrev_b32_e32 v8, 1
	s_and_saveexec_b64 s[30:31], s[8:9]
	s_cbranch_execz .LBB388_2092
; %bb.2089:                             ;   in Loop: Header=BB388_1330 Depth=1
	v_and_b32_e32 v14, 0x7f, v7
	v_cmp_ne_u32_e64 s[8:9], s38, v14
	v_mov_b32_e32 v8, 0x7f800001
	s_and_saveexec_b64 s[34:35], s[8:9]
	s_cbranch_execz .LBB388_2091
; %bb.2090:                             ;   in Loop: Header=BB388_1330 Depth=1
	v_and_b32_e32 v8, 7, v7
	v_ffbh_u32_e32 v8, v8
	v_min_u32_e32 v8, 32, v8
	v_lshrrev_b32_e32 v15, 3, v14
	v_cmp_gt_u32_e64 s[8:9], 8, v14
	v_subrev_u32_e32 v14, 28, v8
	v_sub_u32_e32 v8, 29, v8
	v_cndmask_b32_e64 v14, 0, v14, s[8:9]
	v_cndmask_b32_e64 v8, v15, v8, s[8:9]
	v_lshlrev_b64 v[14:15], v14, v[30:31]
	v_lshlrev_b32_e32 v14, 20, v14
	v_lshlrev_b32_e32 v15, 24, v30
	v_and_b32_e32 v14, 0x700000, v14
	v_and_b32_e32 v15, 0x80000000, v15
	v_lshl_add_u32 v8, v8, 23, v61
	v_or3_b32 v8, v15, v8, v14
.LBB388_2091:                           ;   in Loop: Header=BB388_1330 Depth=1
	s_or_b64 exec, exec, s[34:35]
.LBB388_2092:                           ;   in Loop: Header=BB388_1330 Depth=1
	s_or_b64 exec, exec, s[30:31]
.LBB388_2093:                           ;   in Loop: Header=BB388_1330 Depth=1
	s_or_b64 exec, exec, s[28:29]
	v_mul_f32_e32 v8, v9, v8
	v_and_b32_e32 v14, 0x7f800000, v8
	v_cmp_ne_u32_e64 s[8:9], s15, v14
                                        ; implicit-def: $vgpr18
	s_and_saveexec_b64 s[28:29], s[8:9]
	s_xor_b64 s[8:9], exec, s[28:29]
; %bb.2094:                             ;   in Loop: Header=BB388_1330 Depth=1
	v_bfe_u32 v14, v8, 16, 1
	v_add3_u32 v18, v8, v14, s36
                                        ; implicit-def: $vgpr8
; %bb.2095:                             ;   in Loop: Header=BB388_1330 Depth=1
	s_andn2_saveexec_b64 s[28:29], s[8:9]
; %bb.2096:                             ;   in Loop: Header=BB388_1330 Depth=1
	v_or_b32_e32 v14, 0x10000, v8
	v_cmp_eq_u32_sdwa s[8:9], v8, v31 src0_sel:WORD_0 src1_sel:DWORD
	v_cndmask_b32_e64 v18, v14, v8, s[8:9]
; %bb.2097:                             ;   in Loop: Header=BB388_1330 Depth=1
	s_or_b64 exec, exec, s[28:29]
	v_lshrrev_b16_e32 v8, 8, v30
	v_cmp_ne_u16_e64 s[8:9], 0, v8
	v_mov_b32_e32 v14, 0
	s_and_saveexec_b64 s[28:29], s[8:9]
	s_cbranch_execz .LBB388_2103
; %bb.2098:                             ;   in Loop: Header=BB388_1330 Depth=1
	v_cmp_ne_u16_e64 s[8:9], s37, v8
	v_bfrev_b32_e32 v14, 1
	s_and_saveexec_b64 s[30:31], s[8:9]
	s_cbranch_execz .LBB388_2102
; %bb.2099:                             ;   in Loop: Header=BB388_1330 Depth=1
	v_and_b32_e32 v15, 0x7f, v8
	v_cmp_ne_u32_e64 s[8:9], s38, v15
	v_mov_b32_e32 v14, 0x7f800001
	s_and_saveexec_b64 s[34:35], s[8:9]
	s_cbranch_execz .LBB388_2101
; %bb.2100:                             ;   in Loop: Header=BB388_1330 Depth=1
	v_and_b32_e32 v19, 7, v8
	v_ffbh_u32_e32 v14, v19
	v_min_u32_e32 v21, 32, v14
	v_subrev_u32_e32 v14, 28, v21
	v_lshrrev_b32_e32 v20, 3, v15
	v_cmp_gt_u32_e64 s[8:9], 8, v15
	v_lshlrev_b64 v[14:15], v14, v[8:9]
	v_sub_u32_e32 v8, 29, v21
	v_and_b32_e32 v14, 7, v14
	v_cndmask_b32_e64 v8, v20, v8, s[8:9]
	v_cndmask_b32_e64 v14, v19, v14, s[8:9]
	v_lshlrev_b32_e32 v15, 16, v30
	v_lshlrev_b32_e32 v14, 20, v14
	v_and_b32_e32 v15, 0x80000000, v15
	v_lshl_add_u32 v8, v8, 23, v61
	v_or3_b32 v14, v15, v8, v14
.LBB388_2101:                           ;   in Loop: Header=BB388_1330 Depth=1
	s_or_b64 exec, exec, s[34:35]
.LBB388_2102:                           ;   in Loop: Header=BB388_1330 Depth=1
	s_or_b64 exec, exec, s[30:31]
.LBB388_2103:                           ;   in Loop: Header=BB388_1330 Depth=1
	s_or_b64 exec, exec, s[28:29]
	v_mul_f32_e32 v8, v9, v14
	v_and_b32_e32 v14, 0x7f800000, v8
	v_cmp_ne_u32_e64 s[8:9], s15, v14
                                        ; implicit-def: $vgpr19
	s_and_saveexec_b64 s[28:29], s[8:9]
	s_xor_b64 s[8:9], exec, s[28:29]
; %bb.2104:                             ;   in Loop: Header=BB388_1330 Depth=1
	v_bfe_u32 v14, v8, 16, 1
	v_add3_u32 v19, v8, v14, s36
                                        ; implicit-def: $vgpr8
; %bb.2105:                             ;   in Loop: Header=BB388_1330 Depth=1
	s_andn2_saveexec_b64 s[28:29], s[8:9]
; %bb.2106:                             ;   in Loop: Header=BB388_1330 Depth=1
	v_or_b32_e32 v14, 0x10000, v8
	v_cmp_eq_u32_sdwa s[8:9], v8, v31 src0_sel:WORD_0 src1_sel:DWORD
	v_cndmask_b32_e64 v19, v14, v8, s[8:9]
; %bb.2107:                             ;   in Loop: Header=BB388_1330 Depth=1
	s_or_b64 exec, exec, s[28:29]
	v_lshrrev_b32_e32 v8, 16, v7
	v_cmp_ne_u16_sdwa s[8:9], v8, v31 src0_sel:BYTE_0 src1_sel:DWORD
	v_mov_b32_e32 v14, 0
	s_and_saveexec_b64 s[28:29], s[8:9]
	s_cbranch_execz .LBB388_2113
; %bb.2108:                             ;   in Loop: Header=BB388_1330 Depth=1
	v_cmp_ne_u16_sdwa s[8:9], v8, s37 src0_sel:BYTE_0 src1_sel:DWORD
	v_bfrev_b32_e32 v14, 1
	s_and_saveexec_b64 s[30:31], s[8:9]
	s_cbranch_execz .LBB388_2112
; %bb.2109:                             ;   in Loop: Header=BB388_1330 Depth=1
	v_bfe_u32 v15, v7, 16, 7
	v_cmp_ne_u32_e64 s[8:9], s38, v15
	v_mov_b32_e32 v14, 0x7f800001
	s_and_saveexec_b64 s[34:35], s[8:9]
	s_cbranch_execz .LBB388_2111
; %bb.2110:                             ;   in Loop: Header=BB388_1330 Depth=1
	v_and_b32_e32 v20, 7, v8
	v_ffbh_u32_e32 v14, v20
	v_min_u32_e32 v22, 32, v14
	v_subrev_u32_e32 v14, 28, v22
	v_lshrrev_b32_e32 v21, 3, v15
	v_cmp_gt_u32_e64 s[8:9], 8, v15
	v_lshlrev_b64 v[14:15], v14, v[8:9]
	v_sub_u32_e32 v15, 29, v22
	v_and_b32_e32 v14, 7, v14
	v_cndmask_b32_e64 v15, v21, v15, s[8:9]
	v_cndmask_b32_e64 v14, v20, v14, s[8:9]
	v_lshlrev_b32_e32 v8, 24, v8
	v_lshlrev_b32_e32 v14, 20, v14
	v_and_b32_e32 v8, 0x80000000, v8
	v_lshl_add_u32 v15, v15, 23, v61
	v_or3_b32 v14, v8, v15, v14
.LBB388_2111:                           ;   in Loop: Header=BB388_1330 Depth=1
	s_or_b64 exec, exec, s[34:35]
.LBB388_2112:                           ;   in Loop: Header=BB388_1330 Depth=1
	s_or_b64 exec, exec, s[30:31]
.LBB388_2113:                           ;   in Loop: Header=BB388_1330 Depth=1
	s_or_b64 exec, exec, s[28:29]
	v_mul_f32_e32 v8, v9, v14
	v_and_b32_e32 v14, 0x7f800000, v8
	v_cmp_ne_u32_e64 s[8:9], s15, v14
                                        ; implicit-def: $vgpr20
	s_and_saveexec_b64 s[28:29], s[8:9]
	s_xor_b64 s[8:9], exec, s[28:29]
; %bb.2114:                             ;   in Loop: Header=BB388_1330 Depth=1
	v_bfe_u32 v14, v8, 16, 1
	v_add3_u32 v20, v8, v14, s36
                                        ; implicit-def: $vgpr8
; %bb.2115:                             ;   in Loop: Header=BB388_1330 Depth=1
	s_andn2_saveexec_b64 s[28:29], s[8:9]
; %bb.2116:                             ;   in Loop: Header=BB388_1330 Depth=1
	v_or_b32_e32 v14, 0x10000, v8
	v_cmp_eq_u32_sdwa s[8:9], v8, v31 src0_sel:WORD_0 src1_sel:DWORD
	v_cndmask_b32_e64 v20, v14, v8, s[8:9]
; %bb.2117:                             ;   in Loop: Header=BB388_1330 Depth=1
	s_or_b64 exec, exec, s[28:29]
	v_cmp_lt_u64_e64 s[8:9], s[16:17], v[6:7]
	v_mov_b32_e32 v8, 0
	s_and_saveexec_b64 s[28:29], s[8:9]
	s_cbranch_execz .LBB388_2123
; %bb.2118:                             ;   in Loop: Header=BB388_1330 Depth=1
	v_lshrrev_b32_e32 v6, 24, v7
	v_cmp_ne_u32_e64 s[8:9], s37, v6
	v_bfrev_b32_e32 v8, 1
	s_and_saveexec_b64 s[30:31], s[8:9]
	s_cbranch_execz .LBB388_2122
; %bb.2119:                             ;   in Loop: Header=BB388_1330 Depth=1
	v_bfe_u32 v7, v7, 24, 7
	v_cmp_ne_u32_e64 s[8:9], s38, v7
	v_mov_b32_e32 v8, 0x7f800001
	s_and_saveexec_b64 s[34:35], s[8:9]
	s_cbranch_execz .LBB388_2121
; %bb.2120:                             ;   in Loop: Header=BB388_1330 Depth=1
	v_and_b32_e32 v8, 7, v6
	v_lshrrev_b32_e32 v21, 3, v7
	v_cmp_gt_u32_e64 s[8:9], 8, v7
	v_ffbh_u32_e32 v7, v8
	v_min_u32_e32 v7, 32, v7
	v_subrev_u32_e32 v14, 28, v7
	v_lshlrev_b64 v[14:15], v14, v[6:7]
	v_sub_u32_e32 v7, 29, v7
	v_and_b32_e32 v14, 7, v14
	v_cndmask_b32_e64 v7, v21, v7, s[8:9]
	v_cndmask_b32_e64 v8, v8, v14, s[8:9]
	v_lshlrev_b32_e32 v6, 24, v6
	v_lshlrev_b32_e32 v8, 20, v8
	v_and_b32_e32 v6, 0x80000000, v6
	v_lshl_add_u32 v7, v7, 23, v61
	v_or3_b32 v8, v6, v7, v8
.LBB388_2121:                           ;   in Loop: Header=BB388_1330 Depth=1
	s_or_b64 exec, exec, s[34:35]
.LBB388_2122:                           ;   in Loop: Header=BB388_1330 Depth=1
	s_or_b64 exec, exec, s[30:31]
.LBB388_2123:                           ;   in Loop: Header=BB388_1330 Depth=1
	s_or_b64 exec, exec, s[28:29]
	v_mul_f32_e32 v7, v9, v8
	v_and_b32_e32 v6, 0x7f800000, v7
	v_cmp_ne_u32_e64 s[8:9], s15, v6
                                        ; implicit-def: $vgpr6
	s_and_saveexec_b64 s[28:29], s[8:9]
	s_xor_b64 s[8:9], exec, s[28:29]
; %bb.2124:                             ;   in Loop: Header=BB388_1330 Depth=1
	v_bfe_u32 v6, v7, 16, 1
	v_add3_u32 v6, v7, v6, s36
                                        ; implicit-def: $vgpr7
; %bb.2125:                             ;   in Loop: Header=BB388_1330 Depth=1
	s_andn2_saveexec_b64 s[28:29], s[8:9]
; %bb.2126:                             ;   in Loop: Header=BB388_1330 Depth=1
	v_or_b32_e32 v6, 0x10000, v7
	v_cmp_eq_u32_sdwa s[8:9], v7, v31 src0_sel:WORD_0 src1_sel:DWORD
	v_cndmask_b32_e64 v6, v6, v7, s[8:9]
; %bb.2127:                             ;   in Loop: Header=BB388_1330 Depth=1
	s_or_b64 exec, exec, s[28:29]
	v_lshrrev_b32_e32 v8, 16, v19
	v_lshrrev_b32_e32 v14, 16, v18
	;; [unrolled: 1-line block ×8, first 2 shown]
	s_and_saveexec_b64 s[28:29], vcc
	s_cbranch_execz .LBB388_2129
; %bb.2128:                             ;   in Loop: Header=BB388_1330 Depth=1
	buffer_load_dword v17, off, s[0:3], s32 offset:196 ; 4-byte Folded Reload
	v_accvgpr_read_b32 v18, a18
	s_waitcnt vmcnt(0)
	v_cmp_lt_i32_e64 s[8:9], v40, v17
	v_cndmask_b32_e64 v12, 0, v12, s[8:9]
	v_cmp_lt_i32_e64 s[8:9], v18, v17
	v_accvgpr_read_b32 v18, a63
	v_cndmask_b32_e64 v13, 0, v13, s[8:9]
	v_cmp_lt_i32_e64 s[8:9], v18, v17
	v_accvgpr_read_b32 v18, a62
	;; [unrolled: 3-line block ×5, first 2 shown]
	v_cndmask_b32_e64 v8, 0, v8, s[8:9]
	v_cmp_lt_i32_e64 s[8:9], v18, v17
	v_cndmask_b32_e64 v7, 0, v7, s[8:9]
	v_cmp_lt_i32_e64 s[8:9], v50, v17
	v_cndmask_b32_e64 v6, 0, v6, s[8:9]
.LBB388_2129:                           ;   in Loop: Header=BB388_1330 Depth=1
	s_or_b64 exec, exec, s[28:29]
	v_lshlrev_b32_e32 v12, 16, v12
	v_mul_f32_e32 v12, v27, v12
	v_and_b32_e32 v17, 0x7f800000, v12
	v_cmp_ne_u32_e64 s[8:9], s15, v17
                                        ; implicit-def: $agpr39
	s_and_saveexec_b64 s[28:29], s[8:9]
	s_xor_b64 s[8:9], exec, s[28:29]
; %bb.2130:                             ;   in Loop: Header=BB388_1330 Depth=1
	v_bfe_u32 v17, v12, 16, 1
	v_add3_u32 v12, v12, v17, s36
	v_accvgpr_write_b32 a39, v12
                                        ; implicit-def: $vgpr12
; %bb.2131:                             ;   in Loop: Header=BB388_1330 Depth=1
	s_andn2_saveexec_b64 s[28:29], s[8:9]
; %bb.2132:                             ;   in Loop: Header=BB388_1330 Depth=1
	v_or_b32_e32 v17, 0x10000, v12
	v_cmp_eq_u32_sdwa s[8:9], v12, v31 src0_sel:WORD_0 src1_sel:DWORD
	v_cndmask_b32_e64 v12, v17, v12, s[8:9]
	v_accvgpr_write_b32 a39, v12
; %bb.2133:                             ;   in Loop: Header=BB388_1330 Depth=1
	s_or_b64 exec, exec, s[28:29]
	v_lshlrev_b32_e32 v12, 16, v13
	v_mul_f32_e32 v12, v23, v12
	v_and_b32_e32 v13, 0x7f800000, v12
	v_cmp_ne_u32_e64 s[8:9], s15, v13
                                        ; implicit-def: $agpr30
	s_and_saveexec_b64 s[28:29], s[8:9]
	s_xor_b64 s[8:9], exec, s[28:29]
; %bb.2134:                             ;   in Loop: Header=BB388_1330 Depth=1
	v_bfe_u32 v13, v12, 16, 1
	v_add3_u32 v12, v12, v13, s36
	v_accvgpr_write_b32 a30, v12
                                        ; implicit-def: $vgpr12
; %bb.2135:                             ;   in Loop: Header=BB388_1330 Depth=1
	s_andn2_saveexec_b64 s[28:29], s[8:9]
; %bb.2136:                             ;   in Loop: Header=BB388_1330 Depth=1
	v_or_b32_e32 v13, 0x10000, v12
	v_cmp_eq_u32_sdwa s[8:9], v12, v31 src0_sel:WORD_0 src1_sel:DWORD
	v_cndmask_b32_e64 v12, v13, v12, s[8:9]
	v_accvgpr_write_b32 a30, v12
; %bb.2137:                             ;   in Loop: Header=BB388_1330 Depth=1
	s_or_b64 exec, exec, s[28:29]
	v_lshlrev_b32_e32 v12, 16, v16
	v_mul_f32_e32 v12, v55, v12
	v_and_b32_e32 v13, 0x7f800000, v12
	v_cmp_ne_u32_e64 s[8:9], s15, v13
                                        ; implicit-def: $agpr31
	s_and_saveexec_b64 s[28:29], s[8:9]
	s_xor_b64 s[8:9], exec, s[28:29]
; %bb.2138:                             ;   in Loop: Header=BB388_1330 Depth=1
	v_bfe_u32 v13, v12, 16, 1
	v_add3_u32 v12, v12, v13, s36
	v_accvgpr_write_b32 a31, v12
                                        ; implicit-def: $vgpr12
; %bb.2139:                             ;   in Loop: Header=BB388_1330 Depth=1
	s_andn2_saveexec_b64 s[28:29], s[8:9]
; %bb.2140:                             ;   in Loop: Header=BB388_1330 Depth=1
	v_or_b32_e32 v13, 0x10000, v12
	v_cmp_eq_u32_sdwa s[8:9], v12, v31 src0_sel:WORD_0 src1_sel:DWORD
	v_cndmask_b32_e64 v12, v13, v12, s[8:9]
	v_accvgpr_write_b32 a31, v12
; %bb.2141:                             ;   in Loop: Header=BB388_1330 Depth=1
	s_or_b64 exec, exec, s[28:29]
	v_lshlrev_b32_e32 v12, 16, v15
	v_mul_f32_e32 v12, v48, v12
	v_and_b32_e32 v13, 0x7f800000, v12
	v_cmp_ne_u32_e64 s[8:9], s15, v13
                                        ; implicit-def: $agpr15
	s_and_saveexec_b64 s[28:29], s[8:9]
	s_xor_b64 s[8:9], exec, s[28:29]
; %bb.2142:                             ;   in Loop: Header=BB388_1330 Depth=1
	v_bfe_u32 v13, v12, 16, 1
	v_add3_u32 v12, v12, v13, s36
	v_accvgpr_write_b32 a15, v12
                                        ; implicit-def: $vgpr12
; %bb.2143:                             ;   in Loop: Header=BB388_1330 Depth=1
	s_andn2_saveexec_b64 s[28:29], s[8:9]
; %bb.2144:                             ;   in Loop: Header=BB388_1330 Depth=1
	v_or_b32_e32 v13, 0x10000, v12
	v_cmp_eq_u32_sdwa s[8:9], v12, v31 src0_sel:WORD_0 src1_sel:DWORD
	v_cndmask_b32_e64 v12, v13, v12, s[8:9]
	v_accvgpr_write_b32 a15, v12
; %bb.2145:                             ;   in Loop: Header=BB388_1330 Depth=1
	s_or_b64 exec, exec, s[28:29]
	v_lshlrev_b32_e32 v12, 16, v14
	v_mul_f32_e32 v12, v62, v12
	v_and_b32_e32 v13, 0x7f800000, v12
	v_cmp_ne_u32_e64 s[8:9], s15, v13
                                        ; implicit-def: $agpr43
	s_and_saveexec_b64 s[28:29], s[8:9]
	s_xor_b64 s[8:9], exec, s[28:29]
; %bb.2146:                             ;   in Loop: Header=BB388_1330 Depth=1
	v_bfe_u32 v13, v12, 16, 1
	v_add3_u32 v12, v12, v13, s36
	v_accvgpr_write_b32 a43, v12
                                        ; implicit-def: $vgpr12
; %bb.2147:                             ;   in Loop: Header=BB388_1330 Depth=1
	s_andn2_saveexec_b64 s[28:29], s[8:9]
; %bb.2148:                             ;   in Loop: Header=BB388_1330 Depth=1
	v_or_b32_e32 v13, 0x10000, v12
	v_cmp_eq_u32_sdwa s[8:9], v12, v31 src0_sel:WORD_0 src1_sel:DWORD
	v_cndmask_b32_e64 v12, v13, v12, s[8:9]
	v_accvgpr_write_b32 a43, v12
; %bb.2149:                             ;   in Loop: Header=BB388_1330 Depth=1
	s_or_b64 exec, exec, s[28:29]
	v_lshlrev_b32_e32 v8, 16, v8
	v_mul_f32_e32 v8, v5, v8
	v_and_b32_e32 v12, 0x7f800000, v8
	v_cmp_ne_u32_e64 s[8:9], s15, v12
                                        ; implicit-def: $agpr45
	s_and_saveexec_b64 s[28:29], s[8:9]
	s_xor_b64 s[8:9], exec, s[28:29]
; %bb.2150:                             ;   in Loop: Header=BB388_1330 Depth=1
	v_bfe_u32 v12, v8, 16, 1
	v_add3_u32 v8, v8, v12, s36
	v_accvgpr_write_b32 a45, v8
                                        ; implicit-def: $vgpr8
; %bb.2151:                             ;   in Loop: Header=BB388_1330 Depth=1
	s_andn2_saveexec_b64 s[28:29], s[8:9]
; %bb.2152:                             ;   in Loop: Header=BB388_1330 Depth=1
	v_or_b32_e32 v12, 0x10000, v8
	v_cmp_eq_u32_sdwa s[8:9], v8, v31 src0_sel:WORD_0 src1_sel:DWORD
	v_cndmask_b32_e64 v8, v12, v8, s[8:9]
	v_accvgpr_write_b32 a45, v8
; %bb.2153:                             ;   in Loop: Header=BB388_1330 Depth=1
	s_or_b64 exec, exec, s[28:29]
	v_lshlrev_b32_e32 v7, 16, v7
	v_mul_f32_e32 v7, v10, v7
	v_and_b32_e32 v8, 0x7f800000, v7
	v_cmp_ne_u32_e64 s[8:9], s15, v8
                                        ; implicit-def: $agpr20
	s_and_saveexec_b64 s[28:29], s[8:9]
	s_xor_b64 s[8:9], exec, s[28:29]
; %bb.2154:                             ;   in Loop: Header=BB388_1330 Depth=1
	v_bfe_u32 v8, v7, 16, 1
	v_add3_u32 v7, v7, v8, s36
	v_accvgpr_write_b32 a20, v7
                                        ; implicit-def: $vgpr7
; %bb.2155:                             ;   in Loop: Header=BB388_1330 Depth=1
	s_andn2_saveexec_b64 s[28:29], s[8:9]
; %bb.2156:                             ;   in Loop: Header=BB388_1330 Depth=1
	v_or_b32_e32 v8, 0x10000, v7
	v_cmp_eq_u32_sdwa s[8:9], v7, v31 src0_sel:WORD_0 src1_sel:DWORD
	v_cndmask_b32_e64 v7, v8, v7, s[8:9]
	v_accvgpr_write_b32 a20, v7
; %bb.2157:                             ;   in Loop: Header=BB388_1330 Depth=1
	s_or_b64 exec, exec, s[28:29]
	v_lshlrev_b32_e32 v6, 16, v6
	v_mul_f32_e32 v6, v11, v6
	v_and_b32_e32 v7, 0x7f800000, v6
	v_cmp_ne_u32_e64 s[8:9], s15, v7
                                        ; implicit-def: $agpr21
	s_and_saveexec_b64 s[28:29], s[8:9]
	s_xor_b64 s[8:9], exec, s[28:29]
; %bb.2158:                             ;   in Loop: Header=BB388_1330 Depth=1
	v_bfe_u32 v7, v6, 16, 1
	v_add3_u32 v6, v6, v7, s36
	v_accvgpr_write_b32 a21, v6
                                        ; implicit-def: $vgpr6
; %bb.2159:                             ;   in Loop: Header=BB388_1330 Depth=1
	s_andn2_saveexec_b64 s[28:29], s[8:9]
; %bb.2160:                             ;   in Loop: Header=BB388_1330 Depth=1
	v_or_b32_e32 v7, 0x10000, v6
	v_cmp_eq_u32_sdwa s[8:9], v6, v31 src0_sel:WORD_0 src1_sel:DWORD
	v_cndmask_b32_e64 v6, v7, v6, s[8:9]
	v_accvgpr_write_b32 a21, v6
; %bb.2161:                             ;   in Loop: Header=BB388_1330 Depth=1
	s_or_b64 exec, exec, s[28:29]
	flat_load_dwordx2 v[2:3], v[2:3] offset:3584
	v_mov_b32_e32 v6, 0
	s_waitcnt vmcnt(0) lgkmcnt(0)
	v_cmp_ne_u16_sdwa s[8:9], v2, v31 src0_sel:BYTE_0 src1_sel:DWORD
	s_and_saveexec_b64 s[28:29], s[8:9]
	s_cbranch_execz .LBB388_2167
; %bb.2162:                             ;   in Loop: Header=BB388_1330 Depth=1
	v_cmp_ne_u16_sdwa s[8:9], v2, s37 src0_sel:BYTE_0 src1_sel:DWORD
	v_bfrev_b32_e32 v6, 1
	s_and_saveexec_b64 s[30:31], s[8:9]
	s_cbranch_execz .LBB388_2166
; %bb.2163:                             ;   in Loop: Header=BB388_1330 Depth=1
	v_and_b32_e32 v7, 0x7f, v2
	v_cmp_ne_u32_e64 s[8:9], s38, v7
	v_mov_b32_e32 v6, 0x7f800001
	s_and_saveexec_b64 s[34:35], s[8:9]
	s_cbranch_execz .LBB388_2165
; %bb.2164:                             ;   in Loop: Header=BB388_1330 Depth=1
	v_and_b32_e32 v6, 7, v2
	v_ffbh_u32_e32 v6, v6
	v_min_u32_e32 v6, 32, v6
	v_lshrrev_b32_e32 v8, 3, v7
	v_cmp_gt_u32_e64 s[8:9], 8, v7
	v_subrev_u32_e32 v7, 28, v6
	v_sub_u32_e32 v6, 29, v6
	v_cndmask_b32_e64 v8, v8, v6, s[8:9]
	v_cndmask_b32_e64 v6, 0, v7, s[8:9]
	v_lshlrev_b64 v[6:7], v6, v[2:3]
	v_lshlrev_b32_e32 v6, 20, v6
	v_lshlrev_b32_e32 v7, 24, v2
	v_and_b32_e32 v6, 0x700000, v6
	v_and_b32_e32 v7, 0x80000000, v7
	v_lshl_add_u32 v8, v8, 23, v61
	v_or3_b32 v6, v7, v8, v6
.LBB388_2165:                           ;   in Loop: Header=BB388_1330 Depth=1
	s_or_b64 exec, exec, s[34:35]
.LBB388_2166:                           ;   in Loop: Header=BB388_1330 Depth=1
	s_or_b64 exec, exec, s[30:31]
.LBB388_2167:                           ;   in Loop: Header=BB388_1330 Depth=1
	s_or_b64 exec, exec, s[28:29]
	v_mul_f32_e32 v6, v9, v6
	v_and_b32_e32 v7, 0x7f800000, v6
	v_cmp_ne_u32_e64 s[8:9], s15, v7
                                        ; implicit-def: $vgpr7
	s_and_saveexec_b64 s[28:29], s[8:9]
	s_xor_b64 s[8:9], exec, s[28:29]
; %bb.2168:                             ;   in Loop: Header=BB388_1330 Depth=1
	v_bfe_u32 v7, v6, 16, 1
	v_add3_u32 v7, v6, v7, s36
                                        ; implicit-def: $vgpr6
; %bb.2169:                             ;   in Loop: Header=BB388_1330 Depth=1
	s_andn2_saveexec_b64 s[28:29], s[8:9]
; %bb.2170:                             ;   in Loop: Header=BB388_1330 Depth=1
	v_or_b32_e32 v7, 0x10000, v6
	v_cmp_eq_u32_sdwa s[8:9], v6, v31 src0_sel:WORD_0 src1_sel:DWORD
	v_cndmask_b32_e64 v7, v7, v6, s[8:9]
; %bb.2171:                             ;   in Loop: Header=BB388_1330 Depth=1
	s_or_b64 exec, exec, s[28:29]
	v_lshrrev_b16_e32 v6, 8, v2
	v_cmp_ne_u16_e64 s[8:9], 0, v6
	v_mov_b32_e32 v8, 0
	s_and_saveexec_b64 s[28:29], s[8:9]
	s_cbranch_execz .LBB388_2177
; %bb.2172:                             ;   in Loop: Header=BB388_1330 Depth=1
	v_cmp_ne_u16_e64 s[8:9], s37, v6
	v_bfrev_b32_e32 v8, 1
	s_and_saveexec_b64 s[30:31], s[8:9]
	s_cbranch_execz .LBB388_2176
; %bb.2173:                             ;   in Loop: Header=BB388_1330 Depth=1
	v_and_b32_e32 v12, 0x7f, v6
	v_cmp_ne_u32_e64 s[8:9], s38, v12
	v_mov_b32_e32 v8, 0x7f800001
	s_and_saveexec_b64 s[34:35], s[8:9]
	s_cbranch_execz .LBB388_2175
; %bb.2174:                             ;   in Loop: Header=BB388_1330 Depth=1
	v_and_b32_e32 v8, 7, v6
	v_lshrrev_b32_e32 v14, 3, v12
	v_cmp_gt_u32_e64 s[8:9], 8, v12
	v_ffbh_u32_e32 v12, v8
	v_min_u32_e32 v15, 32, v12
	v_subrev_u32_e32 v12, 28, v15
	v_lshlrev_b64 v[12:13], v12, v[6:7]
	v_sub_u32_e32 v6, 29, v15
	v_and_b32_e32 v12, 7, v12
	v_cndmask_b32_e64 v6, v14, v6, s[8:9]
	v_cndmask_b32_e64 v8, v8, v12, s[8:9]
	v_lshlrev_b32_e32 v12, 16, v2
	v_lshlrev_b32_e32 v8, 20, v8
	v_and_b32_e32 v12, 0x80000000, v12
	v_lshl_add_u32 v6, v6, 23, v61
	v_or3_b32 v8, v12, v6, v8
.LBB388_2175:                           ;   in Loop: Header=BB388_1330 Depth=1
	s_or_b64 exec, exec, s[34:35]
.LBB388_2176:                           ;   in Loop: Header=BB388_1330 Depth=1
	s_or_b64 exec, exec, s[30:31]
.LBB388_2177:                           ;   in Loop: Header=BB388_1330 Depth=1
	s_or_b64 exec, exec, s[28:29]
	v_mul_f32_e32 v6, v9, v8
	v_and_b32_e32 v8, 0x7f800000, v6
	v_cmp_ne_u32_e64 s[8:9], s15, v8
                                        ; implicit-def: $vgpr8
	s_and_saveexec_b64 s[28:29], s[8:9]
	s_xor_b64 s[8:9], exec, s[28:29]
; %bb.2178:                             ;   in Loop: Header=BB388_1330 Depth=1
	v_bfe_u32 v8, v6, 16, 1
	v_add3_u32 v8, v6, v8, s36
                                        ; implicit-def: $vgpr6
; %bb.2179:                             ;   in Loop: Header=BB388_1330 Depth=1
	s_andn2_saveexec_b64 s[28:29], s[8:9]
; %bb.2180:                             ;   in Loop: Header=BB388_1330 Depth=1
	v_or_b32_e32 v8, 0x10000, v6
	v_cmp_eq_u32_sdwa s[8:9], v6, v31 src0_sel:WORD_0 src1_sel:DWORD
	v_cndmask_b32_e64 v8, v8, v6, s[8:9]
; %bb.2181:                             ;   in Loop: Header=BB388_1330 Depth=1
	s_or_b64 exec, exec, s[28:29]
	v_lshrrev_b32_e32 v6, 16, v2
	v_cmp_ne_u16_sdwa s[8:9], v6, v31 src0_sel:BYTE_0 src1_sel:DWORD
	v_mov_b32_e32 v12, 0
	s_and_saveexec_b64 s[28:29], s[8:9]
	s_cbranch_execz .LBB388_2187
; %bb.2182:                             ;   in Loop: Header=BB388_1330 Depth=1
	v_cmp_ne_u16_sdwa s[8:9], v6, s37 src0_sel:BYTE_0 src1_sel:DWORD
	v_bfrev_b32_e32 v12, 1
	s_and_saveexec_b64 s[30:31], s[8:9]
	s_cbranch_execz .LBB388_2186
; %bb.2183:                             ;   in Loop: Header=BB388_1330 Depth=1
	v_bfe_u32 v13, v2, 16, 7
	v_cmp_ne_u32_e64 s[8:9], s38, v13
	v_mov_b32_e32 v12, 0x7f800001
	s_and_saveexec_b64 s[34:35], s[8:9]
	s_cbranch_execz .LBB388_2185
; %bb.2184:                             ;   in Loop: Header=BB388_1330 Depth=1
	v_and_b32_e32 v14, 7, v6
	v_ffbh_u32_e32 v12, v14
	v_min_u32_e32 v16, 32, v12
	v_subrev_u32_e32 v12, 28, v16
	v_lshrrev_b32_e32 v15, 3, v13
	v_cmp_gt_u32_e64 s[8:9], 8, v13
	v_lshlrev_b64 v[12:13], v12, v[6:7]
	v_sub_u32_e32 v13, 29, v16
	v_and_b32_e32 v12, 7, v12
	v_cndmask_b32_e64 v13, v15, v13, s[8:9]
	v_cndmask_b32_e64 v12, v14, v12, s[8:9]
	v_lshlrev_b32_e32 v6, 24, v6
	v_lshlrev_b32_e32 v12, 20, v12
	v_and_b32_e32 v6, 0x80000000, v6
	v_lshl_add_u32 v13, v13, 23, v61
	v_or3_b32 v12, v6, v13, v12
.LBB388_2185:                           ;   in Loop: Header=BB388_1330 Depth=1
	s_or_b64 exec, exec, s[34:35]
.LBB388_2186:                           ;   in Loop: Header=BB388_1330 Depth=1
	s_or_b64 exec, exec, s[30:31]
.LBB388_2187:                           ;   in Loop: Header=BB388_1330 Depth=1
	s_or_b64 exec, exec, s[28:29]
	v_mul_f32_e32 v6, v9, v12
	v_and_b32_e32 v12, 0x7f800000, v6
	v_cmp_ne_u32_e64 s[8:9], s15, v12
                                        ; implicit-def: $vgpr12
	s_and_saveexec_b64 s[28:29], s[8:9]
	s_xor_b64 s[8:9], exec, s[28:29]
; %bb.2188:                             ;   in Loop: Header=BB388_1330 Depth=1
	v_bfe_u32 v12, v6, 16, 1
	v_add3_u32 v12, v6, v12, s36
                                        ; implicit-def: $vgpr6
; %bb.2189:                             ;   in Loop: Header=BB388_1330 Depth=1
	s_andn2_saveexec_b64 s[28:29], s[8:9]
; %bb.2190:                             ;   in Loop: Header=BB388_1330 Depth=1
	v_or_b32_e32 v12, 0x10000, v6
	v_cmp_eq_u32_sdwa s[8:9], v6, v31 src0_sel:WORD_0 src1_sel:DWORD
	v_cndmask_b32_e64 v12, v12, v6, s[8:9]
; %bb.2191:                             ;   in Loop: Header=BB388_1330 Depth=1
	s_or_b64 exec, exec, s[28:29]
	v_cmp_lt_u32_e64 s[8:9], s17, v2
	v_mov_b32_e32 v13, 0
	s_and_saveexec_b64 s[28:29], s[8:9]
	s_cbranch_execz .LBB388_2197
; %bb.2192:                             ;   in Loop: Header=BB388_1330 Depth=1
	v_lshrrev_b32_e32 v6, 24, v2
	v_cmp_ne_u32_e64 s[8:9], s37, v6
	v_bfrev_b32_e32 v13, 1
	s_and_saveexec_b64 s[30:31], s[8:9]
	s_cbranch_execz .LBB388_2196
; %bb.2193:                             ;   in Loop: Header=BB388_1330 Depth=1
	v_bfe_u32 v14, v2, 24, 7
	v_cmp_ne_u32_e64 s[8:9], s38, v14
	v_mov_b32_e32 v13, 0x7f800001
	s_and_saveexec_b64 s[34:35], s[8:9]
	s_cbranch_execz .LBB388_2195
; %bb.2194:                             ;   in Loop: Header=BB388_1330 Depth=1
	v_and_b32_e32 v13, 7, v6
	v_lshrrev_b32_e32 v16, 3, v14
	v_cmp_gt_u32_e64 s[8:9], 8, v14
	v_ffbh_u32_e32 v14, v13
	v_min_u32_e32 v17, 32, v14
	v_subrev_u32_e32 v14, 28, v17
	v_lshlrev_b64 v[14:15], v14, v[6:7]
	v_sub_u32_e32 v15, 29, v17
	v_and_b32_e32 v14, 7, v14
	v_cndmask_b32_e64 v15, v16, v15, s[8:9]
	v_cndmask_b32_e64 v13, v13, v14, s[8:9]
	v_lshlrev_b32_e32 v6, 24, v6
	v_lshlrev_b32_e32 v13, 20, v13
	v_and_b32_e32 v6, 0x80000000, v6
	v_lshl_add_u32 v14, v15, 23, v61
	v_or3_b32 v13, v6, v14, v13
.LBB388_2195:                           ;   in Loop: Header=BB388_1330 Depth=1
	s_or_b64 exec, exec, s[34:35]
.LBB388_2196:                           ;   in Loop: Header=BB388_1330 Depth=1
	s_or_b64 exec, exec, s[30:31]
.LBB388_2197:                           ;   in Loop: Header=BB388_1330 Depth=1
	s_or_b64 exec, exec, s[28:29]
	v_mul_f32_e32 v6, v9, v13
	v_and_b32_e32 v13, 0x7f800000, v6
	v_cmp_ne_u32_e64 s[8:9], s15, v13
                                        ; implicit-def: $vgpr13
	s_and_saveexec_b64 s[28:29], s[8:9]
	s_xor_b64 s[8:9], exec, s[28:29]
; %bb.2198:                             ;   in Loop: Header=BB388_1330 Depth=1
	v_bfe_u32 v13, v6, 16, 1
	v_add3_u32 v13, v6, v13, s36
                                        ; implicit-def: $vgpr6
; %bb.2199:                             ;   in Loop: Header=BB388_1330 Depth=1
	s_andn2_saveexec_b64 s[28:29], s[8:9]
; %bb.2200:                             ;   in Loop: Header=BB388_1330 Depth=1
	v_or_b32_e32 v13, 0x10000, v6
	v_cmp_eq_u32_sdwa s[8:9], v6, v31 src0_sel:WORD_0 src1_sel:DWORD
	v_cndmask_b32_e64 v13, v13, v6, s[8:9]
; %bb.2201:                             ;   in Loop: Header=BB388_1330 Depth=1
	s_or_b64 exec, exec, s[28:29]
	v_mov_b32_e32 v30, v3
	v_cmp_ne_u16_sdwa s[8:9], v3, v31 src0_sel:BYTE_0 src1_sel:DWORD
	v_mov_b32_e32 v6, 0
	s_and_saveexec_b64 s[28:29], s[8:9]
	s_cbranch_execz .LBB388_2207
; %bb.2202:                             ;   in Loop: Header=BB388_1330 Depth=1
	v_cmp_ne_u16_sdwa s[8:9], v3, s37 src0_sel:BYTE_0 src1_sel:DWORD
	v_bfrev_b32_e32 v6, 1
	s_and_saveexec_b64 s[30:31], s[8:9]
	s_cbranch_execz .LBB388_2206
; %bb.2203:                             ;   in Loop: Header=BB388_1330 Depth=1
	v_and_b32_e32 v14, 0x7f, v3
	v_cmp_ne_u32_e64 s[8:9], s38, v14
	v_mov_b32_e32 v6, 0x7f800001
	s_and_saveexec_b64 s[34:35], s[8:9]
	s_cbranch_execz .LBB388_2205
; %bb.2204:                             ;   in Loop: Header=BB388_1330 Depth=1
	v_and_b32_e32 v6, 7, v3
	v_ffbh_u32_e32 v6, v6
	v_min_u32_e32 v6, 32, v6
	v_lshrrev_b32_e32 v15, 3, v14
	v_cmp_gt_u32_e64 s[8:9], 8, v14
	v_subrev_u32_e32 v14, 28, v6
	v_sub_u32_e32 v6, 29, v6
	v_cndmask_b32_e64 v14, 0, v14, s[8:9]
	v_cndmask_b32_e64 v6, v15, v6, s[8:9]
	v_lshlrev_b64 v[14:15], v14, v[30:31]
	v_lshlrev_b32_e32 v14, 20, v14
	v_lshlrev_b32_e32 v15, 24, v30
	v_and_b32_e32 v14, 0x700000, v14
	v_and_b32_e32 v15, 0x80000000, v15
	v_lshl_add_u32 v6, v6, 23, v61
	v_or3_b32 v6, v15, v6, v14
.LBB388_2205:                           ;   in Loop: Header=BB388_1330 Depth=1
	s_or_b64 exec, exec, s[34:35]
.LBB388_2206:                           ;   in Loop: Header=BB388_1330 Depth=1
	s_or_b64 exec, exec, s[30:31]
.LBB388_2207:                           ;   in Loop: Header=BB388_1330 Depth=1
	s_or_b64 exec, exec, s[28:29]
	v_mul_f32_e32 v6, v9, v6
	v_and_b32_e32 v14, 0x7f800000, v6
	v_cmp_ne_u32_e64 s[8:9], s15, v14
                                        ; implicit-def: $vgpr16
	s_and_saveexec_b64 s[28:29], s[8:9]
	s_xor_b64 s[8:9], exec, s[28:29]
; %bb.2208:                             ;   in Loop: Header=BB388_1330 Depth=1
	v_bfe_u32 v14, v6, 16, 1
	v_add3_u32 v16, v6, v14, s36
                                        ; implicit-def: $vgpr6
; %bb.2209:                             ;   in Loop: Header=BB388_1330 Depth=1
	s_andn2_saveexec_b64 s[28:29], s[8:9]
; %bb.2210:                             ;   in Loop: Header=BB388_1330 Depth=1
	v_or_b32_e32 v14, 0x10000, v6
	v_cmp_eq_u32_sdwa s[8:9], v6, v31 src0_sel:WORD_0 src1_sel:DWORD
	v_cndmask_b32_e64 v16, v14, v6, s[8:9]
; %bb.2211:                             ;   in Loop: Header=BB388_1330 Depth=1
	s_or_b64 exec, exec, s[28:29]
	v_lshrrev_b16_e32 v6, 8, v30
	v_cmp_ne_u16_e64 s[8:9], 0, v6
	v_mov_b32_e32 v14, 0
	s_and_saveexec_b64 s[28:29], s[8:9]
	s_cbranch_execz .LBB388_2217
; %bb.2212:                             ;   in Loop: Header=BB388_1330 Depth=1
	v_cmp_ne_u16_e64 s[8:9], s37, v6
	v_bfrev_b32_e32 v14, 1
	s_and_saveexec_b64 s[30:31], s[8:9]
	s_cbranch_execz .LBB388_2216
; %bb.2213:                             ;   in Loop: Header=BB388_1330 Depth=1
	v_and_b32_e32 v15, 0x7f, v6
	v_cmp_ne_u32_e64 s[8:9], s38, v15
	v_mov_b32_e32 v14, 0x7f800001
	s_and_saveexec_b64 s[34:35], s[8:9]
	s_cbranch_execz .LBB388_2215
; %bb.2214:                             ;   in Loop: Header=BB388_1330 Depth=1
	v_and_b32_e32 v17, 7, v6
	v_ffbh_u32_e32 v14, v17
	v_min_u32_e32 v19, 32, v14
	v_subrev_u32_e32 v14, 28, v19
	v_lshrrev_b32_e32 v18, 3, v15
	v_cmp_gt_u32_e64 s[8:9], 8, v15
	v_lshlrev_b64 v[14:15], v14, v[6:7]
	v_sub_u32_e32 v6, 29, v19
	v_and_b32_e32 v14, 7, v14
	v_cndmask_b32_e64 v6, v18, v6, s[8:9]
	v_cndmask_b32_e64 v14, v17, v14, s[8:9]
	v_lshlrev_b32_e32 v15, 16, v30
	v_lshlrev_b32_e32 v14, 20, v14
	v_and_b32_e32 v15, 0x80000000, v15
	v_lshl_add_u32 v6, v6, 23, v61
	v_or3_b32 v14, v15, v6, v14
.LBB388_2215:                           ;   in Loop: Header=BB388_1330 Depth=1
	s_or_b64 exec, exec, s[34:35]
.LBB388_2216:                           ;   in Loop: Header=BB388_1330 Depth=1
	s_or_b64 exec, exec, s[30:31]
.LBB388_2217:                           ;   in Loop: Header=BB388_1330 Depth=1
	s_or_b64 exec, exec, s[28:29]
	v_mul_f32_e32 v6, v9, v14
	v_and_b32_e32 v14, 0x7f800000, v6
	v_cmp_ne_u32_e64 s[8:9], s15, v14
                                        ; implicit-def: $vgpr17
	s_and_saveexec_b64 s[28:29], s[8:9]
	s_xor_b64 s[8:9], exec, s[28:29]
; %bb.2218:                             ;   in Loop: Header=BB388_1330 Depth=1
	v_bfe_u32 v14, v6, 16, 1
	v_add3_u32 v17, v6, v14, s36
                                        ; implicit-def: $vgpr6
; %bb.2219:                             ;   in Loop: Header=BB388_1330 Depth=1
	s_andn2_saveexec_b64 s[28:29], s[8:9]
; %bb.2220:                             ;   in Loop: Header=BB388_1330 Depth=1
	v_or_b32_e32 v14, 0x10000, v6
	v_cmp_eq_u32_sdwa s[8:9], v6, v31 src0_sel:WORD_0 src1_sel:DWORD
	v_cndmask_b32_e64 v17, v14, v6, s[8:9]
; %bb.2221:                             ;   in Loop: Header=BB388_1330 Depth=1
	s_or_b64 exec, exec, s[28:29]
	v_lshrrev_b32_e32 v6, 16, v3
	v_cmp_ne_u16_sdwa s[8:9], v6, v31 src0_sel:BYTE_0 src1_sel:DWORD
	v_mov_b32_e32 v14, 0
	s_and_saveexec_b64 s[28:29], s[8:9]
	s_cbranch_execz .LBB388_2227
; %bb.2222:                             ;   in Loop: Header=BB388_1330 Depth=1
	v_cmp_ne_u16_sdwa s[8:9], v6, s37 src0_sel:BYTE_0 src1_sel:DWORD
	v_bfrev_b32_e32 v14, 1
	s_and_saveexec_b64 s[30:31], s[8:9]
	s_cbranch_execz .LBB388_2226
; %bb.2223:                             ;   in Loop: Header=BB388_1330 Depth=1
	v_bfe_u32 v15, v3, 16, 7
	v_cmp_ne_u32_e64 s[8:9], s38, v15
	v_mov_b32_e32 v14, 0x7f800001
	s_and_saveexec_b64 s[34:35], s[8:9]
	s_cbranch_execz .LBB388_2225
; %bb.2224:                             ;   in Loop: Header=BB388_1330 Depth=1
	v_and_b32_e32 v18, 7, v6
	v_ffbh_u32_e32 v14, v18
	v_min_u32_e32 v20, 32, v14
	v_subrev_u32_e32 v14, 28, v20
	v_lshrrev_b32_e32 v19, 3, v15
	v_cmp_gt_u32_e64 s[8:9], 8, v15
	v_lshlrev_b64 v[14:15], v14, v[6:7]
	v_sub_u32_e32 v15, 29, v20
	v_and_b32_e32 v14, 7, v14
	v_cndmask_b32_e64 v15, v19, v15, s[8:9]
	v_cndmask_b32_e64 v14, v18, v14, s[8:9]
	v_lshlrev_b32_e32 v6, 24, v6
	v_lshlrev_b32_e32 v14, 20, v14
	v_and_b32_e32 v6, 0x80000000, v6
	v_lshl_add_u32 v15, v15, 23, v61
	v_or3_b32 v14, v6, v15, v14
.LBB388_2225:                           ;   in Loop: Header=BB388_1330 Depth=1
	s_or_b64 exec, exec, s[34:35]
.LBB388_2226:                           ;   in Loop: Header=BB388_1330 Depth=1
	s_or_b64 exec, exec, s[30:31]
.LBB388_2227:                           ;   in Loop: Header=BB388_1330 Depth=1
	s_or_b64 exec, exec, s[28:29]
	v_mul_f32_e32 v6, v9, v14
	v_and_b32_e32 v14, 0x7f800000, v6
	v_cmp_ne_u32_e64 s[8:9], s15, v14
                                        ; implicit-def: $vgpr15
	s_and_saveexec_b64 s[28:29], s[8:9]
	s_xor_b64 s[8:9], exec, s[28:29]
; %bb.2228:                             ;   in Loop: Header=BB388_1330 Depth=1
	v_bfe_u32 v14, v6, 16, 1
	v_add3_u32 v15, v6, v14, s36
                                        ; implicit-def: $vgpr6
; %bb.2229:                             ;   in Loop: Header=BB388_1330 Depth=1
	s_andn2_saveexec_b64 s[28:29], s[8:9]
; %bb.2230:                             ;   in Loop: Header=BB388_1330 Depth=1
	v_or_b32_e32 v14, 0x10000, v6
	v_cmp_eq_u32_sdwa s[8:9], v6, v31 src0_sel:WORD_0 src1_sel:DWORD
	v_cndmask_b32_e64 v15, v14, v6, s[8:9]
; %bb.2231:                             ;   in Loop: Header=BB388_1330 Depth=1
	s_or_b64 exec, exec, s[28:29]
	v_cmp_lt_u64_e64 s[8:9], s[16:17], v[2:3]
	v_mov_b32_e32 v6, 0
	s_and_saveexec_b64 s[28:29], s[8:9]
	s_cbranch_execz .LBB388_2237
; %bb.2232:                             ;   in Loop: Header=BB388_1330 Depth=1
	v_lshrrev_b32_e32 v2, 24, v3
	v_cmp_ne_u32_e64 s[8:9], s37, v2
	v_bfrev_b32_e32 v6, 1
	s_and_saveexec_b64 s[30:31], s[8:9]
	s_cbranch_execz .LBB388_2236
; %bb.2233:                             ;   in Loop: Header=BB388_1330 Depth=1
	v_bfe_u32 v3, v3, 24, 7
	v_cmp_ne_u32_e64 s[8:9], s38, v3
	v_mov_b32_e32 v6, 0x7f800001
	s_and_saveexec_b64 s[34:35], s[8:9]
	s_cbranch_execz .LBB388_2235
; %bb.2234:                             ;   in Loop: Header=BB388_1330 Depth=1
	v_and_b32_e32 v6, 7, v2
	v_lshrrev_b32_e32 v14, 3, v3
	v_cmp_gt_u32_e64 s[8:9], 8, v3
	v_ffbh_u32_e32 v3, v6
	v_min_u32_e32 v3, 32, v3
	v_subrev_u32_e32 v18, 28, v3
	v_lshlrev_b64 v[18:19], v18, v[2:3]
	v_sub_u32_e32 v3, 29, v3
	v_and_b32_e32 v18, 7, v18
	v_cndmask_b32_e64 v3, v14, v3, s[8:9]
	v_cndmask_b32_e64 v6, v6, v18, s[8:9]
	v_lshlrev_b32_e32 v2, 24, v2
	v_lshlrev_b32_e32 v6, 20, v6
	v_and_b32_e32 v2, 0x80000000, v2
	v_lshl_add_u32 v3, v3, 23, v61
	v_or3_b32 v6, v2, v3, v6
.LBB388_2235:                           ;   in Loop: Header=BB388_1330 Depth=1
	s_or_b64 exec, exec, s[34:35]
.LBB388_2236:                           ;   in Loop: Header=BB388_1330 Depth=1
	s_or_b64 exec, exec, s[30:31]
.LBB388_2237:                           ;   in Loop: Header=BB388_1330 Depth=1
	s_or_b64 exec, exec, s[28:29]
	v_mul_f32_e32 v3, v9, v6
	v_and_b32_e32 v2, 0x7f800000, v3
	v_cmp_ne_u32_e64 s[8:9], s15, v2
                                        ; implicit-def: $vgpr2
	s_and_saveexec_b64 s[28:29], s[8:9]
	s_xor_b64 s[8:9], exec, s[28:29]
; %bb.2238:                             ;   in Loop: Header=BB388_1330 Depth=1
	v_bfe_u32 v2, v3, 16, 1
	v_add3_u32 v2, v3, v2, s36
                                        ; implicit-def: $vgpr3
; %bb.2239:                             ;   in Loop: Header=BB388_1330 Depth=1
	s_andn2_saveexec_b64 s[28:29], s[8:9]
; %bb.2240:                             ;   in Loop: Header=BB388_1330 Depth=1
	v_or_b32_e32 v2, 0x10000, v3
	v_cmp_eq_u32_sdwa s[8:9], v3, v31 src0_sel:WORD_0 src1_sel:DWORD
	v_cndmask_b32_e64 v2, v2, v3, s[8:9]
; %bb.2241:                             ;   in Loop: Header=BB388_1330 Depth=1
	s_or_b64 exec, exec, s[28:29]
	v_lshrrev_b32_e32 v6, 16, v17
	v_lshrrev_b32_e32 v14, 16, v16
	;; [unrolled: 1-line block ×8, first 2 shown]
	s_and_saveexec_b64 s[28:29], vcc
	s_cbranch_execz .LBB388_2243
; %bb.2242:                             ;   in Loop: Header=BB388_1330 Depth=1
	buffer_load_dword v15, off, s[0:3], s32 offset:196 ; 4-byte Folded Reload
	v_accvgpr_read_b32 v16, a18
	s_waitcnt vmcnt(0)
	v_cmp_lt_i32_e64 s[8:9], v40, v15
	v_cndmask_b32_e64 v7, 0, v7, s[8:9]
	v_cmp_lt_i32_e64 s[8:9], v16, v15
	v_accvgpr_read_b32 v16, a63
	v_cndmask_b32_e64 v8, 0, v8, s[8:9]
	v_cmp_lt_i32_e64 s[8:9], v16, v15
	v_accvgpr_read_b32 v16, a62
	;; [unrolled: 3-line block ×5, first 2 shown]
	v_cndmask_b32_e64 v6, 0, v6, s[8:9]
	v_cmp_lt_i32_e64 s[8:9], v16, v15
	v_cndmask_b32_e64 v3, 0, v3, s[8:9]
	v_cmp_lt_i32_e64 s[8:9], v50, v15
	v_cndmask_b32_e64 v2, 0, v2, s[8:9]
.LBB388_2243:                           ;   in Loop: Header=BB388_1330 Depth=1
	s_or_b64 exec, exec, s[28:29]
	v_lshlrev_b32_e32 v7, 16, v7
	v_mul_f32_e32 v7, v27, v7
	v_and_b32_e32 v15, 0x7f800000, v7
	v_cmp_ne_u32_e64 s[8:9], s15, v15
                                        ; implicit-def: $agpr47
	s_and_saveexec_b64 s[28:29], s[8:9]
	s_xor_b64 s[8:9], exec, s[28:29]
; %bb.2244:                             ;   in Loop: Header=BB388_1330 Depth=1
	v_bfe_u32 v15, v7, 16, 1
	v_add3_u32 v7, v7, v15, s36
	v_accvgpr_write_b32 a47, v7
                                        ; implicit-def: $vgpr7
; %bb.2245:                             ;   in Loop: Header=BB388_1330 Depth=1
	s_andn2_saveexec_b64 s[28:29], s[8:9]
; %bb.2246:                             ;   in Loop: Header=BB388_1330 Depth=1
	v_or_b32_e32 v15, 0x10000, v7
	v_cmp_eq_u32_sdwa s[8:9], v7, v31 src0_sel:WORD_0 src1_sel:DWORD
	v_cndmask_b32_e64 v7, v15, v7, s[8:9]
	v_accvgpr_write_b32 a47, v7
; %bb.2247:                             ;   in Loop: Header=BB388_1330 Depth=1
	s_or_b64 exec, exec, s[28:29]
	v_lshlrev_b32_e32 v7, 16, v8
	v_mul_f32_e32 v7, v23, v7
	v_and_b32_e32 v8, 0x7f800000, v7
	v_cmp_ne_u32_e64 s[8:9], s15, v8
                                        ; implicit-def: $agpr49
	s_and_saveexec_b64 s[28:29], s[8:9]
	s_xor_b64 s[8:9], exec, s[28:29]
; %bb.2248:                             ;   in Loop: Header=BB388_1330 Depth=1
	v_bfe_u32 v8, v7, 16, 1
	v_add3_u32 v7, v7, v8, s36
	v_accvgpr_write_b32 a49, v7
                                        ; implicit-def: $vgpr7
; %bb.2249:                             ;   in Loop: Header=BB388_1330 Depth=1
	s_andn2_saveexec_b64 s[28:29], s[8:9]
; %bb.2250:                             ;   in Loop: Header=BB388_1330 Depth=1
	v_or_b32_e32 v8, 0x10000, v7
	v_cmp_eq_u32_sdwa s[8:9], v7, v31 src0_sel:WORD_0 src1_sel:DWORD
	v_cndmask_b32_e64 v7, v8, v7, s[8:9]
	v_accvgpr_write_b32 a49, v7
; %bb.2251:                             ;   in Loop: Header=BB388_1330 Depth=1
	s_or_b64 exec, exec, s[28:29]
	v_lshlrev_b32_e32 v7, 16, v12
	v_mul_f32_e32 v7, v55, v7
	v_and_b32_e32 v8, 0x7f800000, v7
	v_cmp_ne_u32_e64 s[8:9], s15, v8
                                        ; implicit-def: $agpr51
	s_and_saveexec_b64 s[28:29], s[8:9]
	s_xor_b64 s[8:9], exec, s[28:29]
; %bb.2252:                             ;   in Loop: Header=BB388_1330 Depth=1
	v_bfe_u32 v8, v7, 16, 1
	v_add3_u32 v7, v7, v8, s36
	v_accvgpr_write_b32 a51, v7
                                        ; implicit-def: $vgpr7
; %bb.2253:                             ;   in Loop: Header=BB388_1330 Depth=1
	s_andn2_saveexec_b64 s[28:29], s[8:9]
; %bb.2254:                             ;   in Loop: Header=BB388_1330 Depth=1
	v_or_b32_e32 v8, 0x10000, v7
	v_cmp_eq_u32_sdwa s[8:9], v7, v31 src0_sel:WORD_0 src1_sel:DWORD
	v_cndmask_b32_e64 v7, v8, v7, s[8:9]
	v_accvgpr_write_b32 a51, v7
; %bb.2255:                             ;   in Loop: Header=BB388_1330 Depth=1
	s_or_b64 exec, exec, s[28:29]
	v_lshlrev_b32_e32 v7, 16, v13
	v_mul_f32_e32 v7, v48, v7
	v_and_b32_e32 v8, 0x7f800000, v7
	v_cmp_ne_u32_e64 s[8:9], s15, v8
                                        ; implicit-def: $agpr53
	s_and_saveexec_b64 s[28:29], s[8:9]
	s_xor_b64 s[8:9], exec, s[28:29]
; %bb.2256:                             ;   in Loop: Header=BB388_1330 Depth=1
	v_bfe_u32 v8, v7, 16, 1
	v_add3_u32 v7, v7, v8, s36
	v_accvgpr_write_b32 a53, v7
                                        ; implicit-def: $vgpr7
; %bb.2257:                             ;   in Loop: Header=BB388_1330 Depth=1
	s_andn2_saveexec_b64 s[28:29], s[8:9]
; %bb.2258:                             ;   in Loop: Header=BB388_1330 Depth=1
	v_or_b32_e32 v8, 0x10000, v7
	v_cmp_eq_u32_sdwa s[8:9], v7, v31 src0_sel:WORD_0 src1_sel:DWORD
	v_cndmask_b32_e64 v7, v8, v7, s[8:9]
	v_accvgpr_write_b32 a53, v7
; %bb.2259:                             ;   in Loop: Header=BB388_1330 Depth=1
	s_or_b64 exec, exec, s[28:29]
	v_lshlrev_b32_e32 v7, 16, v14
	v_mul_f32_e32 v7, v62, v7
	v_and_b32_e32 v8, 0x7f800000, v7
	v_cmp_ne_u32_e64 s[8:9], s15, v8
                                        ; implicit-def: $agpr55
	s_and_saveexec_b64 s[28:29], s[8:9]
	s_xor_b64 s[8:9], exec, s[28:29]
; %bb.2260:                             ;   in Loop: Header=BB388_1330 Depth=1
	v_bfe_u32 v8, v7, 16, 1
	v_add3_u32 v7, v7, v8, s36
	v_accvgpr_write_b32 a55, v7
                                        ; implicit-def: $vgpr7
; %bb.2261:                             ;   in Loop: Header=BB388_1330 Depth=1
	s_andn2_saveexec_b64 s[28:29], s[8:9]
; %bb.2262:                             ;   in Loop: Header=BB388_1330 Depth=1
	v_or_b32_e32 v8, 0x10000, v7
	v_cmp_eq_u32_sdwa s[8:9], v7, v31 src0_sel:WORD_0 src1_sel:DWORD
	v_cndmask_b32_e64 v7, v8, v7, s[8:9]
	v_accvgpr_write_b32 a55, v7
; %bb.2263:                             ;   in Loop: Header=BB388_1330 Depth=1
	s_or_b64 exec, exec, s[28:29]
	v_lshlrev_b32_e32 v6, 16, v6
	v_mul_f32_e32 v6, v5, v6
	v_and_b32_e32 v7, 0x7f800000, v6
	v_cmp_ne_u32_e64 s[8:9], s15, v7
                                        ; implicit-def: $agpr10
	s_and_saveexec_b64 s[28:29], s[8:9]
	s_xor_b64 s[8:9], exec, s[28:29]
; %bb.2264:                             ;   in Loop: Header=BB388_1330 Depth=1
	v_bfe_u32 v7, v6, 16, 1
	v_add3_u32 v6, v6, v7, s36
	v_accvgpr_write_b32 a10, v6
                                        ; implicit-def: $vgpr6
; %bb.2265:                             ;   in Loop: Header=BB388_1330 Depth=1
	s_andn2_saveexec_b64 s[28:29], s[8:9]
; %bb.2266:                             ;   in Loop: Header=BB388_1330 Depth=1
	v_or_b32_e32 v7, 0x10000, v6
	v_cmp_eq_u32_sdwa s[8:9], v6, v31 src0_sel:WORD_0 src1_sel:DWORD
	v_cndmask_b32_e64 v6, v7, v6, s[8:9]
	v_accvgpr_write_b32 a10, v6
; %bb.2267:                             ;   in Loop: Header=BB388_1330 Depth=1
	s_or_b64 exec, exec, s[28:29]
	v_lshlrev_b32_e32 v3, 16, v3
	v_mul_f32_e32 v3, v10, v3
	v_and_b32_e32 v6, 0x7f800000, v3
	v_cmp_ne_u32_e64 s[8:9], s15, v6
                                        ; implicit-def: $agpr19
	s_and_saveexec_b64 s[28:29], s[8:9]
	s_xor_b64 s[8:9], exec, s[28:29]
; %bb.2268:                             ;   in Loop: Header=BB388_1330 Depth=1
	v_bfe_u32 v6, v3, 16, 1
	v_add3_u32 v3, v3, v6, s36
	v_accvgpr_write_b32 a19, v3
                                        ; implicit-def: $vgpr3
; %bb.2269:                             ;   in Loop: Header=BB388_1330 Depth=1
	s_andn2_saveexec_b64 s[28:29], s[8:9]
; %bb.2270:                             ;   in Loop: Header=BB388_1330 Depth=1
	v_or_b32_e32 v6, 0x10000, v3
	v_cmp_eq_u32_sdwa s[8:9], v3, v31 src0_sel:WORD_0 src1_sel:DWORD
	v_cndmask_b32_e64 v3, v6, v3, s[8:9]
	v_accvgpr_write_b32 a19, v3
; %bb.2271:                             ;   in Loop: Header=BB388_1330 Depth=1
	s_or_b64 exec, exec, s[28:29]
	v_lshlrev_b32_e32 v2, 16, v2
	v_mul_f32_e32 v2, v11, v2
	v_and_b32_e32 v3, 0x7f800000, v2
	v_cmp_ne_u32_e64 s[8:9], s15, v3
                                        ; implicit-def: $agpr16
	s_and_saveexec_b64 s[28:29], s[8:9]
	s_xor_b64 s[8:9], exec, s[28:29]
; %bb.2272:                             ;   in Loop: Header=BB388_1330 Depth=1
	v_bfe_u32 v3, v2, 16, 1
	v_add3_u32 v2, v2, v3, s36
	v_accvgpr_write_b32 a16, v2
                                        ; implicit-def: $vgpr2
; %bb.2273:                             ;   in Loop: Header=BB388_1330 Depth=1
	s_andn2_saveexec_b64 s[28:29], s[8:9]
; %bb.2274:                             ;   in Loop: Header=BB388_1330 Depth=1
	v_or_b32_e32 v3, 0x10000, v2
	v_cmp_eq_u32_sdwa s[8:9], v2, v31 src0_sel:WORD_0 src1_sel:DWORD
	v_cndmask_b32_e64 v2, v3, v2, s[8:9]
	v_accvgpr_write_b32 a16, v2
; %bb.2275:                             ;   in Loop: Header=BB388_1330 Depth=1
	s_or_b64 exec, exec, s[28:29]
	buffer_load_dword v2, off, s[0:3], s32 offset:512 ; 4-byte Folded Reload
	buffer_load_dword v3, off, s[0:3], s32 offset:516 ; 4-byte Folded Reload
	v_mov_b32_e32 v6, 0
	s_waitcnt vmcnt(1)
	v_add_co_u32_e64 v2, s[8:9], v0, v2
	s_waitcnt vmcnt(0)
	v_addc_co_u32_e64 v3, s[8:9], 0, v1, s[8:9]
	flat_load_dwordx2 v[2:3], v[2:3]
	s_waitcnt vmcnt(0) lgkmcnt(0)
	v_cmp_ne_u16_sdwa s[8:9], v2, v31 src0_sel:BYTE_0 src1_sel:DWORD
	s_and_saveexec_b64 s[28:29], s[8:9]
	s_cbranch_execz .LBB388_2281
; %bb.2276:                             ;   in Loop: Header=BB388_1330 Depth=1
	v_cmp_ne_u16_sdwa s[8:9], v2, s37 src0_sel:BYTE_0 src1_sel:DWORD
	v_bfrev_b32_e32 v6, 1
	s_and_saveexec_b64 s[30:31], s[8:9]
	s_cbranch_execz .LBB388_2280
; %bb.2277:                             ;   in Loop: Header=BB388_1330 Depth=1
	v_and_b32_e32 v7, 0x7f, v2
	v_cmp_ne_u32_e64 s[8:9], s38, v7
	v_mov_b32_e32 v6, 0x7f800001
	s_and_saveexec_b64 s[34:35], s[8:9]
	s_cbranch_execz .LBB388_2279
; %bb.2278:                             ;   in Loop: Header=BB388_1330 Depth=1
	v_and_b32_e32 v6, 7, v2
	v_ffbh_u32_e32 v6, v6
	v_min_u32_e32 v6, 32, v6
	v_lshrrev_b32_e32 v8, 3, v7
	v_cmp_gt_u32_e64 s[8:9], 8, v7
	v_subrev_u32_e32 v7, 28, v6
	v_sub_u32_e32 v6, 29, v6
	v_cndmask_b32_e64 v8, v8, v6, s[8:9]
	v_cndmask_b32_e64 v6, 0, v7, s[8:9]
	v_lshlrev_b64 v[6:7], v6, v[2:3]
	v_lshlrev_b32_e32 v6, 20, v6
	v_lshlrev_b32_e32 v7, 24, v2
	v_and_b32_e32 v6, 0x700000, v6
	v_and_b32_e32 v7, 0x80000000, v7
	v_lshl_add_u32 v8, v8, 23, v61
	v_or3_b32 v6, v7, v8, v6
.LBB388_2279:                           ;   in Loop: Header=BB388_1330 Depth=1
	s_or_b64 exec, exec, s[34:35]
.LBB388_2280:                           ;   in Loop: Header=BB388_1330 Depth=1
	s_or_b64 exec, exec, s[30:31]
.LBB388_2281:                           ;   in Loop: Header=BB388_1330 Depth=1
	s_or_b64 exec, exec, s[28:29]
	v_mul_f32_e32 v6, v9, v6
	v_and_b32_e32 v7, 0x7f800000, v6
	v_cmp_ne_u32_e64 s[8:9], s15, v7
                                        ; implicit-def: $vgpr7
	s_and_saveexec_b64 s[28:29], s[8:9]
	s_xor_b64 s[8:9], exec, s[28:29]
; %bb.2282:                             ;   in Loop: Header=BB388_1330 Depth=1
	v_bfe_u32 v7, v6, 16, 1
	v_add3_u32 v7, v6, v7, s36
                                        ; implicit-def: $vgpr6
; %bb.2283:                             ;   in Loop: Header=BB388_1330 Depth=1
	s_andn2_saveexec_b64 s[28:29], s[8:9]
; %bb.2284:                             ;   in Loop: Header=BB388_1330 Depth=1
	v_or_b32_e32 v7, 0x10000, v6
	v_cmp_eq_u32_sdwa s[8:9], v6, v31 src0_sel:WORD_0 src1_sel:DWORD
	v_cndmask_b32_e64 v7, v7, v6, s[8:9]
; %bb.2285:                             ;   in Loop: Header=BB388_1330 Depth=1
	s_or_b64 exec, exec, s[28:29]
	v_lshrrev_b16_e32 v6, 8, v2
	v_cmp_ne_u16_e64 s[8:9], 0, v6
	v_mov_b32_e32 v8, 0
	s_and_saveexec_b64 s[28:29], s[8:9]
	s_cbranch_execz .LBB388_2291
; %bb.2286:                             ;   in Loop: Header=BB388_1330 Depth=1
	v_cmp_ne_u16_e64 s[8:9], s37, v6
	v_bfrev_b32_e32 v8, 1
	s_and_saveexec_b64 s[30:31], s[8:9]
	s_cbranch_execz .LBB388_2290
; %bb.2287:                             ;   in Loop: Header=BB388_1330 Depth=1
	v_and_b32_e32 v12, 0x7f, v6
	v_cmp_ne_u32_e64 s[8:9], s38, v12
	v_mov_b32_e32 v8, 0x7f800001
	s_and_saveexec_b64 s[34:35], s[8:9]
	s_cbranch_execz .LBB388_2289
; %bb.2288:                             ;   in Loop: Header=BB388_1330 Depth=1
	v_and_b32_e32 v8, 7, v6
	v_lshrrev_b32_e32 v14, 3, v12
	v_cmp_gt_u32_e64 s[8:9], 8, v12
	v_ffbh_u32_e32 v12, v8
	v_min_u32_e32 v15, 32, v12
	v_subrev_u32_e32 v12, 28, v15
	v_lshlrev_b64 v[12:13], v12, v[6:7]
	v_sub_u32_e32 v6, 29, v15
	v_and_b32_e32 v12, 7, v12
	v_cndmask_b32_e64 v6, v14, v6, s[8:9]
	v_cndmask_b32_e64 v8, v8, v12, s[8:9]
	v_lshlrev_b32_e32 v12, 16, v2
	v_lshlrev_b32_e32 v8, 20, v8
	v_and_b32_e32 v12, 0x80000000, v12
	v_lshl_add_u32 v6, v6, 23, v61
	v_or3_b32 v8, v12, v6, v8
.LBB388_2289:                           ;   in Loop: Header=BB388_1330 Depth=1
	s_or_b64 exec, exec, s[34:35]
.LBB388_2290:                           ;   in Loop: Header=BB388_1330 Depth=1
	s_or_b64 exec, exec, s[30:31]
.LBB388_2291:                           ;   in Loop: Header=BB388_1330 Depth=1
	s_or_b64 exec, exec, s[28:29]
	v_mul_f32_e32 v6, v9, v8
	v_and_b32_e32 v8, 0x7f800000, v6
	v_cmp_ne_u32_e64 s[8:9], s15, v8
                                        ; implicit-def: $vgpr8
	s_and_saveexec_b64 s[28:29], s[8:9]
	s_xor_b64 s[8:9], exec, s[28:29]
; %bb.2292:                             ;   in Loop: Header=BB388_1330 Depth=1
	v_bfe_u32 v8, v6, 16, 1
	v_add3_u32 v8, v6, v8, s36
                                        ; implicit-def: $vgpr6
; %bb.2293:                             ;   in Loop: Header=BB388_1330 Depth=1
	s_andn2_saveexec_b64 s[28:29], s[8:9]
; %bb.2294:                             ;   in Loop: Header=BB388_1330 Depth=1
	v_or_b32_e32 v8, 0x10000, v6
	v_cmp_eq_u32_sdwa s[8:9], v6, v31 src0_sel:WORD_0 src1_sel:DWORD
	v_cndmask_b32_e64 v8, v8, v6, s[8:9]
; %bb.2295:                             ;   in Loop: Header=BB388_1330 Depth=1
	s_or_b64 exec, exec, s[28:29]
	v_lshrrev_b32_e32 v6, 16, v2
	v_cmp_ne_u16_sdwa s[8:9], v6, v31 src0_sel:BYTE_0 src1_sel:DWORD
	v_mov_b32_e32 v12, 0
	s_and_saveexec_b64 s[28:29], s[8:9]
	s_cbranch_execz .LBB388_2301
; %bb.2296:                             ;   in Loop: Header=BB388_1330 Depth=1
	v_cmp_ne_u16_sdwa s[8:9], v6, s37 src0_sel:BYTE_0 src1_sel:DWORD
	v_bfrev_b32_e32 v12, 1
	s_and_saveexec_b64 s[30:31], s[8:9]
	s_cbranch_execz .LBB388_2300
; %bb.2297:                             ;   in Loop: Header=BB388_1330 Depth=1
	v_bfe_u32 v13, v2, 16, 7
	v_cmp_ne_u32_e64 s[8:9], s38, v13
	v_mov_b32_e32 v12, 0x7f800001
	s_and_saveexec_b64 s[34:35], s[8:9]
	s_cbranch_execz .LBB388_2299
; %bb.2298:                             ;   in Loop: Header=BB388_1330 Depth=1
	v_and_b32_e32 v14, 7, v6
	v_ffbh_u32_e32 v12, v14
	v_min_u32_e32 v16, 32, v12
	v_subrev_u32_e32 v12, 28, v16
	v_lshrrev_b32_e32 v15, 3, v13
	v_cmp_gt_u32_e64 s[8:9], 8, v13
	v_lshlrev_b64 v[12:13], v12, v[6:7]
	v_sub_u32_e32 v13, 29, v16
	v_and_b32_e32 v12, 7, v12
	v_cndmask_b32_e64 v13, v15, v13, s[8:9]
	v_cndmask_b32_e64 v12, v14, v12, s[8:9]
	v_lshlrev_b32_e32 v6, 24, v6
	v_lshlrev_b32_e32 v12, 20, v12
	v_and_b32_e32 v6, 0x80000000, v6
	v_lshl_add_u32 v13, v13, 23, v61
	v_or3_b32 v12, v6, v13, v12
.LBB388_2299:                           ;   in Loop: Header=BB388_1330 Depth=1
	s_or_b64 exec, exec, s[34:35]
.LBB388_2300:                           ;   in Loop: Header=BB388_1330 Depth=1
	s_or_b64 exec, exec, s[30:31]
.LBB388_2301:                           ;   in Loop: Header=BB388_1330 Depth=1
	s_or_b64 exec, exec, s[28:29]
	v_mul_f32_e32 v6, v9, v12
	v_and_b32_e32 v12, 0x7f800000, v6
	v_cmp_ne_u32_e64 s[8:9], s15, v12
                                        ; implicit-def: $vgpr12
	s_and_saveexec_b64 s[28:29], s[8:9]
	s_xor_b64 s[8:9], exec, s[28:29]
; %bb.2302:                             ;   in Loop: Header=BB388_1330 Depth=1
	v_bfe_u32 v12, v6, 16, 1
	v_add3_u32 v12, v6, v12, s36
                                        ; implicit-def: $vgpr6
; %bb.2303:                             ;   in Loop: Header=BB388_1330 Depth=1
	s_andn2_saveexec_b64 s[28:29], s[8:9]
; %bb.2304:                             ;   in Loop: Header=BB388_1330 Depth=1
	v_or_b32_e32 v12, 0x10000, v6
	v_cmp_eq_u32_sdwa s[8:9], v6, v31 src0_sel:WORD_0 src1_sel:DWORD
	v_cndmask_b32_e64 v12, v12, v6, s[8:9]
; %bb.2305:                             ;   in Loop: Header=BB388_1330 Depth=1
	s_or_b64 exec, exec, s[28:29]
	v_cmp_lt_u32_e64 s[8:9], s17, v2
	v_mov_b32_e32 v13, 0
	s_and_saveexec_b64 s[28:29], s[8:9]
	s_cbranch_execz .LBB388_2311
; %bb.2306:                             ;   in Loop: Header=BB388_1330 Depth=1
	v_lshrrev_b32_e32 v6, 24, v2
	v_cmp_ne_u32_e64 s[8:9], s37, v6
	v_bfrev_b32_e32 v13, 1
	s_and_saveexec_b64 s[30:31], s[8:9]
	s_cbranch_execz .LBB388_2310
; %bb.2307:                             ;   in Loop: Header=BB388_1330 Depth=1
	v_bfe_u32 v14, v2, 24, 7
	v_cmp_ne_u32_e64 s[8:9], s38, v14
	v_mov_b32_e32 v13, 0x7f800001
	s_and_saveexec_b64 s[34:35], s[8:9]
	s_cbranch_execz .LBB388_2309
; %bb.2308:                             ;   in Loop: Header=BB388_1330 Depth=1
	v_and_b32_e32 v13, 7, v6
	v_lshrrev_b32_e32 v16, 3, v14
	v_cmp_gt_u32_e64 s[8:9], 8, v14
	v_ffbh_u32_e32 v14, v13
	v_min_u32_e32 v17, 32, v14
	v_subrev_u32_e32 v14, 28, v17
	v_lshlrev_b64 v[14:15], v14, v[6:7]
	v_sub_u32_e32 v15, 29, v17
	v_and_b32_e32 v14, 7, v14
	v_cndmask_b32_e64 v15, v16, v15, s[8:9]
	v_cndmask_b32_e64 v13, v13, v14, s[8:9]
	v_lshlrev_b32_e32 v6, 24, v6
	v_lshlrev_b32_e32 v13, 20, v13
	v_and_b32_e32 v6, 0x80000000, v6
	v_lshl_add_u32 v14, v15, 23, v61
	v_or3_b32 v13, v6, v14, v13
.LBB388_2309:                           ;   in Loop: Header=BB388_1330 Depth=1
	s_or_b64 exec, exec, s[34:35]
.LBB388_2310:                           ;   in Loop: Header=BB388_1330 Depth=1
	s_or_b64 exec, exec, s[30:31]
.LBB388_2311:                           ;   in Loop: Header=BB388_1330 Depth=1
	s_or_b64 exec, exec, s[28:29]
	v_mul_f32_e32 v6, v9, v13
	v_and_b32_e32 v13, 0x7f800000, v6
	v_cmp_ne_u32_e64 s[8:9], s15, v13
                                        ; implicit-def: $vgpr13
	s_and_saveexec_b64 s[28:29], s[8:9]
	s_xor_b64 s[8:9], exec, s[28:29]
; %bb.2312:                             ;   in Loop: Header=BB388_1330 Depth=1
	v_bfe_u32 v13, v6, 16, 1
	v_add3_u32 v13, v6, v13, s36
                                        ; implicit-def: $vgpr6
; %bb.2313:                             ;   in Loop: Header=BB388_1330 Depth=1
	s_andn2_saveexec_b64 s[28:29], s[8:9]
; %bb.2314:                             ;   in Loop: Header=BB388_1330 Depth=1
	v_or_b32_e32 v13, 0x10000, v6
	v_cmp_eq_u32_sdwa s[8:9], v6, v31 src0_sel:WORD_0 src1_sel:DWORD
	v_cndmask_b32_e64 v13, v13, v6, s[8:9]
; %bb.2315:                             ;   in Loop: Header=BB388_1330 Depth=1
	s_or_b64 exec, exec, s[28:29]
	v_mov_b32_e32 v30, v3
	v_cmp_ne_u16_sdwa s[8:9], v3, v31 src0_sel:BYTE_0 src1_sel:DWORD
	v_mov_b32_e32 v6, 0
	s_and_saveexec_b64 s[28:29], s[8:9]
	s_cbranch_execz .LBB388_2321
; %bb.2316:                             ;   in Loop: Header=BB388_1330 Depth=1
	v_cmp_ne_u16_sdwa s[8:9], v3, s37 src0_sel:BYTE_0 src1_sel:DWORD
	v_bfrev_b32_e32 v6, 1
	s_and_saveexec_b64 s[30:31], s[8:9]
	s_cbranch_execz .LBB388_2320
; %bb.2317:                             ;   in Loop: Header=BB388_1330 Depth=1
	v_and_b32_e32 v14, 0x7f, v3
	v_cmp_ne_u32_e64 s[8:9], s38, v14
	v_mov_b32_e32 v6, 0x7f800001
	s_and_saveexec_b64 s[34:35], s[8:9]
	s_cbranch_execz .LBB388_2319
; %bb.2318:                             ;   in Loop: Header=BB388_1330 Depth=1
	v_and_b32_e32 v6, 7, v3
	v_ffbh_u32_e32 v6, v6
	v_min_u32_e32 v6, 32, v6
	v_lshrrev_b32_e32 v15, 3, v14
	v_cmp_gt_u32_e64 s[8:9], 8, v14
	v_subrev_u32_e32 v14, 28, v6
	v_sub_u32_e32 v6, 29, v6
	v_cndmask_b32_e64 v14, 0, v14, s[8:9]
	v_cndmask_b32_e64 v6, v15, v6, s[8:9]
	v_lshlrev_b64 v[14:15], v14, v[30:31]
	v_lshlrev_b32_e32 v14, 20, v14
	v_lshlrev_b32_e32 v15, 24, v30
	v_and_b32_e32 v14, 0x700000, v14
	v_and_b32_e32 v15, 0x80000000, v15
	v_lshl_add_u32 v6, v6, 23, v61
	v_or3_b32 v6, v15, v6, v14
.LBB388_2319:                           ;   in Loop: Header=BB388_1330 Depth=1
	s_or_b64 exec, exec, s[34:35]
.LBB388_2320:                           ;   in Loop: Header=BB388_1330 Depth=1
	s_or_b64 exec, exec, s[30:31]
.LBB388_2321:                           ;   in Loop: Header=BB388_1330 Depth=1
	s_or_b64 exec, exec, s[28:29]
	v_mul_f32_e32 v6, v9, v6
	v_and_b32_e32 v14, 0x7f800000, v6
	v_cmp_ne_u32_e64 s[8:9], s15, v14
                                        ; implicit-def: $vgpr16
	s_and_saveexec_b64 s[28:29], s[8:9]
	s_xor_b64 s[8:9], exec, s[28:29]
; %bb.2322:                             ;   in Loop: Header=BB388_1330 Depth=1
	v_bfe_u32 v14, v6, 16, 1
	v_add3_u32 v16, v6, v14, s36
                                        ; implicit-def: $vgpr6
; %bb.2323:                             ;   in Loop: Header=BB388_1330 Depth=1
	s_andn2_saveexec_b64 s[28:29], s[8:9]
; %bb.2324:                             ;   in Loop: Header=BB388_1330 Depth=1
	v_or_b32_e32 v14, 0x10000, v6
	v_cmp_eq_u32_sdwa s[8:9], v6, v31 src0_sel:WORD_0 src1_sel:DWORD
	v_cndmask_b32_e64 v16, v14, v6, s[8:9]
; %bb.2325:                             ;   in Loop: Header=BB388_1330 Depth=1
	s_or_b64 exec, exec, s[28:29]
	v_lshrrev_b16_e32 v6, 8, v30
	v_cmp_ne_u16_e64 s[8:9], 0, v6
	v_mov_b32_e32 v14, 0
	s_and_saveexec_b64 s[28:29], s[8:9]
	s_cbranch_execz .LBB388_2331
; %bb.2326:                             ;   in Loop: Header=BB388_1330 Depth=1
	v_cmp_ne_u16_e64 s[8:9], s37, v6
	v_bfrev_b32_e32 v14, 1
	s_and_saveexec_b64 s[30:31], s[8:9]
	s_cbranch_execz .LBB388_2330
; %bb.2327:                             ;   in Loop: Header=BB388_1330 Depth=1
	v_and_b32_e32 v15, 0x7f, v6
	v_cmp_ne_u32_e64 s[8:9], s38, v15
	v_mov_b32_e32 v14, 0x7f800001
	s_and_saveexec_b64 s[34:35], s[8:9]
	s_cbranch_execz .LBB388_2329
; %bb.2328:                             ;   in Loop: Header=BB388_1330 Depth=1
	v_and_b32_e32 v17, 7, v6
	v_ffbh_u32_e32 v14, v17
	v_min_u32_e32 v19, 32, v14
	v_subrev_u32_e32 v14, 28, v19
	v_lshrrev_b32_e32 v18, 3, v15
	v_cmp_gt_u32_e64 s[8:9], 8, v15
	v_lshlrev_b64 v[14:15], v14, v[6:7]
	v_sub_u32_e32 v6, 29, v19
	v_and_b32_e32 v14, 7, v14
	v_cndmask_b32_e64 v6, v18, v6, s[8:9]
	v_cndmask_b32_e64 v14, v17, v14, s[8:9]
	v_lshlrev_b32_e32 v15, 16, v30
	v_lshlrev_b32_e32 v14, 20, v14
	v_and_b32_e32 v15, 0x80000000, v15
	v_lshl_add_u32 v6, v6, 23, v61
	v_or3_b32 v14, v15, v6, v14
.LBB388_2329:                           ;   in Loop: Header=BB388_1330 Depth=1
	s_or_b64 exec, exec, s[34:35]
.LBB388_2330:                           ;   in Loop: Header=BB388_1330 Depth=1
	s_or_b64 exec, exec, s[30:31]
.LBB388_2331:                           ;   in Loop: Header=BB388_1330 Depth=1
	s_or_b64 exec, exec, s[28:29]
	v_mul_f32_e32 v6, v9, v14
	v_and_b32_e32 v14, 0x7f800000, v6
	v_cmp_ne_u32_e64 s[8:9], s15, v14
                                        ; implicit-def: $vgpr17
	s_and_saveexec_b64 s[28:29], s[8:9]
	s_xor_b64 s[8:9], exec, s[28:29]
; %bb.2332:                             ;   in Loop: Header=BB388_1330 Depth=1
	v_bfe_u32 v14, v6, 16, 1
	v_add3_u32 v17, v6, v14, s36
                                        ; implicit-def: $vgpr6
; %bb.2333:                             ;   in Loop: Header=BB388_1330 Depth=1
	s_andn2_saveexec_b64 s[28:29], s[8:9]
; %bb.2334:                             ;   in Loop: Header=BB388_1330 Depth=1
	v_or_b32_e32 v14, 0x10000, v6
	v_cmp_eq_u32_sdwa s[8:9], v6, v31 src0_sel:WORD_0 src1_sel:DWORD
	v_cndmask_b32_e64 v17, v14, v6, s[8:9]
; %bb.2335:                             ;   in Loop: Header=BB388_1330 Depth=1
	s_or_b64 exec, exec, s[28:29]
	v_lshrrev_b32_e32 v6, 16, v3
	v_cmp_ne_u16_sdwa s[8:9], v6, v31 src0_sel:BYTE_0 src1_sel:DWORD
	v_mov_b32_e32 v14, 0
	s_and_saveexec_b64 s[28:29], s[8:9]
	s_cbranch_execz .LBB388_2341
; %bb.2336:                             ;   in Loop: Header=BB388_1330 Depth=1
	v_cmp_ne_u16_sdwa s[8:9], v6, s37 src0_sel:BYTE_0 src1_sel:DWORD
	v_bfrev_b32_e32 v14, 1
	s_and_saveexec_b64 s[30:31], s[8:9]
	s_cbranch_execz .LBB388_2340
; %bb.2337:                             ;   in Loop: Header=BB388_1330 Depth=1
	v_bfe_u32 v15, v3, 16, 7
	v_cmp_ne_u32_e64 s[8:9], s38, v15
	v_mov_b32_e32 v14, 0x7f800001
	s_and_saveexec_b64 s[34:35], s[8:9]
	s_cbranch_execz .LBB388_2339
; %bb.2338:                             ;   in Loop: Header=BB388_1330 Depth=1
	v_and_b32_e32 v18, 7, v6
	v_ffbh_u32_e32 v14, v18
	v_min_u32_e32 v20, 32, v14
	v_subrev_u32_e32 v14, 28, v20
	v_lshrrev_b32_e32 v19, 3, v15
	v_cmp_gt_u32_e64 s[8:9], 8, v15
	v_lshlrev_b64 v[14:15], v14, v[6:7]
	v_sub_u32_e32 v15, 29, v20
	v_and_b32_e32 v14, 7, v14
	v_cndmask_b32_e64 v15, v19, v15, s[8:9]
	v_cndmask_b32_e64 v14, v18, v14, s[8:9]
	v_lshlrev_b32_e32 v6, 24, v6
	v_lshlrev_b32_e32 v14, 20, v14
	v_and_b32_e32 v6, 0x80000000, v6
	v_lshl_add_u32 v15, v15, 23, v61
	v_or3_b32 v14, v6, v15, v14
.LBB388_2339:                           ;   in Loop: Header=BB388_1330 Depth=1
	s_or_b64 exec, exec, s[34:35]
.LBB388_2340:                           ;   in Loop: Header=BB388_1330 Depth=1
	s_or_b64 exec, exec, s[30:31]
.LBB388_2341:                           ;   in Loop: Header=BB388_1330 Depth=1
	s_or_b64 exec, exec, s[28:29]
	v_mul_f32_e32 v6, v9, v14
	v_and_b32_e32 v14, 0x7f800000, v6
	v_cmp_ne_u32_e64 s[8:9], s15, v14
                                        ; implicit-def: $vgpr15
	s_and_saveexec_b64 s[28:29], s[8:9]
	s_xor_b64 s[8:9], exec, s[28:29]
; %bb.2342:                             ;   in Loop: Header=BB388_1330 Depth=1
	v_bfe_u32 v14, v6, 16, 1
	v_add3_u32 v15, v6, v14, s36
                                        ; implicit-def: $vgpr6
; %bb.2343:                             ;   in Loop: Header=BB388_1330 Depth=1
	s_andn2_saveexec_b64 s[28:29], s[8:9]
; %bb.2344:                             ;   in Loop: Header=BB388_1330 Depth=1
	v_or_b32_e32 v14, 0x10000, v6
	v_cmp_eq_u32_sdwa s[8:9], v6, v31 src0_sel:WORD_0 src1_sel:DWORD
	v_cndmask_b32_e64 v15, v14, v6, s[8:9]
; %bb.2345:                             ;   in Loop: Header=BB388_1330 Depth=1
	s_or_b64 exec, exec, s[28:29]
	v_cmp_lt_u64_e64 s[8:9], s[16:17], v[2:3]
	v_mov_b32_e32 v6, 0
	s_and_saveexec_b64 s[28:29], s[8:9]
	s_cbranch_execz .LBB388_2351
; %bb.2346:                             ;   in Loop: Header=BB388_1330 Depth=1
	v_lshrrev_b32_e32 v2, 24, v3
	v_cmp_ne_u32_e64 s[8:9], s37, v2
	v_bfrev_b32_e32 v6, 1
	s_and_saveexec_b64 s[30:31], s[8:9]
	s_cbranch_execz .LBB388_2350
; %bb.2347:                             ;   in Loop: Header=BB388_1330 Depth=1
	v_bfe_u32 v3, v3, 24, 7
	v_cmp_ne_u32_e64 s[8:9], s38, v3
	v_mov_b32_e32 v6, 0x7f800001
	s_and_saveexec_b64 s[34:35], s[8:9]
	s_cbranch_execz .LBB388_2349
; %bb.2348:                             ;   in Loop: Header=BB388_1330 Depth=1
	v_and_b32_e32 v6, 7, v2
	v_lshrrev_b32_e32 v14, 3, v3
	v_cmp_gt_u32_e64 s[8:9], 8, v3
	v_ffbh_u32_e32 v3, v6
	v_min_u32_e32 v3, 32, v3
	v_subrev_u32_e32 v18, 28, v3
	v_lshlrev_b64 v[18:19], v18, v[2:3]
	v_sub_u32_e32 v3, 29, v3
	v_and_b32_e32 v18, 7, v18
	v_cndmask_b32_e64 v3, v14, v3, s[8:9]
	v_cndmask_b32_e64 v6, v6, v18, s[8:9]
	v_lshlrev_b32_e32 v2, 24, v2
	v_lshlrev_b32_e32 v6, 20, v6
	v_and_b32_e32 v2, 0x80000000, v2
	v_lshl_add_u32 v3, v3, 23, v61
	v_or3_b32 v6, v2, v3, v6
.LBB388_2349:                           ;   in Loop: Header=BB388_1330 Depth=1
	s_or_b64 exec, exec, s[34:35]
.LBB388_2350:                           ;   in Loop: Header=BB388_1330 Depth=1
	s_or_b64 exec, exec, s[30:31]
.LBB388_2351:                           ;   in Loop: Header=BB388_1330 Depth=1
	s_or_b64 exec, exec, s[28:29]
	v_mul_f32_e32 v3, v9, v6
	v_and_b32_e32 v2, 0x7f800000, v3
	v_cmp_ne_u32_e64 s[8:9], s15, v2
                                        ; implicit-def: $vgpr2
	s_and_saveexec_b64 s[28:29], s[8:9]
	s_xor_b64 s[8:9], exec, s[28:29]
; %bb.2352:                             ;   in Loop: Header=BB388_1330 Depth=1
	v_bfe_u32 v2, v3, 16, 1
	v_add3_u32 v2, v3, v2, s36
                                        ; implicit-def: $vgpr3
; %bb.2353:                             ;   in Loop: Header=BB388_1330 Depth=1
	s_andn2_saveexec_b64 s[28:29], s[8:9]
; %bb.2354:                             ;   in Loop: Header=BB388_1330 Depth=1
	v_or_b32_e32 v2, 0x10000, v3
	v_cmp_eq_u32_sdwa s[8:9], v3, v31 src0_sel:WORD_0 src1_sel:DWORD
	v_cndmask_b32_e64 v2, v2, v3, s[8:9]
; %bb.2355:                             ;   in Loop: Header=BB388_1330 Depth=1
	s_or_b64 exec, exec, s[28:29]
	v_lshrrev_b32_e32 v6, 16, v17
	v_lshrrev_b32_e32 v14, 16, v16
	;; [unrolled: 1-line block ×8, first 2 shown]
	s_and_saveexec_b64 s[28:29], vcc
	s_cbranch_execz .LBB388_2357
; %bb.2356:                             ;   in Loop: Header=BB388_1330 Depth=1
	buffer_load_dword v15, off, s[0:3], s32 offset:196 ; 4-byte Folded Reload
	v_accvgpr_read_b32 v16, a18
	s_waitcnt vmcnt(0)
	v_cmp_lt_i32_e64 s[8:9], v40, v15
	v_cndmask_b32_e64 v7, 0, v7, s[8:9]
	v_cmp_lt_i32_e64 s[8:9], v16, v15
	v_accvgpr_read_b32 v16, a63
	v_cndmask_b32_e64 v8, 0, v8, s[8:9]
	v_cmp_lt_i32_e64 s[8:9], v16, v15
	v_accvgpr_read_b32 v16, a62
	;; [unrolled: 3-line block ×5, first 2 shown]
	v_cndmask_b32_e64 v6, 0, v6, s[8:9]
	v_cmp_lt_i32_e64 s[8:9], v16, v15
	v_cndmask_b32_e64 v3, 0, v3, s[8:9]
	v_cmp_lt_i32_e64 s[8:9], v50, v15
	v_cndmask_b32_e64 v2, 0, v2, s[8:9]
.LBB388_2357:                           ;   in Loop: Header=BB388_1330 Depth=1
	s_or_b64 exec, exec, s[28:29]
	v_lshlrev_b32_e32 v7, 16, v7
	v_mul_f32_e32 v7, v27, v7
	v_and_b32_e32 v15, 0x7f800000, v7
	v_cmp_ne_u32_e64 s[8:9], s15, v15
                                        ; implicit-def: $agpr17
	s_and_saveexec_b64 s[28:29], s[8:9]
	s_xor_b64 s[8:9], exec, s[28:29]
; %bb.2358:                             ;   in Loop: Header=BB388_1330 Depth=1
	v_bfe_u32 v15, v7, 16, 1
	v_add3_u32 v7, v7, v15, s36
	v_accvgpr_write_b32 a17, v7
                                        ; implicit-def: $vgpr7
; %bb.2359:                             ;   in Loop: Header=BB388_1330 Depth=1
	s_andn2_saveexec_b64 s[28:29], s[8:9]
; %bb.2360:                             ;   in Loop: Header=BB388_1330 Depth=1
	v_or_b32_e32 v15, 0x10000, v7
	v_cmp_eq_u32_sdwa s[8:9], v7, v31 src0_sel:WORD_0 src1_sel:DWORD
	v_cndmask_b32_e64 v7, v15, v7, s[8:9]
	v_accvgpr_write_b32 a17, v7
; %bb.2361:                             ;   in Loop: Header=BB388_1330 Depth=1
	s_or_b64 exec, exec, s[28:29]
	v_lshlrev_b32_e32 v7, 16, v8
	v_mul_f32_e32 v7, v23, v7
	v_and_b32_e32 v8, 0x7f800000, v7
	v_cmp_ne_u32_e64 s[8:9], s15, v8
                                        ; implicit-def: $agpr0
	s_and_saveexec_b64 s[28:29], s[8:9]
	s_xor_b64 s[8:9], exec, s[28:29]
; %bb.2362:                             ;   in Loop: Header=BB388_1330 Depth=1
	v_bfe_u32 v8, v7, 16, 1
	v_add3_u32 v7, v7, v8, s36
	v_accvgpr_write_b32 a0, v7
                                        ; implicit-def: $vgpr7
; %bb.2363:                             ;   in Loop: Header=BB388_1330 Depth=1
	s_andn2_saveexec_b64 s[28:29], s[8:9]
; %bb.2364:                             ;   in Loop: Header=BB388_1330 Depth=1
	v_or_b32_e32 v8, 0x10000, v7
	v_cmp_eq_u32_sdwa s[8:9], v7, v31 src0_sel:WORD_0 src1_sel:DWORD
	v_cndmask_b32_e64 v7, v8, v7, s[8:9]
	v_accvgpr_write_b32 a0, v7
; %bb.2365:                             ;   in Loop: Header=BB388_1330 Depth=1
	s_or_b64 exec, exec, s[28:29]
	v_lshlrev_b32_e32 v7, 16, v12
	v_mul_f32_e32 v7, v55, v7
	v_and_b32_e32 v8, 0x7f800000, v7
	v_cmp_ne_u32_e64 s[8:9], s15, v8
                                        ; implicit-def: $agpr1
	s_and_saveexec_b64 s[28:29], s[8:9]
	s_xor_b64 s[8:9], exec, s[28:29]
; %bb.2366:                             ;   in Loop: Header=BB388_1330 Depth=1
	v_bfe_u32 v8, v7, 16, 1
	v_add3_u32 v7, v7, v8, s36
	v_accvgpr_write_b32 a1, v7
                                        ; implicit-def: $vgpr7
; %bb.2367:                             ;   in Loop: Header=BB388_1330 Depth=1
	s_andn2_saveexec_b64 s[28:29], s[8:9]
; %bb.2368:                             ;   in Loop: Header=BB388_1330 Depth=1
	v_or_b32_e32 v8, 0x10000, v7
	v_cmp_eq_u32_sdwa s[8:9], v7, v31 src0_sel:WORD_0 src1_sel:DWORD
	v_cndmask_b32_e64 v7, v8, v7, s[8:9]
	v_accvgpr_write_b32 a1, v7
; %bb.2369:                             ;   in Loop: Header=BB388_1330 Depth=1
	s_or_b64 exec, exec, s[28:29]
	v_lshlrev_b32_e32 v7, 16, v13
	v_mul_f32_e32 v7, v48, v7
	v_and_b32_e32 v8, 0x7f800000, v7
	v_cmp_ne_u32_e64 s[8:9], s15, v8
                                        ; implicit-def: $agpr2
	s_and_saveexec_b64 s[28:29], s[8:9]
	s_xor_b64 s[8:9], exec, s[28:29]
; %bb.2370:                             ;   in Loop: Header=BB388_1330 Depth=1
	v_bfe_u32 v8, v7, 16, 1
	v_add3_u32 v7, v7, v8, s36
	v_accvgpr_write_b32 a2, v7
                                        ; implicit-def: $vgpr7
; %bb.2371:                             ;   in Loop: Header=BB388_1330 Depth=1
	s_andn2_saveexec_b64 s[28:29], s[8:9]
; %bb.2372:                             ;   in Loop: Header=BB388_1330 Depth=1
	v_or_b32_e32 v8, 0x10000, v7
	v_cmp_eq_u32_sdwa s[8:9], v7, v31 src0_sel:WORD_0 src1_sel:DWORD
	v_cndmask_b32_e64 v7, v8, v7, s[8:9]
	v_accvgpr_write_b32 a2, v7
; %bb.2373:                             ;   in Loop: Header=BB388_1330 Depth=1
	s_or_b64 exec, exec, s[28:29]
	v_lshlrev_b32_e32 v7, 16, v14
	v_mul_f32_e32 v7, v62, v7
	v_and_b32_e32 v8, 0x7f800000, v7
	v_cmp_ne_u32_e64 s[8:9], s15, v8
                                        ; implicit-def: $agpr34
	s_and_saveexec_b64 s[28:29], s[8:9]
	s_xor_b64 s[8:9], exec, s[28:29]
; %bb.2374:                             ;   in Loop: Header=BB388_1330 Depth=1
	v_bfe_u32 v8, v7, 16, 1
	v_add3_u32 v7, v7, v8, s36
	v_accvgpr_write_b32 a34, v7
                                        ; implicit-def: $vgpr7
; %bb.2375:                             ;   in Loop: Header=BB388_1330 Depth=1
	s_andn2_saveexec_b64 s[28:29], s[8:9]
; %bb.2376:                             ;   in Loop: Header=BB388_1330 Depth=1
	v_or_b32_e32 v8, 0x10000, v7
	v_cmp_eq_u32_sdwa s[8:9], v7, v31 src0_sel:WORD_0 src1_sel:DWORD
	v_cndmask_b32_e64 v7, v8, v7, s[8:9]
	v_accvgpr_write_b32 a34, v7
; %bb.2377:                             ;   in Loop: Header=BB388_1330 Depth=1
	s_or_b64 exec, exec, s[28:29]
	v_lshlrev_b32_e32 v6, 16, v6
	v_mul_f32_e32 v6, v5, v6
	v_and_b32_e32 v7, 0x7f800000, v6
	v_cmp_ne_u32_e64 s[8:9], s15, v7
                                        ; implicit-def: $agpr35
	s_and_saveexec_b64 s[28:29], s[8:9]
	s_xor_b64 s[8:9], exec, s[28:29]
; %bb.2378:                             ;   in Loop: Header=BB388_1330 Depth=1
	v_bfe_u32 v7, v6, 16, 1
	v_add3_u32 v6, v6, v7, s36
	v_accvgpr_write_b32 a35, v6
                                        ; implicit-def: $vgpr6
; %bb.2379:                             ;   in Loop: Header=BB388_1330 Depth=1
	s_andn2_saveexec_b64 s[28:29], s[8:9]
; %bb.2380:                             ;   in Loop: Header=BB388_1330 Depth=1
	v_or_b32_e32 v7, 0x10000, v6
	v_cmp_eq_u32_sdwa s[8:9], v6, v31 src0_sel:WORD_0 src1_sel:DWORD
	v_cndmask_b32_e64 v6, v7, v6, s[8:9]
	v_accvgpr_write_b32 a35, v6
; %bb.2381:                             ;   in Loop: Header=BB388_1330 Depth=1
	s_or_b64 exec, exec, s[28:29]
	v_lshlrev_b32_e32 v3, 16, v3
	v_mul_f32_e32 v3, v10, v3
	v_and_b32_e32 v6, 0x7f800000, v3
	v_cmp_ne_u32_e64 s[8:9], s15, v6
                                        ; implicit-def: $agpr4
	s_and_saveexec_b64 s[28:29], s[8:9]
	s_xor_b64 s[8:9], exec, s[28:29]
; %bb.2382:                             ;   in Loop: Header=BB388_1330 Depth=1
	v_bfe_u32 v6, v3, 16, 1
	v_add3_u32 v3, v3, v6, s36
	v_accvgpr_write_b32 a4, v3
                                        ; implicit-def: $vgpr3
; %bb.2383:                             ;   in Loop: Header=BB388_1330 Depth=1
	s_andn2_saveexec_b64 s[28:29], s[8:9]
; %bb.2384:                             ;   in Loop: Header=BB388_1330 Depth=1
	v_or_b32_e32 v6, 0x10000, v3
	v_cmp_eq_u32_sdwa s[8:9], v3, v31 src0_sel:WORD_0 src1_sel:DWORD
	v_cndmask_b32_e64 v3, v6, v3, s[8:9]
	v_accvgpr_write_b32 a4, v3
; %bb.2385:                             ;   in Loop: Header=BB388_1330 Depth=1
	s_or_b64 exec, exec, s[28:29]
	v_lshlrev_b32_e32 v2, 16, v2
	v_mul_f32_e32 v2, v11, v2
	v_and_b32_e32 v3, 0x7f800000, v2
	v_cmp_ne_u32_e64 s[8:9], s15, v3
                                        ; implicit-def: $agpr5
	s_and_saveexec_b64 s[28:29], s[8:9]
	s_xor_b64 s[8:9], exec, s[28:29]
; %bb.2386:                             ;   in Loop: Header=BB388_1330 Depth=1
	v_bfe_u32 v3, v2, 16, 1
	v_add3_u32 v2, v2, v3, s36
	v_accvgpr_write_b32 a5, v2
                                        ; implicit-def: $vgpr2
; %bb.2387:                             ;   in Loop: Header=BB388_1330 Depth=1
	s_andn2_saveexec_b64 s[28:29], s[8:9]
; %bb.2388:                             ;   in Loop: Header=BB388_1330 Depth=1
	v_or_b32_e32 v3, 0x10000, v2
	v_cmp_eq_u32_sdwa s[8:9], v2, v31 src0_sel:WORD_0 src1_sel:DWORD
	v_cndmask_b32_e64 v2, v3, v2, s[8:9]
	v_accvgpr_write_b32 a5, v2
; %bb.2389:                             ;   in Loop: Header=BB388_1330 Depth=1
	s_or_b64 exec, exec, s[28:29]
	buffer_load_dword v2, off, s[0:3], s32 offset:520 ; 4-byte Folded Reload
	buffer_load_dword v3, off, s[0:3], s32 offset:524 ; 4-byte Folded Reload
	v_mov_b32_e32 v6, 0
	s_waitcnt vmcnt(1)
	v_add_co_u32_e64 v2, s[8:9], v0, v2
	s_waitcnt vmcnt(0)
	v_addc_co_u32_e64 v3, s[8:9], 0, v1, s[8:9]
	flat_load_dwordx2 v[2:3], v[2:3]
	s_waitcnt vmcnt(0) lgkmcnt(0)
	v_cmp_ne_u16_sdwa s[8:9], v2, v31 src0_sel:BYTE_0 src1_sel:DWORD
	s_and_saveexec_b64 s[28:29], s[8:9]
	s_cbranch_execz .LBB388_2395
; %bb.2390:                             ;   in Loop: Header=BB388_1330 Depth=1
	v_cmp_ne_u16_sdwa s[8:9], v2, s37 src0_sel:BYTE_0 src1_sel:DWORD
	v_bfrev_b32_e32 v6, 1
	s_and_saveexec_b64 s[30:31], s[8:9]
	s_cbranch_execz .LBB388_2394
; %bb.2391:                             ;   in Loop: Header=BB388_1330 Depth=1
	v_and_b32_e32 v7, 0x7f, v2
	v_cmp_ne_u32_e64 s[8:9], s38, v7
	v_mov_b32_e32 v6, 0x7f800001
	s_and_saveexec_b64 s[34:35], s[8:9]
	s_cbranch_execz .LBB388_2393
; %bb.2392:                             ;   in Loop: Header=BB388_1330 Depth=1
	v_and_b32_e32 v6, 7, v2
	v_ffbh_u32_e32 v6, v6
	v_min_u32_e32 v6, 32, v6
	v_lshrrev_b32_e32 v8, 3, v7
	v_cmp_gt_u32_e64 s[8:9], 8, v7
	v_subrev_u32_e32 v7, 28, v6
	v_sub_u32_e32 v6, 29, v6
	v_cndmask_b32_e64 v8, v8, v6, s[8:9]
	v_cndmask_b32_e64 v6, 0, v7, s[8:9]
	v_lshlrev_b64 v[6:7], v6, v[2:3]
	v_lshlrev_b32_e32 v6, 20, v6
	v_lshlrev_b32_e32 v7, 24, v2
	v_and_b32_e32 v6, 0x700000, v6
	v_and_b32_e32 v7, 0x80000000, v7
	v_lshl_add_u32 v8, v8, 23, v61
	v_or3_b32 v6, v7, v8, v6
.LBB388_2393:                           ;   in Loop: Header=BB388_1330 Depth=1
	s_or_b64 exec, exec, s[34:35]
.LBB388_2394:                           ;   in Loop: Header=BB388_1330 Depth=1
	s_or_b64 exec, exec, s[30:31]
.LBB388_2395:                           ;   in Loop: Header=BB388_1330 Depth=1
	s_or_b64 exec, exec, s[28:29]
	v_mul_f32_e32 v6, v9, v6
	v_and_b32_e32 v7, 0x7f800000, v6
	v_cmp_ne_u32_e64 s[8:9], s15, v7
                                        ; implicit-def: $vgpr7
	s_and_saveexec_b64 s[28:29], s[8:9]
	s_xor_b64 s[8:9], exec, s[28:29]
; %bb.2396:                             ;   in Loop: Header=BB388_1330 Depth=1
	v_bfe_u32 v7, v6, 16, 1
	v_add3_u32 v7, v6, v7, s36
                                        ; implicit-def: $vgpr6
; %bb.2397:                             ;   in Loop: Header=BB388_1330 Depth=1
	s_andn2_saveexec_b64 s[28:29], s[8:9]
; %bb.2398:                             ;   in Loop: Header=BB388_1330 Depth=1
	v_or_b32_e32 v7, 0x10000, v6
	v_cmp_eq_u32_sdwa s[8:9], v6, v31 src0_sel:WORD_0 src1_sel:DWORD
	v_cndmask_b32_e64 v7, v7, v6, s[8:9]
; %bb.2399:                             ;   in Loop: Header=BB388_1330 Depth=1
	s_or_b64 exec, exec, s[28:29]
	v_lshrrev_b16_e32 v6, 8, v2
	v_cmp_ne_u16_e64 s[8:9], 0, v6
	v_mov_b32_e32 v8, 0
	s_and_saveexec_b64 s[28:29], s[8:9]
	s_cbranch_execz .LBB388_2405
; %bb.2400:                             ;   in Loop: Header=BB388_1330 Depth=1
	v_cmp_ne_u16_e64 s[8:9], s37, v6
	v_bfrev_b32_e32 v8, 1
	s_and_saveexec_b64 s[30:31], s[8:9]
	s_cbranch_execz .LBB388_2404
; %bb.2401:                             ;   in Loop: Header=BB388_1330 Depth=1
	v_and_b32_e32 v12, 0x7f, v6
	v_cmp_ne_u32_e64 s[8:9], s38, v12
	v_mov_b32_e32 v8, 0x7f800001
	s_and_saveexec_b64 s[34:35], s[8:9]
	s_cbranch_execz .LBB388_2403
; %bb.2402:                             ;   in Loop: Header=BB388_1330 Depth=1
	v_and_b32_e32 v8, 7, v6
	v_lshrrev_b32_e32 v14, 3, v12
	v_cmp_gt_u32_e64 s[8:9], 8, v12
	v_ffbh_u32_e32 v12, v8
	v_min_u32_e32 v15, 32, v12
	v_subrev_u32_e32 v12, 28, v15
	v_lshlrev_b64 v[12:13], v12, v[6:7]
	v_sub_u32_e32 v6, 29, v15
	v_and_b32_e32 v12, 7, v12
	v_cndmask_b32_e64 v6, v14, v6, s[8:9]
	v_cndmask_b32_e64 v8, v8, v12, s[8:9]
	v_lshlrev_b32_e32 v12, 16, v2
	v_lshlrev_b32_e32 v8, 20, v8
	v_and_b32_e32 v12, 0x80000000, v12
	v_lshl_add_u32 v6, v6, 23, v61
	v_or3_b32 v8, v12, v6, v8
.LBB388_2403:                           ;   in Loop: Header=BB388_1330 Depth=1
	s_or_b64 exec, exec, s[34:35]
.LBB388_2404:                           ;   in Loop: Header=BB388_1330 Depth=1
	s_or_b64 exec, exec, s[30:31]
.LBB388_2405:                           ;   in Loop: Header=BB388_1330 Depth=1
	s_or_b64 exec, exec, s[28:29]
	v_mul_f32_e32 v6, v9, v8
	v_and_b32_e32 v8, 0x7f800000, v6
	v_cmp_ne_u32_e64 s[8:9], s15, v8
                                        ; implicit-def: $vgpr8
	s_and_saveexec_b64 s[28:29], s[8:9]
	s_xor_b64 s[8:9], exec, s[28:29]
; %bb.2406:                             ;   in Loop: Header=BB388_1330 Depth=1
	v_bfe_u32 v8, v6, 16, 1
	v_add3_u32 v8, v6, v8, s36
                                        ; implicit-def: $vgpr6
; %bb.2407:                             ;   in Loop: Header=BB388_1330 Depth=1
	s_andn2_saveexec_b64 s[28:29], s[8:9]
; %bb.2408:                             ;   in Loop: Header=BB388_1330 Depth=1
	v_or_b32_e32 v8, 0x10000, v6
	v_cmp_eq_u32_sdwa s[8:9], v6, v31 src0_sel:WORD_0 src1_sel:DWORD
	v_cndmask_b32_e64 v8, v8, v6, s[8:9]
; %bb.2409:                             ;   in Loop: Header=BB388_1330 Depth=1
	s_or_b64 exec, exec, s[28:29]
	v_lshrrev_b32_e32 v6, 16, v2
	v_cmp_ne_u16_sdwa s[8:9], v6, v31 src0_sel:BYTE_0 src1_sel:DWORD
	v_mov_b32_e32 v12, 0
	s_and_saveexec_b64 s[28:29], s[8:9]
	s_cbranch_execz .LBB388_2415
; %bb.2410:                             ;   in Loop: Header=BB388_1330 Depth=1
	v_cmp_ne_u16_sdwa s[8:9], v6, s37 src0_sel:BYTE_0 src1_sel:DWORD
	v_bfrev_b32_e32 v12, 1
	s_and_saveexec_b64 s[30:31], s[8:9]
	s_cbranch_execz .LBB388_2414
; %bb.2411:                             ;   in Loop: Header=BB388_1330 Depth=1
	v_bfe_u32 v13, v2, 16, 7
	v_cmp_ne_u32_e64 s[8:9], s38, v13
	v_mov_b32_e32 v12, 0x7f800001
	s_and_saveexec_b64 s[34:35], s[8:9]
	s_cbranch_execz .LBB388_2413
; %bb.2412:                             ;   in Loop: Header=BB388_1330 Depth=1
	v_and_b32_e32 v14, 7, v6
	v_ffbh_u32_e32 v12, v14
	v_min_u32_e32 v16, 32, v12
	v_subrev_u32_e32 v12, 28, v16
	v_lshrrev_b32_e32 v15, 3, v13
	v_cmp_gt_u32_e64 s[8:9], 8, v13
	v_lshlrev_b64 v[12:13], v12, v[6:7]
	v_sub_u32_e32 v13, 29, v16
	v_and_b32_e32 v12, 7, v12
	v_cndmask_b32_e64 v13, v15, v13, s[8:9]
	v_cndmask_b32_e64 v12, v14, v12, s[8:9]
	v_lshlrev_b32_e32 v6, 24, v6
	v_lshlrev_b32_e32 v12, 20, v12
	v_and_b32_e32 v6, 0x80000000, v6
	v_lshl_add_u32 v13, v13, 23, v61
	v_or3_b32 v12, v6, v13, v12
.LBB388_2413:                           ;   in Loop: Header=BB388_1330 Depth=1
	s_or_b64 exec, exec, s[34:35]
.LBB388_2414:                           ;   in Loop: Header=BB388_1330 Depth=1
	s_or_b64 exec, exec, s[30:31]
.LBB388_2415:                           ;   in Loop: Header=BB388_1330 Depth=1
	s_or_b64 exec, exec, s[28:29]
	v_mul_f32_e32 v6, v9, v12
	v_and_b32_e32 v12, 0x7f800000, v6
	v_cmp_ne_u32_e64 s[8:9], s15, v12
                                        ; implicit-def: $vgpr12
	s_and_saveexec_b64 s[28:29], s[8:9]
	s_xor_b64 s[8:9], exec, s[28:29]
; %bb.2416:                             ;   in Loop: Header=BB388_1330 Depth=1
	v_bfe_u32 v12, v6, 16, 1
	v_add3_u32 v12, v6, v12, s36
                                        ; implicit-def: $vgpr6
; %bb.2417:                             ;   in Loop: Header=BB388_1330 Depth=1
	s_andn2_saveexec_b64 s[28:29], s[8:9]
; %bb.2418:                             ;   in Loop: Header=BB388_1330 Depth=1
	v_or_b32_e32 v12, 0x10000, v6
	v_cmp_eq_u32_sdwa s[8:9], v6, v31 src0_sel:WORD_0 src1_sel:DWORD
	v_cndmask_b32_e64 v12, v12, v6, s[8:9]
; %bb.2419:                             ;   in Loop: Header=BB388_1330 Depth=1
	s_or_b64 exec, exec, s[28:29]
	v_cmp_lt_u32_e64 s[8:9], s17, v2
	v_mov_b32_e32 v13, 0
	s_and_saveexec_b64 s[28:29], s[8:9]
	s_cbranch_execz .LBB388_2425
; %bb.2420:                             ;   in Loop: Header=BB388_1330 Depth=1
	v_lshrrev_b32_e32 v6, 24, v2
	v_cmp_ne_u32_e64 s[8:9], s37, v6
	v_bfrev_b32_e32 v13, 1
	s_and_saveexec_b64 s[30:31], s[8:9]
	s_cbranch_execz .LBB388_2424
; %bb.2421:                             ;   in Loop: Header=BB388_1330 Depth=1
	v_bfe_u32 v14, v2, 24, 7
	v_cmp_ne_u32_e64 s[8:9], s38, v14
	v_mov_b32_e32 v13, 0x7f800001
	s_and_saveexec_b64 s[34:35], s[8:9]
	s_cbranch_execz .LBB388_2423
; %bb.2422:                             ;   in Loop: Header=BB388_1330 Depth=1
	v_and_b32_e32 v13, 7, v6
	v_lshrrev_b32_e32 v16, 3, v14
	v_cmp_gt_u32_e64 s[8:9], 8, v14
	v_ffbh_u32_e32 v14, v13
	v_min_u32_e32 v17, 32, v14
	v_subrev_u32_e32 v14, 28, v17
	v_lshlrev_b64 v[14:15], v14, v[6:7]
	v_sub_u32_e32 v15, 29, v17
	v_and_b32_e32 v14, 7, v14
	v_cndmask_b32_e64 v15, v16, v15, s[8:9]
	v_cndmask_b32_e64 v13, v13, v14, s[8:9]
	v_lshlrev_b32_e32 v6, 24, v6
	v_lshlrev_b32_e32 v13, 20, v13
	v_and_b32_e32 v6, 0x80000000, v6
	v_lshl_add_u32 v14, v15, 23, v61
	v_or3_b32 v13, v6, v14, v13
.LBB388_2423:                           ;   in Loop: Header=BB388_1330 Depth=1
	s_or_b64 exec, exec, s[34:35]
.LBB388_2424:                           ;   in Loop: Header=BB388_1330 Depth=1
	s_or_b64 exec, exec, s[30:31]
.LBB388_2425:                           ;   in Loop: Header=BB388_1330 Depth=1
	s_or_b64 exec, exec, s[28:29]
	v_mul_f32_e32 v6, v9, v13
	v_and_b32_e32 v13, 0x7f800000, v6
	v_cmp_ne_u32_e64 s[8:9], s15, v13
                                        ; implicit-def: $vgpr13
	s_and_saveexec_b64 s[28:29], s[8:9]
	s_xor_b64 s[8:9], exec, s[28:29]
; %bb.2426:                             ;   in Loop: Header=BB388_1330 Depth=1
	v_bfe_u32 v13, v6, 16, 1
	v_add3_u32 v13, v6, v13, s36
                                        ; implicit-def: $vgpr6
; %bb.2427:                             ;   in Loop: Header=BB388_1330 Depth=1
	s_andn2_saveexec_b64 s[28:29], s[8:9]
; %bb.2428:                             ;   in Loop: Header=BB388_1330 Depth=1
	v_or_b32_e32 v13, 0x10000, v6
	v_cmp_eq_u32_sdwa s[8:9], v6, v31 src0_sel:WORD_0 src1_sel:DWORD
	v_cndmask_b32_e64 v13, v13, v6, s[8:9]
; %bb.2429:                             ;   in Loop: Header=BB388_1330 Depth=1
	s_or_b64 exec, exec, s[28:29]
	v_mov_b32_e32 v30, v3
	v_cmp_ne_u16_sdwa s[8:9], v3, v31 src0_sel:BYTE_0 src1_sel:DWORD
	v_mov_b32_e32 v6, 0
	s_and_saveexec_b64 s[28:29], s[8:9]
	s_cbranch_execz .LBB388_2435
; %bb.2430:                             ;   in Loop: Header=BB388_1330 Depth=1
	v_cmp_ne_u16_sdwa s[8:9], v3, s37 src0_sel:BYTE_0 src1_sel:DWORD
	v_bfrev_b32_e32 v6, 1
	s_and_saveexec_b64 s[30:31], s[8:9]
	s_cbranch_execz .LBB388_2434
; %bb.2431:                             ;   in Loop: Header=BB388_1330 Depth=1
	v_and_b32_e32 v14, 0x7f, v3
	v_cmp_ne_u32_e64 s[8:9], s38, v14
	v_mov_b32_e32 v6, 0x7f800001
	s_and_saveexec_b64 s[34:35], s[8:9]
	s_cbranch_execz .LBB388_2433
; %bb.2432:                             ;   in Loop: Header=BB388_1330 Depth=1
	v_and_b32_e32 v6, 7, v3
	v_ffbh_u32_e32 v6, v6
	v_min_u32_e32 v6, 32, v6
	v_lshrrev_b32_e32 v15, 3, v14
	v_cmp_gt_u32_e64 s[8:9], 8, v14
	v_subrev_u32_e32 v14, 28, v6
	v_sub_u32_e32 v6, 29, v6
	v_cndmask_b32_e64 v14, 0, v14, s[8:9]
	v_cndmask_b32_e64 v6, v15, v6, s[8:9]
	v_lshlrev_b64 v[14:15], v14, v[30:31]
	v_lshlrev_b32_e32 v14, 20, v14
	v_lshlrev_b32_e32 v15, 24, v30
	v_and_b32_e32 v14, 0x700000, v14
	v_and_b32_e32 v15, 0x80000000, v15
	v_lshl_add_u32 v6, v6, 23, v61
	v_or3_b32 v6, v15, v6, v14
.LBB388_2433:                           ;   in Loop: Header=BB388_1330 Depth=1
	s_or_b64 exec, exec, s[34:35]
.LBB388_2434:                           ;   in Loop: Header=BB388_1330 Depth=1
	s_or_b64 exec, exec, s[30:31]
.LBB388_2435:                           ;   in Loop: Header=BB388_1330 Depth=1
	s_or_b64 exec, exec, s[28:29]
	v_mul_f32_e32 v6, v9, v6
	v_and_b32_e32 v14, 0x7f800000, v6
	v_cmp_ne_u32_e64 s[8:9], s15, v14
                                        ; implicit-def: $vgpr16
	s_and_saveexec_b64 s[28:29], s[8:9]
	s_xor_b64 s[8:9], exec, s[28:29]
; %bb.2436:                             ;   in Loop: Header=BB388_1330 Depth=1
	v_bfe_u32 v14, v6, 16, 1
	v_add3_u32 v16, v6, v14, s36
                                        ; implicit-def: $vgpr6
; %bb.2437:                             ;   in Loop: Header=BB388_1330 Depth=1
	s_andn2_saveexec_b64 s[28:29], s[8:9]
; %bb.2438:                             ;   in Loop: Header=BB388_1330 Depth=1
	v_or_b32_e32 v14, 0x10000, v6
	v_cmp_eq_u32_sdwa s[8:9], v6, v31 src0_sel:WORD_0 src1_sel:DWORD
	v_cndmask_b32_e64 v16, v14, v6, s[8:9]
; %bb.2439:                             ;   in Loop: Header=BB388_1330 Depth=1
	s_or_b64 exec, exec, s[28:29]
	v_lshrrev_b16_e32 v6, 8, v30
	v_cmp_ne_u16_e64 s[8:9], 0, v6
	v_mov_b32_e32 v14, 0
	s_and_saveexec_b64 s[28:29], s[8:9]
	s_cbranch_execz .LBB388_2445
; %bb.2440:                             ;   in Loop: Header=BB388_1330 Depth=1
	v_cmp_ne_u16_e64 s[8:9], s37, v6
	v_bfrev_b32_e32 v14, 1
	s_and_saveexec_b64 s[30:31], s[8:9]
	s_cbranch_execz .LBB388_2444
; %bb.2441:                             ;   in Loop: Header=BB388_1330 Depth=1
	v_and_b32_e32 v15, 0x7f, v6
	v_cmp_ne_u32_e64 s[8:9], s38, v15
	v_mov_b32_e32 v14, 0x7f800001
	s_and_saveexec_b64 s[34:35], s[8:9]
	s_cbranch_execz .LBB388_2443
; %bb.2442:                             ;   in Loop: Header=BB388_1330 Depth=1
	v_and_b32_e32 v17, 7, v6
	v_ffbh_u32_e32 v14, v17
	v_min_u32_e32 v19, 32, v14
	v_subrev_u32_e32 v14, 28, v19
	v_lshrrev_b32_e32 v18, 3, v15
	v_cmp_gt_u32_e64 s[8:9], 8, v15
	v_lshlrev_b64 v[14:15], v14, v[6:7]
	v_sub_u32_e32 v6, 29, v19
	v_and_b32_e32 v14, 7, v14
	v_cndmask_b32_e64 v6, v18, v6, s[8:9]
	v_cndmask_b32_e64 v14, v17, v14, s[8:9]
	v_lshlrev_b32_e32 v15, 16, v30
	v_lshlrev_b32_e32 v14, 20, v14
	v_and_b32_e32 v15, 0x80000000, v15
	v_lshl_add_u32 v6, v6, 23, v61
	v_or3_b32 v14, v15, v6, v14
.LBB388_2443:                           ;   in Loop: Header=BB388_1330 Depth=1
	s_or_b64 exec, exec, s[34:35]
.LBB388_2444:                           ;   in Loop: Header=BB388_1330 Depth=1
	s_or_b64 exec, exec, s[30:31]
.LBB388_2445:                           ;   in Loop: Header=BB388_1330 Depth=1
	s_or_b64 exec, exec, s[28:29]
	v_mul_f32_e32 v6, v9, v14
	v_and_b32_e32 v14, 0x7f800000, v6
	v_cmp_ne_u32_e64 s[8:9], s15, v14
                                        ; implicit-def: $vgpr17
	s_and_saveexec_b64 s[28:29], s[8:9]
	s_xor_b64 s[8:9], exec, s[28:29]
; %bb.2446:                             ;   in Loop: Header=BB388_1330 Depth=1
	v_bfe_u32 v14, v6, 16, 1
	v_add3_u32 v17, v6, v14, s36
                                        ; implicit-def: $vgpr6
; %bb.2447:                             ;   in Loop: Header=BB388_1330 Depth=1
	s_andn2_saveexec_b64 s[28:29], s[8:9]
; %bb.2448:                             ;   in Loop: Header=BB388_1330 Depth=1
	v_or_b32_e32 v14, 0x10000, v6
	v_cmp_eq_u32_sdwa s[8:9], v6, v31 src0_sel:WORD_0 src1_sel:DWORD
	v_cndmask_b32_e64 v17, v14, v6, s[8:9]
; %bb.2449:                             ;   in Loop: Header=BB388_1330 Depth=1
	s_or_b64 exec, exec, s[28:29]
	v_lshrrev_b32_e32 v6, 16, v3
	v_cmp_ne_u16_sdwa s[8:9], v6, v31 src0_sel:BYTE_0 src1_sel:DWORD
	v_mov_b32_e32 v14, 0
	s_and_saveexec_b64 s[28:29], s[8:9]
	s_cbranch_execz .LBB388_2455
; %bb.2450:                             ;   in Loop: Header=BB388_1330 Depth=1
	v_cmp_ne_u16_sdwa s[8:9], v6, s37 src0_sel:BYTE_0 src1_sel:DWORD
	v_bfrev_b32_e32 v14, 1
	s_and_saveexec_b64 s[30:31], s[8:9]
	s_cbranch_execz .LBB388_2454
; %bb.2451:                             ;   in Loop: Header=BB388_1330 Depth=1
	v_bfe_u32 v15, v3, 16, 7
	v_cmp_ne_u32_e64 s[8:9], s38, v15
	v_mov_b32_e32 v14, 0x7f800001
	s_and_saveexec_b64 s[34:35], s[8:9]
	s_cbranch_execz .LBB388_2453
; %bb.2452:                             ;   in Loop: Header=BB388_1330 Depth=1
	v_and_b32_e32 v18, 7, v6
	v_ffbh_u32_e32 v14, v18
	v_min_u32_e32 v20, 32, v14
	v_subrev_u32_e32 v14, 28, v20
	v_lshrrev_b32_e32 v19, 3, v15
	v_cmp_gt_u32_e64 s[8:9], 8, v15
	v_lshlrev_b64 v[14:15], v14, v[6:7]
	v_sub_u32_e32 v15, 29, v20
	v_and_b32_e32 v14, 7, v14
	v_cndmask_b32_e64 v15, v19, v15, s[8:9]
	v_cndmask_b32_e64 v14, v18, v14, s[8:9]
	v_lshlrev_b32_e32 v6, 24, v6
	v_lshlrev_b32_e32 v14, 20, v14
	v_and_b32_e32 v6, 0x80000000, v6
	v_lshl_add_u32 v15, v15, 23, v61
	v_or3_b32 v14, v6, v15, v14
.LBB388_2453:                           ;   in Loop: Header=BB388_1330 Depth=1
	s_or_b64 exec, exec, s[34:35]
.LBB388_2454:                           ;   in Loop: Header=BB388_1330 Depth=1
	s_or_b64 exec, exec, s[30:31]
.LBB388_2455:                           ;   in Loop: Header=BB388_1330 Depth=1
	s_or_b64 exec, exec, s[28:29]
	v_mul_f32_e32 v6, v9, v14
	v_and_b32_e32 v14, 0x7f800000, v6
	v_cmp_ne_u32_e64 s[8:9], s15, v14
                                        ; implicit-def: $vgpr15
	s_and_saveexec_b64 s[28:29], s[8:9]
	s_xor_b64 s[8:9], exec, s[28:29]
; %bb.2456:                             ;   in Loop: Header=BB388_1330 Depth=1
	v_bfe_u32 v14, v6, 16, 1
	v_add3_u32 v15, v6, v14, s36
                                        ; implicit-def: $vgpr6
; %bb.2457:                             ;   in Loop: Header=BB388_1330 Depth=1
	s_andn2_saveexec_b64 s[28:29], s[8:9]
; %bb.2458:                             ;   in Loop: Header=BB388_1330 Depth=1
	v_or_b32_e32 v14, 0x10000, v6
	v_cmp_eq_u32_sdwa s[8:9], v6, v31 src0_sel:WORD_0 src1_sel:DWORD
	v_cndmask_b32_e64 v15, v14, v6, s[8:9]
; %bb.2459:                             ;   in Loop: Header=BB388_1330 Depth=1
	s_or_b64 exec, exec, s[28:29]
	v_cmp_lt_u64_e64 s[8:9], s[16:17], v[2:3]
	v_mov_b32_e32 v6, 0
	s_and_saveexec_b64 s[28:29], s[8:9]
	s_cbranch_execz .LBB388_2465
; %bb.2460:                             ;   in Loop: Header=BB388_1330 Depth=1
	v_lshrrev_b32_e32 v2, 24, v3
	v_cmp_ne_u32_e64 s[8:9], s37, v2
	v_bfrev_b32_e32 v6, 1
	s_and_saveexec_b64 s[30:31], s[8:9]
	s_cbranch_execz .LBB388_2464
; %bb.2461:                             ;   in Loop: Header=BB388_1330 Depth=1
	v_bfe_u32 v3, v3, 24, 7
	v_cmp_ne_u32_e64 s[8:9], s38, v3
	v_mov_b32_e32 v6, 0x7f800001
	s_and_saveexec_b64 s[34:35], s[8:9]
	s_cbranch_execz .LBB388_2463
; %bb.2462:                             ;   in Loop: Header=BB388_1330 Depth=1
	v_and_b32_e32 v6, 7, v2
	v_lshrrev_b32_e32 v14, 3, v3
	v_cmp_gt_u32_e64 s[8:9], 8, v3
	v_ffbh_u32_e32 v3, v6
	v_min_u32_e32 v3, 32, v3
	v_subrev_u32_e32 v18, 28, v3
	v_lshlrev_b64 v[18:19], v18, v[2:3]
	v_sub_u32_e32 v3, 29, v3
	v_and_b32_e32 v18, 7, v18
	v_cndmask_b32_e64 v3, v14, v3, s[8:9]
	v_cndmask_b32_e64 v6, v6, v18, s[8:9]
	v_lshlrev_b32_e32 v2, 24, v2
	v_lshlrev_b32_e32 v6, 20, v6
	v_and_b32_e32 v2, 0x80000000, v2
	v_lshl_add_u32 v3, v3, 23, v61
	v_or3_b32 v6, v2, v3, v6
.LBB388_2463:                           ;   in Loop: Header=BB388_1330 Depth=1
	s_or_b64 exec, exec, s[34:35]
.LBB388_2464:                           ;   in Loop: Header=BB388_1330 Depth=1
	s_or_b64 exec, exec, s[30:31]
.LBB388_2465:                           ;   in Loop: Header=BB388_1330 Depth=1
	s_or_b64 exec, exec, s[28:29]
	v_mul_f32_e32 v3, v9, v6
	v_and_b32_e32 v2, 0x7f800000, v3
	v_cmp_ne_u32_e64 s[8:9], s15, v2
                                        ; implicit-def: $vgpr2
	s_and_saveexec_b64 s[28:29], s[8:9]
	s_xor_b64 s[8:9], exec, s[28:29]
; %bb.2466:                             ;   in Loop: Header=BB388_1330 Depth=1
	v_bfe_u32 v2, v3, 16, 1
	v_add3_u32 v2, v3, v2, s36
                                        ; implicit-def: $vgpr3
; %bb.2467:                             ;   in Loop: Header=BB388_1330 Depth=1
	s_andn2_saveexec_b64 s[28:29], s[8:9]
; %bb.2468:                             ;   in Loop: Header=BB388_1330 Depth=1
	v_or_b32_e32 v2, 0x10000, v3
	v_cmp_eq_u32_sdwa s[8:9], v3, v31 src0_sel:WORD_0 src1_sel:DWORD
	v_cndmask_b32_e64 v2, v2, v3, s[8:9]
; %bb.2469:                             ;   in Loop: Header=BB388_1330 Depth=1
	s_or_b64 exec, exec, s[28:29]
	v_lshrrev_b32_e32 v6, 16, v17
	v_lshrrev_b32_e32 v14, 16, v16
	;; [unrolled: 1-line block ×8, first 2 shown]
	s_and_saveexec_b64 s[28:29], vcc
	s_cbranch_execz .LBB388_2471
; %bb.2470:                             ;   in Loop: Header=BB388_1330 Depth=1
	buffer_load_dword v15, off, s[0:3], s32 offset:196 ; 4-byte Folded Reload
	v_accvgpr_read_b32 v16, a18
	s_waitcnt vmcnt(0)
	v_cmp_lt_i32_e64 s[8:9], v40, v15
	v_cndmask_b32_e64 v7, 0, v7, s[8:9]
	v_cmp_lt_i32_e64 s[8:9], v16, v15
	v_accvgpr_read_b32 v16, a63
	v_cndmask_b32_e64 v8, 0, v8, s[8:9]
	v_cmp_lt_i32_e64 s[8:9], v16, v15
	v_accvgpr_read_b32 v16, a62
	;; [unrolled: 3-line block ×5, first 2 shown]
	v_cndmask_b32_e64 v6, 0, v6, s[8:9]
	v_cmp_lt_i32_e64 s[8:9], v16, v15
	v_cndmask_b32_e64 v3, 0, v3, s[8:9]
	v_cmp_lt_i32_e64 s[8:9], v50, v15
	v_cndmask_b32_e64 v2, 0, v2, s[8:9]
.LBB388_2471:                           ;   in Loop: Header=BB388_1330 Depth=1
	s_or_b64 exec, exec, s[28:29]
	v_lshlrev_b32_e32 v7, 16, v7
	v_mul_f32_e32 v7, v27, v7
	v_and_b32_e32 v15, 0x7f800000, v7
	v_cmp_ne_u32_e64 s[8:9], s15, v15
                                        ; implicit-def: $agpr41
	s_and_saveexec_b64 s[28:29], s[8:9]
	s_xor_b64 s[8:9], exec, s[28:29]
; %bb.2472:                             ;   in Loop: Header=BB388_1330 Depth=1
	v_bfe_u32 v15, v7, 16, 1
	v_add3_u32 v7, v7, v15, s36
	v_accvgpr_write_b32 a41, v7
                                        ; implicit-def: $vgpr7
; %bb.2473:                             ;   in Loop: Header=BB388_1330 Depth=1
	s_andn2_saveexec_b64 s[28:29], s[8:9]
; %bb.2474:                             ;   in Loop: Header=BB388_1330 Depth=1
	v_or_b32_e32 v15, 0x10000, v7
	v_cmp_eq_u32_sdwa s[8:9], v7, v31 src0_sel:WORD_0 src1_sel:DWORD
	v_cndmask_b32_e64 v7, v15, v7, s[8:9]
	v_accvgpr_write_b32 a41, v7
; %bb.2475:                             ;   in Loop: Header=BB388_1330 Depth=1
	s_or_b64 exec, exec, s[28:29]
	v_lshlrev_b32_e32 v7, 16, v8
	v_mul_f32_e32 v7, v23, v7
	v_and_b32_e32 v8, 0x7f800000, v7
	v_cmp_ne_u32_e64 s[8:9], s15, v8
                                        ; implicit-def: $agpr36
	s_and_saveexec_b64 s[28:29], s[8:9]
	s_xor_b64 s[8:9], exec, s[28:29]
; %bb.2476:                             ;   in Loop: Header=BB388_1330 Depth=1
	v_bfe_u32 v8, v7, 16, 1
	v_add3_u32 v7, v7, v8, s36
	v_accvgpr_write_b32 a36, v7
                                        ; implicit-def: $vgpr7
; %bb.2477:                             ;   in Loop: Header=BB388_1330 Depth=1
	s_andn2_saveexec_b64 s[28:29], s[8:9]
; %bb.2478:                             ;   in Loop: Header=BB388_1330 Depth=1
	v_or_b32_e32 v8, 0x10000, v7
	v_cmp_eq_u32_sdwa s[8:9], v7, v31 src0_sel:WORD_0 src1_sel:DWORD
	v_cndmask_b32_e64 v7, v8, v7, s[8:9]
	v_accvgpr_write_b32 a36, v7
; %bb.2479:                             ;   in Loop: Header=BB388_1330 Depth=1
	s_or_b64 exec, exec, s[28:29]
	v_lshlrev_b32_e32 v7, 16, v12
	v_mul_f32_e32 v7, v55, v7
	v_and_b32_e32 v8, 0x7f800000, v7
	v_cmp_ne_u32_e64 s[8:9], s15, v8
                                        ; implicit-def: $agpr37
	s_and_saveexec_b64 s[28:29], s[8:9]
	s_xor_b64 s[8:9], exec, s[28:29]
; %bb.2480:                             ;   in Loop: Header=BB388_1330 Depth=1
	v_bfe_u32 v8, v7, 16, 1
	v_add3_u32 v7, v7, v8, s36
	v_accvgpr_write_b32 a37, v7
                                        ; implicit-def: $vgpr7
; %bb.2481:                             ;   in Loop: Header=BB388_1330 Depth=1
	s_andn2_saveexec_b64 s[28:29], s[8:9]
; %bb.2482:                             ;   in Loop: Header=BB388_1330 Depth=1
	v_or_b32_e32 v8, 0x10000, v7
	v_cmp_eq_u32_sdwa s[8:9], v7, v31 src0_sel:WORD_0 src1_sel:DWORD
	v_cndmask_b32_e64 v7, v8, v7, s[8:9]
	v_accvgpr_write_b32 a37, v7
; %bb.2483:                             ;   in Loop: Header=BB388_1330 Depth=1
	s_or_b64 exec, exec, s[28:29]
	v_lshlrev_b32_e32 v7, 16, v13
	v_mul_f32_e32 v7, v48, v7
	v_and_b32_e32 v8, 0x7f800000, v7
	v_cmp_ne_u32_e64 s[8:9], s15, v8
                                        ; implicit-def: $agpr42
	s_and_saveexec_b64 s[28:29], s[8:9]
	s_xor_b64 s[8:9], exec, s[28:29]
; %bb.2484:                             ;   in Loop: Header=BB388_1330 Depth=1
	v_bfe_u32 v8, v7, 16, 1
	v_add3_u32 v7, v7, v8, s36
	v_accvgpr_write_b32 a42, v7
                                        ; implicit-def: $vgpr7
; %bb.2485:                             ;   in Loop: Header=BB388_1330 Depth=1
	s_andn2_saveexec_b64 s[28:29], s[8:9]
; %bb.2486:                             ;   in Loop: Header=BB388_1330 Depth=1
	v_or_b32_e32 v8, 0x10000, v7
	v_cmp_eq_u32_sdwa s[8:9], v7, v31 src0_sel:WORD_0 src1_sel:DWORD
	v_cndmask_b32_e64 v7, v8, v7, s[8:9]
	v_accvgpr_write_b32 a42, v7
; %bb.2487:                             ;   in Loop: Header=BB388_1330 Depth=1
	s_or_b64 exec, exec, s[28:29]
	v_lshlrev_b32_e32 v7, 16, v14
	v_mul_f32_e32 v7, v62, v7
	v_and_b32_e32 v8, 0x7f800000, v7
	v_cmp_ne_u32_e64 s[8:9], s15, v8
                                        ; implicit-def: $agpr44
	s_and_saveexec_b64 s[28:29], s[8:9]
	s_xor_b64 s[8:9], exec, s[28:29]
; %bb.2488:                             ;   in Loop: Header=BB388_1330 Depth=1
	v_bfe_u32 v8, v7, 16, 1
	v_add3_u32 v7, v7, v8, s36
	v_accvgpr_write_b32 a44, v7
                                        ; implicit-def: $vgpr7
; %bb.2489:                             ;   in Loop: Header=BB388_1330 Depth=1
	s_andn2_saveexec_b64 s[28:29], s[8:9]
; %bb.2490:                             ;   in Loop: Header=BB388_1330 Depth=1
	v_or_b32_e32 v8, 0x10000, v7
	v_cmp_eq_u32_sdwa s[8:9], v7, v31 src0_sel:WORD_0 src1_sel:DWORD
	v_cndmask_b32_e64 v7, v8, v7, s[8:9]
	v_accvgpr_write_b32 a44, v7
; %bb.2491:                             ;   in Loop: Header=BB388_1330 Depth=1
	s_or_b64 exec, exec, s[28:29]
	v_lshlrev_b32_e32 v6, 16, v6
	v_mul_f32_e32 v6, v5, v6
	v_and_b32_e32 v7, 0x7f800000, v6
	v_cmp_ne_u32_e64 s[8:9], s15, v7
                                        ; implicit-def: $agpr46
	s_and_saveexec_b64 s[28:29], s[8:9]
	s_xor_b64 s[8:9], exec, s[28:29]
; %bb.2492:                             ;   in Loop: Header=BB388_1330 Depth=1
	v_bfe_u32 v7, v6, 16, 1
	v_add3_u32 v6, v6, v7, s36
	v_accvgpr_write_b32 a46, v6
                                        ; implicit-def: $vgpr6
; %bb.2493:                             ;   in Loop: Header=BB388_1330 Depth=1
	s_andn2_saveexec_b64 s[28:29], s[8:9]
; %bb.2494:                             ;   in Loop: Header=BB388_1330 Depth=1
	v_or_b32_e32 v7, 0x10000, v6
	v_cmp_eq_u32_sdwa s[8:9], v6, v31 src0_sel:WORD_0 src1_sel:DWORD
	v_cndmask_b32_e64 v6, v7, v6, s[8:9]
	v_accvgpr_write_b32 a46, v6
; %bb.2495:                             ;   in Loop: Header=BB388_1330 Depth=1
	s_or_b64 exec, exec, s[28:29]
	v_lshlrev_b32_e32 v3, 16, v3
	v_mul_f32_e32 v3, v10, v3
	v_and_b32_e32 v6, 0x7f800000, v3
	v_cmp_ne_u32_e64 s[8:9], s15, v6
                                        ; implicit-def: $agpr48
	s_and_saveexec_b64 s[28:29], s[8:9]
	s_xor_b64 s[8:9], exec, s[28:29]
; %bb.2496:                             ;   in Loop: Header=BB388_1330 Depth=1
	v_bfe_u32 v6, v3, 16, 1
	v_add3_u32 v3, v3, v6, s36
	v_accvgpr_write_b32 a48, v3
                                        ; implicit-def: $vgpr3
; %bb.2497:                             ;   in Loop: Header=BB388_1330 Depth=1
	s_andn2_saveexec_b64 s[28:29], s[8:9]
; %bb.2498:                             ;   in Loop: Header=BB388_1330 Depth=1
	v_or_b32_e32 v6, 0x10000, v3
	v_cmp_eq_u32_sdwa s[8:9], v3, v31 src0_sel:WORD_0 src1_sel:DWORD
	v_cndmask_b32_e64 v3, v6, v3, s[8:9]
	v_accvgpr_write_b32 a48, v3
; %bb.2499:                             ;   in Loop: Header=BB388_1330 Depth=1
	s_or_b64 exec, exec, s[28:29]
	v_lshlrev_b32_e32 v2, 16, v2
	v_mul_f32_e32 v2, v11, v2
	v_and_b32_e32 v3, 0x7f800000, v2
	v_cmp_ne_u32_e64 s[8:9], s15, v3
                                        ; implicit-def: $agpr50
	s_and_saveexec_b64 s[28:29], s[8:9]
	s_xor_b64 s[8:9], exec, s[28:29]
; %bb.2500:                             ;   in Loop: Header=BB388_1330 Depth=1
	v_bfe_u32 v3, v2, 16, 1
	v_add3_u32 v2, v2, v3, s36
	v_accvgpr_write_b32 a50, v2
                                        ; implicit-def: $vgpr2
; %bb.2501:                             ;   in Loop: Header=BB388_1330 Depth=1
	s_andn2_saveexec_b64 s[28:29], s[8:9]
; %bb.2502:                             ;   in Loop: Header=BB388_1330 Depth=1
	v_or_b32_e32 v3, 0x10000, v2
	v_cmp_eq_u32_sdwa s[8:9], v2, v31 src0_sel:WORD_0 src1_sel:DWORD
	v_cndmask_b32_e64 v2, v3, v2, s[8:9]
	v_accvgpr_write_b32 a50, v2
; %bb.2503:                             ;   in Loop: Header=BB388_1330 Depth=1
	s_or_b64 exec, exec, s[28:29]
	buffer_load_dword v2, off, s[0:3], s32 offset:528 ; 4-byte Folded Reload
	buffer_load_dword v3, off, s[0:3], s32 offset:532 ; 4-byte Folded Reload
	v_mov_b32_e32 v6, 0
	s_waitcnt vmcnt(1)
	v_add_co_u32_e64 v2, s[8:9], v0, v2
	s_waitcnt vmcnt(0)
	v_addc_co_u32_e64 v3, s[8:9], 0, v1, s[8:9]
	flat_load_dwordx2 v[2:3], v[2:3]
	s_waitcnt vmcnt(0) lgkmcnt(0)
	v_cmp_ne_u16_sdwa s[8:9], v2, v31 src0_sel:BYTE_0 src1_sel:DWORD
	s_and_saveexec_b64 s[28:29], s[8:9]
	s_cbranch_execz .LBB388_2509
; %bb.2504:                             ;   in Loop: Header=BB388_1330 Depth=1
	v_cmp_ne_u16_sdwa s[8:9], v2, s37 src0_sel:BYTE_0 src1_sel:DWORD
	v_bfrev_b32_e32 v6, 1
	s_and_saveexec_b64 s[30:31], s[8:9]
	s_cbranch_execz .LBB388_2508
; %bb.2505:                             ;   in Loop: Header=BB388_1330 Depth=1
	v_and_b32_e32 v7, 0x7f, v2
	v_cmp_ne_u32_e64 s[8:9], s38, v7
	v_mov_b32_e32 v6, 0x7f800001
	s_and_saveexec_b64 s[34:35], s[8:9]
	s_cbranch_execz .LBB388_2507
; %bb.2506:                             ;   in Loop: Header=BB388_1330 Depth=1
	v_and_b32_e32 v6, 7, v2
	v_ffbh_u32_e32 v6, v6
	v_min_u32_e32 v6, 32, v6
	v_lshrrev_b32_e32 v8, 3, v7
	v_cmp_gt_u32_e64 s[8:9], 8, v7
	v_subrev_u32_e32 v7, 28, v6
	v_sub_u32_e32 v6, 29, v6
	v_cndmask_b32_e64 v8, v8, v6, s[8:9]
	v_cndmask_b32_e64 v6, 0, v7, s[8:9]
	v_lshlrev_b64 v[6:7], v6, v[2:3]
	v_lshlrev_b32_e32 v6, 20, v6
	v_lshlrev_b32_e32 v7, 24, v2
	v_and_b32_e32 v6, 0x700000, v6
	v_and_b32_e32 v7, 0x80000000, v7
	v_lshl_add_u32 v8, v8, 23, v61
	v_or3_b32 v6, v7, v8, v6
.LBB388_2507:                           ;   in Loop: Header=BB388_1330 Depth=1
	s_or_b64 exec, exec, s[34:35]
.LBB388_2508:                           ;   in Loop: Header=BB388_1330 Depth=1
	s_or_b64 exec, exec, s[30:31]
.LBB388_2509:                           ;   in Loop: Header=BB388_1330 Depth=1
	s_or_b64 exec, exec, s[28:29]
	v_mul_f32_e32 v6, v9, v6
	v_and_b32_e32 v7, 0x7f800000, v6
	v_cmp_ne_u32_e64 s[8:9], s15, v7
                                        ; implicit-def: $vgpr7
	s_and_saveexec_b64 s[28:29], s[8:9]
	s_xor_b64 s[8:9], exec, s[28:29]
; %bb.2510:                             ;   in Loop: Header=BB388_1330 Depth=1
	v_bfe_u32 v7, v6, 16, 1
	v_add3_u32 v7, v6, v7, s36
                                        ; implicit-def: $vgpr6
; %bb.2511:                             ;   in Loop: Header=BB388_1330 Depth=1
	s_andn2_saveexec_b64 s[28:29], s[8:9]
; %bb.2512:                             ;   in Loop: Header=BB388_1330 Depth=1
	v_or_b32_e32 v7, 0x10000, v6
	v_cmp_eq_u32_sdwa s[8:9], v6, v31 src0_sel:WORD_0 src1_sel:DWORD
	v_cndmask_b32_e64 v7, v7, v6, s[8:9]
; %bb.2513:                             ;   in Loop: Header=BB388_1330 Depth=1
	s_or_b64 exec, exec, s[28:29]
	v_lshrrev_b16_e32 v6, 8, v2
	v_cmp_ne_u16_e64 s[8:9], 0, v6
	v_mov_b32_e32 v8, 0
	s_and_saveexec_b64 s[28:29], s[8:9]
	s_cbranch_execz .LBB388_2519
; %bb.2514:                             ;   in Loop: Header=BB388_1330 Depth=1
	v_cmp_ne_u16_e64 s[8:9], s37, v6
	v_bfrev_b32_e32 v8, 1
	s_and_saveexec_b64 s[30:31], s[8:9]
	s_cbranch_execz .LBB388_2518
; %bb.2515:                             ;   in Loop: Header=BB388_1330 Depth=1
	v_and_b32_e32 v12, 0x7f, v6
	v_cmp_ne_u32_e64 s[8:9], s38, v12
	v_mov_b32_e32 v8, 0x7f800001
	s_and_saveexec_b64 s[34:35], s[8:9]
	s_cbranch_execz .LBB388_2517
; %bb.2516:                             ;   in Loop: Header=BB388_1330 Depth=1
	v_and_b32_e32 v8, 7, v6
	v_lshrrev_b32_e32 v14, 3, v12
	v_cmp_gt_u32_e64 s[8:9], 8, v12
	v_ffbh_u32_e32 v12, v8
	v_min_u32_e32 v15, 32, v12
	v_subrev_u32_e32 v12, 28, v15
	v_lshlrev_b64 v[12:13], v12, v[6:7]
	v_sub_u32_e32 v6, 29, v15
	v_and_b32_e32 v12, 7, v12
	v_cndmask_b32_e64 v6, v14, v6, s[8:9]
	v_cndmask_b32_e64 v8, v8, v12, s[8:9]
	v_lshlrev_b32_e32 v12, 16, v2
	v_lshlrev_b32_e32 v8, 20, v8
	v_and_b32_e32 v12, 0x80000000, v12
	v_lshl_add_u32 v6, v6, 23, v61
	v_or3_b32 v8, v12, v6, v8
.LBB388_2517:                           ;   in Loop: Header=BB388_1330 Depth=1
	s_or_b64 exec, exec, s[34:35]
.LBB388_2518:                           ;   in Loop: Header=BB388_1330 Depth=1
	s_or_b64 exec, exec, s[30:31]
.LBB388_2519:                           ;   in Loop: Header=BB388_1330 Depth=1
	s_or_b64 exec, exec, s[28:29]
	v_mul_f32_e32 v6, v9, v8
	v_and_b32_e32 v8, 0x7f800000, v6
	v_cmp_ne_u32_e64 s[8:9], s15, v8
                                        ; implicit-def: $vgpr8
	s_and_saveexec_b64 s[28:29], s[8:9]
	s_xor_b64 s[8:9], exec, s[28:29]
; %bb.2520:                             ;   in Loop: Header=BB388_1330 Depth=1
	v_bfe_u32 v8, v6, 16, 1
	v_add3_u32 v8, v6, v8, s36
                                        ; implicit-def: $vgpr6
; %bb.2521:                             ;   in Loop: Header=BB388_1330 Depth=1
	s_andn2_saveexec_b64 s[28:29], s[8:9]
; %bb.2522:                             ;   in Loop: Header=BB388_1330 Depth=1
	v_or_b32_e32 v8, 0x10000, v6
	v_cmp_eq_u32_sdwa s[8:9], v6, v31 src0_sel:WORD_0 src1_sel:DWORD
	v_cndmask_b32_e64 v8, v8, v6, s[8:9]
; %bb.2523:                             ;   in Loop: Header=BB388_1330 Depth=1
	s_or_b64 exec, exec, s[28:29]
	v_lshrrev_b32_e32 v6, 16, v2
	v_cmp_ne_u16_sdwa s[8:9], v6, v31 src0_sel:BYTE_0 src1_sel:DWORD
	v_mov_b32_e32 v12, 0
	s_and_saveexec_b64 s[28:29], s[8:9]
	s_cbranch_execz .LBB388_2529
; %bb.2524:                             ;   in Loop: Header=BB388_1330 Depth=1
	v_cmp_ne_u16_sdwa s[8:9], v6, s37 src0_sel:BYTE_0 src1_sel:DWORD
	v_bfrev_b32_e32 v12, 1
	s_and_saveexec_b64 s[30:31], s[8:9]
	s_cbranch_execz .LBB388_2528
; %bb.2525:                             ;   in Loop: Header=BB388_1330 Depth=1
	v_bfe_u32 v13, v2, 16, 7
	v_cmp_ne_u32_e64 s[8:9], s38, v13
	v_mov_b32_e32 v12, 0x7f800001
	s_and_saveexec_b64 s[34:35], s[8:9]
	s_cbranch_execz .LBB388_2527
; %bb.2526:                             ;   in Loop: Header=BB388_1330 Depth=1
	v_and_b32_e32 v14, 7, v6
	v_ffbh_u32_e32 v12, v14
	v_min_u32_e32 v16, 32, v12
	v_subrev_u32_e32 v12, 28, v16
	v_lshrrev_b32_e32 v15, 3, v13
	v_cmp_gt_u32_e64 s[8:9], 8, v13
	v_lshlrev_b64 v[12:13], v12, v[6:7]
	v_sub_u32_e32 v13, 29, v16
	v_and_b32_e32 v12, 7, v12
	v_cndmask_b32_e64 v13, v15, v13, s[8:9]
	v_cndmask_b32_e64 v12, v14, v12, s[8:9]
	v_lshlrev_b32_e32 v6, 24, v6
	v_lshlrev_b32_e32 v12, 20, v12
	v_and_b32_e32 v6, 0x80000000, v6
	v_lshl_add_u32 v13, v13, 23, v61
	v_or3_b32 v12, v6, v13, v12
.LBB388_2527:                           ;   in Loop: Header=BB388_1330 Depth=1
	s_or_b64 exec, exec, s[34:35]
.LBB388_2528:                           ;   in Loop: Header=BB388_1330 Depth=1
	s_or_b64 exec, exec, s[30:31]
.LBB388_2529:                           ;   in Loop: Header=BB388_1330 Depth=1
	s_or_b64 exec, exec, s[28:29]
	v_mul_f32_e32 v6, v9, v12
	v_and_b32_e32 v12, 0x7f800000, v6
	v_cmp_ne_u32_e64 s[8:9], s15, v12
                                        ; implicit-def: $vgpr12
	s_and_saveexec_b64 s[28:29], s[8:9]
	s_xor_b64 s[8:9], exec, s[28:29]
; %bb.2530:                             ;   in Loop: Header=BB388_1330 Depth=1
	v_bfe_u32 v12, v6, 16, 1
	v_add3_u32 v12, v6, v12, s36
                                        ; implicit-def: $vgpr6
; %bb.2531:                             ;   in Loop: Header=BB388_1330 Depth=1
	s_andn2_saveexec_b64 s[28:29], s[8:9]
; %bb.2532:                             ;   in Loop: Header=BB388_1330 Depth=1
	v_or_b32_e32 v12, 0x10000, v6
	v_cmp_eq_u32_sdwa s[8:9], v6, v31 src0_sel:WORD_0 src1_sel:DWORD
	v_cndmask_b32_e64 v12, v12, v6, s[8:9]
; %bb.2533:                             ;   in Loop: Header=BB388_1330 Depth=1
	s_or_b64 exec, exec, s[28:29]
	v_cmp_lt_u32_e64 s[8:9], s17, v2
	v_mov_b32_e32 v13, 0
	s_and_saveexec_b64 s[28:29], s[8:9]
	s_cbranch_execz .LBB388_2539
; %bb.2534:                             ;   in Loop: Header=BB388_1330 Depth=1
	v_lshrrev_b32_e32 v6, 24, v2
	v_cmp_ne_u32_e64 s[8:9], s37, v6
	v_bfrev_b32_e32 v13, 1
	s_and_saveexec_b64 s[30:31], s[8:9]
	s_cbranch_execz .LBB388_2538
; %bb.2535:                             ;   in Loop: Header=BB388_1330 Depth=1
	v_bfe_u32 v14, v2, 24, 7
	v_cmp_ne_u32_e64 s[8:9], s38, v14
	v_mov_b32_e32 v13, 0x7f800001
	s_and_saveexec_b64 s[34:35], s[8:9]
	s_cbranch_execz .LBB388_2537
; %bb.2536:                             ;   in Loop: Header=BB388_1330 Depth=1
	v_and_b32_e32 v13, 7, v6
	v_lshrrev_b32_e32 v16, 3, v14
	v_cmp_gt_u32_e64 s[8:9], 8, v14
	v_ffbh_u32_e32 v14, v13
	v_min_u32_e32 v17, 32, v14
	v_subrev_u32_e32 v14, 28, v17
	v_lshlrev_b64 v[14:15], v14, v[6:7]
	v_sub_u32_e32 v15, 29, v17
	v_and_b32_e32 v14, 7, v14
	v_cndmask_b32_e64 v15, v16, v15, s[8:9]
	v_cndmask_b32_e64 v13, v13, v14, s[8:9]
	v_lshlrev_b32_e32 v6, 24, v6
	v_lshlrev_b32_e32 v13, 20, v13
	v_and_b32_e32 v6, 0x80000000, v6
	v_lshl_add_u32 v14, v15, 23, v61
	v_or3_b32 v13, v6, v14, v13
.LBB388_2537:                           ;   in Loop: Header=BB388_1330 Depth=1
	s_or_b64 exec, exec, s[34:35]
.LBB388_2538:                           ;   in Loop: Header=BB388_1330 Depth=1
	s_or_b64 exec, exec, s[30:31]
.LBB388_2539:                           ;   in Loop: Header=BB388_1330 Depth=1
	s_or_b64 exec, exec, s[28:29]
	v_mul_f32_e32 v6, v9, v13
	v_and_b32_e32 v13, 0x7f800000, v6
	v_cmp_ne_u32_e64 s[8:9], s15, v13
                                        ; implicit-def: $vgpr13
	s_and_saveexec_b64 s[28:29], s[8:9]
	s_xor_b64 s[8:9], exec, s[28:29]
; %bb.2540:                             ;   in Loop: Header=BB388_1330 Depth=1
	v_bfe_u32 v13, v6, 16, 1
	v_add3_u32 v13, v6, v13, s36
                                        ; implicit-def: $vgpr6
; %bb.2541:                             ;   in Loop: Header=BB388_1330 Depth=1
	s_andn2_saveexec_b64 s[28:29], s[8:9]
; %bb.2542:                             ;   in Loop: Header=BB388_1330 Depth=1
	v_or_b32_e32 v13, 0x10000, v6
	v_cmp_eq_u32_sdwa s[8:9], v6, v31 src0_sel:WORD_0 src1_sel:DWORD
	v_cndmask_b32_e64 v13, v13, v6, s[8:9]
; %bb.2543:                             ;   in Loop: Header=BB388_1330 Depth=1
	s_or_b64 exec, exec, s[28:29]
	v_mov_b32_e32 v30, v3
	v_cmp_ne_u16_sdwa s[8:9], v3, v31 src0_sel:BYTE_0 src1_sel:DWORD
	v_mov_b32_e32 v6, 0
	s_and_saveexec_b64 s[28:29], s[8:9]
	s_cbranch_execz .LBB388_2549
; %bb.2544:                             ;   in Loop: Header=BB388_1330 Depth=1
	v_cmp_ne_u16_sdwa s[8:9], v3, s37 src0_sel:BYTE_0 src1_sel:DWORD
	v_bfrev_b32_e32 v6, 1
	s_and_saveexec_b64 s[30:31], s[8:9]
	s_cbranch_execz .LBB388_2548
; %bb.2545:                             ;   in Loop: Header=BB388_1330 Depth=1
	v_and_b32_e32 v14, 0x7f, v3
	v_cmp_ne_u32_e64 s[8:9], s38, v14
	v_mov_b32_e32 v6, 0x7f800001
	s_and_saveexec_b64 s[34:35], s[8:9]
	s_cbranch_execz .LBB388_2547
; %bb.2546:                             ;   in Loop: Header=BB388_1330 Depth=1
	v_and_b32_e32 v6, 7, v3
	v_ffbh_u32_e32 v6, v6
	v_min_u32_e32 v6, 32, v6
	v_lshrrev_b32_e32 v15, 3, v14
	v_cmp_gt_u32_e64 s[8:9], 8, v14
	v_subrev_u32_e32 v14, 28, v6
	v_sub_u32_e32 v6, 29, v6
	v_cndmask_b32_e64 v14, 0, v14, s[8:9]
	v_cndmask_b32_e64 v6, v15, v6, s[8:9]
	v_lshlrev_b64 v[14:15], v14, v[30:31]
	v_lshlrev_b32_e32 v14, 20, v14
	v_lshlrev_b32_e32 v15, 24, v30
	v_and_b32_e32 v14, 0x700000, v14
	v_and_b32_e32 v15, 0x80000000, v15
	v_lshl_add_u32 v6, v6, 23, v61
	v_or3_b32 v6, v15, v6, v14
.LBB388_2547:                           ;   in Loop: Header=BB388_1330 Depth=1
	s_or_b64 exec, exec, s[34:35]
.LBB388_2548:                           ;   in Loop: Header=BB388_1330 Depth=1
	s_or_b64 exec, exec, s[30:31]
.LBB388_2549:                           ;   in Loop: Header=BB388_1330 Depth=1
	s_or_b64 exec, exec, s[28:29]
	v_mul_f32_e32 v6, v9, v6
	v_and_b32_e32 v14, 0x7f800000, v6
	v_cmp_ne_u32_e64 s[8:9], s15, v14
                                        ; implicit-def: $vgpr16
	s_and_saveexec_b64 s[28:29], s[8:9]
	s_xor_b64 s[8:9], exec, s[28:29]
; %bb.2550:                             ;   in Loop: Header=BB388_1330 Depth=1
	v_bfe_u32 v14, v6, 16, 1
	v_add3_u32 v16, v6, v14, s36
                                        ; implicit-def: $vgpr6
; %bb.2551:                             ;   in Loop: Header=BB388_1330 Depth=1
	s_andn2_saveexec_b64 s[28:29], s[8:9]
; %bb.2552:                             ;   in Loop: Header=BB388_1330 Depth=1
	v_or_b32_e32 v14, 0x10000, v6
	v_cmp_eq_u32_sdwa s[8:9], v6, v31 src0_sel:WORD_0 src1_sel:DWORD
	v_cndmask_b32_e64 v16, v14, v6, s[8:9]
; %bb.2553:                             ;   in Loop: Header=BB388_1330 Depth=1
	s_or_b64 exec, exec, s[28:29]
	v_lshrrev_b16_e32 v6, 8, v30
	v_cmp_ne_u16_e64 s[8:9], 0, v6
	v_mov_b32_e32 v14, 0
	s_and_saveexec_b64 s[28:29], s[8:9]
	s_cbranch_execz .LBB388_2559
; %bb.2554:                             ;   in Loop: Header=BB388_1330 Depth=1
	v_cmp_ne_u16_e64 s[8:9], s37, v6
	v_bfrev_b32_e32 v14, 1
	s_and_saveexec_b64 s[30:31], s[8:9]
	s_cbranch_execz .LBB388_2558
; %bb.2555:                             ;   in Loop: Header=BB388_1330 Depth=1
	v_and_b32_e32 v15, 0x7f, v6
	v_cmp_ne_u32_e64 s[8:9], s38, v15
	v_mov_b32_e32 v14, 0x7f800001
	s_and_saveexec_b64 s[34:35], s[8:9]
	s_cbranch_execz .LBB388_2557
; %bb.2556:                             ;   in Loop: Header=BB388_1330 Depth=1
	v_and_b32_e32 v17, 7, v6
	v_ffbh_u32_e32 v14, v17
	v_min_u32_e32 v19, 32, v14
	v_subrev_u32_e32 v14, 28, v19
	v_lshrrev_b32_e32 v18, 3, v15
	v_cmp_gt_u32_e64 s[8:9], 8, v15
	v_lshlrev_b64 v[14:15], v14, v[6:7]
	v_sub_u32_e32 v6, 29, v19
	v_and_b32_e32 v14, 7, v14
	v_cndmask_b32_e64 v6, v18, v6, s[8:9]
	v_cndmask_b32_e64 v14, v17, v14, s[8:9]
	v_lshlrev_b32_e32 v15, 16, v30
	v_lshlrev_b32_e32 v14, 20, v14
	v_and_b32_e32 v15, 0x80000000, v15
	v_lshl_add_u32 v6, v6, 23, v61
	v_or3_b32 v14, v15, v6, v14
.LBB388_2557:                           ;   in Loop: Header=BB388_1330 Depth=1
	s_or_b64 exec, exec, s[34:35]
.LBB388_2558:                           ;   in Loop: Header=BB388_1330 Depth=1
	s_or_b64 exec, exec, s[30:31]
.LBB388_2559:                           ;   in Loop: Header=BB388_1330 Depth=1
	s_or_b64 exec, exec, s[28:29]
	v_mul_f32_e32 v6, v9, v14
	v_and_b32_e32 v14, 0x7f800000, v6
	v_cmp_ne_u32_e64 s[8:9], s15, v14
                                        ; implicit-def: $vgpr17
	s_and_saveexec_b64 s[28:29], s[8:9]
	s_xor_b64 s[8:9], exec, s[28:29]
; %bb.2560:                             ;   in Loop: Header=BB388_1330 Depth=1
	v_bfe_u32 v14, v6, 16, 1
	v_add3_u32 v17, v6, v14, s36
                                        ; implicit-def: $vgpr6
; %bb.2561:                             ;   in Loop: Header=BB388_1330 Depth=1
	s_andn2_saveexec_b64 s[28:29], s[8:9]
; %bb.2562:                             ;   in Loop: Header=BB388_1330 Depth=1
	v_or_b32_e32 v14, 0x10000, v6
	v_cmp_eq_u32_sdwa s[8:9], v6, v31 src0_sel:WORD_0 src1_sel:DWORD
	v_cndmask_b32_e64 v17, v14, v6, s[8:9]
; %bb.2563:                             ;   in Loop: Header=BB388_1330 Depth=1
	s_or_b64 exec, exec, s[28:29]
	v_lshrrev_b32_e32 v6, 16, v3
	v_cmp_ne_u16_sdwa s[8:9], v6, v31 src0_sel:BYTE_0 src1_sel:DWORD
	v_mov_b32_e32 v14, 0
	s_and_saveexec_b64 s[28:29], s[8:9]
	s_cbranch_execz .LBB388_2569
; %bb.2564:                             ;   in Loop: Header=BB388_1330 Depth=1
	v_cmp_ne_u16_sdwa s[8:9], v6, s37 src0_sel:BYTE_0 src1_sel:DWORD
	v_bfrev_b32_e32 v14, 1
	s_and_saveexec_b64 s[30:31], s[8:9]
	s_cbranch_execz .LBB388_2568
; %bb.2565:                             ;   in Loop: Header=BB388_1330 Depth=1
	v_bfe_u32 v15, v3, 16, 7
	v_cmp_ne_u32_e64 s[8:9], s38, v15
	v_mov_b32_e32 v14, 0x7f800001
	s_and_saveexec_b64 s[34:35], s[8:9]
	s_cbranch_execz .LBB388_2567
; %bb.2566:                             ;   in Loop: Header=BB388_1330 Depth=1
	v_and_b32_e32 v18, 7, v6
	v_ffbh_u32_e32 v14, v18
	v_min_u32_e32 v20, 32, v14
	v_subrev_u32_e32 v14, 28, v20
	v_lshrrev_b32_e32 v19, 3, v15
	v_cmp_gt_u32_e64 s[8:9], 8, v15
	v_lshlrev_b64 v[14:15], v14, v[6:7]
	v_sub_u32_e32 v15, 29, v20
	v_and_b32_e32 v14, 7, v14
	v_cndmask_b32_e64 v15, v19, v15, s[8:9]
	v_cndmask_b32_e64 v14, v18, v14, s[8:9]
	v_lshlrev_b32_e32 v6, 24, v6
	v_lshlrev_b32_e32 v14, 20, v14
	v_and_b32_e32 v6, 0x80000000, v6
	v_lshl_add_u32 v15, v15, 23, v61
	v_or3_b32 v14, v6, v15, v14
.LBB388_2567:                           ;   in Loop: Header=BB388_1330 Depth=1
	s_or_b64 exec, exec, s[34:35]
.LBB388_2568:                           ;   in Loop: Header=BB388_1330 Depth=1
	s_or_b64 exec, exec, s[30:31]
.LBB388_2569:                           ;   in Loop: Header=BB388_1330 Depth=1
	s_or_b64 exec, exec, s[28:29]
	v_mul_f32_e32 v6, v9, v14
	v_and_b32_e32 v14, 0x7f800000, v6
	v_cmp_ne_u32_e64 s[8:9], s15, v14
                                        ; implicit-def: $vgpr15
	s_and_saveexec_b64 s[28:29], s[8:9]
	s_xor_b64 s[8:9], exec, s[28:29]
; %bb.2570:                             ;   in Loop: Header=BB388_1330 Depth=1
	v_bfe_u32 v14, v6, 16, 1
	v_add3_u32 v15, v6, v14, s36
                                        ; implicit-def: $vgpr6
; %bb.2571:                             ;   in Loop: Header=BB388_1330 Depth=1
	s_andn2_saveexec_b64 s[28:29], s[8:9]
; %bb.2572:                             ;   in Loop: Header=BB388_1330 Depth=1
	v_or_b32_e32 v14, 0x10000, v6
	v_cmp_eq_u32_sdwa s[8:9], v6, v31 src0_sel:WORD_0 src1_sel:DWORD
	v_cndmask_b32_e64 v15, v14, v6, s[8:9]
; %bb.2573:                             ;   in Loop: Header=BB388_1330 Depth=1
	s_or_b64 exec, exec, s[28:29]
	v_cmp_lt_u64_e64 s[8:9], s[16:17], v[2:3]
	v_mov_b32_e32 v6, 0
	s_and_saveexec_b64 s[28:29], s[8:9]
	s_cbranch_execz .LBB388_2579
; %bb.2574:                             ;   in Loop: Header=BB388_1330 Depth=1
	v_lshrrev_b32_e32 v2, 24, v3
	v_cmp_ne_u32_e64 s[8:9], s37, v2
	v_bfrev_b32_e32 v6, 1
	s_and_saveexec_b64 s[30:31], s[8:9]
	s_cbranch_execz .LBB388_2578
; %bb.2575:                             ;   in Loop: Header=BB388_1330 Depth=1
	v_bfe_u32 v3, v3, 24, 7
	v_cmp_ne_u32_e64 s[8:9], s38, v3
	v_mov_b32_e32 v6, 0x7f800001
	s_and_saveexec_b64 s[34:35], s[8:9]
	s_cbranch_execz .LBB388_2577
; %bb.2576:                             ;   in Loop: Header=BB388_1330 Depth=1
	v_and_b32_e32 v6, 7, v2
	v_lshrrev_b32_e32 v14, 3, v3
	v_cmp_gt_u32_e64 s[8:9], 8, v3
	v_ffbh_u32_e32 v3, v6
	v_min_u32_e32 v3, 32, v3
	v_subrev_u32_e32 v18, 28, v3
	v_lshlrev_b64 v[18:19], v18, v[2:3]
	v_sub_u32_e32 v3, 29, v3
	v_and_b32_e32 v18, 7, v18
	v_cndmask_b32_e64 v3, v14, v3, s[8:9]
	v_cndmask_b32_e64 v6, v6, v18, s[8:9]
	v_lshlrev_b32_e32 v2, 24, v2
	v_lshlrev_b32_e32 v6, 20, v6
	v_and_b32_e32 v2, 0x80000000, v2
	v_lshl_add_u32 v3, v3, 23, v61
	v_or3_b32 v6, v2, v3, v6
.LBB388_2577:                           ;   in Loop: Header=BB388_1330 Depth=1
	s_or_b64 exec, exec, s[34:35]
.LBB388_2578:                           ;   in Loop: Header=BB388_1330 Depth=1
	s_or_b64 exec, exec, s[30:31]
.LBB388_2579:                           ;   in Loop: Header=BB388_1330 Depth=1
	s_or_b64 exec, exec, s[28:29]
	v_mul_f32_e32 v3, v9, v6
	v_and_b32_e32 v2, 0x7f800000, v3
	v_cmp_ne_u32_e64 s[8:9], s15, v2
                                        ; implicit-def: $vgpr2
	s_and_saveexec_b64 s[28:29], s[8:9]
	s_xor_b64 s[8:9], exec, s[28:29]
; %bb.2580:                             ;   in Loop: Header=BB388_1330 Depth=1
	v_bfe_u32 v2, v3, 16, 1
	v_add3_u32 v2, v3, v2, s36
                                        ; implicit-def: $vgpr3
; %bb.2581:                             ;   in Loop: Header=BB388_1330 Depth=1
	s_andn2_saveexec_b64 s[28:29], s[8:9]
; %bb.2582:                             ;   in Loop: Header=BB388_1330 Depth=1
	v_or_b32_e32 v2, 0x10000, v3
	v_cmp_eq_u32_sdwa s[8:9], v3, v31 src0_sel:WORD_0 src1_sel:DWORD
	v_cndmask_b32_e64 v2, v2, v3, s[8:9]
; %bb.2583:                             ;   in Loop: Header=BB388_1330 Depth=1
	s_or_b64 exec, exec, s[28:29]
	v_lshrrev_b32_e32 v6, 16, v17
	v_lshrrev_b32_e32 v14, 16, v16
	;; [unrolled: 1-line block ×8, first 2 shown]
	s_and_saveexec_b64 s[28:29], vcc
	s_cbranch_execz .LBB388_2585
; %bb.2584:                             ;   in Loop: Header=BB388_1330 Depth=1
	buffer_load_dword v15, off, s[0:3], s32 offset:196 ; 4-byte Folded Reload
	v_accvgpr_read_b32 v16, a18
	s_waitcnt vmcnt(0)
	v_cmp_lt_i32_e64 s[8:9], v40, v15
	v_cndmask_b32_e64 v7, 0, v7, s[8:9]
	v_cmp_lt_i32_e64 s[8:9], v16, v15
	v_accvgpr_read_b32 v16, a63
	v_cndmask_b32_e64 v8, 0, v8, s[8:9]
	v_cmp_lt_i32_e64 s[8:9], v16, v15
	v_accvgpr_read_b32 v16, a62
	;; [unrolled: 3-line block ×5, first 2 shown]
	v_cndmask_b32_e64 v6, 0, v6, s[8:9]
	v_cmp_lt_i32_e64 s[8:9], v16, v15
	v_cndmask_b32_e64 v3, 0, v3, s[8:9]
	v_cmp_lt_i32_e64 s[8:9], v50, v15
	v_cndmask_b32_e64 v2, 0, v2, s[8:9]
.LBB388_2585:                           ;   in Loop: Header=BB388_1330 Depth=1
	s_or_b64 exec, exec, s[28:29]
	v_lshlrev_b32_e32 v7, 16, v7
	v_mul_f32_e32 v7, v27, v7
	v_and_b32_e32 v15, 0x7f800000, v7
	v_cmp_ne_u32_e64 s[8:9], s15, v15
                                        ; implicit-def: $agpr52
	s_and_saveexec_b64 s[28:29], s[8:9]
	s_xor_b64 s[8:9], exec, s[28:29]
; %bb.2586:                             ;   in Loop: Header=BB388_1330 Depth=1
	v_bfe_u32 v15, v7, 16, 1
	v_add3_u32 v7, v7, v15, s36
	v_accvgpr_write_b32 a52, v7
                                        ; implicit-def: $vgpr7
; %bb.2587:                             ;   in Loop: Header=BB388_1330 Depth=1
	s_andn2_saveexec_b64 s[28:29], s[8:9]
; %bb.2588:                             ;   in Loop: Header=BB388_1330 Depth=1
	v_or_b32_e32 v15, 0x10000, v7
	v_cmp_eq_u32_sdwa s[8:9], v7, v31 src0_sel:WORD_0 src1_sel:DWORD
	v_cndmask_b32_e64 v7, v15, v7, s[8:9]
	v_accvgpr_write_b32 a52, v7
; %bb.2589:                             ;   in Loop: Header=BB388_1330 Depth=1
	s_or_b64 exec, exec, s[28:29]
	v_lshlrev_b32_e32 v7, 16, v8
	v_mul_f32_e32 v7, v23, v7
	v_and_b32_e32 v8, 0x7f800000, v7
	v_cmp_ne_u32_e64 s[8:9], s15, v8
                                        ; implicit-def: $agpr40
	s_and_saveexec_b64 s[28:29], s[8:9]
	s_xor_b64 s[8:9], exec, s[28:29]
; %bb.2590:                             ;   in Loop: Header=BB388_1330 Depth=1
	v_bfe_u32 v8, v7, 16, 1
	v_add3_u32 v7, v7, v8, s36
	v_accvgpr_write_b32 a40, v7
                                        ; implicit-def: $vgpr7
; %bb.2591:                             ;   in Loop: Header=BB388_1330 Depth=1
	s_andn2_saveexec_b64 s[28:29], s[8:9]
; %bb.2592:                             ;   in Loop: Header=BB388_1330 Depth=1
	v_or_b32_e32 v8, 0x10000, v7
	v_cmp_eq_u32_sdwa s[8:9], v7, v31 src0_sel:WORD_0 src1_sel:DWORD
	v_cndmask_b32_e64 v7, v8, v7, s[8:9]
	v_accvgpr_write_b32 a40, v7
; %bb.2593:                             ;   in Loop: Header=BB388_1330 Depth=1
	s_or_b64 exec, exec, s[28:29]
	v_lshlrev_b32_e32 v7, 16, v12
	v_mul_f32_e32 v7, v55, v7
	v_and_b32_e32 v8, 0x7f800000, v7
	v_cmp_ne_u32_e64 s[8:9], s15, v8
                                        ; implicit-def: $agpr54
	s_and_saveexec_b64 s[28:29], s[8:9]
	s_xor_b64 s[8:9], exec, s[28:29]
; %bb.2594:                             ;   in Loop: Header=BB388_1330 Depth=1
	v_bfe_u32 v8, v7, 16, 1
	v_add3_u32 v7, v7, v8, s36
	v_accvgpr_write_b32 a54, v7
                                        ; implicit-def: $vgpr7
; %bb.2595:                             ;   in Loop: Header=BB388_1330 Depth=1
	s_andn2_saveexec_b64 s[28:29], s[8:9]
; %bb.2596:                             ;   in Loop: Header=BB388_1330 Depth=1
	v_or_b32_e32 v8, 0x10000, v7
	v_cmp_eq_u32_sdwa s[8:9], v7, v31 src0_sel:WORD_0 src1_sel:DWORD
	v_cndmask_b32_e64 v7, v8, v7, s[8:9]
	v_accvgpr_write_b32 a54, v7
; %bb.2597:                             ;   in Loop: Header=BB388_1330 Depth=1
	s_or_b64 exec, exec, s[28:29]
	v_lshlrev_b32_e32 v7, 16, v13
	v_mul_f32_e32 v7, v48, v7
	v_and_b32_e32 v8, 0x7f800000, v7
	v_cmp_ne_u32_e64 s[8:9], s15, v8
                                        ; implicit-def: $agpr56
	s_and_saveexec_b64 s[28:29], s[8:9]
	s_xor_b64 s[8:9], exec, s[28:29]
; %bb.2598:                             ;   in Loop: Header=BB388_1330 Depth=1
	v_bfe_u32 v8, v7, 16, 1
	v_add3_u32 v7, v7, v8, s36
	v_accvgpr_write_b32 a56, v7
                                        ; implicit-def: $vgpr7
; %bb.2599:                             ;   in Loop: Header=BB388_1330 Depth=1
	s_andn2_saveexec_b64 s[28:29], s[8:9]
; %bb.2600:                             ;   in Loop: Header=BB388_1330 Depth=1
	v_or_b32_e32 v8, 0x10000, v7
	v_cmp_eq_u32_sdwa s[8:9], v7, v31 src0_sel:WORD_0 src1_sel:DWORD
	v_cndmask_b32_e64 v7, v8, v7, s[8:9]
	v_accvgpr_write_b32 a56, v7
; %bb.2601:                             ;   in Loop: Header=BB388_1330 Depth=1
	s_or_b64 exec, exec, s[28:29]
	v_lshlrev_b32_e32 v7, 16, v14
	v_mul_f32_e32 v7, v62, v7
	v_and_b32_e32 v8, 0x7f800000, v7
	v_cmp_ne_u32_e64 s[8:9], s15, v8
                                        ; implicit-def: $agpr8
	s_and_saveexec_b64 s[28:29], s[8:9]
	s_xor_b64 s[8:9], exec, s[28:29]
; %bb.2602:                             ;   in Loop: Header=BB388_1330 Depth=1
	v_bfe_u32 v8, v7, 16, 1
	v_add3_u32 v7, v7, v8, s36
	v_accvgpr_write_b32 a8, v7
                                        ; implicit-def: $vgpr7
; %bb.2603:                             ;   in Loop: Header=BB388_1330 Depth=1
	s_andn2_saveexec_b64 s[28:29], s[8:9]
; %bb.2604:                             ;   in Loop: Header=BB388_1330 Depth=1
	v_or_b32_e32 v8, 0x10000, v7
	v_cmp_eq_u32_sdwa s[8:9], v7, v31 src0_sel:WORD_0 src1_sel:DWORD
	v_cndmask_b32_e64 v7, v8, v7, s[8:9]
	v_accvgpr_write_b32 a8, v7
; %bb.2605:                             ;   in Loop: Header=BB388_1330 Depth=1
	s_or_b64 exec, exec, s[28:29]
	v_lshlrev_b32_e32 v6, 16, v6
	v_mul_f32_e32 v6, v5, v6
	v_and_b32_e32 v7, 0x7f800000, v6
	v_cmp_ne_u32_e64 s[8:9], s15, v7
                                        ; implicit-def: $agpr14
	s_and_saveexec_b64 s[28:29], s[8:9]
	s_xor_b64 s[8:9], exec, s[28:29]
; %bb.2606:                             ;   in Loop: Header=BB388_1330 Depth=1
	v_bfe_u32 v7, v6, 16, 1
	v_add3_u32 v6, v6, v7, s36
	v_accvgpr_write_b32 a14, v6
                                        ; implicit-def: $vgpr6
; %bb.2607:                             ;   in Loop: Header=BB388_1330 Depth=1
	s_andn2_saveexec_b64 s[28:29], s[8:9]
; %bb.2608:                             ;   in Loop: Header=BB388_1330 Depth=1
	v_or_b32_e32 v7, 0x10000, v6
	v_cmp_eq_u32_sdwa s[8:9], v6, v31 src0_sel:WORD_0 src1_sel:DWORD
	v_cndmask_b32_e64 v6, v7, v6, s[8:9]
	v_accvgpr_write_b32 a14, v6
; %bb.2609:                             ;   in Loop: Header=BB388_1330 Depth=1
	s_or_b64 exec, exec, s[28:29]
	v_lshlrev_b32_e32 v3, 16, v3
	v_mul_f32_e32 v3, v10, v3
	v_and_b32_e32 v6, 0x7f800000, v3
	v_cmp_ne_u32_e64 s[8:9], s15, v6
                                        ; implicit-def: $vgpr20
	s_and_saveexec_b64 s[28:29], s[8:9]
	s_xor_b64 s[8:9], exec, s[28:29]
; %bb.2610:                             ;   in Loop: Header=BB388_1330 Depth=1
	v_bfe_u32 v6, v3, 16, 1
	v_add3_u32 v20, v3, v6, s36
                                        ; implicit-def: $vgpr3
; %bb.2611:                             ;   in Loop: Header=BB388_1330 Depth=1
	s_andn2_saveexec_b64 s[28:29], s[8:9]
; %bb.2612:                             ;   in Loop: Header=BB388_1330 Depth=1
	v_or_b32_e32 v6, 0x10000, v3
	v_cmp_eq_u32_sdwa s[8:9], v3, v31 src0_sel:WORD_0 src1_sel:DWORD
	v_cndmask_b32_e64 v20, v6, v3, s[8:9]
; %bb.2613:                             ;   in Loop: Header=BB388_1330 Depth=1
	s_or_b64 exec, exec, s[28:29]
	v_lshlrev_b32_e32 v2, 16, v2
	v_mul_f32_e32 v2, v11, v2
	v_and_b32_e32 v3, 0x7f800000, v2
	v_cmp_ne_u32_e64 s[8:9], s15, v3
                                        ; implicit-def: $vgpr14
	s_and_saveexec_b64 s[28:29], s[8:9]
	s_xor_b64 s[8:9], exec, s[28:29]
; %bb.2614:                             ;   in Loop: Header=BB388_1330 Depth=1
	v_bfe_u32 v3, v2, 16, 1
	v_add3_u32 v14, v2, v3, s36
                                        ; implicit-def: $vgpr2
; %bb.2615:                             ;   in Loop: Header=BB388_1330 Depth=1
	s_andn2_saveexec_b64 s[28:29], s[8:9]
; %bb.2616:                             ;   in Loop: Header=BB388_1330 Depth=1
	v_or_b32_e32 v3, 0x10000, v2
	v_cmp_eq_u32_sdwa s[8:9], v2, v31 src0_sel:WORD_0 src1_sel:DWORD
	v_cndmask_b32_e64 v14, v3, v2, s[8:9]
; %bb.2617:                             ;   in Loop: Header=BB388_1330 Depth=1
	s_or_b64 exec, exec, s[28:29]
	buffer_load_dword v2, off, s[0:3], s32 offset:536 ; 4-byte Folded Reload
	buffer_load_dword v3, off, s[0:3], s32 offset:540 ; 4-byte Folded Reload
	v_mov_b32_e32 v6, 0
	s_waitcnt vmcnt(1)
	v_add_co_u32_e64 v2, s[8:9], v0, v2
	s_waitcnt vmcnt(0)
	v_addc_co_u32_e64 v3, s[8:9], 0, v1, s[8:9]
	flat_load_dwordx2 v[2:3], v[2:3]
	s_waitcnt vmcnt(0) lgkmcnt(0)
	v_cmp_ne_u16_sdwa s[8:9], v2, v31 src0_sel:BYTE_0 src1_sel:DWORD
	s_and_saveexec_b64 s[28:29], s[8:9]
	s_cbranch_execz .LBB388_2623
; %bb.2618:                             ;   in Loop: Header=BB388_1330 Depth=1
	v_cmp_ne_u16_sdwa s[8:9], v2, s37 src0_sel:BYTE_0 src1_sel:DWORD
	v_bfrev_b32_e32 v6, 1
	s_and_saveexec_b64 s[30:31], s[8:9]
	s_cbranch_execz .LBB388_2622
; %bb.2619:                             ;   in Loop: Header=BB388_1330 Depth=1
	v_and_b32_e32 v7, 0x7f, v2
	v_cmp_ne_u32_e64 s[8:9], s38, v7
	v_mov_b32_e32 v6, 0x7f800001
	s_and_saveexec_b64 s[34:35], s[8:9]
	s_cbranch_execz .LBB388_2621
; %bb.2620:                             ;   in Loop: Header=BB388_1330 Depth=1
	v_and_b32_e32 v6, 7, v2
	v_ffbh_u32_e32 v6, v6
	v_min_u32_e32 v6, 32, v6
	v_lshrrev_b32_e32 v8, 3, v7
	v_cmp_gt_u32_e64 s[8:9], 8, v7
	v_subrev_u32_e32 v7, 28, v6
	v_sub_u32_e32 v6, 29, v6
	v_cndmask_b32_e64 v8, v8, v6, s[8:9]
	v_cndmask_b32_e64 v6, 0, v7, s[8:9]
	v_lshlrev_b64 v[6:7], v6, v[2:3]
	v_lshlrev_b32_e32 v6, 20, v6
	v_lshlrev_b32_e32 v7, 24, v2
	v_and_b32_e32 v6, 0x700000, v6
	v_and_b32_e32 v7, 0x80000000, v7
	v_lshl_add_u32 v8, v8, 23, v61
	v_or3_b32 v6, v7, v8, v6
.LBB388_2621:                           ;   in Loop: Header=BB388_1330 Depth=1
	s_or_b64 exec, exec, s[34:35]
.LBB388_2622:                           ;   in Loop: Header=BB388_1330 Depth=1
	s_or_b64 exec, exec, s[30:31]
.LBB388_2623:                           ;   in Loop: Header=BB388_1330 Depth=1
	s_or_b64 exec, exec, s[28:29]
	v_mul_f32_e32 v6, v9, v6
	v_and_b32_e32 v7, 0x7f800000, v6
	v_cmp_ne_u32_e64 s[8:9], s15, v7
                                        ; implicit-def: $vgpr7
	s_and_saveexec_b64 s[28:29], s[8:9]
	s_xor_b64 s[8:9], exec, s[28:29]
; %bb.2624:                             ;   in Loop: Header=BB388_1330 Depth=1
	v_bfe_u32 v7, v6, 16, 1
	v_add3_u32 v7, v6, v7, s36
                                        ; implicit-def: $vgpr6
; %bb.2625:                             ;   in Loop: Header=BB388_1330 Depth=1
	s_andn2_saveexec_b64 s[28:29], s[8:9]
; %bb.2626:                             ;   in Loop: Header=BB388_1330 Depth=1
	v_or_b32_e32 v7, 0x10000, v6
	v_cmp_eq_u32_sdwa s[8:9], v6, v31 src0_sel:WORD_0 src1_sel:DWORD
	v_cndmask_b32_e64 v7, v7, v6, s[8:9]
; %bb.2627:                             ;   in Loop: Header=BB388_1330 Depth=1
	s_or_b64 exec, exec, s[28:29]
	v_lshrrev_b16_e32 v6, 8, v2
	v_cmp_ne_u16_e64 s[8:9], 0, v6
	v_mov_b32_e32 v8, 0
	s_and_saveexec_b64 s[28:29], s[8:9]
	s_cbranch_execz .LBB388_2633
; %bb.2628:                             ;   in Loop: Header=BB388_1330 Depth=1
	v_cmp_ne_u16_e64 s[8:9], s37, v6
	v_bfrev_b32_e32 v8, 1
	s_and_saveexec_b64 s[30:31], s[8:9]
	s_cbranch_execz .LBB388_2632
; %bb.2629:                             ;   in Loop: Header=BB388_1330 Depth=1
	v_and_b32_e32 v13, 0x7f, v6
	v_cmp_ne_u32_e64 s[8:9], s38, v13
	v_mov_b32_e32 v8, 0x7f800001
	s_and_saveexec_b64 s[34:35], s[8:9]
	s_cbranch_execz .LBB388_2631
; %bb.2630:                             ;   in Loop: Header=BB388_1330 Depth=1
	v_and_b32_e32 v8, 7, v6
	v_lshrrev_b32_e32 v12, 3, v13
	v_cmp_gt_u32_e64 s[8:9], 8, v13
	v_ffbh_u32_e32 v13, v8
	v_min_u32_e32 v13, 32, v13
	v_subrev_u32_e32 v15, 28, v13
	v_lshlrev_b64 v[16:17], v15, v[6:7]
	v_sub_u32_e32 v6, 29, v13
	v_and_b32_e32 v13, 7, v16
	v_cndmask_b32_e64 v6, v12, v6, s[8:9]
	v_cndmask_b32_e64 v8, v8, v13, s[8:9]
	v_lshlrev_b32_e32 v12, 16, v2
	v_lshlrev_b32_e32 v8, 20, v8
	v_and_b32_e32 v12, 0x80000000, v12
	v_lshl_add_u32 v6, v6, 23, v61
	v_or3_b32 v8, v12, v6, v8
.LBB388_2631:                           ;   in Loop: Header=BB388_1330 Depth=1
	s_or_b64 exec, exec, s[34:35]
.LBB388_2632:                           ;   in Loop: Header=BB388_1330 Depth=1
	s_or_b64 exec, exec, s[30:31]
.LBB388_2633:                           ;   in Loop: Header=BB388_1330 Depth=1
	s_or_b64 exec, exec, s[28:29]
	v_mul_f32_e32 v6, v9, v8
	v_and_b32_e32 v8, 0x7f800000, v6
	v_cmp_ne_u32_e64 s[8:9], s15, v8
                                        ; implicit-def: $vgpr8
	s_and_saveexec_b64 s[28:29], s[8:9]
	s_xor_b64 s[8:9], exec, s[28:29]
; %bb.2634:                             ;   in Loop: Header=BB388_1330 Depth=1
	v_bfe_u32 v8, v6, 16, 1
	v_add3_u32 v8, v6, v8, s36
                                        ; implicit-def: $vgpr6
; %bb.2635:                             ;   in Loop: Header=BB388_1330 Depth=1
	s_andn2_saveexec_b64 s[28:29], s[8:9]
; %bb.2636:                             ;   in Loop: Header=BB388_1330 Depth=1
	v_or_b32_e32 v8, 0x10000, v6
	v_cmp_eq_u32_sdwa s[8:9], v6, v31 src0_sel:WORD_0 src1_sel:DWORD
	v_cndmask_b32_e64 v8, v8, v6, s[8:9]
; %bb.2637:                             ;   in Loop: Header=BB388_1330 Depth=1
	s_or_b64 exec, exec, s[28:29]
	v_lshrrev_b32_e32 v6, 16, v2
	v_cmp_ne_u16_sdwa s[8:9], v6, v31 src0_sel:BYTE_0 src1_sel:DWORD
	v_mov_b32_e32 v13, 0
	s_and_saveexec_b64 s[28:29], s[8:9]
	s_cbranch_execz .LBB388_2643
; %bb.2638:                             ;   in Loop: Header=BB388_1330 Depth=1
	v_cmp_ne_u16_sdwa s[8:9], v6, s37 src0_sel:BYTE_0 src1_sel:DWORD
	v_bfrev_b32_e32 v13, 1
	s_and_saveexec_b64 s[30:31], s[8:9]
	s_cbranch_execz .LBB388_2642
; %bb.2639:                             ;   in Loop: Header=BB388_1330 Depth=1
	v_bfe_u32 v15, v2, 16, 7
	v_cmp_ne_u32_e64 s[8:9], s38, v15
	v_mov_b32_e32 v13, 0x7f800001
	s_and_saveexec_b64 s[34:35], s[8:9]
	s_cbranch_execz .LBB388_2641
; %bb.2640:                             ;   in Loop: Header=BB388_1330 Depth=1
	v_and_b32_e32 v12, 7, v6
	v_lshrrev_b32_e32 v13, 3, v15
	v_cmp_gt_u32_e64 s[8:9], 8, v15
	v_ffbh_u32_e32 v15, v12
	v_min_u32_e32 v15, 32, v15
	v_subrev_u32_e32 v16, 28, v15
	v_lshlrev_b64 v[16:17], v16, v[6:7]
	v_sub_u32_e32 v15, 29, v15
	v_and_b32_e32 v16, 7, v16
	v_cndmask_b32_e64 v13, v13, v15, s[8:9]
	v_cndmask_b32_e64 v12, v12, v16, s[8:9]
	v_lshlrev_b32_e32 v6, 24, v6
	v_lshlrev_b32_e32 v12, 20, v12
	v_and_b32_e32 v6, 0x80000000, v6
	v_lshl_add_u32 v13, v13, 23, v61
	v_or3_b32 v13, v6, v13, v12
.LBB388_2641:                           ;   in Loop: Header=BB388_1330 Depth=1
	s_or_b64 exec, exec, s[34:35]
.LBB388_2642:                           ;   in Loop: Header=BB388_1330 Depth=1
	s_or_b64 exec, exec, s[30:31]
.LBB388_2643:                           ;   in Loop: Header=BB388_1330 Depth=1
	s_or_b64 exec, exec, s[28:29]
	v_mul_f32_e32 v6, v9, v13
	v_and_b32_e32 v12, 0x7f800000, v6
	v_cmp_ne_u32_e64 s[8:9], s15, v12
                                        ; implicit-def: $vgpr13
	s_and_saveexec_b64 s[28:29], s[8:9]
	s_xor_b64 s[8:9], exec, s[28:29]
; %bb.2644:                             ;   in Loop: Header=BB388_1330 Depth=1
	v_bfe_u32 v12, v6, 16, 1
	v_add3_u32 v13, v6, v12, s36
                                        ; implicit-def: $vgpr6
; %bb.2645:                             ;   in Loop: Header=BB388_1330 Depth=1
	s_andn2_saveexec_b64 s[28:29], s[8:9]
; %bb.2646:                             ;   in Loop: Header=BB388_1330 Depth=1
	v_or_b32_e32 v12, 0x10000, v6
	v_cmp_eq_u32_sdwa s[8:9], v6, v31 src0_sel:WORD_0 src1_sel:DWORD
	v_cndmask_b32_e64 v13, v12, v6, s[8:9]
; %bb.2647:                             ;   in Loop: Header=BB388_1330 Depth=1
	s_or_b64 exec, exec, s[28:29]
	v_cmp_lt_u32_e64 s[8:9], s17, v2
	v_mov_b32_e32 v15, 0
	s_and_saveexec_b64 s[28:29], s[8:9]
	s_cbranch_execz .LBB388_2653
; %bb.2648:                             ;   in Loop: Header=BB388_1330 Depth=1
	v_lshrrev_b32_e32 v6, 24, v2
	v_cmp_ne_u32_e64 s[8:9], s37, v6
	v_bfrev_b32_e32 v15, 1
	s_and_saveexec_b64 s[30:31], s[8:9]
	s_cbranch_execz .LBB388_2652
; %bb.2649:                             ;   in Loop: Header=BB388_1330 Depth=1
	v_bfe_u32 v16, v2, 24, 7
	v_cmp_ne_u32_e64 s[8:9], s38, v16
	v_mov_b32_e32 v15, 0x7f800001
	s_and_saveexec_b64 s[34:35], s[8:9]
	s_cbranch_execz .LBB388_2651
; %bb.2650:                             ;   in Loop: Header=BB388_1330 Depth=1
	v_and_b32_e32 v12, 7, v6
	v_lshrrev_b32_e32 v15, 3, v16
	v_cmp_gt_u32_e64 s[8:9], 8, v16
	v_ffbh_u32_e32 v16, v12
	v_min_u32_e32 v18, 32, v16
	v_subrev_u32_e32 v16, 28, v18
	v_lshlrev_b64 v[16:17], v16, v[6:7]
	v_sub_u32_e32 v17, 29, v18
	v_and_b32_e32 v16, 7, v16
	v_cndmask_b32_e64 v15, v15, v17, s[8:9]
	v_cndmask_b32_e64 v12, v12, v16, s[8:9]
	v_lshlrev_b32_e32 v6, 24, v6
	v_lshlrev_b32_e32 v12, 20, v12
	v_and_b32_e32 v6, 0x80000000, v6
	v_lshl_add_u32 v15, v15, 23, v61
	v_or3_b32 v15, v6, v15, v12
.LBB388_2651:                           ;   in Loop: Header=BB388_1330 Depth=1
	s_or_b64 exec, exec, s[34:35]
.LBB388_2652:                           ;   in Loop: Header=BB388_1330 Depth=1
	s_or_b64 exec, exec, s[30:31]
.LBB388_2653:                           ;   in Loop: Header=BB388_1330 Depth=1
	s_or_b64 exec, exec, s[28:29]
	v_mul_f32_e32 v6, v9, v15
	v_and_b32_e32 v12, 0x7f800000, v6
	v_cmp_ne_u32_e64 s[8:9], s15, v12
                                        ; implicit-def: $vgpr16
	s_and_saveexec_b64 s[28:29], s[8:9]
	s_xor_b64 s[8:9], exec, s[28:29]
; %bb.2654:                             ;   in Loop: Header=BB388_1330 Depth=1
	v_bfe_u32 v12, v6, 16, 1
	v_add3_u32 v16, v6, v12, s36
                                        ; implicit-def: $vgpr6
; %bb.2655:                             ;   in Loop: Header=BB388_1330 Depth=1
	s_andn2_saveexec_b64 s[28:29], s[8:9]
; %bb.2656:                             ;   in Loop: Header=BB388_1330 Depth=1
	v_or_b32_e32 v12, 0x10000, v6
	v_cmp_eq_u32_sdwa s[8:9], v6, v31 src0_sel:WORD_0 src1_sel:DWORD
	v_cndmask_b32_e64 v16, v12, v6, s[8:9]
; %bb.2657:                             ;   in Loop: Header=BB388_1330 Depth=1
	s_or_b64 exec, exec, s[28:29]
	v_mov_b32_e32 v30, v3
	v_cmp_ne_u16_sdwa s[8:9], v3, v31 src0_sel:BYTE_0 src1_sel:DWORD
	v_mov_b32_e32 v6, 0
	s_and_saveexec_b64 s[28:29], s[8:9]
	s_cbranch_execz .LBB388_2663
; %bb.2658:                             ;   in Loop: Header=BB388_1330 Depth=1
	v_cmp_ne_u16_sdwa s[8:9], v3, s37 src0_sel:BYTE_0 src1_sel:DWORD
	v_bfrev_b32_e32 v6, 1
	s_and_saveexec_b64 s[30:31], s[8:9]
	s_cbranch_execz .LBB388_2662
; %bb.2659:                             ;   in Loop: Header=BB388_1330 Depth=1
	v_and_b32_e32 v15, 0x7f, v3
	v_cmp_ne_u32_e64 s[8:9], s38, v15
	v_mov_b32_e32 v6, 0x7f800001
	s_and_saveexec_b64 s[34:35], s[8:9]
	s_cbranch_execz .LBB388_2661
; %bb.2660:                             ;   in Loop: Header=BB388_1330 Depth=1
	v_and_b32_e32 v6, 7, v3
	v_ffbh_u32_e32 v6, v6
	v_min_u32_e32 v6, 32, v6
	v_lshrrev_b32_e32 v12, 3, v15
	v_cmp_gt_u32_e64 s[8:9], 8, v15
	v_subrev_u32_e32 v15, 28, v6
	v_sub_u32_e32 v6, 29, v6
	v_cndmask_b32_e64 v6, v12, v6, s[8:9]
	v_cndmask_b32_e64 v12, 0, v15, s[8:9]
	v_lshlrev_b64 v[18:19], v12, v[30:31]
	v_lshlrev_b32_e32 v12, 20, v18
	v_lshlrev_b32_e32 v15, 24, v30
	v_and_b32_e32 v12, 0x700000, v12
	v_and_b32_e32 v15, 0x80000000, v15
	v_lshl_add_u32 v6, v6, 23, v61
	v_or3_b32 v6, v15, v6, v12
.LBB388_2661:                           ;   in Loop: Header=BB388_1330 Depth=1
	s_or_b64 exec, exec, s[34:35]
.LBB388_2662:                           ;   in Loop: Header=BB388_1330 Depth=1
	s_or_b64 exec, exec, s[30:31]
.LBB388_2663:                           ;   in Loop: Header=BB388_1330 Depth=1
	s_or_b64 exec, exec, s[28:29]
	v_mul_f32_e32 v6, v9, v6
	v_and_b32_e32 v12, 0x7f800000, v6
	v_cmp_ne_u32_e64 s[8:9], s15, v12
                                        ; implicit-def: $vgpr17
	s_and_saveexec_b64 s[28:29], s[8:9]
	s_xor_b64 s[8:9], exec, s[28:29]
; %bb.2664:                             ;   in Loop: Header=BB388_1330 Depth=1
	v_bfe_u32 v12, v6, 16, 1
	v_add3_u32 v17, v6, v12, s36
                                        ; implicit-def: $vgpr6
; %bb.2665:                             ;   in Loop: Header=BB388_1330 Depth=1
	s_andn2_saveexec_b64 s[28:29], s[8:9]
; %bb.2666:                             ;   in Loop: Header=BB388_1330 Depth=1
	v_or_b32_e32 v12, 0x10000, v6
	v_cmp_eq_u32_sdwa s[8:9], v6, v31 src0_sel:WORD_0 src1_sel:DWORD
	v_cndmask_b32_e64 v17, v12, v6, s[8:9]
; %bb.2667:                             ;   in Loop: Header=BB388_1330 Depth=1
	s_or_b64 exec, exec, s[28:29]
	v_lshrrev_b16_e32 v6, 8, v30
	v_cmp_ne_u16_e64 s[8:9], 0, v6
	v_mov_b32_e32 v15, 0
	s_and_saveexec_b64 s[28:29], s[8:9]
	s_cbranch_execz .LBB388_2673
; %bb.2668:                             ;   in Loop: Header=BB388_1330 Depth=1
	v_cmp_ne_u16_e64 s[8:9], s37, v6
	v_bfrev_b32_e32 v15, 1
	s_and_saveexec_b64 s[30:31], s[8:9]
	s_cbranch_execz .LBB388_2672
; %bb.2669:                             ;   in Loop: Header=BB388_1330 Depth=1
	v_and_b32_e32 v18, 0x7f, v6
	v_cmp_ne_u32_e64 s[8:9], s38, v18
	v_mov_b32_e32 v15, 0x7f800001
	s_and_saveexec_b64 s[34:35], s[8:9]
	s_cbranch_execz .LBB388_2671
; %bb.2670:                             ;   in Loop: Header=BB388_1330 Depth=1
	v_and_b32_e32 v12, 7, v6
	v_lshrrev_b32_e32 v15, 3, v18
	v_cmp_gt_u32_e64 s[8:9], 8, v18
	v_ffbh_u32_e32 v18, v12
	v_min_u32_e32 v21, 32, v18
	v_subrev_u32_e32 v18, 28, v21
	v_lshlrev_b64 v[18:19], v18, v[6:7]
	v_sub_u32_e32 v6, 29, v21
	v_and_b32_e32 v18, 7, v18
	v_cndmask_b32_e64 v6, v15, v6, s[8:9]
	v_cndmask_b32_e64 v12, v12, v18, s[8:9]
	v_lshlrev_b32_e32 v15, 16, v30
	v_lshlrev_b32_e32 v12, 20, v12
	v_and_b32_e32 v15, 0x80000000, v15
	v_lshl_add_u32 v6, v6, 23, v61
	v_or3_b32 v15, v15, v6, v12
.LBB388_2671:                           ;   in Loop: Header=BB388_1330 Depth=1
	s_or_b64 exec, exec, s[34:35]
.LBB388_2672:                           ;   in Loop: Header=BB388_1330 Depth=1
	s_or_b64 exec, exec, s[30:31]
.LBB388_2673:                           ;   in Loop: Header=BB388_1330 Depth=1
	s_or_b64 exec, exec, s[28:29]
	v_mul_f32_e32 v6, v9, v15
	v_and_b32_e32 v12, 0x7f800000, v6
	v_cmp_ne_u32_e64 s[8:9], s15, v12
                                        ; implicit-def: $vgpr18
	s_and_saveexec_b64 s[28:29], s[8:9]
	s_xor_b64 s[8:9], exec, s[28:29]
; %bb.2674:                             ;   in Loop: Header=BB388_1330 Depth=1
	v_bfe_u32 v12, v6, 16, 1
	v_add3_u32 v18, v6, v12, s36
                                        ; implicit-def: $vgpr6
; %bb.2675:                             ;   in Loop: Header=BB388_1330 Depth=1
	s_andn2_saveexec_b64 s[28:29], s[8:9]
; %bb.2676:                             ;   in Loop: Header=BB388_1330 Depth=1
	v_or_b32_e32 v12, 0x10000, v6
	v_cmp_eq_u32_sdwa s[8:9], v6, v31 src0_sel:WORD_0 src1_sel:DWORD
	v_cndmask_b32_e64 v18, v12, v6, s[8:9]
; %bb.2677:                             ;   in Loop: Header=BB388_1330 Depth=1
	s_or_b64 exec, exec, s[28:29]
	v_lshrrev_b32_e32 v6, 16, v3
	v_cmp_ne_u16_sdwa s[8:9], v6, v31 src0_sel:BYTE_0 src1_sel:DWORD
	v_mov_b32_e32 v15, 0
	s_and_saveexec_b64 s[28:29], s[8:9]
	s_cbranch_execz .LBB388_2683
; %bb.2678:                             ;   in Loop: Header=BB388_1330 Depth=1
	v_cmp_ne_u16_sdwa s[8:9], v6, s37 src0_sel:BYTE_0 src1_sel:DWORD
	v_bfrev_b32_e32 v15, 1
	s_and_saveexec_b64 s[30:31], s[8:9]
	s_cbranch_execz .LBB388_2682
; %bb.2679:                             ;   in Loop: Header=BB388_1330 Depth=1
	v_bfe_u32 v19, v3, 16, 7
	v_cmp_ne_u32_e64 s[8:9], s38, v19
	v_mov_b32_e32 v15, 0x7f800001
	s_and_saveexec_b64 s[34:35], s[8:9]
	s_cbranch_execz .LBB388_2681
; %bb.2680:                             ;   in Loop: Header=BB388_1330 Depth=1
	v_and_b32_e32 v12, 7, v6
	v_lshrrev_b32_e32 v15, 3, v19
	v_cmp_gt_u32_e64 s[8:9], 8, v19
	v_ffbh_u32_e32 v19, v12
	v_min_u32_e32 v19, 32, v19
	v_subrev_u32_e32 v21, 28, v19
	v_lshlrev_b64 v[24:25], v21, v[6:7]
	v_sub_u32_e32 v19, 29, v19
	v_and_b32_e32 v21, 7, v24
	v_cndmask_b32_e64 v15, v15, v19, s[8:9]
	v_cndmask_b32_e64 v12, v12, v21, s[8:9]
	v_lshlrev_b32_e32 v6, 24, v6
	v_lshlrev_b32_e32 v12, 20, v12
	v_and_b32_e32 v6, 0x80000000, v6
	v_lshl_add_u32 v15, v15, 23, v61
	v_or3_b32 v15, v6, v15, v12
.LBB388_2681:                           ;   in Loop: Header=BB388_1330 Depth=1
	s_or_b64 exec, exec, s[34:35]
.LBB388_2682:                           ;   in Loop: Header=BB388_1330 Depth=1
	s_or_b64 exec, exec, s[30:31]
.LBB388_2683:                           ;   in Loop: Header=BB388_1330 Depth=1
	s_or_b64 exec, exec, s[28:29]
	v_mul_f32_e32 v6, v9, v15
	v_and_b32_e32 v12, 0x7f800000, v6
	v_cmp_ne_u32_e64 s[8:9], s15, v12
                                        ; implicit-def: $vgpr19
	s_and_saveexec_b64 s[28:29], s[8:9]
	s_xor_b64 s[8:9], exec, s[28:29]
; %bb.2684:                             ;   in Loop: Header=BB388_1330 Depth=1
	v_bfe_u32 v12, v6, 16, 1
	v_add3_u32 v19, v6, v12, s36
                                        ; implicit-def: $vgpr6
; %bb.2685:                             ;   in Loop: Header=BB388_1330 Depth=1
	s_andn2_saveexec_b64 s[28:29], s[8:9]
; %bb.2686:                             ;   in Loop: Header=BB388_1330 Depth=1
	v_or_b32_e32 v12, 0x10000, v6
	v_cmp_eq_u32_sdwa s[8:9], v6, v31 src0_sel:WORD_0 src1_sel:DWORD
	v_cndmask_b32_e64 v19, v12, v6, s[8:9]
; %bb.2687:                             ;   in Loop: Header=BB388_1330 Depth=1
	s_or_b64 exec, exec, s[28:29]
	v_cmp_lt_u64_e64 s[8:9], s[16:17], v[2:3]
	v_mov_b32_e32 v6, 0
	s_and_saveexec_b64 s[28:29], s[8:9]
	s_cbranch_execz .LBB388_2693
; %bb.2688:                             ;   in Loop: Header=BB388_1330 Depth=1
	v_lshrrev_b32_e32 v2, 24, v3
	v_cmp_ne_u32_e64 s[8:9], s37, v2
	v_bfrev_b32_e32 v6, 1
	s_and_saveexec_b64 s[30:31], s[8:9]
	s_cbranch_execz .LBB388_2692
; %bb.2689:                             ;   in Loop: Header=BB388_1330 Depth=1
	v_bfe_u32 v3, v3, 24, 7
	v_cmp_ne_u32_e64 s[8:9], s38, v3
	v_mov_b32_e32 v6, 0x7f800001
	s_and_saveexec_b64 s[34:35], s[8:9]
	s_cbranch_execz .LBB388_2691
; %bb.2690:                             ;   in Loop: Header=BB388_1330 Depth=1
	v_and_b32_e32 v6, 7, v2
	v_lshrrev_b32_e32 v12, 3, v3
	v_cmp_gt_u32_e64 s[8:9], 8, v3
	v_ffbh_u32_e32 v3, v6
	v_min_u32_e32 v3, 32, v3
	v_subrev_u32_e32 v15, 28, v3
	v_lshlrev_b64 v[24:25], v15, v[2:3]
	v_sub_u32_e32 v3, 29, v3
	v_and_b32_e32 v15, 7, v24
	v_cndmask_b32_e64 v3, v12, v3, s[8:9]
	v_cndmask_b32_e64 v6, v6, v15, s[8:9]
	v_lshlrev_b32_e32 v2, 24, v2
	v_lshlrev_b32_e32 v6, 20, v6
	v_and_b32_e32 v2, 0x80000000, v2
	v_lshl_add_u32 v3, v3, 23, v61
	v_or3_b32 v6, v2, v3, v6
.LBB388_2691:                           ;   in Loop: Header=BB388_1330 Depth=1
	s_or_b64 exec, exec, s[34:35]
.LBB388_2692:                           ;   in Loop: Header=BB388_1330 Depth=1
	s_or_b64 exec, exec, s[30:31]
.LBB388_2693:                           ;   in Loop: Header=BB388_1330 Depth=1
	s_or_b64 exec, exec, s[28:29]
	v_mul_f32_e32 v3, v9, v6
	v_and_b32_e32 v2, 0x7f800000, v3
	v_cmp_ne_u32_e64 s[8:9], s15, v2
                                        ; implicit-def: $vgpr2
	s_and_saveexec_b64 s[28:29], s[8:9]
	s_xor_b64 s[8:9], exec, s[28:29]
; %bb.2694:                             ;   in Loop: Header=BB388_1330 Depth=1
	v_bfe_u32 v2, v3, 16, 1
	v_add3_u32 v2, v3, v2, s36
                                        ; implicit-def: $vgpr3
; %bb.2695:                             ;   in Loop: Header=BB388_1330 Depth=1
	s_andn2_saveexec_b64 s[28:29], s[8:9]
; %bb.2696:                             ;   in Loop: Header=BB388_1330 Depth=1
	v_or_b32_e32 v2, 0x10000, v3
	v_cmp_eq_u32_sdwa s[8:9], v3, v31 src0_sel:WORD_0 src1_sel:DWORD
	v_cndmask_b32_e64 v2, v2, v3, s[8:9]
; %bb.2697:                             ;   in Loop: Header=BB388_1330 Depth=1
	s_or_b64 exec, exec, s[28:29]
	v_lshrrev_b32_e32 v6, 16, v18
	v_lshrrev_b32_e32 v15, 16, v17
	;; [unrolled: 1-line block ×8, first 2 shown]
	s_and_saveexec_b64 s[28:29], vcc
	s_cbranch_execz .LBB388_2699
; %bb.2698:                             ;   in Loop: Header=BB388_1330 Depth=1
	buffer_load_dword v12, off, s[0:3], s32 offset:196 ; 4-byte Folded Reload
	v_accvgpr_read_b32 v13, a18
	s_waitcnt vmcnt(0)
	v_cmp_lt_i32_e64 s[8:9], v40, v12
	v_cndmask_b32_e64 v7, 0, v7, s[8:9]
	v_cmp_lt_i32_e64 s[8:9], v13, v12
	v_accvgpr_read_b32 v13, a63
	v_cndmask_b32_e64 v8, 0, v8, s[8:9]
	v_cmp_lt_i32_e64 s[8:9], v13, v12
	v_accvgpr_read_b32 v13, a62
	;; [unrolled: 3-line block ×5, first 2 shown]
	v_cndmask_b32_e64 v6, 0, v6, s[8:9]
	v_cmp_lt_i32_e64 s[8:9], v13, v12
	v_cndmask_b32_e64 v3, 0, v3, s[8:9]
	v_cmp_lt_i32_e64 s[8:9], v50, v12
	v_cndmask_b32_e64 v2, 0, v2, s[8:9]
.LBB388_2699:                           ;   in Loop: Header=BB388_1330 Depth=1
	s_or_b64 exec, exec, s[28:29]
	v_lshlrev_b32_e32 v7, 16, v7
	v_mul_f32_e32 v7, v27, v7
	v_and_b32_e32 v12, 0x7f800000, v7
	v_cmp_ne_u32_e64 s[8:9], s15, v12
                                        ; implicit-def: $vgpr54
	s_and_saveexec_b64 s[28:29], s[8:9]
	s_xor_b64 s[8:9], exec, s[28:29]
; %bb.2700:                             ;   in Loop: Header=BB388_1330 Depth=1
	v_bfe_u32 v12, v7, 16, 1
	v_add3_u32 v54, v7, v12, s36
                                        ; implicit-def: $vgpr7
; %bb.2701:                             ;   in Loop: Header=BB388_1330 Depth=1
	s_andn2_saveexec_b64 s[28:29], s[8:9]
; %bb.2702:                             ;   in Loop: Header=BB388_1330 Depth=1
	v_or_b32_e32 v12, 0x10000, v7
	v_cmp_eq_u32_sdwa s[8:9], v7, v31 src0_sel:WORD_0 src1_sel:DWORD
	v_cndmask_b32_e64 v54, v12, v7, s[8:9]
; %bb.2703:                             ;   in Loop: Header=BB388_1330 Depth=1
	s_or_b64 exec, exec, s[28:29]
	v_lshlrev_b32_e32 v7, 16, v8
	v_mul_f32_e32 v7, v23, v7
	v_and_b32_e32 v8, 0x7f800000, v7
	v_cmp_ne_u32_e64 s[8:9], s15, v8
                                        ; implicit-def: $vgpr16
	s_and_saveexec_b64 s[28:29], s[8:9]
	s_xor_b64 s[8:9], exec, s[28:29]
; %bb.2704:                             ;   in Loop: Header=BB388_1330 Depth=1
	v_bfe_u32 v8, v7, 16, 1
	v_add3_u32 v16, v7, v8, s36
                                        ; implicit-def: $vgpr7
; %bb.2705:                             ;   in Loop: Header=BB388_1330 Depth=1
	s_andn2_saveexec_b64 s[28:29], s[8:9]
; %bb.2706:                             ;   in Loop: Header=BB388_1330 Depth=1
	v_or_b32_e32 v8, 0x10000, v7
	v_cmp_eq_u32_sdwa s[8:9], v7, v31 src0_sel:WORD_0 src1_sel:DWORD
	v_cndmask_b32_e64 v16, v8, v7, s[8:9]
; %bb.2707:                             ;   in Loop: Header=BB388_1330 Depth=1
	s_or_b64 exec, exec, s[28:29]
	v_lshlrev_b32_e32 v7, 16, v17
	v_mul_f32_e32 v7, v55, v7
	v_and_b32_e32 v8, 0x7f800000, v7
	v_cmp_ne_u32_e64 s[8:9], s15, v8
                                        ; implicit-def: $vgpr17
	s_and_saveexec_b64 s[28:29], s[8:9]
	s_xor_b64 s[8:9], exec, s[28:29]
; %bb.2708:                             ;   in Loop: Header=BB388_1330 Depth=1
	v_bfe_u32 v8, v7, 16, 1
	v_add3_u32 v17, v7, v8, s36
                                        ; implicit-def: $vgpr7
; %bb.2709:                             ;   in Loop: Header=BB388_1330 Depth=1
	s_andn2_saveexec_b64 s[28:29], s[8:9]
; %bb.2710:                             ;   in Loop: Header=BB388_1330 Depth=1
	v_or_b32_e32 v8, 0x10000, v7
	v_cmp_eq_u32_sdwa s[8:9], v7, v31 src0_sel:WORD_0 src1_sel:DWORD
	v_cndmask_b32_e64 v17, v8, v7, s[8:9]
; %bb.2711:                             ;   in Loop: Header=BB388_1330 Depth=1
	s_or_b64 exec, exec, s[28:29]
	v_lshlrev_b32_e32 v7, 16, v18
	v_mul_f32_e32 v7, v48, v7
	v_and_b32_e32 v8, 0x7f800000, v7
	v_cmp_ne_u32_e64 s[8:9], s15, v8
                                        ; implicit-def: $vgpr18
	s_and_saveexec_b64 s[28:29], s[8:9]
	s_xor_b64 s[8:9], exec, s[28:29]
; %bb.2712:                             ;   in Loop: Header=BB388_1330 Depth=1
	v_bfe_u32 v8, v7, 16, 1
	v_add3_u32 v18, v7, v8, s36
                                        ; implicit-def: $vgpr7
; %bb.2713:                             ;   in Loop: Header=BB388_1330 Depth=1
	s_andn2_saveexec_b64 s[28:29], s[8:9]
; %bb.2714:                             ;   in Loop: Header=BB388_1330 Depth=1
	v_or_b32_e32 v8, 0x10000, v7
	v_cmp_eq_u32_sdwa s[8:9], v7, v31 src0_sel:WORD_0 src1_sel:DWORD
	v_cndmask_b32_e64 v18, v8, v7, s[8:9]
; %bb.2715:                             ;   in Loop: Header=BB388_1330 Depth=1
	s_or_b64 exec, exec, s[28:29]
	v_lshlrev_b32_e32 v7, 16, v15
	v_mul_f32_e32 v7, v62, v7
	v_and_b32_e32 v8, 0x7f800000, v7
	v_cmp_ne_u32_e64 s[8:9], s15, v8
                                        ; implicit-def: $vgpr19
	s_and_saveexec_b64 s[28:29], s[8:9]
	s_xor_b64 s[8:9], exec, s[28:29]
; %bb.2716:                             ;   in Loop: Header=BB388_1330 Depth=1
	v_bfe_u32 v8, v7, 16, 1
	v_add3_u32 v19, v7, v8, s36
                                        ; implicit-def: $vgpr7
; %bb.2717:                             ;   in Loop: Header=BB388_1330 Depth=1
	s_andn2_saveexec_b64 s[28:29], s[8:9]
; %bb.2718:                             ;   in Loop: Header=BB388_1330 Depth=1
	v_or_b32_e32 v8, 0x10000, v7
	v_cmp_eq_u32_sdwa s[8:9], v7, v31 src0_sel:WORD_0 src1_sel:DWORD
	v_cndmask_b32_e64 v19, v8, v7, s[8:9]
; %bb.2719:                             ;   in Loop: Header=BB388_1330 Depth=1
	s_or_b64 exec, exec, s[28:29]
	v_lshlrev_b32_e32 v6, 16, v6
	v_mul_f32_e32 v6, v5, v6
	v_and_b32_e32 v7, 0x7f800000, v6
	v_cmp_ne_u32_e64 s[8:9], s15, v7
                                        ; implicit-def: $vgpr24
	s_and_saveexec_b64 s[28:29], s[8:9]
	s_xor_b64 s[8:9], exec, s[28:29]
; %bb.2720:                             ;   in Loop: Header=BB388_1330 Depth=1
	v_bfe_u32 v7, v6, 16, 1
	v_add3_u32 v24, v6, v7, s36
                                        ; implicit-def: $vgpr6
; %bb.2721:                             ;   in Loop: Header=BB388_1330 Depth=1
	s_andn2_saveexec_b64 s[28:29], s[8:9]
; %bb.2722:                             ;   in Loop: Header=BB388_1330 Depth=1
	v_or_b32_e32 v7, 0x10000, v6
	v_cmp_eq_u32_sdwa s[8:9], v6, v31 src0_sel:WORD_0 src1_sel:DWORD
	v_cndmask_b32_e64 v24, v7, v6, s[8:9]
; %bb.2723:                             ;   in Loop: Header=BB388_1330 Depth=1
	s_or_b64 exec, exec, s[28:29]
	v_lshlrev_b32_e32 v3, 16, v3
	v_mul_f32_e32 v3, v10, v3
	v_and_b32_e32 v6, 0x7f800000, v3
	v_cmp_ne_u32_e64 s[8:9], s15, v6
                                        ; implicit-def: $vgpr25
	s_and_saveexec_b64 s[28:29], s[8:9]
	s_xor_b64 s[8:9], exec, s[28:29]
; %bb.2724:                             ;   in Loop: Header=BB388_1330 Depth=1
	v_bfe_u32 v6, v3, 16, 1
	v_add3_u32 v25, v3, v6, s36
                                        ; implicit-def: $vgpr3
; %bb.2725:                             ;   in Loop: Header=BB388_1330 Depth=1
	s_andn2_saveexec_b64 s[28:29], s[8:9]
; %bb.2726:                             ;   in Loop: Header=BB388_1330 Depth=1
	v_or_b32_e32 v6, 0x10000, v3
	v_cmp_eq_u32_sdwa s[8:9], v3, v31 src0_sel:WORD_0 src1_sel:DWORD
	v_cndmask_b32_e64 v25, v6, v3, s[8:9]
; %bb.2727:                             ;   in Loop: Header=BB388_1330 Depth=1
	s_or_b64 exec, exec, s[28:29]
	v_lshlrev_b32_e32 v2, 16, v2
	v_mul_f32_e32 v2, v11, v2
	v_and_b32_e32 v3, 0x7f800000, v2
	v_cmp_ne_u32_e64 s[8:9], s15, v3
                                        ; implicit-def: $vgpr32
	s_and_saveexec_b64 s[28:29], s[8:9]
	s_xor_b64 s[8:9], exec, s[28:29]
; %bb.2728:                             ;   in Loop: Header=BB388_1330 Depth=1
	v_bfe_u32 v3, v2, 16, 1
	v_add3_u32 v32, v2, v3, s36
                                        ; implicit-def: $vgpr2
; %bb.2729:                             ;   in Loop: Header=BB388_1330 Depth=1
	s_andn2_saveexec_b64 s[28:29], s[8:9]
; %bb.2730:                             ;   in Loop: Header=BB388_1330 Depth=1
	v_or_b32_e32 v3, 0x10000, v2
	v_cmp_eq_u32_sdwa s[8:9], v2, v31 src0_sel:WORD_0 src1_sel:DWORD
	v_cndmask_b32_e64 v32, v3, v2, s[8:9]
; %bb.2731:                             ;   in Loop: Header=BB388_1330 Depth=1
	s_or_b64 exec, exec, s[28:29]
	buffer_load_dword v2, off, s[0:3], s32 offset:544 ; 4-byte Folded Reload
	buffer_load_dword v3, off, s[0:3], s32 offset:548 ; 4-byte Folded Reload
	v_mov_b32_e32 v6, 0
	s_waitcnt vmcnt(1)
	v_add_co_u32_e64 v2, s[8:9], v0, v2
	s_waitcnt vmcnt(0)
	v_addc_co_u32_e64 v3, s[8:9], 0, v1, s[8:9]
	flat_load_dwordx2 v[2:3], v[2:3]
	s_waitcnt vmcnt(0) lgkmcnt(0)
	v_cmp_ne_u16_sdwa s[8:9], v2, v31 src0_sel:BYTE_0 src1_sel:DWORD
	s_and_saveexec_b64 s[28:29], s[8:9]
	s_cbranch_execz .LBB388_2737
; %bb.2732:                             ;   in Loop: Header=BB388_1330 Depth=1
	v_cmp_ne_u16_sdwa s[8:9], v2, s37 src0_sel:BYTE_0 src1_sel:DWORD
	v_bfrev_b32_e32 v6, 1
	s_and_saveexec_b64 s[30:31], s[8:9]
	s_cbranch_execz .LBB388_2736
; %bb.2733:                             ;   in Loop: Header=BB388_1330 Depth=1
	v_and_b32_e32 v7, 0x7f, v2
	v_cmp_ne_u32_e64 s[8:9], s38, v7
	v_mov_b32_e32 v6, 0x7f800001
	s_and_saveexec_b64 s[34:35], s[8:9]
	s_cbranch_execz .LBB388_2735
; %bb.2734:                             ;   in Loop: Header=BB388_1330 Depth=1
	v_and_b32_e32 v6, 7, v2
	v_ffbh_u32_e32 v6, v6
	v_min_u32_e32 v6, 32, v6
	v_lshrrev_b32_e32 v8, 3, v7
	v_cmp_gt_u32_e64 s[8:9], 8, v7
	v_subrev_u32_e32 v7, 28, v6
	v_sub_u32_e32 v6, 29, v6
	v_cndmask_b32_e64 v8, v8, v6, s[8:9]
	v_cndmask_b32_e64 v6, 0, v7, s[8:9]
	v_lshlrev_b64 v[6:7], v6, v[2:3]
	v_lshlrev_b32_e32 v6, 20, v6
	v_lshlrev_b32_e32 v7, 24, v2
	v_and_b32_e32 v6, 0x700000, v6
	v_and_b32_e32 v7, 0x80000000, v7
	v_lshl_add_u32 v8, v8, 23, v61
	v_or3_b32 v6, v7, v8, v6
.LBB388_2735:                           ;   in Loop: Header=BB388_1330 Depth=1
	s_or_b64 exec, exec, s[34:35]
.LBB388_2736:                           ;   in Loop: Header=BB388_1330 Depth=1
	s_or_b64 exec, exec, s[30:31]
.LBB388_2737:                           ;   in Loop: Header=BB388_1330 Depth=1
	s_or_b64 exec, exec, s[28:29]
	v_mul_f32_e32 v6, v9, v6
	v_and_b32_e32 v7, 0x7f800000, v6
	v_cmp_ne_u32_e64 s[8:9], s15, v7
                                        ; implicit-def: $vgpr7
	s_and_saveexec_b64 s[28:29], s[8:9]
	s_xor_b64 s[8:9], exec, s[28:29]
; %bb.2738:                             ;   in Loop: Header=BB388_1330 Depth=1
	v_bfe_u32 v7, v6, 16, 1
	v_add3_u32 v7, v6, v7, s36
                                        ; implicit-def: $vgpr6
; %bb.2739:                             ;   in Loop: Header=BB388_1330 Depth=1
	s_andn2_saveexec_b64 s[28:29], s[8:9]
; %bb.2740:                             ;   in Loop: Header=BB388_1330 Depth=1
	v_or_b32_e32 v7, 0x10000, v6
	v_cmp_eq_u32_sdwa s[8:9], v6, v31 src0_sel:WORD_0 src1_sel:DWORD
	v_cndmask_b32_e64 v7, v7, v6, s[8:9]
; %bb.2741:                             ;   in Loop: Header=BB388_1330 Depth=1
	s_or_b64 exec, exec, s[28:29]
	v_lshrrev_b16_e32 v6, 8, v2
	v_cmp_ne_u16_e64 s[8:9], 0, v6
	v_mov_b32_e32 v8, 0
	s_and_saveexec_b64 s[28:29], s[8:9]
	s_cbranch_execz .LBB388_2747
; %bb.2742:                             ;   in Loop: Header=BB388_1330 Depth=1
	v_cmp_ne_u16_e64 s[8:9], s37, v6
	v_bfrev_b32_e32 v8, 1
	s_and_saveexec_b64 s[30:31], s[8:9]
	s_cbranch_execz .LBB388_2746
; %bb.2743:                             ;   in Loop: Header=BB388_1330 Depth=1
	v_and_b32_e32 v15, 0x7f, v6
	v_cmp_ne_u32_e64 s[8:9], s38, v15
	v_mov_b32_e32 v8, 0x7f800001
	s_and_saveexec_b64 s[34:35], s[8:9]
	s_cbranch_execz .LBB388_2745
; %bb.2744:                             ;   in Loop: Header=BB388_1330 Depth=1
	v_and_b32_e32 v8, 7, v6
	v_ffbh_u32_e32 v13, v8
	v_min_u32_e32 v13, 32, v13
	v_lshrrev_b32_e32 v12, 3, v15
	v_cmp_gt_u32_e64 s[8:9], 8, v15
	v_subrev_u32_e32 v15, 28, v13
	v_lshlrev_b64 v[28:29], v15, v[6:7]
	v_sub_u32_e32 v6, 29, v13
	v_and_b32_e32 v13, 7, v28
	v_cndmask_b32_e64 v6, v12, v6, s[8:9]
	v_cndmask_b32_e64 v8, v8, v13, s[8:9]
	v_lshlrev_b32_e32 v12, 16, v2
	v_lshlrev_b32_e32 v8, 20, v8
	v_and_b32_e32 v12, 0x80000000, v12
	v_lshl_add_u32 v6, v6, 23, v61
	v_or3_b32 v8, v12, v6, v8
.LBB388_2745:                           ;   in Loop: Header=BB388_1330 Depth=1
	s_or_b64 exec, exec, s[34:35]
.LBB388_2746:                           ;   in Loop: Header=BB388_1330 Depth=1
	s_or_b64 exec, exec, s[30:31]
.LBB388_2747:                           ;   in Loop: Header=BB388_1330 Depth=1
	s_or_b64 exec, exec, s[28:29]
	v_mul_f32_e32 v6, v9, v8
	v_and_b32_e32 v8, 0x7f800000, v6
	v_cmp_ne_u32_e64 s[8:9], s15, v8
                                        ; implicit-def: $vgpr8
	s_and_saveexec_b64 s[28:29], s[8:9]
	s_xor_b64 s[8:9], exec, s[28:29]
; %bb.2748:                             ;   in Loop: Header=BB388_1330 Depth=1
	v_bfe_u32 v8, v6, 16, 1
	v_add3_u32 v8, v6, v8, s36
                                        ; implicit-def: $vgpr6
; %bb.2749:                             ;   in Loop: Header=BB388_1330 Depth=1
	s_andn2_saveexec_b64 s[28:29], s[8:9]
; %bb.2750:                             ;   in Loop: Header=BB388_1330 Depth=1
	v_or_b32_e32 v8, 0x10000, v6
	v_cmp_eq_u32_sdwa s[8:9], v6, v31 src0_sel:WORD_0 src1_sel:DWORD
	v_cndmask_b32_e64 v8, v8, v6, s[8:9]
; %bb.2751:                             ;   in Loop: Header=BB388_1330 Depth=1
	s_or_b64 exec, exec, s[28:29]
	v_lshrrev_b32_e32 v6, 16, v2
	v_cmp_ne_u16_sdwa s[8:9], v6, v31 src0_sel:BYTE_0 src1_sel:DWORD
	v_mov_b32_e32 v15, 0
	s_and_saveexec_b64 s[28:29], s[8:9]
	s_cbranch_execz .LBB388_2757
; %bb.2752:                             ;   in Loop: Header=BB388_1330 Depth=1
	v_cmp_ne_u16_sdwa s[8:9], v6, s37 src0_sel:BYTE_0 src1_sel:DWORD
	v_bfrev_b32_e32 v15, 1
	s_and_saveexec_b64 s[30:31], s[8:9]
	s_cbranch_execz .LBB388_2756
; %bb.2753:                             ;   in Loop: Header=BB388_1330 Depth=1
	v_bfe_u32 v21, v2, 16, 7
	v_cmp_ne_u32_e64 s[8:9], s38, v21
	v_mov_b32_e32 v15, 0x7f800001
	s_and_saveexec_b64 s[34:35], s[8:9]
	s_cbranch_execz .LBB388_2755
; %bb.2754:                             ;   in Loop: Header=BB388_1330 Depth=1
	v_and_b32_e32 v12, 7, v6
	v_ffbh_u32_e32 v15, v12
	v_min_u32_e32 v15, 32, v15
	v_lshrrev_b32_e32 v13, 3, v21
	v_cmp_gt_u32_e64 s[8:9], 8, v21
	v_subrev_u32_e32 v21, 28, v15
	v_lshlrev_b64 v[28:29], v21, v[6:7]
	v_sub_u32_e32 v15, 29, v15
	v_and_b32_e32 v21, 7, v28
	v_cndmask_b32_e64 v13, v13, v15, s[8:9]
	v_cndmask_b32_e64 v12, v12, v21, s[8:9]
	v_lshlrev_b32_e32 v6, 24, v6
	v_lshlrev_b32_e32 v12, 20, v12
	v_and_b32_e32 v6, 0x80000000, v6
	v_lshl_add_u32 v13, v13, 23, v61
	v_or3_b32 v15, v6, v13, v12
.LBB388_2755:                           ;   in Loop: Header=BB388_1330 Depth=1
	s_or_b64 exec, exec, s[34:35]
.LBB388_2756:                           ;   in Loop: Header=BB388_1330 Depth=1
	s_or_b64 exec, exec, s[30:31]
.LBB388_2757:                           ;   in Loop: Header=BB388_1330 Depth=1
	s_or_b64 exec, exec, s[28:29]
	v_mul_f32_e32 v6, v9, v15
	v_and_b32_e32 v12, 0x7f800000, v6
	v_cmp_ne_u32_e64 s[8:9], s15, v12
                                        ; implicit-def: $vgpr21
	s_and_saveexec_b64 s[28:29], s[8:9]
	s_xor_b64 s[8:9], exec, s[28:29]
; %bb.2758:                             ;   in Loop: Header=BB388_1330 Depth=1
	v_bfe_u32 v12, v6, 16, 1
	v_add3_u32 v21, v6, v12, s36
                                        ; implicit-def: $vgpr6
; %bb.2759:                             ;   in Loop: Header=BB388_1330 Depth=1
	s_andn2_saveexec_b64 s[28:29], s[8:9]
; %bb.2760:                             ;   in Loop: Header=BB388_1330 Depth=1
	v_or_b32_e32 v12, 0x10000, v6
	v_cmp_eq_u32_sdwa s[8:9], v6, v31 src0_sel:WORD_0 src1_sel:DWORD
	v_cndmask_b32_e64 v21, v12, v6, s[8:9]
; %bb.2761:                             ;   in Loop: Header=BB388_1330 Depth=1
	s_or_b64 exec, exec, s[28:29]
	v_cmp_lt_u32_e64 s[8:9], s17, v2
	v_mov_b32_e32 v15, 0
	s_and_saveexec_b64 s[28:29], s[8:9]
	s_cbranch_execz .LBB388_2767
; %bb.2762:                             ;   in Loop: Header=BB388_1330 Depth=1
	v_lshrrev_b32_e32 v6, 24, v2
	v_cmp_ne_u32_e64 s[8:9], s37, v6
	v_bfrev_b32_e32 v15, 1
	s_and_saveexec_b64 s[30:31], s[8:9]
	s_cbranch_execz .LBB388_2766
; %bb.2763:                             ;   in Loop: Header=BB388_1330 Depth=1
	v_bfe_u32 v22, v2, 24, 7
	v_cmp_ne_u32_e64 s[8:9], s38, v22
	v_mov_b32_e32 v15, 0x7f800001
	s_and_saveexec_b64 s[34:35], s[8:9]
	s_cbranch_execz .LBB388_2765
; %bb.2764:                             ;   in Loop: Header=BB388_1330 Depth=1
	v_and_b32_e32 v12, 7, v6
	v_ffbh_u32_e32 v15, v12
	v_min_u32_e32 v15, 32, v15
	v_lshrrev_b32_e32 v13, 3, v22
	v_cmp_gt_u32_e64 s[8:9], 8, v22
	v_subrev_u32_e32 v22, 28, v15
	v_lshlrev_b64 v[28:29], v22, v[6:7]
	v_sub_u32_e32 v15, 29, v15
	v_and_b32_e32 v22, 7, v28
	v_cndmask_b32_e64 v13, v13, v15, s[8:9]
	v_cndmask_b32_e64 v12, v12, v22, s[8:9]
	v_lshlrev_b32_e32 v6, 24, v6
	v_lshlrev_b32_e32 v12, 20, v12
	v_and_b32_e32 v6, 0x80000000, v6
	v_lshl_add_u32 v13, v13, 23, v61
	v_or3_b32 v15, v6, v13, v12
.LBB388_2765:                           ;   in Loop: Header=BB388_1330 Depth=1
	s_or_b64 exec, exec, s[34:35]
.LBB388_2766:                           ;   in Loop: Header=BB388_1330 Depth=1
	s_or_b64 exec, exec, s[30:31]
.LBB388_2767:                           ;   in Loop: Header=BB388_1330 Depth=1
	s_or_b64 exec, exec, s[28:29]
	v_mul_f32_e32 v6, v9, v15
	v_and_b32_e32 v12, 0x7f800000, v6
	v_cmp_ne_u32_e64 s[8:9], s15, v12
                                        ; implicit-def: $vgpr22
	s_and_saveexec_b64 s[28:29], s[8:9]
	s_xor_b64 s[8:9], exec, s[28:29]
; %bb.2768:                             ;   in Loop: Header=BB388_1330 Depth=1
	v_bfe_u32 v12, v6, 16, 1
	v_add3_u32 v22, v6, v12, s36
                                        ; implicit-def: $vgpr6
; %bb.2769:                             ;   in Loop: Header=BB388_1330 Depth=1
	s_andn2_saveexec_b64 s[28:29], s[8:9]
; %bb.2770:                             ;   in Loop: Header=BB388_1330 Depth=1
	v_or_b32_e32 v12, 0x10000, v6
	v_cmp_eq_u32_sdwa s[8:9], v6, v31 src0_sel:WORD_0 src1_sel:DWORD
	v_cndmask_b32_e64 v22, v12, v6, s[8:9]
; %bb.2771:                             ;   in Loop: Header=BB388_1330 Depth=1
	s_or_b64 exec, exec, s[28:29]
	v_mov_b32_e32 v30, v3
	v_cmp_ne_u16_sdwa s[8:9], v3, v31 src0_sel:BYTE_0 src1_sel:DWORD
	v_mov_b32_e32 v6, 0
	s_and_saveexec_b64 s[28:29], s[8:9]
	s_cbranch_execz .LBB388_2777
; %bb.2772:                             ;   in Loop: Header=BB388_1330 Depth=1
	v_cmp_ne_u16_sdwa s[8:9], v3, s37 src0_sel:BYTE_0 src1_sel:DWORD
	v_bfrev_b32_e32 v6, 1
	s_and_saveexec_b64 s[30:31], s[8:9]
	s_cbranch_execz .LBB388_2776
; %bb.2773:                             ;   in Loop: Header=BB388_1330 Depth=1
	v_and_b32_e32 v15, 0x7f, v3
	v_cmp_ne_u32_e64 s[8:9], s38, v15
	v_mov_b32_e32 v6, 0x7f800001
	s_and_saveexec_b64 s[34:35], s[8:9]
	s_cbranch_execz .LBB388_2775
; %bb.2774:                             ;   in Loop: Header=BB388_1330 Depth=1
	v_and_b32_e32 v6, 7, v3
	v_ffbh_u32_e32 v6, v6
	v_min_u32_e32 v6, 32, v6
	v_lshrrev_b32_e32 v12, 3, v15
	v_cmp_gt_u32_e64 s[8:9], 8, v15
	v_subrev_u32_e32 v13, 28, v6
	v_sub_u32_e32 v6, 29, v6
	v_cndmask_b32_e64 v6, v12, v6, s[8:9]
	v_cndmask_b32_e64 v12, 0, v13, s[8:9]
	v_lshlrev_b64 v[28:29], v12, v[30:31]
	v_lshlrev_b32_e32 v12, 20, v28
	v_lshlrev_b32_e32 v13, 24, v30
	v_and_b32_e32 v12, 0x700000, v12
	v_and_b32_e32 v13, 0x80000000, v13
	v_lshl_add_u32 v6, v6, 23, v61
	v_or3_b32 v6, v13, v6, v12
.LBB388_2775:                           ;   in Loop: Header=BB388_1330 Depth=1
	s_or_b64 exec, exec, s[34:35]
.LBB388_2776:                           ;   in Loop: Header=BB388_1330 Depth=1
	s_or_b64 exec, exec, s[30:31]
.LBB388_2777:                           ;   in Loop: Header=BB388_1330 Depth=1
	s_or_b64 exec, exec, s[28:29]
	v_mul_f32_e32 v6, v9, v6
	v_and_b32_e32 v12, 0x7f800000, v6
	v_cmp_ne_u32_e64 s[8:9], s15, v12
                                        ; implicit-def: $vgpr26
	s_and_saveexec_b64 s[28:29], s[8:9]
	s_xor_b64 s[8:9], exec, s[28:29]
; %bb.2778:                             ;   in Loop: Header=BB388_1330 Depth=1
	v_bfe_u32 v12, v6, 16, 1
	v_add3_u32 v26, v6, v12, s36
                                        ; implicit-def: $vgpr6
; %bb.2779:                             ;   in Loop: Header=BB388_1330 Depth=1
	s_andn2_saveexec_b64 s[28:29], s[8:9]
; %bb.2780:                             ;   in Loop: Header=BB388_1330 Depth=1
	v_or_b32_e32 v12, 0x10000, v6
	v_cmp_eq_u32_sdwa s[8:9], v6, v31 src0_sel:WORD_0 src1_sel:DWORD
	v_cndmask_b32_e64 v26, v12, v6, s[8:9]
; %bb.2781:                             ;   in Loop: Header=BB388_1330 Depth=1
	s_or_b64 exec, exec, s[28:29]
	v_lshrrev_b16_e32 v6, 8, v30
	v_cmp_ne_u16_e64 s[8:9], 0, v6
	v_mov_b32_e32 v15, 0
	s_and_saveexec_b64 s[28:29], s[8:9]
	s_cbranch_execz .LBB388_2787
; %bb.2782:                             ;   in Loop: Header=BB388_1330 Depth=1
	v_cmp_ne_u16_e64 s[8:9], s37, v6
	v_bfrev_b32_e32 v15, 1
	s_and_saveexec_b64 s[30:31], s[8:9]
	s_cbranch_execz .LBB388_2786
; %bb.2783:                             ;   in Loop: Header=BB388_1330 Depth=1
	v_and_b32_e32 v28, 0x7f, v6
	v_cmp_ne_u32_e64 s[8:9], s38, v28
	v_mov_b32_e32 v15, 0x7f800001
	s_and_saveexec_b64 s[34:35], s[8:9]
	s_cbranch_execz .LBB388_2785
; %bb.2784:                             ;   in Loop: Header=BB388_1330 Depth=1
	v_and_b32_e32 v12, 7, v6
	v_ffbh_u32_e32 v15, v12
	v_min_u32_e32 v15, 32, v15
	v_lshrrev_b32_e32 v13, 3, v28
	v_cmp_gt_u32_e64 s[8:9], 8, v28
	v_subrev_u32_e32 v28, 28, v15
	v_lshlrev_b64 v[28:29], v28, v[6:7]
	v_sub_u32_e32 v6, 29, v15
	v_and_b32_e32 v15, 7, v28
	v_cndmask_b32_e64 v6, v13, v6, s[8:9]
	v_cndmask_b32_e64 v12, v12, v15, s[8:9]
	v_lshlrev_b32_e32 v13, 16, v30
	v_lshlrev_b32_e32 v12, 20, v12
	v_and_b32_e32 v13, 0x80000000, v13
	v_lshl_add_u32 v6, v6, 23, v61
	v_or3_b32 v15, v13, v6, v12
.LBB388_2785:                           ;   in Loop: Header=BB388_1330 Depth=1
	s_or_b64 exec, exec, s[34:35]
.LBB388_2786:                           ;   in Loop: Header=BB388_1330 Depth=1
	s_or_b64 exec, exec, s[30:31]
.LBB388_2787:                           ;   in Loop: Header=BB388_1330 Depth=1
	s_or_b64 exec, exec, s[28:29]
	v_mul_f32_e32 v6, v9, v15
	v_and_b32_e32 v12, 0x7f800000, v6
	v_cmp_ne_u32_e64 s[8:9], s15, v12
                                        ; implicit-def: $vgpr28
	s_and_saveexec_b64 s[28:29], s[8:9]
	s_xor_b64 s[8:9], exec, s[28:29]
; %bb.2788:                             ;   in Loop: Header=BB388_1330 Depth=1
	v_bfe_u32 v12, v6, 16, 1
	v_add3_u32 v28, v6, v12, s36
                                        ; implicit-def: $vgpr6
; %bb.2789:                             ;   in Loop: Header=BB388_1330 Depth=1
	s_andn2_saveexec_b64 s[28:29], s[8:9]
; %bb.2790:                             ;   in Loop: Header=BB388_1330 Depth=1
	v_or_b32_e32 v12, 0x10000, v6
	v_cmp_eq_u32_sdwa s[8:9], v6, v31 src0_sel:WORD_0 src1_sel:DWORD
	v_cndmask_b32_e64 v28, v12, v6, s[8:9]
; %bb.2791:                             ;   in Loop: Header=BB388_1330 Depth=1
	s_or_b64 exec, exec, s[28:29]
	v_lshrrev_b32_e32 v6, 16, v3
	v_cmp_ne_u16_sdwa s[8:9], v6, v31 src0_sel:BYTE_0 src1_sel:DWORD
	v_mov_b32_e32 v15, 0
	s_and_saveexec_b64 s[28:29], s[8:9]
	s_cbranch_execz .LBB388_2797
; %bb.2792:                             ;   in Loop: Header=BB388_1330 Depth=1
	v_cmp_ne_u16_sdwa s[8:9], v6, s37 src0_sel:BYTE_0 src1_sel:DWORD
	v_bfrev_b32_e32 v15, 1
	s_and_saveexec_b64 s[30:31], s[8:9]
	s_cbranch_execz .LBB388_2796
; %bb.2793:                             ;   in Loop: Header=BB388_1330 Depth=1
	v_bfe_u32 v29, v3, 16, 7
	v_cmp_ne_u32_e64 s[8:9], s38, v29
	v_mov_b32_e32 v15, 0x7f800001
	s_and_saveexec_b64 s[34:35], s[8:9]
	s_cbranch_execz .LBB388_2795
; %bb.2794:                             ;   in Loop: Header=BB388_1330 Depth=1
	v_and_b32_e32 v12, 7, v6
	v_ffbh_u32_e32 v15, v12
	v_min_u32_e32 v15, 32, v15
	v_lshrrev_b32_e32 v13, 3, v29
	v_cmp_gt_u32_e64 s[8:9], 8, v29
	v_subrev_u32_e32 v29, 28, v15
	v_lshlrev_b64 v[34:35], v29, v[6:7]
	v_sub_u32_e32 v15, 29, v15
	v_and_b32_e32 v29, 7, v34
	v_cndmask_b32_e64 v13, v13, v15, s[8:9]
	v_cndmask_b32_e64 v12, v12, v29, s[8:9]
	v_lshlrev_b32_e32 v6, 24, v6
	v_lshlrev_b32_e32 v12, 20, v12
	v_and_b32_e32 v6, 0x80000000, v6
	v_lshl_add_u32 v13, v13, 23, v61
	v_or3_b32 v15, v6, v13, v12
.LBB388_2795:                           ;   in Loop: Header=BB388_1330 Depth=1
	s_or_b64 exec, exec, s[34:35]
.LBB388_2796:                           ;   in Loop: Header=BB388_1330 Depth=1
	s_or_b64 exec, exec, s[30:31]
.LBB388_2797:                           ;   in Loop: Header=BB388_1330 Depth=1
	s_or_b64 exec, exec, s[28:29]
	v_mul_f32_e32 v6, v9, v15
	v_and_b32_e32 v12, 0x7f800000, v6
	v_cmp_ne_u32_e64 s[8:9], s15, v12
                                        ; implicit-def: $vgpr29
	s_and_saveexec_b64 s[28:29], s[8:9]
	s_xor_b64 s[8:9], exec, s[28:29]
; %bb.2798:                             ;   in Loop: Header=BB388_1330 Depth=1
	v_bfe_u32 v12, v6, 16, 1
	v_add3_u32 v29, v6, v12, s36
                                        ; implicit-def: $vgpr6
; %bb.2799:                             ;   in Loop: Header=BB388_1330 Depth=1
	s_andn2_saveexec_b64 s[28:29], s[8:9]
; %bb.2800:                             ;   in Loop: Header=BB388_1330 Depth=1
	v_or_b32_e32 v12, 0x10000, v6
	v_cmp_eq_u32_sdwa s[8:9], v6, v31 src0_sel:WORD_0 src1_sel:DWORD
	v_cndmask_b32_e64 v29, v12, v6, s[8:9]
; %bb.2801:                             ;   in Loop: Header=BB388_1330 Depth=1
	s_or_b64 exec, exec, s[28:29]
	v_cmp_lt_u64_e64 s[8:9], s[16:17], v[2:3]
	v_mov_b32_e32 v6, 0
	s_and_saveexec_b64 s[28:29], s[8:9]
	s_cbranch_execz .LBB388_2807
; %bb.2802:                             ;   in Loop: Header=BB388_1330 Depth=1
	v_lshrrev_b32_e32 v2, 24, v3
	v_cmp_ne_u32_e64 s[8:9], s37, v2
	v_bfrev_b32_e32 v6, 1
	s_and_saveexec_b64 s[30:31], s[8:9]
	s_cbranch_execz .LBB388_2806
; %bb.2803:                             ;   in Loop: Header=BB388_1330 Depth=1
	v_bfe_u32 v3, v3, 24, 7
	v_cmp_ne_u32_e64 s[8:9], s38, v3
	v_mov_b32_e32 v6, 0x7f800001
	s_and_saveexec_b64 s[34:35], s[8:9]
	s_cbranch_execz .LBB388_2805
; %bb.2804:                             ;   in Loop: Header=BB388_1330 Depth=1
	v_and_b32_e32 v6, 7, v2
	v_lshrrev_b32_e32 v12, 3, v3
	v_cmp_gt_u32_e64 s[8:9], 8, v3
	v_ffbh_u32_e32 v3, v6
	v_min_u32_e32 v3, 32, v3
	v_subrev_u32_e32 v13, 28, v3
	v_lshlrev_b64 v[34:35], v13, v[2:3]
	v_sub_u32_e32 v3, 29, v3
	v_and_b32_e32 v13, 7, v34
	v_cndmask_b32_e64 v3, v12, v3, s[8:9]
	v_cndmask_b32_e64 v6, v6, v13, s[8:9]
	v_lshlrev_b32_e32 v2, 24, v2
	v_lshlrev_b32_e32 v6, 20, v6
	v_and_b32_e32 v2, 0x80000000, v2
	v_lshl_add_u32 v3, v3, 23, v61
	v_or3_b32 v6, v2, v3, v6
.LBB388_2805:                           ;   in Loop: Header=BB388_1330 Depth=1
	s_or_b64 exec, exec, s[34:35]
.LBB388_2806:                           ;   in Loop: Header=BB388_1330 Depth=1
	s_or_b64 exec, exec, s[30:31]
.LBB388_2807:                           ;   in Loop: Header=BB388_1330 Depth=1
	s_or_b64 exec, exec, s[28:29]
	v_mul_f32_e32 v3, v9, v6
	v_and_b32_e32 v2, 0x7f800000, v3
	v_cmp_ne_u32_e64 s[8:9], s15, v2
                                        ; implicit-def: $vgpr2
	s_and_saveexec_b64 s[28:29], s[8:9]
	s_xor_b64 s[8:9], exec, s[28:29]
; %bb.2808:                             ;   in Loop: Header=BB388_1330 Depth=1
	v_bfe_u32 v2, v3, 16, 1
	v_add3_u32 v2, v3, v2, s36
                                        ; implicit-def: $vgpr3
; %bb.2809:                             ;   in Loop: Header=BB388_1330 Depth=1
	s_andn2_saveexec_b64 s[28:29], s[8:9]
; %bb.2810:                             ;   in Loop: Header=BB388_1330 Depth=1
	v_or_b32_e32 v2, 0x10000, v3
	v_cmp_eq_u32_sdwa s[8:9], v3, v31 src0_sel:WORD_0 src1_sel:DWORD
	v_cndmask_b32_e64 v2, v2, v3, s[8:9]
; %bb.2811:                             ;   in Loop: Header=BB388_1330 Depth=1
	s_or_b64 exec, exec, s[28:29]
	v_lshrrev_b32_e32 v6, 16, v28
	v_lshrrev_b32_e32 v15, 16, v26
	;; [unrolled: 1-line block ×8, first 2 shown]
	s_and_saveexec_b64 s[28:29], vcc
	s_cbranch_execz .LBB388_2813
; %bb.2812:                             ;   in Loop: Header=BB388_1330 Depth=1
	buffer_load_dword v12, off, s[0:3], s32 offset:196 ; 4-byte Folded Reload
	v_accvgpr_read_b32 v13, a18
	s_waitcnt vmcnt(0)
	v_cmp_lt_i32_e64 s[8:9], v40, v12
	v_cndmask_b32_e64 v7, 0, v7, s[8:9]
	v_cmp_lt_i32_e64 s[8:9], v13, v12
	v_accvgpr_read_b32 v13, a63
	v_cndmask_b32_e64 v8, 0, v8, s[8:9]
	v_cmp_lt_i32_e64 s[8:9], v13, v12
	v_accvgpr_read_b32 v13, a62
	;; [unrolled: 3-line block ×5, first 2 shown]
	v_cndmask_b32_e64 v6, 0, v6, s[8:9]
	v_cmp_lt_i32_e64 s[8:9], v13, v12
	v_cndmask_b32_e64 v3, 0, v3, s[8:9]
	v_cmp_lt_i32_e64 s[8:9], v50, v12
	v_cndmask_b32_e64 v2, 0, v2, s[8:9]
.LBB388_2813:                           ;   in Loop: Header=BB388_1330 Depth=1
	s_or_b64 exec, exec, s[28:29]
	v_lshlrev_b32_e32 v7, 16, v7
	v_mul_f32_e32 v7, v27, v7
	v_and_b32_e32 v12, 0x7f800000, v7
	v_cmp_ne_u32_e64 s[8:9], s15, v12
                                        ; implicit-def: $vgpr33
	s_and_saveexec_b64 s[28:29], s[8:9]
	s_xor_b64 s[8:9], exec, s[28:29]
; %bb.2814:                             ;   in Loop: Header=BB388_1330 Depth=1
	v_bfe_u32 v12, v7, 16, 1
	v_add3_u32 v33, v7, v12, s36
                                        ; implicit-def: $vgpr7
; %bb.2815:                             ;   in Loop: Header=BB388_1330 Depth=1
	s_andn2_saveexec_b64 s[28:29], s[8:9]
; %bb.2816:                             ;   in Loop: Header=BB388_1330 Depth=1
	v_or_b32_e32 v12, 0x10000, v7
	v_cmp_eq_u32_sdwa s[8:9], v7, v31 src0_sel:WORD_0 src1_sel:DWORD
	v_cndmask_b32_e64 v33, v12, v7, s[8:9]
; %bb.2817:                             ;   in Loop: Header=BB388_1330 Depth=1
	s_or_b64 exec, exec, s[28:29]
	v_lshlrev_b32_e32 v7, 16, v8
	v_mul_f32_e32 v7, v23, v7
	v_and_b32_e32 v8, 0x7f800000, v7
	v_cmp_ne_u32_e64 s[8:9], s15, v8
                                        ; implicit-def: $vgpr34
	s_and_saveexec_b64 s[28:29], s[8:9]
	s_xor_b64 s[8:9], exec, s[28:29]
; %bb.2818:                             ;   in Loop: Header=BB388_1330 Depth=1
	v_bfe_u32 v8, v7, 16, 1
	v_add3_u32 v34, v7, v8, s36
                                        ; implicit-def: $vgpr7
; %bb.2819:                             ;   in Loop: Header=BB388_1330 Depth=1
	s_andn2_saveexec_b64 s[28:29], s[8:9]
; %bb.2820:                             ;   in Loop: Header=BB388_1330 Depth=1
	v_or_b32_e32 v8, 0x10000, v7
	v_cmp_eq_u32_sdwa s[8:9], v7, v31 src0_sel:WORD_0 src1_sel:DWORD
	v_cndmask_b32_e64 v34, v8, v7, s[8:9]
; %bb.2821:                             ;   in Loop: Header=BB388_1330 Depth=1
	s_or_b64 exec, exec, s[28:29]
	v_lshlrev_b32_e32 v7, 16, v21
	v_mul_f32_e32 v7, v55, v7
	v_and_b32_e32 v8, 0x7f800000, v7
	v_cmp_ne_u32_e64 s[8:9], s15, v8
                                        ; implicit-def: $vgpr35
	s_and_saveexec_b64 s[28:29], s[8:9]
	s_xor_b64 s[8:9], exec, s[28:29]
; %bb.2822:                             ;   in Loop: Header=BB388_1330 Depth=1
	v_bfe_u32 v8, v7, 16, 1
	v_add3_u32 v35, v7, v8, s36
                                        ; implicit-def: $vgpr7
; %bb.2823:                             ;   in Loop: Header=BB388_1330 Depth=1
	s_andn2_saveexec_b64 s[28:29], s[8:9]
; %bb.2824:                             ;   in Loop: Header=BB388_1330 Depth=1
	v_or_b32_e32 v8, 0x10000, v7
	v_cmp_eq_u32_sdwa s[8:9], v7, v31 src0_sel:WORD_0 src1_sel:DWORD
	v_cndmask_b32_e64 v35, v8, v7, s[8:9]
; %bb.2825:                             ;   in Loop: Header=BB388_1330 Depth=1
	s_or_b64 exec, exec, s[28:29]
	v_lshlrev_b32_e32 v7, 16, v22
	v_mul_f32_e32 v7, v48, v7
	v_and_b32_e32 v8, 0x7f800000, v7
	v_cmp_ne_u32_e64 s[8:9], s15, v8
                                        ; implicit-def: $vgpr36
	s_and_saveexec_b64 s[28:29], s[8:9]
	s_xor_b64 s[8:9], exec, s[28:29]
; %bb.2826:                             ;   in Loop: Header=BB388_1330 Depth=1
	v_bfe_u32 v8, v7, 16, 1
	v_add3_u32 v36, v7, v8, s36
                                        ; implicit-def: $vgpr7
; %bb.2827:                             ;   in Loop: Header=BB388_1330 Depth=1
	s_andn2_saveexec_b64 s[28:29], s[8:9]
; %bb.2828:                             ;   in Loop: Header=BB388_1330 Depth=1
	v_or_b32_e32 v8, 0x10000, v7
	v_cmp_eq_u32_sdwa s[8:9], v7, v31 src0_sel:WORD_0 src1_sel:DWORD
	v_cndmask_b32_e64 v36, v8, v7, s[8:9]
; %bb.2829:                             ;   in Loop: Header=BB388_1330 Depth=1
	s_or_b64 exec, exec, s[28:29]
	v_lshlrev_b32_e32 v7, 16, v15
	v_mul_f32_e32 v7, v62, v7
	v_and_b32_e32 v8, 0x7f800000, v7
	v_cmp_ne_u32_e64 s[8:9], s15, v8
                                        ; implicit-def: $vgpr37
	s_and_saveexec_b64 s[28:29], s[8:9]
	s_xor_b64 s[8:9], exec, s[28:29]
; %bb.2830:                             ;   in Loop: Header=BB388_1330 Depth=1
	v_bfe_u32 v8, v7, 16, 1
	v_add3_u32 v37, v7, v8, s36
                                        ; implicit-def: $vgpr7
; %bb.2831:                             ;   in Loop: Header=BB388_1330 Depth=1
	s_andn2_saveexec_b64 s[28:29], s[8:9]
; %bb.2832:                             ;   in Loop: Header=BB388_1330 Depth=1
	v_or_b32_e32 v8, 0x10000, v7
	v_cmp_eq_u32_sdwa s[8:9], v7, v31 src0_sel:WORD_0 src1_sel:DWORD
	v_cndmask_b32_e64 v37, v8, v7, s[8:9]
; %bb.2833:                             ;   in Loop: Header=BB388_1330 Depth=1
	s_or_b64 exec, exec, s[28:29]
	v_lshlrev_b32_e32 v6, 16, v6
	v_mul_f32_e32 v6, v5, v6
	v_and_b32_e32 v7, 0x7f800000, v6
	v_cmp_ne_u32_e64 s[8:9], s15, v7
                                        ; implicit-def: $vgpr38
	s_and_saveexec_b64 s[28:29], s[8:9]
	s_xor_b64 s[8:9], exec, s[28:29]
; %bb.2834:                             ;   in Loop: Header=BB388_1330 Depth=1
	v_bfe_u32 v7, v6, 16, 1
	v_add3_u32 v38, v6, v7, s36
                                        ; implicit-def: $vgpr6
; %bb.2835:                             ;   in Loop: Header=BB388_1330 Depth=1
	s_andn2_saveexec_b64 s[28:29], s[8:9]
; %bb.2836:                             ;   in Loop: Header=BB388_1330 Depth=1
	v_or_b32_e32 v7, 0x10000, v6
	v_cmp_eq_u32_sdwa s[8:9], v6, v31 src0_sel:WORD_0 src1_sel:DWORD
	v_cndmask_b32_e64 v38, v7, v6, s[8:9]
; %bb.2837:                             ;   in Loop: Header=BB388_1330 Depth=1
	s_or_b64 exec, exec, s[28:29]
	v_lshlrev_b32_e32 v3, 16, v3
	v_mul_f32_e32 v3, v10, v3
	v_and_b32_e32 v6, 0x7f800000, v3
	v_cmp_ne_u32_e64 s[8:9], s15, v6
                                        ; implicit-def: $vgpr39
	s_and_saveexec_b64 s[28:29], s[8:9]
	s_xor_b64 s[8:9], exec, s[28:29]
; %bb.2838:                             ;   in Loop: Header=BB388_1330 Depth=1
	v_bfe_u32 v6, v3, 16, 1
	v_add3_u32 v39, v3, v6, s36
                                        ; implicit-def: $vgpr3
; %bb.2839:                             ;   in Loop: Header=BB388_1330 Depth=1
	s_andn2_saveexec_b64 s[28:29], s[8:9]
; %bb.2840:                             ;   in Loop: Header=BB388_1330 Depth=1
	v_or_b32_e32 v6, 0x10000, v3
	v_cmp_eq_u32_sdwa s[8:9], v3, v31 src0_sel:WORD_0 src1_sel:DWORD
	v_cndmask_b32_e64 v39, v6, v3, s[8:9]
; %bb.2841:                             ;   in Loop: Header=BB388_1330 Depth=1
	s_or_b64 exec, exec, s[28:29]
	v_lshlrev_b32_e32 v2, 16, v2
	v_mul_f32_e32 v2, v11, v2
	v_and_b32_e32 v3, 0x7f800000, v2
	v_cmp_ne_u32_e64 s[8:9], s15, v3
                                        ; implicit-def: $vgpr42
	s_and_saveexec_b64 s[28:29], s[8:9]
	s_xor_b64 s[8:9], exec, s[28:29]
; %bb.2842:                             ;   in Loop: Header=BB388_1330 Depth=1
	v_bfe_u32 v3, v2, 16, 1
	v_add3_u32 v42, v2, v3, s36
                                        ; implicit-def: $vgpr2
; %bb.2843:                             ;   in Loop: Header=BB388_1330 Depth=1
	s_andn2_saveexec_b64 s[28:29], s[8:9]
; %bb.2844:                             ;   in Loop: Header=BB388_1330 Depth=1
	v_or_b32_e32 v3, 0x10000, v2
	v_cmp_eq_u32_sdwa s[8:9], v2, v31 src0_sel:WORD_0 src1_sel:DWORD
	v_cndmask_b32_e64 v42, v3, v2, s[8:9]
; %bb.2845:                             ;   in Loop: Header=BB388_1330 Depth=1
	s_or_b64 exec, exec, s[28:29]
	buffer_load_dword v2, off, s[0:3], s32 offset:552 ; 4-byte Folded Reload
	buffer_load_dword v3, off, s[0:3], s32 offset:556 ; 4-byte Folded Reload
	v_mov_b32_e32 v6, 0
	s_waitcnt vmcnt(1)
	v_add_co_u32_e64 v2, s[8:9], v0, v2
	s_waitcnt vmcnt(0)
	v_addc_co_u32_e64 v3, s[8:9], 0, v1, s[8:9]
	flat_load_dwordx2 v[2:3], v[2:3]
	s_waitcnt vmcnt(0) lgkmcnt(0)
	v_cmp_ne_u16_sdwa s[8:9], v2, v31 src0_sel:BYTE_0 src1_sel:DWORD
	s_and_saveexec_b64 s[28:29], s[8:9]
	s_cbranch_execz .LBB388_2851
; %bb.2846:                             ;   in Loop: Header=BB388_1330 Depth=1
	v_cmp_ne_u16_sdwa s[8:9], v2, s37 src0_sel:BYTE_0 src1_sel:DWORD
	v_bfrev_b32_e32 v6, 1
	s_and_saveexec_b64 s[30:31], s[8:9]
	s_cbranch_execz .LBB388_2850
; %bb.2847:                             ;   in Loop: Header=BB388_1330 Depth=1
	v_and_b32_e32 v7, 0x7f, v2
	v_cmp_ne_u32_e64 s[8:9], s38, v7
	v_mov_b32_e32 v6, 0x7f800001
	s_and_saveexec_b64 s[34:35], s[8:9]
	s_cbranch_execz .LBB388_2849
; %bb.2848:                             ;   in Loop: Header=BB388_1330 Depth=1
	v_and_b32_e32 v6, 7, v2
	v_ffbh_u32_e32 v6, v6
	v_min_u32_e32 v6, 32, v6
	v_lshrrev_b32_e32 v8, 3, v7
	v_cmp_gt_u32_e64 s[8:9], 8, v7
	v_subrev_u32_e32 v7, 28, v6
	v_sub_u32_e32 v6, 29, v6
	v_cndmask_b32_e64 v8, v8, v6, s[8:9]
	v_cndmask_b32_e64 v6, 0, v7, s[8:9]
	v_lshlrev_b64 v[6:7], v6, v[2:3]
	v_lshlrev_b32_e32 v6, 20, v6
	v_lshlrev_b32_e32 v7, 24, v2
	v_and_b32_e32 v6, 0x700000, v6
	v_and_b32_e32 v7, 0x80000000, v7
	v_lshl_add_u32 v8, v8, 23, v61
	v_or3_b32 v6, v7, v8, v6
.LBB388_2849:                           ;   in Loop: Header=BB388_1330 Depth=1
	s_or_b64 exec, exec, s[34:35]
.LBB388_2850:                           ;   in Loop: Header=BB388_1330 Depth=1
	s_or_b64 exec, exec, s[30:31]
.LBB388_2851:                           ;   in Loop: Header=BB388_1330 Depth=1
	s_or_b64 exec, exec, s[28:29]
	v_mul_f32_e32 v6, v9, v6
	v_and_b32_e32 v7, 0x7f800000, v6
	v_cmp_ne_u32_e64 s[8:9], s15, v7
                                        ; implicit-def: $vgpr7
	s_and_saveexec_b64 s[28:29], s[8:9]
	s_xor_b64 s[8:9], exec, s[28:29]
; %bb.2852:                             ;   in Loop: Header=BB388_1330 Depth=1
	v_bfe_u32 v7, v6, 16, 1
	v_add3_u32 v7, v6, v7, s36
                                        ; implicit-def: $vgpr6
; %bb.2853:                             ;   in Loop: Header=BB388_1330 Depth=1
	s_andn2_saveexec_b64 s[28:29], s[8:9]
; %bb.2854:                             ;   in Loop: Header=BB388_1330 Depth=1
	v_or_b32_e32 v7, 0x10000, v6
	v_cmp_eq_u32_sdwa s[8:9], v6, v31 src0_sel:WORD_0 src1_sel:DWORD
	v_cndmask_b32_e64 v7, v7, v6, s[8:9]
; %bb.2855:                             ;   in Loop: Header=BB388_1330 Depth=1
	s_or_b64 exec, exec, s[28:29]
	v_lshrrev_b16_e32 v6, 8, v2
	v_cmp_ne_u16_e64 s[8:9], 0, v6
	v_mov_b32_e32 v8, 0
	s_and_saveexec_b64 s[28:29], s[8:9]
	s_cbranch_execz .LBB388_2861
; %bb.2856:                             ;   in Loop: Header=BB388_1330 Depth=1
	v_cmp_ne_u16_e64 s[8:9], s37, v6
	v_bfrev_b32_e32 v8, 1
	s_and_saveexec_b64 s[30:31], s[8:9]
	s_cbranch_execz .LBB388_2860
; %bb.2857:                             ;   in Loop: Header=BB388_1330 Depth=1
	v_and_b32_e32 v15, 0x7f, v6
	v_cmp_ne_u32_e64 s[8:9], s38, v15
	v_mov_b32_e32 v8, 0x7f800001
	s_and_saveexec_b64 s[34:35], s[8:9]
	s_cbranch_execz .LBB388_2859
; %bb.2858:                             ;   in Loop: Header=BB388_1330 Depth=1
	v_and_b32_e32 v8, 7, v6
	v_ffbh_u32_e32 v13, v8
	v_min_u32_e32 v13, 32, v13
	v_lshrrev_b32_e32 v12, 3, v15
	v_cmp_gt_u32_e64 s[8:9], 8, v15
	v_subrev_u32_e32 v15, 28, v13
	v_lshlrev_b64 v[28:29], v15, v[6:7]
	v_sub_u32_e32 v6, 29, v13
	v_and_b32_e32 v13, 7, v28
	v_cndmask_b32_e64 v6, v12, v6, s[8:9]
	v_cndmask_b32_e64 v8, v8, v13, s[8:9]
	v_lshlrev_b32_e32 v12, 16, v2
	v_lshlrev_b32_e32 v8, 20, v8
	v_and_b32_e32 v12, 0x80000000, v12
	v_lshl_add_u32 v6, v6, 23, v61
	v_or3_b32 v8, v12, v6, v8
.LBB388_2859:                           ;   in Loop: Header=BB388_1330 Depth=1
	s_or_b64 exec, exec, s[34:35]
.LBB388_2860:                           ;   in Loop: Header=BB388_1330 Depth=1
	s_or_b64 exec, exec, s[30:31]
.LBB388_2861:                           ;   in Loop: Header=BB388_1330 Depth=1
	s_or_b64 exec, exec, s[28:29]
	v_mul_f32_e32 v6, v9, v8
	v_and_b32_e32 v8, 0x7f800000, v6
	v_cmp_ne_u32_e64 s[8:9], s15, v8
                                        ; implicit-def: $vgpr8
	s_and_saveexec_b64 s[28:29], s[8:9]
	s_xor_b64 s[8:9], exec, s[28:29]
; %bb.2862:                             ;   in Loop: Header=BB388_1330 Depth=1
	v_bfe_u32 v8, v6, 16, 1
	v_add3_u32 v8, v6, v8, s36
                                        ; implicit-def: $vgpr6
; %bb.2863:                             ;   in Loop: Header=BB388_1330 Depth=1
	s_andn2_saveexec_b64 s[28:29], s[8:9]
; %bb.2864:                             ;   in Loop: Header=BB388_1330 Depth=1
	v_or_b32_e32 v8, 0x10000, v6
	v_cmp_eq_u32_sdwa s[8:9], v6, v31 src0_sel:WORD_0 src1_sel:DWORD
	v_cndmask_b32_e64 v8, v8, v6, s[8:9]
; %bb.2865:                             ;   in Loop: Header=BB388_1330 Depth=1
	s_or_b64 exec, exec, s[28:29]
	v_lshrrev_b32_e32 v6, 16, v2
	v_cmp_ne_u16_sdwa s[8:9], v6, v31 src0_sel:BYTE_0 src1_sel:DWORD
	v_mov_b32_e32 v15, 0
	s_and_saveexec_b64 s[28:29], s[8:9]
	s_cbranch_execz .LBB388_2871
; %bb.2866:                             ;   in Loop: Header=BB388_1330 Depth=1
	v_cmp_ne_u16_sdwa s[8:9], v6, s37 src0_sel:BYTE_0 src1_sel:DWORD
	v_bfrev_b32_e32 v15, 1
	s_and_saveexec_b64 s[30:31], s[8:9]
	s_cbranch_execz .LBB388_2870
; %bb.2867:                             ;   in Loop: Header=BB388_1330 Depth=1
	v_bfe_u32 v21, v2, 16, 7
	v_cmp_ne_u32_e64 s[8:9], s38, v21
	v_mov_b32_e32 v15, 0x7f800001
	s_and_saveexec_b64 s[34:35], s[8:9]
	s_cbranch_execz .LBB388_2869
; %bb.2868:                             ;   in Loop: Header=BB388_1330 Depth=1
	v_and_b32_e32 v12, 7, v6
	v_ffbh_u32_e32 v15, v12
	v_min_u32_e32 v15, 32, v15
	v_lshrrev_b32_e32 v13, 3, v21
	v_cmp_gt_u32_e64 s[8:9], 8, v21
	v_subrev_u32_e32 v21, 28, v15
	v_lshlrev_b64 v[28:29], v21, v[6:7]
	v_sub_u32_e32 v15, 29, v15
	v_and_b32_e32 v21, 7, v28
	v_cndmask_b32_e64 v13, v13, v15, s[8:9]
	v_cndmask_b32_e64 v12, v12, v21, s[8:9]
	v_lshlrev_b32_e32 v6, 24, v6
	v_lshlrev_b32_e32 v12, 20, v12
	v_and_b32_e32 v6, 0x80000000, v6
	v_lshl_add_u32 v13, v13, 23, v61
	v_or3_b32 v15, v6, v13, v12
.LBB388_2869:                           ;   in Loop: Header=BB388_1330 Depth=1
	s_or_b64 exec, exec, s[34:35]
.LBB388_2870:                           ;   in Loop: Header=BB388_1330 Depth=1
	s_or_b64 exec, exec, s[30:31]
.LBB388_2871:                           ;   in Loop: Header=BB388_1330 Depth=1
	s_or_b64 exec, exec, s[28:29]
	v_mul_f32_e32 v6, v9, v15
	v_and_b32_e32 v12, 0x7f800000, v6
	v_cmp_ne_u32_e64 s[8:9], s15, v12
                                        ; implicit-def: $vgpr21
	s_and_saveexec_b64 s[28:29], s[8:9]
	s_xor_b64 s[8:9], exec, s[28:29]
; %bb.2872:                             ;   in Loop: Header=BB388_1330 Depth=1
	v_bfe_u32 v12, v6, 16, 1
	v_add3_u32 v21, v6, v12, s36
                                        ; implicit-def: $vgpr6
; %bb.2873:                             ;   in Loop: Header=BB388_1330 Depth=1
	s_andn2_saveexec_b64 s[28:29], s[8:9]
; %bb.2874:                             ;   in Loop: Header=BB388_1330 Depth=1
	v_or_b32_e32 v12, 0x10000, v6
	v_cmp_eq_u32_sdwa s[8:9], v6, v31 src0_sel:WORD_0 src1_sel:DWORD
	v_cndmask_b32_e64 v21, v12, v6, s[8:9]
; %bb.2875:                             ;   in Loop: Header=BB388_1330 Depth=1
	s_or_b64 exec, exec, s[28:29]
	v_cmp_lt_u32_e64 s[8:9], s17, v2
	v_mov_b32_e32 v15, 0
	s_and_saveexec_b64 s[28:29], s[8:9]
	s_cbranch_execz .LBB388_2881
; %bb.2876:                             ;   in Loop: Header=BB388_1330 Depth=1
	v_lshrrev_b32_e32 v6, 24, v2
	v_cmp_ne_u32_e64 s[8:9], s37, v6
	v_bfrev_b32_e32 v15, 1
	s_and_saveexec_b64 s[30:31], s[8:9]
	s_cbranch_execz .LBB388_2880
; %bb.2877:                             ;   in Loop: Header=BB388_1330 Depth=1
	v_bfe_u32 v22, v2, 24, 7
	v_cmp_ne_u32_e64 s[8:9], s38, v22
	v_mov_b32_e32 v15, 0x7f800001
	s_and_saveexec_b64 s[34:35], s[8:9]
	s_cbranch_execz .LBB388_2879
; %bb.2878:                             ;   in Loop: Header=BB388_1330 Depth=1
	v_and_b32_e32 v12, 7, v6
	v_ffbh_u32_e32 v15, v12
	v_min_u32_e32 v15, 32, v15
	v_lshrrev_b32_e32 v13, 3, v22
	v_cmp_gt_u32_e64 s[8:9], 8, v22
	v_subrev_u32_e32 v22, 28, v15
	v_lshlrev_b64 v[28:29], v22, v[6:7]
	v_sub_u32_e32 v15, 29, v15
	v_and_b32_e32 v22, 7, v28
	v_cndmask_b32_e64 v13, v13, v15, s[8:9]
	v_cndmask_b32_e64 v12, v12, v22, s[8:9]
	v_lshlrev_b32_e32 v6, 24, v6
	v_lshlrev_b32_e32 v12, 20, v12
	v_and_b32_e32 v6, 0x80000000, v6
	v_lshl_add_u32 v13, v13, 23, v61
	v_or3_b32 v15, v6, v13, v12
.LBB388_2879:                           ;   in Loop: Header=BB388_1330 Depth=1
	s_or_b64 exec, exec, s[34:35]
.LBB388_2880:                           ;   in Loop: Header=BB388_1330 Depth=1
	s_or_b64 exec, exec, s[30:31]
.LBB388_2881:                           ;   in Loop: Header=BB388_1330 Depth=1
	s_or_b64 exec, exec, s[28:29]
	v_mul_f32_e32 v6, v9, v15
	v_and_b32_e32 v12, 0x7f800000, v6
	v_cmp_ne_u32_e64 s[8:9], s15, v12
                                        ; implicit-def: $vgpr22
	s_and_saveexec_b64 s[28:29], s[8:9]
	s_xor_b64 s[8:9], exec, s[28:29]
; %bb.2882:                             ;   in Loop: Header=BB388_1330 Depth=1
	v_bfe_u32 v12, v6, 16, 1
	v_add3_u32 v22, v6, v12, s36
                                        ; implicit-def: $vgpr6
; %bb.2883:                             ;   in Loop: Header=BB388_1330 Depth=1
	s_andn2_saveexec_b64 s[28:29], s[8:9]
; %bb.2884:                             ;   in Loop: Header=BB388_1330 Depth=1
	v_or_b32_e32 v12, 0x10000, v6
	v_cmp_eq_u32_sdwa s[8:9], v6, v31 src0_sel:WORD_0 src1_sel:DWORD
	v_cndmask_b32_e64 v22, v12, v6, s[8:9]
; %bb.2885:                             ;   in Loop: Header=BB388_1330 Depth=1
	s_or_b64 exec, exec, s[28:29]
	v_mov_b32_e32 v30, v3
	v_cmp_ne_u16_sdwa s[8:9], v3, v31 src0_sel:BYTE_0 src1_sel:DWORD
	v_mov_b32_e32 v6, 0
	s_and_saveexec_b64 s[28:29], s[8:9]
	s_cbranch_execz .LBB388_2891
; %bb.2886:                             ;   in Loop: Header=BB388_1330 Depth=1
	v_cmp_ne_u16_sdwa s[8:9], v3, s37 src0_sel:BYTE_0 src1_sel:DWORD
	v_bfrev_b32_e32 v6, 1
	s_and_saveexec_b64 s[30:31], s[8:9]
	s_cbranch_execz .LBB388_2890
; %bb.2887:                             ;   in Loop: Header=BB388_1330 Depth=1
	v_and_b32_e32 v15, 0x7f, v3
	v_cmp_ne_u32_e64 s[8:9], s38, v15
	v_mov_b32_e32 v6, 0x7f800001
	s_and_saveexec_b64 s[34:35], s[8:9]
	s_cbranch_execz .LBB388_2889
; %bb.2888:                             ;   in Loop: Header=BB388_1330 Depth=1
	v_and_b32_e32 v6, 7, v3
	v_ffbh_u32_e32 v6, v6
	v_min_u32_e32 v6, 32, v6
	v_lshrrev_b32_e32 v12, 3, v15
	v_cmp_gt_u32_e64 s[8:9], 8, v15
	v_subrev_u32_e32 v13, 28, v6
	v_sub_u32_e32 v6, 29, v6
	v_cndmask_b32_e64 v6, v12, v6, s[8:9]
	v_cndmask_b32_e64 v12, 0, v13, s[8:9]
	v_lshlrev_b64 v[28:29], v12, v[30:31]
	v_lshlrev_b32_e32 v12, 20, v28
	v_lshlrev_b32_e32 v13, 24, v30
	v_and_b32_e32 v12, 0x700000, v12
	v_and_b32_e32 v13, 0x80000000, v13
	v_lshl_add_u32 v6, v6, 23, v61
	v_or3_b32 v6, v13, v6, v12
.LBB388_2889:                           ;   in Loop: Header=BB388_1330 Depth=1
	s_or_b64 exec, exec, s[34:35]
.LBB388_2890:                           ;   in Loop: Header=BB388_1330 Depth=1
	s_or_b64 exec, exec, s[30:31]
.LBB388_2891:                           ;   in Loop: Header=BB388_1330 Depth=1
	s_or_b64 exec, exec, s[28:29]
	v_mul_f32_e32 v6, v9, v6
	v_and_b32_e32 v12, 0x7f800000, v6
	v_cmp_ne_u32_e64 s[8:9], s15, v12
                                        ; implicit-def: $vgpr26
	s_and_saveexec_b64 s[28:29], s[8:9]
	s_xor_b64 s[8:9], exec, s[28:29]
; %bb.2892:                             ;   in Loop: Header=BB388_1330 Depth=1
	v_bfe_u32 v12, v6, 16, 1
	v_add3_u32 v26, v6, v12, s36
                                        ; implicit-def: $vgpr6
; %bb.2893:                             ;   in Loop: Header=BB388_1330 Depth=1
	s_andn2_saveexec_b64 s[28:29], s[8:9]
; %bb.2894:                             ;   in Loop: Header=BB388_1330 Depth=1
	v_or_b32_e32 v12, 0x10000, v6
	v_cmp_eq_u32_sdwa s[8:9], v6, v31 src0_sel:WORD_0 src1_sel:DWORD
	v_cndmask_b32_e64 v26, v12, v6, s[8:9]
; %bb.2895:                             ;   in Loop: Header=BB388_1330 Depth=1
	s_or_b64 exec, exec, s[28:29]
	v_lshrrev_b16_e32 v6, 8, v30
	v_cmp_ne_u16_e64 s[8:9], 0, v6
	v_mov_b32_e32 v15, 0
	s_and_saveexec_b64 s[28:29], s[8:9]
	s_cbranch_execz .LBB388_2901
; %bb.2896:                             ;   in Loop: Header=BB388_1330 Depth=1
	v_cmp_ne_u16_e64 s[8:9], s37, v6
	v_bfrev_b32_e32 v15, 1
	s_and_saveexec_b64 s[30:31], s[8:9]
	s_cbranch_execz .LBB388_2900
; %bb.2897:                             ;   in Loop: Header=BB388_1330 Depth=1
	v_and_b32_e32 v28, 0x7f, v6
	v_cmp_ne_u32_e64 s[8:9], s38, v28
	v_mov_b32_e32 v15, 0x7f800001
	s_and_saveexec_b64 s[34:35], s[8:9]
	s_cbranch_execz .LBB388_2899
; %bb.2898:                             ;   in Loop: Header=BB388_1330 Depth=1
	v_and_b32_e32 v12, 7, v6
	v_ffbh_u32_e32 v15, v12
	v_min_u32_e32 v15, 32, v15
	v_lshrrev_b32_e32 v13, 3, v28
	v_cmp_gt_u32_e64 s[8:9], 8, v28
	v_subrev_u32_e32 v28, 28, v15
	v_lshlrev_b64 v[28:29], v28, v[6:7]
	v_sub_u32_e32 v6, 29, v15
	v_and_b32_e32 v15, 7, v28
	v_cndmask_b32_e64 v6, v13, v6, s[8:9]
	v_cndmask_b32_e64 v12, v12, v15, s[8:9]
	v_lshlrev_b32_e32 v13, 16, v30
	v_lshlrev_b32_e32 v12, 20, v12
	v_and_b32_e32 v13, 0x80000000, v13
	v_lshl_add_u32 v6, v6, 23, v61
	v_or3_b32 v15, v13, v6, v12
.LBB388_2899:                           ;   in Loop: Header=BB388_1330 Depth=1
	s_or_b64 exec, exec, s[34:35]
.LBB388_2900:                           ;   in Loop: Header=BB388_1330 Depth=1
	s_or_b64 exec, exec, s[30:31]
.LBB388_2901:                           ;   in Loop: Header=BB388_1330 Depth=1
	s_or_b64 exec, exec, s[28:29]
	v_mul_f32_e32 v6, v9, v15
	v_and_b32_e32 v12, 0x7f800000, v6
	v_cmp_ne_u32_e64 s[8:9], s15, v12
                                        ; implicit-def: $vgpr28
	s_and_saveexec_b64 s[28:29], s[8:9]
	s_xor_b64 s[8:9], exec, s[28:29]
; %bb.2902:                             ;   in Loop: Header=BB388_1330 Depth=1
	v_bfe_u32 v12, v6, 16, 1
	v_add3_u32 v28, v6, v12, s36
                                        ; implicit-def: $vgpr6
; %bb.2903:                             ;   in Loop: Header=BB388_1330 Depth=1
	s_andn2_saveexec_b64 s[28:29], s[8:9]
; %bb.2904:                             ;   in Loop: Header=BB388_1330 Depth=1
	v_or_b32_e32 v12, 0x10000, v6
	v_cmp_eq_u32_sdwa s[8:9], v6, v31 src0_sel:WORD_0 src1_sel:DWORD
	v_cndmask_b32_e64 v28, v12, v6, s[8:9]
; %bb.2905:                             ;   in Loop: Header=BB388_1330 Depth=1
	s_or_b64 exec, exec, s[28:29]
	v_lshrrev_b32_e32 v6, 16, v3
	v_cmp_ne_u16_sdwa s[8:9], v6, v31 src0_sel:BYTE_0 src1_sel:DWORD
	v_mov_b32_e32 v15, 0
	s_and_saveexec_b64 s[28:29], s[8:9]
	s_cbranch_execz .LBB388_2911
; %bb.2906:                             ;   in Loop: Header=BB388_1330 Depth=1
	v_cmp_ne_u16_sdwa s[8:9], v6, s37 src0_sel:BYTE_0 src1_sel:DWORD
	v_bfrev_b32_e32 v15, 1
	s_and_saveexec_b64 s[30:31], s[8:9]
	s_cbranch_execz .LBB388_2910
; %bb.2907:                             ;   in Loop: Header=BB388_1330 Depth=1
	v_bfe_u32 v29, v3, 16, 7
	v_cmp_ne_u32_e64 s[8:9], s38, v29
	v_mov_b32_e32 v15, 0x7f800001
	s_and_saveexec_b64 s[34:35], s[8:9]
	s_cbranch_execz .LBB388_2909
; %bb.2908:                             ;   in Loop: Header=BB388_1330 Depth=1
	v_and_b32_e32 v12, 7, v6
	v_ffbh_u32_e32 v15, v12
	v_min_u32_e32 v15, 32, v15
	v_lshrrev_b32_e32 v13, 3, v29
	v_cmp_gt_u32_e64 s[8:9], 8, v29
	v_subrev_u32_e32 v29, 28, v15
	v_lshlrev_b64 v[44:45], v29, v[6:7]
	v_sub_u32_e32 v15, 29, v15
	v_and_b32_e32 v29, 7, v44
	v_cndmask_b32_e64 v13, v13, v15, s[8:9]
	v_cndmask_b32_e64 v12, v12, v29, s[8:9]
	v_lshlrev_b32_e32 v6, 24, v6
	v_lshlrev_b32_e32 v12, 20, v12
	v_and_b32_e32 v6, 0x80000000, v6
	v_lshl_add_u32 v13, v13, 23, v61
	v_or3_b32 v15, v6, v13, v12
.LBB388_2909:                           ;   in Loop: Header=BB388_1330 Depth=1
	s_or_b64 exec, exec, s[34:35]
.LBB388_2910:                           ;   in Loop: Header=BB388_1330 Depth=1
	s_or_b64 exec, exec, s[30:31]
.LBB388_2911:                           ;   in Loop: Header=BB388_1330 Depth=1
	s_or_b64 exec, exec, s[28:29]
	v_mul_f32_e32 v6, v9, v15
	v_and_b32_e32 v12, 0x7f800000, v6
	v_cmp_ne_u32_e64 s[8:9], s15, v12
                                        ; implicit-def: $vgpr29
	s_and_saveexec_b64 s[28:29], s[8:9]
	s_xor_b64 s[8:9], exec, s[28:29]
; %bb.2912:                             ;   in Loop: Header=BB388_1330 Depth=1
	v_bfe_u32 v12, v6, 16, 1
	v_add3_u32 v29, v6, v12, s36
                                        ; implicit-def: $vgpr6
; %bb.2913:                             ;   in Loop: Header=BB388_1330 Depth=1
	s_andn2_saveexec_b64 s[28:29], s[8:9]
; %bb.2914:                             ;   in Loop: Header=BB388_1330 Depth=1
	v_or_b32_e32 v12, 0x10000, v6
	v_cmp_eq_u32_sdwa s[8:9], v6, v31 src0_sel:WORD_0 src1_sel:DWORD
	v_cndmask_b32_e64 v29, v12, v6, s[8:9]
; %bb.2915:                             ;   in Loop: Header=BB388_1330 Depth=1
	s_or_b64 exec, exec, s[28:29]
	v_cmp_lt_u64_e64 s[8:9], s[16:17], v[2:3]
	v_mov_b32_e32 v6, 0
	s_and_saveexec_b64 s[28:29], s[8:9]
	s_cbranch_execz .LBB388_2921
; %bb.2916:                             ;   in Loop: Header=BB388_1330 Depth=1
	v_lshrrev_b32_e32 v2, 24, v3
	v_cmp_ne_u32_e64 s[8:9], s37, v2
	v_bfrev_b32_e32 v6, 1
	s_and_saveexec_b64 s[30:31], s[8:9]
	s_cbranch_execz .LBB388_2920
; %bb.2917:                             ;   in Loop: Header=BB388_1330 Depth=1
	v_bfe_u32 v3, v3, 24, 7
	v_cmp_ne_u32_e64 s[8:9], s38, v3
	v_mov_b32_e32 v6, 0x7f800001
	s_and_saveexec_b64 s[34:35], s[8:9]
	s_cbranch_execz .LBB388_2919
; %bb.2918:                             ;   in Loop: Header=BB388_1330 Depth=1
	v_and_b32_e32 v6, 7, v2
	v_lshrrev_b32_e32 v12, 3, v3
	v_cmp_gt_u32_e64 s[8:9], 8, v3
	v_ffbh_u32_e32 v3, v6
	v_min_u32_e32 v3, 32, v3
	v_subrev_u32_e32 v13, 28, v3
	v_lshlrev_b64 v[44:45], v13, v[2:3]
	v_sub_u32_e32 v3, 29, v3
	v_and_b32_e32 v13, 7, v44
	v_cndmask_b32_e64 v3, v12, v3, s[8:9]
	v_cndmask_b32_e64 v6, v6, v13, s[8:9]
	v_lshlrev_b32_e32 v2, 24, v2
	v_lshlrev_b32_e32 v6, 20, v6
	v_and_b32_e32 v2, 0x80000000, v2
	v_lshl_add_u32 v3, v3, 23, v61
	v_or3_b32 v6, v2, v3, v6
.LBB388_2919:                           ;   in Loop: Header=BB388_1330 Depth=1
	s_or_b64 exec, exec, s[34:35]
.LBB388_2920:                           ;   in Loop: Header=BB388_1330 Depth=1
	s_or_b64 exec, exec, s[30:31]
.LBB388_2921:                           ;   in Loop: Header=BB388_1330 Depth=1
	s_or_b64 exec, exec, s[28:29]
	v_mul_f32_e32 v3, v9, v6
	v_and_b32_e32 v2, 0x7f800000, v3
	v_cmp_ne_u32_e64 s[8:9], s15, v2
                                        ; implicit-def: $vgpr2
	s_and_saveexec_b64 s[28:29], s[8:9]
	s_xor_b64 s[8:9], exec, s[28:29]
; %bb.2922:                             ;   in Loop: Header=BB388_1330 Depth=1
	v_bfe_u32 v2, v3, 16, 1
	v_add3_u32 v2, v3, v2, s36
                                        ; implicit-def: $vgpr3
; %bb.2923:                             ;   in Loop: Header=BB388_1330 Depth=1
	s_andn2_saveexec_b64 s[28:29], s[8:9]
; %bb.2924:                             ;   in Loop: Header=BB388_1330 Depth=1
	v_or_b32_e32 v2, 0x10000, v3
	v_cmp_eq_u32_sdwa s[8:9], v3, v31 src0_sel:WORD_0 src1_sel:DWORD
	v_cndmask_b32_e64 v2, v2, v3, s[8:9]
; %bb.2925:                             ;   in Loop: Header=BB388_1330 Depth=1
	s_or_b64 exec, exec, s[28:29]
	v_lshrrev_b32_e32 v6, 16, v28
	v_lshrrev_b32_e32 v15, 16, v26
	;; [unrolled: 1-line block ×8, first 2 shown]
	s_and_saveexec_b64 s[28:29], vcc
	s_cbranch_execz .LBB388_2927
; %bb.2926:                             ;   in Loop: Header=BB388_1330 Depth=1
	buffer_load_dword v12, off, s[0:3], s32 offset:196 ; 4-byte Folded Reload
	v_accvgpr_read_b32 v13, a18
	s_waitcnt vmcnt(0)
	v_cmp_lt_i32_e64 s[8:9], v40, v12
	v_cndmask_b32_e64 v7, 0, v7, s[8:9]
	v_cmp_lt_i32_e64 s[8:9], v13, v12
	v_accvgpr_read_b32 v13, a63
	v_cndmask_b32_e64 v8, 0, v8, s[8:9]
	v_cmp_lt_i32_e64 s[8:9], v13, v12
	v_accvgpr_read_b32 v13, a62
	;; [unrolled: 3-line block ×5, first 2 shown]
	v_cndmask_b32_e64 v6, 0, v6, s[8:9]
	v_cmp_lt_i32_e64 s[8:9], v13, v12
	v_cndmask_b32_e64 v3, 0, v3, s[8:9]
	v_cmp_lt_i32_e64 s[8:9], v50, v12
	v_cndmask_b32_e64 v2, 0, v2, s[8:9]
.LBB388_2927:                           ;   in Loop: Header=BB388_1330 Depth=1
	s_or_b64 exec, exec, s[28:29]
	v_lshlrev_b32_e32 v7, 16, v7
	v_mul_f32_e32 v7, v27, v7
	v_and_b32_e32 v12, 0x7f800000, v7
	v_cmp_ne_u32_e64 s[8:9], s15, v12
                                        ; implicit-def: $vgpr44
	s_and_saveexec_b64 s[28:29], s[8:9]
	s_xor_b64 s[8:9], exec, s[28:29]
; %bb.2928:                             ;   in Loop: Header=BB388_1330 Depth=1
	v_bfe_u32 v12, v7, 16, 1
	v_add3_u32 v44, v7, v12, s36
                                        ; implicit-def: $vgpr7
; %bb.2929:                             ;   in Loop: Header=BB388_1330 Depth=1
	s_andn2_saveexec_b64 s[28:29], s[8:9]
; %bb.2930:                             ;   in Loop: Header=BB388_1330 Depth=1
	v_or_b32_e32 v12, 0x10000, v7
	v_cmp_eq_u32_sdwa s[8:9], v7, v31 src0_sel:WORD_0 src1_sel:DWORD
	v_cndmask_b32_e64 v44, v12, v7, s[8:9]
; %bb.2931:                             ;   in Loop: Header=BB388_1330 Depth=1
	s_or_b64 exec, exec, s[28:29]
	v_lshlrev_b32_e32 v7, 16, v8
	v_mul_f32_e32 v7, v23, v7
	v_and_b32_e32 v8, 0x7f800000, v7
	v_cmp_ne_u32_e64 s[8:9], s15, v8
                                        ; implicit-def: $vgpr46
	s_and_saveexec_b64 s[28:29], s[8:9]
	s_xor_b64 s[8:9], exec, s[28:29]
; %bb.2932:                             ;   in Loop: Header=BB388_1330 Depth=1
	v_bfe_u32 v8, v7, 16, 1
	v_add3_u32 v46, v7, v8, s36
                                        ; implicit-def: $vgpr7
; %bb.2933:                             ;   in Loop: Header=BB388_1330 Depth=1
	s_andn2_saveexec_b64 s[28:29], s[8:9]
; %bb.2934:                             ;   in Loop: Header=BB388_1330 Depth=1
	v_or_b32_e32 v8, 0x10000, v7
	v_cmp_eq_u32_sdwa s[8:9], v7, v31 src0_sel:WORD_0 src1_sel:DWORD
	v_cndmask_b32_e64 v46, v8, v7, s[8:9]
; %bb.2935:                             ;   in Loop: Header=BB388_1330 Depth=1
	s_or_b64 exec, exec, s[28:29]
	v_lshlrev_b32_e32 v7, 16, v21
	v_mul_f32_e32 v7, v55, v7
	v_and_b32_e32 v8, 0x7f800000, v7
	v_cmp_ne_u32_e64 s[8:9], s15, v8
                                        ; implicit-def: $vgpr56
	s_and_saveexec_b64 s[28:29], s[8:9]
	s_xor_b64 s[8:9], exec, s[28:29]
; %bb.2936:                             ;   in Loop: Header=BB388_1330 Depth=1
	v_bfe_u32 v8, v7, 16, 1
	v_add3_u32 v56, v7, v8, s36
                                        ; implicit-def: $vgpr7
; %bb.2937:                             ;   in Loop: Header=BB388_1330 Depth=1
	s_andn2_saveexec_b64 s[28:29], s[8:9]
; %bb.2938:                             ;   in Loop: Header=BB388_1330 Depth=1
	v_or_b32_e32 v8, 0x10000, v7
	v_cmp_eq_u32_sdwa s[8:9], v7, v31 src0_sel:WORD_0 src1_sel:DWORD
	v_cndmask_b32_e64 v56, v8, v7, s[8:9]
; %bb.2939:                             ;   in Loop: Header=BB388_1330 Depth=1
	s_or_b64 exec, exec, s[28:29]
	v_lshlrev_b32_e32 v7, 16, v22
	v_mul_f32_e32 v7, v48, v7
	v_and_b32_e32 v8, 0x7f800000, v7
	v_cmp_ne_u32_e64 s[8:9], s15, v8
                                        ; implicit-def: $vgpr49
	s_and_saveexec_b64 s[28:29], s[8:9]
	s_xor_b64 s[8:9], exec, s[28:29]
; %bb.2940:                             ;   in Loop: Header=BB388_1330 Depth=1
	v_bfe_u32 v8, v7, 16, 1
	v_add3_u32 v49, v7, v8, s36
                                        ; implicit-def: $vgpr7
; %bb.2941:                             ;   in Loop: Header=BB388_1330 Depth=1
	s_andn2_saveexec_b64 s[28:29], s[8:9]
; %bb.2942:                             ;   in Loop: Header=BB388_1330 Depth=1
	v_or_b32_e32 v8, 0x10000, v7
	v_cmp_eq_u32_sdwa s[8:9], v7, v31 src0_sel:WORD_0 src1_sel:DWORD
	v_cndmask_b32_e64 v49, v8, v7, s[8:9]
; %bb.2943:                             ;   in Loop: Header=BB388_1330 Depth=1
	s_or_b64 exec, exec, s[28:29]
	v_lshlrev_b32_e32 v7, 16, v15
	v_mul_f32_e32 v7, v62, v7
	v_and_b32_e32 v8, 0x7f800000, v7
	v_cmp_ne_u32_e64 s[8:9], s15, v8
                                        ; implicit-def: $vgpr57
	s_and_saveexec_b64 s[28:29], s[8:9]
	s_xor_b64 s[8:9], exec, s[28:29]
; %bb.2944:                             ;   in Loop: Header=BB388_1330 Depth=1
	v_bfe_u32 v8, v7, 16, 1
	v_add3_u32 v57, v7, v8, s36
                                        ; implicit-def: $vgpr7
; %bb.2945:                             ;   in Loop: Header=BB388_1330 Depth=1
	s_andn2_saveexec_b64 s[28:29], s[8:9]
; %bb.2946:                             ;   in Loop: Header=BB388_1330 Depth=1
	v_or_b32_e32 v8, 0x10000, v7
	v_cmp_eq_u32_sdwa s[8:9], v7, v31 src0_sel:WORD_0 src1_sel:DWORD
	v_cndmask_b32_e64 v57, v8, v7, s[8:9]
; %bb.2947:                             ;   in Loop: Header=BB388_1330 Depth=1
	s_or_b64 exec, exec, s[28:29]
	v_lshlrev_b32_e32 v6, 16, v6
	v_mul_f32_e32 v6, v5, v6
	v_and_b32_e32 v7, 0x7f800000, v6
	v_cmp_ne_u32_e64 s[8:9], s15, v7
                                        ; implicit-def: $vgpr58
	s_and_saveexec_b64 s[28:29], s[8:9]
	s_xor_b64 s[8:9], exec, s[28:29]
; %bb.2948:                             ;   in Loop: Header=BB388_1330 Depth=1
	v_bfe_u32 v7, v6, 16, 1
	v_add3_u32 v58, v6, v7, s36
                                        ; implicit-def: $vgpr6
; %bb.2949:                             ;   in Loop: Header=BB388_1330 Depth=1
	s_andn2_saveexec_b64 s[28:29], s[8:9]
; %bb.2950:                             ;   in Loop: Header=BB388_1330 Depth=1
	v_or_b32_e32 v7, 0x10000, v6
	v_cmp_eq_u32_sdwa s[8:9], v6, v31 src0_sel:WORD_0 src1_sel:DWORD
	v_cndmask_b32_e64 v58, v7, v6, s[8:9]
; %bb.2951:                             ;   in Loop: Header=BB388_1330 Depth=1
	s_or_b64 exec, exec, s[28:29]
	v_lshlrev_b32_e32 v3, 16, v3
	v_mul_f32_e32 v3, v10, v3
	v_and_b32_e32 v6, 0x7f800000, v3
	v_cmp_ne_u32_e64 s[8:9], s15, v6
                                        ; implicit-def: $vgpr47
	s_and_saveexec_b64 s[28:29], s[8:9]
	s_xor_b64 s[8:9], exec, s[28:29]
; %bb.2952:                             ;   in Loop: Header=BB388_1330 Depth=1
	v_bfe_u32 v6, v3, 16, 1
	v_add3_u32 v47, v3, v6, s36
                                        ; implicit-def: $vgpr3
; %bb.2953:                             ;   in Loop: Header=BB388_1330 Depth=1
	s_andn2_saveexec_b64 s[28:29], s[8:9]
; %bb.2954:                             ;   in Loop: Header=BB388_1330 Depth=1
	v_or_b32_e32 v6, 0x10000, v3
	v_cmp_eq_u32_sdwa s[8:9], v3, v31 src0_sel:WORD_0 src1_sel:DWORD
	v_cndmask_b32_e64 v47, v6, v3, s[8:9]
; %bb.2955:                             ;   in Loop: Header=BB388_1330 Depth=1
	s_or_b64 exec, exec, s[28:29]
	v_lshlrev_b32_e32 v2, 16, v2
	v_mul_f32_e32 v2, v11, v2
	v_and_b32_e32 v3, 0x7f800000, v2
	v_cmp_ne_u32_e64 s[8:9], s15, v3
                                        ; implicit-def: $vgpr21
	s_and_saveexec_b64 s[28:29], s[8:9]
	s_xor_b64 s[8:9], exec, s[28:29]
; %bb.2956:                             ;   in Loop: Header=BB388_1330 Depth=1
	v_bfe_u32 v3, v2, 16, 1
	v_add3_u32 v21, v2, v3, s36
                                        ; implicit-def: $vgpr2
; %bb.2957:                             ;   in Loop: Header=BB388_1330 Depth=1
	s_andn2_saveexec_b64 s[28:29], s[8:9]
; %bb.2958:                             ;   in Loop: Header=BB388_1330 Depth=1
	v_or_b32_e32 v3, 0x10000, v2
	v_cmp_eq_u32_sdwa s[8:9], v2, v31 src0_sel:WORD_0 src1_sel:DWORD
	v_cndmask_b32_e64 v21, v3, v2, s[8:9]
; %bb.2959:                             ;   in Loop: Header=BB388_1330 Depth=1
	s_or_b64 exec, exec, s[28:29]
	buffer_load_dword v2, off, s[0:3], s32 offset:568 ; 4-byte Folded Reload
	buffer_load_dword v3, off, s[0:3], s32 offset:572 ; 4-byte Folded Reload
	v_mov_b32_e32 v6, 0
	s_waitcnt vmcnt(1)
	v_add_co_u32_e64 v2, s[8:9], v0, v2
	s_waitcnt vmcnt(0)
	v_addc_co_u32_e64 v3, s[8:9], 0, v1, s[8:9]
	flat_load_dwordx2 v[2:3], v[2:3]
	s_waitcnt vmcnt(0) lgkmcnt(0)
	v_cmp_ne_u16_sdwa s[8:9], v2, v31 src0_sel:BYTE_0 src1_sel:DWORD
	s_and_saveexec_b64 s[28:29], s[8:9]
	s_cbranch_execz .LBB388_2965
; %bb.2960:                             ;   in Loop: Header=BB388_1330 Depth=1
	v_cmp_ne_u16_sdwa s[8:9], v2, s37 src0_sel:BYTE_0 src1_sel:DWORD
	v_bfrev_b32_e32 v6, 1
	s_and_saveexec_b64 s[30:31], s[8:9]
	s_cbranch_execz .LBB388_2964
; %bb.2961:                             ;   in Loop: Header=BB388_1330 Depth=1
	v_and_b32_e32 v7, 0x7f, v2
	v_cmp_ne_u32_e64 s[8:9], s38, v7
	v_mov_b32_e32 v6, 0x7f800001
	s_and_saveexec_b64 s[34:35], s[8:9]
	s_cbranch_execz .LBB388_2963
; %bb.2962:                             ;   in Loop: Header=BB388_1330 Depth=1
	v_and_b32_e32 v6, 7, v2
	v_ffbh_u32_e32 v6, v6
	v_min_u32_e32 v6, 32, v6
	v_lshrrev_b32_e32 v8, 3, v7
	v_cmp_gt_u32_e64 s[8:9], 8, v7
	v_subrev_u32_e32 v7, 28, v6
	v_sub_u32_e32 v6, 29, v6
	v_cndmask_b32_e64 v8, v8, v6, s[8:9]
	v_cndmask_b32_e64 v6, 0, v7, s[8:9]
	v_lshlrev_b64 v[6:7], v6, v[2:3]
	v_lshlrev_b32_e32 v6, 20, v6
	v_lshlrev_b32_e32 v7, 24, v2
	v_and_b32_e32 v6, 0x700000, v6
	v_and_b32_e32 v7, 0x80000000, v7
	v_lshl_add_u32 v8, v8, 23, v61
	v_or3_b32 v6, v7, v8, v6
.LBB388_2963:                           ;   in Loop: Header=BB388_1330 Depth=1
	s_or_b64 exec, exec, s[34:35]
.LBB388_2964:                           ;   in Loop: Header=BB388_1330 Depth=1
	s_or_b64 exec, exec, s[30:31]
.LBB388_2965:                           ;   in Loop: Header=BB388_1330 Depth=1
	s_or_b64 exec, exec, s[28:29]
	v_mul_f32_e32 v6, v9, v6
	v_and_b32_e32 v7, 0x7f800000, v6
	v_cmp_ne_u32_e64 s[8:9], s15, v7
                                        ; implicit-def: $vgpr7
	s_and_saveexec_b64 s[28:29], s[8:9]
	s_xor_b64 s[8:9], exec, s[28:29]
; %bb.2966:                             ;   in Loop: Header=BB388_1330 Depth=1
	v_bfe_u32 v7, v6, 16, 1
	v_add3_u32 v7, v6, v7, s36
                                        ; implicit-def: $vgpr6
; %bb.2967:                             ;   in Loop: Header=BB388_1330 Depth=1
	s_andn2_saveexec_b64 s[28:29], s[8:9]
; %bb.2968:                             ;   in Loop: Header=BB388_1330 Depth=1
	v_or_b32_e32 v7, 0x10000, v6
	v_cmp_eq_u32_sdwa s[8:9], v6, v31 src0_sel:WORD_0 src1_sel:DWORD
	v_cndmask_b32_e64 v7, v7, v6, s[8:9]
; %bb.2969:                             ;   in Loop: Header=BB388_1330 Depth=1
	s_or_b64 exec, exec, s[28:29]
	v_lshrrev_b16_e32 v6, 8, v2
	v_cmp_ne_u16_e64 s[8:9], 0, v6
	v_mov_b32_e32 v8, 0
	s_and_saveexec_b64 s[28:29], s[8:9]
	s_cbranch_execz .LBB388_2975
; %bb.2970:                             ;   in Loop: Header=BB388_1330 Depth=1
	v_cmp_ne_u16_e64 s[8:9], s37, v6
	v_bfrev_b32_e32 v8, 1
	s_and_saveexec_b64 s[30:31], s[8:9]
	s_cbranch_execz .LBB388_2974
; %bb.2971:                             ;   in Loop: Header=BB388_1330 Depth=1
	v_and_b32_e32 v15, 0x7f, v6
	v_cmp_ne_u32_e64 s[8:9], s38, v15
	v_mov_b32_e32 v8, 0x7f800001
	s_and_saveexec_b64 s[34:35], s[8:9]
	s_cbranch_execz .LBB388_2973
; %bb.2972:                             ;   in Loop: Header=BB388_1330 Depth=1
	v_and_b32_e32 v8, 7, v6
	v_ffbh_u32_e32 v13, v8
	v_min_u32_e32 v13, 32, v13
	v_lshrrev_b32_e32 v12, 3, v15
	v_cmp_gt_u32_e64 s[8:9], 8, v15
	v_subrev_u32_e32 v15, 28, v13
	v_lshlrev_b64 v[28:29], v15, v[6:7]
	v_sub_u32_e32 v6, 29, v13
	v_and_b32_e32 v13, 7, v28
	v_cndmask_b32_e64 v6, v12, v6, s[8:9]
	v_cndmask_b32_e64 v8, v8, v13, s[8:9]
	v_lshlrev_b32_e32 v12, 16, v2
	v_lshlrev_b32_e32 v8, 20, v8
	v_and_b32_e32 v12, 0x80000000, v12
	v_lshl_add_u32 v6, v6, 23, v61
	v_or3_b32 v8, v12, v6, v8
.LBB388_2973:                           ;   in Loop: Header=BB388_1330 Depth=1
	s_or_b64 exec, exec, s[34:35]
.LBB388_2974:                           ;   in Loop: Header=BB388_1330 Depth=1
	s_or_b64 exec, exec, s[30:31]
.LBB388_2975:                           ;   in Loop: Header=BB388_1330 Depth=1
	s_or_b64 exec, exec, s[28:29]
	v_mul_f32_e32 v6, v9, v8
	v_and_b32_e32 v8, 0x7f800000, v6
	v_cmp_ne_u32_e64 s[8:9], s15, v8
                                        ; implicit-def: $vgpr8
	s_and_saveexec_b64 s[28:29], s[8:9]
	s_xor_b64 s[8:9], exec, s[28:29]
; %bb.2976:                             ;   in Loop: Header=BB388_1330 Depth=1
	v_bfe_u32 v8, v6, 16, 1
	v_add3_u32 v8, v6, v8, s36
                                        ; implicit-def: $vgpr6
; %bb.2977:                             ;   in Loop: Header=BB388_1330 Depth=1
	s_andn2_saveexec_b64 s[28:29], s[8:9]
; %bb.2978:                             ;   in Loop: Header=BB388_1330 Depth=1
	v_or_b32_e32 v8, 0x10000, v6
	v_cmp_eq_u32_sdwa s[8:9], v6, v31 src0_sel:WORD_0 src1_sel:DWORD
	v_cndmask_b32_e64 v8, v8, v6, s[8:9]
; %bb.2979:                             ;   in Loop: Header=BB388_1330 Depth=1
	s_or_b64 exec, exec, s[28:29]
	v_lshrrev_b32_e32 v6, 16, v2
	v_cmp_ne_u16_sdwa s[8:9], v6, v31 src0_sel:BYTE_0 src1_sel:DWORD
	v_mov_b32_e32 v15, 0
	s_and_saveexec_b64 s[28:29], s[8:9]
	s_cbranch_execz .LBB388_2985
; %bb.2980:                             ;   in Loop: Header=BB388_1330 Depth=1
	v_cmp_ne_u16_sdwa s[8:9], v6, s37 src0_sel:BYTE_0 src1_sel:DWORD
	v_bfrev_b32_e32 v15, 1
	s_and_saveexec_b64 s[30:31], s[8:9]
	s_cbranch_execz .LBB388_2984
; %bb.2981:                             ;   in Loop: Header=BB388_1330 Depth=1
	v_bfe_u32 v22, v2, 16, 7
	v_cmp_ne_u32_e64 s[8:9], s38, v22
	v_mov_b32_e32 v15, 0x7f800001
	s_and_saveexec_b64 s[34:35], s[8:9]
	s_cbranch_execz .LBB388_2983
; %bb.2982:                             ;   in Loop: Header=BB388_1330 Depth=1
	v_and_b32_e32 v12, 7, v6
	v_ffbh_u32_e32 v15, v12
	v_min_u32_e32 v15, 32, v15
	v_lshrrev_b32_e32 v13, 3, v22
	v_cmp_gt_u32_e64 s[8:9], 8, v22
	v_subrev_u32_e32 v22, 28, v15
	v_lshlrev_b64 v[28:29], v22, v[6:7]
	v_sub_u32_e32 v15, 29, v15
	v_and_b32_e32 v22, 7, v28
	v_cndmask_b32_e64 v13, v13, v15, s[8:9]
	v_cndmask_b32_e64 v12, v12, v22, s[8:9]
	v_lshlrev_b32_e32 v6, 24, v6
	v_lshlrev_b32_e32 v12, 20, v12
	v_and_b32_e32 v6, 0x80000000, v6
	v_lshl_add_u32 v13, v13, 23, v61
	v_or3_b32 v15, v6, v13, v12
.LBB388_2983:                           ;   in Loop: Header=BB388_1330 Depth=1
	s_or_b64 exec, exec, s[34:35]
.LBB388_2984:                           ;   in Loop: Header=BB388_1330 Depth=1
	s_or_b64 exec, exec, s[30:31]
.LBB388_2985:                           ;   in Loop: Header=BB388_1330 Depth=1
	s_or_b64 exec, exec, s[28:29]
	v_mul_f32_e32 v6, v9, v15
	v_and_b32_e32 v12, 0x7f800000, v6
	v_cmp_ne_u32_e64 s[8:9], s15, v12
                                        ; implicit-def: $vgpr22
	s_and_saveexec_b64 s[28:29], s[8:9]
	s_xor_b64 s[8:9], exec, s[28:29]
; %bb.2986:                             ;   in Loop: Header=BB388_1330 Depth=1
	v_bfe_u32 v12, v6, 16, 1
	v_add3_u32 v22, v6, v12, s36
                                        ; implicit-def: $vgpr6
; %bb.2987:                             ;   in Loop: Header=BB388_1330 Depth=1
	s_andn2_saveexec_b64 s[28:29], s[8:9]
; %bb.2988:                             ;   in Loop: Header=BB388_1330 Depth=1
	v_or_b32_e32 v12, 0x10000, v6
	v_cmp_eq_u32_sdwa s[8:9], v6, v31 src0_sel:WORD_0 src1_sel:DWORD
	v_cndmask_b32_e64 v22, v12, v6, s[8:9]
; %bb.2989:                             ;   in Loop: Header=BB388_1330 Depth=1
	s_or_b64 exec, exec, s[28:29]
	v_cmp_lt_u32_e64 s[8:9], s17, v2
	v_mov_b32_e32 v15, 0
	s_and_saveexec_b64 s[28:29], s[8:9]
	s_cbranch_execz .LBB388_2995
; %bb.2990:                             ;   in Loop: Header=BB388_1330 Depth=1
	v_lshrrev_b32_e32 v6, 24, v2
	v_cmp_ne_u32_e64 s[8:9], s37, v6
	v_bfrev_b32_e32 v15, 1
	s_and_saveexec_b64 s[30:31], s[8:9]
	s_cbranch_execz .LBB388_2994
; %bb.2991:                             ;   in Loop: Header=BB388_1330 Depth=1
	v_bfe_u32 v26, v2, 24, 7
	v_cmp_ne_u32_e64 s[8:9], s38, v26
	v_mov_b32_e32 v15, 0x7f800001
	s_and_saveexec_b64 s[34:35], s[8:9]
	s_cbranch_execz .LBB388_2993
; %bb.2992:                             ;   in Loop: Header=BB388_1330 Depth=1
	v_and_b32_e32 v12, 7, v6
	v_ffbh_u32_e32 v15, v12
	v_min_u32_e32 v15, 32, v15
	v_lshrrev_b32_e32 v13, 3, v26
	v_cmp_gt_u32_e64 s[8:9], 8, v26
	v_subrev_u32_e32 v26, 28, v15
	v_lshlrev_b64 v[28:29], v26, v[6:7]
	v_sub_u32_e32 v15, 29, v15
	v_and_b32_e32 v26, 7, v28
	v_cndmask_b32_e64 v13, v13, v15, s[8:9]
	v_cndmask_b32_e64 v12, v12, v26, s[8:9]
	v_lshlrev_b32_e32 v6, 24, v6
	v_lshlrev_b32_e32 v12, 20, v12
	v_and_b32_e32 v6, 0x80000000, v6
	v_lshl_add_u32 v13, v13, 23, v61
	v_or3_b32 v15, v6, v13, v12
.LBB388_2993:                           ;   in Loop: Header=BB388_1330 Depth=1
	s_or_b64 exec, exec, s[34:35]
.LBB388_2994:                           ;   in Loop: Header=BB388_1330 Depth=1
	s_or_b64 exec, exec, s[30:31]
.LBB388_2995:                           ;   in Loop: Header=BB388_1330 Depth=1
	s_or_b64 exec, exec, s[28:29]
	v_mul_f32_e32 v6, v9, v15
	v_and_b32_e32 v12, 0x7f800000, v6
	v_cmp_ne_u32_e64 s[8:9], s15, v12
                                        ; implicit-def: $vgpr26
	s_and_saveexec_b64 s[28:29], s[8:9]
	s_xor_b64 s[8:9], exec, s[28:29]
; %bb.2996:                             ;   in Loop: Header=BB388_1330 Depth=1
	v_bfe_u32 v12, v6, 16, 1
	v_add3_u32 v26, v6, v12, s36
                                        ; implicit-def: $vgpr6
; %bb.2997:                             ;   in Loop: Header=BB388_1330 Depth=1
	s_andn2_saveexec_b64 s[28:29], s[8:9]
; %bb.2998:                             ;   in Loop: Header=BB388_1330 Depth=1
	v_or_b32_e32 v12, 0x10000, v6
	v_cmp_eq_u32_sdwa s[8:9], v6, v31 src0_sel:WORD_0 src1_sel:DWORD
	v_cndmask_b32_e64 v26, v12, v6, s[8:9]
; %bb.2999:                             ;   in Loop: Header=BB388_1330 Depth=1
	s_or_b64 exec, exec, s[28:29]
	v_mov_b32_e32 v30, v3
	v_cmp_ne_u16_sdwa s[8:9], v3, v31 src0_sel:BYTE_0 src1_sel:DWORD
	v_mov_b32_e32 v6, 0
	s_and_saveexec_b64 s[28:29], s[8:9]
	s_cbranch_execz .LBB388_3005
; %bb.3000:                             ;   in Loop: Header=BB388_1330 Depth=1
	v_cmp_ne_u16_sdwa s[8:9], v3, s37 src0_sel:BYTE_0 src1_sel:DWORD
	v_bfrev_b32_e32 v6, 1
	s_and_saveexec_b64 s[30:31], s[8:9]
	s_cbranch_execz .LBB388_3004
; %bb.3001:                             ;   in Loop: Header=BB388_1330 Depth=1
	v_and_b32_e32 v15, 0x7f, v3
	v_cmp_ne_u32_e64 s[8:9], s38, v15
	v_mov_b32_e32 v6, 0x7f800001
	s_and_saveexec_b64 s[34:35], s[8:9]
	s_cbranch_execz .LBB388_3003
; %bb.3002:                             ;   in Loop: Header=BB388_1330 Depth=1
	v_and_b32_e32 v6, 7, v3
	v_ffbh_u32_e32 v6, v6
	v_min_u32_e32 v6, 32, v6
	v_lshrrev_b32_e32 v12, 3, v15
	v_cmp_gt_u32_e64 s[8:9], 8, v15
	v_subrev_u32_e32 v13, 28, v6
	v_sub_u32_e32 v6, 29, v6
	v_cndmask_b32_e64 v6, v12, v6, s[8:9]
	v_cndmask_b32_e64 v12, 0, v13, s[8:9]
	v_lshlrev_b64 v[28:29], v12, v[30:31]
	v_lshlrev_b32_e32 v12, 20, v28
	v_lshlrev_b32_e32 v13, 24, v30
	v_and_b32_e32 v12, 0x700000, v12
	v_and_b32_e32 v13, 0x80000000, v13
	v_lshl_add_u32 v6, v6, 23, v61
	v_or3_b32 v6, v13, v6, v12
.LBB388_3003:                           ;   in Loop: Header=BB388_1330 Depth=1
	s_or_b64 exec, exec, s[34:35]
.LBB388_3004:                           ;   in Loop: Header=BB388_1330 Depth=1
	s_or_b64 exec, exec, s[30:31]
.LBB388_3005:                           ;   in Loop: Header=BB388_1330 Depth=1
	s_or_b64 exec, exec, s[28:29]
	v_mul_f32_e32 v6, v9, v6
	v_and_b32_e32 v12, 0x7f800000, v6
	v_cmp_ne_u32_e64 s[8:9], s15, v12
                                        ; implicit-def: $vgpr28
	s_and_saveexec_b64 s[28:29], s[8:9]
	s_xor_b64 s[8:9], exec, s[28:29]
; %bb.3006:                             ;   in Loop: Header=BB388_1330 Depth=1
	v_bfe_u32 v12, v6, 16, 1
	v_add3_u32 v28, v6, v12, s36
                                        ; implicit-def: $vgpr6
; %bb.3007:                             ;   in Loop: Header=BB388_1330 Depth=1
	s_andn2_saveexec_b64 s[28:29], s[8:9]
; %bb.3008:                             ;   in Loop: Header=BB388_1330 Depth=1
	v_or_b32_e32 v12, 0x10000, v6
	v_cmp_eq_u32_sdwa s[8:9], v6, v31 src0_sel:WORD_0 src1_sel:DWORD
	v_cndmask_b32_e64 v28, v12, v6, s[8:9]
; %bb.3009:                             ;   in Loop: Header=BB388_1330 Depth=1
	s_or_b64 exec, exec, s[28:29]
	v_lshrrev_b16_e32 v6, 8, v30
	v_mov_b32_e32 v15, 0
	v_cmp_ne_u16_e64 s[8:9], 0, v6
	s_mov_b64 s[28:29], exec
	s_and_b64 s[8:9], s[28:29], s[8:9]
	v_accvgpr_write_b32 a57, v50
	s_mov_b64 exec, s[8:9]
	s_cbranch_execz .LBB388_3015
; %bb.3010:                             ;   in Loop: Header=BB388_1330 Depth=1
	v_cmp_ne_u16_e64 s[8:9], s37, v6
	v_bfrev_b32_e32 v15, 1
	s_and_saveexec_b64 s[30:31], s[8:9]
	s_cbranch_execz .LBB388_3014
; %bb.3011:                             ;   in Loop: Header=BB388_1330 Depth=1
	v_and_b32_e32 v29, 0x7f, v6
	v_cmp_ne_u32_e64 s[8:9], s38, v29
	v_mov_b32_e32 v15, 0x7f800001
	s_and_saveexec_b64 s[34:35], s[8:9]
	s_cbranch_execz .LBB388_3013
; %bb.3012:                             ;   in Loop: Header=BB388_1330 Depth=1
	v_and_b32_e32 v12, 7, v6
	v_ffbh_u32_e32 v15, v12
	v_min_u32_e32 v15, 32, v15
	v_lshrrev_b32_e32 v13, 3, v29
	v_cmp_gt_u32_e64 s[8:9], 8, v29
	v_subrev_u32_e32 v29, 28, v15
	v_lshlrev_b64 v[50:51], v29, v[6:7]
	v_sub_u32_e32 v6, 29, v15
	v_and_b32_e32 v15, 7, v50
	v_cndmask_b32_e64 v6, v13, v6, s[8:9]
	v_cndmask_b32_e64 v12, v12, v15, s[8:9]
	v_lshlrev_b32_e32 v13, 16, v30
	v_lshlrev_b32_e32 v12, 20, v12
	v_and_b32_e32 v13, 0x80000000, v13
	v_lshl_add_u32 v6, v6, 23, v61
	v_accvgpr_read_b32 v50, a57
	v_or3_b32 v15, v13, v6, v12
.LBB388_3013:                           ;   in Loop: Header=BB388_1330 Depth=1
	s_or_b64 exec, exec, s[34:35]
.LBB388_3014:                           ;   in Loop: Header=BB388_1330 Depth=1
	s_or_b64 exec, exec, s[30:31]
.LBB388_3015:                           ;   in Loop: Header=BB388_1330 Depth=1
	s_or_b64 exec, exec, s[28:29]
	v_mul_f32_e32 v6, v9, v15
	v_and_b32_e32 v12, 0x7f800000, v6
	v_cmp_ne_u32_e64 s[8:9], s15, v12
                                        ; implicit-def: $vgpr29
	s_and_saveexec_b64 s[28:29], s[8:9]
	s_xor_b64 s[8:9], exec, s[28:29]
; %bb.3016:                             ;   in Loop: Header=BB388_1330 Depth=1
	v_bfe_u32 v12, v6, 16, 1
	v_add3_u32 v29, v6, v12, s36
                                        ; implicit-def: $vgpr6
; %bb.3017:                             ;   in Loop: Header=BB388_1330 Depth=1
	s_andn2_saveexec_b64 s[28:29], s[8:9]
; %bb.3018:                             ;   in Loop: Header=BB388_1330 Depth=1
	v_or_b32_e32 v12, 0x10000, v6
	v_cmp_eq_u32_sdwa s[8:9], v6, v31 src0_sel:WORD_0 src1_sel:DWORD
	v_cndmask_b32_e64 v29, v12, v6, s[8:9]
; %bb.3019:                             ;   in Loop: Header=BB388_1330 Depth=1
	s_or_b64 exec, exec, s[28:29]
	v_lshrrev_b32_e32 v6, 16, v3
	v_cmp_ne_u16_sdwa s[8:9], v6, v31 src0_sel:BYTE_0 src1_sel:DWORD
	v_mov_b32_e32 v15, 0
	s_and_saveexec_b64 s[28:29], s[8:9]
	s_cbranch_execz .LBB388_3025
; %bb.3020:                             ;   in Loop: Header=BB388_1330 Depth=1
	v_cmp_ne_u16_sdwa s[8:9], v6, s37 src0_sel:BYTE_0 src1_sel:DWORD
	v_bfrev_b32_e32 v15, 1
	s_and_saveexec_b64 s[30:31], s[8:9]
	s_cbranch_execz .LBB388_3024
; %bb.3021:                             ;   in Loop: Header=BB388_1330 Depth=1
	v_bfe_u32 v30, v3, 16, 7
	v_cmp_ne_u32_e64 s[8:9], s38, v30
	v_mov_b32_e32 v15, 0x7f800001
	s_and_saveexec_b64 s[34:35], s[8:9]
	s_cbranch_execz .LBB388_3023
; %bb.3022:                             ;   in Loop: Header=BB388_1330 Depth=1
	v_and_b32_e32 v12, 7, v6
	v_ffbh_u32_e32 v15, v12
	v_min_u32_e32 v15, 32, v15
	v_lshrrev_b32_e32 v13, 3, v30
	v_cmp_gt_u32_e64 s[8:9], 8, v30
	v_subrev_u32_e32 v30, 28, v15
	v_lshlrev_b64 v[50:51], v30, v[6:7]
	v_sub_u32_e32 v15, 29, v15
	v_and_b32_e32 v30, 7, v50
	v_cndmask_b32_e64 v13, v13, v15, s[8:9]
	v_cndmask_b32_e64 v12, v12, v30, s[8:9]
	v_lshlrev_b32_e32 v6, 24, v6
	v_lshlrev_b32_e32 v12, 20, v12
	v_and_b32_e32 v6, 0x80000000, v6
	v_lshl_add_u32 v13, v13, 23, v61
	v_accvgpr_read_b32 v50, a57
	v_or3_b32 v15, v6, v13, v12
.LBB388_3023:                           ;   in Loop: Header=BB388_1330 Depth=1
	s_or_b64 exec, exec, s[34:35]
.LBB388_3024:                           ;   in Loop: Header=BB388_1330 Depth=1
	s_or_b64 exec, exec, s[30:31]
.LBB388_3025:                           ;   in Loop: Header=BB388_1330 Depth=1
	s_or_b64 exec, exec, s[28:29]
	v_mul_f32_e32 v15, v9, v15
	v_and_b32_e32 v6, 0x7f800000, v15
	v_cmp_ne_u32_e64 s[8:9], s15, v6
                                        ; implicit-def: $vgpr6
	s_and_saveexec_b64 s[28:29], s[8:9]
	s_xor_b64 s[8:9], exec, s[28:29]
; %bb.3026:                             ;   in Loop: Header=BB388_1330 Depth=1
	v_bfe_u32 v6, v15, 16, 1
	v_add3_u32 v6, v15, v6, s36
                                        ; implicit-def: $vgpr15
; %bb.3027:                             ;   in Loop: Header=BB388_1330 Depth=1
	s_andn2_saveexec_b64 s[28:29], s[8:9]
; %bb.3028:                             ;   in Loop: Header=BB388_1330 Depth=1
	v_or_b32_e32 v6, 0x10000, v15
	v_cmp_eq_u32_sdwa s[8:9], v15, v31 src0_sel:WORD_0 src1_sel:DWORD
	v_cndmask_b32_e64 v6, v6, v15, s[8:9]
; %bb.3029:                             ;   in Loop: Header=BB388_1330 Depth=1
	s_or_b64 exec, exec, s[28:29]
	v_cmp_lt_u64_e64 s[8:9], s[16:17], v[2:3]
	v_mov_b32_e32 v15, 0
	s_and_saveexec_b64 s[28:29], s[8:9]
	s_cbranch_execz .LBB388_3035
; %bb.3030:                             ;   in Loop: Header=BB388_1330 Depth=1
	v_lshrrev_b32_e32 v2, 24, v3
	v_cmp_ne_u32_e64 s[8:9], s37, v2
	v_bfrev_b32_e32 v15, 1
	s_and_saveexec_b64 s[30:31], s[8:9]
	s_cbranch_execz .LBB388_3034
; %bb.3031:                             ;   in Loop: Header=BB388_1330 Depth=1
	v_bfe_u32 v3, v3, 24, 7
	v_cmp_ne_u32_e64 s[8:9], s38, v3
	v_mov_b32_e32 v15, 0x7f800001
	s_and_saveexec_b64 s[34:35], s[8:9]
	s_cbranch_execz .LBB388_3033
; %bb.3032:                             ;   in Loop: Header=BB388_1330 Depth=1
	v_and_b32_e32 v12, 7, v2
	v_lshrrev_b32_e32 v13, 3, v3
	v_cmp_gt_u32_e64 s[8:9], 8, v3
	v_ffbh_u32_e32 v3, v12
	v_min_u32_e32 v3, 32, v3
	v_subrev_u32_e32 v15, 28, v3
	v_lshlrev_b64 v[50:51], v15, v[2:3]
	v_sub_u32_e32 v3, 29, v3
	v_and_b32_e32 v15, 7, v50
	v_cndmask_b32_e64 v3, v13, v3, s[8:9]
	v_cndmask_b32_e64 v12, v12, v15, s[8:9]
	v_lshlrev_b32_e32 v2, 24, v2
	v_lshlrev_b32_e32 v12, 20, v12
	v_and_b32_e32 v2, 0x80000000, v2
	v_lshl_add_u32 v3, v3, 23, v61
	v_accvgpr_read_b32 v50, a57
	v_or3_b32 v15, v2, v3, v12
.LBB388_3033:                           ;   in Loop: Header=BB388_1330 Depth=1
	s_or_b64 exec, exec, s[34:35]
.LBB388_3034:                           ;   in Loop: Header=BB388_1330 Depth=1
	s_or_b64 exec, exec, s[30:31]
.LBB388_3035:                           ;   in Loop: Header=BB388_1330 Depth=1
	s_or_b64 exec, exec, s[28:29]
	v_mul_f32_e32 v3, v9, v15
	v_and_b32_e32 v2, 0x7f800000, v3
	v_cmp_ne_u32_e64 s[8:9], s15, v2
                                        ; implicit-def: $vgpr2
	s_and_saveexec_b64 s[28:29], s[8:9]
	s_xor_b64 s[8:9], exec, s[28:29]
; %bb.3036:                             ;   in Loop: Header=BB388_1330 Depth=1
	v_bfe_u32 v2, v3, 16, 1
	v_add3_u32 v2, v3, v2, s36
                                        ; implicit-def: $vgpr3
; %bb.3037:                             ;   in Loop: Header=BB388_1330 Depth=1
	s_andn2_saveexec_b64 s[28:29], s[8:9]
; %bb.3038:                             ;   in Loop: Header=BB388_1330 Depth=1
	v_or_b32_e32 v2, 0x10000, v3
	v_cmp_eq_u32_sdwa s[8:9], v3, v31 src0_sel:WORD_0 src1_sel:DWORD
	v_cndmask_b32_e64 v2, v2, v3, s[8:9]
; %bb.3039:                             ;   in Loop: Header=BB388_1330 Depth=1
	s_or_b64 exec, exec, s[28:29]
	v_lshrrev_b32_e32 v29, 16, v29
	v_lshrrev_b32_e32 v15, 16, v28
	v_lshrrev_b32_e32 v28, 16, v26
	v_lshrrev_b32_e32 v22, 16, v22
	v_lshrrev_b32_e32 v8, 16, v8
	v_lshrrev_b32_e32 v3, 16, v7
	v_lshrrev_b32_e32 v7, 16, v6
	v_lshrrev_b32_e32 v2, 16, v2
	s_and_saveexec_b64 s[28:29], vcc
	s_cbranch_execz .LBB388_3041
; %bb.3040:                             ;   in Loop: Header=BB388_1330 Depth=1
	buffer_load_dword v6, off, s[0:3], s32 offset:196 ; 4-byte Folded Reload
	v_accvgpr_read_b32 v12, a18
	s_waitcnt vmcnt(0)
	v_cmp_lt_i32_e64 s[8:9], v40, v6
	v_cndmask_b32_e64 v3, 0, v3, s[8:9]
	v_cmp_lt_i32_e64 s[8:9], v12, v6
	v_accvgpr_read_b32 v12, a63
	v_cndmask_b32_e64 v8, 0, v8, s[8:9]
	v_cmp_lt_i32_e64 s[8:9], v12, v6
	v_accvgpr_read_b32 v12, a62
	;; [unrolled: 3-line block ×5, first 2 shown]
	v_cndmask_b32_e64 v29, 0, v29, s[8:9]
	v_cmp_lt_i32_e64 s[8:9], v12, v6
	v_cndmask_b32_e64 v7, 0, v7, s[8:9]
	v_cmp_lt_i32_e64 s[8:9], v50, v6
	v_cndmask_b32_e64 v2, 0, v2, s[8:9]
.LBB388_3041:                           ;   in Loop: Header=BB388_1330 Depth=1
	s_or_b64 exec, exec, s[28:29]
	v_lshlrev_b32_e32 v3, 16, v3
	v_mul_f32_e32 v6, v27, v3
	v_and_b32_e32 v3, 0x7f800000, v6
	v_cmp_ne_u32_e64 s[8:9], s15, v3
                                        ; implicit-def: $vgpr3
	s_and_saveexec_b64 s[28:29], s[8:9]
	s_xor_b64 s[8:9], exec, s[28:29]
; %bb.3042:                             ;   in Loop: Header=BB388_1330 Depth=1
	v_bfe_u32 v3, v6, 16, 1
	v_add3_u32 v3, v6, v3, s36
                                        ; implicit-def: $vgpr6
; %bb.3043:                             ;   in Loop: Header=BB388_1330 Depth=1
	s_andn2_saveexec_b64 s[28:29], s[8:9]
; %bb.3044:                             ;   in Loop: Header=BB388_1330 Depth=1
	v_or_b32_e32 v3, 0x10000, v6
	v_cmp_eq_u32_sdwa s[8:9], v6, v31 src0_sel:WORD_0 src1_sel:DWORD
	v_cndmask_b32_e64 v3, v3, v6, s[8:9]
; %bb.3045:                             ;   in Loop: Header=BB388_1330 Depth=1
	s_or_b64 exec, exec, s[28:29]
	v_lshlrev_b32_e32 v6, 16, v8
	v_mul_f32_e32 v8, v23, v6
	v_and_b32_e32 v6, 0x7f800000, v8
	v_cmp_ne_u32_e64 s[8:9], s15, v6
                                        ; implicit-def: $vgpr6
	s_and_saveexec_b64 s[28:29], s[8:9]
	s_xor_b64 s[8:9], exec, s[28:29]
; %bb.3046:                             ;   in Loop: Header=BB388_1330 Depth=1
	v_bfe_u32 v6, v8, 16, 1
	v_add3_u32 v6, v8, v6, s36
                                        ; implicit-def: $vgpr8
; %bb.3047:                             ;   in Loop: Header=BB388_1330 Depth=1
	s_andn2_saveexec_b64 s[28:29], s[8:9]
; %bb.3048:                             ;   in Loop: Header=BB388_1330 Depth=1
	v_or_b32_e32 v6, 0x10000, v8
	v_cmp_eq_u32_sdwa s[8:9], v8, v31 src0_sel:WORD_0 src1_sel:DWORD
	v_cndmask_b32_e64 v6, v6, v8, s[8:9]
; %bb.3049:                             ;   in Loop: Header=BB388_1330 Depth=1
	s_or_b64 exec, exec, s[28:29]
	v_lshlrev_b32_e32 v8, 16, v22
	v_mul_f32_e32 v8, v55, v8
	v_and_b32_e32 v12, 0x7f800000, v8
	v_cmp_ne_u32_e64 s[8:9], s15, v12
                                        ; implicit-def: $vgpr26
	s_and_saveexec_b64 s[28:29], s[8:9]
	s_xor_b64 s[8:9], exec, s[28:29]
; %bb.3050:                             ;   in Loop: Header=BB388_1330 Depth=1
	v_bfe_u32 v12, v8, 16, 1
	v_add3_u32 v26, v8, v12, s36
                                        ; implicit-def: $vgpr8
; %bb.3051:                             ;   in Loop: Header=BB388_1330 Depth=1
	s_andn2_saveexec_b64 s[28:29], s[8:9]
; %bb.3052:                             ;   in Loop: Header=BB388_1330 Depth=1
	v_or_b32_e32 v12, 0x10000, v8
	v_cmp_eq_u32_sdwa s[8:9], v8, v31 src0_sel:WORD_0 src1_sel:DWORD
	v_cndmask_b32_e64 v26, v12, v8, s[8:9]
; %bb.3053:                             ;   in Loop: Header=BB388_1330 Depth=1
	s_or_b64 exec, exec, s[28:29]
	v_lshlrev_b32_e32 v8, 16, v28
	v_mul_f32_e32 v8, v48, v8
	v_and_b32_e32 v12, 0x7f800000, v8
	v_cmp_ne_u32_e64 s[8:9], s15, v12
                                        ; implicit-def: $vgpr28
	s_and_saveexec_b64 s[28:29], s[8:9]
	s_xor_b64 s[8:9], exec, s[28:29]
; %bb.3054:                             ;   in Loop: Header=BB388_1330 Depth=1
	v_bfe_u32 v12, v8, 16, 1
	v_add3_u32 v28, v8, v12, s36
                                        ; implicit-def: $vgpr8
; %bb.3055:                             ;   in Loop: Header=BB388_1330 Depth=1
	s_andn2_saveexec_b64 s[28:29], s[8:9]
; %bb.3056:                             ;   in Loop: Header=BB388_1330 Depth=1
	v_or_b32_e32 v12, 0x10000, v8
	v_cmp_eq_u32_sdwa s[8:9], v8, v31 src0_sel:WORD_0 src1_sel:DWORD
	v_cndmask_b32_e64 v28, v12, v8, s[8:9]
; %bb.3057:                             ;   in Loop: Header=BB388_1330 Depth=1
	s_or_b64 exec, exec, s[28:29]
	v_lshlrev_b32_e32 v8, 16, v15
	v_mul_f32_e32 v8, v62, v8
	v_and_b32_e32 v12, 0x7f800000, v8
	v_cmp_ne_u32_e64 s[8:9], s15, v12
                                        ; implicit-def: $vgpr15
	s_and_saveexec_b64 s[28:29], s[8:9]
	s_xor_b64 s[8:9], exec, s[28:29]
; %bb.3058:                             ;   in Loop: Header=BB388_1330 Depth=1
	v_bfe_u32 v12, v8, 16, 1
	v_add3_u32 v15, v8, v12, s36
                                        ; implicit-def: $vgpr8
; %bb.3059:                             ;   in Loop: Header=BB388_1330 Depth=1
	s_andn2_saveexec_b64 s[28:29], s[8:9]
; %bb.3060:                             ;   in Loop: Header=BB388_1330 Depth=1
	v_or_b32_e32 v12, 0x10000, v8
	v_cmp_eq_u32_sdwa s[8:9], v8, v31 src0_sel:WORD_0 src1_sel:DWORD
	v_cndmask_b32_e64 v15, v12, v8, s[8:9]
; %bb.3061:                             ;   in Loop: Header=BB388_1330 Depth=1
	s_or_b64 exec, exec, s[28:29]
	v_lshlrev_b32_e32 v8, 16, v29
	v_mul_f32_e32 v8, v5, v8
	v_and_b32_e32 v12, 0x7f800000, v8
	v_cmp_ne_u32_e64 s[8:9], s15, v12
                                        ; implicit-def: $vgpr29
	s_and_saveexec_b64 s[28:29], s[8:9]
	s_xor_b64 s[8:9], exec, s[28:29]
; %bb.3062:                             ;   in Loop: Header=BB388_1330 Depth=1
	v_bfe_u32 v12, v8, 16, 1
	v_add3_u32 v29, v8, v12, s36
                                        ; implicit-def: $vgpr8
; %bb.3063:                             ;   in Loop: Header=BB388_1330 Depth=1
	s_andn2_saveexec_b64 s[28:29], s[8:9]
; %bb.3064:                             ;   in Loop: Header=BB388_1330 Depth=1
	v_or_b32_e32 v12, 0x10000, v8
	v_cmp_eq_u32_sdwa s[8:9], v8, v31 src0_sel:WORD_0 src1_sel:DWORD
	v_cndmask_b32_e64 v29, v12, v8, s[8:9]
; %bb.3065:                             ;   in Loop: Header=BB388_1330 Depth=1
	s_or_b64 exec, exec, s[28:29]
	v_lshlrev_b32_e32 v7, 16, v7
	v_mul_f32_e32 v7, v10, v7
	v_and_b32_e32 v8, 0x7f800000, v7
	v_cmp_ne_u32_e64 s[8:9], s15, v8
                                        ; implicit-def: $vgpr22
	s_and_saveexec_b64 s[28:29], s[8:9]
	s_xor_b64 s[8:9], exec, s[28:29]
; %bb.3066:                             ;   in Loop: Header=BB388_1330 Depth=1
	v_bfe_u32 v8, v7, 16, 1
	v_add3_u32 v22, v7, v8, s36
                                        ; implicit-def: $vgpr7
; %bb.3067:                             ;   in Loop: Header=BB388_1330 Depth=1
	s_andn2_saveexec_b64 s[28:29], s[8:9]
; %bb.3068:                             ;   in Loop: Header=BB388_1330 Depth=1
	v_or_b32_e32 v8, 0x10000, v7
	v_cmp_eq_u32_sdwa s[8:9], v7, v31 src0_sel:WORD_0 src1_sel:DWORD
	v_cndmask_b32_e64 v22, v8, v7, s[8:9]
; %bb.3069:                             ;   in Loop: Header=BB388_1330 Depth=1
	s_or_b64 exec, exec, s[28:29]
	v_lshlrev_b32_e32 v2, 16, v2
	v_mul_f32_e32 v2, v11, v2
	v_and_b32_e32 v7, 0x7f800000, v2
	v_cmp_ne_u32_e64 s[8:9], s15, v7
                                        ; implicit-def: $vgpr7
	s_and_saveexec_b64 s[28:29], s[8:9]
	s_xor_b64 s[8:9], exec, s[28:29]
; %bb.3070:                             ;   in Loop: Header=BB388_1330 Depth=1
	v_bfe_u32 v7, v2, 16, 1
	v_add3_u32 v7, v2, v7, s36
                                        ; implicit-def: $vgpr2
; %bb.3071:                             ;   in Loop: Header=BB388_1330 Depth=1
	s_andn2_saveexec_b64 s[28:29], s[8:9]
; %bb.3072:                             ;   in Loop: Header=BB388_1330 Depth=1
	v_or_b32_e32 v7, 0x10000, v2
	v_cmp_eq_u32_sdwa s[8:9], v2, v31 src0_sel:WORD_0 src1_sel:DWORD
	v_cndmask_b32_e64 v7, v7, v2, s[8:9]
; %bb.3073:                             ;   in Loop: Header=BB388_1330 Depth=1
	s_or_b64 exec, exec, s[28:29]
	buffer_load_dword v12, off, s[0:3], s32 offset:576 ; 4-byte Folded Reload
	buffer_load_dword v13, off, s[0:3], s32 offset:580 ; 4-byte Folded Reload
	v_mov_b32_e32 v2, 0
	s_waitcnt vmcnt(1)
	v_add_co_u32_e64 v0, s[8:9], v0, v12
	v_addc_co_u32_e64 v1, s[8:9], 0, v1, s[8:9]
	flat_load_dwordx2 v[0:1], v[0:1]
	s_waitcnt vmcnt(0) lgkmcnt(0)
	v_cmp_ne_u16_sdwa s[8:9], v0, v31 src0_sel:BYTE_0 src1_sel:DWORD
	s_and_saveexec_b64 s[28:29], s[8:9]
	s_cbranch_execz .LBB388_3079
; %bb.3074:                             ;   in Loop: Header=BB388_1330 Depth=1
	v_cmp_ne_u16_sdwa s[8:9], v0, s37 src0_sel:BYTE_0 src1_sel:DWORD
	v_bfrev_b32_e32 v2, 1
	s_and_saveexec_b64 s[30:31], s[8:9]
	s_cbranch_execz .LBB388_3078
; %bb.3075:                             ;   in Loop: Header=BB388_1330 Depth=1
	v_and_b32_e32 v8, 0x7f, v0
	v_cmp_ne_u32_e64 s[8:9], s38, v8
	v_mov_b32_e32 v2, 0x7f800001
	s_and_saveexec_b64 s[34:35], s[8:9]
	s_cbranch_execz .LBB388_3077
; %bb.3076:                             ;   in Loop: Header=BB388_1330 Depth=1
	v_and_b32_e32 v2, 7, v0
	v_ffbh_u32_e32 v2, v2
	v_min_u32_e32 v2, 32, v2
	v_lshrrev_b32_e32 v12, 3, v8
	v_cmp_gt_u32_e64 s[8:9], 8, v8
	v_subrev_u32_e32 v8, 28, v2
	v_cndmask_b32_e64 v8, 0, v8, s[8:9]
	v_sub_u32_e32 v2, 29, v2
	v_lshlrev_b64 v[50:51], v8, v[0:1]
	v_cndmask_b32_e64 v2, v12, v2, s[8:9]
	v_lshlrev_b32_e32 v8, 20, v50
	v_lshlrev_b32_e32 v12, 24, v0
	v_and_b32_e32 v8, 0x700000, v8
	v_and_b32_e32 v12, 0x80000000, v12
	v_lshl_add_u32 v2, v2, 23, v61
	v_accvgpr_read_b32 v50, a57
	v_or3_b32 v2, v12, v2, v8
.LBB388_3077:                           ;   in Loop: Header=BB388_1330 Depth=1
	s_or_b64 exec, exec, s[34:35]
.LBB388_3078:                           ;   in Loop: Header=BB388_1330 Depth=1
	s_or_b64 exec, exec, s[30:31]
.LBB388_3079:                           ;   in Loop: Header=BB388_1330 Depth=1
	s_or_b64 exec, exec, s[28:29]
	v_mul_f32_e32 v2, v9, v2
	v_and_b32_e32 v8, 0x7f800000, v2
	v_cmp_ne_u32_e64 s[8:9], s15, v8
                                        ; implicit-def: $vgpr8
	s_and_saveexec_b64 s[28:29], s[8:9]
	s_xor_b64 s[8:9], exec, s[28:29]
; %bb.3080:                             ;   in Loop: Header=BB388_1330 Depth=1
	v_bfe_u32 v8, v2, 16, 1
	v_add3_u32 v8, v2, v8, s36
                                        ; implicit-def: $vgpr2
; %bb.3081:                             ;   in Loop: Header=BB388_1330 Depth=1
	s_andn2_saveexec_b64 s[28:29], s[8:9]
; %bb.3082:                             ;   in Loop: Header=BB388_1330 Depth=1
	v_or_b32_e32 v8, 0x10000, v2
	v_cmp_eq_u32_sdwa s[8:9], v2, v31 src0_sel:WORD_0 src1_sel:DWORD
	v_cndmask_b32_e64 v8, v8, v2, s[8:9]
; %bb.3083:                             ;   in Loop: Header=BB388_1330 Depth=1
	s_or_b64 exec, exec, s[28:29]
	v_lshrrev_b16_e32 v2, 8, v0
	v_cmp_ne_u16_e64 s[8:9], 0, v2
	v_mov_b32_e32 v30, 0
	s_and_saveexec_b64 s[28:29], s[8:9]
	s_cbranch_execz .LBB388_3089
; %bb.3084:                             ;   in Loop: Header=BB388_1330 Depth=1
	v_cmp_ne_u16_e64 s[8:9], s37, v2
	v_bfrev_b32_e32 v30, 1
	s_and_saveexec_b64 s[30:31], s[8:9]
	s_cbranch_execz .LBB388_3088
; %bb.3085:                             ;   in Loop: Header=BB388_1330 Depth=1
	v_and_b32_e32 v51, 0x7f, v2
	v_cmp_ne_u32_e64 s[8:9], s38, v51
	v_mov_b32_e32 v30, 0x7f800001
	s_and_saveexec_b64 s[34:35], s[8:9]
	s_cbranch_execz .LBB388_3087
; %bb.3086:                             ;   in Loop: Header=BB388_1330 Depth=1
	v_and_b32_e32 v12, 7, v2
	v_ffbh_u32_e32 v30, v12
	v_min_u32_e32 v30, 32, v30
	v_subrev_u32_e32 v50, 28, v30
	v_lshrrev_b32_e32 v13, 3, v51
	v_cmp_gt_u32_e64 s[8:9], 8, v51
	v_lshlrev_b64 v[50:51], v50, v[2:3]
	v_sub_u32_e32 v2, 29, v30
	v_and_b32_e32 v30, 7, v50
	v_cndmask_b32_e64 v2, v13, v2, s[8:9]
	v_cndmask_b32_e64 v12, v12, v30, s[8:9]
	v_lshlrev_b32_e32 v13, 16, v0
	v_lshlrev_b32_e32 v12, 20, v12
	v_and_b32_e32 v13, 0x80000000, v13
	v_lshl_add_u32 v2, v2, 23, v61
	v_accvgpr_read_b32 v50, a57
	v_or3_b32 v30, v13, v2, v12
.LBB388_3087:                           ;   in Loop: Header=BB388_1330 Depth=1
	s_or_b64 exec, exec, s[34:35]
.LBB388_3088:                           ;   in Loop: Header=BB388_1330 Depth=1
	s_or_b64 exec, exec, s[30:31]
.LBB388_3089:                           ;   in Loop: Header=BB388_1330 Depth=1
	s_or_b64 exec, exec, s[28:29]
	v_mul_f32_e32 v2, v9, v30
	v_and_b32_e32 v12, 0x7f800000, v2
	v_cmp_ne_u32_e64 s[8:9], s15, v12
                                        ; implicit-def: $vgpr51
	s_and_saveexec_b64 s[28:29], s[8:9]
	s_xor_b64 s[8:9], exec, s[28:29]
; %bb.3090:                             ;   in Loop: Header=BB388_1330 Depth=1
	v_bfe_u32 v12, v2, 16, 1
	v_add3_u32 v51, v2, v12, s36
                                        ; implicit-def: $vgpr2
; %bb.3091:                             ;   in Loop: Header=BB388_1330 Depth=1
	s_andn2_saveexec_b64 s[28:29], s[8:9]
; %bb.3092:                             ;   in Loop: Header=BB388_1330 Depth=1
	v_or_b32_e32 v12, 0x10000, v2
	v_cmp_eq_u32_sdwa s[8:9], v2, v31 src0_sel:WORD_0 src1_sel:DWORD
	v_cndmask_b32_e64 v51, v12, v2, s[8:9]
; %bb.3093:                             ;   in Loop: Header=BB388_1330 Depth=1
	s_or_b64 exec, exec, s[28:29]
	v_lshrrev_b32_e32 v2, 16, v0
	v_cmp_ne_u16_sdwa s[8:9], v2, v31 src0_sel:BYTE_0 src1_sel:DWORD
	v_mov_b32_e32 v30, 0
	s_and_saveexec_b64 s[28:29], s[8:9]
	s_cbranch_execz .LBB388_3099
; %bb.3094:                             ;   in Loop: Header=BB388_1330 Depth=1
	v_cmp_ne_u16_sdwa s[8:9], v2, s37 src0_sel:BYTE_0 src1_sel:DWORD
	v_bfrev_b32_e32 v30, 1
	s_and_saveexec_b64 s[30:31], s[8:9]
	s_cbranch_execz .LBB388_3098
; %bb.3095:                             ;   in Loop: Header=BB388_1330 Depth=1
	v_bfe_u32 v41, v0, 16, 7
	v_cmp_ne_u32_e64 s[8:9], s38, v41
	v_mov_b32_e32 v30, 0x7f800001
	s_and_saveexec_b64 s[34:35], s[8:9]
	s_cbranch_execz .LBB388_3097
; %bb.3096:                             ;   in Loop: Header=BB388_1330 Depth=1
	v_and_b32_e32 v30, 7, v2
	v_ffbh_u32_e32 v12, v30
	v_lshrrev_b32_e32 v50, 3, v41
	v_cmp_gt_u32_e64 s[8:9], 8, v41
	v_min_u32_e32 v41, 32, v12
	v_subrev_u32_e32 v12, 28, v41
	v_lshlrev_b64 v[12:13], v12, v[2:3]
	v_sub_u32_e32 v13, 29, v41
	v_and_b32_e32 v12, 7, v12
	v_cndmask_b32_e64 v13, v50, v13, s[8:9]
	v_cndmask_b32_e64 v12, v30, v12, s[8:9]
	v_lshlrev_b32_e32 v2, 24, v2
	v_lshlrev_b32_e32 v12, 20, v12
	v_and_b32_e32 v2, 0x80000000, v2
	v_lshl_add_u32 v13, v13, 23, v61
	v_accvgpr_read_b32 v50, a57
	v_or3_b32 v30, v2, v13, v12
.LBB388_3097:                           ;   in Loop: Header=BB388_1330 Depth=1
	s_or_b64 exec, exec, s[34:35]
.LBB388_3098:                           ;   in Loop: Header=BB388_1330 Depth=1
	s_or_b64 exec, exec, s[30:31]
.LBB388_3099:                           ;   in Loop: Header=BB388_1330 Depth=1
	s_or_b64 exec, exec, s[28:29]
	v_mul_f32_e32 v2, v9, v30
	v_and_b32_e32 v12, 0x7f800000, v2
	v_cmp_ne_u32_e64 s[8:9], s15, v12
                                        ; implicit-def: $vgpr43
	s_and_saveexec_b64 s[28:29], s[8:9]
	s_xor_b64 s[8:9], exec, s[28:29]
; %bb.3100:                             ;   in Loop: Header=BB388_1330 Depth=1
	v_bfe_u32 v12, v2, 16, 1
	v_add3_u32 v43, v2, v12, s36
                                        ; implicit-def: $vgpr2
; %bb.3101:                             ;   in Loop: Header=BB388_1330 Depth=1
	s_andn2_saveexec_b64 s[28:29], s[8:9]
; %bb.3102:                             ;   in Loop: Header=BB388_1330 Depth=1
	v_or_b32_e32 v12, 0x10000, v2
	v_cmp_eq_u32_sdwa s[8:9], v2, v31 src0_sel:WORD_0 src1_sel:DWORD
	v_cndmask_b32_e64 v43, v12, v2, s[8:9]
; %bb.3103:                             ;   in Loop: Header=BB388_1330 Depth=1
	s_or_b64 exec, exec, s[28:29]
	v_cmp_lt_u32_e64 s[8:9], s17, v0
	v_mov_b32_e32 v30, 0
	s_and_saveexec_b64 s[28:29], s[8:9]
	s_cbranch_execz .LBB388_3109
; %bb.3104:                             ;   in Loop: Header=BB388_1330 Depth=1
	v_lshrrev_b32_e32 v2, 24, v0
	v_cmp_ne_u32_e64 s[8:9], s37, v2
	v_bfrev_b32_e32 v30, 1
	s_and_saveexec_b64 s[30:31], s[8:9]
	s_cbranch_execz .LBB388_3108
; %bb.3105:                             ;   in Loop: Header=BB388_1330 Depth=1
	v_bfe_u32 v41, v0, 24, 7
	v_cmp_ne_u32_e64 s[8:9], s38, v41
	v_mov_b32_e32 v30, 0x7f800001
	s_and_saveexec_b64 s[34:35], s[8:9]
	s_cbranch_execz .LBB388_3107
; %bb.3106:                             ;   in Loop: Header=BB388_1330 Depth=1
	v_and_b32_e32 v30, 7, v2
	v_ffbh_u32_e32 v12, v30
	v_lshrrev_b32_e32 v50, 3, v41
	v_cmp_gt_u32_e64 s[8:9], 8, v41
	v_min_u32_e32 v41, 32, v12
	v_subrev_u32_e32 v12, 28, v41
	v_lshlrev_b64 v[12:13], v12, v[2:3]
	v_sub_u32_e32 v13, 29, v41
	v_and_b32_e32 v12, 7, v12
	v_cndmask_b32_e64 v13, v50, v13, s[8:9]
	v_cndmask_b32_e64 v12, v30, v12, s[8:9]
	v_lshlrev_b32_e32 v2, 24, v2
	v_lshlrev_b32_e32 v12, 20, v12
	v_and_b32_e32 v2, 0x80000000, v2
	v_lshl_add_u32 v13, v13, 23, v61
	v_accvgpr_read_b32 v50, a57
	v_or3_b32 v30, v2, v13, v12
.LBB388_3107:                           ;   in Loop: Header=BB388_1330 Depth=1
	s_or_b64 exec, exec, s[34:35]
.LBB388_3108:                           ;   in Loop: Header=BB388_1330 Depth=1
	s_or_b64 exec, exec, s[30:31]
.LBB388_3109:                           ;   in Loop: Header=BB388_1330 Depth=1
	s_or_b64 exec, exec, s[28:29]
	v_mul_f32_e32 v2, v9, v30
	v_and_b32_e32 v12, 0x7f800000, v2
	v_cmp_ne_u32_e64 s[8:9], s15, v12
                                        ; implicit-def: $vgpr59
	s_and_saveexec_b64 s[28:29], s[8:9]
	s_xor_b64 s[8:9], exec, s[28:29]
; %bb.3110:                             ;   in Loop: Header=BB388_1330 Depth=1
	v_bfe_u32 v12, v2, 16, 1
	v_add3_u32 v59, v2, v12, s36
                                        ; implicit-def: $vgpr2
; %bb.3111:                             ;   in Loop: Header=BB388_1330 Depth=1
	s_andn2_saveexec_b64 s[28:29], s[8:9]
; %bb.3112:                             ;   in Loop: Header=BB388_1330 Depth=1
	v_or_b32_e32 v12, 0x10000, v2
	v_cmp_eq_u32_sdwa s[8:9], v2, v31 src0_sel:WORD_0 src1_sel:DWORD
	v_cndmask_b32_e64 v59, v12, v2, s[8:9]
; %bb.3113:                             ;   in Loop: Header=BB388_1330 Depth=1
	s_or_b64 exec, exec, s[28:29]
	v_mov_b32_e32 v30, v1
	v_cmp_ne_u16_sdwa s[8:9], v1, v31 src0_sel:BYTE_0 src1_sel:DWORD
	v_mov_b32_e32 v2, 0
	s_and_saveexec_b64 s[28:29], s[8:9]
	s_cbranch_execz .LBB388_3119
; %bb.3114:                             ;   in Loop: Header=BB388_1330 Depth=1
	v_cmp_ne_u16_sdwa s[8:9], v1, s37 src0_sel:BYTE_0 src1_sel:DWORD
	v_bfrev_b32_e32 v2, 1
	s_and_saveexec_b64 s[30:31], s[8:9]
	s_cbranch_execz .LBB388_3118
; %bb.3115:                             ;   in Loop: Header=BB388_1330 Depth=1
	v_and_b32_e32 v41, 0x7f, v1
	v_cmp_ne_u32_e64 s[8:9], s38, v41
	v_mov_b32_e32 v2, 0x7f800001
	s_and_saveexec_b64 s[34:35], s[8:9]
	s_cbranch_execz .LBB388_3117
; %bb.3116:                             ;   in Loop: Header=BB388_1330 Depth=1
	v_and_b32_e32 v2, 7, v1
	v_ffbh_u32_e32 v2, v2
	v_min_u32_e32 v2, 32, v2
	v_lshrrev_b32_e32 v12, 3, v41
	v_cmp_gt_u32_e64 s[8:9], 8, v41
	v_subrev_u32_e32 v13, 28, v2
	v_sub_u32_e32 v2, 29, v2
	v_cndmask_b32_e64 v2, v12, v2, s[8:9]
	v_cndmask_b32_e64 v12, 0, v13, s[8:9]
	v_lshlrev_b64 v[12:13], v12, v[30:31]
	v_lshlrev_b32_e32 v12, 20, v12
	v_lshlrev_b32_e32 v13, 24, v30
	v_and_b32_e32 v12, 0x700000, v12
	v_and_b32_e32 v13, 0x80000000, v13
	v_lshl_add_u32 v2, v2, 23, v61
	v_or3_b32 v2, v13, v2, v12
.LBB388_3117:                           ;   in Loop: Header=BB388_1330 Depth=1
	s_or_b64 exec, exec, s[34:35]
.LBB388_3118:                           ;   in Loop: Header=BB388_1330 Depth=1
	s_or_b64 exec, exec, s[30:31]
.LBB388_3119:                           ;   in Loop: Header=BB388_1330 Depth=1
	s_or_b64 exec, exec, s[28:29]
	v_mul_f32_e32 v2, v9, v2
	v_and_b32_e32 v12, 0x7f800000, v2
	v_cmp_ne_u32_e64 s[8:9], s15, v12
                                        ; implicit-def: $vgpr41
	s_and_saveexec_b64 s[28:29], s[8:9]
	s_xor_b64 s[8:9], exec, s[28:29]
; %bb.3120:                             ;   in Loop: Header=BB388_1330 Depth=1
	v_bfe_u32 v12, v2, 16, 1
	v_add3_u32 v41, v2, v12, s36
                                        ; implicit-def: $vgpr2
; %bb.3121:                             ;   in Loop: Header=BB388_1330 Depth=1
	s_andn2_saveexec_b64 s[28:29], s[8:9]
; %bb.3122:                             ;   in Loop: Header=BB388_1330 Depth=1
	v_or_b32_e32 v12, 0x10000, v2
	v_cmp_eq_u32_sdwa s[8:9], v2, v31 src0_sel:WORD_0 src1_sel:DWORD
	v_cndmask_b32_e64 v41, v12, v2, s[8:9]
; %bb.3123:                             ;   in Loop: Header=BB388_1330 Depth=1
	s_or_b64 exec, exec, s[28:29]
	v_lshrrev_b16_e32 v2, 8, v30
	v_cmp_ne_u16_e64 s[8:9], 0, v2
	v_mov_b32_e32 v45, 0
	s_and_saveexec_b64 s[28:29], s[8:9]
	s_cbranch_execz .LBB388_3129
; %bb.3124:                             ;   in Loop: Header=BB388_1330 Depth=1
	v_cmp_ne_u16_e64 s[8:9], s37, v2
	v_bfrev_b32_e32 v45, 1
	s_and_saveexec_b64 s[30:31], s[8:9]
	s_cbranch_execz .LBB388_3128
; %bb.3125:                             ;   in Loop: Header=BB388_1330 Depth=1
	v_and_b32_e32 v60, 0x7f, v2
	v_cmp_ne_u32_e64 s[8:9], s38, v60
	v_mov_b32_e32 v45, 0x7f800001
	s_and_saveexec_b64 s[34:35], s[8:9]
	s_cbranch_execz .LBB388_3127
; %bb.3126:                             ;   in Loop: Header=BB388_1330 Depth=1
	v_and_b32_e32 v50, 7, v2
	v_ffbh_u32_e32 v12, v50
	v_lshrrev_b32_e32 v45, 3, v60
	v_cmp_gt_u32_e64 s[8:9], 8, v60
	v_min_u32_e32 v60, 32, v12
	v_subrev_u32_e32 v12, 28, v60
	v_lshlrev_b64 v[12:13], v12, v[2:3]
	v_sub_u32_e32 v2, 29, v60
	v_and_b32_e32 v12, 7, v12
	v_cndmask_b32_e64 v2, v45, v2, s[8:9]
	v_cndmask_b32_e64 v12, v50, v12, s[8:9]
	v_lshlrev_b32_e32 v13, 16, v30
	v_lshlrev_b32_e32 v12, 20, v12
	v_and_b32_e32 v13, 0x80000000, v13
	v_lshl_add_u32 v2, v2, 23, v61
	v_accvgpr_read_b32 v50, a57
	v_or3_b32 v45, v13, v2, v12
.LBB388_3127:                           ;   in Loop: Header=BB388_1330 Depth=1
	s_or_b64 exec, exec, s[34:35]
.LBB388_3128:                           ;   in Loop: Header=BB388_1330 Depth=1
	s_or_b64 exec, exec, s[30:31]
.LBB388_3129:                           ;   in Loop: Header=BB388_1330 Depth=1
	s_or_b64 exec, exec, s[28:29]
	v_mul_f32_e32 v2, v9, v45
	v_and_b32_e32 v12, 0x7f800000, v2
	v_cmp_ne_u32_e64 s[8:9], s15, v12
                                        ; implicit-def: $vgpr30
	s_and_saveexec_b64 s[28:29], s[8:9]
	s_xor_b64 s[8:9], exec, s[28:29]
; %bb.3130:                             ;   in Loop: Header=BB388_1330 Depth=1
	v_bfe_u32 v12, v2, 16, 1
	v_add3_u32 v30, v2, v12, s36
                                        ; implicit-def: $vgpr2
; %bb.3131:                             ;   in Loop: Header=BB388_1330 Depth=1
	s_andn2_saveexec_b64 s[28:29], s[8:9]
; %bb.3132:                             ;   in Loop: Header=BB388_1330 Depth=1
	v_or_b32_e32 v12, 0x10000, v2
	v_cmp_eq_u32_sdwa s[8:9], v2, v31 src0_sel:WORD_0 src1_sel:DWORD
	v_cndmask_b32_e64 v30, v12, v2, s[8:9]
; %bb.3133:                             ;   in Loop: Header=BB388_1330 Depth=1
	s_or_b64 exec, exec, s[28:29]
	v_lshrrev_b32_e32 v2, 16, v1
	v_cmp_ne_u16_sdwa s[8:9], v2, v31 src0_sel:BYTE_0 src1_sel:DWORD
	v_mov_b32_e32 v45, 0
	s_and_saveexec_b64 s[28:29], s[8:9]
	s_cbranch_execz .LBB388_3139
; %bb.3134:                             ;   in Loop: Header=BB388_1330 Depth=1
	v_cmp_ne_u16_sdwa s[8:9], v2, s37 src0_sel:BYTE_0 src1_sel:DWORD
	v_bfrev_b32_e32 v45, 1
	s_and_saveexec_b64 s[30:31], s[8:9]
	s_cbranch_execz .LBB388_3138
; %bb.3135:                             ;   in Loop: Header=BB388_1330 Depth=1
	v_bfe_u32 v60, v1, 16, 7
	v_cmp_ne_u32_e64 s[8:9], s38, v60
	v_mov_b32_e32 v45, 0x7f800001
	s_and_saveexec_b64 s[34:35], s[8:9]
	s_cbranch_execz .LBB388_3137
; %bb.3136:                             ;   in Loop: Header=BB388_1330 Depth=1
	v_and_b32_e32 v50, 7, v2
	v_ffbh_u32_e32 v12, v50
	v_lshrrev_b32_e32 v45, 3, v60
	v_cmp_gt_u32_e64 s[8:9], 8, v60
	v_min_u32_e32 v60, 32, v12
	v_subrev_u32_e32 v12, 28, v60
	v_lshlrev_b64 v[12:13], v12, v[2:3]
	v_sub_u32_e32 v13, 29, v60
	v_and_b32_e32 v12, 7, v12
	v_cndmask_b32_e64 v13, v45, v13, s[8:9]
	v_cndmask_b32_e64 v12, v50, v12, s[8:9]
	v_lshlrev_b32_e32 v2, 24, v2
	v_lshlrev_b32_e32 v12, 20, v12
	v_and_b32_e32 v2, 0x80000000, v2
	v_lshl_add_u32 v13, v13, 23, v61
	v_accvgpr_read_b32 v50, a57
	v_or3_b32 v45, v2, v13, v12
.LBB388_3137:                           ;   in Loop: Header=BB388_1330 Depth=1
	s_or_b64 exec, exec, s[34:35]
.LBB388_3138:                           ;   in Loop: Header=BB388_1330 Depth=1
	s_or_b64 exec, exec, s[30:31]
.LBB388_3139:                           ;   in Loop: Header=BB388_1330 Depth=1
	s_or_b64 exec, exec, s[28:29]
	v_mul_f32_e32 v45, v9, v45
	v_and_b32_e32 v2, 0x7f800000, v45
	v_cmp_ne_u32_e64 s[8:9], s15, v2
                                        ; implicit-def: $vgpr2
	s_and_saveexec_b64 s[28:29], s[8:9]
	s_xor_b64 s[8:9], exec, s[28:29]
; %bb.3140:                             ;   in Loop: Header=BB388_1330 Depth=1
	v_bfe_u32 v2, v45, 16, 1
	v_add3_u32 v2, v45, v2, s36
                                        ; implicit-def: $vgpr45
; %bb.3141:                             ;   in Loop: Header=BB388_1330 Depth=1
	s_andn2_saveexec_b64 s[28:29], s[8:9]
; %bb.3142:                             ;   in Loop: Header=BB388_1330 Depth=1
	v_or_b32_e32 v2, 0x10000, v45
	v_cmp_eq_u32_sdwa s[8:9], v45, v31 src0_sel:WORD_0 src1_sel:DWORD
	v_cndmask_b32_e64 v2, v2, v45, s[8:9]
; %bb.3143:                             ;   in Loop: Header=BB388_1330 Depth=1
	s_or_b64 exec, exec, s[28:29]
	v_cmp_lt_u64_e64 s[8:9], s[16:17], v[0:1]
	v_mov_b32_e32 v45, 0
	s_and_saveexec_b64 s[28:29], s[8:9]
	s_cbranch_execz .LBB388_3149
; %bb.3144:                             ;   in Loop: Header=BB388_1330 Depth=1
	v_lshrrev_b32_e32 v0, 24, v1
	v_cmp_ne_u32_e64 s[8:9], s37, v0
	v_bfrev_b32_e32 v45, 1
	s_and_saveexec_b64 s[30:31], s[8:9]
	s_cbranch_execz .LBB388_3148
; %bb.3145:                             ;   in Loop: Header=BB388_1330 Depth=1
	v_bfe_u32 v1, v1, 24, 7
	v_cmp_ne_u32_e64 s[8:9], s38, v1
	v_mov_b32_e32 v45, 0x7f800001
	s_and_saveexec_b64 s[34:35], s[8:9]
	s_cbranch_execz .LBB388_3147
; %bb.3146:                             ;   in Loop: Header=BB388_1330 Depth=1
	v_and_b32_e32 v50, 7, v0
	v_lshrrev_b32_e32 v45, 3, v1
	v_cmp_gt_u32_e64 s[8:9], 8, v1
	v_ffbh_u32_e32 v1, v50
	v_min_u32_e32 v1, 32, v1
	v_subrev_u32_e32 v12, 28, v1
	v_lshlrev_b64 v[12:13], v12, v[0:1]
	v_sub_u32_e32 v1, 29, v1
	v_and_b32_e32 v12, 7, v12
	v_cndmask_b32_e64 v1, v45, v1, s[8:9]
	v_cndmask_b32_e64 v12, v50, v12, s[8:9]
	v_lshlrev_b32_e32 v0, 24, v0
	v_lshlrev_b32_e32 v12, 20, v12
	v_and_b32_e32 v0, 0x80000000, v0
	v_lshl_add_u32 v1, v1, 23, v61
	v_accvgpr_read_b32 v50, a57
	v_or3_b32 v45, v0, v1, v12
.LBB388_3147:                           ;   in Loop: Header=BB388_1330 Depth=1
	s_or_b64 exec, exec, s[34:35]
.LBB388_3148:                           ;   in Loop: Header=BB388_1330 Depth=1
	s_or_b64 exec, exec, s[30:31]
.LBB388_3149:                           ;   in Loop: Header=BB388_1330 Depth=1
	s_or_b64 exec, exec, s[28:29]
	v_mul_f32_e32 v0, v9, v45
	v_and_b32_e32 v1, 0x7f800000, v0
	v_cmp_ne_u32_e64 s[8:9], s15, v1
                                        ; implicit-def: $vgpr60
	s_and_saveexec_b64 s[28:29], s[8:9]
	s_xor_b64 s[8:9], exec, s[28:29]
; %bb.3150:                             ;   in Loop: Header=BB388_1330 Depth=1
	v_bfe_u32 v1, v0, 16, 1
	v_add3_u32 v60, v0, v1, s36
                                        ; implicit-def: $vgpr0
; %bb.3151:                             ;   in Loop: Header=BB388_1330 Depth=1
	s_andn2_saveexec_b64 s[28:29], s[8:9]
; %bb.3152:                             ;   in Loop: Header=BB388_1330 Depth=1
	v_or_b32_e32 v1, 0x10000, v0
	v_cmp_eq_u32_sdwa s[8:9], v0, v31 src0_sel:WORD_0 src1_sel:DWORD
	v_cndmask_b32_e64 v60, v1, v0, s[8:9]
; %bb.3153:                             ;   in Loop: Header=BB388_1330 Depth=1
	s_or_b64 exec, exec, s[28:29]
	v_lshrrev_b32_e32 v45, 16, v30
	v_lshrrev_b32_e32 v9, 16, v41
	;; [unrolled: 1-line block ×8, first 2 shown]
	s_and_saveexec_b64 s[8:9], vcc
	s_cbranch_execz .LBB388_3155
; %bb.3154:                             ;   in Loop: Header=BB388_1330 Depth=1
	buffer_load_dword v2, off, s[0:3], s32 offset:196 ; 4-byte Folded Reload
	v_accvgpr_read_b32 v8, a18
	s_waitcnt vmcnt(0)
	v_cmp_lt_i32_e32 vcc, v40, v2
	v_cndmask_b32_e32 v0, 0, v0, vcc
	v_cmp_lt_i32_e32 vcc, v8, v2
	v_accvgpr_read_b32 v8, a63
	v_cndmask_b32_e32 v1, 0, v1, vcc
	v_cmp_lt_i32_e32 vcc, v8, v2
	v_accvgpr_read_b32 v8, a62
	;; [unrolled: 3-line block ×5, first 2 shown]
	v_cndmask_b32_e32 v45, 0, v45, vcc
	v_cmp_lt_i32_e32 vcc, v8, v2
	v_cndmask_b32_e32 v51, 0, v51, vcc
	v_cmp_lt_i32_e32 vcc, v50, v2
	v_cndmask_b32_e32 v30, 0, v30, vcc
.LBB388_3155:                           ;   in Loop: Header=BB388_1330 Depth=1
	s_or_b64 exec, exec, s[8:9]
	v_lshlrev_b32_e32 v0, 16, v0
	v_mul_f32_e32 v2, v27, v0
	v_and_b32_e32 v0, 0x7f800000, v2
	v_cmp_ne_u32_e32 vcc, s15, v0
                                        ; implicit-def: $vgpr0
	s_and_saveexec_b64 s[8:9], vcc
	s_xor_b64 s[8:9], exec, s[8:9]
; %bb.3156:                             ;   in Loop: Header=BB388_1330 Depth=1
	v_bfe_u32 v0, v2, 16, 1
	v_add3_u32 v0, v2, v0, s36
                                        ; implicit-def: $vgpr2
; %bb.3157:                             ;   in Loop: Header=BB388_1330 Depth=1
	s_andn2_saveexec_b64 s[8:9], s[8:9]
; %bb.3158:                             ;   in Loop: Header=BB388_1330 Depth=1
	v_or_b32_e32 v0, 0x10000, v2
	v_cmp_eq_u32_sdwa vcc, v2, v31 src0_sel:WORD_0 src1_sel:DWORD
	v_cndmask_b32_e32 v0, v0, v2, vcc
; %bb.3159:                             ;   in Loop: Header=BB388_1330 Depth=1
	s_or_b64 exec, exec, s[8:9]
	v_lshlrev_b32_e32 v1, 16, v1
	v_mul_f32_e32 v2, v23, v1
	v_and_b32_e32 v1, 0x7f800000, v2
	v_cmp_ne_u32_e32 vcc, s15, v1
                                        ; implicit-def: $vgpr1
	s_and_saveexec_b64 s[8:9], vcc
	s_xor_b64 s[8:9], exec, s[8:9]
; %bb.3160:                             ;   in Loop: Header=BB388_1330 Depth=1
	v_bfe_u32 v1, v2, 16, 1
	v_add3_u32 v1, v2, v1, s36
                                        ; implicit-def: $vgpr2
; %bb.3161:                             ;   in Loop: Header=BB388_1330 Depth=1
	s_andn2_saveexec_b64 s[8:9], s[8:9]
; %bb.3162:                             ;   in Loop: Header=BB388_1330 Depth=1
	v_or_b32_e32 v1, 0x10000, v2
	v_cmp_eq_u32_sdwa vcc, v2, v31 src0_sel:WORD_0 src1_sel:DWORD
	v_cndmask_b32_e32 v1, v1, v2, vcc
; %bb.3163:                             ;   in Loop: Header=BB388_1330 Depth=1
	s_or_b64 exec, exec, s[8:9]
	v_lshlrev_b32_e32 v2, 16, v43
	v_mul_f32_e32 v8, v55, v2
	v_and_b32_e32 v2, 0x7f800000, v8
	v_cmp_ne_u32_e32 vcc, s15, v2
                                        ; implicit-def: $vgpr2
	s_and_saveexec_b64 s[8:9], vcc
	s_xor_b64 s[8:9], exec, s[8:9]
; %bb.3164:                             ;   in Loop: Header=BB388_1330 Depth=1
	v_bfe_u32 v2, v8, 16, 1
	v_add3_u32 v2, v8, v2, s36
                                        ; implicit-def: $vgpr8
; %bb.3165:                             ;   in Loop: Header=BB388_1330 Depth=1
	s_andn2_saveexec_b64 s[8:9], s[8:9]
; %bb.3166:                             ;   in Loop: Header=BB388_1330 Depth=1
	v_or_b32_e32 v2, 0x10000, v8
	v_cmp_eq_u32_sdwa vcc, v8, v31 src0_sel:WORD_0 src1_sel:DWORD
	v_cndmask_b32_e32 v2, v2, v8, vcc
; %bb.3167:                             ;   in Loop: Header=BB388_1330 Depth=1
	s_or_b64 exec, exec, s[8:9]
	v_lshlrev_b32_e32 v8, 16, v41
	v_mul_f32_e32 v23, v48, v8
	v_and_b32_e32 v8, 0x7f800000, v23
	v_cmp_ne_u32_e32 vcc, s15, v8
                                        ; implicit-def: $vgpr8
	s_and_saveexec_b64 s[8:9], vcc
	s_xor_b64 s[8:9], exec, s[8:9]
; %bb.3168:                             ;   in Loop: Header=BB388_1330 Depth=1
	v_bfe_u32 v8, v23, 16, 1
	v_add3_u32 v8, v23, v8, s36
                                        ; implicit-def: $vgpr23
; %bb.3169:                             ;   in Loop: Header=BB388_1330 Depth=1
	s_andn2_saveexec_b64 s[8:9], s[8:9]
; %bb.3170:                             ;   in Loop: Header=BB388_1330 Depth=1
	v_or_b32_e32 v8, 0x10000, v23
	v_cmp_eq_u32_sdwa vcc, v23, v31 src0_sel:WORD_0 src1_sel:DWORD
	v_cndmask_b32_e32 v8, v8, v23, vcc
; %bb.3171:                             ;   in Loop: Header=BB388_1330 Depth=1
	s_or_b64 exec, exec, s[8:9]
	v_lshlrev_b32_e32 v9, 16, v9
	v_mul_f32_e32 v23, v62, v9
	v_and_b32_e32 v9, 0x7f800000, v23
	v_cmp_ne_u32_e32 vcc, s15, v9
                                        ; implicit-def: $vgpr9
	s_and_saveexec_b64 s[8:9], vcc
	s_xor_b64 s[8:9], exec, s[8:9]
; %bb.3172:                             ;   in Loop: Header=BB388_1330 Depth=1
	v_bfe_u32 v9, v23, 16, 1
	v_add3_u32 v9, v23, v9, s36
                                        ; implicit-def: $vgpr23
; %bb.3173:                             ;   in Loop: Header=BB388_1330 Depth=1
	s_andn2_saveexec_b64 s[8:9], s[8:9]
; %bb.3174:                             ;   in Loop: Header=BB388_1330 Depth=1
	v_or_b32_e32 v9, 0x10000, v23
	v_cmp_eq_u32_sdwa vcc, v23, v31 src0_sel:WORD_0 src1_sel:DWORD
	v_cndmask_b32_e32 v9, v9, v23, vcc
; %bb.3175:                             ;   in Loop: Header=BB388_1330 Depth=1
	s_or_b64 exec, exec, s[8:9]
	v_lshlrev_b32_e32 v12, 16, v45
	v_mul_f32_e32 v5, v5, v12
	v_and_b32_e32 v12, 0x7f800000, v5
	v_cmp_ne_u32_e32 vcc, s15, v12
                                        ; implicit-def: $vgpr23
	s_and_saveexec_b64 s[8:9], vcc
	s_xor_b64 s[8:9], exec, s[8:9]
; %bb.3176:                             ;   in Loop: Header=BB388_1330 Depth=1
	v_bfe_u32 v12, v5, 16, 1
	v_add3_u32 v23, v5, v12, s36
                                        ; implicit-def: $vgpr5
; %bb.3177:                             ;   in Loop: Header=BB388_1330 Depth=1
	s_andn2_saveexec_b64 s[8:9], s[8:9]
; %bb.3178:                             ;   in Loop: Header=BB388_1330 Depth=1
	v_or_b32_e32 v12, 0x10000, v5
	v_cmp_eq_u32_sdwa vcc, v5, v31 src0_sel:WORD_0 src1_sel:DWORD
	v_cndmask_b32_e32 v23, v12, v5, vcc
; %bb.3179:                             ;   in Loop: Header=BB388_1330 Depth=1
	s_or_b64 exec, exec, s[8:9]
	v_lshlrev_b32_e32 v5, 16, v51
	v_mul_f32_e32 v5, v10, v5
	v_and_b32_e32 v10, 0x7f800000, v5
	v_cmp_ne_u32_e32 vcc, s15, v10
                                        ; implicit-def: $vgpr10
	s_and_saveexec_b64 s[8:9], vcc
	s_xor_b64 s[8:9], exec, s[8:9]
; %bb.3180:                             ;   in Loop: Header=BB388_1330 Depth=1
	v_bfe_u32 v10, v5, 16, 1
	v_add3_u32 v10, v5, v10, s36
                                        ; implicit-def: $vgpr5
; %bb.3181:                             ;   in Loop: Header=BB388_1330 Depth=1
	s_andn2_saveexec_b64 s[8:9], s[8:9]
; %bb.3182:                             ;   in Loop: Header=BB388_1330 Depth=1
	v_or_b32_e32 v10, 0x10000, v5
	v_cmp_eq_u32_sdwa vcc, v5, v31 src0_sel:WORD_0 src1_sel:DWORD
	v_cndmask_b32_e32 v10, v10, v5, vcc
; %bb.3183:                             ;   in Loop: Header=BB388_1330 Depth=1
	s_or_b64 exec, exec, s[8:9]
	v_lshlrev_b32_e32 v5, 16, v30
	v_mul_f32_e32 v5, v11, v5
	v_and_b32_e32 v11, 0x7f800000, v5
	v_cmp_ne_u32_e32 vcc, s15, v11
                                        ; implicit-def: $vgpr11
	s_and_saveexec_b64 s[8:9], vcc
	s_xor_b64 s[8:9], exec, s[8:9]
; %bb.3184:                             ;   in Loop: Header=BB388_1330 Depth=1
	v_bfe_u32 v11, v5, 16, 1
	v_add3_u32 v11, v5, v11, s36
                                        ; implicit-def: $vgpr5
; %bb.3185:                             ;   in Loop: Header=BB388_1330 Depth=1
	s_andn2_saveexec_b64 s[8:9], s[8:9]
	s_cbranch_execz .LBB388_1328
; %bb.3186:                             ;   in Loop: Header=BB388_1330 Depth=1
	v_or_b32_e32 v11, 0x10000, v5
	v_cmp_eq_u32_sdwa vcc, v5, v31 src0_sel:WORD_0 src1_sel:DWORD
	v_cndmask_b32_e32 v11, v11, v5, vcc
	s_branch .LBB388_1328
.LBB388_3187:
	s_or_b64 exec, exec, s[18:19]
	buffer_load_dword v26, off, s[0:3], s32 offset:592 ; 4-byte Folded Reload
	buffer_load_dword v27, off, s[0:3], s32 offset:596 ; 4-byte Folded Reload
	;; [unrolled: 1-line block ×16, first 2 shown]
.LBB388_3188:
	s_or_b64 exec, exec, s[12:13]
	s_waitcnt vmcnt(0)
	ds_bpermute_b32 v0, v25, v4
	ds_bpermute_b32 v1, v25, v5
	;; [unrolled: 1-line block ×6, first 2 shown]
	s_waitcnt lgkmcnt(0)
	v_pk_add_f32 v[0:1], v[4:5], v[0:1]
	ds_bpermute_b32 v4, v28, v0
	ds_bpermute_b32 v5, v28, v1
	v_pk_add_f32 v[2:3], v[8:9], v[2:3]
	ds_bpermute_b32 v8, v28, v2
	ds_bpermute_b32 v9, v28, v3
	s_waitcnt lgkmcnt(0)
	v_pk_add_f32 v[22:23], v[0:1], v[4:5]
	v_pk_add_f32 v[0:1], v[12:13], v[6:7]
	ds_bpermute_b32 v4, v28, v0
	ds_bpermute_b32 v5, v28, v1
	;; [unrolled: 1-line block ×4, first 2 shown]
	v_pk_mov_b32 v[12:13], v[20:21], v[20:21] op_sel:[0,1]
	v_pk_add_f32 v[20:21], v[2:3], v[8:9]
	ds_bpermute_b32 v2, v25, v10
	ds_bpermute_b32 v3, v25, v11
	s_waitcnt lgkmcnt(4)
	v_pk_add_f32 v[14:15], v[0:1], v[4:5]
	s_waitcnt lgkmcnt(2)
	v_pk_add_f32 v[0:1], v[12:13], v[6:7]
	ds_bpermute_b32 v4, v28, v0
	ds_bpermute_b32 v5, v28, v1
	s_waitcnt lgkmcnt(2)
	v_pk_add_f32 v[2:3], v[10:11], v[2:3]
	ds_bpermute_b32 v10, v25, v16
	ds_bpermute_b32 v11, v25, v17
	s_barrier
	s_waitcnt lgkmcnt(0)
	ds_bpermute_b32 v6, v25, v18
	ds_bpermute_b32 v7, v25, v19
	v_pk_add_f32 v[16:17], v[16:17], v[10:11]
	v_pk_add_f32 v[10:11], v[0:1], v[4:5]
	buffer_load_dword v4, off, s[0:3], s32 offset:916 ; 4-byte Folded Reload
	ds_bpermute_b32 v8, v28, v2
	ds_bpermute_b32 v9, v28, v3
	s_waitcnt lgkmcnt(2)
	v_pk_add_f32 v[6:7], v[18:19], v[6:7]
	ds_bpermute_b32 v24, v25, v32
	ds_bpermute_b32 v25, v25, v33
	;; [unrolled: 1-line block ×6, first 2 shown]
	s_waitcnt lgkmcnt(6)
	v_pk_add_f32 v[8:9], v[2:3], v[8:9]
	s_waitcnt lgkmcnt(4)
	v_pk_add_f32 v[2:3], v[32:33], v[24:25]
	;; [unrolled: 2-line block ×3, first 2 shown]
	ds_bpermute_b32 v12, v28, v2
	ds_bpermute_b32 v13, v28, v3
	s_waitcnt lgkmcnt(2)
	v_pk_add_f32 v[0:1], v[16:17], v[18:19]
	s_waitcnt vmcnt(0)
	v_and_b32_e32 v4, 0x3c3, v4
	v_cmp_ne_u32_e32 vcc, 64, v4
	s_and_saveexec_b64 s[8:9], vcc
	s_xor_b64 s[8:9], exec, s[8:9]
; %bb.3189:
                                        ; implicit-def: $vgpr26
; %bb.3190:
	s_or_saveexec_b64 s[8:9], s[8:9]
	s_waitcnt lgkmcnt(0)
	v_pk_add_f32 v[2:3], v[2:3], v[12:13]
	s_xor_b64 exec, exec, s[8:9]
	s_cbranch_execz .LBB388_3192
; %bb.3191:
	s_load_dword s12, s[10:11], 0x0
	s_waitcnt lgkmcnt(0)
	v_add_u32_e32 v4, s12, v26
	ds_write2_b32 v4, v22, v23 offset1:16
	ds_write2_b32 v4, v20, v21 offset0:32 offset1:48
	ds_write2_b32 v4, v14, v15 offset0:64 offset1:80
	;; [unrolled: 1-line block ×7, first 2 shown]
.LBB388_3192:
	s_or_b64 exec, exec, s[8:9]
	s_waitcnt lgkmcnt(0)
	s_barrier
	s_and_saveexec_b64 s[8:9], s[6:7]
	s_xor_b64 s[6:7], exec, s[8:9]
	s_andn2_saveexec_b64 s[6:7], s[6:7]
	s_cbranch_execz .LBB388_3211
; %bb.3193:
	buffer_load_dword v4, off, s[0:3], s32 offset:916 ; 4-byte Folded Reload
	v_cmp_eq_u32_e32 vcc, 0, v27
	s_waitcnt vmcnt(0)
	v_lshrrev_b32_e32 v4, 2, v4
	s_and_saveexec_b64 s[8:9], vcc
	s_cbranch_execnz .LBB388_3279
; %bb.3194:
	s_or_b64 exec, exec, s[8:9]
	s_and_saveexec_b64 s[8:9], vcc
	s_cbranch_execnz .LBB388_3280
.LBB388_3195:
	s_or_b64 exec, exec, s[8:9]
	s_and_saveexec_b64 s[8:9], vcc
	s_cbranch_execnz .LBB388_3281
.LBB388_3196:
	s_or_b64 exec, exec, s[8:9]
	s_and_saveexec_b64 s[8:9], vcc
	s_cbranch_execnz .LBB388_3282
.LBB388_3197:
	s_or_b64 exec, exec, s[8:9]
	s_and_saveexec_b64 s[8:9], vcc
	s_cbranch_execnz .LBB388_3283
.LBB388_3198:
	s_or_b64 exec, exec, s[8:9]
	s_and_saveexec_b64 s[8:9], vcc
	s_cbranch_execnz .LBB388_3284
.LBB388_3199:
	s_or_b64 exec, exec, s[8:9]
	s_and_saveexec_b64 s[8:9], vcc
	s_cbranch_execnz .LBB388_3285
.LBB388_3200:
	s_or_b64 exec, exec, s[8:9]
	s_and_saveexec_b64 s[8:9], vcc
	s_cbranch_execnz .LBB388_3286
.LBB388_3201:
	s_or_b64 exec, exec, s[8:9]
	s_and_saveexec_b64 s[8:9], vcc
	s_cbranch_execnz .LBB388_3287
.LBB388_3202:
	s_or_b64 exec, exec, s[8:9]
	s_and_saveexec_b64 s[8:9], vcc
	s_cbranch_execnz .LBB388_3288
.LBB388_3203:
	s_or_b64 exec, exec, s[8:9]
	s_and_saveexec_b64 s[8:9], vcc
	s_cbranch_execnz .LBB388_3289
.LBB388_3204:
	s_or_b64 exec, exec, s[8:9]
	s_and_saveexec_b64 s[8:9], vcc
	s_cbranch_execnz .LBB388_3290
.LBB388_3205:
	s_or_b64 exec, exec, s[8:9]
	s_and_saveexec_b64 s[8:9], vcc
	s_cbranch_execnz .LBB388_3291
.LBB388_3206:
	s_or_b64 exec, exec, s[8:9]
	s_and_saveexec_b64 s[8:9], vcc
	s_cbranch_execnz .LBB388_3292
.LBB388_3207:
	s_or_b64 exec, exec, s[8:9]
	s_and_saveexec_b64 s[8:9], vcc
	s_cbranch_execnz .LBB388_3293
.LBB388_3208:
	s_or_b64 exec, exec, s[8:9]
	s_and_saveexec_b64 s[8:9], vcc
	s_cbranch_execz .LBB388_3210
.LBB388_3209:
	s_load_dword s10, s[10:11], 0x0
	s_waitcnt lgkmcnt(0)
	v_lshl_add_u32 v4, v4, 2, s10
	ds_read_b32 v4, v4 offset:960
	s_waitcnt lgkmcnt(0)
	v_add_f32_e32 v3, v4, v3
.LBB388_3210:
	s_or_b64 exec, exec, s[8:9]
.LBB388_3211:
	s_or_b64 exec, exec, s[6:7]
	s_barrier
	s_and_b64 exec, exec, s[4:5]
	s_cbranch_execz .LBB388_3278
; %bb.3212:
	v_cmp_eq_u32_e32 vcc, 0, v27
	s_and_b64 exec, exec, vcc
	s_cbranch_execz .LBB388_3278
; %bb.3213:
	s_mov_b32 s4, 0x7f800000
	v_and_b32_e32 v4, 0x7f800000, v22
	v_cmp_ne_u32_e32 vcc, s4, v4
                                        ; implicit-def: $vgpr12
	s_and_saveexec_b64 s[4:5], vcc
	s_xor_b64 s[4:5], exec, s[4:5]
; %bb.3214:
	v_bfe_u32 v4, v22, 16, 1
	s_movk_i32 s6, 0x7fff
	v_add3_u32 v12, v22, v4, s6
; %bb.3215:
	s_andn2_saveexec_b64 s[4:5], s[4:5]
; %bb.3216:
	v_mov_b32_e32 v4, 0
	v_or_b32_e32 v5, 0x10000, v22
	v_cmp_eq_u32_sdwa vcc, v22, v4 src0_sel:WORD_0 src1_sel:DWORD
	v_cndmask_b32_e32 v12, v5, v22, vcc
; %bb.3217:
	s_or_b64 exec, exec, s[4:5]
	buffer_load_dword v5, off, s[0:3], s32 offset:988 ; 4-byte Folded Reload
	buffer_load_dword v13, off, s[0:3], s32 offset:984 ; 4-byte Folded Reload
	s_mul_i32 s4, s25, s22
	s_mul_i32 s4, s4, s23
	s_lshl_b32 s4, s4, 8
	s_mul_i32 s6, s24, s25
	s_lshl_b32 s8, s14, 8
	s_ashr_i32 s5, s4, 31
	s_ashr_i32 s7, s6, 31
	;; [unrolled: 1-line block ×3, first 2 shown]
	s_lshl_b64 s[4:5], s[4:5], 1
	s_lshl_b64 s[6:7], s[6:7], 1
	;; [unrolled: 1-line block ×3, first 2 shown]
	s_add_u32 s6, s8, s6
	s_addc_u32 s7, s9, s7
	s_add_u32 s4, s6, s4
	s_addc_u32 s5, s7, s5
	v_mov_b32_e32 v4, s5
	s_waitcnt vmcnt(1)
	v_add_co_u32_e32 v5, vcc, s4, v5
	s_waitcnt vmcnt(0)
	v_addc_co_u32_e32 v13, vcc, v4, v13, vcc
	buffer_load_dword v4, off, s[0:3], s32 offset:916 ; 4-byte Folded Reload
	s_mov_b32 s4, 0x7f800000
	s_waitcnt vmcnt(0)
	v_lshrrev_b32_e32 v4, 1, v4
	v_and_b32_e32 v4, 0x1fe, v4
	v_add_co_u32_e32 v4, vcc, v5, v4
	v_addc_co_u32_e32 v5, vcc, 0, v13, vcc
	flat_store_short_d16_hi v[4:5], v12
	v_and_b32_e32 v12, 0x7f800000, v23
	v_cmp_ne_u32_e32 vcc, s4, v12
                                        ; implicit-def: $vgpr12
	s_and_saveexec_b64 s[4:5], vcc
	s_xor_b64 s[4:5], exec, s[4:5]
; %bb.3218:
	v_bfe_u32 v12, v23, 16, 1
	s_movk_i32 s6, 0x7fff
	v_add3_u32 v12, v23, v12, s6
                                        ; implicit-def: $vgpr22_vgpr23
; %bb.3219:
	s_andn2_saveexec_b64 s[4:5], s[4:5]
; %bb.3220:
	v_mov_b32_e32 v12, 0
	v_or_b32_e32 v13, 0x10000, v23
	v_cmp_eq_u32_sdwa vcc, v23, v12 src0_sel:WORD_0 src1_sel:DWORD
	v_cndmask_b32_e32 v12, v13, v23, vcc
; %bb.3221:
	s_or_b64 exec, exec, s[4:5]
	flat_store_short_d16_hi v[4:5], v12 offset:32
	s_mov_b32 s4, 0x7f800000
	v_and_b32_e32 v12, 0x7f800000, v20
	v_cmp_ne_u32_e32 vcc, s4, v12
                                        ; implicit-def: $vgpr12
	s_and_saveexec_b64 s[4:5], vcc
	s_xor_b64 s[4:5], exec, s[4:5]
; %bb.3222:
	v_bfe_u32 v12, v20, 16, 1
	s_movk_i32 s6, 0x7fff
	v_add3_u32 v12, v20, v12, s6
; %bb.3223:
	s_andn2_saveexec_b64 s[4:5], s[4:5]
; %bb.3224:
	v_mov_b32_e32 v12, 0
	v_or_b32_e32 v13, 0x10000, v20
	v_cmp_eq_u32_sdwa vcc, v20, v12 src0_sel:WORD_0 src1_sel:DWORD
	v_cndmask_b32_e32 v12, v13, v20, vcc
; %bb.3225:
	s_or_b64 exec, exec, s[4:5]
	flat_store_short_d16_hi v[4:5], v12 offset:64
	s_mov_b32 s4, 0x7f800000
	v_and_b32_e32 v12, 0x7f800000, v21
	v_cmp_ne_u32_e32 vcc, s4, v12
                                        ; implicit-def: $vgpr12
	s_and_saveexec_b64 s[4:5], vcc
	s_xor_b64 s[4:5], exec, s[4:5]
; %bb.3226:
	v_bfe_u32 v12, v21, 16, 1
	s_movk_i32 s6, 0x7fff
	v_add3_u32 v12, v21, v12, s6
                                        ; implicit-def: $vgpr20_vgpr21
; %bb.3227:
	s_andn2_saveexec_b64 s[4:5], s[4:5]
; %bb.3228:
	v_mov_b32_e32 v12, 0
	v_or_b32_e32 v13, 0x10000, v21
	v_cmp_eq_u32_sdwa vcc, v21, v12 src0_sel:WORD_0 src1_sel:DWORD
	v_cndmask_b32_e32 v12, v13, v21, vcc
; %bb.3229:
	s_or_b64 exec, exec, s[4:5]
	flat_store_short_d16_hi v[4:5], v12 offset:96
	s_mov_b32 s4, 0x7f800000
	v_and_b32_e32 v12, 0x7f800000, v14
	v_cmp_ne_u32_e32 vcc, s4, v12
                                        ; implicit-def: $vgpr12
	s_and_saveexec_b64 s[4:5], vcc
	s_xor_b64 s[4:5], exec, s[4:5]
; %bb.3230:
	v_bfe_u32 v12, v14, 16, 1
	s_movk_i32 s6, 0x7fff
	v_add3_u32 v12, v14, v12, s6
; %bb.3231:
	s_andn2_saveexec_b64 s[4:5], s[4:5]
; %bb.3232:
	v_mov_b32_e32 v12, 0
	v_or_b32_e32 v13, 0x10000, v14
	v_cmp_eq_u32_sdwa vcc, v14, v12 src0_sel:WORD_0 src1_sel:DWORD
	v_cndmask_b32_e32 v12, v13, v14, vcc
; %bb.3233:
	s_or_b64 exec, exec, s[4:5]
	flat_store_short_d16_hi v[4:5], v12 offset:128
	s_mov_b32 s4, 0x7f800000
	v_and_b32_e32 v12, 0x7f800000, v15
	v_cmp_ne_u32_e32 vcc, s4, v12
                                        ; implicit-def: $vgpr12
	s_and_saveexec_b64 s[4:5], vcc
	s_xor_b64 s[4:5], exec, s[4:5]
; %bb.3234:
	v_bfe_u32 v12, v15, 16, 1
	s_movk_i32 s6, 0x7fff
	v_add3_u32 v12, v15, v12, s6
                                        ; implicit-def: $vgpr14_vgpr15
; %bb.3235:
	s_andn2_saveexec_b64 s[4:5], s[4:5]
; %bb.3236:
	v_mov_b32_e32 v12, 0
	v_or_b32_e32 v13, 0x10000, v15
	v_cmp_eq_u32_sdwa vcc, v15, v12 src0_sel:WORD_0 src1_sel:DWORD
	v_cndmask_b32_e32 v12, v13, v15, vcc
; %bb.3237:
	s_or_b64 exec, exec, s[4:5]
	flat_store_short_d16_hi v[4:5], v12 offset:160
	s_mov_b32 s4, 0x7f800000
	v_and_b32_e32 v12, 0x7f800000, v10
	v_cmp_ne_u32_e32 vcc, s4, v12
                                        ; implicit-def: $vgpr12
	s_and_saveexec_b64 s[4:5], vcc
	s_xor_b64 s[4:5], exec, s[4:5]
; %bb.3238:
	v_bfe_u32 v12, v10, 16, 1
	s_movk_i32 s6, 0x7fff
	v_add3_u32 v12, v10, v12, s6
; %bb.3239:
	s_andn2_saveexec_b64 s[4:5], s[4:5]
; %bb.3240:
	v_mov_b32_e32 v12, 0
	v_or_b32_e32 v13, 0x10000, v10
	v_cmp_eq_u32_sdwa vcc, v10, v12 src0_sel:WORD_0 src1_sel:DWORD
	v_cndmask_b32_e32 v12, v13, v10, vcc
; %bb.3241:
	s_or_b64 exec, exec, s[4:5]
	s_mov_b32 s4, 0x7f800000
	v_and_b32_e32 v10, 0x7f800000, v11
	v_cmp_ne_u32_e32 vcc, s4, v10
	flat_store_short_d16_hi v[4:5], v12 offset:192
                                        ; implicit-def: $vgpr12
	s_and_saveexec_b64 s[4:5], vcc
	s_xor_b64 s[4:5], exec, s[4:5]
; %bb.3242:
	v_bfe_u32 v10, v11, 16, 1
	s_movk_i32 s6, 0x7fff
	v_add3_u32 v12, v11, v10, s6
                                        ; implicit-def: $vgpr10_vgpr11
; %bb.3243:
	s_andn2_saveexec_b64 s[4:5], s[4:5]
; %bb.3244:
	v_mov_b32_e32 v10, 0
	v_or_b32_e32 v12, 0x10000, v11
	v_cmp_eq_u32_sdwa vcc, v11, v10 src0_sel:WORD_0 src1_sel:DWORD
	v_cndmask_b32_e32 v12, v12, v11, vcc
; %bb.3245:
	s_or_b64 exec, exec, s[4:5]
	s_mov_b32 s4, 0x7f800000
	v_and_b32_e32 v10, 0x7f800000, v8
	v_cmp_ne_u32_e32 vcc, s4, v10
	flat_store_short_d16_hi v[4:5], v12 offset:224
                                        ; implicit-def: $vgpr10
	s_and_saveexec_b64 s[4:5], vcc
	s_xor_b64 s[4:5], exec, s[4:5]
; %bb.3246:
	v_bfe_u32 v10, v8, 16, 1
	s_movk_i32 s6, 0x7fff
	v_add3_u32 v10, v8, v10, s6
; %bb.3247:
	s_andn2_saveexec_b64 s[4:5], s[4:5]
; %bb.3248:
	v_mov_b32_e32 v10, 0
	v_or_b32_e32 v11, 0x10000, v8
	v_cmp_eq_u32_sdwa vcc, v8, v10 src0_sel:WORD_0 src1_sel:DWORD
	v_cndmask_b32_e32 v10, v11, v8, vcc
; %bb.3249:
	s_or_b64 exec, exec, s[4:5]
	s_mov_b32 s4, 0x7f800000
	v_and_b32_e32 v8, 0x7f800000, v9
	v_cmp_ne_u32_e32 vcc, s4, v8
	flat_store_short_d16_hi v[4:5], v10 offset:256
                                        ; implicit-def: $vgpr10
	s_and_saveexec_b64 s[4:5], vcc
	s_xor_b64 s[4:5], exec, s[4:5]
; %bb.3250:
	v_bfe_u32 v8, v9, 16, 1
	s_movk_i32 s6, 0x7fff
	v_add3_u32 v10, v9, v8, s6
                                        ; implicit-def: $vgpr8_vgpr9
; %bb.3251:
	s_andn2_saveexec_b64 s[4:5], s[4:5]
; %bb.3252:
	v_mov_b32_e32 v8, 0
	v_or_b32_e32 v10, 0x10000, v9
	v_cmp_eq_u32_sdwa vcc, v9, v8 src0_sel:WORD_0 src1_sel:DWORD
	v_cndmask_b32_e32 v10, v10, v9, vcc
; %bb.3253:
	s_or_b64 exec, exec, s[4:5]
	s_mov_b32 s4, 0x7f800000
	v_and_b32_e32 v8, 0x7f800000, v6
	v_cmp_ne_u32_e32 vcc, s4, v8
	flat_store_short_d16_hi v[4:5], v10 offset:288
                                        ; implicit-def: $vgpr8
	s_and_saveexec_b64 s[4:5], vcc
	s_xor_b64 s[4:5], exec, s[4:5]
; %bb.3254:
	v_bfe_u32 v8, v6, 16, 1
	s_movk_i32 s6, 0x7fff
	v_add3_u32 v8, v6, v8, s6
; %bb.3255:
	s_andn2_saveexec_b64 s[4:5], s[4:5]
; %bb.3256:
	v_mov_b32_e32 v8, 0
	v_or_b32_e32 v9, 0x10000, v6
	v_cmp_eq_u32_sdwa vcc, v6, v8 src0_sel:WORD_0 src1_sel:DWORD
	v_cndmask_b32_e32 v8, v9, v6, vcc
; %bb.3257:
	s_or_b64 exec, exec, s[4:5]
	s_mov_b32 s4, 0x7f800000
	v_and_b32_e32 v6, 0x7f800000, v7
	v_cmp_ne_u32_e32 vcc, s4, v6
	flat_store_short_d16_hi v[4:5], v8 offset:320
                                        ; implicit-def: $vgpr8
	s_and_saveexec_b64 s[4:5], vcc
	s_xor_b64 s[4:5], exec, s[4:5]
; %bb.3258:
	v_bfe_u32 v6, v7, 16, 1
	s_movk_i32 s6, 0x7fff
	v_add3_u32 v8, v7, v6, s6
                                        ; implicit-def: $vgpr6_vgpr7
; %bb.3259:
	s_andn2_saveexec_b64 s[4:5], s[4:5]
; %bb.3260:
	v_mov_b32_e32 v6, 0
	v_or_b32_e32 v8, 0x10000, v7
	v_cmp_eq_u32_sdwa vcc, v7, v6 src0_sel:WORD_0 src1_sel:DWORD
	v_cndmask_b32_e32 v8, v8, v7, vcc
; %bb.3261:
	s_or_b64 exec, exec, s[4:5]
	s_mov_b32 s4, 0x7f800000
	v_and_b32_e32 v6, 0x7f800000, v0
	v_cmp_ne_u32_e32 vcc, s4, v6
	flat_store_short_d16_hi v[4:5], v8 offset:352
                                        ; implicit-def: $vgpr6
	s_and_saveexec_b64 s[4:5], vcc
	s_xor_b64 s[4:5], exec, s[4:5]
; %bb.3262:
	v_bfe_u32 v6, v0, 16, 1
	s_movk_i32 s6, 0x7fff
	v_add3_u32 v6, v0, v6, s6
; %bb.3263:
	s_andn2_saveexec_b64 s[4:5], s[4:5]
; %bb.3264:
	v_mov_b32_e32 v6, 0
	v_or_b32_e32 v7, 0x10000, v0
	v_cmp_eq_u32_sdwa vcc, v0, v6 src0_sel:WORD_0 src1_sel:DWORD
	v_cndmask_b32_e32 v6, v7, v0, vcc
; %bb.3265:
	s_or_b64 exec, exec, s[4:5]
	s_mov_b32 s4, 0x7f800000
	v_and_b32_e32 v0, 0x7f800000, v1
	v_cmp_ne_u32_e32 vcc, s4, v0
	flat_store_short_d16_hi v[4:5], v6 offset:384
                                        ; implicit-def: $vgpr6
	s_and_saveexec_b64 s[4:5], vcc
	s_xor_b64 s[4:5], exec, s[4:5]
; %bb.3266:
	v_bfe_u32 v0, v1, 16, 1
	s_movk_i32 s6, 0x7fff
	v_add3_u32 v6, v1, v0, s6
                                        ; implicit-def: $vgpr0_vgpr1
; %bb.3267:
	s_andn2_saveexec_b64 s[4:5], s[4:5]
; %bb.3268:
	v_mov_b32_e32 v0, 0
	v_or_b32_e32 v6, 0x10000, v1
	v_cmp_eq_u32_sdwa vcc, v1, v0 src0_sel:WORD_0 src1_sel:DWORD
	v_cndmask_b32_e32 v6, v6, v1, vcc
; %bb.3269:
	s_or_b64 exec, exec, s[4:5]
	s_mov_b32 s4, 0x7f800000
	v_and_b32_e32 v0, 0x7f800000, v2
	v_cmp_ne_u32_e32 vcc, s4, v0
	flat_store_short_d16_hi v[4:5], v6 offset:416
                                        ; implicit-def: $vgpr0
	s_and_saveexec_b64 s[4:5], vcc
	s_xor_b64 s[4:5], exec, s[4:5]
; %bb.3270:
	v_bfe_u32 v0, v2, 16, 1
	s_movk_i32 s6, 0x7fff
	v_add3_u32 v0, v2, v0, s6
; %bb.3271:
	s_andn2_saveexec_b64 s[4:5], s[4:5]
; %bb.3272:
	v_mov_b32_e32 v0, 0
	v_or_b32_e32 v1, 0x10000, v2
	v_cmp_eq_u32_sdwa vcc, v2, v0 src0_sel:WORD_0 src1_sel:DWORD
	v_cndmask_b32_e32 v0, v1, v2, vcc
; %bb.3273:
	s_or_b64 exec, exec, s[4:5]
	flat_store_short_d16_hi v[4:5], v0 offset:448
	s_mov_b32 s4, 0x7f800000
	v_and_b32_e32 v0, 0x7f800000, v3
	v_cmp_ne_u32_e32 vcc, s4, v0
                                        ; implicit-def: $vgpr0
	s_and_saveexec_b64 s[4:5], vcc
	s_xor_b64 s[4:5], exec, s[4:5]
; %bb.3274:
	v_bfe_u32 v0, v3, 16, 1
	s_movk_i32 s6, 0x7fff
	v_add3_u32 v0, v3, v0, s6
                                        ; implicit-def: $vgpr2_vgpr3
; %bb.3275:
	s_andn2_saveexec_b64 s[4:5], s[4:5]
; %bb.3276:
	v_mov_b32_e32 v0, 0
	v_or_b32_e32 v1, 0x10000, v3
	v_cmp_eq_u32_sdwa vcc, v3, v0 src0_sel:WORD_0 src1_sel:DWORD
	v_cndmask_b32_e32 v0, v1, v3, vcc
; %bb.3277:
	s_or_b64 exec, exec, s[4:5]
	flat_store_short_d16_hi v[4:5], v0 offset:480
.LBB388_3278:
	s_or_b64 exec, exec, s[20:21]
	buffer_load_dword a63, off, s[0:3], s32 offset:8 ; 4-byte Folded Reload
	buffer_load_dword a62, off, s[0:3], s32 offset:12 ; 4-byte Folded Reload
	;; [unrolled: 1-line block ×47, first 2 shown]
	v_readlane_b32 s30, v63, 14
	v_readlane_b32 s31, v63, 15
	;; [unrolled: 1-line block ×16, first 2 shown]
	s_or_saveexec_b64 s[4:5], -1
	buffer_load_dword v63, off, s[0:3], s32 offset:1056 ; 4-byte Folded Reload
	s_mov_b64 exec, s[4:5]
	s_waitcnt vmcnt(0) lgkmcnt(0)
	s_setpc_b64 s[30:31]
.LBB388_3279:
	s_load_dword s12, s[10:11], 0x0
	s_waitcnt lgkmcnt(0)
	v_lshl_add_u32 v5, v4, 2, s12
	ds_read_b32 v5, v5
	s_waitcnt lgkmcnt(0)
	v_add_f32_e32 v22, v5, v22
	s_or_b64 exec, exec, s[8:9]
	s_and_saveexec_b64 s[8:9], vcc
	s_cbranch_execz .LBB388_3195
.LBB388_3280:
	s_load_dword s12, s[10:11], 0x0
	s_waitcnt lgkmcnt(0)
	v_lshl_add_u32 v5, v4, 2, s12
	ds_read_b32 v5, v5 offset:64
	s_waitcnt lgkmcnt(0)
	v_add_f32_e32 v23, v5, v23
	s_or_b64 exec, exec, s[8:9]
	s_and_saveexec_b64 s[8:9], vcc
	s_cbranch_execz .LBB388_3196
.LBB388_3281:
	s_load_dword s12, s[10:11], 0x0
	s_waitcnt lgkmcnt(0)
	v_lshl_add_u32 v5, v4, 2, s12
	ds_read_b32 v5, v5 offset:128
	s_waitcnt lgkmcnt(0)
	v_add_f32_e32 v20, v5, v20
	s_or_b64 exec, exec, s[8:9]
	s_and_saveexec_b64 s[8:9], vcc
	s_cbranch_execz .LBB388_3197
.LBB388_3282:
	s_load_dword s12, s[10:11], 0x0
	s_waitcnt lgkmcnt(0)
	v_lshl_add_u32 v5, v4, 2, s12
	ds_read_b32 v5, v5 offset:192
	s_waitcnt lgkmcnt(0)
	v_add_f32_e32 v21, v5, v21
	s_or_b64 exec, exec, s[8:9]
	s_and_saveexec_b64 s[8:9], vcc
	s_cbranch_execz .LBB388_3198
.LBB388_3283:
	s_load_dword s12, s[10:11], 0x0
	s_waitcnt lgkmcnt(0)
	v_lshl_add_u32 v5, v4, 2, s12
	ds_read_b32 v5, v5 offset:256
	s_waitcnt lgkmcnt(0)
	v_add_f32_e32 v14, v5, v14
	s_or_b64 exec, exec, s[8:9]
	s_and_saveexec_b64 s[8:9], vcc
	s_cbranch_execz .LBB388_3199
.LBB388_3284:
	s_load_dword s12, s[10:11], 0x0
	s_waitcnt lgkmcnt(0)
	v_lshl_add_u32 v5, v4, 2, s12
	ds_read_b32 v5, v5 offset:320
	s_waitcnt lgkmcnt(0)
	v_add_f32_e32 v15, v5, v15
	s_or_b64 exec, exec, s[8:9]
	s_and_saveexec_b64 s[8:9], vcc
	s_cbranch_execz .LBB388_3200
.LBB388_3285:
	s_load_dword s12, s[10:11], 0x0
	s_waitcnt lgkmcnt(0)
	v_lshl_add_u32 v5, v4, 2, s12
	ds_read_b32 v5, v5 offset:384
	s_waitcnt lgkmcnt(0)
	v_add_f32_e32 v10, v5, v10
	s_or_b64 exec, exec, s[8:9]
	s_and_saveexec_b64 s[8:9], vcc
	s_cbranch_execz .LBB388_3201
.LBB388_3286:
	s_load_dword s12, s[10:11], 0x0
	s_waitcnt lgkmcnt(0)
	v_lshl_add_u32 v5, v4, 2, s12
	ds_read_b32 v5, v5 offset:448
	s_waitcnt lgkmcnt(0)
	v_add_f32_e32 v11, v5, v11
	s_or_b64 exec, exec, s[8:9]
	s_and_saveexec_b64 s[8:9], vcc
	s_cbranch_execz .LBB388_3202
.LBB388_3287:
	s_load_dword s12, s[10:11], 0x0
	s_waitcnt lgkmcnt(0)
	v_lshl_add_u32 v5, v4, 2, s12
	ds_read_b32 v5, v5 offset:512
	s_waitcnt lgkmcnt(0)
	v_add_f32_e32 v8, v5, v8
	s_or_b64 exec, exec, s[8:9]
	s_and_saveexec_b64 s[8:9], vcc
	s_cbranch_execz .LBB388_3203
.LBB388_3288:
	s_load_dword s12, s[10:11], 0x0
	s_waitcnt lgkmcnt(0)
	v_lshl_add_u32 v5, v4, 2, s12
	ds_read_b32 v5, v5 offset:576
	s_waitcnt lgkmcnt(0)
	v_add_f32_e32 v9, v5, v9
	s_or_b64 exec, exec, s[8:9]
	s_and_saveexec_b64 s[8:9], vcc
	s_cbranch_execz .LBB388_3204
.LBB388_3289:
	s_load_dword s12, s[10:11], 0x0
	s_waitcnt lgkmcnt(0)
	v_lshl_add_u32 v5, v4, 2, s12
	ds_read_b32 v5, v5 offset:640
	s_waitcnt lgkmcnt(0)
	v_add_f32_e32 v6, v5, v6
	s_or_b64 exec, exec, s[8:9]
	s_and_saveexec_b64 s[8:9], vcc
	s_cbranch_execz .LBB388_3205
.LBB388_3290:
	s_load_dword s12, s[10:11], 0x0
	s_waitcnt lgkmcnt(0)
	v_lshl_add_u32 v5, v4, 2, s12
	ds_read_b32 v5, v5 offset:704
	s_waitcnt lgkmcnt(0)
	v_add_f32_e32 v7, v5, v7
	s_or_b64 exec, exec, s[8:9]
	s_and_saveexec_b64 s[8:9], vcc
	s_cbranch_execz .LBB388_3206
.LBB388_3291:
	s_load_dword s12, s[10:11], 0x0
	s_waitcnt lgkmcnt(0)
	v_lshl_add_u32 v5, v4, 2, s12
	ds_read_b32 v5, v5 offset:768
	s_waitcnt lgkmcnt(0)
	v_add_f32_e32 v0, v5, v0
	s_or_b64 exec, exec, s[8:9]
	s_and_saveexec_b64 s[8:9], vcc
	s_cbranch_execz .LBB388_3207
.LBB388_3292:
	s_load_dword s12, s[10:11], 0x0
	s_waitcnt lgkmcnt(0)
	v_lshl_add_u32 v5, v4, 2, s12
	ds_read_b32 v5, v5 offset:832
	s_waitcnt lgkmcnt(0)
	v_add_f32_e32 v1, v5, v1
	s_or_b64 exec, exec, s[8:9]
	s_and_saveexec_b64 s[8:9], vcc
	s_cbranch_execz .LBB388_3208
.LBB388_3293:
	s_load_dword s12, s[10:11], 0x0
	s_waitcnt lgkmcnt(0)
	v_lshl_add_u32 v5, v4, 2, s12
	ds_read_b32 v5, v5 offset:896
	s_waitcnt lgkmcnt(0)
	v_add_f32_e32 v2, v5, v2
	s_or_b64 exec, exec, s[8:9]
	s_and_saveexec_b64 s[8:9], vcc
	s_cbranch_execnz .LBB388_3209
	s_branch .LBB388_3210
.Lfunc_end388:
	.size	_ZN4vllm22paged_attention_kernelI14__hip_bfloat16hLi256ELi32ELi128ELNS_18Fp8KVCacheDataTypeE1ELb1ELi512EEEvPfS3_PT_PKS4_PKT0_SA_ifPKiSC_iPKfiiiSE_SE_iiiii, .Lfunc_end388-_ZN4vllm22paged_attention_kernelI14__hip_bfloat16hLi256ELi32ELi128ELNS_18Fp8KVCacheDataTypeE1ELb1ELi512EEEvPfS3_PT_PKS4_PKT0_SA_ifPKiSC_iPKfiiiSE_SE_iiiii
                                        ; -- End function
	.section	.AMDGPU.csdata,"",@progbits
; Function info:
; codeLenInByte = 100724
; NumSgprs: 52
; NumVgprs: 64
; NumAgprs: 64
; TotalNumVgprs: 128
; ScratchSize: 1064
; MemoryBound: 0
	.section	.text._ZN4vllm25paged_attention_v2_kernelI14__hip_bfloat16hLi256ELi32ELi128ELNS_18Fp8KVCacheDataTypeE1ELb1ELi512EEEvPfS3_PT_PKS4_PKT0_SA_ifPKiSC_iPKfiiiSE_SE_iiiii,"axG",@progbits,_ZN4vllm25paged_attention_v2_kernelI14__hip_bfloat16hLi256ELi32ELi128ELNS_18Fp8KVCacheDataTypeE1ELb1ELi512EEEvPfS3_PT_PKS4_PKT0_SA_ifPKiSC_iPKfiiiSE_SE_iiiii,comdat
	.protected	_ZN4vllm25paged_attention_v2_kernelI14__hip_bfloat16hLi256ELi32ELi128ELNS_18Fp8KVCacheDataTypeE1ELb1ELi512EEEvPfS3_PT_PKS4_PKT0_SA_ifPKiSC_iPKfiiiSE_SE_iiiii ; -- Begin function _ZN4vllm25paged_attention_v2_kernelI14__hip_bfloat16hLi256ELi32ELi128ELNS_18Fp8KVCacheDataTypeE1ELb1ELi512EEEvPfS3_PT_PKS4_PKT0_SA_ifPKiSC_iPKfiiiSE_SE_iiiii
	.globl	_ZN4vllm25paged_attention_v2_kernelI14__hip_bfloat16hLi256ELi32ELi128ELNS_18Fp8KVCacheDataTypeE1ELb1ELi512EEEvPfS3_PT_PKS4_PKT0_SA_ifPKiSC_iPKfiiiSE_SE_iiiii
	.p2align	8
	.type	_ZN4vllm25paged_attention_v2_kernelI14__hip_bfloat16hLi256ELi32ELi128ELNS_18Fp8KVCacheDataTypeE1ELb1ELi512EEEvPfS3_PT_PKS4_PKT0_SA_ifPKiSC_iPKfiiiSE_SE_iiiii,@function
_ZN4vllm25paged_attention_v2_kernelI14__hip_bfloat16hLi256ELi32ELi128ELNS_18Fp8KVCacheDataTypeE1ELb1ELi512EEEvPfS3_PT_PKS4_PKT0_SA_ifPKiSC_iPKfiiiSE_SE_iiiii: ; @_ZN4vllm25paged_attention_v2_kernelI14__hip_bfloat16hLi256ELi32ELi128ELNS_18Fp8KVCacheDataTypeE1ELb1ELi512EEEvPfS3_PT_PKS4_PKT0_SA_ifPKiSC_iPKfiiiSE_SE_iiiii
; %bb.0:
	s_add_u32 flat_scratch_lo, s6, s11
	s_addc_u32 flat_scratch_hi, s7, 0
	s_add_u32 s0, s0, s11
	s_mov_b32 s12, s8
	s_load_dwordx8 s[24:31], s[4:5], 0x0
	s_load_dwordx8 s[16:23], s[4:5], 0x20
	s_load_dwordx2 s[6:7], s[4:5], 0x40
	s_load_dwordx4 s[44:47], s[4:5], 0x78
	s_load_dwordx2 s[34:35], s[4:5], 0x50
	s_load_dword s11, s[4:5], 0x48
	s_load_dword s8, s[4:5], 0x88
	s_load_dwordx8 s[36:43], s[4:5], 0x58
	s_mov_b32 s32, 0
	s_addc_u32 s1, s1, 0
	s_waitcnt lgkmcnt(0)
	v_mov_b32_e32 v1, s47
	buffer_store_dword v1, off, s[0:3], s32
	v_mov_b32_e32 v1, s8
	s_add_u32 s8, s4, 0x90
	s_mov_b32 s13, s9
	buffer_store_dword v1, off, s[0:3], s32 offset:4
	s_addc_u32 s9, s5, 0
	s_mov_b32 s14, s10
	s_mov_b32 s15, 19
	v_mov_b32_e32 v31, v0
	v_mov_b32_e32 v0, s24
	;; [unrolled: 1-line block ×32, first 2 shown]
	s_getpc_b64 s[4:5]
	s_add_u32 s4, s4, _ZN4vllm22paged_attention_kernelI14__hip_bfloat16hLi256ELi32ELi128ELNS_18Fp8KVCacheDataTypeE1ELb1ELi512EEEvPfS3_PT_PKS4_PKT0_SA_ifPKiSC_iPKfiiiSE_SE_iiiii@rel32@lo+4
	s_addc_u32 s5, s5, _ZN4vllm22paged_attention_kernelI14__hip_bfloat16hLi256ELi32ELi128ELNS_18Fp8KVCacheDataTypeE1ELb1ELi512EEEvPfS3_PT_PKS4_PKT0_SA_ifPKiSC_iPKfiiiSE_SE_iiiii@rel32@hi+12
	s_swappc_b64 s[30:31], s[4:5]
	s_endpgm
	.section	.rodata,"a",@progbits
	.p2align	6, 0x0
	.amdhsa_kernel _ZN4vllm25paged_attention_v2_kernelI14__hip_bfloat16hLi256ELi32ELi128ELNS_18Fp8KVCacheDataTypeE1ELb1ELi512EEEvPfS3_PT_PKS4_PKT0_SA_ifPKiSC_iPKfiiiSE_SE_iiiii
		.amdhsa_group_segment_fixed_size 528
		.amdhsa_private_segment_fixed_size 1064
		.amdhsa_kernarg_size 400
		.amdhsa_user_sgpr_count 8
		.amdhsa_user_sgpr_private_segment_buffer 1
		.amdhsa_user_sgpr_dispatch_ptr 0
		.amdhsa_user_sgpr_queue_ptr 0
		.amdhsa_user_sgpr_kernarg_segment_ptr 1
		.amdhsa_user_sgpr_dispatch_id 0
		.amdhsa_user_sgpr_flat_scratch_init 1
		.amdhsa_user_sgpr_kernarg_preload_length 0
		.amdhsa_user_sgpr_kernarg_preload_offset 0
		.amdhsa_user_sgpr_private_segment_size 0
		.amdhsa_uses_dynamic_stack 0
		.amdhsa_system_sgpr_private_segment_wavefront_offset 1
		.amdhsa_system_sgpr_workgroup_id_x 1
		.amdhsa_system_sgpr_workgroup_id_y 1
		.amdhsa_system_sgpr_workgroup_id_z 1
		.amdhsa_system_sgpr_workgroup_info 0
		.amdhsa_system_vgpr_workitem_id 0
		.amdhsa_next_free_vgpr 128
		.amdhsa_next_free_sgpr 48
		.amdhsa_accum_offset 64
		.amdhsa_reserve_vcc 1
		.amdhsa_reserve_flat_scratch 1
		.amdhsa_float_round_mode_32 0
		.amdhsa_float_round_mode_16_64 0
		.amdhsa_float_denorm_mode_32 3
		.amdhsa_float_denorm_mode_16_64 3
		.amdhsa_dx10_clamp 1
		.amdhsa_ieee_mode 1
		.amdhsa_fp16_overflow 0
		.amdhsa_tg_split 0
		.amdhsa_exception_fp_ieee_invalid_op 0
		.amdhsa_exception_fp_denorm_src 0
		.amdhsa_exception_fp_ieee_div_zero 0
		.amdhsa_exception_fp_ieee_overflow 0
		.amdhsa_exception_fp_ieee_underflow 0
		.amdhsa_exception_fp_ieee_inexact 0
		.amdhsa_exception_int_div_zero 0
	.end_amdhsa_kernel
	.section	.text._ZN4vllm25paged_attention_v2_kernelI14__hip_bfloat16hLi256ELi32ELi128ELNS_18Fp8KVCacheDataTypeE1ELb1ELi512EEEvPfS3_PT_PKS4_PKT0_SA_ifPKiSC_iPKfiiiSE_SE_iiiii,"axG",@progbits,_ZN4vllm25paged_attention_v2_kernelI14__hip_bfloat16hLi256ELi32ELi128ELNS_18Fp8KVCacheDataTypeE1ELb1ELi512EEEvPfS3_PT_PKS4_PKT0_SA_ifPKiSC_iPKfiiiSE_SE_iiiii,comdat
.Lfunc_end389:
	.size	_ZN4vllm25paged_attention_v2_kernelI14__hip_bfloat16hLi256ELi32ELi128ELNS_18Fp8KVCacheDataTypeE1ELb1ELi512EEEvPfS3_PT_PKS4_PKT0_SA_ifPKiSC_iPKfiiiSE_SE_iiiii, .Lfunc_end389-_ZN4vllm25paged_attention_v2_kernelI14__hip_bfloat16hLi256ELi32ELi128ELNS_18Fp8KVCacheDataTypeE1ELb1ELi512EEEvPfS3_PT_PKS4_PKT0_SA_ifPKiSC_iPKfiiiSE_SE_iiiii
                                        ; -- End function
	.section	.AMDGPU.csdata,"",@progbits
; Kernel info:
; codeLenInByte = 296
; NumSgprs: 54
; NumVgprs: 64
; NumAgprs: 64
; TotalNumVgprs: 128
; ScratchSize: 1064
; MemoryBound: 0
; FloatMode: 240
; IeeeMode: 1
; LDSByteSize: 528 bytes/workgroup (compile time only)
; SGPRBlocks: 6
; VGPRBlocks: 15
; NumSGPRsForWavesPerEU: 54
; NumVGPRsForWavesPerEU: 128
; AccumOffset: 64
; Occupancy: 4
; WaveLimiterHint : 1
; COMPUTE_PGM_RSRC2:SCRATCH_EN: 1
; COMPUTE_PGM_RSRC2:USER_SGPR: 8
; COMPUTE_PGM_RSRC2:TRAP_HANDLER: 0
; COMPUTE_PGM_RSRC2:TGID_X_EN: 1
; COMPUTE_PGM_RSRC2:TGID_Y_EN: 1
; COMPUTE_PGM_RSRC2:TGID_Z_EN: 1
; COMPUTE_PGM_RSRC2:TIDIG_COMP_CNT: 0
; COMPUTE_PGM_RSRC3_GFX90A:ACCUM_OFFSET: 15
; COMPUTE_PGM_RSRC3_GFX90A:TG_SPLIT: 0
	.section	.text._ZN4vllm25paged_attention_v2_kernelI14__hip_bfloat16hLi32ELi32ELi128ELNS_18Fp8KVCacheDataTypeE1ELb0ELi512EEEvPfS3_PT_PKS4_PKT0_SA_ifPKiSC_iPKfiiiSE_SE_iiiii,"axG",@progbits,_ZN4vllm25paged_attention_v2_kernelI14__hip_bfloat16hLi32ELi32ELi128ELNS_18Fp8KVCacheDataTypeE1ELb0ELi512EEEvPfS3_PT_PKS4_PKT0_SA_ifPKiSC_iPKfiiiSE_SE_iiiii,comdat
	.protected	_ZN4vllm25paged_attention_v2_kernelI14__hip_bfloat16hLi32ELi32ELi128ELNS_18Fp8KVCacheDataTypeE1ELb0ELi512EEEvPfS3_PT_PKS4_PKT0_SA_ifPKiSC_iPKfiiiSE_SE_iiiii ; -- Begin function _ZN4vllm25paged_attention_v2_kernelI14__hip_bfloat16hLi32ELi32ELi128ELNS_18Fp8KVCacheDataTypeE1ELb0ELi512EEEvPfS3_PT_PKS4_PKT0_SA_ifPKiSC_iPKfiiiSE_SE_iiiii
	.globl	_ZN4vllm25paged_attention_v2_kernelI14__hip_bfloat16hLi32ELi32ELi128ELNS_18Fp8KVCacheDataTypeE1ELb0ELi512EEEvPfS3_PT_PKS4_PKT0_SA_ifPKiSC_iPKfiiiSE_SE_iiiii
	.p2align	8
	.type	_ZN4vllm25paged_attention_v2_kernelI14__hip_bfloat16hLi32ELi32ELi128ELNS_18Fp8KVCacheDataTypeE1ELb0ELi512EEEvPfS3_PT_PKS4_PKT0_SA_ifPKiSC_iPKfiiiSE_SE_iiiii,@function
_ZN4vllm25paged_attention_v2_kernelI14__hip_bfloat16hLi32ELi32ELi128ELNS_18Fp8KVCacheDataTypeE1ELb0ELi512EEEvPfS3_PT_PKS4_PKT0_SA_ifPKiSC_iPKfiiiSE_SE_iiiii: ; @_ZN4vllm25paged_attention_v2_kernelI14__hip_bfloat16hLi32ELi32ELi128ELNS_18Fp8KVCacheDataTypeE1ELb0ELi512EEEvPfS3_PT_PKS4_PKT0_SA_ifPKiSC_iPKfiiiSE_SE_iiiii
; %bb.0:
	s_load_dwordx2 s[0:1], s[4:5], 0x40
	s_mov_b32 s24, s7
	s_ashr_i32 s25, s7, 31
	s_lshl_b64 s[2:3], s[24:25], 2
	s_waitcnt lgkmcnt(0)
	s_add_u32 s0, s0, s2
	s_addc_u32 s1, s1, s3
	s_load_dword s33, s[0:1], 0x0
	s_lshl_b32 s45, s8, 9
	s_waitcnt lgkmcnt(0)
	s_cmp_ge_i32 s45, s33
	s_cbranch_scc1 .LBB390_483
; %bb.1:
	s_load_dword s25, s[4:5], 0x90
	s_load_dwordx2 s[10:11], s[4:5], 0x30
	s_waitcnt lgkmcnt(0)
	s_abs_i32 s2, s25
	s_abs_i32 s0, s10
	v_cvt_f32_u32_e32 v1, s0
	s_sub_i32 s3, 0, s0
	s_xor_b32 s1, s25, s10
	s_ashr_i32 s1, s1, 31
	v_rcp_iflag_f32_e32 v1, v1
	s_mov_b32 s10, 0
	v_mul_f32_e32 v1, 0x4f7ffffe, v1
	v_cvt_u32_f32_e32 v1, v1
	v_readfirstlane_b32 s7, v1
	s_mul_i32 s3, s3, s7
	s_mul_hi_u32 s3, s7, s3
	s_add_i32 s7, s7, s3
	s_mul_hi_u32 s3, s2, s7
	s_mul_i32 s7, s3, s0
	s_sub_i32 s2, s2, s7
	s_add_i32 s9, s3, 1
	s_sub_i32 s7, s2, s0
	s_cmp_ge_u32 s2, s0
	s_cselect_b32 s3, s9, s3
	s_cselect_b32 s2, s7, s2
	s_add_i32 s7, s3, 1
	s_cmp_ge_u32 s2, s0
	s_cselect_b32 s0, s7, s3
	s_xor_b32 s0, s0, s1
	s_sub_i32 s9, s0, s1
	s_abs_i32 s2, s9
	v_cvt_f32_u32_e32 v1, s2
	s_load_dwordx2 s[0:1], s[4:5], 0x50
	s_sub_i32 s7, 0, s2
	s_abs_i32 s3, s6
	v_rcp_iflag_f32_e32 v1, v1
	v_mul_f32_e32 v1, 0x4f7ffffe, v1
	v_cvt_u32_f32_e32 v1, v1
	v_readfirstlane_b32 s12, v1
	s_mul_i32 s7, s7, s12
	s_mul_hi_u32 s7, s12, s7
	s_add_i32 s12, s12, s7
	s_waitcnt lgkmcnt(0)
	s_cmp_eq_u64 s[0:1], 0
	s_mul_hi_u32 s16, s3, s12
	s_cbranch_scc1 .LBB390_3
; %bb.2:
	s_ashr_i32 s7, s6, 31
	s_lshl_b64 s[12:13], s[6:7], 2
	s_add_u32 s0, s0, s12
	s_addc_u32 s1, s1, s13
	s_load_dword s10, s[0:1], 0x0
.LBB390_3:
	s_load_dwordx4 s[12:15], s[4:5], 0x58
	s_ashr_i32 s17, s6, 31
	s_ashr_i32 s18, s9, 31
	v_and_b32_e32 v6, 1, v0
	s_lshl_b32 s26, s6, 5
	v_cmp_gt_u32_e32 vcc, 8, v0
	v_lshlrev_b32_e32 v5, 3, v0
	s_and_saveexec_b64 s[0:1], vcc
	s_cbranch_execz .LBB390_5
; %bb.4:
	s_load_dwordx2 s[20:21], s[4:5], 0x18
	s_waitcnt lgkmcnt(0)
	s_mul_i32 s22, s24, s12
	s_ashr_i32 s23, s22, 31
	s_lshl_b64 s[22:23], s[22:23], 1
	v_lshlrev_b32_e32 v1, 2, v0
	s_add_u32 s7, s20, s22
	s_addc_u32 s9, s21, s23
	s_ashr_i32 s27, s26, 31
	s_lshl_b64 s[20:21], s[26:27], 1
	s_add_u32 s20, s7, s20
	s_addc_u32 s21, s9, s21
	global_load_dwordx2 v[2:3], v5, s[20:21]
	v_and_b32_e32 v1, 0xff8, v1
	v_lshl_add_u32 v1, v6, 5, v1
	s_waitcnt vmcnt(0)
	ds_write_b64 v1, v[2:3]
.LBB390_5:
	s_or_b64 exec, exec, s[0:1]
	s_add_i32 s0, s33, 31
	s_ashr_i32 s1, s0, 31
	s_lshr_b32 s1, s1, 27
	s_add_i32 s0, s0, s1
	s_lshl_b32 s9, s8, 4
	s_mul_i32 s1, s16, s2
	s_ashr_i32 s7, s0, 5
	s_add_i32 s0, s9, 16
	s_sub_i32 s1, s3, s1
	s_min_i32 s44, s0, s7
	s_xor_b32 s0, s17, s18
	s_add_i32 s3, s16, 1
	s_waitcnt lgkmcnt(0)
	s_sub_i32 s12, s1, s2
	s_cmp_ge_u32 s1, s2
	s_cselect_b32 s3, s3, s16
	s_cselect_b32 s1, s12, s1
	s_add_i32 s12, s3, 1
	s_cmp_ge_u32 s1, s2
	s_load_dwordx2 s[30:31], s[4:5], 0x38
	s_load_dword s2, s[4:5], 0x48
	v_lshrrev_b32_e32 v18, 6, v0
	s_cselect_b32 s1, s12, s3
	s_xor_b32 s1, s1, s0
	v_or_b32_e32 v10, s9, v18
	s_waitcnt lgkmcnt(0)
	s_mul_i32 s34, s24, s2
	s_sub_i32 s12, s1, s0
	s_ashr_i32 s35, s34, 31
	v_cmp_gt_i32_e64 s[0:1], s44, v10
	v_cmp_le_i32_e32 vcc, s44, v10
	v_mbcnt_lo_u32_b32 v7, -1, 0
	s_barrier
	s_waitcnt lgkmcnt(0)
                                        ; implicit-def: $sgpr15
                                        ; implicit-def: $vgpr13
                                        ; implicit-def: $vgpr15
	s_and_saveexec_b64 s[2:3], vcc
	s_xor_b64 s[2:3], exec, s[2:3]
; %bb.6:
	v_mbcnt_hi_u32_b32 v13, -1, v7
	v_and_b32_e32 v1, 64, v13
	v_add_u32_e32 v15, 64, v1
	s_mov_b32 s15, 0xff7fffff
                                        ; implicit-def: $vgpr6
                                        ; implicit-def: $vgpr7
; %bb.7:
	s_or_saveexec_b64 s[38:39], s[2:3]
	s_load_dwordx4 s[20:23], s[4:5], 0x0
	s_load_dwordx2 s[28:29], s[4:5], 0x10
	s_load_dword s27, s[4:5], 0x98
	s_load_dwordx2 s[36:37], s[4:5], 0x28
	s_load_dwordx4 s[16:19], s[4:5], 0x68
	v_mov_b32_e32 v32, s15
	s_mul_i32 s12, s12, s14
	v_ashrrev_i32_e32 v11, 31, v10
	s_xor_b64 exec, exec, s[38:39]
	s_cbranch_execz .LBB390_173
; %bb.8:
	s_load_dwordx2 s[2:3], s[4:5], 0x20
	v_lshlrev_b32_e32 v9, 5, v6
	ds_read_b128 v[12:15], v9
	ds_read_b128 v[30:33], v9 offset:16
	s_ashr_i32 s4, s12, 31
	v_bfe_u32 v8, v0, 1, 5
	s_waitcnt lgkmcnt(0)
	s_add_u32 s2, s2, s12
	v_lshlrev_b32_e32 v2, 4, v8
	s_addc_u32 s3, s3, s4
	v_lshlrev_b32_e32 v19, 16, v13
	v_and_b32_e32 v20, 0xffff0000, v13
	v_mbcnt_hi_u32_b32 v13, -1, v7
	v_mov_b32_e32 v3, s3
	v_add_co_u32_e32 v2, vcc, s2, v2
	v_and_b32_e32 v9, 64, v13
	v_addc_co_u32_e32 v3, vcc, 0, v3, vcc
	v_lshlrev_b32_e32 v23, 16, v15
	v_and_b32_e32 v24, 0xffff0000, v15
	v_xor_b32_e32 v7, 1, v13
	v_add_u32_e32 v15, 64, v9
	v_cmp_lt_i32_e32 vcc, v7, v15
	v_lshlrev_b32_e32 v4, 2, v6
	v_cndmask_b32_e32 v7, v13, v7, vcc
	v_cmp_eq_u32_e32 vcc, 0, v6
	v_lshlrev_b32_e32 v6, 5, v18
	s_load_dword s47, s[16:17], 0x0
	s_sub_i32 s48, 1, s33
	v_add3_u32 v35, s45, v6, v8
	v_lshlrev_b32_e32 v6, 2, v8
	s_lshl_b64 s[4:5], s[34:35], 2
	v_lshl_or_b32 v6, v18, 7, v6
	s_add_u32 s4, s30, s4
	v_lshlrev_b32_e32 v34, 2, v7
	v_add_u32_e32 v36, 0x50, v6
	v_lshlrev_b64 v[6:7], 2, v[10:11]
	s_addc_u32 s5, s31, s5
	v_mov_b32_e32 v8, s5
	v_add_co_u32_e64 v6, s[4:5], s4, v6
	s_mov_b32 s46, s13
	v_mov_b32_e32 v1, 0
	v_lshlrev_b32_e32 v16, 16, v12
	v_and_b32_e32 v17, 0xffff0000, v12
	v_lshlrev_b32_e32 v21, 16, v14
	v_and_b32_e32 v22, 0xffff0000, v14
	;; [unrolled: 2-line block ×6, first 2 shown]
	v_cmp_neq_f32_e64 s[2:3], s10, 0
	v_addc_co_u32_e64 v7, s[4:5], v8, v7, s[4:5]
	s_mov_b64 s[14:15], 0
	v_mov_b32_e32 v32, 0xff7fffff
	s_movk_i32 s49, 0x80
	s_movk_i32 s50, 0x7f
	s_mov_b32 s51, 0x7f800000
	s_movk_i32 s52, 0x7fff
	s_mov_b32 s53, 0xffffff
	v_bfrev_b32_e32 v37, 60
	v_mov_b32_e32 v38, v10
	s_branch .LBB390_10
.LBB390_9:                              ;   in Loop: Header=BB390_10 Depth=1
	s_or_b64 exec, exec, s[16:17]
	v_add_u32_e32 v38, 2, v38
	v_cmp_le_i32_e64 s[4:5], s44, v38
	s_or_b64 s[14:15], s[4:5], s[14:15]
	v_add_co_u32_e64 v6, s[4:5], 8, v6
	v_add_u32_e32 v35, 64, v35
	v_add_u32_e32 v36, 0x100, v36
	v_addc_co_u32_e64 v7, s[4:5], 0, v7, s[4:5]
	s_andn2_b64 exec, exec, s[14:15]
	s_cbranch_execz .LBB390_172
.LBB390_10:                             ; =>This Inner Loop Header: Depth=1
	global_load_dword v8, v[6:7], off
	v_mov_b32_e32 v14, 0
	s_waitcnt vmcnt(0) lgkmcnt(0)
	v_mad_i64_i32 v[8:9], s[4:5], v8, s46, v[2:3]
	v_add_co_u32_e64 v8, s[4:5], v8, v4
	v_addc_co_u32_e64 v9, s[4:5], 0, v9, s[4:5]
	global_load_dword v12, v[8:9], off
	s_waitcnt vmcnt(0)
	v_cmp_ne_u16_sdwa s[4:5], v12, v1 src0_sel:BYTE_0 src1_sel:DWORD
	s_and_saveexec_b64 s[16:17], s[4:5]
	s_cbranch_execz .LBB390_16
; %bb.11:                               ;   in Loop: Header=BB390_10 Depth=1
	v_cmp_ne_u16_sdwa s[4:5], v12, s49 src0_sel:BYTE_0 src1_sel:DWORD
	v_bfrev_b32_e32 v14, 1
	s_and_saveexec_b64 s[40:41], s[4:5]
	s_cbranch_execz .LBB390_15
; %bb.12:                               ;   in Loop: Header=BB390_10 Depth=1
	v_and_b32_e32 v39, 0x7f, v12
	v_cmp_ne_u32_e64 s[4:5], s50, v39
	v_mov_b32_e32 v14, 0x7f800001
	s_and_saveexec_b64 s[42:43], s[4:5]
	s_cbranch_execz .LBB390_14
; %bb.13:                               ;   in Loop: Header=BB390_10 Depth=1
	v_and_b32_e32 v14, 7, v12
	v_ffbh_u32_e32 v40, v14
	v_min_u32_e32 v43, 32, v40
	v_subrev_u32_e32 v40, 28, v43
	v_lshlrev_b64 v[40:41], v40, v[12:13]
	v_lshrrev_b32_e32 v42, 3, v39
	v_sub_u32_e32 v41, 29, v43
	v_and_b32_e32 v40, 7, v40
	v_cmp_gt_u32_e64 s[4:5], 8, v39
	v_cndmask_b32_e64 v39, v42, v41, s[4:5]
	v_cndmask_b32_e64 v14, v14, v40, s[4:5]
	v_lshlrev_b32_e32 v40, 24, v12
	v_lshlrev_b32_e32 v14, 20, v14
	v_and_b32_e32 v40, 0x80000000, v40
	v_lshl_add_u32 v39, v39, 23, v37
	v_or3_b32 v14, v40, v39, v14
.LBB390_14:                             ;   in Loop: Header=BB390_10 Depth=1
	s_or_b64 exec, exec, s[42:43]
.LBB390_15:                             ;   in Loop: Header=BB390_10 Depth=1
	s_or_b64 exec, exec, s[40:41]
.LBB390_16:                             ;   in Loop: Header=BB390_10 Depth=1
	s_or_b64 exec, exec, s[16:17]
	s_waitcnt lgkmcnt(0)
	v_mul_f32_e32 v14, s47, v14
	v_and_b32_e32 v39, 0x7f800000, v14
	v_cmp_ne_u32_e64 s[4:5], s51, v39
                                        ; implicit-def: $vgpr39
	s_and_saveexec_b64 s[16:17], s[4:5]
	s_xor_b64 s[4:5], exec, s[16:17]
; %bb.17:                               ;   in Loop: Header=BB390_10 Depth=1
	v_bfe_u32 v39, v14, 16, 1
	v_add3_u32 v39, v14, v39, s52
                                        ; implicit-def: $vgpr14
; %bb.18:                               ;   in Loop: Header=BB390_10 Depth=1
	s_andn2_saveexec_b64 s[16:17], s[4:5]
; %bb.19:                               ;   in Loop: Header=BB390_10 Depth=1
	v_or_b32_e32 v39, 0x10000, v14
	v_cmp_eq_u32_sdwa s[4:5], v14, v1 src0_sel:WORD_0 src1_sel:DWORD
	v_cndmask_b32_e64 v39, v39, v14, s[4:5]
; %bb.20:                               ;   in Loop: Header=BB390_10 Depth=1
	s_or_b64 exec, exec, s[16:17]
	v_lshrrev_b16_e32 v14, 8, v12
	v_cmp_ne_u16_e64 s[4:5], 0, v14
	v_mov_b32_e32 v40, 0
	s_and_saveexec_b64 s[16:17], s[4:5]
	s_cbranch_execz .LBB390_26
; %bb.21:                               ;   in Loop: Header=BB390_10 Depth=1
	v_cmp_ne_u16_e64 s[4:5], s49, v14
	v_bfrev_b32_e32 v40, 1
	s_and_saveexec_b64 s[40:41], s[4:5]
	s_cbranch_execz .LBB390_25
; %bb.22:                               ;   in Loop: Header=BB390_10 Depth=1
	v_and_b32_e32 v41, 0x7f, v14
	v_cmp_ne_u32_e64 s[4:5], s50, v41
	v_mov_b32_e32 v40, 0x7f800001
	s_and_saveexec_b64 s[42:43], s[4:5]
	s_cbranch_execz .LBB390_24
; %bb.23:                               ;   in Loop: Header=BB390_10 Depth=1
	v_and_b32_e32 v40, 7, v14
	v_ffbh_u32_e32 v42, v40
	v_min_u32_e32 v45, 32, v42
	v_subrev_u32_e32 v42, 28, v45
	v_lshlrev_b64 v[42:43], v42, v[14:15]
	v_lshrrev_b32_e32 v44, 3, v41
	v_sub_u32_e32 v14, 29, v45
	v_and_b32_e32 v42, 7, v42
	v_cmp_gt_u32_e64 s[4:5], 8, v41
	v_cndmask_b32_e64 v14, v44, v14, s[4:5]
	v_cndmask_b32_e64 v40, v40, v42, s[4:5]
	v_lshlrev_b32_e32 v41, 16, v12
	v_lshlrev_b32_e32 v40, 20, v40
	v_and_b32_e32 v41, 0x80000000, v41
	v_lshl_add_u32 v14, v14, 23, v37
	v_or3_b32 v40, v41, v14, v40
.LBB390_24:                             ;   in Loop: Header=BB390_10 Depth=1
	s_or_b64 exec, exec, s[42:43]
.LBB390_25:                             ;   in Loop: Header=BB390_10 Depth=1
	s_or_b64 exec, exec, s[40:41]
.LBB390_26:                             ;   in Loop: Header=BB390_10 Depth=1
	s_or_b64 exec, exec, s[16:17]
	v_mul_f32_e32 v14, s47, v40
	v_and_b32_e32 v40, 0x7f800000, v14
	v_cmp_ne_u32_e64 s[4:5], s51, v40
                                        ; implicit-def: $vgpr40
	s_and_saveexec_b64 s[16:17], s[4:5]
	s_xor_b64 s[4:5], exec, s[16:17]
; %bb.27:                               ;   in Loop: Header=BB390_10 Depth=1
	v_bfe_u32 v40, v14, 16, 1
	v_add3_u32 v40, v14, v40, s52
                                        ; implicit-def: $vgpr14
; %bb.28:                               ;   in Loop: Header=BB390_10 Depth=1
	s_andn2_saveexec_b64 s[16:17], s[4:5]
; %bb.29:                               ;   in Loop: Header=BB390_10 Depth=1
	v_or_b32_e32 v40, 0x10000, v14
	v_cmp_eq_u32_sdwa s[4:5], v14, v1 src0_sel:WORD_0 src1_sel:DWORD
	v_cndmask_b32_e64 v40, v40, v14, s[4:5]
; %bb.30:                               ;   in Loop: Header=BB390_10 Depth=1
	s_or_b64 exec, exec, s[16:17]
	v_lshrrev_b32_e32 v14, 16, v12
	v_cmp_ne_u16_sdwa s[4:5], v14, v1 src0_sel:BYTE_0 src1_sel:DWORD
	v_mov_b32_e32 v41, 0
	s_and_saveexec_b64 s[16:17], s[4:5]
	s_cbranch_execz .LBB390_36
; %bb.31:                               ;   in Loop: Header=BB390_10 Depth=1
	v_cmp_ne_u16_sdwa s[4:5], v14, s49 src0_sel:BYTE_0 src1_sel:DWORD
	v_bfrev_b32_e32 v41, 1
	s_and_saveexec_b64 s[40:41], s[4:5]
	s_cbranch_execz .LBB390_35
; %bb.32:                               ;   in Loop: Header=BB390_10 Depth=1
	v_bfe_u32 v42, v12, 16, 7
	v_cmp_ne_u32_e64 s[4:5], s50, v42
	v_mov_b32_e32 v41, 0x7f800001
	s_and_saveexec_b64 s[42:43], s[4:5]
	s_cbranch_execz .LBB390_34
; %bb.33:                               ;   in Loop: Header=BB390_10 Depth=1
	v_and_b32_e32 v41, 7, v14
	v_ffbh_u32_e32 v44, v41
	v_min_u32_e32 v46, 32, v44
	v_subrev_u32_e32 v44, 28, v46
	v_lshlrev_b64 v[44:45], v44, v[14:15]
	v_lshrrev_b32_e32 v43, 3, v42
	v_sub_u32_e32 v45, 29, v46
	v_and_b32_e32 v44, 7, v44
	v_cmp_gt_u32_e64 s[4:5], 8, v42
	v_cndmask_b32_e64 v42, v43, v45, s[4:5]
	v_cndmask_b32_e64 v41, v41, v44, s[4:5]
	v_lshlrev_b32_e32 v14, 24, v14
	v_lshlrev_b32_e32 v41, 20, v41
	v_and_b32_e32 v14, 0x80000000, v14
	v_lshl_add_u32 v42, v42, 23, v37
	v_or3_b32 v41, v14, v42, v41
.LBB390_34:                             ;   in Loop: Header=BB390_10 Depth=1
	s_or_b64 exec, exec, s[42:43]
.LBB390_35:                             ;   in Loop: Header=BB390_10 Depth=1
	s_or_b64 exec, exec, s[40:41]
.LBB390_36:                             ;   in Loop: Header=BB390_10 Depth=1
	s_or_b64 exec, exec, s[16:17]
	v_mul_f32_e32 v14, s47, v41
	v_and_b32_e32 v41, 0x7f800000, v14
	v_cmp_ne_u32_e64 s[4:5], s51, v41
                                        ; implicit-def: $vgpr41
	s_and_saveexec_b64 s[16:17], s[4:5]
	s_xor_b64 s[4:5], exec, s[16:17]
; %bb.37:                               ;   in Loop: Header=BB390_10 Depth=1
	v_bfe_u32 v41, v14, 16, 1
	v_add3_u32 v41, v14, v41, s52
                                        ; implicit-def: $vgpr14
; %bb.38:                               ;   in Loop: Header=BB390_10 Depth=1
	s_andn2_saveexec_b64 s[16:17], s[4:5]
; %bb.39:                               ;   in Loop: Header=BB390_10 Depth=1
	v_or_b32_e32 v41, 0x10000, v14
	v_cmp_eq_u32_sdwa s[4:5], v14, v1 src0_sel:WORD_0 src1_sel:DWORD
	v_cndmask_b32_e64 v41, v41, v14, s[4:5]
; %bb.40:                               ;   in Loop: Header=BB390_10 Depth=1
	s_or_b64 exec, exec, s[16:17]
	v_cmp_lt_u32_e64 s[4:5], s53, v12
	v_mov_b32_e32 v42, 0
	s_and_saveexec_b64 s[16:17], s[4:5]
	s_cbranch_execz .LBB390_46
; %bb.41:                               ;   in Loop: Header=BB390_10 Depth=1
	v_lshrrev_b32_e32 v14, 24, v12
	v_cmp_ne_u32_e64 s[4:5], s49, v14
	v_bfrev_b32_e32 v42, 1
	s_and_saveexec_b64 s[40:41], s[4:5]
	s_cbranch_execz .LBB390_45
; %bb.42:                               ;   in Loop: Header=BB390_10 Depth=1
	v_bfe_u32 v12, v12, 24, 7
	v_cmp_ne_u32_e64 s[4:5], s50, v12
	v_mov_b32_e32 v42, 0x7f800001
	s_and_saveexec_b64 s[42:43], s[4:5]
	s_cbranch_execz .LBB390_44
; %bb.43:                               ;   in Loop: Header=BB390_10 Depth=1
	v_and_b32_e32 v44, 7, v14
	v_ffbh_u32_e32 v42, v44
	v_min_u32_e32 v46, 32, v42
	v_subrev_u32_e32 v42, 28, v46
	v_lshlrev_b64 v[42:43], v42, v[14:15]
	v_lshrrev_b32_e32 v45, 3, v12
	v_sub_u32_e32 v43, 29, v46
	v_and_b32_e32 v42, 7, v42
	v_cmp_gt_u32_e64 s[4:5], 8, v12
	v_cndmask_b32_e64 v12, v45, v43, s[4:5]
	v_cndmask_b32_e64 v42, v44, v42, s[4:5]
	v_lshlrev_b32_e32 v14, 24, v14
	v_lshlrev_b32_e32 v42, 20, v42
	v_and_b32_e32 v14, 0x80000000, v14
	v_lshl_add_u32 v12, v12, 23, v37
	v_or3_b32 v42, v14, v12, v42
.LBB390_44:                             ;   in Loop: Header=BB390_10 Depth=1
	s_or_b64 exec, exec, s[42:43]
.LBB390_45:                             ;   in Loop: Header=BB390_10 Depth=1
	s_or_b64 exec, exec, s[40:41]
.LBB390_46:                             ;   in Loop: Header=BB390_10 Depth=1
	s_or_b64 exec, exec, s[16:17]
	v_mul_f32_e32 v12, s47, v42
	v_and_b32_e32 v14, 0x7f800000, v12
	v_cmp_ne_u32_e64 s[4:5], s51, v14
                                        ; implicit-def: $vgpr42
	s_and_saveexec_b64 s[16:17], s[4:5]
	s_xor_b64 s[4:5], exec, s[16:17]
; %bb.47:                               ;   in Loop: Header=BB390_10 Depth=1
	v_bfe_u32 v14, v12, 16, 1
	v_add3_u32 v42, v12, v14, s52
                                        ; implicit-def: $vgpr12
; %bb.48:                               ;   in Loop: Header=BB390_10 Depth=1
	s_andn2_saveexec_b64 s[16:17], s[4:5]
; %bb.49:                               ;   in Loop: Header=BB390_10 Depth=1
	v_or_b32_e32 v14, 0x10000, v12
	v_cmp_eq_u32_sdwa s[4:5], v12, v1 src0_sel:WORD_0 src1_sel:DWORD
	v_cndmask_b32_e64 v42, v14, v12, s[4:5]
; %bb.50:                               ;   in Loop: Header=BB390_10 Depth=1
	s_or_b64 exec, exec, s[16:17]
	global_load_dword v12, v[8:9], off offset:8
	v_mov_b32_e32 v14, 0
	s_waitcnt vmcnt(0)
	v_cmp_ne_u16_sdwa s[4:5], v12, v1 src0_sel:BYTE_0 src1_sel:DWORD
	s_and_saveexec_b64 s[16:17], s[4:5]
	s_cbranch_execz .LBB390_56
; %bb.51:                               ;   in Loop: Header=BB390_10 Depth=1
	v_cmp_ne_u16_sdwa s[4:5], v12, s49 src0_sel:BYTE_0 src1_sel:DWORD
	v_bfrev_b32_e32 v14, 1
	s_and_saveexec_b64 s[40:41], s[4:5]
	s_cbranch_execz .LBB390_55
; %bb.52:                               ;   in Loop: Header=BB390_10 Depth=1
	v_and_b32_e32 v43, 0x7f, v12
	v_cmp_ne_u32_e64 s[4:5], s50, v43
	v_mov_b32_e32 v14, 0x7f800001
	s_and_saveexec_b64 s[42:43], s[4:5]
	s_cbranch_execz .LBB390_54
; %bb.53:                               ;   in Loop: Header=BB390_10 Depth=1
	v_and_b32_e32 v14, 7, v12
	v_ffbh_u32_e32 v44, v14
	v_min_u32_e32 v47, 32, v44
	v_subrev_u32_e32 v44, 28, v47
	v_lshlrev_b64 v[44:45], v44, v[12:13]
	v_lshrrev_b32_e32 v46, 3, v43
	v_sub_u32_e32 v45, 29, v47
	v_and_b32_e32 v44, 7, v44
	v_cmp_gt_u32_e64 s[4:5], 8, v43
	v_cndmask_b32_e64 v43, v46, v45, s[4:5]
	v_cndmask_b32_e64 v14, v14, v44, s[4:5]
	v_lshlrev_b32_e32 v44, 24, v12
	v_lshlrev_b32_e32 v14, 20, v14
	v_and_b32_e32 v44, 0x80000000, v44
	v_lshl_add_u32 v43, v43, 23, v37
	v_or3_b32 v14, v44, v43, v14
.LBB390_54:                             ;   in Loop: Header=BB390_10 Depth=1
	s_or_b64 exec, exec, s[42:43]
.LBB390_55:                             ;   in Loop: Header=BB390_10 Depth=1
	s_or_b64 exec, exec, s[40:41]
.LBB390_56:                             ;   in Loop: Header=BB390_10 Depth=1
	s_or_b64 exec, exec, s[16:17]
	v_mul_f32_e32 v14, s47, v14
	v_and_b32_e32 v43, 0x7f800000, v14
	v_cmp_ne_u32_e64 s[4:5], s51, v43
                                        ; implicit-def: $vgpr43
	s_and_saveexec_b64 s[16:17], s[4:5]
	s_xor_b64 s[4:5], exec, s[16:17]
; %bb.57:                               ;   in Loop: Header=BB390_10 Depth=1
	v_bfe_u32 v43, v14, 16, 1
	v_add3_u32 v43, v14, v43, s52
                                        ; implicit-def: $vgpr14
; %bb.58:                               ;   in Loop: Header=BB390_10 Depth=1
	s_andn2_saveexec_b64 s[16:17], s[4:5]
; %bb.59:                               ;   in Loop: Header=BB390_10 Depth=1
	v_or_b32_e32 v43, 0x10000, v14
	v_cmp_eq_u32_sdwa s[4:5], v14, v1 src0_sel:WORD_0 src1_sel:DWORD
	v_cndmask_b32_e64 v43, v43, v14, s[4:5]
; %bb.60:                               ;   in Loop: Header=BB390_10 Depth=1
	s_or_b64 exec, exec, s[16:17]
	v_lshrrev_b16_e32 v14, 8, v12
	v_cmp_ne_u16_e64 s[4:5], 0, v14
	v_mov_b32_e32 v44, 0
	s_and_saveexec_b64 s[16:17], s[4:5]
	s_cbranch_execz .LBB390_66
; %bb.61:                               ;   in Loop: Header=BB390_10 Depth=1
	v_cmp_ne_u16_e64 s[4:5], s49, v14
	v_bfrev_b32_e32 v44, 1
	s_and_saveexec_b64 s[40:41], s[4:5]
	s_cbranch_execz .LBB390_65
; %bb.62:                               ;   in Loop: Header=BB390_10 Depth=1
	v_and_b32_e32 v45, 0x7f, v14
	v_cmp_ne_u32_e64 s[4:5], s50, v45
	v_mov_b32_e32 v44, 0x7f800001
	s_and_saveexec_b64 s[42:43], s[4:5]
	s_cbranch_execz .LBB390_64
; %bb.63:                               ;   in Loop: Header=BB390_10 Depth=1
	v_and_b32_e32 v44, 7, v14
	v_ffbh_u32_e32 v46, v44
	v_min_u32_e32 v49, 32, v46
	v_subrev_u32_e32 v46, 28, v49
	v_lshlrev_b64 v[46:47], v46, v[14:15]
	v_lshrrev_b32_e32 v48, 3, v45
	v_sub_u32_e32 v14, 29, v49
	v_and_b32_e32 v46, 7, v46
	v_cmp_gt_u32_e64 s[4:5], 8, v45
	v_cndmask_b32_e64 v14, v48, v14, s[4:5]
	v_cndmask_b32_e64 v44, v44, v46, s[4:5]
	v_lshlrev_b32_e32 v45, 16, v12
	v_lshlrev_b32_e32 v44, 20, v44
	v_and_b32_e32 v45, 0x80000000, v45
	v_lshl_add_u32 v14, v14, 23, v37
	v_or3_b32 v44, v45, v14, v44
.LBB390_64:                             ;   in Loop: Header=BB390_10 Depth=1
	s_or_b64 exec, exec, s[42:43]
.LBB390_65:                             ;   in Loop: Header=BB390_10 Depth=1
	s_or_b64 exec, exec, s[40:41]
.LBB390_66:                             ;   in Loop: Header=BB390_10 Depth=1
	s_or_b64 exec, exec, s[16:17]
	v_mul_f32_e32 v14, s47, v44
	v_and_b32_e32 v44, 0x7f800000, v14
	v_cmp_ne_u32_e64 s[4:5], s51, v44
                                        ; implicit-def: $vgpr44
	s_and_saveexec_b64 s[16:17], s[4:5]
	s_xor_b64 s[4:5], exec, s[16:17]
; %bb.67:                               ;   in Loop: Header=BB390_10 Depth=1
	v_bfe_u32 v44, v14, 16, 1
	v_add3_u32 v44, v14, v44, s52
                                        ; implicit-def: $vgpr14
; %bb.68:                               ;   in Loop: Header=BB390_10 Depth=1
	s_andn2_saveexec_b64 s[16:17], s[4:5]
; %bb.69:                               ;   in Loop: Header=BB390_10 Depth=1
	v_or_b32_e32 v44, 0x10000, v14
	v_cmp_eq_u32_sdwa s[4:5], v14, v1 src0_sel:WORD_0 src1_sel:DWORD
	v_cndmask_b32_e64 v44, v44, v14, s[4:5]
; %bb.70:                               ;   in Loop: Header=BB390_10 Depth=1
	s_or_b64 exec, exec, s[16:17]
	v_lshrrev_b32_e32 v14, 16, v12
	v_cmp_ne_u16_sdwa s[4:5], v14, v1 src0_sel:BYTE_0 src1_sel:DWORD
	v_mov_b32_e32 v45, 0
	s_and_saveexec_b64 s[16:17], s[4:5]
	s_cbranch_execz .LBB390_76
; %bb.71:                               ;   in Loop: Header=BB390_10 Depth=1
	v_cmp_ne_u16_sdwa s[4:5], v14, s49 src0_sel:BYTE_0 src1_sel:DWORD
	v_bfrev_b32_e32 v45, 1
	s_and_saveexec_b64 s[40:41], s[4:5]
	s_cbranch_execz .LBB390_75
; %bb.72:                               ;   in Loop: Header=BB390_10 Depth=1
	v_bfe_u32 v46, v12, 16, 7
	v_cmp_ne_u32_e64 s[4:5], s50, v46
	v_mov_b32_e32 v45, 0x7f800001
	s_and_saveexec_b64 s[42:43], s[4:5]
	s_cbranch_execz .LBB390_74
; %bb.73:                               ;   in Loop: Header=BB390_10 Depth=1
	v_and_b32_e32 v45, 7, v14
	v_ffbh_u32_e32 v48, v45
	v_min_u32_e32 v50, 32, v48
	v_subrev_u32_e32 v48, 28, v50
	v_lshlrev_b64 v[48:49], v48, v[14:15]
	v_lshrrev_b32_e32 v47, 3, v46
	v_sub_u32_e32 v49, 29, v50
	v_and_b32_e32 v48, 7, v48
	v_cmp_gt_u32_e64 s[4:5], 8, v46
	v_cndmask_b32_e64 v46, v47, v49, s[4:5]
	v_cndmask_b32_e64 v45, v45, v48, s[4:5]
	v_lshlrev_b32_e32 v14, 24, v14
	v_lshlrev_b32_e32 v45, 20, v45
	v_and_b32_e32 v14, 0x80000000, v14
	v_lshl_add_u32 v46, v46, 23, v37
	v_or3_b32 v45, v14, v46, v45
.LBB390_74:                             ;   in Loop: Header=BB390_10 Depth=1
	s_or_b64 exec, exec, s[42:43]
.LBB390_75:                             ;   in Loop: Header=BB390_10 Depth=1
	s_or_b64 exec, exec, s[40:41]
.LBB390_76:                             ;   in Loop: Header=BB390_10 Depth=1
	s_or_b64 exec, exec, s[16:17]
	v_mul_f32_e32 v14, s47, v45
	v_and_b32_e32 v45, 0x7f800000, v14
	v_cmp_ne_u32_e64 s[4:5], s51, v45
                                        ; implicit-def: $vgpr45
	s_and_saveexec_b64 s[16:17], s[4:5]
	s_xor_b64 s[4:5], exec, s[16:17]
; %bb.77:                               ;   in Loop: Header=BB390_10 Depth=1
	v_bfe_u32 v45, v14, 16, 1
	v_add3_u32 v45, v14, v45, s52
                                        ; implicit-def: $vgpr14
; %bb.78:                               ;   in Loop: Header=BB390_10 Depth=1
	s_andn2_saveexec_b64 s[16:17], s[4:5]
; %bb.79:                               ;   in Loop: Header=BB390_10 Depth=1
	v_or_b32_e32 v45, 0x10000, v14
	v_cmp_eq_u32_sdwa s[4:5], v14, v1 src0_sel:WORD_0 src1_sel:DWORD
	v_cndmask_b32_e64 v45, v45, v14, s[4:5]
; %bb.80:                               ;   in Loop: Header=BB390_10 Depth=1
	s_or_b64 exec, exec, s[16:17]
	v_cmp_lt_u32_e64 s[4:5], s53, v12
	v_mov_b32_e32 v46, 0
	s_and_saveexec_b64 s[16:17], s[4:5]
	s_cbranch_execz .LBB390_86
; %bb.81:                               ;   in Loop: Header=BB390_10 Depth=1
	v_lshrrev_b32_e32 v14, 24, v12
	v_cmp_ne_u32_e64 s[4:5], s49, v14
	v_bfrev_b32_e32 v46, 1
	s_and_saveexec_b64 s[40:41], s[4:5]
	s_cbranch_execz .LBB390_85
; %bb.82:                               ;   in Loop: Header=BB390_10 Depth=1
	v_bfe_u32 v12, v12, 24, 7
	v_cmp_ne_u32_e64 s[4:5], s50, v12
	v_mov_b32_e32 v46, 0x7f800001
	s_and_saveexec_b64 s[42:43], s[4:5]
	s_cbranch_execz .LBB390_84
; %bb.83:                               ;   in Loop: Header=BB390_10 Depth=1
	v_and_b32_e32 v48, 7, v14
	v_ffbh_u32_e32 v46, v48
	v_min_u32_e32 v50, 32, v46
	v_subrev_u32_e32 v46, 28, v50
	v_lshlrev_b64 v[46:47], v46, v[14:15]
	v_lshrrev_b32_e32 v49, 3, v12
	v_sub_u32_e32 v47, 29, v50
	v_and_b32_e32 v46, 7, v46
	v_cmp_gt_u32_e64 s[4:5], 8, v12
	v_cndmask_b32_e64 v12, v49, v47, s[4:5]
	v_cndmask_b32_e64 v46, v48, v46, s[4:5]
	v_lshlrev_b32_e32 v14, 24, v14
	v_lshlrev_b32_e32 v46, 20, v46
	v_and_b32_e32 v14, 0x80000000, v14
	v_lshl_add_u32 v12, v12, 23, v37
	v_or3_b32 v46, v14, v12, v46
.LBB390_84:                             ;   in Loop: Header=BB390_10 Depth=1
	s_or_b64 exec, exec, s[42:43]
.LBB390_85:                             ;   in Loop: Header=BB390_10 Depth=1
	s_or_b64 exec, exec, s[40:41]
.LBB390_86:                             ;   in Loop: Header=BB390_10 Depth=1
	s_or_b64 exec, exec, s[16:17]
	v_mul_f32_e32 v12, s47, v46
	v_and_b32_e32 v14, 0x7f800000, v12
	v_cmp_ne_u32_e64 s[4:5], s51, v14
                                        ; implicit-def: $vgpr46
	s_and_saveexec_b64 s[16:17], s[4:5]
	s_xor_b64 s[4:5], exec, s[16:17]
; %bb.87:                               ;   in Loop: Header=BB390_10 Depth=1
	v_bfe_u32 v14, v12, 16, 1
	v_add3_u32 v46, v12, v14, s52
                                        ; implicit-def: $vgpr12
; %bb.88:                               ;   in Loop: Header=BB390_10 Depth=1
	s_andn2_saveexec_b64 s[16:17], s[4:5]
; %bb.89:                               ;   in Loop: Header=BB390_10 Depth=1
	v_or_b32_e32 v14, 0x10000, v12
	v_cmp_eq_u32_sdwa s[4:5], v12, v1 src0_sel:WORD_0 src1_sel:DWORD
	v_cndmask_b32_e64 v46, v14, v12, s[4:5]
; %bb.90:                               ;   in Loop: Header=BB390_10 Depth=1
	s_or_b64 exec, exec, s[16:17]
	global_load_dword v12, v[8:9], off offset:512
	v_mov_b32_e32 v14, 0
	s_waitcnt vmcnt(0)
	v_cmp_ne_u16_sdwa s[4:5], v12, v1 src0_sel:BYTE_0 src1_sel:DWORD
	s_and_saveexec_b64 s[16:17], s[4:5]
	s_cbranch_execz .LBB390_96
; %bb.91:                               ;   in Loop: Header=BB390_10 Depth=1
	v_cmp_ne_u16_sdwa s[4:5], v12, s49 src0_sel:BYTE_0 src1_sel:DWORD
	v_bfrev_b32_e32 v14, 1
	s_and_saveexec_b64 s[40:41], s[4:5]
	s_cbranch_execz .LBB390_95
; %bb.92:                               ;   in Loop: Header=BB390_10 Depth=1
	v_and_b32_e32 v47, 0x7f, v12
	v_cmp_ne_u32_e64 s[4:5], s50, v47
	v_mov_b32_e32 v14, 0x7f800001
	s_and_saveexec_b64 s[42:43], s[4:5]
	s_cbranch_execz .LBB390_94
; %bb.93:                               ;   in Loop: Header=BB390_10 Depth=1
	v_and_b32_e32 v14, 7, v12
	v_ffbh_u32_e32 v48, v14
	v_min_u32_e32 v51, 32, v48
	v_subrev_u32_e32 v48, 28, v51
	v_lshlrev_b64 v[48:49], v48, v[12:13]
	v_lshrrev_b32_e32 v50, 3, v47
	v_sub_u32_e32 v49, 29, v51
	v_and_b32_e32 v48, 7, v48
	v_cmp_gt_u32_e64 s[4:5], 8, v47
	v_cndmask_b32_e64 v47, v50, v49, s[4:5]
	v_cndmask_b32_e64 v14, v14, v48, s[4:5]
	v_lshlrev_b32_e32 v48, 24, v12
	v_lshlrev_b32_e32 v14, 20, v14
	v_and_b32_e32 v48, 0x80000000, v48
	v_lshl_add_u32 v47, v47, 23, v37
	v_or3_b32 v14, v48, v47, v14
.LBB390_94:                             ;   in Loop: Header=BB390_10 Depth=1
	s_or_b64 exec, exec, s[42:43]
.LBB390_95:                             ;   in Loop: Header=BB390_10 Depth=1
	s_or_b64 exec, exec, s[40:41]
.LBB390_96:                             ;   in Loop: Header=BB390_10 Depth=1
	s_or_b64 exec, exec, s[16:17]
	v_mul_f32_e32 v14, s47, v14
	v_and_b32_e32 v47, 0x7f800000, v14
	v_cmp_ne_u32_e64 s[4:5], s51, v47
                                        ; implicit-def: $vgpr47
	s_and_saveexec_b64 s[16:17], s[4:5]
	s_xor_b64 s[4:5], exec, s[16:17]
; %bb.97:                               ;   in Loop: Header=BB390_10 Depth=1
	v_bfe_u32 v47, v14, 16, 1
	v_add3_u32 v47, v14, v47, s52
                                        ; implicit-def: $vgpr14
; %bb.98:                               ;   in Loop: Header=BB390_10 Depth=1
	s_andn2_saveexec_b64 s[16:17], s[4:5]
; %bb.99:                               ;   in Loop: Header=BB390_10 Depth=1
	v_or_b32_e32 v47, 0x10000, v14
	v_cmp_eq_u32_sdwa s[4:5], v14, v1 src0_sel:WORD_0 src1_sel:DWORD
	v_cndmask_b32_e64 v47, v47, v14, s[4:5]
; %bb.100:                              ;   in Loop: Header=BB390_10 Depth=1
	s_or_b64 exec, exec, s[16:17]
	v_lshrrev_b16_e32 v14, 8, v12
	v_cmp_ne_u16_e64 s[4:5], 0, v14
	v_mov_b32_e32 v48, 0
	s_and_saveexec_b64 s[16:17], s[4:5]
	s_cbranch_execz .LBB390_106
; %bb.101:                              ;   in Loop: Header=BB390_10 Depth=1
	v_cmp_ne_u16_e64 s[4:5], s49, v14
	v_bfrev_b32_e32 v48, 1
	s_and_saveexec_b64 s[40:41], s[4:5]
	s_cbranch_execz .LBB390_105
; %bb.102:                              ;   in Loop: Header=BB390_10 Depth=1
	v_and_b32_e32 v49, 0x7f, v14
	v_cmp_ne_u32_e64 s[4:5], s50, v49
	v_mov_b32_e32 v48, 0x7f800001
	s_and_saveexec_b64 s[42:43], s[4:5]
	s_cbranch_execz .LBB390_104
; %bb.103:                              ;   in Loop: Header=BB390_10 Depth=1
	v_and_b32_e32 v48, 7, v14
	v_ffbh_u32_e32 v50, v48
	v_min_u32_e32 v53, 32, v50
	v_subrev_u32_e32 v50, 28, v53
	v_lshlrev_b64 v[50:51], v50, v[14:15]
	v_lshrrev_b32_e32 v52, 3, v49
	v_sub_u32_e32 v14, 29, v53
	v_and_b32_e32 v50, 7, v50
	v_cmp_gt_u32_e64 s[4:5], 8, v49
	v_cndmask_b32_e64 v14, v52, v14, s[4:5]
	v_cndmask_b32_e64 v48, v48, v50, s[4:5]
	v_lshlrev_b32_e32 v49, 16, v12
	v_lshlrev_b32_e32 v48, 20, v48
	v_and_b32_e32 v49, 0x80000000, v49
	v_lshl_add_u32 v14, v14, 23, v37
	v_or3_b32 v48, v49, v14, v48
.LBB390_104:                            ;   in Loop: Header=BB390_10 Depth=1
	s_or_b64 exec, exec, s[42:43]
.LBB390_105:                            ;   in Loop: Header=BB390_10 Depth=1
	s_or_b64 exec, exec, s[40:41]
.LBB390_106:                            ;   in Loop: Header=BB390_10 Depth=1
	s_or_b64 exec, exec, s[16:17]
	v_mul_f32_e32 v14, s47, v48
	v_and_b32_e32 v48, 0x7f800000, v14
	v_cmp_ne_u32_e64 s[4:5], s51, v48
                                        ; implicit-def: $vgpr48
	s_and_saveexec_b64 s[16:17], s[4:5]
	s_xor_b64 s[4:5], exec, s[16:17]
; %bb.107:                              ;   in Loop: Header=BB390_10 Depth=1
	v_bfe_u32 v48, v14, 16, 1
	v_add3_u32 v48, v14, v48, s52
                                        ; implicit-def: $vgpr14
; %bb.108:                              ;   in Loop: Header=BB390_10 Depth=1
	s_andn2_saveexec_b64 s[16:17], s[4:5]
; %bb.109:                              ;   in Loop: Header=BB390_10 Depth=1
	v_or_b32_e32 v48, 0x10000, v14
	v_cmp_eq_u32_sdwa s[4:5], v14, v1 src0_sel:WORD_0 src1_sel:DWORD
	v_cndmask_b32_e64 v48, v48, v14, s[4:5]
; %bb.110:                              ;   in Loop: Header=BB390_10 Depth=1
	s_or_b64 exec, exec, s[16:17]
	v_lshrrev_b32_e32 v14, 16, v12
	v_cmp_ne_u16_sdwa s[4:5], v14, v1 src0_sel:BYTE_0 src1_sel:DWORD
	v_mov_b32_e32 v49, 0
	s_and_saveexec_b64 s[16:17], s[4:5]
	s_cbranch_execz .LBB390_116
; %bb.111:                              ;   in Loop: Header=BB390_10 Depth=1
	v_cmp_ne_u16_sdwa s[4:5], v14, s49 src0_sel:BYTE_0 src1_sel:DWORD
	v_bfrev_b32_e32 v49, 1
	s_and_saveexec_b64 s[40:41], s[4:5]
	s_cbranch_execz .LBB390_115
; %bb.112:                              ;   in Loop: Header=BB390_10 Depth=1
	v_bfe_u32 v50, v12, 16, 7
	v_cmp_ne_u32_e64 s[4:5], s50, v50
	v_mov_b32_e32 v49, 0x7f800001
	s_and_saveexec_b64 s[42:43], s[4:5]
	s_cbranch_execz .LBB390_114
; %bb.113:                              ;   in Loop: Header=BB390_10 Depth=1
	v_and_b32_e32 v49, 7, v14
	v_ffbh_u32_e32 v52, v49
	v_min_u32_e32 v54, 32, v52
	v_subrev_u32_e32 v52, 28, v54
	v_lshlrev_b64 v[52:53], v52, v[14:15]
	v_lshrrev_b32_e32 v51, 3, v50
	v_sub_u32_e32 v53, 29, v54
	v_and_b32_e32 v52, 7, v52
	v_cmp_gt_u32_e64 s[4:5], 8, v50
	v_cndmask_b32_e64 v50, v51, v53, s[4:5]
	v_cndmask_b32_e64 v49, v49, v52, s[4:5]
	v_lshlrev_b32_e32 v14, 24, v14
	v_lshlrev_b32_e32 v49, 20, v49
	v_and_b32_e32 v14, 0x80000000, v14
	v_lshl_add_u32 v50, v50, 23, v37
	v_or3_b32 v49, v14, v50, v49
.LBB390_114:                            ;   in Loop: Header=BB390_10 Depth=1
	s_or_b64 exec, exec, s[42:43]
.LBB390_115:                            ;   in Loop: Header=BB390_10 Depth=1
	s_or_b64 exec, exec, s[40:41]
.LBB390_116:                            ;   in Loop: Header=BB390_10 Depth=1
	s_or_b64 exec, exec, s[16:17]
	v_mul_f32_e32 v14, s47, v49
	v_and_b32_e32 v49, 0x7f800000, v14
	v_cmp_ne_u32_e64 s[4:5], s51, v49
                                        ; implicit-def: $vgpr49
	s_and_saveexec_b64 s[16:17], s[4:5]
	s_xor_b64 s[4:5], exec, s[16:17]
; %bb.117:                              ;   in Loop: Header=BB390_10 Depth=1
	v_bfe_u32 v49, v14, 16, 1
	v_add3_u32 v49, v14, v49, s52
                                        ; implicit-def: $vgpr14
; %bb.118:                              ;   in Loop: Header=BB390_10 Depth=1
	s_andn2_saveexec_b64 s[16:17], s[4:5]
; %bb.119:                              ;   in Loop: Header=BB390_10 Depth=1
	v_or_b32_e32 v49, 0x10000, v14
	v_cmp_eq_u32_sdwa s[4:5], v14, v1 src0_sel:WORD_0 src1_sel:DWORD
	v_cndmask_b32_e64 v49, v49, v14, s[4:5]
; %bb.120:                              ;   in Loop: Header=BB390_10 Depth=1
	s_or_b64 exec, exec, s[16:17]
	v_cmp_lt_u32_e64 s[4:5], s53, v12
	v_mov_b32_e32 v50, 0
	s_and_saveexec_b64 s[16:17], s[4:5]
	s_cbranch_execz .LBB390_126
; %bb.121:                              ;   in Loop: Header=BB390_10 Depth=1
	v_lshrrev_b32_e32 v14, 24, v12
	v_cmp_ne_u32_e64 s[4:5], s49, v14
	v_bfrev_b32_e32 v50, 1
	s_and_saveexec_b64 s[40:41], s[4:5]
	s_cbranch_execz .LBB390_125
; %bb.122:                              ;   in Loop: Header=BB390_10 Depth=1
	v_bfe_u32 v12, v12, 24, 7
	v_cmp_ne_u32_e64 s[4:5], s50, v12
	v_mov_b32_e32 v50, 0x7f800001
	s_and_saveexec_b64 s[42:43], s[4:5]
	s_cbranch_execz .LBB390_124
; %bb.123:                              ;   in Loop: Header=BB390_10 Depth=1
	v_and_b32_e32 v52, 7, v14
	v_ffbh_u32_e32 v50, v52
	v_min_u32_e32 v54, 32, v50
	v_subrev_u32_e32 v50, 28, v54
	v_lshlrev_b64 v[50:51], v50, v[14:15]
	v_lshrrev_b32_e32 v53, 3, v12
	v_sub_u32_e32 v51, 29, v54
	v_and_b32_e32 v50, 7, v50
	v_cmp_gt_u32_e64 s[4:5], 8, v12
	v_cndmask_b32_e64 v12, v53, v51, s[4:5]
	v_cndmask_b32_e64 v50, v52, v50, s[4:5]
	v_lshlrev_b32_e32 v14, 24, v14
	v_lshlrev_b32_e32 v50, 20, v50
	v_and_b32_e32 v14, 0x80000000, v14
	v_lshl_add_u32 v12, v12, 23, v37
	v_or3_b32 v50, v14, v12, v50
.LBB390_124:                            ;   in Loop: Header=BB390_10 Depth=1
	s_or_b64 exec, exec, s[42:43]
.LBB390_125:                            ;   in Loop: Header=BB390_10 Depth=1
	s_or_b64 exec, exec, s[40:41]
.LBB390_126:                            ;   in Loop: Header=BB390_10 Depth=1
	s_or_b64 exec, exec, s[16:17]
	v_mul_f32_e32 v12, s47, v50
	v_and_b32_e32 v14, 0x7f800000, v12
	v_cmp_ne_u32_e64 s[4:5], s51, v14
                                        ; implicit-def: $vgpr14
	s_and_saveexec_b64 s[16:17], s[4:5]
	s_xor_b64 s[4:5], exec, s[16:17]
; %bb.127:                              ;   in Loop: Header=BB390_10 Depth=1
	v_bfe_u32 v14, v12, 16, 1
	v_add3_u32 v14, v12, v14, s52
                                        ; implicit-def: $vgpr12
; %bb.128:                              ;   in Loop: Header=BB390_10 Depth=1
	s_andn2_saveexec_b64 s[16:17], s[4:5]
; %bb.129:                              ;   in Loop: Header=BB390_10 Depth=1
	v_or_b32_e32 v14, 0x10000, v12
	v_cmp_eq_u32_sdwa s[4:5], v12, v1 src0_sel:WORD_0 src1_sel:DWORD
	v_cndmask_b32_e64 v14, v14, v12, s[4:5]
; %bb.130:                              ;   in Loop: Header=BB390_10 Depth=1
	s_or_b64 exec, exec, s[16:17]
	global_load_dword v8, v[8:9], off offset:520
	v_mov_b32_e32 v9, 0
	s_waitcnt vmcnt(0)
	v_cmp_ne_u16_sdwa s[4:5], v8, v1 src0_sel:BYTE_0 src1_sel:DWORD
	s_and_saveexec_b64 s[16:17], s[4:5]
	s_cbranch_execz .LBB390_136
; %bb.131:                              ;   in Loop: Header=BB390_10 Depth=1
	v_cmp_ne_u16_sdwa s[4:5], v8, s49 src0_sel:BYTE_0 src1_sel:DWORD
	v_bfrev_b32_e32 v9, 1
	s_and_saveexec_b64 s[40:41], s[4:5]
	s_cbranch_execz .LBB390_135
; %bb.132:                              ;   in Loop: Header=BB390_10 Depth=1
	v_and_b32_e32 v12, 0x7f, v8
	v_cmp_ne_u32_e64 s[4:5], s50, v12
	v_mov_b32_e32 v9, 0x7f800001
	s_and_saveexec_b64 s[42:43], s[4:5]
	s_cbranch_execz .LBB390_134
; %bb.133:                              ;   in Loop: Header=BB390_10 Depth=1
	v_and_b32_e32 v9, 7, v8
	v_ffbh_u32_e32 v50, v9
	v_min_u32_e32 v53, 32, v50
	v_subrev_u32_e32 v50, 28, v53
	v_lshlrev_b64 v[50:51], v50, v[8:9]
	v_lshrrev_b32_e32 v52, 3, v12
	v_sub_u32_e32 v51, 29, v53
	v_and_b32_e32 v50, 7, v50
	v_cmp_gt_u32_e64 s[4:5], 8, v12
	v_cndmask_b32_e64 v12, v52, v51, s[4:5]
	v_cndmask_b32_e64 v9, v9, v50, s[4:5]
	v_lshlrev_b32_e32 v50, 24, v8
	v_lshlrev_b32_e32 v9, 20, v9
	v_and_b32_e32 v50, 0x80000000, v50
	v_lshl_add_u32 v12, v12, 23, v37
	v_or3_b32 v9, v50, v12, v9
.LBB390_134:                            ;   in Loop: Header=BB390_10 Depth=1
	s_or_b64 exec, exec, s[42:43]
.LBB390_135:                            ;   in Loop: Header=BB390_10 Depth=1
	s_or_b64 exec, exec, s[40:41]
.LBB390_136:                            ;   in Loop: Header=BB390_10 Depth=1
	s_or_b64 exec, exec, s[16:17]
	v_mul_f32_e32 v12, s47, v9
	v_and_b32_e32 v9, 0x7f800000, v12
	v_cmp_ne_u32_e64 s[4:5], s51, v9
                                        ; implicit-def: $vgpr9
	s_and_saveexec_b64 s[16:17], s[4:5]
	s_xor_b64 s[4:5], exec, s[16:17]
; %bb.137:                              ;   in Loop: Header=BB390_10 Depth=1
	v_bfe_u32 v9, v12, 16, 1
	v_add3_u32 v9, v12, v9, s52
                                        ; implicit-def: $vgpr12
; %bb.138:                              ;   in Loop: Header=BB390_10 Depth=1
	s_andn2_saveexec_b64 s[16:17], s[4:5]
; %bb.139:                              ;   in Loop: Header=BB390_10 Depth=1
	v_or_b32_e32 v9, 0x10000, v12
	v_cmp_eq_u32_sdwa s[4:5], v12, v1 src0_sel:WORD_0 src1_sel:DWORD
	v_cndmask_b32_e64 v9, v9, v12, s[4:5]
; %bb.140:                              ;   in Loop: Header=BB390_10 Depth=1
	s_or_b64 exec, exec, s[16:17]
	v_lshrrev_b16_e32 v12, 8, v8
	v_cmp_ne_u16_e64 s[4:5], 0, v12
	v_mov_b32_e32 v50, 0
	s_and_saveexec_b64 s[16:17], s[4:5]
	s_cbranch_execz .LBB390_146
; %bb.141:                              ;   in Loop: Header=BB390_10 Depth=1
	v_cmp_ne_u16_e64 s[4:5], s49, v12
	v_bfrev_b32_e32 v50, 1
	s_and_saveexec_b64 s[40:41], s[4:5]
	s_cbranch_execz .LBB390_145
; %bb.142:                              ;   in Loop: Header=BB390_10 Depth=1
	v_and_b32_e32 v51, 0x7f, v12
	v_cmp_ne_u32_e64 s[4:5], s50, v51
	v_mov_b32_e32 v50, 0x7f800001
	s_and_saveexec_b64 s[42:43], s[4:5]
	s_cbranch_execz .LBB390_144
; %bb.143:                              ;   in Loop: Header=BB390_10 Depth=1
	v_and_b32_e32 v50, 7, v12
	v_ffbh_u32_e32 v52, v50
	v_min_u32_e32 v55, 32, v52
	v_subrev_u32_e32 v52, 28, v55
	v_lshlrev_b64 v[52:53], v52, v[12:13]
	v_lshrrev_b32_e32 v54, 3, v51
	v_sub_u32_e32 v12, 29, v55
	v_and_b32_e32 v52, 7, v52
	v_cmp_gt_u32_e64 s[4:5], 8, v51
	v_cndmask_b32_e64 v12, v54, v12, s[4:5]
	v_cndmask_b32_e64 v50, v50, v52, s[4:5]
	v_lshlrev_b32_e32 v51, 16, v8
	v_lshlrev_b32_e32 v50, 20, v50
	v_and_b32_e32 v51, 0x80000000, v51
	v_lshl_add_u32 v12, v12, 23, v37
	v_or3_b32 v50, v51, v12, v50
.LBB390_144:                            ;   in Loop: Header=BB390_10 Depth=1
	s_or_b64 exec, exec, s[42:43]
.LBB390_145:                            ;   in Loop: Header=BB390_10 Depth=1
	s_or_b64 exec, exec, s[40:41]
.LBB390_146:                            ;   in Loop: Header=BB390_10 Depth=1
	s_or_b64 exec, exec, s[16:17]
	v_mul_f32_e32 v12, s47, v50
	v_and_b32_e32 v50, 0x7f800000, v12
	v_cmp_ne_u32_e64 s[4:5], s51, v50
                                        ; implicit-def: $vgpr50
	s_and_saveexec_b64 s[16:17], s[4:5]
	s_xor_b64 s[4:5], exec, s[16:17]
; %bb.147:                              ;   in Loop: Header=BB390_10 Depth=1
	v_bfe_u32 v50, v12, 16, 1
	v_add3_u32 v50, v12, v50, s52
                                        ; implicit-def: $vgpr12
; %bb.148:                              ;   in Loop: Header=BB390_10 Depth=1
	s_andn2_saveexec_b64 s[16:17], s[4:5]
; %bb.149:                              ;   in Loop: Header=BB390_10 Depth=1
	v_or_b32_e32 v50, 0x10000, v12
	v_cmp_eq_u32_sdwa s[4:5], v12, v1 src0_sel:WORD_0 src1_sel:DWORD
	v_cndmask_b32_e64 v50, v50, v12, s[4:5]
; %bb.150:                              ;   in Loop: Header=BB390_10 Depth=1
	s_or_b64 exec, exec, s[16:17]
	v_lshrrev_b32_e32 v12, 16, v8
	v_cmp_ne_u16_sdwa s[4:5], v12, v1 src0_sel:BYTE_0 src1_sel:DWORD
	v_mov_b32_e32 v51, 0
	s_and_saveexec_b64 s[16:17], s[4:5]
	s_cbranch_execz .LBB390_156
; %bb.151:                              ;   in Loop: Header=BB390_10 Depth=1
	v_cmp_ne_u16_sdwa s[4:5], v12, s49 src0_sel:BYTE_0 src1_sel:DWORD
	v_bfrev_b32_e32 v51, 1
	s_and_saveexec_b64 s[40:41], s[4:5]
	s_cbranch_execz .LBB390_155
; %bb.152:                              ;   in Loop: Header=BB390_10 Depth=1
	v_bfe_u32 v52, v8, 16, 7
	v_cmp_ne_u32_e64 s[4:5], s50, v52
	v_mov_b32_e32 v51, 0x7f800001
	s_and_saveexec_b64 s[42:43], s[4:5]
	s_cbranch_execz .LBB390_154
; %bb.153:                              ;   in Loop: Header=BB390_10 Depth=1
	v_and_b32_e32 v51, 7, v12
	v_ffbh_u32_e32 v54, v51
	v_min_u32_e32 v56, 32, v54
	v_subrev_u32_e32 v54, 28, v56
	v_lshlrev_b64 v[54:55], v54, v[12:13]
	v_lshrrev_b32_e32 v53, 3, v52
	v_sub_u32_e32 v55, 29, v56
	v_and_b32_e32 v54, 7, v54
	v_cmp_gt_u32_e64 s[4:5], 8, v52
	v_cndmask_b32_e64 v52, v53, v55, s[4:5]
	v_cndmask_b32_e64 v51, v51, v54, s[4:5]
	v_lshlrev_b32_e32 v12, 24, v12
	v_lshlrev_b32_e32 v51, 20, v51
	v_and_b32_e32 v12, 0x80000000, v12
	v_lshl_add_u32 v52, v52, 23, v37
	v_or3_b32 v51, v12, v52, v51
.LBB390_154:                            ;   in Loop: Header=BB390_10 Depth=1
	s_or_b64 exec, exec, s[42:43]
.LBB390_155:                            ;   in Loop: Header=BB390_10 Depth=1
	s_or_b64 exec, exec, s[40:41]
.LBB390_156:                            ;   in Loop: Header=BB390_10 Depth=1
	s_or_b64 exec, exec, s[16:17]
	v_mul_f32_e32 v12, s47, v51
	v_and_b32_e32 v51, 0x7f800000, v12
	v_cmp_ne_u32_e64 s[4:5], s51, v51
                                        ; implicit-def: $vgpr51
	s_and_saveexec_b64 s[16:17], s[4:5]
	s_xor_b64 s[4:5], exec, s[16:17]
; %bb.157:                              ;   in Loop: Header=BB390_10 Depth=1
	v_bfe_u32 v51, v12, 16, 1
	v_add3_u32 v51, v12, v51, s52
                                        ; implicit-def: $vgpr12
; %bb.158:                              ;   in Loop: Header=BB390_10 Depth=1
	s_andn2_saveexec_b64 s[16:17], s[4:5]
; %bb.159:                              ;   in Loop: Header=BB390_10 Depth=1
	v_or_b32_e32 v51, 0x10000, v12
	v_cmp_eq_u32_sdwa s[4:5], v12, v1 src0_sel:WORD_0 src1_sel:DWORD
	v_cndmask_b32_e64 v51, v51, v12, s[4:5]
; %bb.160:                              ;   in Loop: Header=BB390_10 Depth=1
	s_or_b64 exec, exec, s[16:17]
	v_cmp_lt_u32_e64 s[4:5], s53, v8
	v_mov_b32_e32 v52, 0
	s_and_saveexec_b64 s[16:17], s[4:5]
	s_cbranch_execz .LBB390_166
; %bb.161:                              ;   in Loop: Header=BB390_10 Depth=1
	v_lshrrev_b32_e32 v12, 24, v8
	v_cmp_ne_u32_e64 s[4:5], s49, v12
	v_bfrev_b32_e32 v52, 1
	s_and_saveexec_b64 s[40:41], s[4:5]
	s_cbranch_execz .LBB390_165
; %bb.162:                              ;   in Loop: Header=BB390_10 Depth=1
	v_bfe_u32 v8, v8, 24, 7
	v_cmp_ne_u32_e64 s[4:5], s50, v8
	v_mov_b32_e32 v52, 0x7f800001
	s_and_saveexec_b64 s[42:43], s[4:5]
	s_cbranch_execz .LBB390_164
; %bb.163:                              ;   in Loop: Header=BB390_10 Depth=1
	v_and_b32_e32 v54, 7, v12
	v_ffbh_u32_e32 v52, v54
	v_min_u32_e32 v56, 32, v52
	v_subrev_u32_e32 v52, 28, v56
	v_lshlrev_b64 v[52:53], v52, v[12:13]
	v_lshrrev_b32_e32 v55, 3, v8
	v_sub_u32_e32 v53, 29, v56
	v_and_b32_e32 v52, 7, v52
	v_cmp_gt_u32_e64 s[4:5], 8, v8
	v_cndmask_b32_e64 v8, v55, v53, s[4:5]
	v_cndmask_b32_e64 v52, v54, v52, s[4:5]
	v_lshlrev_b32_e32 v12, 24, v12
	v_lshlrev_b32_e32 v52, 20, v52
	v_and_b32_e32 v12, 0x80000000, v12
	v_lshl_add_u32 v8, v8, 23, v37
	v_or3_b32 v52, v12, v8, v52
.LBB390_164:                            ;   in Loop: Header=BB390_10 Depth=1
	s_or_b64 exec, exec, s[42:43]
.LBB390_165:                            ;   in Loop: Header=BB390_10 Depth=1
	s_or_b64 exec, exec, s[40:41]
.LBB390_166:                            ;   in Loop: Header=BB390_10 Depth=1
	s_or_b64 exec, exec, s[16:17]
	v_mul_f32_e32 v12, s47, v52
	v_and_b32_e32 v8, 0x7f800000, v12
	v_cmp_ne_u32_e64 s[4:5], s51, v8
                                        ; implicit-def: $vgpr8
	s_and_saveexec_b64 s[16:17], s[4:5]
	s_xor_b64 s[4:5], exec, s[16:17]
; %bb.167:                              ;   in Loop: Header=BB390_10 Depth=1
	v_bfe_u32 v8, v12, 16, 1
	v_add3_u32 v8, v12, v8, s52
                                        ; implicit-def: $vgpr12
; %bb.168:                              ;   in Loop: Header=BB390_10 Depth=1
	s_andn2_saveexec_b64 s[16:17], s[4:5]
; %bb.169:                              ;   in Loop: Header=BB390_10 Depth=1
	v_or_b32_e32 v8, 0x10000, v12
	v_cmp_eq_u32_sdwa s[4:5], v12, v1 src0_sel:WORD_0 src1_sel:DWORD
	v_cndmask_b32_e64 v8, v8, v12, s[4:5]
; %bb.170:                              ;   in Loop: Header=BB390_10 Depth=1
	s_or_b64 exec, exec, s[16:17]
	v_and_b32_e32 v43, 0xffff0000, v43
	v_and_b32_e32 v44, 0xffff0000, v44
	v_and_b32_e32 v39, 0xffff0000, v39
	v_mul_f32_e32 v43, v21, v43
	v_and_b32_e32 v45, 0xffff0000, v45
	v_and_b32_e32 v40, 0xffff0000, v40
	v_fmac_f32_e32 v43, v16, v39
	v_mul_f32_e32 v39, v22, v44
	v_and_b32_e32 v46, 0xffff0000, v46
	v_and_b32_e32 v41, 0xffff0000, v41
	v_fmac_f32_e32 v39, v17, v40
	v_mul_f32_e32 v40, v23, v45
	v_and_b32_e32 v48, 0xffff0000, v48
	v_and_b32_e32 v47, 0xffff0000, v47
	v_and_b32_e32 v42, 0xffff0000, v42
	v_fmac_f32_e32 v40, v19, v41
	v_mul_f32_e32 v41, v24, v46
	v_and_b32_e32 v12, 0xffff0000, v50
	v_and_b32_e32 v9, 0xffff0000, v9
	;; [unrolled: 1-line block ×4, first 2 shown]
	v_fmac_f32_e32 v41, v20, v42
	v_fmac_f32_e32 v43, v25, v47
	;; [unrolled: 1-line block ×3, first 2 shown]
	v_and_b32_e32 v50, 0xffff0000, v51
	v_and_b32_e32 v8, 0xffff0000, v8
	v_fmac_f32_e32 v40, v27, v49
	v_fmac_f32_e32 v41, v28, v14
	;; [unrolled: 1-line block ×6, first 2 shown]
	v_add_f32_e32 v8, v43, v39
	v_add_f32_e32 v8, v8, v40
	;; [unrolled: 1-line block ×3, first 2 shown]
	ds_bpermute_b32 v9, v34, v8
	s_and_saveexec_b64 s[16:17], vcc
	s_cbranch_execz .LBB390_9
; %bb.171:                              ;   in Loop: Header=BB390_10 Depth=1
	v_add_u32_e32 v12, s48, v35
	v_cvt_f32_i32_e32 v12, v12
	s_waitcnt lgkmcnt(0)
	v_add_f32_e32 v8, v8, v9
	v_cmp_gt_i32_e64 s[4:5], s33, v35
	v_max_f32_e32 v9, v32, v32
	v_mul_f32_e32 v12, s10, v12
	v_cndmask_b32_e64 v12, 0, v12, s[2:3]
	v_fmac_f32_e32 v12, s11, v8
	v_cndmask_b32_e64 v8, 0, v12, s[4:5]
	ds_write_b32 v36, v8
	v_max_f32_e32 v8, v9, v12
	v_cndmask_b32_e64 v32, v32, v8, s[4:5]
	s_branch .LBB390_9
.LBB390_172:
	s_or_b64 exec, exec, s[14:15]
.LBB390_173:
	s_or_b64 exec, exec, s[38:39]
	v_xor_b32_e32 v1, 32, v13
	v_cmp_lt_i32_e32 vcc, v1, v15
	v_cndmask_b32_e32 v1, v13, v1, vcc
	v_lshlrev_b32_e32 v2, 2, v1
	ds_bpermute_b32 v1, v2, v32
	v_xor_b32_e32 v4, 16, v13
	v_max_f32_e32 v3, v32, v32
	v_cmp_lt_i32_e32 vcc, v4, v15
	v_xor_b32_e32 v6, 8, v13
	s_waitcnt lgkmcnt(0)
	v_max_f32_e32 v1, v1, v1
	v_max_f32_e32 v1, v3, v1
	v_cndmask_b32_e32 v3, v13, v4, vcc
	v_lshlrev_b32_e32 v3, 2, v3
	ds_bpermute_b32 v4, v3, v1
	v_cmp_lt_i32_e32 vcc, v6, v15
	v_xor_b32_e32 v7, 4, v13
	v_xor_b32_e32 v8, 2, v13
	s_waitcnt lgkmcnt(0)
	v_max_f32_e32 v4, v4, v4
	v_max_f32_e32 v1, v1, v4
	v_cndmask_b32_e32 v4, v13, v6, vcc
	v_lshlrev_b32_e32 v6, 2, v4
	ds_bpermute_b32 v4, v6, v1
	v_cmp_lt_i32_e32 vcc, v7, v15
	s_waitcnt lgkmcnt(0)
	v_max_f32_e32 v4, v4, v4
	v_max_f32_e32 v1, v1, v4
	v_cndmask_b32_e32 v4, v13, v7, vcc
	v_lshlrev_b32_e32 v7, 2, v4
	ds_bpermute_b32 v4, v7, v1
	v_cmp_lt_i32_e32 vcc, v8, v15
	s_waitcnt lgkmcnt(0)
	v_max_f32_e32 v4, v4, v4
	v_max_f32_e32 v4, v1, v4
	v_cndmask_b32_e32 v1, v13, v8, vcc
	v_lshlrev_b32_e32 v20, 2, v1
	ds_bpermute_b32 v9, v20, v4
	v_and_b32_e32 v1, 63, v0
	v_cmp_eq_u32_e32 vcc, 0, v1
	v_lshlrev_b32_e32 v8, 2, v18
	s_and_saveexec_b64 s[2:3], vcc
	s_cbranch_execz .LBB390_175
; %bb.174:
	s_waitcnt lgkmcnt(0)
	v_max_f32_e32 v9, v9, v9
	v_max_f32_e32 v4, v4, v4
	v_max_f32_e32 v4, v4, v9
	ds_write_b32 v8, v4 offset:64
.LBB390_175:
	s_or_b64 exec, exec, s[2:3]
	v_cmp_gt_u32_e64 s[2:3], 2, v1
	v_mov_b32_e32 v4, 0xff7fffff
	s_waitcnt lgkmcnt(0)
	v_lshlrev_b32_e32 v9, 2, v1
	s_barrier
	s_and_saveexec_b64 s[4:5], s[2:3]
	s_cbranch_execz .LBB390_177
; %bb.176:
	ds_read_b32 v4, v9 offset:64
.LBB390_177:
	s_or_b64 exec, exec, s[4:5]
	v_xor_b32_e32 v12, 1, v13
	v_cmp_lt_i32_e64 s[4:5], v12, v15
	v_cndmask_b32_e64 v12, v13, v12, s[4:5]
	v_lshlrev_b32_e32 v21, 2, v12
	s_waitcnt lgkmcnt(0)
	ds_bpermute_b32 v12, v21, v4
	v_max_f32_e32 v4, v4, v4
	s_sub_i32 s4, s44, s9
	s_lshl_b32 s4, s4, 5
	s_add_i32 s4, s4, s45
	s_waitcnt lgkmcnt(0)
	v_max_f32_e32 v12, v12, v12
	v_max_f32_e32 v4, v4, v12
	v_lshlrev_b32_e32 v12, 2, v13
	v_and_b32_e32 v12, 0xffffff00, v12
	ds_bpermute_b32 v4, v12, v4
	s_min_i32 s38, s4, s33
	s_sub_i32 s9, s38, s45
	v_cmp_gt_i32_e64 s[4:5], s9, v0
	v_mov_b32_e32 v13, 0
	s_and_saveexec_b64 s[14:15], s[4:5]
	s_cbranch_execz .LBB390_181
; %bb.178:
	v_mov_b32_e32 v13, 0x50
	v_lshl_add_u32 v14, v0, 2, v13
	s_mov_b64 s[16:17], 0
	v_mov_b32_e32 v13, 0
	v_mov_b32_e32 v15, v0
.LBB390_179:                            ; =>This Inner Loop Header: Depth=1
	ds_read_b32 v16, v14
	v_add_u32_e32 v15, 0x80, v15
	v_cmp_le_i32_e64 s[10:11], s9, v15
	s_or_b64 s[16:17], s[10:11], s[16:17]
	s_waitcnt lgkmcnt(0)
	v_sub_f32_e32 v16, v16, v4
	v_mul_f32_e32 v16, 0x3fb8aa3b, v16
	v_exp_f32_e32 v16, v16
	ds_write_b32 v14, v16
	v_add_f32_e32 v13, v13, v16
	v_add_u32_e32 v14, 0x200, v14
	s_andn2_b64 exec, exec, s[16:17]
	s_cbranch_execnz .LBB390_179
; %bb.180:
	s_or_b64 exec, exec, s[16:17]
.LBB390_181:
	s_or_b64 exec, exec, s[14:15]
	ds_bpermute_b32 v2, v2, v13
	s_waitcnt lgkmcnt(0)
	v_add_f32_e32 v2, v13, v2
	ds_bpermute_b32 v3, v3, v2
	s_waitcnt lgkmcnt(0)
	v_add_f32_e32 v2, v2, v3
	;; [unrolled: 3-line block ×6, first 2 shown]
	s_and_saveexec_b64 s[10:11], vcc
	s_cbranch_execz .LBB390_183
; %bb.182:
	ds_write_b32 v8, v2 offset:72
.LBB390_183:
	s_or_b64 exec, exec, s[10:11]
	s_waitcnt lgkmcnt(0)
	s_barrier
	s_and_saveexec_b64 s[10:11], s[2:3]
	s_cbranch_execz .LBB390_185
; %bb.184:
	ds_read_b32 v2, v9 offset:72
.LBB390_185:
	s_or_b64 exec, exec, s[10:11]
	s_waitcnt lgkmcnt(0)
	ds_bpermute_b32 v3, v21, v2
	s_waitcnt lgkmcnt(0)
	v_add_f32_e32 v2, v2, v3
	ds_bpermute_b32 v6, v12, v2
	s_and_saveexec_b64 s[2:3], s[4:5]
	s_cbranch_execz .LBB390_198
; %bb.186:
	s_waitcnt lgkmcnt(0)
	v_add_f32_e32 v2, 0x358637bd, v6
	v_div_scale_f32 v3, s[4:5], v2, v2, 1.0
	v_rcp_f32_e32 v7, v3
	v_div_scale_f32 v8, vcc, 1.0, v2, 1.0
	s_movk_i32 s4, 0x7f
	v_fma_f32 v9, -v3, v7, 1.0
	v_fmac_f32_e32 v7, v9, v7
	v_mul_f32_e32 v9, v8, v7
	v_fma_f32 v12, -v3, v9, v8
	v_fmac_f32_e32 v9, v12, v7
	v_fma_f32 v3, -v3, v9, v8
	v_div_fmas_f32 v3, v3, v7, v9
	v_div_fixup_f32 v2, v3, v2, 1.0
	v_xad_u32 v3, v0, -1, s38
	v_subrev_u32_e32 v7, s45, v3
	v_cmp_lt_u32_e32 vcc, s4, v7
	s_mov_b64 s[10:11], -1
	v_mov_b32_e32 v3, v0
	s_and_saveexec_b64 s[4:5], vcc
	s_cbranch_execz .LBB390_195
; %bb.187:
	v_lshrrev_b32_e32 v7, 7, v7
	v_add_u32_e32 v9, -1, v7
	v_lshrrev_b32_e32 v8, 1, v9
	v_mov_b32_e32 v3, v2
	v_add_u32_e32 v8, 1, v8
	v_cmp_lt_u32_e32 vcc, 13, v9
	v_mov_b32_e32 v13, 0
	s_and_saveexec_b64 s[10:11], vcc
	s_cbranch_execz .LBB390_191
; %bb.188:
	v_mov_b32_e32 v12, 0x50
	v_and_b32_e32 v9, -8, v8
	v_lshl_add_u32 v12, v0, 2, v12
	s_mov_b32 s16, 0
	s_mov_b64 s[14:15], 0
.LBB390_189:                            ; =>This Inner Loop Header: Depth=1
	ds_read2st64_b32 v[14:15], v12 offset1:2
	ds_read2st64_b32 v[16:17], v12 offset0:4 offset1:6
	ds_read2st64_b32 v[22:23], v12 offset0:8 offset1:10
	;; [unrolled: 1-line block ×3, first 2 shown]
	v_add_u32_e32 v9, -8, v9
	s_waitcnt lgkmcnt(3)
	v_pk_mul_f32 v[14:15], v[2:3], v[14:15]
	s_waitcnt lgkmcnt(2)
	v_pk_mul_f32 v[16:17], v[2:3], v[16:17]
	ds_write2st64_b32 v12, v14, v15 offset1:2
	ds_write2st64_b32 v12, v16, v17 offset0:4 offset1:6
	ds_read2st64_b32 v[16:17], v12 offset0:16 offset1:18
	s_waitcnt lgkmcnt(4)
	v_pk_mul_f32 v[14:15], v[2:3], v[22:23]
	ds_write2st64_b32 v12, v14, v15 offset0:8 offset1:10
	s_waitcnt lgkmcnt(4)
	v_pk_mul_f32 v[14:15], v[2:3], v[24:25]
	ds_write2st64_b32 v12, v14, v15 offset0:12 offset1:14
	ds_read2st64_b32 v[14:15], v12 offset0:20 offset1:22
	s_waitcnt lgkmcnt(3)
	v_pk_mul_f32 v[16:17], v[2:3], v[16:17]
	ds_read2st64_b32 v[22:23], v12 offset0:24 offset1:26
	ds_write2st64_b32 v12, v16, v17 offset0:16 offset1:18
	ds_read2st64_b32 v[16:17], v12 offset0:28 offset1:30
	s_waitcnt lgkmcnt(3)
	v_pk_mul_f32 v[14:15], v[2:3], v[14:15]
	ds_write2st64_b32 v12, v14, v15 offset0:20 offset1:22
	s_waitcnt lgkmcnt(3)
	v_pk_mul_f32 v[14:15], v[2:3], v[22:23]
	ds_write2st64_b32 v12, v14, v15 offset0:24 offset1:26
	s_waitcnt lgkmcnt(2)
	v_pk_mul_f32 v[14:15], v[2:3], v[16:17]
	s_add_i32 s16, s16, 16
	v_cmp_eq_u32_e32 vcc, 0, v9
	ds_write2st64_b32 v12, v14, v15 offset0:28 offset1:30
	v_add_u32_e32 v12, 0x2000, v12
	s_or_b64 s[14:15], vcc, s[14:15]
	v_mov_b32_e32 v13, s16
	s_andn2_b64 exec, exec, s[14:15]
	s_cbranch_execnz .LBB390_189
; %bb.190:
	s_or_b64 exec, exec, s[14:15]
.LBB390_191:
	s_or_b64 exec, exec, s[10:11]
	v_and_b32_e32 v8, 7, v8
	v_cmp_ne_u32_e32 vcc, 0, v8
	s_and_saveexec_b64 s[10:11], vcc
	s_cbranch_execz .LBB390_194
; %bb.192:
	v_lshlrev_b32_e32 v9, 9, v13
	v_lshlrev_b32_e32 v12, 2, v0
	s_movk_i32 s14, 0x50
	v_add3_u32 v9, v9, v12, s14
	s_mov_b64 s[14:15], 0
.LBB390_193:                            ; =>This Inner Loop Header: Depth=1
	ds_read2st64_b32 v[12:13], v9 offset1:2
	v_add_u32_e32 v8, -1, v8
	v_cmp_eq_u32_e32 vcc, 0, v8
	s_or_b64 s[14:15], vcc, s[14:15]
	s_waitcnt lgkmcnt(0)
	v_pk_mul_f32 v[12:13], v[2:3], v[12:13]
	ds_write2st64_b32 v9, v12, v13 offset1:2
	v_add_u32_e32 v9, 0x400, v9
	s_andn2_b64 exec, exec, s[14:15]
	s_cbranch_execnz .LBB390_193
.LBB390_194:
	s_or_b64 exec, exec, s[10:11]
	v_add_u32_e32 v7, 1, v7
	v_and_b32_e32 v8, 0x3fffffe, v7
	v_cmp_ne_u32_e32 vcc, v7, v8
	v_lshl_add_u32 v3, v8, 7, v0
	s_orn2_b64 s[10:11], vcc, exec
.LBB390_195:
	s_or_b64 exec, exec, s[4:5]
	s_and_b64 exec, exec, s[10:11]
	s_cbranch_execz .LBB390_198
; %bb.196:
	v_mov_b32_e32 v7, 0x50
	v_lshl_add_u32 v7, v3, 2, v7
	s_mov_b64 s[4:5], 0
.LBB390_197:                            ; =>This Inner Loop Header: Depth=1
	ds_read_b32 v8, v7
	v_add_u32_e32 v3, 0x80, v3
	v_cmp_le_i32_e32 vcc, s9, v3
	s_or_b64 s[4:5], vcc, s[4:5]
	s_waitcnt lgkmcnt(0)
	v_mul_f32_e32 v8, v2, v8
	ds_write_b32 v7, v8
	v_add_u32_e32 v7, 0x200, v7
	s_andn2_b64 exec, exec, s[4:5]
	s_cbranch_execnz .LBB390_197
.LBB390_198:
	s_or_b64 exec, exec, s[2:3]
	v_cmp_eq_u32_e32 vcc, 0, v0
	s_waitcnt lgkmcnt(0)
	s_barrier
	s_and_saveexec_b64 s[2:3], vcc
	s_cbranch_execz .LBB390_200
; %bb.199:
	s_mul_i32 s4, s27, s24
	s_mul_i32 s4, s4, s25
	s_ashr_i32 s5, s4, 31
	s_lshl_b64 s[4:5], s[4:5], 2
	s_add_u32 s9, s22, s4
	s_mul_i32 s10, s27, s6
	s_addc_u32 s14, s23, s5
	s_ashr_i32 s11, s10, 31
	s_lshl_b64 s[10:11], s[10:11], 2
	s_add_u32 s6, s9, s10
	s_addc_u32 s17, s14, s11
	s_ashr_i32 s9, s8, 31
	s_lshl_b64 s[14:15], s[8:9], 2
	s_add_u32 s16, s6, s14
	s_addc_u32 s17, s17, s15
	s_add_u32 s4, s20, s4
	s_addc_u32 s5, s21, s5
	;; [unrolled: 2-line block ×3, first 2 shown]
	s_add_u32 s4, s4, s14
	v_mov_b32_e32 v2, 0
	s_addc_u32 s5, s5, s15
	global_store_dword v2, v4, s[16:17]
	global_store_dword v2, v6, s[4:5]
.LBB390_200:
	s_or_b64 exec, exec, s[2:3]
	v_mov_b32_e32 v17, 0
	v_and_b32_e32 v22, 3, v0
	v_mov_b32_e32 v16, v17
	s_and_saveexec_b64 s[2:3], s[0:1]
	s_cbranch_execz .LBB390_464
; %bb.201:
	s_ashr_i32 s0, s12, 31
	s_add_u32 s1, s36, s12
	v_and_b32_e32 v3, 0x1f8, v5
	v_and_b32_e32 v2, 24, v5
	s_addc_u32 s0, s37, s0
	v_add_co_u32_e32 v14, vcc, s1, v3
	v_lshl_add_u32 v3, v18, 5, s45
	s_load_dword s16, s[18:19], 0x0
	s_add_i32 s17, s7, -1
	v_mov_b32_e32 v4, s0
	v_add3_u32 v23, v3, v2, 7
	v_lshlrev_b32_e32 v2, 5, v22
	s_lshl_b64 s[0:1], s[34:35], 2
	v_lshl_or_b32 v2, v18, 7, v2
	s_add_u32 s0, s30, s0
	v_addc_co_u32_e32 v15, vcc, 0, v4, vcc
	v_add_u32_e32 v24, 0x50, v2
	v_lshlrev_b64 v[2:3], 2, v[10:11]
	s_addc_u32 s1, s31, s1
	s_mov_b32 s4, -1
	v_mov_b32_e32 v13, 0
	v_mov_b32_e32 v4, s1
	v_add_co_u32_e32 v18, vcc, s0, v2
	s_mov_b32 s9, s13
	s_mov_b32 s5, 0xffffff
	v_addc_co_u32_e32 v19, vcc, v4, v3, vcc
	s_mov_b64 s[6:7], 0
	s_mov_b32 s18, 0x7f800000
	s_movk_i32 s19, 0x7fff
	s_movk_i32 s20, 0x80
	s_movk_i32 s21, 0x7f
	v_bfrev_b32_e32 v11, 60
	v_mov_b32_e32 v16, v13
	v_mov_b32_e32 v17, v13
	s_branch .LBB390_203
.LBB390_202:                            ;   in Loop: Header=BB390_203 Depth=1
	s_or_b64 exec, exec, s[0:1]
	v_and_b32_e32 v33, 0xffff0000, v34
	v_and_b32_e32 v34, 0xffff0000, v9
	;; [unrolled: 1-line block ×6, first 2 shown]
	v_pk_add_f32 v[6:7], v[6:7], v[8:9]
	v_and_b32_e32 v32, 0xffff0000, v25
	v_and_b32_e32 v35, 0xffff0000, v26
	v_mov_b32_e32 v8, v7
	v_pk_add_f32 v[6:7], v[6:7], v[8:9]
	v_pk_add_f32 v[8:9], v[34:35], v[32:33]
	;; [unrolled: 1-line block ×3, first 2 shown]
	v_mov_b32_e32 v8, v9
	v_pk_add_f32 v[6:7], v[6:7], v[8:9]
	v_and_b32_e32 v9, 0xffff0000, v3
	v_and_b32_e32 v5, 0xffff0000, v28
	;; [unrolled: 1-line block ×5, first 2 shown]
	v_pk_add_f32 v[2:3], v[2:3], v[4:5]
	v_and_b32_e32 v8, 0xffff0000, v30
	v_and_b32_e32 v31, 0xffff0000, v12
	;; [unrolled: 1-line block ×3, first 2 shown]
	v_mov_b32_e32 v4, v3
	v_pk_add_f32 v[2:3], v[2:3], v[4:5]
	v_pk_add_f32 v[4:5], v[30:31], v[8:9]
	;; [unrolled: 1-line block ×3, first 2 shown]
	v_mov_b32_e32 v4, v5
	v_pk_add_f32 v[2:3], v[2:3], v[4:5]
	v_add_u32_e32 v10, 2, v10
	v_mov_b32_e32 v3, v2
	v_cmp_le_i32_e32 vcc, s44, v10
	v_pk_add_f32 v[6:7], v[16:17], v[6:7]
	v_pk_add_f32 v[16:17], v[16:17], v[2:3]
	s_or_b64 s[6:7], vcc, s[6:7]
	v_add_co_u32_e32 v18, vcc, 8, v18
	v_mov_b32_e32 v16, v6
	v_add_u32_e32 v23, 64, v23
	v_add_u32_e32 v24, 0x100, v24
	v_addc_co_u32_e32 v19, vcc, 0, v19, vcc
	s_andn2_b64 exec, exec, s[6:7]
	s_cbranch_execz .LBB390_463
.LBB390_203:                            ; =>This Inner Loop Header: Depth=1
	global_load_dword v12, v[18:19], off
	ds_read2_b64 v[6:9], v24 offset1:1
	ds_read2_b64 v[2:5], v24 offset0:2 offset1:3
                                        ; implicit-def: $vgpr35
	s_waitcnt lgkmcnt(0)
	v_and_b32_e32 v25, 0x7f800000, v6
	v_cmp_ne_u32_e32 vcc, s18, v25
	s_and_saveexec_b64 s[0:1], vcc
	s_xor_b64 s[0:1], exec, s[0:1]
; %bb.204:                              ;   in Loop: Header=BB390_203 Depth=1
	v_bfe_u32 v25, v6, 16, 1
	v_add3_u32 v35, v6, v25, s19
; %bb.205:                              ;   in Loop: Header=BB390_203 Depth=1
	s_andn2_saveexec_b64 s[0:1], s[0:1]
; %bb.206:                              ;   in Loop: Header=BB390_203 Depth=1
	v_or_b32_e32 v25, 0x10000, v6
	v_cmp_eq_u32_sdwa vcc, v6, v13 src0_sel:WORD_0 src1_sel:DWORD
	v_cndmask_b32_e32 v35, v25, v6, vcc
; %bb.207:                              ;   in Loop: Header=BB390_203 Depth=1
	s_or_b64 exec, exec, s[0:1]
	v_and_b32_e32 v6, 0x7f800000, v7
	v_cmp_ne_u32_e32 vcc, s18, v6
                                        ; implicit-def: $vgpr36
	s_and_saveexec_b64 s[0:1], vcc
	s_xor_b64 s[0:1], exec, s[0:1]
; %bb.208:                              ;   in Loop: Header=BB390_203 Depth=1
	v_bfe_u32 v6, v7, 16, 1
	v_add3_u32 v36, v7, v6, s19
; %bb.209:                              ;   in Loop: Header=BB390_203 Depth=1
	s_andn2_saveexec_b64 s[0:1], s[0:1]
; %bb.210:                              ;   in Loop: Header=BB390_203 Depth=1
	v_or_b32_e32 v6, 0x10000, v7
	v_cmp_eq_u32_sdwa vcc, v7, v13 src0_sel:WORD_0 src1_sel:DWORD
	v_cndmask_b32_e32 v36, v6, v7, vcc
; %bb.211:                              ;   in Loop: Header=BB390_203 Depth=1
	s_or_b64 exec, exec, s[0:1]
	v_and_b32_e32 v6, 0x7f800000, v8
	v_cmp_ne_u32_e32 vcc, s18, v6
                                        ; implicit-def: $vgpr37
	s_and_saveexec_b64 s[0:1], vcc
	s_xor_b64 s[0:1], exec, s[0:1]
; %bb.212:                              ;   in Loop: Header=BB390_203 Depth=1
	v_bfe_u32 v6, v8, 16, 1
	v_add3_u32 v37, v8, v6, s19
; %bb.213:                              ;   in Loop: Header=BB390_203 Depth=1
	s_andn2_saveexec_b64 s[0:1], s[0:1]
; %bb.214:                              ;   in Loop: Header=BB390_203 Depth=1
	v_or_b32_e32 v6, 0x10000, v8
	v_cmp_eq_u32_sdwa vcc, v8, v13 src0_sel:WORD_0 src1_sel:DWORD
	v_cndmask_b32_e32 v37, v6, v8, vcc
; %bb.215:                              ;   in Loop: Header=BB390_203 Depth=1
	s_or_b64 exec, exec, s[0:1]
	v_and_b32_e32 v6, 0x7f800000, v9
	v_cmp_ne_u32_e32 vcc, s18, v6
                                        ; implicit-def: $vgpr38
	s_and_saveexec_b64 s[0:1], vcc
	s_xor_b64 s[0:1], exec, s[0:1]
; %bb.216:                              ;   in Loop: Header=BB390_203 Depth=1
	v_bfe_u32 v6, v9, 16, 1
	v_add3_u32 v38, v9, v6, s19
                                        ; implicit-def: $vgpr6_vgpr7_vgpr8_vgpr9
; %bb.217:                              ;   in Loop: Header=BB390_203 Depth=1
	s_andn2_saveexec_b64 s[0:1], s[0:1]
; %bb.218:                              ;   in Loop: Header=BB390_203 Depth=1
	v_or_b32_e32 v6, 0x10000, v9
	v_cmp_eq_u32_sdwa vcc, v9, v13 src0_sel:WORD_0 src1_sel:DWORD
	v_cndmask_b32_e32 v38, v6, v9, vcc
; %bb.219:                              ;   in Loop: Header=BB390_203 Depth=1
	s_or_b64 exec, exec, s[0:1]
	v_and_b32_e32 v6, 0x7f800000, v2
	v_cmp_ne_u32_e32 vcc, s18, v6
                                        ; implicit-def: $vgpr9
	s_and_saveexec_b64 s[0:1], vcc
	s_xor_b64 s[0:1], exec, s[0:1]
; %bb.220:                              ;   in Loop: Header=BB390_203 Depth=1
	v_bfe_u32 v6, v2, 16, 1
	v_add3_u32 v9, v2, v6, s19
; %bb.221:                              ;   in Loop: Header=BB390_203 Depth=1
	s_andn2_saveexec_b64 s[0:1], s[0:1]
; %bb.222:                              ;   in Loop: Header=BB390_203 Depth=1
	v_or_b32_e32 v6, 0x10000, v2
	v_cmp_eq_u32_sdwa vcc, v2, v13 src0_sel:WORD_0 src1_sel:DWORD
	v_cndmask_b32_e32 v9, v6, v2, vcc
; %bb.223:                              ;   in Loop: Header=BB390_203 Depth=1
	s_or_b64 exec, exec, s[0:1]
	v_and_b32_e32 v2, 0x7f800000, v3
	v_cmp_ne_u32_e32 vcc, s18, v2
                                        ; implicit-def: $vgpr25
	s_and_saveexec_b64 s[0:1], vcc
	s_xor_b64 s[0:1], exec, s[0:1]
; %bb.224:                              ;   in Loop: Header=BB390_203 Depth=1
	v_bfe_u32 v2, v3, 16, 1
	v_add3_u32 v25, v3, v2, s19
; %bb.225:                              ;   in Loop: Header=BB390_203 Depth=1
	s_andn2_saveexec_b64 s[0:1], s[0:1]
; %bb.226:                              ;   in Loop: Header=BB390_203 Depth=1
	v_or_b32_e32 v2, 0x10000, v3
	v_cmp_eq_u32_sdwa vcc, v3, v13 src0_sel:WORD_0 src1_sel:DWORD
	v_cndmask_b32_e32 v25, v2, v3, vcc
; %bb.227:                              ;   in Loop: Header=BB390_203 Depth=1
	s_or_b64 exec, exec, s[0:1]
	v_and_b32_e32 v2, 0x7f800000, v4
	v_cmp_ne_u32_e32 vcc, s18, v2
                                        ; implicit-def: $vgpr26
	s_and_saveexec_b64 s[0:1], vcc
	s_xor_b64 s[0:1], exec, s[0:1]
; %bb.228:                              ;   in Loop: Header=BB390_203 Depth=1
	v_bfe_u32 v2, v4, 16, 1
	v_add3_u32 v26, v4, v2, s19
; %bb.229:                              ;   in Loop: Header=BB390_203 Depth=1
	s_andn2_saveexec_b64 s[0:1], s[0:1]
; %bb.230:                              ;   in Loop: Header=BB390_203 Depth=1
	v_or_b32_e32 v2, 0x10000, v4
	v_cmp_eq_u32_sdwa vcc, v4, v13 src0_sel:WORD_0 src1_sel:DWORD
	v_cndmask_b32_e32 v26, v2, v4, vcc
; %bb.231:                              ;   in Loop: Header=BB390_203 Depth=1
	s_or_b64 exec, exec, s[0:1]
	v_and_b32_e32 v2, 0x7f800000, v5
	v_cmp_ne_u32_e32 vcc, s18, v2
                                        ; implicit-def: $vgpr34
	s_and_saveexec_b64 s[0:1], vcc
	s_xor_b64 s[0:1], exec, s[0:1]
; %bb.232:                              ;   in Loop: Header=BB390_203 Depth=1
	v_bfe_u32 v2, v5, 16, 1
	v_add3_u32 v34, v5, v2, s19
                                        ; implicit-def: $vgpr2_vgpr3_vgpr4_vgpr5
; %bb.233:                              ;   in Loop: Header=BB390_203 Depth=1
	s_andn2_saveexec_b64 s[0:1], s[0:1]
; %bb.234:                              ;   in Loop: Header=BB390_203 Depth=1
	v_or_b32_e32 v2, 0x10000, v5
	v_cmp_eq_u32_sdwa vcc, v5, v13 src0_sel:WORD_0 src1_sel:DWORD
	v_cndmask_b32_e32 v34, v2, v5, vcc
; %bb.235:                              ;   in Loop: Header=BB390_203 Depth=1
	s_or_b64 exec, exec, s[0:1]
	s_waitcnt vmcnt(0)
	v_mad_i64_i32 v[2:3], s[0:1], v12, s9, v[14:15]
	global_load_dwordx2 v[4:5], v[2:3], off
	v_mov_b32_e32 v6, 0
	s_waitcnt vmcnt(0)
	v_cmp_ne_u16_sdwa s[10:11], v4, v13 src0_sel:BYTE_0 src1_sel:DWORD
	s_and_saveexec_b64 s[0:1], s[10:11]
	s_cbranch_execz .LBB390_241
; %bb.236:                              ;   in Loop: Header=BB390_203 Depth=1
	v_cmp_ne_u16_sdwa s[12:13], v4, s20 src0_sel:BYTE_0 src1_sel:DWORD
	v_bfrev_b32_e32 v6, 1
	s_and_saveexec_b64 s[10:11], s[12:13]
	s_cbranch_execz .LBB390_240
; %bb.237:                              ;   in Loop: Header=BB390_203 Depth=1
	v_and_b32_e32 v7, 0x7f, v4
	v_cmp_ne_u32_e32 vcc, s21, v7
	v_mov_b32_e32 v6, 0x7f800001
	s_and_saveexec_b64 s[12:13], vcc
	s_cbranch_execz .LBB390_239
; %bb.238:                              ;   in Loop: Header=BB390_203 Depth=1
	v_and_b32_e32 v6, 7, v4
	v_ffbh_u32_e32 v6, v6
	v_min_u32_e32 v6, 32, v6
	v_lshrrev_b32_e32 v8, 3, v7
	v_subrev_u32_e32 v12, 28, v6
	v_sub_u32_e32 v6, 29, v6
	v_cmp_gt_u32_e32 vcc, 8, v7
	v_cndmask_b32_e32 v8, v8, v6, vcc
	v_cndmask_b32_e32 v6, 0, v12, vcc
	v_lshlrev_b64 v[6:7], v6, v[4:5]
	v_lshlrev_b32_e32 v6, 20, v6
	v_lshlrev_b32_e32 v7, 24, v4
	v_and_b32_e32 v6, 0x700000, v6
	v_and_b32_e32 v7, 0x80000000, v7
	v_lshl_add_u32 v8, v8, 23, v11
	v_or3_b32 v6, v7, v8, v6
.LBB390_239:                            ;   in Loop: Header=BB390_203 Depth=1
	s_or_b64 exec, exec, s[12:13]
.LBB390_240:                            ;   in Loop: Header=BB390_203 Depth=1
	s_or_b64 exec, exec, s[10:11]
.LBB390_241:                            ;   in Loop: Header=BB390_203 Depth=1
	s_or_b64 exec, exec, s[0:1]
	v_mul_f32_e32 v6, s16, v6
	v_and_b32_e32 v7, 0x7f800000, v6
	v_cmp_ne_u32_e32 vcc, s18, v7
                                        ; implicit-def: $vgpr7
	s_and_saveexec_b64 s[0:1], vcc
	s_xor_b64 s[0:1], exec, s[0:1]
; %bb.242:                              ;   in Loop: Header=BB390_203 Depth=1
	v_bfe_u32 v7, v6, 16, 1
	v_add3_u32 v7, v6, v7, s19
                                        ; implicit-def: $vgpr6
; %bb.243:                              ;   in Loop: Header=BB390_203 Depth=1
	s_andn2_saveexec_b64 s[0:1], s[0:1]
; %bb.244:                              ;   in Loop: Header=BB390_203 Depth=1
	v_or_b32_e32 v7, 0x10000, v6
	v_cmp_eq_u32_sdwa vcc, v6, v13 src0_sel:WORD_0 src1_sel:DWORD
	v_cndmask_b32_e32 v7, v7, v6, vcc
; %bb.245:                              ;   in Loop: Header=BB390_203 Depth=1
	s_or_b64 exec, exec, s[0:1]
	v_lshrrev_b16_e32 v6, 8, v4
	v_cmp_ne_u16_e32 vcc, 0, v6
	v_mov_b32_e32 v8, 0
	s_and_saveexec_b64 s[0:1], vcc
	s_cbranch_execz .LBB390_251
; %bb.246:                              ;   in Loop: Header=BB390_203 Depth=1
	v_cmp_ne_u16_e32 vcc, s20, v6
	v_bfrev_b32_e32 v8, 1
	s_and_saveexec_b64 s[10:11], vcc
	s_cbranch_execz .LBB390_250
; %bb.247:                              ;   in Loop: Header=BB390_203 Depth=1
	v_and_b32_e32 v12, 0x7f, v6
	v_cmp_ne_u32_e32 vcc, s21, v12
	v_mov_b32_e32 v8, 0x7f800001
	s_and_saveexec_b64 s[12:13], vcc
	s_cbranch_execz .LBB390_249
; %bb.248:                              ;   in Loop: Header=BB390_203 Depth=1
	v_and_b32_e32 v8, 7, v6
	v_ffbh_u32_e32 v28, v8
	v_min_u32_e32 v30, 32, v28
	v_subrev_u32_e32 v28, 28, v30
	v_lshlrev_b64 v[28:29], v28, v[6:7]
	v_lshrrev_b32_e32 v27, 3, v12
	v_sub_u32_e32 v6, 29, v30
	v_and_b32_e32 v28, 7, v28
	v_cmp_gt_u32_e32 vcc, 8, v12
	v_cndmask_b32_e32 v6, v27, v6, vcc
	v_cndmask_b32_e32 v8, v8, v28, vcc
	v_lshlrev_b32_e32 v12, 16, v4
	v_lshlrev_b32_e32 v8, 20, v8
	v_and_b32_e32 v12, 0x80000000, v12
	v_lshl_add_u32 v6, v6, 23, v11
	v_or3_b32 v8, v12, v6, v8
.LBB390_249:                            ;   in Loop: Header=BB390_203 Depth=1
	s_or_b64 exec, exec, s[12:13]
.LBB390_250:                            ;   in Loop: Header=BB390_203 Depth=1
	s_or_b64 exec, exec, s[10:11]
.LBB390_251:                            ;   in Loop: Header=BB390_203 Depth=1
	s_or_b64 exec, exec, s[0:1]
	v_mul_f32_e32 v6, s16, v8
	v_and_b32_e32 v8, 0x7f800000, v6
	v_cmp_ne_u32_e32 vcc, s18, v8
                                        ; implicit-def: $vgpr8
	s_and_saveexec_b64 s[0:1], vcc
	s_xor_b64 s[0:1], exec, s[0:1]
; %bb.252:                              ;   in Loop: Header=BB390_203 Depth=1
	v_bfe_u32 v8, v6, 16, 1
	v_add3_u32 v8, v6, v8, s19
                                        ; implicit-def: $vgpr6
; %bb.253:                              ;   in Loop: Header=BB390_203 Depth=1
	s_andn2_saveexec_b64 s[0:1], s[0:1]
; %bb.254:                              ;   in Loop: Header=BB390_203 Depth=1
	v_or_b32_e32 v8, 0x10000, v6
	v_cmp_eq_u32_sdwa vcc, v6, v13 src0_sel:WORD_0 src1_sel:DWORD
	v_cndmask_b32_e32 v8, v8, v6, vcc
; %bb.255:                              ;   in Loop: Header=BB390_203 Depth=1
	s_or_b64 exec, exec, s[0:1]
	v_lshrrev_b32_e32 v6, 16, v4
	v_cmp_ne_u16_sdwa s[10:11], v6, v13 src0_sel:BYTE_0 src1_sel:DWORD
	v_mov_b32_e32 v12, 0
	s_and_saveexec_b64 s[0:1], s[10:11]
	s_cbranch_execz .LBB390_261
; %bb.256:                              ;   in Loop: Header=BB390_203 Depth=1
	v_cmp_ne_u16_sdwa s[12:13], v6, s20 src0_sel:BYTE_0 src1_sel:DWORD
	v_bfrev_b32_e32 v12, 1
	s_and_saveexec_b64 s[10:11], s[12:13]
	s_cbranch_execz .LBB390_260
; %bb.257:                              ;   in Loop: Header=BB390_203 Depth=1
	v_bfe_u32 v27, v4, 16, 7
	v_cmp_ne_u32_e32 vcc, s21, v27
	v_mov_b32_e32 v12, 0x7f800001
	s_and_saveexec_b64 s[12:13], vcc
	s_cbranch_execz .LBB390_259
; %bb.258:                              ;   in Loop: Header=BB390_203 Depth=1
	v_and_b32_e32 v12, 7, v6
	v_ffbh_u32_e32 v28, v12
	v_min_u32_e32 v31, 32, v28
	v_subrev_u32_e32 v28, 28, v31
	v_lshlrev_b64 v[28:29], v28, v[6:7]
	v_lshrrev_b32_e32 v30, 3, v27
	v_sub_u32_e32 v29, 29, v31
	v_and_b32_e32 v28, 7, v28
	v_cmp_gt_u32_e32 vcc, 8, v27
	v_cndmask_b32_e32 v27, v30, v29, vcc
	v_cndmask_b32_e32 v12, v12, v28, vcc
	v_lshlrev_b32_e32 v6, 24, v6
	v_lshlrev_b32_e32 v12, 20, v12
	v_and_b32_e32 v6, 0x80000000, v6
	v_lshl_add_u32 v27, v27, 23, v11
	v_or3_b32 v12, v6, v27, v12
.LBB390_259:                            ;   in Loop: Header=BB390_203 Depth=1
	s_or_b64 exec, exec, s[12:13]
.LBB390_260:                            ;   in Loop: Header=BB390_203 Depth=1
	s_or_b64 exec, exec, s[10:11]
.LBB390_261:                            ;   in Loop: Header=BB390_203 Depth=1
	s_or_b64 exec, exec, s[0:1]
	v_mul_f32_e32 v6, s16, v12
	v_and_b32_e32 v12, 0x7f800000, v6
	v_cmp_ne_u32_e32 vcc, s18, v12
                                        ; implicit-def: $vgpr28
	s_and_saveexec_b64 s[0:1], vcc
	s_xor_b64 s[0:1], exec, s[0:1]
; %bb.262:                              ;   in Loop: Header=BB390_203 Depth=1
	v_bfe_u32 v12, v6, 16, 1
	v_add3_u32 v28, v6, v12, s19
                                        ; implicit-def: $vgpr6
; %bb.263:                              ;   in Loop: Header=BB390_203 Depth=1
	s_andn2_saveexec_b64 s[0:1], s[0:1]
; %bb.264:                              ;   in Loop: Header=BB390_203 Depth=1
	v_or_b32_e32 v12, 0x10000, v6
	v_cmp_eq_u32_sdwa vcc, v6, v13 src0_sel:WORD_0 src1_sel:DWORD
	v_cndmask_b32_e32 v28, v12, v6, vcc
; %bb.265:                              ;   in Loop: Header=BB390_203 Depth=1
	s_or_b64 exec, exec, s[0:1]
	v_cmp_lt_u32_e32 vcc, s5, v4
	v_mov_b32_e32 v12, 0
	s_and_saveexec_b64 s[0:1], vcc
	s_cbranch_execz .LBB390_271
; %bb.266:                              ;   in Loop: Header=BB390_203 Depth=1
	v_lshrrev_b32_e32 v6, 24, v4
	v_cmp_ne_u32_e32 vcc, s20, v6
	v_bfrev_b32_e32 v12, 1
	s_and_saveexec_b64 s[10:11], vcc
	s_cbranch_execz .LBB390_270
; %bb.267:                              ;   in Loop: Header=BB390_203 Depth=1
	v_bfe_u32 v27, v4, 24, 7
	v_cmp_ne_u32_e32 vcc, s21, v27
	v_mov_b32_e32 v12, 0x7f800001
	s_and_saveexec_b64 s[12:13], vcc
	s_cbranch_execz .LBB390_269
; %bb.268:                              ;   in Loop: Header=BB390_203 Depth=1
	v_and_b32_e32 v12, 7, v6
	v_ffbh_u32_e32 v30, v12
	v_min_u32_e32 v32, 32, v30
	v_subrev_u32_e32 v30, 28, v32
	v_lshlrev_b64 v[30:31], v30, v[6:7]
	v_lshrrev_b32_e32 v29, 3, v27
	v_sub_u32_e32 v31, 29, v32
	v_and_b32_e32 v30, 7, v30
	v_cmp_gt_u32_e32 vcc, 8, v27
	v_cndmask_b32_e32 v27, v29, v31, vcc
	v_cndmask_b32_e32 v12, v12, v30, vcc
	v_lshlrev_b32_e32 v6, 24, v6
	v_lshlrev_b32_e32 v12, 20, v12
	v_and_b32_e32 v6, 0x80000000, v6
	v_lshl_add_u32 v27, v27, 23, v11
	v_or3_b32 v12, v6, v27, v12
.LBB390_269:                            ;   in Loop: Header=BB390_203 Depth=1
	s_or_b64 exec, exec, s[12:13]
.LBB390_270:                            ;   in Loop: Header=BB390_203 Depth=1
	s_or_b64 exec, exec, s[10:11]
.LBB390_271:                            ;   in Loop: Header=BB390_203 Depth=1
	s_or_b64 exec, exec, s[0:1]
	v_mul_f32_e32 v6, s16, v12
	v_and_b32_e32 v12, 0x7f800000, v6
	v_cmp_ne_u32_e32 vcc, s18, v12
                                        ; implicit-def: $vgpr29
	s_and_saveexec_b64 s[0:1], vcc
	s_xor_b64 s[0:1], exec, s[0:1]
; %bb.272:                              ;   in Loop: Header=BB390_203 Depth=1
	v_bfe_u32 v12, v6, 16, 1
	v_add3_u32 v29, v6, v12, s19
                                        ; implicit-def: $vgpr6
; %bb.273:                              ;   in Loop: Header=BB390_203 Depth=1
	s_andn2_saveexec_b64 s[0:1], s[0:1]
; %bb.274:                              ;   in Loop: Header=BB390_203 Depth=1
	v_or_b32_e32 v12, 0x10000, v6
	v_cmp_eq_u32_sdwa vcc, v6, v13 src0_sel:WORD_0 src1_sel:DWORD
	v_cndmask_b32_e32 v29, v12, v6, vcc
; %bb.275:                              ;   in Loop: Header=BB390_203 Depth=1
	s_or_b64 exec, exec, s[0:1]
	v_mov_b32_e32 v12, v5
	v_cmp_ne_u16_sdwa s[10:11], v5, v13 src0_sel:BYTE_0 src1_sel:DWORD
	v_mov_b32_e32 v6, 0
	s_and_saveexec_b64 s[0:1], s[10:11]
	s_cbranch_execz .LBB390_281
; %bb.276:                              ;   in Loop: Header=BB390_203 Depth=1
	v_cmp_ne_u16_sdwa s[12:13], v5, s20 src0_sel:BYTE_0 src1_sel:DWORD
	v_bfrev_b32_e32 v6, 1
	s_and_saveexec_b64 s[10:11], s[12:13]
	s_cbranch_execz .LBB390_280
; %bb.277:                              ;   in Loop: Header=BB390_203 Depth=1
	v_and_b32_e32 v27, 0x7f, v5
	v_cmp_ne_u32_e32 vcc, s21, v27
	v_mov_b32_e32 v6, 0x7f800001
	s_and_saveexec_b64 s[12:13], vcc
	s_cbranch_execz .LBB390_279
; %bb.278:                              ;   in Loop: Header=BB390_203 Depth=1
	v_and_b32_e32 v6, 7, v5
	v_ffbh_u32_e32 v6, v6
	v_min_u32_e32 v6, 32, v6
	v_subrev_u32_e32 v31, 28, v6
	v_cmp_gt_u32_e32 vcc, 8, v27
	v_lshrrev_b32_e32 v30, 3, v27
	v_sub_u32_e32 v6, 29, v6
	v_cndmask_b32_e32 v27, 0, v31, vcc
	v_cndmask_b32_e32 v6, v30, v6, vcc
	v_lshlrev_b64 v[30:31], v27, v[12:13]
	v_lshlrev_b32_e32 v27, 20, v30
	v_lshlrev_b32_e32 v30, 24, v12
	v_and_b32_e32 v27, 0x700000, v27
	v_and_b32_e32 v30, 0x80000000, v30
	v_lshl_add_u32 v6, v6, 23, v11
	v_or3_b32 v6, v30, v6, v27
.LBB390_279:                            ;   in Loop: Header=BB390_203 Depth=1
	s_or_b64 exec, exec, s[12:13]
.LBB390_280:                            ;   in Loop: Header=BB390_203 Depth=1
	s_or_b64 exec, exec, s[10:11]
.LBB390_281:                            ;   in Loop: Header=BB390_203 Depth=1
	s_or_b64 exec, exec, s[0:1]
	v_mul_f32_e32 v6, s16, v6
	v_and_b32_e32 v27, 0x7f800000, v6
	v_cmp_ne_u32_e32 vcc, s18, v27
                                        ; implicit-def: $vgpr30
	s_and_saveexec_b64 s[0:1], vcc
	s_xor_b64 s[0:1], exec, s[0:1]
; %bb.282:                              ;   in Loop: Header=BB390_203 Depth=1
	v_bfe_u32 v27, v6, 16, 1
	v_add3_u32 v30, v6, v27, s19
                                        ; implicit-def: $vgpr6
; %bb.283:                              ;   in Loop: Header=BB390_203 Depth=1
	s_andn2_saveexec_b64 s[0:1], s[0:1]
; %bb.284:                              ;   in Loop: Header=BB390_203 Depth=1
	v_or_b32_e32 v27, 0x10000, v6
	v_cmp_eq_u32_sdwa vcc, v6, v13 src0_sel:WORD_0 src1_sel:DWORD
	v_cndmask_b32_e32 v30, v27, v6, vcc
; %bb.285:                              ;   in Loop: Header=BB390_203 Depth=1
	s_or_b64 exec, exec, s[0:1]
	v_lshrrev_b16_e32 v6, 8, v12
	v_cmp_ne_u16_e32 vcc, 0, v6
	v_mov_b32_e32 v27, 0
	s_and_saveexec_b64 s[0:1], vcc
	s_cbranch_execz .LBB390_291
; %bb.286:                              ;   in Loop: Header=BB390_203 Depth=1
	v_cmp_ne_u16_e32 vcc, s20, v6
	v_bfrev_b32_e32 v27, 1
	s_and_saveexec_b64 s[10:11], vcc
	s_cbranch_execz .LBB390_290
; %bb.287:                              ;   in Loop: Header=BB390_203 Depth=1
	v_and_b32_e32 v31, 0x7f, v6
	v_cmp_ne_u32_e32 vcc, s21, v31
	v_mov_b32_e32 v27, 0x7f800001
	s_and_saveexec_b64 s[12:13], vcc
	s_cbranch_execz .LBB390_289
; %bb.288:                              ;   in Loop: Header=BB390_203 Depth=1
	v_and_b32_e32 v27, 7, v6
	v_ffbh_u32_e32 v32, v27
	v_min_u32_e32 v40, 32, v32
	v_subrev_u32_e32 v32, 28, v40
	v_lshlrev_b64 v[32:33], v32, v[6:7]
	v_lshrrev_b32_e32 v39, 3, v31
	v_sub_u32_e32 v6, 29, v40
	v_and_b32_e32 v32, 7, v32
	v_cmp_gt_u32_e32 vcc, 8, v31
	v_cndmask_b32_e32 v6, v39, v6, vcc
	v_cndmask_b32_e32 v27, v27, v32, vcc
	v_lshlrev_b32_e32 v12, 16, v12
	v_lshlrev_b32_e32 v27, 20, v27
	v_and_b32_e32 v12, 0x80000000, v12
	v_lshl_add_u32 v6, v6, 23, v11
	v_or3_b32 v27, v12, v6, v27
.LBB390_289:                            ;   in Loop: Header=BB390_203 Depth=1
	s_or_b64 exec, exec, s[12:13]
.LBB390_290:                            ;   in Loop: Header=BB390_203 Depth=1
	s_or_b64 exec, exec, s[10:11]
.LBB390_291:                            ;   in Loop: Header=BB390_203 Depth=1
	s_or_b64 exec, exec, s[0:1]
	v_mul_f32_e32 v6, s16, v27
	v_and_b32_e32 v12, 0x7f800000, v6
	v_cmp_ne_u32_e32 vcc, s18, v12
                                        ; implicit-def: $vgpr12
	s_and_saveexec_b64 s[0:1], vcc
	s_xor_b64 s[0:1], exec, s[0:1]
; %bb.292:                              ;   in Loop: Header=BB390_203 Depth=1
	v_bfe_u32 v12, v6, 16, 1
	v_add3_u32 v12, v6, v12, s19
                                        ; implicit-def: $vgpr6
; %bb.293:                              ;   in Loop: Header=BB390_203 Depth=1
	s_andn2_saveexec_b64 s[0:1], s[0:1]
; %bb.294:                              ;   in Loop: Header=BB390_203 Depth=1
	v_or_b32_e32 v12, 0x10000, v6
	v_cmp_eq_u32_sdwa vcc, v6, v13 src0_sel:WORD_0 src1_sel:DWORD
	v_cndmask_b32_e32 v12, v12, v6, vcc
; %bb.295:                              ;   in Loop: Header=BB390_203 Depth=1
	s_or_b64 exec, exec, s[0:1]
	v_lshrrev_b32_e32 v6, 16, v5
	v_cmp_ne_u16_sdwa s[10:11], v6, v13 src0_sel:BYTE_0 src1_sel:DWORD
	v_mov_b32_e32 v27, 0
	s_and_saveexec_b64 s[0:1], s[10:11]
	s_cbranch_execz .LBB390_301
; %bb.296:                              ;   in Loop: Header=BB390_203 Depth=1
	v_cmp_ne_u16_sdwa s[12:13], v6, s20 src0_sel:BYTE_0 src1_sel:DWORD
	v_bfrev_b32_e32 v27, 1
	s_and_saveexec_b64 s[10:11], s[12:13]
	s_cbranch_execz .LBB390_300
; %bb.297:                              ;   in Loop: Header=BB390_203 Depth=1
	v_bfe_u32 v31, v5, 16, 7
	v_cmp_ne_u32_e32 vcc, s21, v31
	v_mov_b32_e32 v27, 0x7f800001
	s_and_saveexec_b64 s[12:13], vcc
	s_cbranch_execz .LBB390_299
; %bb.298:                              ;   in Loop: Header=BB390_203 Depth=1
	v_and_b32_e32 v27, 7, v6
	v_ffbh_u32_e32 v32, v27
	v_min_u32_e32 v40, 32, v32
	v_subrev_u32_e32 v32, 28, v40
	v_lshlrev_b64 v[32:33], v32, v[6:7]
	v_lshrrev_b32_e32 v39, 3, v31
	v_sub_u32_e32 v33, 29, v40
	v_and_b32_e32 v32, 7, v32
	v_cmp_gt_u32_e32 vcc, 8, v31
	v_cndmask_b32_e32 v31, v39, v33, vcc
	v_cndmask_b32_e32 v27, v27, v32, vcc
	v_lshlrev_b32_e32 v6, 24, v6
	v_lshlrev_b32_e32 v27, 20, v27
	v_and_b32_e32 v6, 0x80000000, v6
	v_lshl_add_u32 v31, v31, 23, v11
	v_or3_b32 v27, v6, v31, v27
.LBB390_299:                            ;   in Loop: Header=BB390_203 Depth=1
	s_or_b64 exec, exec, s[12:13]
.LBB390_300:                            ;   in Loop: Header=BB390_203 Depth=1
	s_or_b64 exec, exec, s[10:11]
.LBB390_301:                            ;   in Loop: Header=BB390_203 Depth=1
	s_or_b64 exec, exec, s[0:1]
	v_mul_f32_e32 v27, s16, v27
	v_and_b32_e32 v6, 0x7f800000, v27
	v_cmp_ne_u32_e32 vcc, s18, v6
                                        ; implicit-def: $vgpr6
	s_and_saveexec_b64 s[0:1], vcc
	s_xor_b64 s[0:1], exec, s[0:1]
; %bb.302:                              ;   in Loop: Header=BB390_203 Depth=1
	v_bfe_u32 v6, v27, 16, 1
	v_add3_u32 v6, v27, v6, s19
                                        ; implicit-def: $vgpr27
; %bb.303:                              ;   in Loop: Header=BB390_203 Depth=1
	s_andn2_saveexec_b64 s[0:1], s[0:1]
; %bb.304:                              ;   in Loop: Header=BB390_203 Depth=1
	v_or_b32_e32 v6, 0x10000, v27
	v_cmp_eq_u32_sdwa vcc, v27, v13 src0_sel:WORD_0 src1_sel:DWORD
	v_cndmask_b32_e32 v6, v6, v27, vcc
; %bb.305:                              ;   in Loop: Header=BB390_203 Depth=1
	s_or_b64 exec, exec, s[0:1]
	v_cmp_lt_u64_e32 vcc, s[4:5], v[4:5]
	v_mov_b32_e32 v27, 0
	s_and_saveexec_b64 s[0:1], vcc
	s_cbranch_execz .LBB390_311
; %bb.306:                              ;   in Loop: Header=BB390_203 Depth=1
	v_lshrrev_b32_e32 v4, 24, v5
	v_cmp_ne_u32_e32 vcc, s20, v4
	v_bfrev_b32_e32 v27, 1
	s_and_saveexec_b64 s[10:11], vcc
	s_cbranch_execz .LBB390_310
; %bb.307:                              ;   in Loop: Header=BB390_203 Depth=1
	v_bfe_u32 v5, v5, 24, 7
	v_cmp_ne_u32_e32 vcc, s21, v5
	v_mov_b32_e32 v27, 0x7f800001
	s_and_saveexec_b64 s[12:13], vcc
	s_cbranch_execz .LBB390_309
; %bb.308:                              ;   in Loop: Header=BB390_203 Depth=1
	v_and_b32_e32 v27, 7, v4
	v_ffbh_u32_e32 v32, v27
	v_min_u32_e32 v39, 32, v32
	v_subrev_u32_e32 v32, 28, v39
	v_lshlrev_b64 v[32:33], v32, v[4:5]
	v_lshrrev_b32_e32 v31, 3, v5
	v_sub_u32_e32 v33, 29, v39
	v_and_b32_e32 v32, 7, v32
	v_cmp_gt_u32_e32 vcc, 8, v5
	v_cndmask_b32_e32 v5, v31, v33, vcc
	v_cndmask_b32_e32 v27, v27, v32, vcc
	v_lshlrev_b32_e32 v4, 24, v4
	v_lshlrev_b32_e32 v27, 20, v27
	v_and_b32_e32 v4, 0x80000000, v4
	v_lshl_add_u32 v5, v5, 23, v11
	v_or3_b32 v27, v4, v5, v27
.LBB390_309:                            ;   in Loop: Header=BB390_203 Depth=1
	s_or_b64 exec, exec, s[12:13]
.LBB390_310:                            ;   in Loop: Header=BB390_203 Depth=1
	s_or_b64 exec, exec, s[10:11]
.LBB390_311:                            ;   in Loop: Header=BB390_203 Depth=1
	s_or_b64 exec, exec, s[0:1]
	v_mul_f32_e32 v5, s16, v27
	v_and_b32_e32 v4, 0x7f800000, v5
	v_cmp_ne_u32_e32 vcc, s18, v4
                                        ; implicit-def: $vgpr4
	s_and_saveexec_b64 s[0:1], vcc
	s_xor_b64 s[0:1], exec, s[0:1]
; %bb.312:                              ;   in Loop: Header=BB390_203 Depth=1
	v_bfe_u32 v4, v5, 16, 1
	v_add3_u32 v4, v5, v4, s19
                                        ; implicit-def: $vgpr5
; %bb.313:                              ;   in Loop: Header=BB390_203 Depth=1
	s_andn2_saveexec_b64 s[0:1], s[0:1]
; %bb.314:                              ;   in Loop: Header=BB390_203 Depth=1
	v_or_b32_e32 v4, 0x10000, v5
	v_cmp_eq_u32_sdwa vcc, v5, v13 src0_sel:WORD_0 src1_sel:DWORD
	v_cndmask_b32_e32 v4, v4, v5, vcc
; %bb.315:                              ;   in Loop: Header=BB390_203 Depth=1
	s_or_b64 exec, exec, s[0:1]
	v_cmp_eq_u32_e32 vcc, s17, v10
	v_add_u32_e32 v27, -7, v23
	v_lshrrev_b32_e32 v41, 16, v12
	v_lshrrev_b32_e32 v40, 16, v30
	;; [unrolled: 1-line block ×8, first 2 shown]
	v_add_u32_e32 v33, -6, v23
	v_add_u32_e32 v32, -5, v23
	;; [unrolled: 1-line block ×6, first 2 shown]
	s_and_saveexec_b64 s[10:11], vcc
	s_cbranch_execz .LBB390_317
; %bb.316:                              ;   in Loop: Header=BB390_203 Depth=1
	v_cmp_gt_i32_e64 s[0:1], s33, v27
	v_cndmask_b32_e64 v5, 0, v5, s[0:1]
	v_cmp_gt_i32_e64 s[0:1], s33, v33
	v_cndmask_b32_e64 v8, 0, v8, s[0:1]
	;; [unrolled: 2-line block ×8, first 2 shown]
.LBB390_317:                            ;   in Loop: Header=BB390_203 Depth=1
	s_or_b64 exec, exec, s[10:11]
	v_and_b32_e32 v35, 0xffff0000, v35
	v_lshlrev_b32_e32 v5, 16, v5
	v_mul_f32_e32 v6, v35, v5
	v_and_b32_e32 v5, 0x7f800000, v6
	v_cmp_ne_u32_e64 s[0:1], s18, v5
                                        ; implicit-def: $vgpr5
	s_and_saveexec_b64 s[10:11], s[0:1]
	s_xor_b64 s[0:1], exec, s[10:11]
; %bb.318:                              ;   in Loop: Header=BB390_203 Depth=1
	v_bfe_u32 v5, v6, 16, 1
	v_add3_u32 v5, v6, v5, s19
                                        ; implicit-def: $vgpr6
; %bb.319:                              ;   in Loop: Header=BB390_203 Depth=1
	s_andn2_saveexec_b64 s[10:11], s[0:1]
; %bb.320:                              ;   in Loop: Header=BB390_203 Depth=1
	v_or_b32_e32 v5, 0x10000, v6
	v_cmp_eq_u32_sdwa s[0:1], v6, v13 src0_sel:WORD_0 src1_sel:DWORD
	v_cndmask_b32_e64 v5, v5, v6, s[0:1]
; %bb.321:                              ;   in Loop: Header=BB390_203 Depth=1
	s_or_b64 exec, exec, s[10:11]
	v_and_b32_e32 v36, 0xffff0000, v36
	v_lshlrev_b32_e32 v6, 16, v8
	v_mul_f32_e32 v7, v36, v6
	v_and_b32_e32 v6, 0x7f800000, v7
	v_cmp_ne_u32_e64 s[0:1], s18, v6
                                        ; implicit-def: $vgpr6
	s_and_saveexec_b64 s[10:11], s[0:1]
	s_xor_b64 s[0:1], exec, s[10:11]
; %bb.322:                              ;   in Loop: Header=BB390_203 Depth=1
	v_bfe_u32 v6, v7, 16, 1
	v_add3_u32 v6, v7, v6, s19
                                        ; implicit-def: $vgpr7
; %bb.323:                              ;   in Loop: Header=BB390_203 Depth=1
	s_andn2_saveexec_b64 s[10:11], s[0:1]
; %bb.324:                              ;   in Loop: Header=BB390_203 Depth=1
	v_or_b32_e32 v6, 0x10000, v7
	v_cmp_eq_u32_sdwa s[0:1], v7, v13 src0_sel:WORD_0 src1_sel:DWORD
	v_cndmask_b32_e64 v6, v6, v7, s[0:1]
; %bb.325:                              ;   in Loop: Header=BB390_203 Depth=1
	s_or_b64 exec, exec, s[10:11]
	v_and_b32_e32 v37, 0xffff0000, v37
	v_lshlrev_b32_e32 v7, 16, v42
	v_mul_f32_e32 v8, v37, v7
	v_and_b32_e32 v7, 0x7f800000, v8
	v_cmp_ne_u32_e64 s[0:1], s18, v7
                                        ; implicit-def: $vgpr7
	s_and_saveexec_b64 s[10:11], s[0:1]
	s_xor_b64 s[0:1], exec, s[10:11]
; %bb.326:                              ;   in Loop: Header=BB390_203 Depth=1
	v_bfe_u32 v7, v8, 16, 1
	v_add3_u32 v7, v8, v7, s19
                                        ; implicit-def: $vgpr8
; %bb.327:                              ;   in Loop: Header=BB390_203 Depth=1
	s_andn2_saveexec_b64 s[10:11], s[0:1]
; %bb.328:                              ;   in Loop: Header=BB390_203 Depth=1
	v_or_b32_e32 v7, 0x10000, v8
	v_cmp_eq_u32_sdwa s[0:1], v8, v13 src0_sel:WORD_0 src1_sel:DWORD
	v_cndmask_b32_e64 v7, v7, v8, s[0:1]
; %bb.329:                              ;   in Loop: Header=BB390_203 Depth=1
	s_or_b64 exec, exec, s[10:11]
	v_and_b32_e32 v38, 0xffff0000, v38
	v_lshlrev_b32_e32 v8, 16, v39
	v_mul_f32_e32 v39, v38, v8
	v_and_b32_e32 v8, 0x7f800000, v39
	v_cmp_ne_u32_e64 s[0:1], s18, v8
                                        ; implicit-def: $vgpr8
	s_and_saveexec_b64 s[10:11], s[0:1]
	s_xor_b64 s[0:1], exec, s[10:11]
; %bb.330:                              ;   in Loop: Header=BB390_203 Depth=1
	v_bfe_u32 v8, v39, 16, 1
	v_add3_u32 v8, v39, v8, s19
                                        ; implicit-def: $vgpr39
; %bb.331:                              ;   in Loop: Header=BB390_203 Depth=1
	s_andn2_saveexec_b64 s[10:11], s[0:1]
; %bb.332:                              ;   in Loop: Header=BB390_203 Depth=1
	v_or_b32_e32 v8, 0x10000, v39
	v_cmp_eq_u32_sdwa s[0:1], v39, v13 src0_sel:WORD_0 src1_sel:DWORD
	v_cndmask_b32_e64 v8, v8, v39, s[0:1]
; %bb.333:                              ;   in Loop: Header=BB390_203 Depth=1
	s_or_b64 exec, exec, s[10:11]
	v_and_b32_e32 v39, 0xffff0000, v9
	v_lshlrev_b32_e32 v9, 16, v40
	v_mul_f32_e32 v40, v39, v9
	v_and_b32_e32 v9, 0x7f800000, v40
	v_cmp_ne_u32_e64 s[0:1], s18, v9
                                        ; implicit-def: $vgpr9
	s_and_saveexec_b64 s[10:11], s[0:1]
	s_xor_b64 s[0:1], exec, s[10:11]
; %bb.334:                              ;   in Loop: Header=BB390_203 Depth=1
	v_bfe_u32 v9, v40, 16, 1
	v_add3_u32 v9, v40, v9, s19
                                        ; implicit-def: $vgpr40
; %bb.335:                              ;   in Loop: Header=BB390_203 Depth=1
	s_andn2_saveexec_b64 s[10:11], s[0:1]
; %bb.336:                              ;   in Loop: Header=BB390_203 Depth=1
	v_or_b32_e32 v9, 0x10000, v40
	v_cmp_eq_u32_sdwa s[0:1], v40, v13 src0_sel:WORD_0 src1_sel:DWORD
	v_cndmask_b32_e64 v9, v9, v40, s[0:1]
; %bb.337:                              ;   in Loop: Header=BB390_203 Depth=1
	s_or_b64 exec, exec, s[10:11]
	v_and_b32_e32 v40, 0xffff0000, v25
	v_lshlrev_b32_e32 v25, 16, v41
	v_mul_f32_e32 v41, v40, v25
	v_and_b32_e32 v25, 0x7f800000, v41
	v_cmp_ne_u32_e64 s[0:1], s18, v25
                                        ; implicit-def: $vgpr25
	s_and_saveexec_b64 s[10:11], s[0:1]
	s_xor_b64 s[0:1], exec, s[10:11]
; %bb.338:                              ;   in Loop: Header=BB390_203 Depth=1
	v_bfe_u32 v25, v41, 16, 1
	v_add3_u32 v25, v41, v25, s19
                                        ; implicit-def: $vgpr41
; %bb.339:                              ;   in Loop: Header=BB390_203 Depth=1
	s_andn2_saveexec_b64 s[10:11], s[0:1]
; %bb.340:                              ;   in Loop: Header=BB390_203 Depth=1
	v_or_b32_e32 v25, 0x10000, v41
	v_cmp_eq_u32_sdwa s[0:1], v41, v13 src0_sel:WORD_0 src1_sel:DWORD
	v_cndmask_b32_e64 v25, v25, v41, s[0:1]
; %bb.341:                              ;   in Loop: Header=BB390_203 Depth=1
	s_or_b64 exec, exec, s[10:11]
	v_and_b32_e32 v41, 0xffff0000, v26
	v_lshlrev_b32_e32 v12, 16, v12
	v_mul_f32_e32 v12, v41, v12
	v_and_b32_e32 v26, 0x7f800000, v12
	v_cmp_ne_u32_e64 s[0:1], s18, v26
                                        ; implicit-def: $vgpr26
	s_and_saveexec_b64 s[10:11], s[0:1]
	s_xor_b64 s[0:1], exec, s[10:11]
; %bb.342:                              ;   in Loop: Header=BB390_203 Depth=1
	v_bfe_u32 v26, v12, 16, 1
	v_add3_u32 v26, v12, v26, s19
                                        ; implicit-def: $vgpr12
; %bb.343:                              ;   in Loop: Header=BB390_203 Depth=1
	s_andn2_saveexec_b64 s[10:11], s[0:1]
; %bb.344:                              ;   in Loop: Header=BB390_203 Depth=1
	v_or_b32_e32 v26, 0x10000, v12
	v_cmp_eq_u32_sdwa s[0:1], v12, v13 src0_sel:WORD_0 src1_sel:DWORD
	v_cndmask_b32_e64 v26, v26, v12, s[0:1]
; %bb.345:                              ;   in Loop: Header=BB390_203 Depth=1
	s_or_b64 exec, exec, s[10:11]
	v_and_b32_e32 v42, 0xffff0000, v34
	v_lshlrev_b32_e32 v4, 16, v4
	v_mul_f32_e32 v4, v42, v4
	v_and_b32_e32 v12, 0x7f800000, v4
	v_cmp_ne_u32_e64 s[0:1], s18, v12
                                        ; implicit-def: $vgpr34
	s_and_saveexec_b64 s[10:11], s[0:1]
	s_xor_b64 s[0:1], exec, s[10:11]
; %bb.346:                              ;   in Loop: Header=BB390_203 Depth=1
	v_bfe_u32 v12, v4, 16, 1
	v_add3_u32 v34, v4, v12, s19
                                        ; implicit-def: $vgpr4
; %bb.347:                              ;   in Loop: Header=BB390_203 Depth=1
	s_andn2_saveexec_b64 s[10:11], s[0:1]
; %bb.348:                              ;   in Loop: Header=BB390_203 Depth=1
	v_or_b32_e32 v12, 0x10000, v4
	v_cmp_eq_u32_sdwa s[0:1], v4, v13 src0_sel:WORD_0 src1_sel:DWORD
	v_cndmask_b32_e64 v34, v12, v4, s[0:1]
; %bb.349:                              ;   in Loop: Header=BB390_203 Depth=1
	s_or_b64 exec, exec, s[10:11]
	global_load_dwordx2 v[2:3], v[2:3], off offset:512
	v_mov_b32_e32 v4, 0
	s_waitcnt vmcnt(0)
	v_cmp_ne_u16_sdwa s[0:1], v2, v13 src0_sel:BYTE_0 src1_sel:DWORD
	s_and_saveexec_b64 s[10:11], s[0:1]
	s_cbranch_execz .LBB390_355
; %bb.350:                              ;   in Loop: Header=BB390_203 Depth=1
	v_cmp_ne_u16_sdwa s[0:1], v2, s20 src0_sel:BYTE_0 src1_sel:DWORD
	v_bfrev_b32_e32 v4, 1
	s_and_saveexec_b64 s[12:13], s[0:1]
	s_cbranch_execz .LBB390_354
; %bb.351:                              ;   in Loop: Header=BB390_203 Depth=1
	v_and_b32_e32 v12, 0x7f, v2
	v_cmp_ne_u32_e64 s[0:1], s21, v12
	v_mov_b32_e32 v4, 0x7f800001
	s_and_saveexec_b64 s[14:15], s[0:1]
	s_cbranch_execz .LBB390_353
; %bb.352:                              ;   in Loop: Header=BB390_203 Depth=1
	v_and_b32_e32 v4, 7, v2
	v_ffbh_u32_e32 v4, v4
	v_min_u32_e32 v4, 32, v4
	v_subrev_u32_e32 v44, 28, v4
	v_cmp_gt_u32_e64 s[0:1], 8, v12
	v_lshrrev_b32_e32 v43, 3, v12
	v_cndmask_b32_e64 v12, 0, v44, s[0:1]
	v_sub_u32_e32 v4, 29, v4
	v_lshlrev_b64 v[44:45], v12, v[2:3]
	v_cndmask_b32_e64 v4, v43, v4, s[0:1]
	v_lshlrev_b32_e32 v12, 20, v44
	v_lshlrev_b32_e32 v43, 24, v2
	v_and_b32_e32 v12, 0x700000, v12
	v_and_b32_e32 v43, 0x80000000, v43
	v_lshl_add_u32 v4, v4, 23, v11
	v_or3_b32 v4, v43, v4, v12
.LBB390_353:                            ;   in Loop: Header=BB390_203 Depth=1
	s_or_b64 exec, exec, s[14:15]
.LBB390_354:                            ;   in Loop: Header=BB390_203 Depth=1
	s_or_b64 exec, exec, s[12:13]
.LBB390_355:                            ;   in Loop: Header=BB390_203 Depth=1
	s_or_b64 exec, exec, s[10:11]
	v_mul_f32_e32 v4, s16, v4
	v_and_b32_e32 v12, 0x7f800000, v4
	v_cmp_ne_u32_e64 s[0:1], s18, v12
                                        ; implicit-def: $vgpr43
	s_and_saveexec_b64 s[10:11], s[0:1]
	s_xor_b64 s[0:1], exec, s[10:11]
; %bb.356:                              ;   in Loop: Header=BB390_203 Depth=1
	v_bfe_u32 v12, v4, 16, 1
	v_add3_u32 v43, v4, v12, s19
                                        ; implicit-def: $vgpr4
; %bb.357:                              ;   in Loop: Header=BB390_203 Depth=1
	s_andn2_saveexec_b64 s[10:11], s[0:1]
; %bb.358:                              ;   in Loop: Header=BB390_203 Depth=1
	v_or_b32_e32 v12, 0x10000, v4
	v_cmp_eq_u32_sdwa s[0:1], v4, v13 src0_sel:WORD_0 src1_sel:DWORD
	v_cndmask_b32_e64 v43, v12, v4, s[0:1]
; %bb.359:                              ;   in Loop: Header=BB390_203 Depth=1
	s_or_b64 exec, exec, s[10:11]
	v_lshrrev_b16_e32 v4, 8, v2
	v_cmp_ne_u16_e64 s[0:1], 0, v4
	v_mov_b32_e32 v12, 0
	s_and_saveexec_b64 s[10:11], s[0:1]
	s_cbranch_execz .LBB390_365
; %bb.360:                              ;   in Loop: Header=BB390_203 Depth=1
	v_cmp_ne_u16_e64 s[0:1], s20, v4
	v_bfrev_b32_e32 v12, 1
	s_and_saveexec_b64 s[12:13], s[0:1]
	s_cbranch_execz .LBB390_364
; %bb.361:                              ;   in Loop: Header=BB390_203 Depth=1
	v_and_b32_e32 v44, 0x7f, v4
	v_cmp_ne_u32_e64 s[0:1], s21, v44
	v_mov_b32_e32 v12, 0x7f800001
	s_and_saveexec_b64 s[14:15], s[0:1]
	s_cbranch_execz .LBB390_363
; %bb.362:                              ;   in Loop: Header=BB390_203 Depth=1
	v_and_b32_e32 v12, 7, v4
	v_ffbh_u32_e32 v46, v12
	v_min_u32_e32 v48, 32, v46
	v_subrev_u32_e32 v46, 28, v48
	v_lshlrev_b64 v[46:47], v46, v[4:5]
	v_lshrrev_b32_e32 v45, 3, v44
	v_sub_u32_e32 v4, 29, v48
	v_and_b32_e32 v46, 7, v46
	v_cmp_gt_u32_e64 s[0:1], 8, v44
	v_cndmask_b32_e64 v4, v45, v4, s[0:1]
	v_cndmask_b32_e64 v12, v12, v46, s[0:1]
	v_lshlrev_b32_e32 v44, 16, v2
	v_lshlrev_b32_e32 v12, 20, v12
	v_and_b32_e32 v44, 0x80000000, v44
	v_lshl_add_u32 v4, v4, 23, v11
	v_or3_b32 v12, v44, v4, v12
.LBB390_363:                            ;   in Loop: Header=BB390_203 Depth=1
	s_or_b64 exec, exec, s[14:15]
.LBB390_364:                            ;   in Loop: Header=BB390_203 Depth=1
	s_or_b64 exec, exec, s[12:13]
.LBB390_365:                            ;   in Loop: Header=BB390_203 Depth=1
	s_or_b64 exec, exec, s[10:11]
	v_mul_f32_e32 v4, s16, v12
	v_and_b32_e32 v12, 0x7f800000, v4
	v_cmp_ne_u32_e64 s[0:1], s18, v12
                                        ; implicit-def: $vgpr44
	s_and_saveexec_b64 s[10:11], s[0:1]
	s_xor_b64 s[0:1], exec, s[10:11]
; %bb.366:                              ;   in Loop: Header=BB390_203 Depth=1
	v_bfe_u32 v12, v4, 16, 1
	v_add3_u32 v44, v4, v12, s19
                                        ; implicit-def: $vgpr4
; %bb.367:                              ;   in Loop: Header=BB390_203 Depth=1
	s_andn2_saveexec_b64 s[10:11], s[0:1]
; %bb.368:                              ;   in Loop: Header=BB390_203 Depth=1
	v_or_b32_e32 v12, 0x10000, v4
	v_cmp_eq_u32_sdwa s[0:1], v4, v13 src0_sel:WORD_0 src1_sel:DWORD
	v_cndmask_b32_e64 v44, v12, v4, s[0:1]
; %bb.369:                              ;   in Loop: Header=BB390_203 Depth=1
	s_or_b64 exec, exec, s[10:11]
	v_lshrrev_b32_e32 v4, 16, v2
	v_cmp_ne_u16_sdwa s[0:1], v4, v13 src0_sel:BYTE_0 src1_sel:DWORD
	v_mov_b32_e32 v12, 0
	s_and_saveexec_b64 s[10:11], s[0:1]
	s_cbranch_execz .LBB390_375
; %bb.370:                              ;   in Loop: Header=BB390_203 Depth=1
	v_cmp_ne_u16_sdwa s[0:1], v4, s20 src0_sel:BYTE_0 src1_sel:DWORD
	v_bfrev_b32_e32 v12, 1
	s_and_saveexec_b64 s[12:13], s[0:1]
	s_cbranch_execz .LBB390_374
; %bb.371:                              ;   in Loop: Header=BB390_203 Depth=1
	v_bfe_u32 v45, v2, 16, 7
	v_cmp_ne_u32_e64 s[0:1], s21, v45
	v_mov_b32_e32 v12, 0x7f800001
	s_and_saveexec_b64 s[14:15], s[0:1]
	s_cbranch_execz .LBB390_373
; %bb.372:                              ;   in Loop: Header=BB390_203 Depth=1
	v_and_b32_e32 v12, 7, v4
	v_ffbh_u32_e32 v46, v12
	v_min_u32_e32 v49, 32, v46
	v_subrev_u32_e32 v46, 28, v49
	v_lshlrev_b64 v[46:47], v46, v[4:5]
	v_lshrrev_b32_e32 v48, 3, v45
	v_sub_u32_e32 v47, 29, v49
	v_and_b32_e32 v46, 7, v46
	v_cmp_gt_u32_e64 s[0:1], 8, v45
	v_cndmask_b32_e64 v45, v48, v47, s[0:1]
	v_cndmask_b32_e64 v12, v12, v46, s[0:1]
	v_lshlrev_b32_e32 v4, 24, v4
	v_lshlrev_b32_e32 v12, 20, v12
	v_and_b32_e32 v4, 0x80000000, v4
	v_lshl_add_u32 v45, v45, 23, v11
	v_or3_b32 v12, v4, v45, v12
.LBB390_373:                            ;   in Loop: Header=BB390_203 Depth=1
	s_or_b64 exec, exec, s[14:15]
.LBB390_374:                            ;   in Loop: Header=BB390_203 Depth=1
	s_or_b64 exec, exec, s[12:13]
.LBB390_375:                            ;   in Loop: Header=BB390_203 Depth=1
	s_or_b64 exec, exec, s[10:11]
	v_mul_f32_e32 v4, s16, v12
	v_and_b32_e32 v12, 0x7f800000, v4
	v_cmp_ne_u32_e64 s[0:1], s18, v12
                                        ; implicit-def: $vgpr45
	s_and_saveexec_b64 s[10:11], s[0:1]
	s_xor_b64 s[0:1], exec, s[10:11]
; %bb.376:                              ;   in Loop: Header=BB390_203 Depth=1
	v_bfe_u32 v12, v4, 16, 1
	v_add3_u32 v45, v4, v12, s19
                                        ; implicit-def: $vgpr4
; %bb.377:                              ;   in Loop: Header=BB390_203 Depth=1
	s_andn2_saveexec_b64 s[10:11], s[0:1]
; %bb.378:                              ;   in Loop: Header=BB390_203 Depth=1
	v_or_b32_e32 v12, 0x10000, v4
	v_cmp_eq_u32_sdwa s[0:1], v4, v13 src0_sel:WORD_0 src1_sel:DWORD
	v_cndmask_b32_e64 v45, v12, v4, s[0:1]
; %bb.379:                              ;   in Loop: Header=BB390_203 Depth=1
	s_or_b64 exec, exec, s[10:11]
	v_cmp_lt_u32_e64 s[0:1], s5, v2
	v_mov_b32_e32 v12, 0
	s_and_saveexec_b64 s[10:11], s[0:1]
	s_cbranch_execz .LBB390_385
; %bb.380:                              ;   in Loop: Header=BB390_203 Depth=1
	v_lshrrev_b32_e32 v4, 24, v2
	v_cmp_ne_u32_e64 s[0:1], s20, v4
	v_bfrev_b32_e32 v12, 1
	s_and_saveexec_b64 s[12:13], s[0:1]
	s_cbranch_execz .LBB390_384
; %bb.381:                              ;   in Loop: Header=BB390_203 Depth=1
	v_bfe_u32 v46, v2, 24, 7
	v_cmp_ne_u32_e64 s[0:1], s21, v46
	v_mov_b32_e32 v12, 0x7f800001
	s_and_saveexec_b64 s[14:15], s[0:1]
	s_cbranch_execz .LBB390_383
; %bb.382:                              ;   in Loop: Header=BB390_203 Depth=1
	v_and_b32_e32 v12, 7, v4
	v_ffbh_u32_e32 v48, v12
	v_min_u32_e32 v50, 32, v48
	v_subrev_u32_e32 v48, 28, v50
	v_lshlrev_b64 v[48:49], v48, v[4:5]
	v_lshrrev_b32_e32 v47, 3, v46
	v_sub_u32_e32 v49, 29, v50
	v_and_b32_e32 v48, 7, v48
	v_cmp_gt_u32_e64 s[0:1], 8, v46
	v_cndmask_b32_e64 v46, v47, v49, s[0:1]
	v_cndmask_b32_e64 v12, v12, v48, s[0:1]
	v_lshlrev_b32_e32 v4, 24, v4
	v_lshlrev_b32_e32 v12, 20, v12
	v_and_b32_e32 v4, 0x80000000, v4
	v_lshl_add_u32 v46, v46, 23, v11
	v_or3_b32 v12, v4, v46, v12
.LBB390_383:                            ;   in Loop: Header=BB390_203 Depth=1
	s_or_b64 exec, exec, s[14:15]
.LBB390_384:                            ;   in Loop: Header=BB390_203 Depth=1
	s_or_b64 exec, exec, s[12:13]
.LBB390_385:                            ;   in Loop: Header=BB390_203 Depth=1
	s_or_b64 exec, exec, s[10:11]
	v_mul_f32_e32 v4, s16, v12
	v_and_b32_e32 v12, 0x7f800000, v4
	v_cmp_ne_u32_e64 s[0:1], s18, v12
                                        ; implicit-def: $vgpr46
	s_and_saveexec_b64 s[10:11], s[0:1]
	s_xor_b64 s[0:1], exec, s[10:11]
; %bb.386:                              ;   in Loop: Header=BB390_203 Depth=1
	v_bfe_u32 v12, v4, 16, 1
	v_add3_u32 v46, v4, v12, s19
                                        ; implicit-def: $vgpr4
; %bb.387:                              ;   in Loop: Header=BB390_203 Depth=1
	s_andn2_saveexec_b64 s[10:11], s[0:1]
; %bb.388:                              ;   in Loop: Header=BB390_203 Depth=1
	v_or_b32_e32 v12, 0x10000, v4
	v_cmp_eq_u32_sdwa s[0:1], v4, v13 src0_sel:WORD_0 src1_sel:DWORD
	v_cndmask_b32_e64 v46, v12, v4, s[0:1]
; %bb.389:                              ;   in Loop: Header=BB390_203 Depth=1
	s_or_b64 exec, exec, s[10:11]
	v_mov_b32_e32 v12, v3
	v_cmp_ne_u16_sdwa s[0:1], v3, v13 src0_sel:BYTE_0 src1_sel:DWORD
	v_mov_b32_e32 v4, 0
	s_and_saveexec_b64 s[10:11], s[0:1]
	s_cbranch_execz .LBB390_395
; %bb.390:                              ;   in Loop: Header=BB390_203 Depth=1
	v_cmp_ne_u16_sdwa s[0:1], v3, s20 src0_sel:BYTE_0 src1_sel:DWORD
	v_bfrev_b32_e32 v4, 1
	s_and_saveexec_b64 s[12:13], s[0:1]
	s_cbranch_execz .LBB390_394
; %bb.391:                              ;   in Loop: Header=BB390_203 Depth=1
	v_and_b32_e32 v47, 0x7f, v3
	v_cmp_ne_u32_e64 s[0:1], s21, v47
	v_mov_b32_e32 v4, 0x7f800001
	s_and_saveexec_b64 s[14:15], s[0:1]
	s_cbranch_execz .LBB390_393
; %bb.392:                              ;   in Loop: Header=BB390_203 Depth=1
	v_and_b32_e32 v4, 7, v3
	v_ffbh_u32_e32 v4, v4
	v_min_u32_e32 v4, 32, v4
	v_subrev_u32_e32 v49, 28, v4
	v_cmp_gt_u32_e64 s[0:1], 8, v47
	v_lshrrev_b32_e32 v48, 3, v47
	v_sub_u32_e32 v4, 29, v4
	v_cndmask_b32_e64 v47, 0, v49, s[0:1]
	v_cndmask_b32_e64 v4, v48, v4, s[0:1]
	v_lshlrev_b64 v[48:49], v47, v[12:13]
	v_lshlrev_b32_e32 v47, 20, v48
	v_lshlrev_b32_e32 v48, 24, v12
	v_and_b32_e32 v47, 0x700000, v47
	v_and_b32_e32 v48, 0x80000000, v48
	v_lshl_add_u32 v4, v4, 23, v11
	v_or3_b32 v4, v48, v4, v47
.LBB390_393:                            ;   in Loop: Header=BB390_203 Depth=1
	s_or_b64 exec, exec, s[14:15]
.LBB390_394:                            ;   in Loop: Header=BB390_203 Depth=1
	s_or_b64 exec, exec, s[12:13]
.LBB390_395:                            ;   in Loop: Header=BB390_203 Depth=1
	s_or_b64 exec, exec, s[10:11]
	v_mul_f32_e32 v4, s16, v4
	v_and_b32_e32 v47, 0x7f800000, v4
	v_cmp_ne_u32_e64 s[0:1], s18, v47
                                        ; implicit-def: $vgpr47
	s_and_saveexec_b64 s[10:11], s[0:1]
	s_xor_b64 s[0:1], exec, s[10:11]
; %bb.396:                              ;   in Loop: Header=BB390_203 Depth=1
	v_bfe_u32 v47, v4, 16, 1
	v_add3_u32 v47, v4, v47, s19
                                        ; implicit-def: $vgpr4
; %bb.397:                              ;   in Loop: Header=BB390_203 Depth=1
	s_andn2_saveexec_b64 s[10:11], s[0:1]
; %bb.398:                              ;   in Loop: Header=BB390_203 Depth=1
	v_or_b32_e32 v47, 0x10000, v4
	v_cmp_eq_u32_sdwa s[0:1], v4, v13 src0_sel:WORD_0 src1_sel:DWORD
	v_cndmask_b32_e64 v47, v47, v4, s[0:1]
; %bb.399:                              ;   in Loop: Header=BB390_203 Depth=1
	s_or_b64 exec, exec, s[10:11]
	v_lshrrev_b16_e32 v4, 8, v12
	v_cmp_ne_u16_e64 s[0:1], 0, v4
	v_mov_b32_e32 v48, 0
	s_and_saveexec_b64 s[10:11], s[0:1]
	s_cbranch_execz .LBB390_405
; %bb.400:                              ;   in Loop: Header=BB390_203 Depth=1
	v_cmp_ne_u16_e64 s[0:1], s20, v4
	v_bfrev_b32_e32 v48, 1
	s_and_saveexec_b64 s[12:13], s[0:1]
	s_cbranch_execz .LBB390_404
; %bb.401:                              ;   in Loop: Header=BB390_203 Depth=1
	v_and_b32_e32 v49, 0x7f, v4
	v_cmp_ne_u32_e64 s[0:1], s21, v49
	v_mov_b32_e32 v48, 0x7f800001
	s_and_saveexec_b64 s[14:15], s[0:1]
	s_cbranch_execz .LBB390_403
; %bb.402:                              ;   in Loop: Header=BB390_203 Depth=1
	v_and_b32_e32 v48, 7, v4
	v_ffbh_u32_e32 v50, v48
	v_min_u32_e32 v53, 32, v50
	v_subrev_u32_e32 v50, 28, v53
	v_lshlrev_b64 v[50:51], v50, v[4:5]
	v_lshrrev_b32_e32 v52, 3, v49
	v_sub_u32_e32 v4, 29, v53
	v_and_b32_e32 v50, 7, v50
	v_cmp_gt_u32_e64 s[0:1], 8, v49
	v_cndmask_b32_e64 v4, v52, v4, s[0:1]
	v_cndmask_b32_e64 v48, v48, v50, s[0:1]
	v_lshlrev_b32_e32 v12, 16, v12
	v_lshlrev_b32_e32 v48, 20, v48
	v_and_b32_e32 v12, 0x80000000, v12
	v_lshl_add_u32 v4, v4, 23, v11
	v_or3_b32 v48, v12, v4, v48
.LBB390_403:                            ;   in Loop: Header=BB390_203 Depth=1
	s_or_b64 exec, exec, s[14:15]
.LBB390_404:                            ;   in Loop: Header=BB390_203 Depth=1
	s_or_b64 exec, exec, s[12:13]
.LBB390_405:                            ;   in Loop: Header=BB390_203 Depth=1
	s_or_b64 exec, exec, s[10:11]
	v_mul_f32_e32 v4, s16, v48
	v_and_b32_e32 v12, 0x7f800000, v4
	v_cmp_ne_u32_e64 s[0:1], s18, v12
                                        ; implicit-def: $vgpr12
	s_and_saveexec_b64 s[10:11], s[0:1]
	s_xor_b64 s[0:1], exec, s[10:11]
; %bb.406:                              ;   in Loop: Header=BB390_203 Depth=1
	v_bfe_u32 v12, v4, 16, 1
	v_add3_u32 v12, v4, v12, s19
                                        ; implicit-def: $vgpr4
; %bb.407:                              ;   in Loop: Header=BB390_203 Depth=1
	s_andn2_saveexec_b64 s[10:11], s[0:1]
; %bb.408:                              ;   in Loop: Header=BB390_203 Depth=1
	v_or_b32_e32 v12, 0x10000, v4
	v_cmp_eq_u32_sdwa s[0:1], v4, v13 src0_sel:WORD_0 src1_sel:DWORD
	v_cndmask_b32_e64 v12, v12, v4, s[0:1]
; %bb.409:                              ;   in Loop: Header=BB390_203 Depth=1
	s_or_b64 exec, exec, s[10:11]
	v_lshrrev_b32_e32 v4, 16, v3
	v_cmp_ne_u16_sdwa s[0:1], v4, v13 src0_sel:BYTE_0 src1_sel:DWORD
	v_mov_b32_e32 v48, 0
	s_and_saveexec_b64 s[10:11], s[0:1]
	s_cbranch_execz .LBB390_415
; %bb.410:                              ;   in Loop: Header=BB390_203 Depth=1
	v_cmp_ne_u16_sdwa s[0:1], v4, s20 src0_sel:BYTE_0 src1_sel:DWORD
	v_bfrev_b32_e32 v48, 1
	s_and_saveexec_b64 s[12:13], s[0:1]
	s_cbranch_execz .LBB390_414
; %bb.411:                              ;   in Loop: Header=BB390_203 Depth=1
	v_bfe_u32 v49, v3, 16, 7
	v_cmp_ne_u32_e64 s[0:1], s21, v49
	v_mov_b32_e32 v48, 0x7f800001
	s_and_saveexec_b64 s[14:15], s[0:1]
	s_cbranch_execz .LBB390_413
; %bb.412:                              ;   in Loop: Header=BB390_203 Depth=1
	v_and_b32_e32 v48, 7, v4
	v_ffbh_u32_e32 v50, v48
	v_min_u32_e32 v53, 32, v50
	v_subrev_u32_e32 v50, 28, v53
	v_lshlrev_b64 v[50:51], v50, v[4:5]
	v_lshrrev_b32_e32 v52, 3, v49
	v_sub_u32_e32 v51, 29, v53
	v_and_b32_e32 v50, 7, v50
	v_cmp_gt_u32_e64 s[0:1], 8, v49
	v_cndmask_b32_e64 v49, v52, v51, s[0:1]
	v_cndmask_b32_e64 v48, v48, v50, s[0:1]
	v_lshlrev_b32_e32 v4, 24, v4
	v_lshlrev_b32_e32 v48, 20, v48
	v_and_b32_e32 v4, 0x80000000, v4
	v_lshl_add_u32 v49, v49, 23, v11
	v_or3_b32 v48, v4, v49, v48
.LBB390_413:                            ;   in Loop: Header=BB390_203 Depth=1
	s_or_b64 exec, exec, s[14:15]
.LBB390_414:                            ;   in Loop: Header=BB390_203 Depth=1
	s_or_b64 exec, exec, s[12:13]
.LBB390_415:                            ;   in Loop: Header=BB390_203 Depth=1
	s_or_b64 exec, exec, s[10:11]
	v_mul_f32_e32 v48, s16, v48
	v_and_b32_e32 v4, 0x7f800000, v48
	v_cmp_ne_u32_e64 s[0:1], s18, v4
                                        ; implicit-def: $vgpr4
	s_and_saveexec_b64 s[10:11], s[0:1]
	s_xor_b64 s[0:1], exec, s[10:11]
; %bb.416:                              ;   in Loop: Header=BB390_203 Depth=1
	v_bfe_u32 v4, v48, 16, 1
	v_add3_u32 v4, v48, v4, s19
                                        ; implicit-def: $vgpr48
; %bb.417:                              ;   in Loop: Header=BB390_203 Depth=1
	s_andn2_saveexec_b64 s[10:11], s[0:1]
; %bb.418:                              ;   in Loop: Header=BB390_203 Depth=1
	v_or_b32_e32 v4, 0x10000, v48
	v_cmp_eq_u32_sdwa s[0:1], v48, v13 src0_sel:WORD_0 src1_sel:DWORD
	v_cndmask_b32_e64 v4, v4, v48, s[0:1]
; %bb.419:                              ;   in Loop: Header=BB390_203 Depth=1
	s_or_b64 exec, exec, s[10:11]
	v_cmp_lt_u64_e64 s[0:1], s[4:5], v[2:3]
	v_mov_b32_e32 v48, 0
	s_and_saveexec_b64 s[10:11], s[0:1]
	s_cbranch_execz .LBB390_425
; %bb.420:                              ;   in Loop: Header=BB390_203 Depth=1
	v_lshrrev_b32_e32 v2, 24, v3
	v_cmp_ne_u32_e64 s[0:1], s20, v2
	v_bfrev_b32_e32 v48, 1
	s_and_saveexec_b64 s[12:13], s[0:1]
	s_cbranch_execz .LBB390_424
; %bb.421:                              ;   in Loop: Header=BB390_203 Depth=1
	v_bfe_u32 v3, v3, 24, 7
	v_cmp_ne_u32_e64 s[0:1], s21, v3
	v_mov_b32_e32 v48, 0x7f800001
	s_and_saveexec_b64 s[14:15], s[0:1]
	s_cbranch_execz .LBB390_423
; %bb.422:                              ;   in Loop: Header=BB390_203 Depth=1
	v_and_b32_e32 v50, 7, v2
	v_ffbh_u32_e32 v48, v50
	v_min_u32_e32 v52, 32, v48
	v_subrev_u32_e32 v48, 28, v52
	v_lshlrev_b64 v[48:49], v48, v[2:3]
	v_lshrrev_b32_e32 v51, 3, v3
	v_sub_u32_e32 v49, 29, v52
	v_and_b32_e32 v48, 7, v48
	v_cmp_gt_u32_e64 s[0:1], 8, v3
	v_cndmask_b32_e64 v3, v51, v49, s[0:1]
	v_cndmask_b32_e64 v48, v50, v48, s[0:1]
	v_lshlrev_b32_e32 v2, 24, v2
	v_lshlrev_b32_e32 v48, 20, v48
	v_and_b32_e32 v2, 0x80000000, v2
	v_lshl_add_u32 v3, v3, 23, v11
	v_or3_b32 v48, v2, v3, v48
.LBB390_423:                            ;   in Loop: Header=BB390_203 Depth=1
	s_or_b64 exec, exec, s[14:15]
.LBB390_424:                            ;   in Loop: Header=BB390_203 Depth=1
	s_or_b64 exec, exec, s[12:13]
.LBB390_425:                            ;   in Loop: Header=BB390_203 Depth=1
	s_or_b64 exec, exec, s[10:11]
	v_mul_f32_e32 v2, s16, v48
	v_and_b32_e32 v3, 0x7f800000, v2
	v_cmp_ne_u32_e64 s[0:1], s18, v3
                                        ; implicit-def: $vgpr3
	s_and_saveexec_b64 s[10:11], s[0:1]
	s_xor_b64 s[0:1], exec, s[10:11]
; %bb.426:                              ;   in Loop: Header=BB390_203 Depth=1
	v_bfe_u32 v3, v2, 16, 1
	v_add3_u32 v3, v2, v3, s19
                                        ; implicit-def: $vgpr2
; %bb.427:                              ;   in Loop: Header=BB390_203 Depth=1
	s_andn2_saveexec_b64 s[10:11], s[0:1]
; %bb.428:                              ;   in Loop: Header=BB390_203 Depth=1
	v_or_b32_e32 v3, 0x10000, v2
	v_cmp_eq_u32_sdwa s[0:1], v2, v13 src0_sel:WORD_0 src1_sel:DWORD
	v_cndmask_b32_e64 v3, v3, v2, s[0:1]
; %bb.429:                              ;   in Loop: Header=BB390_203 Depth=1
	s_or_b64 exec, exec, s[10:11]
	v_lshrrev_b32_e32 v48, 16, v12
	v_lshrrev_b32_e32 v47, 16, v47
	;; [unrolled: 1-line block ×8, first 2 shown]
	s_and_saveexec_b64 s[0:1], vcc
	s_cbranch_execz .LBB390_431
; %bb.430:                              ;   in Loop: Header=BB390_203 Depth=1
	v_cmp_gt_i32_e32 vcc, s33, v27
	v_cndmask_b32_e32 v2, 0, v2, vcc
	v_cmp_gt_i32_e32 vcc, s33, v33
	v_cndmask_b32_e32 v44, 0, v44, vcc
	;; [unrolled: 2-line block ×8, first 2 shown]
.LBB390_431:                            ;   in Loop: Header=BB390_203 Depth=1
	s_or_b64 exec, exec, s[0:1]
	v_lshlrev_b32_e32 v2, 16, v2
	v_mul_f32_e32 v4, v35, v2
	v_and_b32_e32 v2, 0x7f800000, v4
	v_cmp_ne_u32_e32 vcc, s18, v2
                                        ; implicit-def: $vgpr2
	s_and_saveexec_b64 s[0:1], vcc
	s_xor_b64 s[0:1], exec, s[0:1]
; %bb.432:                              ;   in Loop: Header=BB390_203 Depth=1
	v_bfe_u32 v2, v4, 16, 1
	v_add3_u32 v2, v4, v2, s19
                                        ; implicit-def: $vgpr4
; %bb.433:                              ;   in Loop: Header=BB390_203 Depth=1
	s_andn2_saveexec_b64 s[0:1], s[0:1]
; %bb.434:                              ;   in Loop: Header=BB390_203 Depth=1
	v_or_b32_e32 v2, 0x10000, v4
	v_cmp_eq_u32_sdwa vcc, v4, v13 src0_sel:WORD_0 src1_sel:DWORD
	v_cndmask_b32_e32 v2, v2, v4, vcc
; %bb.435:                              ;   in Loop: Header=BB390_203 Depth=1
	s_or_b64 exec, exec, s[0:1]
	v_lshlrev_b32_e32 v4, 16, v44
	v_mul_f32_e32 v27, v36, v4
	v_and_b32_e32 v4, 0x7f800000, v27
	v_cmp_ne_u32_e32 vcc, s18, v4
                                        ; implicit-def: $vgpr4
	s_and_saveexec_b64 s[0:1], vcc
	s_xor_b64 s[0:1], exec, s[0:1]
; %bb.436:                              ;   in Loop: Header=BB390_203 Depth=1
	v_bfe_u32 v4, v27, 16, 1
	v_add3_u32 v4, v27, v4, s19
                                        ; implicit-def: $vgpr27
; %bb.437:                              ;   in Loop: Header=BB390_203 Depth=1
	s_andn2_saveexec_b64 s[0:1], s[0:1]
; %bb.438:                              ;   in Loop: Header=BB390_203 Depth=1
	v_or_b32_e32 v4, 0x10000, v27
	v_cmp_eq_u32_sdwa vcc, v27, v13 src0_sel:WORD_0 src1_sel:DWORD
	v_cndmask_b32_e32 v4, v4, v27, vcc
; %bb.439:                              ;   in Loop: Header=BB390_203 Depth=1
	s_or_b64 exec, exec, s[0:1]
	v_lshlrev_b32_e32 v27, 16, v45
	v_mul_f32_e32 v28, v37, v27
	v_and_b32_e32 v27, 0x7f800000, v28
	v_cmp_ne_u32_e32 vcc, s18, v27
                                        ; implicit-def: $vgpr27
	s_and_saveexec_b64 s[0:1], vcc
	s_xor_b64 s[0:1], exec, s[0:1]
; %bb.440:                              ;   in Loop: Header=BB390_203 Depth=1
	v_bfe_u32 v27, v28, 16, 1
	v_add3_u32 v27, v28, v27, s19
                                        ; implicit-def: $vgpr28
; %bb.441:                              ;   in Loop: Header=BB390_203 Depth=1
	s_andn2_saveexec_b64 s[0:1], s[0:1]
; %bb.442:                              ;   in Loop: Header=BB390_203 Depth=1
	v_or_b32_e32 v27, 0x10000, v28
	v_cmp_eq_u32_sdwa vcc, v28, v13 src0_sel:WORD_0 src1_sel:DWORD
	v_cndmask_b32_e32 v27, v27, v28, vcc
; %bb.443:                              ;   in Loop: Header=BB390_203 Depth=1
	s_or_b64 exec, exec, s[0:1]
	v_lshlrev_b32_e32 v28, 16, v46
	v_mul_f32_e32 v29, v38, v28
	v_and_b32_e32 v28, 0x7f800000, v29
	v_cmp_ne_u32_e32 vcc, s18, v28
                                        ; implicit-def: $vgpr28
	s_and_saveexec_b64 s[0:1], vcc
	s_xor_b64 s[0:1], exec, s[0:1]
; %bb.444:                              ;   in Loop: Header=BB390_203 Depth=1
	v_bfe_u32 v28, v29, 16, 1
	v_add3_u32 v28, v29, v28, s19
                                        ; implicit-def: $vgpr29
; %bb.445:                              ;   in Loop: Header=BB390_203 Depth=1
	s_andn2_saveexec_b64 s[0:1], s[0:1]
; %bb.446:                              ;   in Loop: Header=BB390_203 Depth=1
	v_or_b32_e32 v28, 0x10000, v29
	v_cmp_eq_u32_sdwa vcc, v29, v13 src0_sel:WORD_0 src1_sel:DWORD
	v_cndmask_b32_e32 v28, v28, v29, vcc
; %bb.447:                              ;   in Loop: Header=BB390_203 Depth=1
	s_or_b64 exec, exec, s[0:1]
	v_lshlrev_b32_e32 v29, 16, v47
	v_mul_f32_e32 v30, v39, v29
	v_and_b32_e32 v29, 0x7f800000, v30
	v_cmp_ne_u32_e32 vcc, s18, v29
                                        ; implicit-def: $vgpr29
	s_and_saveexec_b64 s[0:1], vcc
	s_xor_b64 s[0:1], exec, s[0:1]
; %bb.448:                              ;   in Loop: Header=BB390_203 Depth=1
	v_bfe_u32 v29, v30, 16, 1
	v_add3_u32 v29, v30, v29, s19
                                        ; implicit-def: $vgpr30
; %bb.449:                              ;   in Loop: Header=BB390_203 Depth=1
	s_andn2_saveexec_b64 s[0:1], s[0:1]
; %bb.450:                              ;   in Loop: Header=BB390_203 Depth=1
	v_or_b32_e32 v29, 0x10000, v30
	v_cmp_eq_u32_sdwa vcc, v30, v13 src0_sel:WORD_0 src1_sel:DWORD
	v_cndmask_b32_e32 v29, v29, v30, vcc
; %bb.451:                              ;   in Loop: Header=BB390_203 Depth=1
	s_or_b64 exec, exec, s[0:1]
	v_lshlrev_b32_e32 v30, 16, v48
	v_mul_f32_e32 v31, v40, v30
	v_and_b32_e32 v30, 0x7f800000, v31
	v_cmp_ne_u32_e32 vcc, s18, v30
                                        ; implicit-def: $vgpr30
	s_and_saveexec_b64 s[0:1], vcc
	s_xor_b64 s[0:1], exec, s[0:1]
; %bb.452:                              ;   in Loop: Header=BB390_203 Depth=1
	v_bfe_u32 v30, v31, 16, 1
	v_add3_u32 v30, v31, v30, s19
                                        ; implicit-def: $vgpr31
; %bb.453:                              ;   in Loop: Header=BB390_203 Depth=1
	s_andn2_saveexec_b64 s[0:1], s[0:1]
; %bb.454:                              ;   in Loop: Header=BB390_203 Depth=1
	v_or_b32_e32 v30, 0x10000, v31
	v_cmp_eq_u32_sdwa vcc, v31, v13 src0_sel:WORD_0 src1_sel:DWORD
	v_cndmask_b32_e32 v30, v30, v31, vcc
; %bb.455:                              ;   in Loop: Header=BB390_203 Depth=1
	s_or_b64 exec, exec, s[0:1]
	v_lshlrev_b32_e32 v12, 16, v12
	v_mul_f32_e32 v31, v41, v12
	v_and_b32_e32 v12, 0x7f800000, v31
	v_cmp_ne_u32_e32 vcc, s18, v12
                                        ; implicit-def: $vgpr12
	s_and_saveexec_b64 s[0:1], vcc
	s_xor_b64 s[0:1], exec, s[0:1]
; %bb.456:                              ;   in Loop: Header=BB390_203 Depth=1
	v_bfe_u32 v12, v31, 16, 1
	v_add3_u32 v12, v31, v12, s19
                                        ; implicit-def: $vgpr31
; %bb.457:                              ;   in Loop: Header=BB390_203 Depth=1
	s_andn2_saveexec_b64 s[0:1], s[0:1]
; %bb.458:                              ;   in Loop: Header=BB390_203 Depth=1
	v_or_b32_e32 v12, 0x10000, v31
	v_cmp_eq_u32_sdwa vcc, v31, v13 src0_sel:WORD_0 src1_sel:DWORD
	v_cndmask_b32_e32 v12, v12, v31, vcc
; %bb.459:                              ;   in Loop: Header=BB390_203 Depth=1
	s_or_b64 exec, exec, s[0:1]
	v_lshlrev_b32_e32 v3, 16, v3
	v_mul_f32_e32 v31, v42, v3
	v_and_b32_e32 v3, 0x7f800000, v31
	v_cmp_ne_u32_e32 vcc, s18, v3
                                        ; implicit-def: $vgpr3
	s_and_saveexec_b64 s[0:1], vcc
	s_xor_b64 s[0:1], exec, s[0:1]
; %bb.460:                              ;   in Loop: Header=BB390_203 Depth=1
	v_bfe_u32 v3, v31, 16, 1
	v_add3_u32 v3, v31, v3, s19
                                        ; implicit-def: $vgpr31
; %bb.461:                              ;   in Loop: Header=BB390_203 Depth=1
	s_andn2_saveexec_b64 s[0:1], s[0:1]
	s_cbranch_execz .LBB390_202
; %bb.462:                              ;   in Loop: Header=BB390_203 Depth=1
	v_or_b32_e32 v3, 0x10000, v31
	v_cmp_eq_u32_sdwa vcc, v31, v13 src0_sel:WORD_0 src1_sel:DWORD
	v_cndmask_b32_e32 v3, v3, v31, vcc
	s_branch .LBB390_202
.LBB390_463:
	s_or_b64 exec, exec, s[6:7]
.LBB390_464:
	s_or_b64 exec, exec, s[2:3]
	ds_bpermute_b32 v2, v20, v16
	ds_bpermute_b32 v3, v20, v17
	v_and_b32_e32 v6, 0x3c3, v0
	v_cmp_eq_u32_e32 vcc, 64, v6
	s_waitcnt lgkmcnt(0)
	s_barrier
	v_pk_add_f32 v[2:3], v[16:17], v[2:3]
	ds_bpermute_b32 v4, v21, v2
	ds_bpermute_b32 v5, v21, v3
	s_waitcnt lgkmcnt(0)
	v_pk_add_f32 v[2:3], v[2:3], v[4:5]
	s_and_saveexec_b64 s[0:1], vcc
	s_cbranch_execz .LBB390_466
; %bb.465:
	v_add_u32_e32 v1, 0x50, v1
	v_add_u32_e32 v4, 0x50, v0
	ds_write_b32 v1, v2
	ds_write_b32 v4, v3
.LBB390_466:
	s_or_b64 exec, exec, s[0:1]
	v_cmp_gt_u32_e32 vcc, 64, v0
	s_waitcnt lgkmcnt(0)
	s_barrier
	s_and_saveexec_b64 s[2:3], vcc
	s_cbranch_execz .LBB390_472
; %bb.467:
	v_cmp_eq_u32_e64 s[0:1], 0, v22
	v_lshrrev_b32_e32 v1, 2, v0
	s_and_saveexec_b64 s[4:5], s[0:1]
	s_cbranch_execz .LBB390_469
; %bb.468:
	v_mov_b32_e32 v4, 0x50
	v_lshl_add_u32 v4, v1, 2, v4
	ds_read_b32 v4, v4
	s_waitcnt lgkmcnt(0)
	v_add_f32_e32 v2, v2, v4
.LBB390_469:
	s_or_b64 exec, exec, s[4:5]
	s_and_saveexec_b64 s[4:5], s[0:1]
	s_cbranch_execz .LBB390_471
; %bb.470:
	v_mov_b32_e32 v4, 0x50
	v_lshl_add_u32 v1, v1, 2, v4
	ds_read_b32 v1, v1 offset:64
	s_waitcnt lgkmcnt(0)
	v_add_f32_e32 v3, v3, v1
.LBB390_471:
	s_or_b64 exec, exec, s[4:5]
.LBB390_472:
	s_or_b64 exec, exec, s[2:3]
	s_barrier
	s_and_saveexec_b64 s[0:1], vcc
	s_cbranch_execz .LBB390_483
; %bb.473:
	v_cmp_eq_u32_e32 vcc, 0, v22
	s_and_b64 exec, exec, vcc
	s_cbranch_execz .LBB390_483
; %bb.474:
	s_mov_b32 s0, 0x7f800000
	v_and_b32_e32 v1, 0x7f800000, v2
	v_cmp_ne_u32_e32 vcc, s0, v1
                                        ; implicit-def: $vgpr4
	s_and_saveexec_b64 s[0:1], vcc
	s_xor_b64 s[0:1], exec, s[0:1]
; %bb.475:
	v_bfe_u32 v1, v2, 16, 1
	s_movk_i32 s2, 0x7fff
	v_add3_u32 v4, v2, v1, s2
; %bb.476:
	s_andn2_saveexec_b64 s[0:1], s[0:1]
; %bb.477:
	v_mov_b32_e32 v1, 0
	v_or_b32_e32 v4, 0x10000, v2
	v_cmp_eq_u32_sdwa vcc, v2, v1 src0_sel:WORD_0 src1_sel:DWORD
	v_cndmask_b32_e32 v4, v4, v2, vcc
; %bb.478:
	s_or_b64 exec, exec, s[0:1]
	s_mul_i32 s0, s27, s24
	s_mul_i32 s0, s0, s25
	s_lshl_b32 s0, s0, 5
	s_ashr_i32 s1, s0, 31
	s_lshl_b64 s[0:1], s[0:1], 1
	s_add_u32 s2, s28, s0
	s_mul_i32 s0, s27, s26
	s_addc_u32 s3, s29, s1
	s_ashr_i32 s1, s0, 31
	s_lshl_b64 s[0:1], s[0:1], 1
	s_add_u32 s2, s2, s0
	s_addc_u32 s3, s3, s1
	s_lshl_b32 s0, s8, 5
	s_ashr_i32 s1, s0, 31
	s_lshl_b64 s[0:1], s[0:1], 1
	s_add_u32 s0, s2, s0
	v_lshrrev_b32_e32 v0, 1, v0
	s_addc_u32 s1, s3, s1
	v_and_b32_e32 v2, 0x1fe, v0
	v_mov_b32_e32 v1, s1
	v_add_co_u32_e32 v0, vcc, s0, v2
	v_addc_co_u32_e32 v1, vcc, 0, v1, vcc
	global_store_short_d16_hi v2, v4, s[0:1]
	s_mov_b32 s0, 0x7f800000
	v_and_b32_e32 v2, 0x7f800000, v3
	v_cmp_ne_u32_e32 vcc, s0, v2
                                        ; implicit-def: $vgpr4
	s_and_saveexec_b64 s[0:1], vcc
	s_xor_b64 s[0:1], exec, s[0:1]
; %bb.479:
	v_bfe_u32 v2, v3, 16, 1
	s_movk_i32 s2, 0x7fff
	v_add3_u32 v4, v3, v2, s2
                                        ; implicit-def: $vgpr2_vgpr3
; %bb.480:
	s_andn2_saveexec_b64 s[0:1], s[0:1]
; %bb.481:
	v_mov_b32_e32 v2, 0
	v_or_b32_e32 v4, 0x10000, v3
	v_cmp_eq_u32_sdwa vcc, v3, v2 src0_sel:WORD_0 src1_sel:DWORD
	v_cndmask_b32_e32 v4, v4, v3, vcc
; %bb.482:
	s_or_b64 exec, exec, s[0:1]
	global_store_short_d16_hi v[0:1], v4, off offset:32
.LBB390_483:
	s_endpgm
	.section	.rodata,"a",@progbits
	.p2align	6, 0x0
	.amdhsa_kernel _ZN4vllm25paged_attention_v2_kernelI14__hip_bfloat16hLi32ELi32ELi128ELNS_18Fp8KVCacheDataTypeE1ELb0ELi512EEEvPfS3_PT_PKS4_PKT0_SA_ifPKiSC_iPKfiiiSE_SE_iiiii
		.amdhsa_group_segment_fixed_size 80
		.amdhsa_private_segment_fixed_size 0
		.amdhsa_kernarg_size 400
		.amdhsa_user_sgpr_count 6
		.amdhsa_user_sgpr_private_segment_buffer 1
		.amdhsa_user_sgpr_dispatch_ptr 0
		.amdhsa_user_sgpr_queue_ptr 0
		.amdhsa_user_sgpr_kernarg_segment_ptr 1
		.amdhsa_user_sgpr_dispatch_id 0
		.amdhsa_user_sgpr_flat_scratch_init 0
		.amdhsa_user_sgpr_kernarg_preload_length 0
		.amdhsa_user_sgpr_kernarg_preload_offset 0
		.amdhsa_user_sgpr_private_segment_size 0
		.amdhsa_uses_dynamic_stack 0
		.amdhsa_system_sgpr_private_segment_wavefront_offset 0
		.amdhsa_system_sgpr_workgroup_id_x 1
		.amdhsa_system_sgpr_workgroup_id_y 1
		.amdhsa_system_sgpr_workgroup_id_z 1
		.amdhsa_system_sgpr_workgroup_info 0
		.amdhsa_system_vgpr_workitem_id 0
		.amdhsa_next_free_vgpr 57
		.amdhsa_next_free_sgpr 54
		.amdhsa_accum_offset 60
		.amdhsa_reserve_vcc 1
		.amdhsa_reserve_flat_scratch 0
		.amdhsa_float_round_mode_32 0
		.amdhsa_float_round_mode_16_64 0
		.amdhsa_float_denorm_mode_32 3
		.amdhsa_float_denorm_mode_16_64 3
		.amdhsa_dx10_clamp 1
		.amdhsa_ieee_mode 1
		.amdhsa_fp16_overflow 0
		.amdhsa_tg_split 0
		.amdhsa_exception_fp_ieee_invalid_op 0
		.amdhsa_exception_fp_denorm_src 0
		.amdhsa_exception_fp_ieee_div_zero 0
		.amdhsa_exception_fp_ieee_overflow 0
		.amdhsa_exception_fp_ieee_underflow 0
		.amdhsa_exception_fp_ieee_inexact 0
		.amdhsa_exception_int_div_zero 0
	.end_amdhsa_kernel
	.section	.text._ZN4vllm25paged_attention_v2_kernelI14__hip_bfloat16hLi32ELi32ELi128ELNS_18Fp8KVCacheDataTypeE1ELb0ELi512EEEvPfS3_PT_PKS4_PKT0_SA_ifPKiSC_iPKfiiiSE_SE_iiiii,"axG",@progbits,_ZN4vllm25paged_attention_v2_kernelI14__hip_bfloat16hLi32ELi32ELi128ELNS_18Fp8KVCacheDataTypeE1ELb0ELi512EEEvPfS3_PT_PKS4_PKT0_SA_ifPKiSC_iPKfiiiSE_SE_iiiii,comdat
.Lfunc_end390:
	.size	_ZN4vllm25paged_attention_v2_kernelI14__hip_bfloat16hLi32ELi32ELi128ELNS_18Fp8KVCacheDataTypeE1ELb0ELi512EEEvPfS3_PT_PKS4_PKT0_SA_ifPKiSC_iPKfiiiSE_SE_iiiii, .Lfunc_end390-_ZN4vllm25paged_attention_v2_kernelI14__hip_bfloat16hLi32ELi32ELi128ELNS_18Fp8KVCacheDataTypeE1ELb0ELi512EEEvPfS3_PT_PKS4_PKT0_SA_ifPKiSC_iPKfiiiSE_SE_iiiii
                                        ; -- End function
	.section	.AMDGPU.csdata,"",@progbits
; Kernel info:
; codeLenInByte = 14104
; NumSgprs: 58
; NumVgprs: 57
; NumAgprs: 0
; TotalNumVgprs: 57
; ScratchSize: 0
; MemoryBound: 0
; FloatMode: 240
; IeeeMode: 1
; LDSByteSize: 80 bytes/workgroup (compile time only)
; SGPRBlocks: 7
; VGPRBlocks: 7
; NumSGPRsForWavesPerEU: 58
; NumVGPRsForWavesPerEU: 57
; AccumOffset: 60
; Occupancy: 8
; WaveLimiterHint : 1
; COMPUTE_PGM_RSRC2:SCRATCH_EN: 0
; COMPUTE_PGM_RSRC2:USER_SGPR: 6
; COMPUTE_PGM_RSRC2:TRAP_HANDLER: 0
; COMPUTE_PGM_RSRC2:TGID_X_EN: 1
; COMPUTE_PGM_RSRC2:TGID_Y_EN: 1
; COMPUTE_PGM_RSRC2:TGID_Z_EN: 1
; COMPUTE_PGM_RSRC2:TIDIG_COMP_CNT: 0
; COMPUTE_PGM_RSRC3_GFX90A:ACCUM_OFFSET: 14
; COMPUTE_PGM_RSRC3_GFX90A:TG_SPLIT: 0
	.text
	.p2align	2                               ; -- Begin function _ZN4vllm22paged_attention_kernelI14__hip_bfloat16hLi64ELi32ELi128ELNS_18Fp8KVCacheDataTypeE1ELb0ELi512EEEvPfS3_PT_PKS4_PKT0_SA_ifPKiSC_iPKfiiiSE_SE_iiiii
	.type	_ZN4vllm22paged_attention_kernelI14__hip_bfloat16hLi64ELi32ELi128ELNS_18Fp8KVCacheDataTypeE1ELb0ELi512EEEvPfS3_PT_PKS4_PKT0_SA_ifPKiSC_iPKfiiiSE_SE_iiiii,@function
_ZN4vllm22paged_attention_kernelI14__hip_bfloat16hLi64ELi32ELi128ELNS_18Fp8KVCacheDataTypeE1ELb0ELi512EEEvPfS3_PT_PKS4_PKT0_SA_ifPKiSC_iPKfiiiSE_SE_iiiii: ; @_ZN4vllm22paged_attention_kernelI14__hip_bfloat16hLi64ELi32ELi128ELNS_18Fp8KVCacheDataTypeE1ELb0ELi512EEEvPfS3_PT_PKS4_PKT0_SA_ifPKiSC_iPKfiiiSE_SE_iiiii
; %bb.0:
	s_waitcnt vmcnt(0) expcnt(0) lgkmcnt(0)
	s_or_saveexec_b64 s[4:5], -1
	buffer_store_dword v63, off, s[0:3], s32 offset:140 ; 4-byte Folded Spill
	s_mov_b64 exec, s[4:5]
	buffer_store_dword v40, off, s[0:3], s32 offset:136 ; 4-byte Folded Spill
	buffer_store_dword v41, off, s[0:3], s32 offset:132 ; 4-byte Folded Spill
	;; [unrolled: 1-line block ×34, first 2 shown]
	buffer_store_dword a51, off, s[0:3], s32 ; 4-byte Folded Spill
	v_writelane_b32 v63, s34, 0
	v_writelane_b32 v63, s35, 1
	;; [unrolled: 1-line block ×9, first 2 shown]
	s_mov_b32 s18, s13
	s_ashr_i32 s19, s13, 31
	s_lshl_b64 s[4:5], s[18:19], 2
	v_mov_b32_e32 v35, v1
	v_mov_b32_e32 v36, v0
	;; [unrolled: 1-line block ×3, first 2 shown]
	v_add_co_u32_e32 v0, vcc, s4, v16
	v_addc_co_u32_e32 v1, vcc, v17, v1, vcc
	flat_load_dword v32, v[0:1]
	s_lshl_b32 s36, s14, 9
	v_accvgpr_write_b32 a4, v22
	v_mov_b32_e32 v29, v20
	v_mov_b32_e32 v28, v19
	;; [unrolled: 1-line block ×8, first 2 shown]
	s_waitcnt vmcnt(0) lgkmcnt(0)
	v_cmp_lt_i32_e32 vcc, s36, v32
	s_and_saveexec_b64 s[16:17], vcc
	s_cbranch_execz .LBB391_880
; %bb.1:
	v_sub_u32_e32 v0, 0, v12
	v_max_i32_e32 v0, v12, v0
	v_cvt_f32_u32_e32 v1, v0
	s_load_dword s4, s[8:9], 0x10
	s_load_dword s6, s[8:9], 0x0
	v_sub_u32_e32 v3, 0, v0
	s_mov_b32 s20, s15
	v_rcp_iflag_f32_e32 v1, v1
	s_waitcnt lgkmcnt(0)
	s_lshr_b32 s4, s4, 16
	s_cmp_lg_u32 s4, 0
	s_cselect_b64 s[4:5], -1, 0
	v_mul_f32_e32 v1, 0x4f7ffffe, v1
	v_cvt_u32_f32_e32 v1, v1
	s_cmp_lg_u64 s[4:5], 0
	s_addc_u32 s19, s6, 0
	s_abs_i32 s4, s19
	v_mul_lo_u32 v3, v3, v1
	v_mul_hi_u32 v3, v1, v3
	v_add_u32_e32 v1, v1, v3
	v_mul_hi_u32 v1, s4, v1
	v_mul_lo_u32 v3, v1, v0
	v_sub_u32_e32 v3, s4, v3
	v_add_u32_e32 v4, 1, v1
	v_cmp_ge_u32_e32 vcc, v3, v0
	v_cndmask_b32_e32 v1, v1, v4, vcc
	v_sub_u32_e32 v4, v3, v0
	v_cndmask_b32_e32 v3, v3, v4, vcc
	v_xor_b32_e32 v2, s19, v12
	v_add_u32_e32 v4, 1, v1
	v_cmp_ge_u32_e32 vcc, v3, v0
	v_ashrrev_i32_e32 v2, 31, v2
	v_cndmask_b32_e32 v0, v1, v4, vcc
	v_xor_b32_e32 v0, v0, v2
	v_sub_u32_e32 v0, v0, v2
	v_sub_u32_e32 v1, 0, v0
	v_max_i32_e32 v1, v0, v1
	v_cvt_f32_u32_e32 v2, v1
	v_sub_u32_e32 v3, 0, v1
	s_abs_i32 s6, s12
	v_cmp_ne_u64_e32 vcc, 0, v[28:29]
	v_rcp_iflag_f32_e32 v2, v2
	v_mov_b32_e32 v38, 0
	v_mul_f32_e32 v2, 0x4f7ffffe, v2
	v_cvt_u32_f32_e32 v2, v2
	v_mul_lo_u32 v3, v3, v2
	v_mul_hi_u32 v3, v2, v3
	v_add_u32_e32 v2, v2, v3
	v_mad_u64_u32 v[16:17], s[4:5], s6, v2, 0
	s_and_saveexec_b64 s[4:5], vcc
	s_cbranch_execz .LBB391_3
; %bb.2:
	s_ashr_i32 s13, s12, 31
	s_lshl_b64 s[10:11], s[12:13], 2
	v_mov_b32_e32 v3, s11
	v_add_co_u32_e32 v2, vcc, s10, v28
	v_addc_co_u32_e32 v3, vcc, v29, v3, vcc
	flat_load_dword v38, v[2:3]
.LBB391_3:
	s_or_b64 exec, exec, s[4:5]
	v_and_b32_e32 v30, 0x3ff, v31
	s_ashr_i32 s7, s12, 31
	v_ashrrev_i32_e32 v2, 31, v0
	v_and_b32_e32 v0, 1, v30
	s_lshl_b32 s22, s12, 6
	v_cmp_gt_u32_e32 vcc, 16, v30
	v_lshlrev_b32_e32 v31, 3, v30
	s_and_saveexec_b64 s[4:5], vcc
	s_cbranch_execz .LBB391_5
; %bb.4:
	v_mul_lo_u32 v4, s18, v21
	v_ashrrev_i32_e32 v5, 31, v4
	v_lshlrev_b64 v[4:5], 1, v[4:5]
	v_add_co_u32_e32 v3, vcc, v6, v4
	s_ashr_i32 s23, s22, 31
	v_addc_co_u32_e32 v4, vcc, v7, v5, vcc
	s_lshl_b64 s[10:11], s[22:23], 1
	v_mov_b32_e32 v5, s11
	v_add_co_u32_e32 v3, vcc, s10, v3
	v_addc_co_u32_e32 v5, vcc, v4, v5, vcc
	v_add_co_u32_e32 v4, vcc, v3, v31
	v_addc_co_u32_e32 v5, vcc, 0, v5, vcc
	flat_load_dwordx2 v[4:5], v[4:5]
	v_lshlrev_b32_e32 v3, 2, v30
	v_and_b32_e32 v3, 0xff8, v3
	v_lshl_add_u32 v3, v0, 6, v3
	s_waitcnt vmcnt(0) lgkmcnt(0)
	ds_write_b64 v3, v[4:5]
.LBB391_5:
	s_or_b64 exec, exec, s[4:5]
	v_add_u32_e32 v3, 31, v32
	v_ashrrev_i32_e32 v4, 31, v3
	v_lshrrev_b32_e32 v4, 27, v4
	v_add_u32_e32 v3, v3, v4
	v_ashrrev_i32_e32 v49, 5, v3
	v_mul_lo_u32 v3, v17, v1
	v_sub_u32_e32 v3, s6, v3
	v_add_u32_e32 v4, 1, v17
	v_cmp_ge_u32_e32 vcc, v3, v1
	v_sub_u32_e32 v5, v3, v1
	v_cndmask_b32_e32 v4, v17, v4, vcc
	v_cndmask_b32_e32 v3, v3, v5, vcc
	s_lshl_b32 s15, s14, 4
	v_add_u32_e32 v5, 1, v4
	v_cmp_ge_u32_e32 vcc, v3, v1
	s_add_i32 s4, s15, 16
	v_lshrrev_b32_e32 v28, 6, v30
	v_xor_b32_e32 v2, s7, v2
	v_cndmask_b32_e32 v1, v4, v5, vcc
	v_min_i32_e32 v10, s4, v49
	v_xor_b32_e32 v1, v1, v2
	v_mul_lo_u32 v6, s18, v18
	v_or_b32_e32 v16, s15, v28
	v_sub_u32_e32 v2, v1, v2
	v_ashrrev_i32_e32 v7, 31, v6
	v_cmp_lt_i32_e64 s[4:5], v16, v10
	v_accvgpr_write_b32 a3, v10
	v_cmp_ge_i32_e32 vcc, v16, v10
	v_mbcnt_lo_u32_b32 v1, -1, 0
	s_waitcnt lgkmcnt(0)
	s_barrier
	s_waitcnt lgkmcnt(0)
                                        ; implicit-def: $sgpr21
                                        ; implicit-def: $vgpr39
                                        ; implicit-def: $vgpr10
	s_and_saveexec_b64 s[6:7], vcc
	s_xor_b64 s[6:7], exec, s[6:7]
; %bb.6:
	v_mbcnt_hi_u32_b32 v39, -1, v1
	v_and_b32_e32 v0, 64, v39
	v_add_u32_e32 v10, 64, v0
	s_mov_b32 s21, 0xff7fffff
                                        ; implicit-def: $vgpr38
                                        ; implicit-def: $vgpr13
                                        ; implicit-def: $vgpr24
                                        ; implicit-def: $vgpr8
                                        ; implicit-def: $vgpr9
                                        ; implicit-def: $vgpr0
                                        ; implicit-def: $vgpr1
; %bb.7:
	s_or_saveexec_b64 s[10:11], s[6:7]
	s_load_dword s23, s[8:9], 0x14
	s_load_dword s13, s[8:9], 0x8
	v_mul_lo_u32 v50, v2, v23
	v_lshlrev_b64 v[2:3], 2, v[6:7]
	v_accvgpr_write_b32 a19, v3
	v_mov_b32_e32 v11, s21
	v_ashrrev_i32_e32 v17, 31, v16
	v_ashrrev_i32_e32 v51, 31, v50
	v_accvgpr_write_b32 a18, v2
	s_xor_b64 exec, exec, s[10:11]
	s_cbranch_execz .LBB391_333
; %bb.8:
	v_bfe_u32 v11, v30, 1, 5
	v_add_co_u32_e32 v2, vcc, v8, v50
	v_addc_co_u32_e32 v3, vcc, v9, v51, vcc
	v_lshlrev_b32_e32 v4, 4, v11
	v_add_co_u32_e32 v8, vcc, v2, v4
	v_lshlrev_b32_e32 v6, 6, v0
	v_addc_co_u32_e32 v9, vcc, 0, v3, vcc
	ds_read_b128 v[2:5], v6
	v_accvgpr_write_b32 a8, v26
	v_accvgpr_write_b32 a17, v49
	;; [unrolled: 1-line block ×5, first 2 shown]
	ds_read_b128 v[18:21], v6 offset:16
	v_accvgpr_write_b32 a20, v50
	v_accvgpr_write_b32 a21, v51
	v_mov_b32_e32 v12, v28
	ds_read_b128 v[26:29], v6 offset:32
	ds_read_b128 v[48:51], v6 offset:48
	s_waitcnt lgkmcnt(0)
	v_lshlrev_b32_e32 v6, 16, v2
	v_and_b32_e32 v2, 0xffff0000, v2
	v_accvgpr_write_b32 a25, v2
	v_lshlrev_b32_e32 v2, 16, v3
	v_accvgpr_write_b32 a26, v2
	v_and_b32_e32 v2, 0xffff0000, v3
	v_accvgpr_write_b32 a27, v2
	v_lshlrev_b32_e32 v2, 16, v4
	v_accvgpr_write_b32 a28, v2
	;; [unrolled: 4-line block ×12, first 2 shown]
	v_and_b32_e32 v2, 0xffff0000, v48
	v_accvgpr_write_b32 a49, v2
	v_lshlrev_b32_e32 v2, 16, v49
	v_mbcnt_hi_u32_b32 v39, -1, v1
	s_ashr_i32 s21, s20, 31
	v_accvgpr_write_b32 a50, v2
	v_and_b32_e32 v2, 64, v39
	s_lshl_b64 s[8:9], s[20:21], 2
	v_xor_b32_e32 v1, 1, v39
	v_add_u32_e32 v2, 64, v2
	s_getpc_b64 s[24:25]
	s_add_u32 s24, s24, llvm.amdgcn.dynlds.offset.table@rel32@lo+4
	s_addc_u32 s25, s25, llvm.amdgcn.dynlds.offset.table@rel32@hi+12
	v_accvgpr_write_b32 a22, v2
	v_cmp_lt_i32_e32 vcc, v1, v2
	s_add_u32 s24, s8, s24
	v_lshlrev_b64 v[2:3], 2, v[16:17]
	v_accvgpr_read_b32 v4, a18
	v_lshlrev_b32_e32 v10, 2, v0
	v_cndmask_b32_e32 v1, v39, v1, vcc
	v_cmp_eq_u32_e32 vcc, 0, v0
	s_addc_u32 s25, s9, s25
	v_accvgpr_read_b32 v5, a19
	v_add_co_u32_e64 v0, s[8:9], v4, v2
	v_addc_co_u32_e64 v2, s[8:9], v5, v3, s[8:9]
	v_add_co_u32_e64 v18, s[8:9], v14, v0
	v_sub_u32_e32 v0, 1, v32
	v_accvgpr_write_b32 a51, v0
	v_lshlrev_b32_e32 v0, 5, v12
	v_add3_u32 v3, s36, v0, v11
	v_lshlrev_b32_e32 v0, 2, v11
	v_accvgpr_write_b32 a15, v31
	v_accvgpr_write_b32 a13, v37
	;; [unrolled: 1-line block ×8, first 2 shown]
	v_mov_b32_e32 v23, 0
	v_accvgpr_write_b32 a24, v10
	v_accvgpr_write_b32 a23, v6
	v_and_b32_e32 v6, 0xffff0000, v49
	v_lshlrev_b32_e32 v7, 16, v50
	v_and_b32_e32 v36, 0xffff0000, v50
	v_lshlrev_b32_e32 v34, 16, v51
	v_and_b32_e32 v10, 0xffff0000, v51
	v_lshlrev_b32_e32 v1, 2, v1
	s_waitcnt vmcnt(0)
	v_cmp_neq_f32_e64 s[6:7], 0, v38
	v_accvgpr_write_b32 a6, v14
	v_accvgpr_write_b32 a5, v15
	v_addc_co_u32_e64 v19, s[8:9], v15, v2, s[8:9]
	v_accvgpr_write_b32 a16, v12
	v_lshl_or_b32 v2, v12, 7, v0
	s_mov_b64 s[26:27], 0
	v_mov_b32_e32 v11, 0xff7fffff
	s_movk_i32 s21, 0x80
	s_movk_i32 s37, 0x7f
	s_mov_b32 s38, 0x7f800000
	s_movk_i32 s39, 0x7fff
	s_mov_b32 s40, 0xffffff
	v_bfrev_b32_e32 v29, 60
	v_mov_b32_e32 v0, v16
	s_branch .LBB391_10
.LBB391_9:                              ;   in Loop: Header=BB391_10 Depth=1
	s_or_b64 exec, exec, s[28:29]
	v_add_co_u32_e64 v18, s[8:9], 8, v18
	v_add_u32_e32 v0, 2, v0
	v_addc_co_u32_e64 v19, s[8:9], 0, v19, s[8:9]
	v_accvgpr_read_b32 v4, a3
	v_cmp_ge_i32_e64 s[8:9], v0, v4
	v_add_u32_e32 v3, 64, v3
	s_or_b64 s[26:27], s[8:9], s[26:27]
	v_add_u32_e32 v2, 0x100, v2
	s_andn2_b64 exec, exec, s[26:27]
	s_cbranch_execz .LBB391_332
.LBB391_10:                             ; =>This Inner Loop Header: Depth=1
	flat_load_dword v4, v[18:19]
	v_accvgpr_read_b32 v12, a4
	s_waitcnt vmcnt(0) lgkmcnt(0)
	v_mad_i64_i32 v[14:15], s[8:9], v4, v12, v[8:9]
	v_accvgpr_read_b32 v4, a24
	v_add_co_u32_e64 v20, s[8:9], v14, v4
	v_addc_co_u32_e64 v21, s[8:9], 0, v15, s[8:9]
	flat_load_dword v28, v[20:21]
	flat_load_dword v15, v[24:25]
	v_mov_b32_e32 v12, 0
	s_waitcnt vmcnt(0) lgkmcnt(0)
	v_cmp_ne_u16_sdwa s[8:9], v28, v23 src0_sel:BYTE_0 src1_sel:DWORD
	s_and_saveexec_b64 s[28:29], s[8:9]
	s_cbranch_execz .LBB391_16
; %bb.11:                               ;   in Loop: Header=BB391_10 Depth=1
	v_cmp_ne_u16_sdwa s[8:9], v28, s21 src0_sel:BYTE_0 src1_sel:DWORD
	v_bfrev_b32_e32 v12, 1
	s_and_saveexec_b64 s[30:31], s[8:9]
	s_cbranch_execz .LBB391_15
; %bb.12:                               ;   in Loop: Header=BB391_10 Depth=1
	v_and_b32_e32 v14, 0x7f, v28
	v_cmp_ne_u32_e64 s[8:9], s37, v14
	v_mov_b32_e32 v12, 0x7f800001
	s_and_saveexec_b64 s[34:35], s[8:9]
	s_cbranch_execz .LBB391_14
; %bb.13:                               ;   in Loop: Header=BB391_10 Depth=1
	v_and_b32_e32 v4, 7, v28
	v_ffbh_u32_e32 v12, v4
	v_min_u32_e32 v12, 32, v12
	v_subrev_u32_e32 v22, 28, v12
	v_lshlrev_b64 v[26:27], v22, v[28:29]
	v_lshrrev_b32_e32 v5, 3, v14
	v_sub_u32_e32 v12, 29, v12
	v_and_b32_e32 v22, 7, v26
	v_cmp_gt_u32_e64 s[8:9], 8, v14
	v_cndmask_b32_e64 v5, v5, v12, s[8:9]
	v_cndmask_b32_e64 v4, v4, v22, s[8:9]
	v_lshlrev_b32_e32 v12, 24, v28
	v_lshlrev_b32_e32 v4, 20, v4
	v_and_b32_e32 v12, 0x80000000, v12
	v_lshl_add_u32 v5, v5, 23, v29
	v_or3_b32 v12, v12, v5, v4
.LBB391_14:                             ;   in Loop: Header=BB391_10 Depth=1
	s_or_b64 exec, exec, s[34:35]
.LBB391_15:                             ;   in Loop: Header=BB391_10 Depth=1
	s_or_b64 exec, exec, s[30:31]
.LBB391_16:                             ;   in Loop: Header=BB391_10 Depth=1
	s_or_b64 exec, exec, s[28:29]
	v_mul_f32_e32 v12, v15, v12
	v_and_b32_e32 v4, 0x7f800000, v12
	v_cmp_ne_u32_e64 s[8:9], s38, v4
                                        ; implicit-def: $vgpr14
	s_and_saveexec_b64 s[28:29], s[8:9]
	s_xor_b64 s[8:9], exec, s[28:29]
; %bb.17:                               ;   in Loop: Header=BB391_10 Depth=1
	v_bfe_u32 v4, v12, 16, 1
	v_add3_u32 v14, v12, v4, s39
                                        ; implicit-def: $vgpr12
; %bb.18:                               ;   in Loop: Header=BB391_10 Depth=1
	s_andn2_saveexec_b64 s[28:29], s[8:9]
; %bb.19:                               ;   in Loop: Header=BB391_10 Depth=1
	v_or_b32_e32 v4, 0x10000, v12
	v_cmp_eq_u32_sdwa s[8:9], v12, v23 src0_sel:WORD_0 src1_sel:DWORD
	v_cndmask_b32_e64 v14, v4, v12, s[8:9]
; %bb.20:                               ;   in Loop: Header=BB391_10 Depth=1
	s_or_b64 exec, exec, s[28:29]
	v_lshrrev_b16_e32 v30, 8, v28
	v_cmp_ne_u16_e64 s[8:9], 0, v30
	v_mov_b32_e32 v12, 0
	s_and_saveexec_b64 s[28:29], s[8:9]
	s_cbranch_execz .LBB391_26
; %bb.21:                               ;   in Loop: Header=BB391_10 Depth=1
	v_cmp_ne_u16_e64 s[8:9], s21, v30
	v_bfrev_b32_e32 v12, 1
	s_and_saveexec_b64 s[30:31], s[8:9]
	s_cbranch_execz .LBB391_25
; %bb.22:                               ;   in Loop: Header=BB391_10 Depth=1
	v_and_b32_e32 v22, 0x7f, v30
	v_cmp_ne_u32_e64 s[8:9], s37, v22
	v_mov_b32_e32 v12, 0x7f800001
	s_and_saveexec_b64 s[34:35], s[8:9]
	s_cbranch_execz .LBB391_24
; %bb.23:                               ;   in Loop: Header=BB391_10 Depth=1
	v_and_b32_e32 v4, 7, v30
	v_ffbh_u32_e32 v12, v4
	v_min_u32_e32 v12, 32, v12
	v_subrev_u32_e32 v26, 28, v12
	v_lshlrev_b64 v[26:27], v26, v[30:31]
	v_lshrrev_b32_e32 v5, 3, v22
	v_sub_u32_e32 v12, 29, v12
	v_and_b32_e32 v26, 7, v26
	v_cmp_gt_u32_e64 s[8:9], 8, v22
	v_cndmask_b32_e64 v5, v5, v12, s[8:9]
	v_cndmask_b32_e64 v4, v4, v26, s[8:9]
	v_lshlrev_b32_e32 v12, 16, v28
	v_lshlrev_b32_e32 v4, 20, v4
	v_and_b32_e32 v12, 0x80000000, v12
	v_lshl_add_u32 v5, v5, 23, v29
	v_or3_b32 v12, v12, v5, v4
.LBB391_24:                             ;   in Loop: Header=BB391_10 Depth=1
	s_or_b64 exec, exec, s[34:35]
.LBB391_25:                             ;   in Loop: Header=BB391_10 Depth=1
	s_or_b64 exec, exec, s[30:31]
.LBB391_26:                             ;   in Loop: Header=BB391_10 Depth=1
	s_or_b64 exec, exec, s[28:29]
	v_mul_f32_e32 v12, v15, v12
	v_and_b32_e32 v4, 0x7f800000, v12
	v_cmp_ne_u32_e64 s[8:9], s38, v4
                                        ; implicit-def: $vgpr31
	s_and_saveexec_b64 s[28:29], s[8:9]
	s_xor_b64 s[8:9], exec, s[28:29]
; %bb.27:                               ;   in Loop: Header=BB391_10 Depth=1
	v_bfe_u32 v4, v12, 16, 1
	v_add3_u32 v31, v12, v4, s39
                                        ; implicit-def: $vgpr12
; %bb.28:                               ;   in Loop: Header=BB391_10 Depth=1
	s_andn2_saveexec_b64 s[28:29], s[8:9]
; %bb.29:                               ;   in Loop: Header=BB391_10 Depth=1
	v_or_b32_e32 v4, 0x10000, v12
	v_cmp_eq_u32_sdwa s[8:9], v12, v23 src0_sel:WORD_0 src1_sel:DWORD
	v_cndmask_b32_e64 v31, v4, v12, s[8:9]
; %bb.30:                               ;   in Loop: Header=BB391_10 Depth=1
	s_or_b64 exec, exec, s[28:29]
	v_lshrrev_b32_e32 v30, 16, v28
	v_cmp_ne_u16_sdwa s[8:9], v30, v23 src0_sel:BYTE_0 src1_sel:DWORD
	v_mov_b32_e32 v12, 0
	s_and_saveexec_b64 s[28:29], s[8:9]
	s_cbranch_execz .LBB391_36
; %bb.31:                               ;   in Loop: Header=BB391_10 Depth=1
	v_cmp_ne_u16_sdwa s[8:9], v30, s21 src0_sel:BYTE_0 src1_sel:DWORD
	v_bfrev_b32_e32 v12, 1
	s_and_saveexec_b64 s[30:31], s[8:9]
	s_cbranch_execz .LBB391_35
; %bb.32:                               ;   in Loop: Header=BB391_10 Depth=1
	v_bfe_u32 v22, v28, 16, 7
	v_cmp_ne_u32_e64 s[8:9], s37, v22
	v_mov_b32_e32 v12, 0x7f800001
	s_and_saveexec_b64 s[34:35], s[8:9]
	s_cbranch_execz .LBB391_34
; %bb.33:                               ;   in Loop: Header=BB391_10 Depth=1
	v_and_b32_e32 v4, 7, v30
	v_ffbh_u32_e32 v12, v4
	v_min_u32_e32 v12, 32, v12
	v_subrev_u32_e32 v26, 28, v12
	v_lshlrev_b64 v[26:27], v26, v[30:31]
	v_lshrrev_b32_e32 v5, 3, v22
	v_sub_u32_e32 v12, 29, v12
	v_and_b32_e32 v26, 7, v26
	v_cmp_gt_u32_e64 s[8:9], 8, v22
	v_cndmask_b32_e64 v5, v5, v12, s[8:9]
	v_cndmask_b32_e64 v4, v4, v26, s[8:9]
	v_lshlrev_b32_e32 v12, 24, v30
	v_lshlrev_b32_e32 v4, 20, v4
	v_and_b32_e32 v12, 0x80000000, v12
	v_lshl_add_u32 v5, v5, 23, v29
	v_or3_b32 v12, v12, v5, v4
.LBB391_34:                             ;   in Loop: Header=BB391_10 Depth=1
	s_or_b64 exec, exec, s[34:35]
.LBB391_35:                             ;   in Loop: Header=BB391_10 Depth=1
	s_or_b64 exec, exec, s[30:31]
.LBB391_36:                             ;   in Loop: Header=BB391_10 Depth=1
	s_or_b64 exec, exec, s[28:29]
	v_mul_f32_e32 v12, v15, v12
	v_and_b32_e32 v4, 0x7f800000, v12
	v_cmp_ne_u32_e64 s[8:9], s38, v4
                                        ; implicit-def: $vgpr26
	s_and_saveexec_b64 s[28:29], s[8:9]
	s_xor_b64 s[8:9], exec, s[28:29]
; %bb.37:                               ;   in Loop: Header=BB391_10 Depth=1
	v_bfe_u32 v4, v12, 16, 1
	v_add3_u32 v26, v12, v4, s39
                                        ; implicit-def: $vgpr12
; %bb.38:                               ;   in Loop: Header=BB391_10 Depth=1
	s_andn2_saveexec_b64 s[28:29], s[8:9]
; %bb.39:                               ;   in Loop: Header=BB391_10 Depth=1
	v_or_b32_e32 v4, 0x10000, v12
	v_cmp_eq_u32_sdwa s[8:9], v12, v23 src0_sel:WORD_0 src1_sel:DWORD
	v_cndmask_b32_e64 v26, v4, v12, s[8:9]
; %bb.40:                               ;   in Loop: Header=BB391_10 Depth=1
	s_or_b64 exec, exec, s[28:29]
	v_cmp_lt_u32_e64 s[8:9], s40, v28
	v_mov_b32_e32 v12, 0
	s_and_saveexec_b64 s[28:29], s[8:9]
	s_cbranch_execz .LBB391_46
; %bb.41:                               ;   in Loop: Header=BB391_10 Depth=1
	v_lshrrev_b32_e32 v30, 24, v28
	v_cmp_ne_u32_e64 s[8:9], s21, v30
	v_bfrev_b32_e32 v12, 1
	s_and_saveexec_b64 s[30:31], s[8:9]
	s_cbranch_execz .LBB391_45
; %bb.42:                               ;   in Loop: Header=BB391_10 Depth=1
	v_bfe_u32 v22, v28, 24, 7
	v_cmp_ne_u32_e64 s[8:9], s37, v22
	v_mov_b32_e32 v12, 0x7f800001
	s_and_saveexec_b64 s[34:35], s[8:9]
	s_cbranch_execz .LBB391_44
; %bb.43:                               ;   in Loop: Header=BB391_10 Depth=1
	v_and_b32_e32 v4, 7, v30
	v_ffbh_u32_e32 v12, v4
	v_min_u32_e32 v12, 32, v12
	v_subrev_u32_e32 v27, 28, v12
	v_lshlrev_b64 v[48:49], v27, v[30:31]
	v_lshrrev_b32_e32 v5, 3, v22
	v_sub_u32_e32 v12, 29, v12
	v_and_b32_e32 v27, 7, v48
	v_cmp_gt_u32_e64 s[8:9], 8, v22
	v_cndmask_b32_e64 v5, v5, v12, s[8:9]
	v_cndmask_b32_e64 v4, v4, v27, s[8:9]
	v_lshlrev_b32_e32 v12, 24, v30
	v_lshlrev_b32_e32 v4, 20, v4
	v_and_b32_e32 v12, 0x80000000, v12
	v_lshl_add_u32 v5, v5, 23, v29
	v_or3_b32 v12, v12, v5, v4
.LBB391_44:                             ;   in Loop: Header=BB391_10 Depth=1
	s_or_b64 exec, exec, s[34:35]
.LBB391_45:                             ;   in Loop: Header=BB391_10 Depth=1
	s_or_b64 exec, exec, s[30:31]
.LBB391_46:                             ;   in Loop: Header=BB391_10 Depth=1
	s_or_b64 exec, exec, s[28:29]
	v_mul_f32_e32 v12, v15, v12
	v_and_b32_e32 v4, 0x7f800000, v12
	v_cmp_ne_u32_e64 s[8:9], s38, v4
                                        ; implicit-def: $vgpr27
	s_and_saveexec_b64 s[28:29], s[8:9]
	s_xor_b64 s[8:9], exec, s[28:29]
; %bb.47:                               ;   in Loop: Header=BB391_10 Depth=1
	v_bfe_u32 v4, v12, 16, 1
	v_add3_u32 v27, v12, v4, s39
                                        ; implicit-def: $vgpr12
; %bb.48:                               ;   in Loop: Header=BB391_10 Depth=1
	s_andn2_saveexec_b64 s[28:29], s[8:9]
; %bb.49:                               ;   in Loop: Header=BB391_10 Depth=1
	v_or_b32_e32 v4, 0x10000, v12
	v_cmp_eq_u32_sdwa s[8:9], v12, v23 src0_sel:WORD_0 src1_sel:DWORD
	v_cndmask_b32_e64 v27, v4, v12, s[8:9]
; %bb.50:                               ;   in Loop: Header=BB391_10 Depth=1
	s_or_b64 exec, exec, s[28:29]
	flat_load_dword v28, v[20:21] offset:8
	v_mov_b32_e32 v12, 0
	s_waitcnt vmcnt(0) lgkmcnt(0)
	v_cmp_ne_u16_sdwa s[8:9], v28, v23 src0_sel:BYTE_0 src1_sel:DWORD
	s_and_saveexec_b64 s[28:29], s[8:9]
	s_cbranch_execz .LBB391_56
; %bb.51:                               ;   in Loop: Header=BB391_10 Depth=1
	v_cmp_ne_u16_sdwa s[8:9], v28, s21 src0_sel:BYTE_0 src1_sel:DWORD
	v_bfrev_b32_e32 v12, 1
	s_and_saveexec_b64 s[30:31], s[8:9]
	s_cbranch_execz .LBB391_55
; %bb.52:                               ;   in Loop: Header=BB391_10 Depth=1
	v_and_b32_e32 v22, 0x7f, v28
	v_cmp_ne_u32_e64 s[8:9], s37, v22
	v_mov_b32_e32 v12, 0x7f800001
	s_and_saveexec_b64 s[34:35], s[8:9]
	s_cbranch_execz .LBB391_54
; %bb.53:                               ;   in Loop: Header=BB391_10 Depth=1
	v_and_b32_e32 v4, 7, v28
	v_ffbh_u32_e32 v12, v4
	v_min_u32_e32 v12, 32, v12
	v_subrev_u32_e32 v30, 28, v12
	v_lshlrev_b64 v[48:49], v30, v[28:29]
	v_lshrrev_b32_e32 v5, 3, v22
	v_sub_u32_e32 v12, 29, v12
	v_and_b32_e32 v30, 7, v48
	v_cmp_gt_u32_e64 s[8:9], 8, v22
	v_cndmask_b32_e64 v5, v5, v12, s[8:9]
	v_cndmask_b32_e64 v4, v4, v30, s[8:9]
	v_lshlrev_b32_e32 v12, 24, v28
	v_lshlrev_b32_e32 v4, 20, v4
	v_and_b32_e32 v12, 0x80000000, v12
	v_lshl_add_u32 v5, v5, 23, v29
	v_or3_b32 v12, v12, v5, v4
.LBB391_54:                             ;   in Loop: Header=BB391_10 Depth=1
	s_or_b64 exec, exec, s[34:35]
.LBB391_55:                             ;   in Loop: Header=BB391_10 Depth=1
	s_or_b64 exec, exec, s[30:31]
.LBB391_56:                             ;   in Loop: Header=BB391_10 Depth=1
	s_or_b64 exec, exec, s[28:29]
	v_mul_f32_e32 v12, v15, v12
	v_and_b32_e32 v4, 0x7f800000, v12
	v_cmp_ne_u32_e64 s[8:9], s38, v4
                                        ; implicit-def: $vgpr48
	s_and_saveexec_b64 s[28:29], s[8:9]
	s_xor_b64 s[8:9], exec, s[28:29]
; %bb.57:                               ;   in Loop: Header=BB391_10 Depth=1
	v_bfe_u32 v4, v12, 16, 1
	v_add3_u32 v48, v12, v4, s39
                                        ; implicit-def: $vgpr12
; %bb.58:                               ;   in Loop: Header=BB391_10 Depth=1
	s_andn2_saveexec_b64 s[28:29], s[8:9]
; %bb.59:                               ;   in Loop: Header=BB391_10 Depth=1
	v_or_b32_e32 v4, 0x10000, v12
	v_cmp_eq_u32_sdwa s[8:9], v12, v23 src0_sel:WORD_0 src1_sel:DWORD
	v_cndmask_b32_e64 v48, v4, v12, s[8:9]
; %bb.60:                               ;   in Loop: Header=BB391_10 Depth=1
	s_or_b64 exec, exec, s[28:29]
	v_lshrrev_b16_e32 v30, 8, v28
	v_cmp_ne_u16_e64 s[8:9], 0, v30
	v_mov_b32_e32 v12, 0
	s_and_saveexec_b64 s[28:29], s[8:9]
	s_cbranch_execz .LBB391_66
; %bb.61:                               ;   in Loop: Header=BB391_10 Depth=1
	v_cmp_ne_u16_e64 s[8:9], s21, v30
	v_bfrev_b32_e32 v12, 1
	s_and_saveexec_b64 s[30:31], s[8:9]
	s_cbranch_execz .LBB391_65
; %bb.62:                               ;   in Loop: Header=BB391_10 Depth=1
	v_and_b32_e32 v22, 0x7f, v30
	v_cmp_ne_u32_e64 s[8:9], s37, v22
	v_mov_b32_e32 v12, 0x7f800001
	s_and_saveexec_b64 s[34:35], s[8:9]
	s_cbranch_execz .LBB391_64
; %bb.63:                               ;   in Loop: Header=BB391_10 Depth=1
	v_and_b32_e32 v4, 7, v30
	v_ffbh_u32_e32 v12, v4
	v_min_u32_e32 v12, 32, v12
	v_subrev_u32_e32 v37, 28, v12
	v_lshlrev_b64 v[50:51], v37, v[30:31]
	v_lshrrev_b32_e32 v5, 3, v22
	v_sub_u32_e32 v12, 29, v12
	v_and_b32_e32 v30, 7, v50
	v_cmp_gt_u32_e64 s[8:9], 8, v22
	v_cndmask_b32_e64 v5, v5, v12, s[8:9]
	v_cndmask_b32_e64 v4, v4, v30, s[8:9]
	v_lshlrev_b32_e32 v12, 16, v28
	v_lshlrev_b32_e32 v4, 20, v4
	v_and_b32_e32 v12, 0x80000000, v12
	v_lshl_add_u32 v5, v5, 23, v29
	v_or3_b32 v12, v12, v5, v4
.LBB391_64:                             ;   in Loop: Header=BB391_10 Depth=1
	s_or_b64 exec, exec, s[34:35]
.LBB391_65:                             ;   in Loop: Header=BB391_10 Depth=1
	s_or_b64 exec, exec, s[30:31]
.LBB391_66:                             ;   in Loop: Header=BB391_10 Depth=1
	s_or_b64 exec, exec, s[28:29]
	v_mul_f32_e32 v22, v15, v12
	v_and_b32_e32 v4, 0x7f800000, v22
	v_cmp_ne_u32_e64 s[8:9], s38, v4
                                        ; implicit-def: $vgpr12
	s_and_saveexec_b64 s[28:29], s[8:9]
	s_xor_b64 s[8:9], exec, s[28:29]
; %bb.67:                               ;   in Loop: Header=BB391_10 Depth=1
	v_bfe_u32 v4, v22, 16, 1
	v_add3_u32 v12, v22, v4, s39
                                        ; implicit-def: $vgpr22
; %bb.68:                               ;   in Loop: Header=BB391_10 Depth=1
	s_andn2_saveexec_b64 s[28:29], s[8:9]
; %bb.69:                               ;   in Loop: Header=BB391_10 Depth=1
	v_or_b32_e32 v4, 0x10000, v22
	v_cmp_eq_u32_sdwa s[8:9], v22, v23 src0_sel:WORD_0 src1_sel:DWORD
	v_cndmask_b32_e64 v12, v4, v22, s[8:9]
; %bb.70:                               ;   in Loop: Header=BB391_10 Depth=1
	s_or_b64 exec, exec, s[28:29]
	v_lshrrev_b32_e32 v30, 16, v28
	v_cmp_ne_u16_sdwa s[8:9], v30, v23 src0_sel:BYTE_0 src1_sel:DWORD
	v_mov_b32_e32 v22, 0
	s_and_saveexec_b64 s[28:29], s[8:9]
	s_cbranch_execz .LBB391_76
; %bb.71:                               ;   in Loop: Header=BB391_10 Depth=1
	v_cmp_ne_u16_sdwa s[8:9], v30, s21 src0_sel:BYTE_0 src1_sel:DWORD
	v_bfrev_b32_e32 v22, 1
	s_and_saveexec_b64 s[30:31], s[8:9]
	s_cbranch_execz .LBB391_75
; %bb.72:                               ;   in Loop: Header=BB391_10 Depth=1
	v_bfe_u32 v37, v28, 16, 7
	v_cmp_ne_u32_e64 s[8:9], s37, v37
	v_mov_b32_e32 v22, 0x7f800001
	s_and_saveexec_b64 s[34:35], s[8:9]
	s_cbranch_execz .LBB391_74
; %bb.73:                               ;   in Loop: Header=BB391_10 Depth=1
	v_and_b32_e32 v4, 7, v30
	v_ffbh_u32_e32 v22, v4
	v_min_u32_e32 v22, 32, v22
	v_subrev_u32_e32 v49, 28, v22
	v_lshlrev_b64 v[50:51], v49, v[30:31]
	v_lshrrev_b32_e32 v5, 3, v37
	v_sub_u32_e32 v22, 29, v22
	v_and_b32_e32 v49, 7, v50
	v_cmp_gt_u32_e64 s[8:9], 8, v37
	v_cndmask_b32_e64 v5, v5, v22, s[8:9]
	v_cndmask_b32_e64 v4, v4, v49, s[8:9]
	v_lshlrev_b32_e32 v22, 24, v30
	v_lshlrev_b32_e32 v4, 20, v4
	v_and_b32_e32 v22, 0x80000000, v22
	v_lshl_add_u32 v5, v5, 23, v29
	v_or3_b32 v22, v22, v5, v4
.LBB391_74:                             ;   in Loop: Header=BB391_10 Depth=1
	s_or_b64 exec, exec, s[34:35]
.LBB391_75:                             ;   in Loop: Header=BB391_10 Depth=1
	s_or_b64 exec, exec, s[30:31]
.LBB391_76:                             ;   in Loop: Header=BB391_10 Depth=1
	s_or_b64 exec, exec, s[28:29]
	v_mul_f32_e32 v22, v15, v22
	v_and_b32_e32 v4, 0x7f800000, v22
	v_cmp_ne_u32_e64 s[8:9], s38, v4
                                        ; implicit-def: $vgpr49
	s_and_saveexec_b64 s[28:29], s[8:9]
	s_xor_b64 s[8:9], exec, s[28:29]
; %bb.77:                               ;   in Loop: Header=BB391_10 Depth=1
	v_bfe_u32 v4, v22, 16, 1
	v_add3_u32 v49, v22, v4, s39
                                        ; implicit-def: $vgpr22
; %bb.78:                               ;   in Loop: Header=BB391_10 Depth=1
	s_andn2_saveexec_b64 s[28:29], s[8:9]
; %bb.79:                               ;   in Loop: Header=BB391_10 Depth=1
	v_or_b32_e32 v4, 0x10000, v22
	v_cmp_eq_u32_sdwa s[8:9], v22, v23 src0_sel:WORD_0 src1_sel:DWORD
	v_cndmask_b32_e64 v49, v4, v22, s[8:9]
; %bb.80:                               ;   in Loop: Header=BB391_10 Depth=1
	s_or_b64 exec, exec, s[28:29]
	v_cmp_lt_u32_e64 s[8:9], s40, v28
	v_mov_b32_e32 v22, 0
	s_and_saveexec_b64 s[28:29], s[8:9]
	s_cbranch_execz .LBB391_86
; %bb.81:                               ;   in Loop: Header=BB391_10 Depth=1
	v_lshrrev_b32_e32 v30, 24, v28
	v_cmp_ne_u32_e64 s[8:9], s21, v30
	v_bfrev_b32_e32 v22, 1
	s_and_saveexec_b64 s[30:31], s[8:9]
	s_cbranch_execz .LBB391_85
; %bb.82:                               ;   in Loop: Header=BB391_10 Depth=1
	v_bfe_u32 v28, v28, 24, 7
	v_cmp_ne_u32_e64 s[8:9], s37, v28
	v_mov_b32_e32 v22, 0x7f800001
	s_and_saveexec_b64 s[34:35], s[8:9]
	s_cbranch_execz .LBB391_84
; %bb.83:                               ;   in Loop: Header=BB391_10 Depth=1
	v_and_b32_e32 v4, 7, v30
	v_ffbh_u32_e32 v22, v4
	v_min_u32_e32 v22, 32, v22
	v_subrev_u32_e32 v37, 28, v22
	v_lshlrev_b64 v[50:51], v37, v[30:31]
	v_lshrrev_b32_e32 v5, 3, v28
	v_sub_u32_e32 v22, 29, v22
	v_and_b32_e32 v37, 7, v50
	v_cmp_gt_u32_e64 s[8:9], 8, v28
	v_cndmask_b32_e64 v5, v5, v22, s[8:9]
	v_cndmask_b32_e64 v4, v4, v37, s[8:9]
	v_lshlrev_b32_e32 v22, 24, v30
	v_lshlrev_b32_e32 v4, 20, v4
	v_and_b32_e32 v22, 0x80000000, v22
	v_lshl_add_u32 v5, v5, 23, v29
	v_or3_b32 v22, v22, v5, v4
.LBB391_84:                             ;   in Loop: Header=BB391_10 Depth=1
	s_or_b64 exec, exec, s[34:35]
.LBB391_85:                             ;   in Loop: Header=BB391_10 Depth=1
	s_or_b64 exec, exec, s[30:31]
.LBB391_86:                             ;   in Loop: Header=BB391_10 Depth=1
	s_or_b64 exec, exec, s[28:29]
	v_mul_f32_e32 v22, v15, v22
	v_and_b32_e32 v4, 0x7f800000, v22
	v_cmp_ne_u32_e64 s[8:9], s38, v4
                                        ; implicit-def: $vgpr50
	s_and_saveexec_b64 s[28:29], s[8:9]
	s_xor_b64 s[8:9], exec, s[28:29]
; %bb.87:                               ;   in Loop: Header=BB391_10 Depth=1
	v_bfe_u32 v4, v22, 16, 1
	v_add3_u32 v50, v22, v4, s39
                                        ; implicit-def: $vgpr22
; %bb.88:                               ;   in Loop: Header=BB391_10 Depth=1
	s_andn2_saveexec_b64 s[28:29], s[8:9]
; %bb.89:                               ;   in Loop: Header=BB391_10 Depth=1
	v_or_b32_e32 v4, 0x10000, v22
	v_cmp_eq_u32_sdwa s[8:9], v22, v23 src0_sel:WORD_0 src1_sel:DWORD
	v_cndmask_b32_e64 v50, v4, v22, s[8:9]
; %bb.90:                               ;   in Loop: Header=BB391_10 Depth=1
	s_or_b64 exec, exec, s[28:29]
	flat_load_dword v28, v[20:21] offset:512
	v_mov_b32_e32 v22, 0
	s_waitcnt vmcnt(0) lgkmcnt(0)
	v_cmp_ne_u16_sdwa s[8:9], v28, v23 src0_sel:BYTE_0 src1_sel:DWORD
	s_and_saveexec_b64 s[28:29], s[8:9]
	s_cbranch_execz .LBB391_96
; %bb.91:                               ;   in Loop: Header=BB391_10 Depth=1
	v_cmp_ne_u16_sdwa s[8:9], v28, s21 src0_sel:BYTE_0 src1_sel:DWORD
	v_bfrev_b32_e32 v22, 1
	s_and_saveexec_b64 s[30:31], s[8:9]
	s_cbranch_execz .LBB391_95
; %bb.92:                               ;   in Loop: Header=BB391_10 Depth=1
	v_and_b32_e32 v30, 0x7f, v28
	v_cmp_ne_u32_e64 s[8:9], s37, v30
	v_mov_b32_e32 v22, 0x7f800001
	s_and_saveexec_b64 s[34:35], s[8:9]
	s_cbranch_execz .LBB391_94
; %bb.93:                               ;   in Loop: Header=BB391_10 Depth=1
	v_and_b32_e32 v4, 7, v28
	v_ffbh_u32_e32 v22, v4
	v_min_u32_e32 v22, 32, v22
	v_subrev_u32_e32 v37, 28, v22
	v_lshlrev_b64 v[52:53], v37, v[28:29]
	v_lshrrev_b32_e32 v5, 3, v30
	v_sub_u32_e32 v22, 29, v22
	v_and_b32_e32 v37, 7, v52
	v_cmp_gt_u32_e64 s[8:9], 8, v30
	v_cndmask_b32_e64 v5, v5, v22, s[8:9]
	v_cndmask_b32_e64 v4, v4, v37, s[8:9]
	v_lshlrev_b32_e32 v22, 24, v28
	v_lshlrev_b32_e32 v4, 20, v4
	v_and_b32_e32 v22, 0x80000000, v22
	v_lshl_add_u32 v5, v5, 23, v29
	v_or3_b32 v22, v22, v5, v4
.LBB391_94:                             ;   in Loop: Header=BB391_10 Depth=1
	s_or_b64 exec, exec, s[34:35]
.LBB391_95:                             ;   in Loop: Header=BB391_10 Depth=1
	s_or_b64 exec, exec, s[30:31]
.LBB391_96:                             ;   in Loop: Header=BB391_10 Depth=1
	s_or_b64 exec, exec, s[28:29]
	v_mul_f32_e32 v22, v15, v22
	v_and_b32_e32 v4, 0x7f800000, v22
	v_cmp_ne_u32_e64 s[8:9], s38, v4
                                        ; implicit-def: $vgpr51
	s_and_saveexec_b64 s[28:29], s[8:9]
	s_xor_b64 s[8:9], exec, s[28:29]
; %bb.97:                               ;   in Loop: Header=BB391_10 Depth=1
	v_bfe_u32 v4, v22, 16, 1
	v_add3_u32 v51, v22, v4, s39
                                        ; implicit-def: $vgpr22
; %bb.98:                               ;   in Loop: Header=BB391_10 Depth=1
	s_andn2_saveexec_b64 s[28:29], s[8:9]
; %bb.99:                               ;   in Loop: Header=BB391_10 Depth=1
	v_or_b32_e32 v4, 0x10000, v22
	v_cmp_eq_u32_sdwa s[8:9], v22, v23 src0_sel:WORD_0 src1_sel:DWORD
	v_cndmask_b32_e64 v51, v4, v22, s[8:9]
; %bb.100:                              ;   in Loop: Header=BB391_10 Depth=1
	s_or_b64 exec, exec, s[28:29]
	v_lshrrev_b16_e32 v30, 8, v28
	v_cmp_ne_u16_e64 s[8:9], 0, v30
	v_mov_b32_e32 v22, 0
	s_and_saveexec_b64 s[28:29], s[8:9]
	s_cbranch_execz .LBB391_106
; %bb.101:                              ;   in Loop: Header=BB391_10 Depth=1
	v_cmp_ne_u16_e64 s[8:9], s21, v30
	v_bfrev_b32_e32 v22, 1
	s_and_saveexec_b64 s[30:31], s[8:9]
	s_cbranch_execz .LBB391_105
; %bb.102:                              ;   in Loop: Header=BB391_10 Depth=1
	v_and_b32_e32 v37, 0x7f, v30
	v_cmp_ne_u32_e64 s[8:9], s37, v37
	v_mov_b32_e32 v22, 0x7f800001
	s_and_saveexec_b64 s[34:35], s[8:9]
	s_cbranch_execz .LBB391_104
; %bb.103:                              ;   in Loop: Header=BB391_10 Depth=1
	v_and_b32_e32 v4, 7, v30
	v_ffbh_u32_e32 v22, v4
	v_min_u32_e32 v22, 32, v22
	v_lshrrev_b32_e32 v5, 3, v37
	v_cmp_gt_u32_e64 s[8:9], 8, v37
	v_subrev_u32_e32 v37, 28, v22
	v_lshlrev_b64 v[52:53], v37, v[30:31]
	v_sub_u32_e32 v22, 29, v22
	v_and_b32_e32 v30, 7, v52
	v_cndmask_b32_e64 v5, v5, v22, s[8:9]
	v_cndmask_b32_e64 v4, v4, v30, s[8:9]
	v_lshlrev_b32_e32 v22, 16, v28
	v_lshlrev_b32_e32 v4, 20, v4
	v_and_b32_e32 v22, 0x80000000, v22
	v_lshl_add_u32 v5, v5, 23, v29
	v_or3_b32 v22, v22, v5, v4
.LBB391_104:                            ;   in Loop: Header=BB391_10 Depth=1
	s_or_b64 exec, exec, s[34:35]
.LBB391_105:                            ;   in Loop: Header=BB391_10 Depth=1
	s_or_b64 exec, exec, s[30:31]
.LBB391_106:                            ;   in Loop: Header=BB391_10 Depth=1
	s_or_b64 exec, exec, s[28:29]
	v_mul_f32_e32 v22, v15, v22
	v_and_b32_e32 v4, 0x7f800000, v22
	v_cmp_ne_u32_e64 s[8:9], s38, v4
                                        ; implicit-def: $vgpr52
	s_and_saveexec_b64 s[28:29], s[8:9]
	s_xor_b64 s[8:9], exec, s[28:29]
; %bb.107:                              ;   in Loop: Header=BB391_10 Depth=1
	v_bfe_u32 v4, v22, 16, 1
	v_add3_u32 v52, v22, v4, s39
                                        ; implicit-def: $vgpr22
; %bb.108:                              ;   in Loop: Header=BB391_10 Depth=1
	s_andn2_saveexec_b64 s[28:29], s[8:9]
; %bb.109:                              ;   in Loop: Header=BB391_10 Depth=1
	v_or_b32_e32 v4, 0x10000, v22
	v_cmp_eq_u32_sdwa s[8:9], v22, v23 src0_sel:WORD_0 src1_sel:DWORD
	v_cndmask_b32_e64 v52, v4, v22, s[8:9]
; %bb.110:                              ;   in Loop: Header=BB391_10 Depth=1
	s_or_b64 exec, exec, s[28:29]
	v_lshrrev_b32_e32 v30, 16, v28
	v_cmp_ne_u16_sdwa s[8:9], v30, v23 src0_sel:BYTE_0 src1_sel:DWORD
	v_mov_b32_e32 v22, 0
	s_and_saveexec_b64 s[28:29], s[8:9]
	s_cbranch_execz .LBB391_116
; %bb.111:                              ;   in Loop: Header=BB391_10 Depth=1
	v_cmp_ne_u16_sdwa s[8:9], v30, s21 src0_sel:BYTE_0 src1_sel:DWORD
	v_bfrev_b32_e32 v22, 1
	s_and_saveexec_b64 s[30:31], s[8:9]
	s_cbranch_execz .LBB391_115
; %bb.112:                              ;   in Loop: Header=BB391_10 Depth=1
	v_bfe_u32 v37, v28, 16, 7
	v_cmp_ne_u32_e64 s[8:9], s37, v37
	v_mov_b32_e32 v22, 0x7f800001
	s_and_saveexec_b64 s[34:35], s[8:9]
	s_cbranch_execz .LBB391_114
; %bb.113:                              ;   in Loop: Header=BB391_10 Depth=1
	v_and_b32_e32 v4, 7, v30
	v_ffbh_u32_e32 v22, v4
	v_min_u32_e32 v22, 32, v22
	v_subrev_u32_e32 v53, 28, v22
	v_lshlrev_b64 v[54:55], v53, v[30:31]
	v_lshrrev_b32_e32 v5, 3, v37
	v_sub_u32_e32 v22, 29, v22
	v_and_b32_e32 v53, 7, v54
	v_cmp_gt_u32_e64 s[8:9], 8, v37
	v_cndmask_b32_e64 v5, v5, v22, s[8:9]
	v_cndmask_b32_e64 v4, v4, v53, s[8:9]
	v_lshlrev_b32_e32 v22, 24, v30
	v_lshlrev_b32_e32 v4, 20, v4
	v_and_b32_e32 v22, 0x80000000, v22
	v_lshl_add_u32 v5, v5, 23, v29
	v_or3_b32 v22, v22, v5, v4
.LBB391_114:                            ;   in Loop: Header=BB391_10 Depth=1
	s_or_b64 exec, exec, s[34:35]
.LBB391_115:                            ;   in Loop: Header=BB391_10 Depth=1
	s_or_b64 exec, exec, s[30:31]
.LBB391_116:                            ;   in Loop: Header=BB391_10 Depth=1
	s_or_b64 exec, exec, s[28:29]
	v_mul_f32_e32 v22, v15, v22
	v_and_b32_e32 v4, 0x7f800000, v22
	v_cmp_ne_u32_e64 s[8:9], s38, v4
                                        ; implicit-def: $vgpr53
	s_and_saveexec_b64 s[28:29], s[8:9]
	s_xor_b64 s[8:9], exec, s[28:29]
; %bb.117:                              ;   in Loop: Header=BB391_10 Depth=1
	v_bfe_u32 v4, v22, 16, 1
	v_add3_u32 v53, v22, v4, s39
                                        ; implicit-def: $vgpr22
; %bb.118:                              ;   in Loop: Header=BB391_10 Depth=1
	s_andn2_saveexec_b64 s[28:29], s[8:9]
; %bb.119:                              ;   in Loop: Header=BB391_10 Depth=1
	v_or_b32_e32 v4, 0x10000, v22
	v_cmp_eq_u32_sdwa s[8:9], v22, v23 src0_sel:WORD_0 src1_sel:DWORD
	v_cndmask_b32_e64 v53, v4, v22, s[8:9]
; %bb.120:                              ;   in Loop: Header=BB391_10 Depth=1
	s_or_b64 exec, exec, s[28:29]
	v_cmp_lt_u32_e64 s[8:9], s40, v28
	v_mov_b32_e32 v22, 0
	s_and_saveexec_b64 s[28:29], s[8:9]
	s_cbranch_execz .LBB391_126
; %bb.121:                              ;   in Loop: Header=BB391_10 Depth=1
	v_lshrrev_b32_e32 v30, 24, v28
	v_cmp_ne_u32_e64 s[8:9], s21, v30
	v_bfrev_b32_e32 v22, 1
	s_and_saveexec_b64 s[30:31], s[8:9]
	s_cbranch_execz .LBB391_125
; %bb.122:                              ;   in Loop: Header=BB391_10 Depth=1
	v_bfe_u32 v28, v28, 24, 7
	v_cmp_ne_u32_e64 s[8:9], s37, v28
	v_mov_b32_e32 v22, 0x7f800001
	s_and_saveexec_b64 s[34:35], s[8:9]
	s_cbranch_execz .LBB391_124
; %bb.123:                              ;   in Loop: Header=BB391_10 Depth=1
	v_and_b32_e32 v4, 7, v30
	v_ffbh_u32_e32 v22, v4
	v_min_u32_e32 v22, 32, v22
	v_subrev_u32_e32 v37, 28, v22
	v_lshlrev_b64 v[54:55], v37, v[30:31]
	v_lshrrev_b32_e32 v5, 3, v28
	v_sub_u32_e32 v22, 29, v22
	v_and_b32_e32 v37, 7, v54
	v_cmp_gt_u32_e64 s[8:9], 8, v28
	v_cndmask_b32_e64 v5, v5, v22, s[8:9]
	v_cndmask_b32_e64 v4, v4, v37, s[8:9]
	v_lshlrev_b32_e32 v22, 24, v30
	v_lshlrev_b32_e32 v4, 20, v4
	v_and_b32_e32 v22, 0x80000000, v22
	v_lshl_add_u32 v5, v5, 23, v29
	v_or3_b32 v22, v22, v5, v4
.LBB391_124:                            ;   in Loop: Header=BB391_10 Depth=1
	s_or_b64 exec, exec, s[34:35]
.LBB391_125:                            ;   in Loop: Header=BB391_10 Depth=1
	s_or_b64 exec, exec, s[30:31]
.LBB391_126:                            ;   in Loop: Header=BB391_10 Depth=1
	s_or_b64 exec, exec, s[28:29]
	v_mul_f32_e32 v22, v15, v22
	v_and_b32_e32 v4, 0x7f800000, v22
	v_cmp_ne_u32_e64 s[8:9], s38, v4
                                        ; implicit-def: $vgpr54
	s_and_saveexec_b64 s[28:29], s[8:9]
	s_xor_b64 s[8:9], exec, s[28:29]
; %bb.127:                              ;   in Loop: Header=BB391_10 Depth=1
	v_bfe_u32 v4, v22, 16, 1
	v_add3_u32 v54, v22, v4, s39
                                        ; implicit-def: $vgpr22
; %bb.128:                              ;   in Loop: Header=BB391_10 Depth=1
	s_andn2_saveexec_b64 s[28:29], s[8:9]
; %bb.129:                              ;   in Loop: Header=BB391_10 Depth=1
	v_or_b32_e32 v4, 0x10000, v22
	v_cmp_eq_u32_sdwa s[8:9], v22, v23 src0_sel:WORD_0 src1_sel:DWORD
	v_cndmask_b32_e64 v54, v4, v22, s[8:9]
; %bb.130:                              ;   in Loop: Header=BB391_10 Depth=1
	s_or_b64 exec, exec, s[28:29]
	flat_load_dword v28, v[20:21] offset:520
	v_mov_b32_e32 v22, 0
	s_waitcnt vmcnt(0) lgkmcnt(0)
	v_cmp_ne_u16_sdwa s[8:9], v28, v23 src0_sel:BYTE_0 src1_sel:DWORD
	s_and_saveexec_b64 s[28:29], s[8:9]
	s_cbranch_execz .LBB391_136
; %bb.131:                              ;   in Loop: Header=BB391_10 Depth=1
	v_cmp_ne_u16_sdwa s[8:9], v28, s21 src0_sel:BYTE_0 src1_sel:DWORD
	v_bfrev_b32_e32 v22, 1
	s_and_saveexec_b64 s[30:31], s[8:9]
	s_cbranch_execz .LBB391_135
; %bb.132:                              ;   in Loop: Header=BB391_10 Depth=1
	v_and_b32_e32 v30, 0x7f, v28
	v_cmp_ne_u32_e64 s[8:9], s37, v30
	v_mov_b32_e32 v22, 0x7f800001
	s_and_saveexec_b64 s[34:35], s[8:9]
	s_cbranch_execz .LBB391_134
; %bb.133:                              ;   in Loop: Header=BB391_10 Depth=1
	v_and_b32_e32 v4, 7, v28
	v_ffbh_u32_e32 v22, v4
	v_min_u32_e32 v22, 32, v22
	v_subrev_u32_e32 v37, 28, v22
	v_lshlrev_b64 v[40:41], v37, v[28:29]
	v_lshrrev_b32_e32 v5, 3, v30
	v_sub_u32_e32 v22, 29, v22
	v_and_b32_e32 v37, 7, v40
	v_cmp_gt_u32_e64 s[8:9], 8, v30
	v_cndmask_b32_e64 v5, v5, v22, s[8:9]
	v_cndmask_b32_e64 v4, v4, v37, s[8:9]
	v_lshlrev_b32_e32 v22, 24, v28
	v_lshlrev_b32_e32 v4, 20, v4
	v_and_b32_e32 v22, 0x80000000, v22
	v_lshl_add_u32 v5, v5, 23, v29
	v_or3_b32 v22, v22, v5, v4
.LBB391_134:                            ;   in Loop: Header=BB391_10 Depth=1
	s_or_b64 exec, exec, s[34:35]
.LBB391_135:                            ;   in Loop: Header=BB391_10 Depth=1
	s_or_b64 exec, exec, s[30:31]
.LBB391_136:                            ;   in Loop: Header=BB391_10 Depth=1
	s_or_b64 exec, exec, s[28:29]
	v_mul_f32_e32 v22, v15, v22
	v_and_b32_e32 v4, 0x7f800000, v22
	v_cmp_ne_u32_e64 s[8:9], s38, v4
                                        ; implicit-def: $vgpr55
	s_and_saveexec_b64 s[28:29], s[8:9]
	s_xor_b64 s[8:9], exec, s[28:29]
; %bb.137:                              ;   in Loop: Header=BB391_10 Depth=1
	v_bfe_u32 v4, v22, 16, 1
	v_add3_u32 v55, v22, v4, s39
                                        ; implicit-def: $vgpr22
; %bb.138:                              ;   in Loop: Header=BB391_10 Depth=1
	s_andn2_saveexec_b64 s[28:29], s[8:9]
; %bb.139:                              ;   in Loop: Header=BB391_10 Depth=1
	v_or_b32_e32 v4, 0x10000, v22
	v_cmp_eq_u32_sdwa s[8:9], v22, v23 src0_sel:WORD_0 src1_sel:DWORD
	v_cndmask_b32_e64 v55, v4, v22, s[8:9]
; %bb.140:                              ;   in Loop: Header=BB391_10 Depth=1
	s_or_b64 exec, exec, s[28:29]
	v_lshrrev_b16_e32 v30, 8, v28
	v_cmp_ne_u16_e64 s[8:9], 0, v30
	v_mov_b32_e32 v22, 0
	s_and_saveexec_b64 s[28:29], s[8:9]
	s_cbranch_execz .LBB391_146
; %bb.141:                              ;   in Loop: Header=BB391_10 Depth=1
	v_cmp_ne_u16_e64 s[8:9], s21, v30
	v_bfrev_b32_e32 v22, 1
	s_and_saveexec_b64 s[30:31], s[8:9]
	s_cbranch_execz .LBB391_145
; %bb.142:                              ;   in Loop: Header=BB391_10 Depth=1
	v_and_b32_e32 v37, 0x7f, v30
	v_cmp_ne_u32_e64 s[8:9], s37, v37
	v_mov_b32_e32 v22, 0x7f800001
	s_and_saveexec_b64 s[34:35], s[8:9]
	s_cbranch_execz .LBB391_144
; %bb.143:                              ;   in Loop: Header=BB391_10 Depth=1
	v_and_b32_e32 v4, 7, v30
	v_ffbh_u32_e32 v22, v4
	v_min_u32_e32 v22, 32, v22
	v_subrev_u32_e32 v40, 28, v22
	v_lshlrev_b64 v[40:41], v40, v[30:31]
	v_lshrrev_b32_e32 v5, 3, v37
	v_sub_u32_e32 v22, 29, v22
	v_and_b32_e32 v30, 7, v40
	v_cmp_gt_u32_e64 s[8:9], 8, v37
	v_cndmask_b32_e64 v5, v5, v22, s[8:9]
	v_cndmask_b32_e64 v4, v4, v30, s[8:9]
	v_lshlrev_b32_e32 v22, 16, v28
	v_lshlrev_b32_e32 v4, 20, v4
	v_and_b32_e32 v22, 0x80000000, v22
	v_lshl_add_u32 v5, v5, 23, v29
	v_or3_b32 v22, v22, v5, v4
.LBB391_144:                            ;   in Loop: Header=BB391_10 Depth=1
	s_or_b64 exec, exec, s[34:35]
.LBB391_145:                            ;   in Loop: Header=BB391_10 Depth=1
	s_or_b64 exec, exec, s[30:31]
.LBB391_146:                            ;   in Loop: Header=BB391_10 Depth=1
	s_or_b64 exec, exec, s[28:29]
	v_mul_f32_e32 v22, v15, v22
	v_and_b32_e32 v4, 0x7f800000, v22
	v_cmp_ne_u32_e64 s[8:9], s38, v4
                                        ; implicit-def: $vgpr40
	s_and_saveexec_b64 s[28:29], s[8:9]
	s_xor_b64 s[8:9], exec, s[28:29]
; %bb.147:                              ;   in Loop: Header=BB391_10 Depth=1
	v_bfe_u32 v4, v22, 16, 1
	v_add3_u32 v40, v22, v4, s39
                                        ; implicit-def: $vgpr22
; %bb.148:                              ;   in Loop: Header=BB391_10 Depth=1
	s_andn2_saveexec_b64 s[28:29], s[8:9]
; %bb.149:                              ;   in Loop: Header=BB391_10 Depth=1
	v_or_b32_e32 v4, 0x10000, v22
	v_cmp_eq_u32_sdwa s[8:9], v22, v23 src0_sel:WORD_0 src1_sel:DWORD
	v_cndmask_b32_e64 v40, v4, v22, s[8:9]
; %bb.150:                              ;   in Loop: Header=BB391_10 Depth=1
	s_or_b64 exec, exec, s[28:29]
	v_lshrrev_b32_e32 v30, 16, v28
	v_cmp_ne_u16_sdwa s[8:9], v30, v23 src0_sel:BYTE_0 src1_sel:DWORD
	v_mov_b32_e32 v22, 0
	s_and_saveexec_b64 s[28:29], s[8:9]
	s_cbranch_execz .LBB391_156
; %bb.151:                              ;   in Loop: Header=BB391_10 Depth=1
	v_cmp_ne_u16_sdwa s[8:9], v30, s21 src0_sel:BYTE_0 src1_sel:DWORD
	v_bfrev_b32_e32 v22, 1
	s_and_saveexec_b64 s[30:31], s[8:9]
	s_cbranch_execz .LBB391_155
; %bb.152:                              ;   in Loop: Header=BB391_10 Depth=1
	v_bfe_u32 v37, v28, 16, 7
	v_cmp_ne_u32_e64 s[8:9], s37, v37
	v_mov_b32_e32 v22, 0x7f800001
	s_and_saveexec_b64 s[34:35], s[8:9]
	s_cbranch_execz .LBB391_154
; %bb.153:                              ;   in Loop: Header=BB391_10 Depth=1
	v_and_b32_e32 v4, 7, v30
	v_ffbh_u32_e32 v22, v4
	v_min_u32_e32 v22, 32, v22
	v_subrev_u32_e32 v41, 28, v22
	v_lshlrev_b64 v[42:43], v41, v[30:31]
	v_lshrrev_b32_e32 v5, 3, v37
	v_sub_u32_e32 v22, 29, v22
	v_and_b32_e32 v41, 7, v42
	v_cmp_gt_u32_e64 s[8:9], 8, v37
	v_cndmask_b32_e64 v5, v5, v22, s[8:9]
	v_cndmask_b32_e64 v4, v4, v41, s[8:9]
	v_lshlrev_b32_e32 v22, 24, v30
	v_lshlrev_b32_e32 v4, 20, v4
	v_and_b32_e32 v22, 0x80000000, v22
	v_lshl_add_u32 v5, v5, 23, v29
	v_or3_b32 v22, v22, v5, v4
.LBB391_154:                            ;   in Loop: Header=BB391_10 Depth=1
	s_or_b64 exec, exec, s[34:35]
.LBB391_155:                            ;   in Loop: Header=BB391_10 Depth=1
	s_or_b64 exec, exec, s[30:31]
.LBB391_156:                            ;   in Loop: Header=BB391_10 Depth=1
	s_or_b64 exec, exec, s[28:29]
	v_mul_f32_e32 v22, v15, v22
	v_and_b32_e32 v4, 0x7f800000, v22
	v_cmp_ne_u32_e64 s[8:9], s38, v4
                                        ; implicit-def: $vgpr41
	s_and_saveexec_b64 s[28:29], s[8:9]
	s_xor_b64 s[8:9], exec, s[28:29]
; %bb.157:                              ;   in Loop: Header=BB391_10 Depth=1
	v_bfe_u32 v4, v22, 16, 1
	v_add3_u32 v41, v22, v4, s39
                                        ; implicit-def: $vgpr22
; %bb.158:                              ;   in Loop: Header=BB391_10 Depth=1
	s_andn2_saveexec_b64 s[28:29], s[8:9]
; %bb.159:                              ;   in Loop: Header=BB391_10 Depth=1
	v_or_b32_e32 v4, 0x10000, v22
	v_cmp_eq_u32_sdwa s[8:9], v22, v23 src0_sel:WORD_0 src1_sel:DWORD
	v_cndmask_b32_e64 v41, v4, v22, s[8:9]
; %bb.160:                              ;   in Loop: Header=BB391_10 Depth=1
	s_or_b64 exec, exec, s[28:29]
	v_cmp_lt_u32_e64 s[8:9], s40, v28
	v_mov_b32_e32 v22, 0
	s_and_saveexec_b64 s[28:29], s[8:9]
	s_cbranch_execz .LBB391_166
; %bb.161:                              ;   in Loop: Header=BB391_10 Depth=1
	v_lshrrev_b32_e32 v30, 24, v28
	v_cmp_ne_u32_e64 s[8:9], s21, v30
	v_bfrev_b32_e32 v22, 1
	s_and_saveexec_b64 s[30:31], s[8:9]
	s_cbranch_execz .LBB391_165
; %bb.162:                              ;   in Loop: Header=BB391_10 Depth=1
	v_bfe_u32 v28, v28, 24, 7
	v_cmp_ne_u32_e64 s[8:9], s37, v28
	v_mov_b32_e32 v22, 0x7f800001
	s_and_saveexec_b64 s[34:35], s[8:9]
	s_cbranch_execz .LBB391_164
; %bb.163:                              ;   in Loop: Header=BB391_10 Depth=1
	v_and_b32_e32 v4, 7, v30
	v_ffbh_u32_e32 v22, v4
	v_min_u32_e32 v22, 32, v22
	v_subrev_u32_e32 v37, 28, v22
	v_lshlrev_b64 v[42:43], v37, v[30:31]
	v_lshrrev_b32_e32 v5, 3, v28
	v_sub_u32_e32 v22, 29, v22
	v_and_b32_e32 v37, 7, v42
	v_cmp_gt_u32_e64 s[8:9], 8, v28
	v_cndmask_b32_e64 v5, v5, v22, s[8:9]
	v_cndmask_b32_e64 v4, v4, v37, s[8:9]
	v_lshlrev_b32_e32 v22, 24, v30
	v_lshlrev_b32_e32 v4, 20, v4
	v_and_b32_e32 v22, 0x80000000, v22
	v_lshl_add_u32 v5, v5, 23, v29
	v_or3_b32 v22, v22, v5, v4
.LBB391_164:                            ;   in Loop: Header=BB391_10 Depth=1
	s_or_b64 exec, exec, s[34:35]
.LBB391_165:                            ;   in Loop: Header=BB391_10 Depth=1
	s_or_b64 exec, exec, s[30:31]
.LBB391_166:                            ;   in Loop: Header=BB391_10 Depth=1
	s_or_b64 exec, exec, s[28:29]
	v_mul_f32_e32 v22, v15, v22
	v_and_b32_e32 v4, 0x7f800000, v22
	v_cmp_ne_u32_e64 s[8:9], s38, v4
                                        ; implicit-def: $vgpr42
	s_and_saveexec_b64 s[28:29], s[8:9]
	s_xor_b64 s[8:9], exec, s[28:29]
; %bb.167:                              ;   in Loop: Header=BB391_10 Depth=1
	v_bfe_u32 v4, v22, 16, 1
	v_add3_u32 v42, v22, v4, s39
                                        ; implicit-def: $vgpr22
; %bb.168:                              ;   in Loop: Header=BB391_10 Depth=1
	s_andn2_saveexec_b64 s[28:29], s[8:9]
; %bb.169:                              ;   in Loop: Header=BB391_10 Depth=1
	v_or_b32_e32 v4, 0x10000, v22
	v_cmp_eq_u32_sdwa s[8:9], v22, v23 src0_sel:WORD_0 src1_sel:DWORD
	v_cndmask_b32_e64 v42, v4, v22, s[8:9]
; %bb.170:                              ;   in Loop: Header=BB391_10 Depth=1
	s_or_b64 exec, exec, s[28:29]
	flat_load_dword v28, v[20:21] offset:1024
	v_mov_b32_e32 v22, 0
	s_waitcnt vmcnt(0) lgkmcnt(0)
	v_cmp_ne_u16_sdwa s[8:9], v28, v23 src0_sel:BYTE_0 src1_sel:DWORD
	s_and_saveexec_b64 s[28:29], s[8:9]
	s_cbranch_execz .LBB391_176
; %bb.171:                              ;   in Loop: Header=BB391_10 Depth=1
	v_cmp_ne_u16_sdwa s[8:9], v28, s21 src0_sel:BYTE_0 src1_sel:DWORD
	v_bfrev_b32_e32 v22, 1
	s_and_saveexec_b64 s[30:31], s[8:9]
	s_cbranch_execz .LBB391_175
; %bb.172:                              ;   in Loop: Header=BB391_10 Depth=1
	v_and_b32_e32 v30, 0x7f, v28
	v_cmp_ne_u32_e64 s[8:9], s37, v30
	v_mov_b32_e32 v22, 0x7f800001
	s_and_saveexec_b64 s[34:35], s[8:9]
	s_cbranch_execz .LBB391_174
; %bb.173:                              ;   in Loop: Header=BB391_10 Depth=1
	v_and_b32_e32 v4, 7, v28
	v_ffbh_u32_e32 v22, v4
	v_min_u32_e32 v22, 32, v22
	v_subrev_u32_e32 v37, 28, v22
	v_lshlrev_b64 v[44:45], v37, v[28:29]
	v_lshrrev_b32_e32 v5, 3, v30
	v_sub_u32_e32 v22, 29, v22
	v_and_b32_e32 v37, 7, v44
	v_cmp_gt_u32_e64 s[8:9], 8, v30
	v_cndmask_b32_e64 v5, v5, v22, s[8:9]
	v_cndmask_b32_e64 v4, v4, v37, s[8:9]
	v_lshlrev_b32_e32 v22, 24, v28
	v_lshlrev_b32_e32 v4, 20, v4
	v_and_b32_e32 v22, 0x80000000, v22
	v_lshl_add_u32 v5, v5, 23, v29
	v_or3_b32 v22, v22, v5, v4
.LBB391_174:                            ;   in Loop: Header=BB391_10 Depth=1
	s_or_b64 exec, exec, s[34:35]
.LBB391_175:                            ;   in Loop: Header=BB391_10 Depth=1
	s_or_b64 exec, exec, s[30:31]
.LBB391_176:                            ;   in Loop: Header=BB391_10 Depth=1
	s_or_b64 exec, exec, s[28:29]
	v_mul_f32_e32 v22, v15, v22
	v_and_b32_e32 v4, 0x7f800000, v22
	v_cmp_ne_u32_e64 s[8:9], s38, v4
                                        ; implicit-def: $vgpr43
	s_and_saveexec_b64 s[28:29], s[8:9]
	s_xor_b64 s[8:9], exec, s[28:29]
; %bb.177:                              ;   in Loop: Header=BB391_10 Depth=1
	v_bfe_u32 v4, v22, 16, 1
	v_add3_u32 v43, v22, v4, s39
                                        ; implicit-def: $vgpr22
; %bb.178:                              ;   in Loop: Header=BB391_10 Depth=1
	s_andn2_saveexec_b64 s[28:29], s[8:9]
; %bb.179:                              ;   in Loop: Header=BB391_10 Depth=1
	v_or_b32_e32 v4, 0x10000, v22
	v_cmp_eq_u32_sdwa s[8:9], v22, v23 src0_sel:WORD_0 src1_sel:DWORD
	v_cndmask_b32_e64 v43, v4, v22, s[8:9]
; %bb.180:                              ;   in Loop: Header=BB391_10 Depth=1
	s_or_b64 exec, exec, s[28:29]
	v_lshrrev_b16_e32 v30, 8, v28
	v_cmp_ne_u16_e64 s[8:9], 0, v30
	v_mov_b32_e32 v22, 0
	s_and_saveexec_b64 s[28:29], s[8:9]
	s_cbranch_execz .LBB391_186
; %bb.181:                              ;   in Loop: Header=BB391_10 Depth=1
	v_cmp_ne_u16_e64 s[8:9], s21, v30
	v_bfrev_b32_e32 v22, 1
	s_and_saveexec_b64 s[30:31], s[8:9]
	s_cbranch_execz .LBB391_185
; %bb.182:                              ;   in Loop: Header=BB391_10 Depth=1
	v_and_b32_e32 v37, 0x7f, v30
	v_cmp_ne_u32_e64 s[8:9], s37, v37
	v_mov_b32_e32 v22, 0x7f800001
	s_and_saveexec_b64 s[34:35], s[8:9]
	s_cbranch_execz .LBB391_184
; %bb.183:                              ;   in Loop: Header=BB391_10 Depth=1
	v_and_b32_e32 v4, 7, v30
	v_ffbh_u32_e32 v22, v4
	v_min_u32_e32 v22, 32, v22
	v_subrev_u32_e32 v44, 28, v22
	v_lshlrev_b64 v[44:45], v44, v[30:31]
	v_lshrrev_b32_e32 v5, 3, v37
	v_sub_u32_e32 v22, 29, v22
	v_and_b32_e32 v30, 7, v44
	v_cmp_gt_u32_e64 s[8:9], 8, v37
	v_cndmask_b32_e64 v5, v5, v22, s[8:9]
	v_cndmask_b32_e64 v4, v4, v30, s[8:9]
	v_lshlrev_b32_e32 v22, 16, v28
	v_lshlrev_b32_e32 v4, 20, v4
	v_and_b32_e32 v22, 0x80000000, v22
	v_lshl_add_u32 v5, v5, 23, v29
	v_or3_b32 v22, v22, v5, v4
.LBB391_184:                            ;   in Loop: Header=BB391_10 Depth=1
	s_or_b64 exec, exec, s[34:35]
.LBB391_185:                            ;   in Loop: Header=BB391_10 Depth=1
	s_or_b64 exec, exec, s[30:31]
.LBB391_186:                            ;   in Loop: Header=BB391_10 Depth=1
	s_or_b64 exec, exec, s[28:29]
	v_mul_f32_e32 v22, v15, v22
	v_and_b32_e32 v4, 0x7f800000, v22
	v_cmp_ne_u32_e64 s[8:9], s38, v4
                                        ; implicit-def: $vgpr44
	s_and_saveexec_b64 s[28:29], s[8:9]
	s_xor_b64 s[8:9], exec, s[28:29]
; %bb.187:                              ;   in Loop: Header=BB391_10 Depth=1
	v_bfe_u32 v4, v22, 16, 1
	v_add3_u32 v44, v22, v4, s39
                                        ; implicit-def: $vgpr22
; %bb.188:                              ;   in Loop: Header=BB391_10 Depth=1
	s_andn2_saveexec_b64 s[28:29], s[8:9]
; %bb.189:                              ;   in Loop: Header=BB391_10 Depth=1
	v_or_b32_e32 v4, 0x10000, v22
	v_cmp_eq_u32_sdwa s[8:9], v22, v23 src0_sel:WORD_0 src1_sel:DWORD
	v_cndmask_b32_e64 v44, v4, v22, s[8:9]
; %bb.190:                              ;   in Loop: Header=BB391_10 Depth=1
	s_or_b64 exec, exec, s[28:29]
	v_lshrrev_b32_e32 v30, 16, v28
	v_cmp_ne_u16_sdwa s[8:9], v30, v23 src0_sel:BYTE_0 src1_sel:DWORD
	v_mov_b32_e32 v22, 0
	s_and_saveexec_b64 s[28:29], s[8:9]
	s_cbranch_execz .LBB391_196
; %bb.191:                              ;   in Loop: Header=BB391_10 Depth=1
	v_cmp_ne_u16_sdwa s[8:9], v30, s21 src0_sel:BYTE_0 src1_sel:DWORD
	v_bfrev_b32_e32 v22, 1
	s_and_saveexec_b64 s[30:31], s[8:9]
	s_cbranch_execz .LBB391_195
; %bb.192:                              ;   in Loop: Header=BB391_10 Depth=1
	v_bfe_u32 v37, v28, 16, 7
	v_cmp_ne_u32_e64 s[8:9], s37, v37
	v_mov_b32_e32 v22, 0x7f800001
	s_and_saveexec_b64 s[34:35], s[8:9]
	s_cbranch_execz .LBB391_194
; %bb.193:                              ;   in Loop: Header=BB391_10 Depth=1
	v_and_b32_e32 v4, 7, v30
	v_ffbh_u32_e32 v22, v4
	v_min_u32_e32 v22, 32, v22
	v_subrev_u32_e32 v45, 28, v22
	v_lshlrev_b64 v[46:47], v45, v[30:31]
	v_lshrrev_b32_e32 v5, 3, v37
	v_sub_u32_e32 v22, 29, v22
	v_and_b32_e32 v45, 7, v46
	v_cmp_gt_u32_e64 s[8:9], 8, v37
	v_cndmask_b32_e64 v5, v5, v22, s[8:9]
	v_cndmask_b32_e64 v4, v4, v45, s[8:9]
	v_lshlrev_b32_e32 v22, 24, v30
	v_lshlrev_b32_e32 v4, 20, v4
	v_and_b32_e32 v22, 0x80000000, v22
	v_lshl_add_u32 v5, v5, 23, v29
	v_or3_b32 v22, v22, v5, v4
.LBB391_194:                            ;   in Loop: Header=BB391_10 Depth=1
	s_or_b64 exec, exec, s[34:35]
.LBB391_195:                            ;   in Loop: Header=BB391_10 Depth=1
	s_or_b64 exec, exec, s[30:31]
.LBB391_196:                            ;   in Loop: Header=BB391_10 Depth=1
	s_or_b64 exec, exec, s[28:29]
	v_mul_f32_e32 v22, v15, v22
	v_and_b32_e32 v4, 0x7f800000, v22
	v_cmp_ne_u32_e64 s[8:9], s38, v4
                                        ; implicit-def: $vgpr45
	s_and_saveexec_b64 s[28:29], s[8:9]
	s_xor_b64 s[8:9], exec, s[28:29]
; %bb.197:                              ;   in Loop: Header=BB391_10 Depth=1
	v_bfe_u32 v4, v22, 16, 1
	v_add3_u32 v45, v22, v4, s39
                                        ; implicit-def: $vgpr22
; %bb.198:                              ;   in Loop: Header=BB391_10 Depth=1
	s_andn2_saveexec_b64 s[28:29], s[8:9]
; %bb.199:                              ;   in Loop: Header=BB391_10 Depth=1
	v_or_b32_e32 v4, 0x10000, v22
	v_cmp_eq_u32_sdwa s[8:9], v22, v23 src0_sel:WORD_0 src1_sel:DWORD
	v_cndmask_b32_e64 v45, v4, v22, s[8:9]
; %bb.200:                              ;   in Loop: Header=BB391_10 Depth=1
	s_or_b64 exec, exec, s[28:29]
	v_cmp_lt_u32_e64 s[8:9], s40, v28
	v_mov_b32_e32 v22, 0
	s_and_saveexec_b64 s[28:29], s[8:9]
	s_cbranch_execz .LBB391_206
; %bb.201:                              ;   in Loop: Header=BB391_10 Depth=1
	v_lshrrev_b32_e32 v30, 24, v28
	v_cmp_ne_u32_e64 s[8:9], s21, v30
	v_bfrev_b32_e32 v22, 1
	s_and_saveexec_b64 s[30:31], s[8:9]
	s_cbranch_execz .LBB391_205
; %bb.202:                              ;   in Loop: Header=BB391_10 Depth=1
	v_bfe_u32 v28, v28, 24, 7
	v_cmp_ne_u32_e64 s[8:9], s37, v28
	v_mov_b32_e32 v22, 0x7f800001
	s_and_saveexec_b64 s[34:35], s[8:9]
	s_cbranch_execz .LBB391_204
; %bb.203:                              ;   in Loop: Header=BB391_10 Depth=1
	v_and_b32_e32 v4, 7, v30
	v_ffbh_u32_e32 v22, v4
	v_min_u32_e32 v22, 32, v22
	v_subrev_u32_e32 v37, 28, v22
	v_lshlrev_b64 v[46:47], v37, v[30:31]
	v_lshrrev_b32_e32 v5, 3, v28
	v_sub_u32_e32 v22, 29, v22
	v_and_b32_e32 v37, 7, v46
	v_cmp_gt_u32_e64 s[8:9], 8, v28
	v_cndmask_b32_e64 v5, v5, v22, s[8:9]
	v_cndmask_b32_e64 v4, v4, v37, s[8:9]
	v_lshlrev_b32_e32 v22, 24, v30
	v_lshlrev_b32_e32 v4, 20, v4
	v_and_b32_e32 v22, 0x80000000, v22
	v_lshl_add_u32 v5, v5, 23, v29
	v_or3_b32 v22, v22, v5, v4
.LBB391_204:                            ;   in Loop: Header=BB391_10 Depth=1
	s_or_b64 exec, exec, s[34:35]
.LBB391_205:                            ;   in Loop: Header=BB391_10 Depth=1
	s_or_b64 exec, exec, s[30:31]
.LBB391_206:                            ;   in Loop: Header=BB391_10 Depth=1
	s_or_b64 exec, exec, s[28:29]
	v_mul_f32_e32 v22, v15, v22
	v_and_b32_e32 v4, 0x7f800000, v22
	v_cmp_ne_u32_e64 s[8:9], s38, v4
                                        ; implicit-def: $vgpr46
	s_and_saveexec_b64 s[28:29], s[8:9]
	s_xor_b64 s[8:9], exec, s[28:29]
; %bb.207:                              ;   in Loop: Header=BB391_10 Depth=1
	v_bfe_u32 v4, v22, 16, 1
	v_add3_u32 v46, v22, v4, s39
                                        ; implicit-def: $vgpr22
; %bb.208:                              ;   in Loop: Header=BB391_10 Depth=1
	s_andn2_saveexec_b64 s[28:29], s[8:9]
; %bb.209:                              ;   in Loop: Header=BB391_10 Depth=1
	v_or_b32_e32 v4, 0x10000, v22
	v_cmp_eq_u32_sdwa s[8:9], v22, v23 src0_sel:WORD_0 src1_sel:DWORD
	v_cndmask_b32_e64 v46, v4, v22, s[8:9]
; %bb.210:                              ;   in Loop: Header=BB391_10 Depth=1
	s_or_b64 exec, exec, s[28:29]
	flat_load_dword v28, v[20:21] offset:1032
	v_mov_b32_e32 v22, 0
	s_waitcnt vmcnt(0) lgkmcnt(0)
	v_cmp_ne_u16_sdwa s[8:9], v28, v23 src0_sel:BYTE_0 src1_sel:DWORD
	s_and_saveexec_b64 s[28:29], s[8:9]
	s_cbranch_execz .LBB391_216
; %bb.211:                              ;   in Loop: Header=BB391_10 Depth=1
	v_cmp_ne_u16_sdwa s[8:9], v28, s21 src0_sel:BYTE_0 src1_sel:DWORD
	v_bfrev_b32_e32 v22, 1
	s_and_saveexec_b64 s[30:31], s[8:9]
	s_cbranch_execz .LBB391_215
; %bb.212:                              ;   in Loop: Header=BB391_10 Depth=1
	v_and_b32_e32 v30, 0x7f, v28
	v_cmp_ne_u32_e64 s[8:9], s37, v30
	v_mov_b32_e32 v22, 0x7f800001
	s_and_saveexec_b64 s[34:35], s[8:9]
	s_cbranch_execz .LBB391_214
; %bb.213:                              ;   in Loop: Header=BB391_10 Depth=1
	v_and_b32_e32 v4, 7, v28
	v_ffbh_u32_e32 v22, v4
	v_min_u32_e32 v22, 32, v22
	v_subrev_u32_e32 v37, 28, v22
	v_lshlrev_b64 v[56:57], v37, v[28:29]
	v_lshrrev_b32_e32 v5, 3, v30
	v_sub_u32_e32 v22, 29, v22
	v_and_b32_e32 v37, 7, v56
	v_cmp_gt_u32_e64 s[8:9], 8, v30
	v_cndmask_b32_e64 v5, v5, v22, s[8:9]
	v_cndmask_b32_e64 v4, v4, v37, s[8:9]
	v_lshlrev_b32_e32 v22, 24, v28
	v_lshlrev_b32_e32 v4, 20, v4
	v_and_b32_e32 v22, 0x80000000, v22
	v_lshl_add_u32 v5, v5, 23, v29
	v_or3_b32 v22, v22, v5, v4
.LBB391_214:                            ;   in Loop: Header=BB391_10 Depth=1
	s_or_b64 exec, exec, s[34:35]
.LBB391_215:                            ;   in Loop: Header=BB391_10 Depth=1
	s_or_b64 exec, exec, s[30:31]
.LBB391_216:                            ;   in Loop: Header=BB391_10 Depth=1
	s_or_b64 exec, exec, s[28:29]
	v_mul_f32_e32 v22, v15, v22
	v_and_b32_e32 v4, 0x7f800000, v22
	v_cmp_ne_u32_e64 s[8:9], s38, v4
                                        ; implicit-def: $vgpr47
	s_and_saveexec_b64 s[28:29], s[8:9]
	s_xor_b64 s[8:9], exec, s[28:29]
; %bb.217:                              ;   in Loop: Header=BB391_10 Depth=1
	v_bfe_u32 v4, v22, 16, 1
	v_add3_u32 v47, v22, v4, s39
                                        ; implicit-def: $vgpr22
; %bb.218:                              ;   in Loop: Header=BB391_10 Depth=1
	s_andn2_saveexec_b64 s[28:29], s[8:9]
; %bb.219:                              ;   in Loop: Header=BB391_10 Depth=1
	v_or_b32_e32 v4, 0x10000, v22
	v_cmp_eq_u32_sdwa s[8:9], v22, v23 src0_sel:WORD_0 src1_sel:DWORD
	v_cndmask_b32_e64 v47, v4, v22, s[8:9]
; %bb.220:                              ;   in Loop: Header=BB391_10 Depth=1
	s_or_b64 exec, exec, s[28:29]
	v_lshrrev_b16_e32 v30, 8, v28
	v_cmp_ne_u16_e64 s[8:9], 0, v30
	v_mov_b32_e32 v22, 0
	s_and_saveexec_b64 s[28:29], s[8:9]
	s_cbranch_execz .LBB391_226
; %bb.221:                              ;   in Loop: Header=BB391_10 Depth=1
	v_cmp_ne_u16_e64 s[8:9], s21, v30
	v_bfrev_b32_e32 v22, 1
	s_and_saveexec_b64 s[30:31], s[8:9]
	s_cbranch_execz .LBB391_225
; %bb.222:                              ;   in Loop: Header=BB391_10 Depth=1
	v_and_b32_e32 v37, 0x7f, v30
	v_cmp_ne_u32_e64 s[8:9], s37, v37
	v_mov_b32_e32 v22, 0x7f800001
	s_and_saveexec_b64 s[34:35], s[8:9]
	s_cbranch_execz .LBB391_224
; %bb.223:                              ;   in Loop: Header=BB391_10 Depth=1
	v_and_b32_e32 v4, 7, v30
	v_ffbh_u32_e32 v22, v4
	v_min_u32_e32 v22, 32, v22
	v_subrev_u32_e32 v56, 28, v22
	v_lshlrev_b64 v[56:57], v56, v[30:31]
	v_lshrrev_b32_e32 v5, 3, v37
	v_sub_u32_e32 v22, 29, v22
	v_and_b32_e32 v30, 7, v56
	v_cmp_gt_u32_e64 s[8:9], 8, v37
	v_cndmask_b32_e64 v5, v5, v22, s[8:9]
	v_cndmask_b32_e64 v4, v4, v30, s[8:9]
	v_lshlrev_b32_e32 v22, 16, v28
	v_lshlrev_b32_e32 v4, 20, v4
	v_and_b32_e32 v22, 0x80000000, v22
	v_lshl_add_u32 v5, v5, 23, v29
	v_or3_b32 v22, v22, v5, v4
.LBB391_224:                            ;   in Loop: Header=BB391_10 Depth=1
	s_or_b64 exec, exec, s[34:35]
.LBB391_225:                            ;   in Loop: Header=BB391_10 Depth=1
	s_or_b64 exec, exec, s[30:31]
.LBB391_226:                            ;   in Loop: Header=BB391_10 Depth=1
	s_or_b64 exec, exec, s[28:29]
	v_mul_f32_e32 v22, v15, v22
	v_and_b32_e32 v4, 0x7f800000, v22
	v_cmp_ne_u32_e64 s[8:9], s38, v4
                                        ; implicit-def: $vgpr56
	s_and_saveexec_b64 s[28:29], s[8:9]
	s_xor_b64 s[8:9], exec, s[28:29]
; %bb.227:                              ;   in Loop: Header=BB391_10 Depth=1
	v_bfe_u32 v4, v22, 16, 1
	v_add3_u32 v56, v22, v4, s39
                                        ; implicit-def: $vgpr22
; %bb.228:                              ;   in Loop: Header=BB391_10 Depth=1
	s_andn2_saveexec_b64 s[28:29], s[8:9]
; %bb.229:                              ;   in Loop: Header=BB391_10 Depth=1
	v_or_b32_e32 v4, 0x10000, v22
	v_cmp_eq_u32_sdwa s[8:9], v22, v23 src0_sel:WORD_0 src1_sel:DWORD
	v_cndmask_b32_e64 v56, v4, v22, s[8:9]
; %bb.230:                              ;   in Loop: Header=BB391_10 Depth=1
	s_or_b64 exec, exec, s[28:29]
	v_lshrrev_b32_e32 v30, 16, v28
	v_cmp_ne_u16_sdwa s[8:9], v30, v23 src0_sel:BYTE_0 src1_sel:DWORD
	v_mov_b32_e32 v22, 0
	s_and_saveexec_b64 s[28:29], s[8:9]
	s_cbranch_execz .LBB391_236
; %bb.231:                              ;   in Loop: Header=BB391_10 Depth=1
	v_cmp_ne_u16_sdwa s[8:9], v30, s21 src0_sel:BYTE_0 src1_sel:DWORD
	v_bfrev_b32_e32 v22, 1
	s_and_saveexec_b64 s[30:31], s[8:9]
	s_cbranch_execz .LBB391_235
; %bb.232:                              ;   in Loop: Header=BB391_10 Depth=1
	v_bfe_u32 v37, v28, 16, 7
	v_cmp_ne_u32_e64 s[8:9], s37, v37
	v_mov_b32_e32 v22, 0x7f800001
	s_and_saveexec_b64 s[34:35], s[8:9]
	s_cbranch_execz .LBB391_234
; %bb.233:                              ;   in Loop: Header=BB391_10 Depth=1
	v_and_b32_e32 v4, 7, v30
	v_ffbh_u32_e32 v22, v4
	v_min_u32_e32 v22, 32, v22
	v_subrev_u32_e32 v57, 28, v22
	v_lshlrev_b64 v[58:59], v57, v[30:31]
	v_lshrrev_b32_e32 v5, 3, v37
	v_sub_u32_e32 v22, 29, v22
	v_and_b32_e32 v57, 7, v58
	v_cmp_gt_u32_e64 s[8:9], 8, v37
	v_cndmask_b32_e64 v5, v5, v22, s[8:9]
	v_cndmask_b32_e64 v4, v4, v57, s[8:9]
	v_lshlrev_b32_e32 v22, 24, v30
	v_lshlrev_b32_e32 v4, 20, v4
	v_and_b32_e32 v22, 0x80000000, v22
	v_lshl_add_u32 v5, v5, 23, v29
	v_or3_b32 v22, v22, v5, v4
.LBB391_234:                            ;   in Loop: Header=BB391_10 Depth=1
	s_or_b64 exec, exec, s[34:35]
.LBB391_235:                            ;   in Loop: Header=BB391_10 Depth=1
	s_or_b64 exec, exec, s[30:31]
.LBB391_236:                            ;   in Loop: Header=BB391_10 Depth=1
	s_or_b64 exec, exec, s[28:29]
	v_mul_f32_e32 v22, v15, v22
	v_and_b32_e32 v4, 0x7f800000, v22
	v_cmp_ne_u32_e64 s[8:9], s38, v4
                                        ; implicit-def: $vgpr57
	s_and_saveexec_b64 s[28:29], s[8:9]
	s_xor_b64 s[8:9], exec, s[28:29]
; %bb.237:                              ;   in Loop: Header=BB391_10 Depth=1
	v_bfe_u32 v4, v22, 16, 1
	v_add3_u32 v57, v22, v4, s39
                                        ; implicit-def: $vgpr22
; %bb.238:                              ;   in Loop: Header=BB391_10 Depth=1
	s_andn2_saveexec_b64 s[28:29], s[8:9]
; %bb.239:                              ;   in Loop: Header=BB391_10 Depth=1
	v_or_b32_e32 v4, 0x10000, v22
	v_cmp_eq_u32_sdwa s[8:9], v22, v23 src0_sel:WORD_0 src1_sel:DWORD
	v_cndmask_b32_e64 v57, v4, v22, s[8:9]
; %bb.240:                              ;   in Loop: Header=BB391_10 Depth=1
	s_or_b64 exec, exec, s[28:29]
	v_cmp_lt_u32_e64 s[8:9], s40, v28
	v_mov_b32_e32 v22, 0
	s_and_saveexec_b64 s[28:29], s[8:9]
	s_cbranch_execz .LBB391_246
; %bb.241:                              ;   in Loop: Header=BB391_10 Depth=1
	v_lshrrev_b32_e32 v30, 24, v28
	v_cmp_ne_u32_e64 s[8:9], s21, v30
	v_bfrev_b32_e32 v22, 1
	s_and_saveexec_b64 s[30:31], s[8:9]
	s_cbranch_execz .LBB391_245
; %bb.242:                              ;   in Loop: Header=BB391_10 Depth=1
	v_bfe_u32 v28, v28, 24, 7
	v_cmp_ne_u32_e64 s[8:9], s37, v28
	v_mov_b32_e32 v22, 0x7f800001
	s_and_saveexec_b64 s[34:35], s[8:9]
	s_cbranch_execz .LBB391_244
; %bb.243:                              ;   in Loop: Header=BB391_10 Depth=1
	v_and_b32_e32 v4, 7, v30
	v_ffbh_u32_e32 v22, v4
	v_min_u32_e32 v22, 32, v22
	v_subrev_u32_e32 v37, 28, v22
	v_lshlrev_b64 v[58:59], v37, v[30:31]
	v_lshrrev_b32_e32 v5, 3, v28
	v_sub_u32_e32 v22, 29, v22
	v_and_b32_e32 v37, 7, v58
	v_cmp_gt_u32_e64 s[8:9], 8, v28
	v_cndmask_b32_e64 v5, v5, v22, s[8:9]
	v_cndmask_b32_e64 v4, v4, v37, s[8:9]
	v_lshlrev_b32_e32 v22, 24, v30
	v_lshlrev_b32_e32 v4, 20, v4
	v_and_b32_e32 v22, 0x80000000, v22
	v_lshl_add_u32 v5, v5, 23, v29
	v_or3_b32 v22, v22, v5, v4
.LBB391_244:                            ;   in Loop: Header=BB391_10 Depth=1
	s_or_b64 exec, exec, s[34:35]
.LBB391_245:                            ;   in Loop: Header=BB391_10 Depth=1
	s_or_b64 exec, exec, s[30:31]
.LBB391_246:                            ;   in Loop: Header=BB391_10 Depth=1
	s_or_b64 exec, exec, s[28:29]
	v_mul_f32_e32 v22, v15, v22
	v_and_b32_e32 v4, 0x7f800000, v22
	v_cmp_ne_u32_e64 s[8:9], s38, v4
                                        ; implicit-def: $vgpr58
	s_and_saveexec_b64 s[28:29], s[8:9]
	s_xor_b64 s[8:9], exec, s[28:29]
; %bb.247:                              ;   in Loop: Header=BB391_10 Depth=1
	v_bfe_u32 v4, v22, 16, 1
	v_add3_u32 v58, v22, v4, s39
                                        ; implicit-def: $vgpr22
; %bb.248:                              ;   in Loop: Header=BB391_10 Depth=1
	s_andn2_saveexec_b64 s[28:29], s[8:9]
; %bb.249:                              ;   in Loop: Header=BB391_10 Depth=1
	v_or_b32_e32 v4, 0x10000, v22
	v_cmp_eq_u32_sdwa s[8:9], v22, v23 src0_sel:WORD_0 src1_sel:DWORD
	v_cndmask_b32_e64 v58, v4, v22, s[8:9]
; %bb.250:                              ;   in Loop: Header=BB391_10 Depth=1
	s_or_b64 exec, exec, s[28:29]
	flat_load_dword v28, v[20:21] offset:1536
	v_mov_b32_e32 v22, 0
	s_waitcnt vmcnt(0) lgkmcnt(0)
	v_cmp_ne_u16_sdwa s[8:9], v28, v23 src0_sel:BYTE_0 src1_sel:DWORD
	s_and_saveexec_b64 s[28:29], s[8:9]
	s_cbranch_execz .LBB391_256
; %bb.251:                              ;   in Loop: Header=BB391_10 Depth=1
	v_cmp_ne_u16_sdwa s[8:9], v28, s21 src0_sel:BYTE_0 src1_sel:DWORD
	v_bfrev_b32_e32 v22, 1
	s_and_saveexec_b64 s[30:31], s[8:9]
	s_cbranch_execz .LBB391_255
; %bb.252:                              ;   in Loop: Header=BB391_10 Depth=1
	v_and_b32_e32 v30, 0x7f, v28
	v_cmp_ne_u32_e64 s[8:9], s37, v30
	v_mov_b32_e32 v22, 0x7f800001
	s_and_saveexec_b64 s[34:35], s[8:9]
	s_cbranch_execz .LBB391_254
; %bb.253:                              ;   in Loop: Header=BB391_10 Depth=1
	v_and_b32_e32 v4, 7, v28
	v_ffbh_u32_e32 v22, v4
	v_min_u32_e32 v22, 32, v22
	v_subrev_u32_e32 v37, 28, v22
	v_lshlrev_b64 v[60:61], v37, v[28:29]
	v_lshrrev_b32_e32 v5, 3, v30
	v_sub_u32_e32 v22, 29, v22
	v_and_b32_e32 v37, 7, v60
	v_cmp_gt_u32_e64 s[8:9], 8, v30
	v_cndmask_b32_e64 v5, v5, v22, s[8:9]
	v_cndmask_b32_e64 v4, v4, v37, s[8:9]
	v_lshlrev_b32_e32 v22, 24, v28
	v_lshlrev_b32_e32 v4, 20, v4
	v_and_b32_e32 v22, 0x80000000, v22
	v_lshl_add_u32 v5, v5, 23, v29
	v_or3_b32 v22, v22, v5, v4
.LBB391_254:                            ;   in Loop: Header=BB391_10 Depth=1
	s_or_b64 exec, exec, s[34:35]
.LBB391_255:                            ;   in Loop: Header=BB391_10 Depth=1
	s_or_b64 exec, exec, s[30:31]
.LBB391_256:                            ;   in Loop: Header=BB391_10 Depth=1
	s_or_b64 exec, exec, s[28:29]
	v_mul_f32_e32 v22, v15, v22
	v_and_b32_e32 v4, 0x7f800000, v22
	v_cmp_ne_u32_e64 s[8:9], s38, v4
                                        ; implicit-def: $vgpr59
	s_and_saveexec_b64 s[28:29], s[8:9]
	s_xor_b64 s[8:9], exec, s[28:29]
; %bb.257:                              ;   in Loop: Header=BB391_10 Depth=1
	v_bfe_u32 v4, v22, 16, 1
	v_add3_u32 v59, v22, v4, s39
                                        ; implicit-def: $vgpr22
; %bb.258:                              ;   in Loop: Header=BB391_10 Depth=1
	s_andn2_saveexec_b64 s[28:29], s[8:9]
; %bb.259:                              ;   in Loop: Header=BB391_10 Depth=1
	v_or_b32_e32 v4, 0x10000, v22
	v_cmp_eq_u32_sdwa s[8:9], v22, v23 src0_sel:WORD_0 src1_sel:DWORD
	v_cndmask_b32_e64 v59, v4, v22, s[8:9]
; %bb.260:                              ;   in Loop: Header=BB391_10 Depth=1
	s_or_b64 exec, exec, s[28:29]
	v_lshrrev_b16_e32 v30, 8, v28
	v_cmp_ne_u16_e64 s[8:9], 0, v30
	v_mov_b32_e32 v22, 0
	s_and_saveexec_b64 s[28:29], s[8:9]
	s_cbranch_execz .LBB391_266
; %bb.261:                              ;   in Loop: Header=BB391_10 Depth=1
	v_cmp_ne_u16_e64 s[8:9], s21, v30
	v_bfrev_b32_e32 v22, 1
	s_and_saveexec_b64 s[30:31], s[8:9]
	s_cbranch_execz .LBB391_265
; %bb.262:                              ;   in Loop: Header=BB391_10 Depth=1
	v_and_b32_e32 v37, 0x7f, v30
	v_cmp_ne_u32_e64 s[8:9], s37, v37
	v_mov_b32_e32 v22, 0x7f800001
	s_and_saveexec_b64 s[34:35], s[8:9]
	s_cbranch_execz .LBB391_264
; %bb.263:                              ;   in Loop: Header=BB391_10 Depth=1
	v_and_b32_e32 v4, 7, v30
	v_ffbh_u32_e32 v22, v4
	v_min_u32_e32 v22, 32, v22
	v_subrev_u32_e32 v60, 28, v22
	v_lshlrev_b64 v[60:61], v60, v[30:31]
	v_lshrrev_b32_e32 v5, 3, v37
	v_sub_u32_e32 v22, 29, v22
	v_and_b32_e32 v30, 7, v60
	v_cmp_gt_u32_e64 s[8:9], 8, v37
	v_cndmask_b32_e64 v5, v5, v22, s[8:9]
	v_cndmask_b32_e64 v4, v4, v30, s[8:9]
	v_lshlrev_b32_e32 v22, 16, v28
	v_lshlrev_b32_e32 v4, 20, v4
	v_and_b32_e32 v22, 0x80000000, v22
	v_lshl_add_u32 v5, v5, 23, v29
	v_or3_b32 v22, v22, v5, v4
.LBB391_264:                            ;   in Loop: Header=BB391_10 Depth=1
	s_or_b64 exec, exec, s[34:35]
.LBB391_265:                            ;   in Loop: Header=BB391_10 Depth=1
	s_or_b64 exec, exec, s[30:31]
.LBB391_266:                            ;   in Loop: Header=BB391_10 Depth=1
	s_or_b64 exec, exec, s[28:29]
	v_mul_f32_e32 v22, v15, v22
	v_and_b32_e32 v4, 0x7f800000, v22
	v_cmp_ne_u32_e64 s[8:9], s38, v4
                                        ; implicit-def: $vgpr60
	s_and_saveexec_b64 s[28:29], s[8:9]
	s_xor_b64 s[8:9], exec, s[28:29]
; %bb.267:                              ;   in Loop: Header=BB391_10 Depth=1
	v_bfe_u32 v4, v22, 16, 1
	v_add3_u32 v60, v22, v4, s39
                                        ; implicit-def: $vgpr22
; %bb.268:                              ;   in Loop: Header=BB391_10 Depth=1
	s_andn2_saveexec_b64 s[28:29], s[8:9]
; %bb.269:                              ;   in Loop: Header=BB391_10 Depth=1
	v_or_b32_e32 v4, 0x10000, v22
	v_cmp_eq_u32_sdwa s[8:9], v22, v23 src0_sel:WORD_0 src1_sel:DWORD
	v_cndmask_b32_e64 v60, v4, v22, s[8:9]
; %bb.270:                              ;   in Loop: Header=BB391_10 Depth=1
	s_or_b64 exec, exec, s[28:29]
	v_lshrrev_b32_e32 v30, 16, v28
	v_cmp_ne_u16_sdwa s[8:9], v30, v23 src0_sel:BYTE_0 src1_sel:DWORD
	v_mov_b32_e32 v22, 0
	s_and_saveexec_b64 s[28:29], s[8:9]
	s_cbranch_execz .LBB391_276
; %bb.271:                              ;   in Loop: Header=BB391_10 Depth=1
	v_cmp_ne_u16_sdwa s[8:9], v30, s21 src0_sel:BYTE_0 src1_sel:DWORD
	v_bfrev_b32_e32 v22, 1
	s_and_saveexec_b64 s[30:31], s[8:9]
	s_cbranch_execz .LBB391_275
; %bb.272:                              ;   in Loop: Header=BB391_10 Depth=1
	v_bfe_u32 v37, v28, 16, 7
	v_cmp_ne_u32_e64 s[8:9], s37, v37
	v_mov_b32_e32 v22, 0x7f800001
	s_and_saveexec_b64 s[34:35], s[8:9]
	s_cbranch_execz .LBB391_274
; %bb.273:                              ;   in Loop: Header=BB391_10 Depth=1
	v_and_b32_e32 v22, 7, v30
	v_ffbh_u32_e32 v4, v22
	v_min_u32_e32 v62, 32, v4
	v_subrev_u32_e32 v4, 28, v62
	v_lshlrev_b64 v[4:5], v4, v[30:31]
	v_lshrrev_b32_e32 v61, 3, v37
	v_sub_u32_e32 v5, 29, v62
	v_and_b32_e32 v4, 7, v4
	v_cmp_gt_u32_e64 s[8:9], 8, v37
	v_cndmask_b32_e64 v5, v61, v5, s[8:9]
	v_cndmask_b32_e64 v4, v22, v4, s[8:9]
	v_lshlrev_b32_e32 v22, 24, v30
	v_lshlrev_b32_e32 v4, 20, v4
	v_and_b32_e32 v22, 0x80000000, v22
	v_lshl_add_u32 v5, v5, 23, v29
	v_or3_b32 v22, v22, v5, v4
.LBB391_274:                            ;   in Loop: Header=BB391_10 Depth=1
	s_or_b64 exec, exec, s[34:35]
.LBB391_275:                            ;   in Loop: Header=BB391_10 Depth=1
	s_or_b64 exec, exec, s[30:31]
.LBB391_276:                            ;   in Loop: Header=BB391_10 Depth=1
	s_or_b64 exec, exec, s[28:29]
	v_mul_f32_e32 v22, v15, v22
	v_and_b32_e32 v4, 0x7f800000, v22
	v_cmp_ne_u32_e64 s[8:9], s38, v4
                                        ; implicit-def: $vgpr61
	s_and_saveexec_b64 s[28:29], s[8:9]
	s_xor_b64 s[8:9], exec, s[28:29]
; %bb.277:                              ;   in Loop: Header=BB391_10 Depth=1
	v_bfe_u32 v4, v22, 16, 1
	v_add3_u32 v61, v22, v4, s39
                                        ; implicit-def: $vgpr22
; %bb.278:                              ;   in Loop: Header=BB391_10 Depth=1
	s_andn2_saveexec_b64 s[28:29], s[8:9]
; %bb.279:                              ;   in Loop: Header=BB391_10 Depth=1
	v_or_b32_e32 v4, 0x10000, v22
	v_cmp_eq_u32_sdwa s[8:9], v22, v23 src0_sel:WORD_0 src1_sel:DWORD
	v_cndmask_b32_e64 v61, v4, v22, s[8:9]
; %bb.280:                              ;   in Loop: Header=BB391_10 Depth=1
	s_or_b64 exec, exec, s[28:29]
	v_cmp_lt_u32_e64 s[8:9], s40, v28
	v_mov_b32_e32 v22, 0
	s_and_saveexec_b64 s[28:29], s[8:9]
	s_cbranch_execz .LBB391_286
; %bb.281:                              ;   in Loop: Header=BB391_10 Depth=1
	v_lshrrev_b32_e32 v30, 24, v28
	v_cmp_ne_u32_e64 s[8:9], s21, v30
	v_bfrev_b32_e32 v22, 1
	s_and_saveexec_b64 s[30:31], s[8:9]
	s_cbranch_execz .LBB391_285
; %bb.282:                              ;   in Loop: Header=BB391_10 Depth=1
	v_bfe_u32 v28, v28, 24, 7
	v_cmp_ne_u32_e64 s[8:9], s37, v28
	v_mov_b32_e32 v22, 0x7f800001
	s_and_saveexec_b64 s[34:35], s[8:9]
	s_cbranch_execz .LBB391_284
; %bb.283:                              ;   in Loop: Header=BB391_10 Depth=1
	v_and_b32_e32 v22, 7, v30
	v_ffbh_u32_e32 v4, v22
	v_min_u32_e32 v62, 32, v4
	v_subrev_u32_e32 v4, 28, v62
	v_lshlrev_b64 v[4:5], v4, v[30:31]
	v_lshrrev_b32_e32 v37, 3, v28
	v_sub_u32_e32 v5, 29, v62
	v_and_b32_e32 v4, 7, v4
	v_cmp_gt_u32_e64 s[8:9], 8, v28
	v_cndmask_b32_e64 v5, v37, v5, s[8:9]
	v_cndmask_b32_e64 v4, v22, v4, s[8:9]
	v_lshlrev_b32_e32 v22, 24, v30
	v_lshlrev_b32_e32 v4, 20, v4
	v_and_b32_e32 v22, 0x80000000, v22
	v_lshl_add_u32 v5, v5, 23, v29
	v_or3_b32 v22, v22, v5, v4
.LBB391_284:                            ;   in Loop: Header=BB391_10 Depth=1
	s_or_b64 exec, exec, s[34:35]
.LBB391_285:                            ;   in Loop: Header=BB391_10 Depth=1
	s_or_b64 exec, exec, s[30:31]
.LBB391_286:                            ;   in Loop: Header=BB391_10 Depth=1
	s_or_b64 exec, exec, s[28:29]
	v_mul_f32_e32 v22, v15, v22
	v_and_b32_e32 v4, 0x7f800000, v22
	v_cmp_ne_u32_e64 s[8:9], s38, v4
                                        ; implicit-def: $vgpr30
	s_and_saveexec_b64 s[28:29], s[8:9]
	s_xor_b64 s[8:9], exec, s[28:29]
; %bb.287:                              ;   in Loop: Header=BB391_10 Depth=1
	v_bfe_u32 v4, v22, 16, 1
	v_add3_u32 v30, v22, v4, s39
                                        ; implicit-def: $vgpr22
; %bb.288:                              ;   in Loop: Header=BB391_10 Depth=1
	s_andn2_saveexec_b64 s[28:29], s[8:9]
; %bb.289:                              ;   in Loop: Header=BB391_10 Depth=1
	v_or_b32_e32 v4, 0x10000, v22
	v_cmp_eq_u32_sdwa s[8:9], v22, v23 src0_sel:WORD_0 src1_sel:DWORD
	v_cndmask_b32_e64 v30, v4, v22, s[8:9]
; %bb.290:                              ;   in Loop: Header=BB391_10 Depth=1
	s_or_b64 exec, exec, s[28:29]
	flat_load_dword v20, v[20:21] offset:1544
	v_mov_b32_e32 v21, 0
	s_waitcnt vmcnt(0) lgkmcnt(0)
	v_cmp_ne_u16_sdwa s[8:9], v20, v23 src0_sel:BYTE_0 src1_sel:DWORD
	s_and_saveexec_b64 s[28:29], s[8:9]
	s_cbranch_execz .LBB391_296
; %bb.291:                              ;   in Loop: Header=BB391_10 Depth=1
	v_cmp_ne_u16_sdwa s[8:9], v20, s21 src0_sel:BYTE_0 src1_sel:DWORD
	v_bfrev_b32_e32 v21, 1
	s_and_saveexec_b64 s[30:31], s[8:9]
	s_cbranch_execz .LBB391_295
; %bb.292:                              ;   in Loop: Header=BB391_10 Depth=1
	v_and_b32_e32 v22, 0x7f, v20
	v_cmp_ne_u32_e64 s[8:9], s37, v22
	v_mov_b32_e32 v21, 0x7f800001
	s_and_saveexec_b64 s[34:35], s[8:9]
	s_cbranch_execz .LBB391_294
; %bb.293:                              ;   in Loop: Header=BB391_10 Depth=1
	v_and_b32_e32 v21, 7, v20
	v_ffbh_u32_e32 v4, v21
	v_min_u32_e32 v37, 32, v4
	v_subrev_u32_e32 v4, 28, v37
	v_lshlrev_b64 v[4:5], v4, v[20:21]
	v_lshrrev_b32_e32 v28, 3, v22
	v_sub_u32_e32 v5, 29, v37
	v_and_b32_e32 v4, 7, v4
	v_cmp_gt_u32_e64 s[8:9], 8, v22
	v_cndmask_b32_e64 v5, v28, v5, s[8:9]
	v_cndmask_b32_e64 v4, v21, v4, s[8:9]
	v_lshlrev_b32_e32 v21, 24, v20
	v_lshlrev_b32_e32 v4, 20, v4
	v_and_b32_e32 v21, 0x80000000, v21
	v_lshl_add_u32 v5, v5, 23, v29
	v_or3_b32 v21, v21, v5, v4
.LBB391_294:                            ;   in Loop: Header=BB391_10 Depth=1
	s_or_b64 exec, exec, s[34:35]
.LBB391_295:                            ;   in Loop: Header=BB391_10 Depth=1
	s_or_b64 exec, exec, s[30:31]
.LBB391_296:                            ;   in Loop: Header=BB391_10 Depth=1
	s_or_b64 exec, exec, s[28:29]
	v_mul_f32_e32 v22, v15, v21
	v_and_b32_e32 v4, 0x7f800000, v22
	v_cmp_ne_u32_e64 s[8:9], s38, v4
                                        ; implicit-def: $vgpr21
	s_and_saveexec_b64 s[28:29], s[8:9]
	s_xor_b64 s[8:9], exec, s[28:29]
; %bb.297:                              ;   in Loop: Header=BB391_10 Depth=1
	v_bfe_u32 v4, v22, 16, 1
	v_add3_u32 v21, v22, v4, s39
                                        ; implicit-def: $vgpr22
; %bb.298:                              ;   in Loop: Header=BB391_10 Depth=1
	s_andn2_saveexec_b64 s[28:29], s[8:9]
; %bb.299:                              ;   in Loop: Header=BB391_10 Depth=1
	v_or_b32_e32 v4, 0x10000, v22
	v_cmp_eq_u32_sdwa s[8:9], v22, v23 src0_sel:WORD_0 src1_sel:DWORD
	v_cndmask_b32_e64 v21, v4, v22, s[8:9]
; %bb.300:                              ;   in Loop: Header=BB391_10 Depth=1
	s_or_b64 exec, exec, s[28:29]
	v_lshrrev_b16_e32 v28, 8, v20
	v_cmp_ne_u16_e64 s[8:9], 0, v28
	v_mov_b32_e32 v22, 0
	s_and_saveexec_b64 s[28:29], s[8:9]
	s_cbranch_execz .LBB391_306
; %bb.301:                              ;   in Loop: Header=BB391_10 Depth=1
	v_cmp_ne_u16_e64 s[8:9], s21, v28
	v_bfrev_b32_e32 v22, 1
	s_and_saveexec_b64 s[30:31], s[8:9]
	s_cbranch_execz .LBB391_305
; %bb.302:                              ;   in Loop: Header=BB391_10 Depth=1
	v_and_b32_e32 v37, 0x7f, v28
	v_cmp_ne_u32_e64 s[8:9], s37, v37
	v_mov_b32_e32 v22, 0x7f800001
	s_and_saveexec_b64 s[34:35], s[8:9]
	s_cbranch_execz .LBB391_304
; %bb.303:                              ;   in Loop: Header=BB391_10 Depth=1
	v_and_b32_e32 v22, 7, v28
	v_ffbh_u32_e32 v4, v22
	v_min_u32_e32 v33, 32, v4
	v_subrev_u32_e32 v4, 28, v33
	v_lshlrev_b64 v[4:5], v4, v[28:29]
	v_lshrrev_b32_e32 v62, 3, v37
	v_sub_u32_e32 v5, 29, v33
	v_and_b32_e32 v4, 7, v4
	v_cmp_gt_u32_e64 s[8:9], 8, v37
	v_cndmask_b32_e64 v5, v62, v5, s[8:9]
	v_cndmask_b32_e64 v4, v22, v4, s[8:9]
	v_lshlrev_b32_e32 v22, 16, v20
	v_lshlrev_b32_e32 v4, 20, v4
	v_and_b32_e32 v22, 0x80000000, v22
	v_lshl_add_u32 v5, v5, 23, v29
	v_or3_b32 v22, v22, v5, v4
.LBB391_304:                            ;   in Loop: Header=BB391_10 Depth=1
	s_or_b64 exec, exec, s[34:35]
.LBB391_305:                            ;   in Loop: Header=BB391_10 Depth=1
	s_or_b64 exec, exec, s[30:31]
.LBB391_306:                            ;   in Loop: Header=BB391_10 Depth=1
	s_or_b64 exec, exec, s[28:29]
	v_mul_f32_e32 v22, v15, v22
	v_and_b32_e32 v4, 0x7f800000, v22
	v_cmp_ne_u32_e64 s[8:9], s38, v4
                                        ; implicit-def: $vgpr62
	s_and_saveexec_b64 s[28:29], s[8:9]
	s_xor_b64 s[8:9], exec, s[28:29]
; %bb.307:                              ;   in Loop: Header=BB391_10 Depth=1
	v_bfe_u32 v4, v22, 16, 1
	v_add3_u32 v62, v22, v4, s39
                                        ; implicit-def: $vgpr22
; %bb.308:                              ;   in Loop: Header=BB391_10 Depth=1
	s_andn2_saveexec_b64 s[28:29], s[8:9]
; %bb.309:                              ;   in Loop: Header=BB391_10 Depth=1
	v_or_b32_e32 v4, 0x10000, v22
	v_cmp_eq_u32_sdwa s[8:9], v22, v23 src0_sel:WORD_0 src1_sel:DWORD
	v_cndmask_b32_e64 v62, v4, v22, s[8:9]
; %bb.310:                              ;   in Loop: Header=BB391_10 Depth=1
	s_or_b64 exec, exec, s[28:29]
	v_lshrrev_b32_e32 v28, 16, v20
	v_cmp_ne_u16_sdwa s[8:9], v28, v23 src0_sel:BYTE_0 src1_sel:DWORD
	v_mov_b32_e32 v22, 0
	s_and_saveexec_b64 s[28:29], s[8:9]
	s_cbranch_execz .LBB391_316
; %bb.311:                              ;   in Loop: Header=BB391_10 Depth=1
	v_cmp_ne_u16_sdwa s[8:9], v28, s21 src0_sel:BYTE_0 src1_sel:DWORD
	v_bfrev_b32_e32 v22, 1
	s_and_saveexec_b64 s[30:31], s[8:9]
	s_cbranch_execz .LBB391_315
; %bb.312:                              ;   in Loop: Header=BB391_10 Depth=1
	v_bfe_u32 v37, v20, 16, 7
	v_cmp_ne_u32_e64 s[8:9], s37, v37
	v_mov_b32_e32 v22, 0x7f800001
	s_and_saveexec_b64 s[34:35], s[8:9]
	s_cbranch_execz .LBB391_314
; %bb.313:                              ;   in Loop: Header=BB391_10 Depth=1
	v_and_b32_e32 v22, 7, v28
	v_ffbh_u32_e32 v4, v22
	v_min_u32_e32 v35, 32, v4
	v_subrev_u32_e32 v4, 28, v35
	v_lshlrev_b64 v[4:5], v4, v[28:29]
	v_lshrrev_b32_e32 v33, 3, v37
	v_sub_u32_e32 v5, 29, v35
	v_and_b32_e32 v4, 7, v4
	v_cmp_gt_u32_e64 s[8:9], 8, v37
	v_cndmask_b32_e64 v5, v33, v5, s[8:9]
	v_cndmask_b32_e64 v4, v22, v4, s[8:9]
	v_lshlrev_b32_e32 v22, 24, v28
	v_lshlrev_b32_e32 v4, 20, v4
	v_and_b32_e32 v22, 0x80000000, v22
	v_lshl_add_u32 v5, v5, 23, v29
	v_or3_b32 v22, v22, v5, v4
.LBB391_314:                            ;   in Loop: Header=BB391_10 Depth=1
	s_or_b64 exec, exec, s[34:35]
.LBB391_315:                            ;   in Loop: Header=BB391_10 Depth=1
	s_or_b64 exec, exec, s[30:31]
.LBB391_316:                            ;   in Loop: Header=BB391_10 Depth=1
	s_or_b64 exec, exec, s[28:29]
	v_mul_f32_e32 v28, v15, v22
	v_and_b32_e32 v4, 0x7f800000, v28
	v_cmp_ne_u32_e64 s[8:9], s38, v4
                                        ; implicit-def: $vgpr22
	s_and_saveexec_b64 s[28:29], s[8:9]
	s_xor_b64 s[8:9], exec, s[28:29]
; %bb.317:                              ;   in Loop: Header=BB391_10 Depth=1
	v_bfe_u32 v4, v28, 16, 1
	v_add3_u32 v22, v28, v4, s39
                                        ; implicit-def: $vgpr28
; %bb.318:                              ;   in Loop: Header=BB391_10 Depth=1
	s_andn2_saveexec_b64 s[28:29], s[8:9]
; %bb.319:                              ;   in Loop: Header=BB391_10 Depth=1
	v_or_b32_e32 v4, 0x10000, v28
	v_cmp_eq_u32_sdwa s[8:9], v28, v23 src0_sel:WORD_0 src1_sel:DWORD
	v_cndmask_b32_e64 v22, v4, v28, s[8:9]
; %bb.320:                              ;   in Loop: Header=BB391_10 Depth=1
	s_or_b64 exec, exec, s[28:29]
	v_cmp_lt_u32_e64 s[8:9], s40, v20
	v_mov_b32_e32 v37, 0
	s_and_saveexec_b64 s[28:29], s[8:9]
	s_cbranch_execz .LBB391_326
; %bb.321:                              ;   in Loop: Header=BB391_10 Depth=1
	v_lshrrev_b32_e32 v28, 24, v20
	v_cmp_ne_u32_e64 s[8:9], s21, v28
	v_bfrev_b32_e32 v37, 1
	s_and_saveexec_b64 s[30:31], s[8:9]
	s_cbranch_execz .LBB391_325
; %bb.322:                              ;   in Loop: Header=BB391_10 Depth=1
	v_bfe_u32 v20, v20, 24, 7
	v_cmp_ne_u32_e64 s[8:9], s37, v20
	v_mov_b32_e32 v37, 0x7f800001
	s_and_saveexec_b64 s[34:35], s[8:9]
	s_cbranch_execz .LBB391_324
; %bb.323:                              ;   in Loop: Header=BB391_10 Depth=1
	v_and_b32_e32 v33, 7, v28
	v_ffbh_u32_e32 v4, v33
	v_min_u32_e32 v37, 32, v4
	v_subrev_u32_e32 v4, 28, v37
	v_lshlrev_b64 v[4:5], v4, v[28:29]
	v_lshrrev_b32_e32 v35, 3, v20
	v_sub_u32_e32 v5, 29, v37
	v_and_b32_e32 v4, 7, v4
	v_cmp_gt_u32_e64 s[8:9], 8, v20
	v_cndmask_b32_e64 v5, v35, v5, s[8:9]
	v_cndmask_b32_e64 v4, v33, v4, s[8:9]
	v_lshlrev_b32_e32 v20, 24, v28
	v_lshlrev_b32_e32 v4, 20, v4
	v_and_b32_e32 v20, 0x80000000, v20
	v_lshl_add_u32 v5, v5, 23, v29
	v_or3_b32 v37, v20, v5, v4
.LBB391_324:                            ;   in Loop: Header=BB391_10 Depth=1
	s_or_b64 exec, exec, s[34:35]
.LBB391_325:                            ;   in Loop: Header=BB391_10 Depth=1
	s_or_b64 exec, exec, s[30:31]
.LBB391_326:                            ;   in Loop: Header=BB391_10 Depth=1
	s_or_b64 exec, exec, s[28:29]
	v_mul_f32_e32 v20, v15, v37
	v_and_b32_e32 v4, 0x7f800000, v20
	v_cmp_ne_u32_e64 s[8:9], s38, v4
                                        ; implicit-def: $vgpr15
	s_and_saveexec_b64 s[28:29], s[8:9]
	s_xor_b64 s[8:9], exec, s[28:29]
; %bb.327:                              ;   in Loop: Header=BB391_10 Depth=1
	v_bfe_u32 v4, v20, 16, 1
	v_add3_u32 v15, v20, v4, s39
                                        ; implicit-def: $vgpr20
; %bb.328:                              ;   in Loop: Header=BB391_10 Depth=1
	s_andn2_saveexec_b64 s[28:29], s[8:9]
; %bb.329:                              ;   in Loop: Header=BB391_10 Depth=1
	v_or_b32_e32 v4, 0x10000, v20
	v_cmp_eq_u32_sdwa s[8:9], v20, v23 src0_sel:WORD_0 src1_sel:DWORD
	v_cndmask_b32_e64 v15, v4, v20, s[8:9]
; %bb.330:                              ;   in Loop: Header=BB391_10 Depth=1
	s_or_b64 exec, exec, s[28:29]
	v_and_b32_e32 v4, 0xffff0000, v48
	v_and_b32_e32 v5, 0xffff0000, v14
	v_accvgpr_read_b32 v14, a28
	v_mul_f32_e32 v4, v14, v4
	v_accvgpr_read_b32 v14, a23
	v_fmac_f32_e32 v4, v14, v5
	v_and_b32_e32 v5, 0xffff0000, v12
	v_accvgpr_read_b32 v14, a29
	v_and_b32_e32 v12, 0xffff0000, v31
	v_mul_f32_e32 v5, v14, v5
	v_accvgpr_read_b32 v14, a25
	v_fmac_f32_e32 v5, v14, v12
	v_and_b32_e32 v12, 0xffff0000, v49
	v_accvgpr_read_b32 v20, a30
	v_and_b32_e32 v14, 0xffff0000, v26
	;; [unrolled: 6-line block ×3, first 2 shown]
	v_mul_f32_e32 v14, v26, v14
	v_accvgpr_read_b32 v26, a27
	v_fmac_f32_e32 v14, v26, v20
	v_and_b32_e32 v20, 0xffff0000, v51
	v_and_b32_e32 v51, 0xffff0000, v43
	;; [unrolled: 1-line block ×3, first 2 shown]
	v_accvgpr_read_b32 v43, a33
	v_and_b32_e32 v53, 0xffff0000, v53
	v_fmac_f32_e32 v5, v43, v52
	v_accvgpr_read_b32 v52, a34
	v_accvgpr_read_b32 v26, a32
	v_and_b32_e32 v54, 0xffff0000, v54
	v_fmac_f32_e32 v12, v52, v53
	v_accvgpr_read_b32 v52, a35
	v_fmac_f32_e32 v4, v26, v20
	v_and_b32_e32 v55, 0xffff0000, v55
	v_fmac_f32_e32 v14, v52, v54
	v_accvgpr_read_b32 v52, a36
	v_and_b32_e32 v40, 0xffff0000, v40
	v_fmac_f32_e32 v4, v52, v55
	v_accvgpr_read_b32 v52, a37
	;; [unrolled: 3-line block ×4, first 2 shown]
	v_fmac_f32_e32 v14, v52, v42
	v_accvgpr_read_b32 v52, a40
	v_and_b32_e32 v50, 0xffff0000, v44
	v_fmac_f32_e32 v4, v52, v51
	v_accvgpr_read_b32 v51, a41
	v_and_b32_e32 v48, 0xffff0000, v45
	;; [unrolled: 3-line block ×8, first 2 shown]
	v_and_b32_e32 v30, 0xffff0000, v59
	v_fmac_f32_e32 v14, v31, v33
	v_accvgpr_read_b32 v31, a48
	v_and_b32_e32 v28, 0xffff0000, v60
	v_fmac_f32_e32 v4, v31, v30
	v_accvgpr_read_b32 v30, a49
	v_and_b32_e32 v20, 0xffff0000, v62
	v_and_b32_e32 v21, 0xffff0000, v21
	;; [unrolled: 1-line block ×3, first 2 shown]
	v_fmac_f32_e32 v5, v30, v28
	v_accvgpr_read_b32 v28, a50
	v_and_b32_e32 v22, 0xffff0000, v22
	v_fmac_f32_e32 v12, v28, v26
	v_fmac_f32_e32 v4, v7, v21
	;; [unrolled: 1-line block ×3, first 2 shown]
	v_and_b32_e32 v15, 0xffff0000, v15
	v_fmac_f32_e32 v14, v6, v27
	v_fmac_f32_e32 v12, v34, v22
	v_add_f32_e32 v4, v4, v5
	v_fmac_f32_e32 v14, v10, v15
	v_add_f32_e32 v4, v4, v12
	v_add_f32_e32 v12, v14, v4
	ds_bpermute_b32 v14, v1, v12
	s_and_saveexec_b64 s[28:29], vcc
	s_cbranch_execz .LBB391_9
; %bb.331:                              ;   in Loop: Header=BB391_10 Depth=1
	v_accvgpr_read_b32 v4, a51
	v_add_u32_e32 v4, v4, v3
	v_cvt_f32_i32_e32 v4, v4
	s_load_dword s8, s[24:25], 0x0
	s_waitcnt lgkmcnt(0)
	v_add_f32_e32 v5, v12, v14
	v_mul_f32_e32 v4, v38, v4
	v_cndmask_b32_e64 v4, 0, v4, s[6:7]
	v_add_u32_e32 v12, s8, v2
	v_fmac_f32_e32 v4, v5, v13
	v_cmp_lt_i32_e64 s[8:9], v3, v32
	v_cndmask_b32_e64 v5, 0, v4, s[8:9]
	ds_write_b32 v12, v5
	v_max_f32_e32 v5, v11, v11
	v_max_f32_e32 v4, v5, v4
	v_cndmask_b32_e64 v11, v11, v4, s[8:9]
	s_branch .LBB391_9
.LBB391_332:
	s_or_b64 exec, exec, s[26:27]
	v_accvgpr_read_b32 v27, a9
	v_accvgpr_read_b32 v20, a0
	;; [unrolled: 1-line block ×5, first 2 shown]
	s_waitcnt lgkmcnt(0)
	v_accvgpr_read_b32 v14, a6
	v_accvgpr_read_b32 v26, a8
	;; [unrolled: 1-line block ×14, first 2 shown]
.LBB391_333:
	s_or_b64 exec, exec, s[10:11]
	v_xor_b32_e32 v0, 32, v39
	v_cmp_lt_i32_e32 vcc, v0, v10
	v_cndmask_b32_e32 v0, v39, v0, vcc
	v_lshlrev_b32_e32 v2, 2, v0
	ds_bpermute_b32 v0, v2, v11
	v_xor_b32_e32 v3, 16, v39
	v_max_f32_e32 v1, v11, v11
	v_cmp_lt_i32_e32 vcc, v3, v10
	v_xor_b32_e32 v4, 8, v39
	s_waitcnt lgkmcnt(0)
	v_max_f32_e32 v0, v0, v0
	v_max_f32_e32 v0, v1, v0
	v_cndmask_b32_e32 v1, v39, v3, vcc
	v_lshlrev_b32_e32 v3, 2, v1
	ds_bpermute_b32 v1, v3, v0
	v_cmp_lt_i32_e32 vcc, v4, v10
	v_xor_b32_e32 v5, 4, v39
	v_xor_b32_e32 v6, 2, v39
	v_and_b32_e32 v21, 63, v30
	s_waitcnt lgkmcnt(0)
	v_max_f32_e32 v1, v1, v1
	v_max_f32_e32 v0, v0, v1
	v_cndmask_b32_e32 v1, v39, v4, vcc
	v_lshlrev_b32_e32 v4, 2, v1
	ds_bpermute_b32 v1, v4, v0
	v_cmp_lt_i32_e32 vcc, v5, v10
	s_lshr_b32 s23, s23, 16
	s_waitcnt lgkmcnt(0)
	v_max_f32_e32 v1, v1, v1
	v_max_f32_e32 v0, v0, v1
	v_cndmask_b32_e32 v1, v39, v5, vcc
	v_lshlrev_b32_e32 v5, 2, v1
	ds_bpermute_b32 v1, v5, v0
	v_cmp_lt_i32_e32 vcc, v6, v10
	s_waitcnt lgkmcnt(0)
	v_max_f32_e32 v1, v1, v1
	v_max_f32_e32 v0, v0, v1
	v_cndmask_b32_e32 v1, v39, v6, vcc
	v_lshlrev_b32_e32 v23, 2, v1
	ds_bpermute_b32 v1, v23, v0
	v_cmp_eq_u32_e32 vcc, 0, v21
	v_lshlrev_b32_e32 v6, 2, v28
	s_and_saveexec_b64 s[6:7], vcc
	s_cbranch_execz .LBB391_335
; %bb.334:
	s_waitcnt lgkmcnt(0)
	v_max_f32_e32 v1, v1, v1
	v_max_f32_e32 v0, v0, v0
	;; [unrolled: 1-line block ×3, first 2 shown]
	ds_write_b32 v6, v0 offset:128
.LBB391_335:
	s_or_b64 exec, exec, s[6:7]
	v_cmp_gt_u32_e64 s[6:7], 2, v21
	v_mov_b32_e32 v0, 0xff7fffff
	v_lshlrev_b32_e32 v7, 2, v21
	s_waitcnt lgkmcnt(0)
	s_barrier
	s_and_saveexec_b64 s[8:9], s[6:7]
	s_cbranch_execz .LBB391_337
; %bb.336:
	ds_read_b32 v0, v7 offset:128
.LBB391_337:
	s_or_b64 exec, exec, s[8:9]
	v_xor_b32_e32 v1, 1, v39
	v_cmp_lt_i32_e64 s[8:9], v1, v10
	v_cndmask_b32_e64 v1, v39, v1, s[8:9]
	v_lshlrev_b32_e32 v24, 2, v1
	s_waitcnt lgkmcnt(0)
	ds_bpermute_b32 v1, v24, v0
	v_accvgpr_read_b32 v8, a3
	v_max_f32_e32 v0, v0, v0
	v_subrev_u32_e32 v8, s15, v8
	v_lshl_add_u32 v9, v8, 5, s36
	s_waitcnt lgkmcnt(0)
	v_max_f32_e32 v1, v1, v1
	v_max_f32_e32 v0, v0, v1
	v_lshlrev_b32_e32 v1, 2, v39
	v_and_b32_e32 v8, 0xffffff00, v1
	ds_bpermute_b32 v0, v8, v0
	v_min_i32_e32 v9, v9, v32
	v_subrev_u32_e32 v1, s36, v9
	v_cmp_lt_i32_e64 s[8:9], v30, v1
	v_mov_b32_e32 v10, 0
	s_and_saveexec_b64 s[24:25], s[8:9]
	s_cbranch_execz .LBB391_341
; %bb.338:
	s_ashr_i32 s21, s20, 31
	s_lshl_b64 s[10:11], s[20:21], 2
	s_getpc_b64 s[26:27]
	s_add_u32 s26, s26, llvm.amdgcn.dynlds.offset.table@rel32@lo+4
	s_addc_u32 s27, s27, llvm.amdgcn.dynlds.offset.table@rel32@hi+12
	s_add_u32 s10, s10, s26
	s_addc_u32 s11, s11, s27
	s_load_dword s10, s[10:11], 0x0
	s_mov_b64 s[26:27], 0
	v_mov_b32_e32 v10, 0
	v_mov_b32_e32 v12, v30
	s_waitcnt lgkmcnt(0)
	v_lshl_add_u32 v11, v30, 2, s10
.LBB391_339:                            ; =>This Inner Loop Header: Depth=1
	ds_read_b32 v13, v11
	v_add_u32_e32 v12, 0x80, v12
	v_cmp_ge_i32_e64 s[10:11], v12, v1
	s_or_b64 s[26:27], s[10:11], s[26:27]
	s_waitcnt lgkmcnt(0)
	v_sub_f32_e32 v13, v13, v0
	v_mul_f32_e32 v13, 0x3fb8aa3b, v13
	v_exp_f32_e32 v13, v13
	ds_write_b32 v11, v13
	v_add_f32_e32 v10, v10, v13
	v_add_u32_e32 v11, 0x200, v11
	s_andn2_b64 exec, exec, s[26:27]
	s_cbranch_execnz .LBB391_339
; %bb.340:
	s_or_b64 exec, exec, s[26:27]
.LBB391_341:
	s_or_b64 exec, exec, s[24:25]
	ds_bpermute_b32 v2, v2, v10
	s_waitcnt lgkmcnt(0)
	v_add_f32_e32 v2, v10, v2
	ds_bpermute_b32 v3, v3, v2
	s_waitcnt lgkmcnt(0)
	v_add_f32_e32 v2, v2, v3
	;; [unrolled: 3-line block ×6, first 2 shown]
	s_and_saveexec_b64 s[10:11], vcc
	s_cbranch_execz .LBB391_343
; %bb.342:
	ds_write_b32 v6, v2 offset:136
.LBB391_343:
	s_or_b64 exec, exec, s[10:11]
	s_waitcnt lgkmcnt(0)
	s_barrier
	s_and_saveexec_b64 s[10:11], s[6:7]
	s_cbranch_execz .LBB391_345
; %bb.344:
	ds_read_b32 v2, v7 offset:136
.LBB391_345:
	s_or_b64 exec, exec, s[10:11]
	s_waitcnt lgkmcnt(0)
	ds_bpermute_b32 v3, v24, v2
	s_waitcnt lgkmcnt(0)
	v_add_f32_e32 v2, v2, v3
	ds_bpermute_b32 v2, v8, v2
	s_and_saveexec_b64 s[6:7], s[8:9]
	s_cbranch_execz .LBB391_358
; %bb.346:
	s_waitcnt lgkmcnt(0)
	v_add_f32_e32 v3, 0x358637bd, v2
	v_div_scale_f32 v4, s[8:9], v3, v3, 1.0
	v_rcp_f32_e32 v5, v4
	v_div_scale_f32 v6, vcc, 1.0, v3, 1.0
	s_movk_i32 s8, 0x7f
	v_fma_f32 v7, -v4, v5, 1.0
	v_fmac_f32_e32 v5, v7, v5
	v_mul_f32_e32 v7, v6, v5
	v_fma_f32 v8, -v4, v7, v6
	v_fmac_f32_e32 v7, v8, v5
	v_fma_f32 v4, -v4, v7, v6
	v_div_fmas_f32 v4, v4, v5, v7
	v_div_fixup_f32 v8, v4, v3, 1.0
	v_xad_u32 v3, v30, -1, v9
	v_subrev_u32_e32 v4, s36, v3
	v_cmp_lt_u32_e32 vcc, s8, v4
	s_mov_b64 s[10:11], -1
	v_mov_b32_e32 v3, v30
	s_and_saveexec_b64 s[8:9], vcc
	s_cbranch_execz .LBB391_355
; %bb.347:
	v_lshrrev_b32_e32 v3, 7, v4
	v_add_u32_e32 v5, -1, v3
	v_lshrrev_b32_e32 v4, 1, v5
	v_mov_b32_e32 v9, v8
	v_add_u32_e32 v4, 1, v4
	v_cmp_lt_u32_e32 vcc, 13, v5
	v_mov_b32_e32 v7, 0
	s_and_saveexec_b64 s[10:11], vcc
	s_cbranch_execz .LBB391_351
; %bb.348:
	s_ashr_i32 s21, s20, 31
	s_lshl_b64 s[24:25], s[20:21], 2
	s_getpc_b64 s[26:27]
	s_add_u32 s26, s26, llvm.amdgcn.dynlds.offset.table@rel32@lo+4
	s_addc_u32 s27, s27, llvm.amdgcn.dynlds.offset.table@rel32@hi+12
	s_add_u32 s24, s24, s26
	s_addc_u32 s25, s25, s27
	s_load_dword s21, s[24:25], 0x0
	v_mov_b32_e32 v25, v28
	v_and_b32_e32 v5, -8, v4
	s_mov_b32 s15, 0
	s_mov_b64 s[24:25], 0
	s_waitcnt lgkmcnt(0)
	v_lshl_add_u32 v6, v30, 2, s21
.LBB391_349:                            ; =>This Inner Loop Header: Depth=1
	ds_read2st64_b32 v[10:11], v6 offset1:2
	ds_read2st64_b32 v[12:13], v6 offset0:4 offset1:6
	ds_read2st64_b32 v[28:29], v6 offset0:8 offset1:10
	;; [unrolled: 1-line block ×3, first 2 shown]
	v_add_u32_e32 v5, -8, v5
	s_waitcnt lgkmcnt(0)
	v_pk_mul_f32 v[10:11], v[8:9], v[10:11]
	v_pk_mul_f32 v[12:13], v[8:9], v[12:13]
	ds_write2st64_b32 v6, v10, v11 offset1:2
	ds_write2st64_b32 v6, v12, v13 offset0:4 offset1:6
	ds_read2st64_b32 v[12:13], v6 offset0:16 offset1:18
	v_pk_mul_f32 v[10:11], v[8:9], v[28:29]
	ds_write2st64_b32 v6, v10, v11 offset0:8 offset1:10
	v_pk_mul_f32 v[10:11], v[8:9], v[18:19]
	ds_write2st64_b32 v6, v10, v11 offset0:12 offset1:14
	ds_read2st64_b32 v[10:11], v6 offset0:20 offset1:22
	s_waitcnt lgkmcnt(0)
	v_pk_mul_f32 v[12:13], v[8:9], v[12:13]
	ds_read2st64_b32 v[18:19], v6 offset0:24 offset1:26
	ds_write2st64_b32 v6, v12, v13 offset0:16 offset1:18
	ds_read2st64_b32 v[12:13], v6 offset0:28 offset1:30
	v_pk_mul_f32 v[10:11], v[8:9], v[10:11]
	ds_write2st64_b32 v6, v10, v11 offset0:20 offset1:22
	s_waitcnt lgkmcnt(0)
	v_pk_mul_f32 v[10:11], v[8:9], v[18:19]
	ds_write2st64_b32 v6, v10, v11 offset0:24 offset1:26
	v_pk_mul_f32 v[10:11], v[8:9], v[12:13]
	s_add_i32 s15, s15, 16
	v_cmp_eq_u32_e32 vcc, 0, v5
	ds_write2st64_b32 v6, v10, v11 offset0:28 offset1:30
	v_add_u32_e32 v6, 0x2000, v6
	s_or_b64 s[24:25], vcc, s[24:25]
	v_mov_b32_e32 v7, s15
	s_andn2_b64 exec, exec, s[24:25]
	s_cbranch_execnz .LBB391_349
; %bb.350:
	s_or_b64 exec, exec, s[24:25]
	v_mov_b32_e32 v28, v25
.LBB391_351:
	s_or_b64 exec, exec, s[10:11]
	v_and_b32_e32 v4, 7, v4
	v_cmp_ne_u32_e32 vcc, 0, v4
	s_and_saveexec_b64 s[10:11], vcc
	s_cbranch_execz .LBB391_354
; %bb.352:
	s_ashr_i32 s21, s20, 31
	s_lshl_b64 s[24:25], s[20:21], 2
	s_getpc_b64 s[26:27]
	s_add_u32 s26, s26, llvm.amdgcn.dynlds.offset.table@rel32@lo+4
	s_addc_u32 s27, s27, llvm.amdgcn.dynlds.offset.table@rel32@hi+12
	s_add_u32 s24, s24, s26
	s_addc_u32 s25, s25, s27
	s_load_dword s15, s[24:25], 0x0
	v_lshlrev_b32_e32 v5, 9, v7
	v_lshlrev_b32_e32 v6, 2, v30
	s_mov_b64 s[24:25], 0
	s_waitcnt lgkmcnt(0)
	v_add3_u32 v5, v5, v6, s15
.LBB391_353:                            ; =>This Inner Loop Header: Depth=1
	ds_read2st64_b32 v[6:7], v5 offset1:2
	v_add_u32_e32 v4, -1, v4
	v_cmp_eq_u32_e32 vcc, 0, v4
	s_or_b64 s[24:25], vcc, s[24:25]
	s_waitcnt lgkmcnt(0)
	v_pk_mul_f32 v[6:7], v[8:9], v[6:7]
	ds_write2st64_b32 v5, v6, v7 offset1:2
	v_add_u32_e32 v5, 0x400, v5
	s_andn2_b64 exec, exec, s[24:25]
	s_cbranch_execnz .LBB391_353
.LBB391_354:
	s_or_b64 exec, exec, s[10:11]
	v_add_u32_e32 v4, 1, v3
	v_and_b32_e32 v5, 0x3fffffe, v4
	v_cmp_ne_u32_e32 vcc, v4, v5
	v_lshl_add_u32 v3, v5, 7, v30
	s_orn2_b64 s[10:11], vcc, exec
.LBB391_355:
	s_or_b64 exec, exec, s[8:9]
	s_and_b64 exec, exec, s[10:11]
	s_cbranch_execz .LBB391_358
; %bb.356:
	s_ashr_i32 s21, s20, 31
	s_lshl_b64 s[8:9], s[20:21], 2
	s_getpc_b64 s[10:11]
	s_add_u32 s10, s10, llvm.amdgcn.dynlds.offset.table@rel32@lo+4
	s_addc_u32 s11, s11, llvm.amdgcn.dynlds.offset.table@rel32@hi+12
	s_add_u32 s8, s8, s10
	s_addc_u32 s9, s9, s11
	s_load_dword s8, s[8:9], 0x0
	s_waitcnt lgkmcnt(0)
	v_lshl_add_u32 v4, v3, 2, s8
	s_mov_b64 s[8:9], 0
.LBB391_357:                            ; =>This Inner Loop Header: Depth=1
	ds_read_b32 v5, v4
	v_add_u32_e32 v3, 0x80, v3
	v_cmp_ge_i32_e32 vcc, v3, v1
	s_or_b64 s[8:9], vcc, s[8:9]
	s_waitcnt lgkmcnt(0)
	v_mul_f32_e32 v5, v8, v5
	ds_write_b32 v4, v5
	v_add_u32_e32 v4, 0x200, v4
	s_andn2_b64 exec, exec, s[8:9]
	s_cbranch_execnz .LBB391_357
.LBB391_358:
	s_or_b64 exec, exec, s[6:7]
	v_cmp_ne_u16_e64 s[6:7], s23, 0
	s_cmp_lg_u64 s[6:7], 0
	s_addc_u32 s23, s13, 0
	v_cmp_eq_u32_e32 vcc, 0, v30
	s_waitcnt lgkmcnt(0)
	s_barrier
	s_and_saveexec_b64 s[6:7], vcc
	s_cbranch_execz .LBB391_360
; %bb.359:
	s_mul_i32 s8, s23, s18
	s_mul_i32 s8, s8, s19
	;; [unrolled: 1-line block ×3, first 2 shown]
	s_ashr_i32 s9, s8, 31
	s_ashr_i32 s11, s10, 31
	;; [unrolled: 1-line block ×3, first 2 shown]
	s_lshl_b64 s[8:9], s[8:9], 2
	s_lshl_b64 s[10:11], s[10:11], 2
	;; [unrolled: 1-line block ×3, first 2 shown]
	s_add_u32 s10, s12, s10
	s_addc_u32 s11, s13, s11
	s_add_u32 s8, s10, s8
	s_addc_u32 s9, s11, s9
	v_mov_b32_e32 v1, s9
	v_add_co_u32_e32 v4, vcc, s8, v48
	v_addc_co_u32_e32 v5, vcc, v1, v37, vcc
	flat_store_dword v[4:5], v0
	v_add_co_u32_e32 v0, vcc, s8, v36
	v_addc_co_u32_e32 v1, vcc, v1, v35, vcc
	flat_store_dword v[0:1], v2
.LBB391_360:
	s_or_b64 exec, exec, s[6:7]
	v_mov_b32_e32 v13, 0
	v_and_b32_e32 v8, 3, v30
	v_mov_b32_e32 v12, 0
	v_mov_b32_e32 v19, 0
	;; [unrolled: 1-line block ×3, first 2 shown]
	s_and_saveexec_b64 s[6:7], s[4:5]
	s_cbranch_execz .LBB391_852
; %bb.361:
	flat_load_dword v26, v[26:27]
	v_add_co_u32_e32 v0, vcc, v34, v50
	s_ashr_i32 s21, s20, 31
	v_addc_co_u32_e32 v1, vcc, v33, v51, vcc
	v_and_b32_e32 v3, 0x1f8, v31
	s_lshl_b64 s[4:5], s[20:21], 2
	v_add_co_u32_e32 v0, vcc, v0, v3
	s_getpc_b64 s[8:9]
	s_add_u32 s8, s8, llvm.amdgcn.dynlds.offset.table@rel32@lo+4
	s_addc_u32 s9, s9, llvm.amdgcn.dynlds.offset.table@rel32@hi+12
	v_addc_co_u32_e32 v1, vcc, 0, v1, vcc
	s_add_u32 s4, s4, s8
	v_accvgpr_write_b32 a11, v1
	s_addc_u32 s5, s5, s9
	v_accvgpr_write_b32 a10, v0
	v_lshlrev_b64 v[0:1], 2, v[16:17]
	v_accvgpr_read_b32 v4, a18
	s_load_dword s4, s[4:5], 0x0
	v_accvgpr_read_b32 v5, a19
	v_add_co_u32_e32 v0, vcc, v4, v0
	v_addc_co_u32_e32 v1, vcc, v5, v1, vcc
	v_and_b32_e32 v2, 24, v31
	v_add_co_u32_e32 v14, vcc, v14, v0
	v_lshl_add_u32 v0, v28, 5, s36
	v_add3_u32 v17, v0, v2, 7
	v_lshlrev_b32_e32 v0, 5, v8
	s_mov_b32 s8, -1
	v_add_u32_e32 v48, -1, v49
	v_lshl_or_b32 v0, v28, 7, v0
	v_accvgpr_write_b32 a7, v24
	v_accvgpr_write_b32 a6, v23
	v_accvgpr_write_b32 a5, v21
	v_accvgpr_write_b32 a2, v30
	v_accvgpr_write_b32 a1, v22
	v_accvgpr_write_b32 a0, v20
	s_mov_b32 s9, 0xffffff
	v_mov_b32_e32 v11, 0
	v_addc_co_u32_e32 v15, vcc, v15, v1, vcc
	v_accvgpr_write_b32 a8, v8
	s_waitcnt lgkmcnt(0)
	v_add_u32_e32 v30, s4, v0
	s_mov_b64 s[10:11], 0
	s_mov_b32 s15, 0x7f800000
	s_movk_i32 s21, 0x7fff
	s_movk_i32 s28, 0x80
	s_movk_i32 s29, 0x7f
	v_bfrev_b32_e32 v39, 60
	v_mov_b32_e32 v18, 0
	v_mov_b32_e32 v19, 0
	;; [unrolled: 1-line block ×4, first 2 shown]
	v_accvgpr_write_b32 a9, v48
	s_branch .LBB391_363
.LBB391_362:                            ;   in Loop: Header=BB391_363 Depth=1
	s_or_b64 exec, exec, s[4:5]
	v_and_b32_e32 v24, 0xffff0000, v36
	v_and_b32_e32 v36, 0xffff0000, v35
	;; [unrolled: 1-line block ×8, first 2 shown]
	v_pk_add_f32 v[8:9], v[8:9], v[34:35]
	v_pk_add_f32 v[24:25], v[36:37], v[24:25]
	v_add_f32_e32 v7, v8, v9
	v_add_f32_e32 v7, v7, v24
	v_and_b32_e32 v35, 0xffff0000, v31
	v_and_b32_e32 v34, 0xffff0000, v27
	;; [unrolled: 1-line block ×4, first 2 shown]
	v_add_f32_e32 v7, v7, v25
	v_and_b32_e32 v9, 0xffff0000, v57
	v_and_b32_e32 v8, 0xffff0000, v47
	;; [unrolled: 1-line block ×4, first 2 shown]
	v_pk_add_f32 v[34:35], v[36:37], v[34:35]
	v_pk_add_f32 v[8:9], v[24:25], v[8:9]
	v_add_f32_e32 v5, v34, v35
	v_add_f32_e32 v5, v5, v8
	;; [unrolled: 1-line block ×4, first 2 shown]
	v_and_b32_e32 v9, 0xffff0000, v28
	v_and_b32_e32 v7, 0xffff0000, v59
	;; [unrolled: 1-line block ×8, first 2 shown]
	v_pk_add_f32 v[6:7], v[28:29], v[6:7]
	v_pk_add_f32 v[8:9], v[24:25], v[8:9]
	v_add_f32_e32 v3, v6, v7
	v_add_f32_e32 v3, v3, v8
	v_add_f32_e32 v3, v3, v9
	v_and_b32_e32 v9, 0xffff0000, v20
	v_and_b32_e32 v8, 0xffff0000, v1
	;; [unrolled: 1-line block ×4, first 2 shown]
	v_add_f32_e32 v12, v12, v3
	v_and_b32_e32 v3, 0xffff0000, v2
	v_and_b32_e32 v2, 0xffff0000, v21
	;; [unrolled: 1-line block ×4, first 2 shown]
	v_pk_add_f32 v[0:1], v[0:1], v[8:9]
	v_pk_add_f32 v[2:3], v[6:7], v[2:3]
	v_add_f32_e32 v0, v0, v1
	v_add_f32_e32 v0, v0, v2
	;; [unrolled: 1-line block ×3, first 2 shown]
	v_add_co_u32_e32 v14, vcc, 8, v14
	v_add_f32_e32 v13, v13, v0
	v_add_u32_e32 v16, 2, v16
	v_addc_co_u32_e32 v15, vcc, 0, v15, vcc
	v_accvgpr_read_b32 v0, a3
	v_cmp_ge_i32_e32 vcc, v16, v0
	v_add_f32_e32 v19, v19, v5
	v_add_u32_e32 v17, 64, v17
	s_or_b64 s[10:11], vcc, s[10:11]
	v_add_u32_e32 v30, 0x100, v30
	s_andn2_b64 exec, exec, s[10:11]
	s_cbranch_execz .LBB391_851
.LBB391_363:                            ; =>This Inner Loop Header: Depth=1
	flat_load_dword v4, v[14:15]
	ds_read2_b64 v[6:9], v30 offset1:1
	ds_read2_b64 v[0:3], v30 offset0:2 offset1:3
                                        ; implicit-def: $vgpr36
	s_waitcnt lgkmcnt(0)
	v_and_b32_e32 v5, 0x7f800000, v6
	v_cmp_ne_u32_e32 vcc, s15, v5
	s_and_saveexec_b64 s[4:5], vcc
	s_xor_b64 s[4:5], exec, s[4:5]
; %bb.364:                              ;   in Loop: Header=BB391_363 Depth=1
	v_bfe_u32 v5, v6, 16, 1
	v_add3_u32 v36, v6, v5, s21
; %bb.365:                              ;   in Loop: Header=BB391_363 Depth=1
	s_andn2_saveexec_b64 s[4:5], s[4:5]
; %bb.366:                              ;   in Loop: Header=BB391_363 Depth=1
	v_or_b32_e32 v5, 0x10000, v6
	v_cmp_eq_u32_sdwa vcc, v6, v11 src0_sel:WORD_0 src1_sel:DWORD
	v_cndmask_b32_e32 v36, v5, v6, vcc
; %bb.367:                              ;   in Loop: Header=BB391_363 Depth=1
	s_or_b64 exec, exec, s[4:5]
	v_and_b32_e32 v5, 0x7f800000, v7
	v_cmp_ne_u32_e32 vcc, s15, v5
                                        ; implicit-def: $vgpr35
	s_and_saveexec_b64 s[4:5], vcc
	s_xor_b64 s[4:5], exec, s[4:5]
; %bb.368:                              ;   in Loop: Header=BB391_363 Depth=1
	v_bfe_u32 v5, v7, 16, 1
	v_add3_u32 v35, v7, v5, s21
; %bb.369:                              ;   in Loop: Header=BB391_363 Depth=1
	s_andn2_saveexec_b64 s[4:5], s[4:5]
; %bb.370:                              ;   in Loop: Header=BB391_363 Depth=1
	v_or_b32_e32 v5, 0x10000, v7
	v_cmp_eq_u32_sdwa vcc, v7, v11 src0_sel:WORD_0 src1_sel:DWORD
	v_cndmask_b32_e32 v35, v5, v7, vcc
; %bb.371:                              ;   in Loop: Header=BB391_363 Depth=1
	s_or_b64 exec, exec, s[4:5]
	v_and_b32_e32 v5, 0x7f800000, v8
	v_cmp_ne_u32_e32 vcc, s15, v5
                                        ; implicit-def: $vgpr34
	s_and_saveexec_b64 s[4:5], vcc
	s_xor_b64 s[4:5], exec, s[4:5]
; %bb.372:                              ;   in Loop: Header=BB391_363 Depth=1
	v_bfe_u32 v5, v8, 16, 1
	v_add3_u32 v34, v8, v5, s21
; %bb.373:                              ;   in Loop: Header=BB391_363 Depth=1
	s_andn2_saveexec_b64 s[4:5], s[4:5]
; %bb.374:                              ;   in Loop: Header=BB391_363 Depth=1
	v_or_b32_e32 v5, 0x10000, v8
	v_cmp_eq_u32_sdwa vcc, v8, v11 src0_sel:WORD_0 src1_sel:DWORD
	v_cndmask_b32_e32 v34, v5, v8, vcc
; %bb.375:                              ;   in Loop: Header=BB391_363 Depth=1
	s_or_b64 exec, exec, s[4:5]
	v_and_b32_e32 v5, 0x7f800000, v9
	v_cmp_ne_u32_e32 vcc, s15, v5
                                        ; implicit-def: $vgpr31
	s_and_saveexec_b64 s[4:5], vcc
	s_xor_b64 s[4:5], exec, s[4:5]
; %bb.376:                              ;   in Loop: Header=BB391_363 Depth=1
	v_bfe_u32 v5, v9, 16, 1
	v_add3_u32 v31, v9, v5, s21
                                        ; implicit-def: $vgpr6_vgpr7_vgpr8_vgpr9
; %bb.377:                              ;   in Loop: Header=BB391_363 Depth=1
	s_andn2_saveexec_b64 s[4:5], s[4:5]
; %bb.378:                              ;   in Loop: Header=BB391_363 Depth=1
	v_or_b32_e32 v5, 0x10000, v9
	v_cmp_eq_u32_sdwa vcc, v9, v11 src0_sel:WORD_0 src1_sel:DWORD
	v_cndmask_b32_e32 v31, v5, v9, vcc
; %bb.379:                              ;   in Loop: Header=BB391_363 Depth=1
	s_or_b64 exec, exec, s[4:5]
	v_and_b32_e32 v5, 0x7f800000, v0
	v_cmp_ne_u32_e32 vcc, s15, v5
                                        ; implicit-def: $vgpr29
	s_and_saveexec_b64 s[4:5], vcc
	s_xor_b64 s[4:5], exec, s[4:5]
; %bb.380:                              ;   in Loop: Header=BB391_363 Depth=1
	v_bfe_u32 v5, v0, 16, 1
	v_add3_u32 v29, v0, v5, s21
; %bb.381:                              ;   in Loop: Header=BB391_363 Depth=1
	s_andn2_saveexec_b64 s[4:5], s[4:5]
; %bb.382:                              ;   in Loop: Header=BB391_363 Depth=1
	v_or_b32_e32 v5, 0x10000, v0
	v_cmp_eq_u32_sdwa vcc, v0, v11 src0_sel:WORD_0 src1_sel:DWORD
	v_cndmask_b32_e32 v29, v5, v0, vcc
; %bb.383:                              ;   in Loop: Header=BB391_363 Depth=1
	s_or_b64 exec, exec, s[4:5]
	v_and_b32_e32 v0, 0x7f800000, v1
	v_cmp_ne_u32_e32 vcc, s15, v0
                                        ; implicit-def: $vgpr28
	s_and_saveexec_b64 s[4:5], vcc
	s_xor_b64 s[4:5], exec, s[4:5]
; %bb.384:                              ;   in Loop: Header=BB391_363 Depth=1
	v_bfe_u32 v0, v1, 16, 1
	v_add3_u32 v28, v1, v0, s21
; %bb.385:                              ;   in Loop: Header=BB391_363 Depth=1
	s_andn2_saveexec_b64 s[4:5], s[4:5]
; %bb.386:                              ;   in Loop: Header=BB391_363 Depth=1
	v_or_b32_e32 v0, 0x10000, v1
	v_cmp_eq_u32_sdwa vcc, v1, v11 src0_sel:WORD_0 src1_sel:DWORD
	v_cndmask_b32_e32 v28, v0, v1, vcc
; %bb.387:                              ;   in Loop: Header=BB391_363 Depth=1
	s_or_b64 exec, exec, s[4:5]
	v_and_b32_e32 v0, 0x7f800000, v2
	v_cmp_ne_u32_e32 vcc, s15, v0
                                        ; implicit-def: $vgpr27
	s_and_saveexec_b64 s[4:5], vcc
	s_xor_b64 s[4:5], exec, s[4:5]
; %bb.388:                              ;   in Loop: Header=BB391_363 Depth=1
	v_bfe_u32 v0, v2, 16, 1
	v_add3_u32 v27, v2, v0, s21
; %bb.389:                              ;   in Loop: Header=BB391_363 Depth=1
	s_andn2_saveexec_b64 s[4:5], s[4:5]
; %bb.390:                              ;   in Loop: Header=BB391_363 Depth=1
	v_or_b32_e32 v0, 0x10000, v2
	v_cmp_eq_u32_sdwa vcc, v2, v11 src0_sel:WORD_0 src1_sel:DWORD
	v_cndmask_b32_e32 v27, v0, v2, vcc
; %bb.391:                              ;   in Loop: Header=BB391_363 Depth=1
	s_or_b64 exec, exec, s[4:5]
	v_and_b32_e32 v0, 0x7f800000, v3
	v_cmp_ne_u32_e32 vcc, s15, v0
                                        ; implicit-def: $vgpr5
	s_and_saveexec_b64 s[4:5], vcc
	s_xor_b64 s[4:5], exec, s[4:5]
; %bb.392:                              ;   in Loop: Header=BB391_363 Depth=1
	v_bfe_u32 v0, v3, 16, 1
	v_add3_u32 v5, v3, v0, s21
                                        ; implicit-def: $vgpr0_vgpr1_vgpr2_vgpr3
; %bb.393:                              ;   in Loop: Header=BB391_363 Depth=1
	s_andn2_saveexec_b64 s[4:5], s[4:5]
; %bb.394:                              ;   in Loop: Header=BB391_363 Depth=1
	v_or_b32_e32 v0, 0x10000, v3
	v_cmp_eq_u32_sdwa vcc, v3, v11 src0_sel:WORD_0 src1_sel:DWORD
	v_cndmask_b32_e32 v5, v0, v3, vcc
; %bb.395:                              ;   in Loop: Header=BB391_363 Depth=1
	s_or_b64 exec, exec, s[4:5]
	v_accvgpr_read_b32 v2, a10
	v_accvgpr_read_b32 v0, a4
	;; [unrolled: 1-line block ×3, first 2 shown]
	s_waitcnt vmcnt(0)
	v_mad_i64_i32 v[0:1], s[4:5], v4, v0, v[2:3]
	flat_load_dwordx2 v[2:3], v[0:1]
	v_mov_b32_e32 v4, 0
	s_waitcnt vmcnt(0) lgkmcnt(0)
	v_cmp_ne_u16_sdwa s[12:13], v2, v11 src0_sel:BYTE_0 src1_sel:DWORD
	s_and_saveexec_b64 s[4:5], s[12:13]
	s_cbranch_execz .LBB391_401
; %bb.396:                              ;   in Loop: Header=BB391_363 Depth=1
	v_cmp_ne_u16_sdwa s[24:25], v2, s28 src0_sel:BYTE_0 src1_sel:DWORD
	v_bfrev_b32_e32 v4, 1
	s_and_saveexec_b64 s[12:13], s[24:25]
	s_cbranch_execz .LBB391_400
; %bb.397:                              ;   in Loop: Header=BB391_363 Depth=1
	v_and_b32_e32 v6, 0x7f, v2
	v_cmp_ne_u32_e32 vcc, s29, v6
	v_mov_b32_e32 v4, 0x7f800001
	s_and_saveexec_b64 s[24:25], vcc
	s_cbranch_execz .LBB391_399
; %bb.398:                              ;   in Loop: Header=BB391_363 Depth=1
	v_and_b32_e32 v4, 7, v2
	v_ffbh_u32_e32 v4, v4
	v_min_u32_e32 v4, 32, v4
	v_subrev_u32_e32 v8, 28, v4
	v_cmp_gt_u32_e32 vcc, 8, v6
	v_lshrrev_b32_e32 v7, 3, v6
	v_sub_u32_e32 v4, 29, v4
	v_cndmask_b32_e32 v6, 0, v8, vcc
	v_cndmask_b32_e32 v4, v7, v4, vcc
	v_lshlrev_b64 v[6:7], v6, v[2:3]
	v_lshlrev_b32_e32 v6, 20, v6
	v_lshlrev_b32_e32 v7, 24, v2
	v_and_b32_e32 v6, 0x700000, v6
	v_and_b32_e32 v7, 0x80000000, v7
	v_lshl_add_u32 v4, v4, 23, v39
	v_or3_b32 v4, v7, v4, v6
.LBB391_399:                            ;   in Loop: Header=BB391_363 Depth=1
	s_or_b64 exec, exec, s[24:25]
.LBB391_400:                            ;   in Loop: Header=BB391_363 Depth=1
	s_or_b64 exec, exec, s[12:13]
.LBB391_401:                            ;   in Loop: Header=BB391_363 Depth=1
	s_or_b64 exec, exec, s[4:5]
	v_mul_f32_e32 v4, v26, v4
	v_and_b32_e32 v6, 0x7f800000, v4
	v_cmp_ne_u32_e32 vcc, s15, v6
                                        ; implicit-def: $vgpr7
	s_and_saveexec_b64 s[4:5], vcc
	s_xor_b64 s[4:5], exec, s[4:5]
; %bb.402:                              ;   in Loop: Header=BB391_363 Depth=1
	v_bfe_u32 v6, v4, 16, 1
	v_add3_u32 v7, v4, v6, s21
                                        ; implicit-def: $vgpr4
; %bb.403:                              ;   in Loop: Header=BB391_363 Depth=1
	s_andn2_saveexec_b64 s[4:5], s[4:5]
; %bb.404:                              ;   in Loop: Header=BB391_363 Depth=1
	v_or_b32_e32 v6, 0x10000, v4
	v_cmp_eq_u32_sdwa vcc, v4, v11 src0_sel:WORD_0 src1_sel:DWORD
	v_cndmask_b32_e32 v7, v6, v4, vcc
; %bb.405:                              ;   in Loop: Header=BB391_363 Depth=1
	s_or_b64 exec, exec, s[4:5]
	v_lshrrev_b16_e32 v6, 8, v2
	v_cmp_ne_u16_e32 vcc, 0, v6
	v_mov_b32_e32 v4, 0
	s_and_saveexec_b64 s[4:5], vcc
	s_cbranch_execz .LBB391_411
; %bb.406:                              ;   in Loop: Header=BB391_363 Depth=1
	v_cmp_ne_u16_e32 vcc, s28, v6
	v_bfrev_b32_e32 v4, 1
	s_and_saveexec_b64 s[12:13], vcc
	s_cbranch_execz .LBB391_410
; %bb.407:                              ;   in Loop: Header=BB391_363 Depth=1
	v_and_b32_e32 v8, 0x7f, v6
	v_cmp_ne_u32_e32 vcc, s29, v8
	v_mov_b32_e32 v4, 0x7f800001
	s_and_saveexec_b64 s[24:25], vcc
	s_cbranch_execz .LBB391_409
; %bb.408:                              ;   in Loop: Header=BB391_363 Depth=1
	v_and_b32_e32 v4, 7, v6
	v_ffbh_u32_e32 v10, v4
	v_min_u32_e32 v10, 32, v10
	v_subrev_u32_e32 v20, 28, v10
	v_lshlrev_b64 v[20:21], v20, v[6:7]
	v_lshrrev_b32_e32 v9, 3, v8
	v_sub_u32_e32 v6, 29, v10
	v_and_b32_e32 v10, 7, v20
	v_cmp_gt_u32_e32 vcc, 8, v8
	v_cndmask_b32_e32 v6, v9, v6, vcc
	v_cndmask_b32_e32 v4, v4, v10, vcc
	v_lshlrev_b32_e32 v8, 16, v2
	v_lshlrev_b32_e32 v4, 20, v4
	v_and_b32_e32 v8, 0x80000000, v8
	v_lshl_add_u32 v6, v6, 23, v39
	v_or3_b32 v4, v8, v6, v4
.LBB391_409:                            ;   in Loop: Header=BB391_363 Depth=1
	s_or_b64 exec, exec, s[24:25]
.LBB391_410:                            ;   in Loop: Header=BB391_363 Depth=1
	s_or_b64 exec, exec, s[12:13]
.LBB391_411:                            ;   in Loop: Header=BB391_363 Depth=1
	s_or_b64 exec, exec, s[4:5]
	v_mul_f32_e32 v4, v26, v4
	v_and_b32_e32 v6, 0x7f800000, v4
	v_cmp_ne_u32_e32 vcc, s15, v6
                                        ; implicit-def: $vgpr8
	s_and_saveexec_b64 s[4:5], vcc
	s_xor_b64 s[4:5], exec, s[4:5]
; %bb.412:                              ;   in Loop: Header=BB391_363 Depth=1
	v_bfe_u32 v6, v4, 16, 1
	v_add3_u32 v8, v4, v6, s21
                                        ; implicit-def: $vgpr4
; %bb.413:                              ;   in Loop: Header=BB391_363 Depth=1
	s_andn2_saveexec_b64 s[4:5], s[4:5]
; %bb.414:                              ;   in Loop: Header=BB391_363 Depth=1
	v_or_b32_e32 v6, 0x10000, v4
	v_cmp_eq_u32_sdwa vcc, v4, v11 src0_sel:WORD_0 src1_sel:DWORD
	v_cndmask_b32_e32 v8, v6, v4, vcc
; %bb.415:                              ;   in Loop: Header=BB391_363 Depth=1
	s_or_b64 exec, exec, s[4:5]
	v_lshrrev_b32_e32 v6, 16, v2
	v_cmp_ne_u16_sdwa s[12:13], v6, v11 src0_sel:BYTE_0 src1_sel:DWORD
	v_mov_b32_e32 v4, 0
	s_and_saveexec_b64 s[4:5], s[12:13]
	s_cbranch_execz .LBB391_421
; %bb.416:                              ;   in Loop: Header=BB391_363 Depth=1
	v_cmp_ne_u16_sdwa s[24:25], v6, s28 src0_sel:BYTE_0 src1_sel:DWORD
	v_bfrev_b32_e32 v4, 1
	s_and_saveexec_b64 s[12:13], s[24:25]
	s_cbranch_execz .LBB391_420
; %bb.417:                              ;   in Loop: Header=BB391_363 Depth=1
	v_bfe_u32 v9, v2, 16, 7
	v_cmp_ne_u32_e32 vcc, s29, v9
	v_mov_b32_e32 v4, 0x7f800001
	s_and_saveexec_b64 s[24:25], vcc
	s_cbranch_execz .LBB391_419
; %bb.418:                              ;   in Loop: Header=BB391_363 Depth=1
	v_and_b32_e32 v4, 7, v6
	v_ffbh_u32_e32 v20, v4
	v_min_u32_e32 v22, 32, v20
	v_subrev_u32_e32 v20, 28, v22
	v_lshlrev_b64 v[20:21], v20, v[6:7]
	v_lshrrev_b32_e32 v10, 3, v9
	v_sub_u32_e32 v21, 29, v22
	v_and_b32_e32 v20, 7, v20
	v_cmp_gt_u32_e32 vcc, 8, v9
	v_cndmask_b32_e32 v9, v10, v21, vcc
	v_cndmask_b32_e32 v4, v4, v20, vcc
	v_lshlrev_b32_e32 v6, 24, v6
	v_lshlrev_b32_e32 v4, 20, v4
	v_and_b32_e32 v6, 0x80000000, v6
	v_lshl_add_u32 v9, v9, 23, v39
	v_or3_b32 v4, v6, v9, v4
.LBB391_419:                            ;   in Loop: Header=BB391_363 Depth=1
	s_or_b64 exec, exec, s[24:25]
.LBB391_420:                            ;   in Loop: Header=BB391_363 Depth=1
	s_or_b64 exec, exec, s[12:13]
.LBB391_421:                            ;   in Loop: Header=BB391_363 Depth=1
	s_or_b64 exec, exec, s[4:5]
	v_mul_f32_e32 v4, v26, v4
	v_and_b32_e32 v6, 0x7f800000, v4
	v_cmp_ne_u32_e32 vcc, s15, v6
                                        ; implicit-def: $vgpr9
	s_and_saveexec_b64 s[4:5], vcc
	s_xor_b64 s[4:5], exec, s[4:5]
; %bb.422:                              ;   in Loop: Header=BB391_363 Depth=1
	v_bfe_u32 v6, v4, 16, 1
	v_add3_u32 v9, v4, v6, s21
                                        ; implicit-def: $vgpr4
; %bb.423:                              ;   in Loop: Header=BB391_363 Depth=1
	s_andn2_saveexec_b64 s[4:5], s[4:5]
; %bb.424:                              ;   in Loop: Header=BB391_363 Depth=1
	v_or_b32_e32 v6, 0x10000, v4
	v_cmp_eq_u32_sdwa vcc, v4, v11 src0_sel:WORD_0 src1_sel:DWORD
	v_cndmask_b32_e32 v9, v6, v4, vcc
; %bb.425:                              ;   in Loop: Header=BB391_363 Depth=1
	s_or_b64 exec, exec, s[4:5]
	v_cmp_lt_u32_e32 vcc, s9, v2
	v_mov_b32_e32 v4, 0
	s_and_saveexec_b64 s[4:5], vcc
	s_cbranch_execz .LBB391_431
; %bb.426:                              ;   in Loop: Header=BB391_363 Depth=1
	v_lshrrev_b32_e32 v6, 24, v2
	v_cmp_ne_u32_e32 vcc, s28, v6
	v_bfrev_b32_e32 v4, 1
	s_and_saveexec_b64 s[12:13], vcc
	s_cbranch_execz .LBB391_430
; %bb.427:                              ;   in Loop: Header=BB391_363 Depth=1
	v_bfe_u32 v10, v2, 24, 7
	v_cmp_ne_u32_e32 vcc, s29, v10
	v_mov_b32_e32 v4, 0x7f800001
	s_and_saveexec_b64 s[24:25], vcc
	s_cbranch_execz .LBB391_429
; %bb.428:                              ;   in Loop: Header=BB391_363 Depth=1
	v_and_b32_e32 v4, 7, v6
	v_ffbh_u32_e32 v20, v4
	v_min_u32_e32 v23, 32, v20
	v_subrev_u32_e32 v20, 28, v23
	v_lshlrev_b64 v[20:21], v20, v[6:7]
	v_lshrrev_b32_e32 v22, 3, v10
	v_sub_u32_e32 v21, 29, v23
	v_and_b32_e32 v20, 7, v20
	v_cmp_gt_u32_e32 vcc, 8, v10
	v_cndmask_b32_e32 v10, v22, v21, vcc
	v_cndmask_b32_e32 v4, v4, v20, vcc
	v_lshlrev_b32_e32 v6, 24, v6
	v_lshlrev_b32_e32 v4, 20, v4
	v_and_b32_e32 v6, 0x80000000, v6
	v_lshl_add_u32 v10, v10, 23, v39
	v_or3_b32 v4, v6, v10, v4
.LBB391_429:                            ;   in Loop: Header=BB391_363 Depth=1
	s_or_b64 exec, exec, s[24:25]
.LBB391_430:                            ;   in Loop: Header=BB391_363 Depth=1
	s_or_b64 exec, exec, s[12:13]
.LBB391_431:                            ;   in Loop: Header=BB391_363 Depth=1
	s_or_b64 exec, exec, s[4:5]
	v_mul_f32_e32 v4, v26, v4
	v_and_b32_e32 v6, 0x7f800000, v4
	v_cmp_ne_u32_e32 vcc, s15, v6
                                        ; implicit-def: $vgpr23
	s_and_saveexec_b64 s[4:5], vcc
	s_xor_b64 s[4:5], exec, s[4:5]
; %bb.432:                              ;   in Loop: Header=BB391_363 Depth=1
	v_bfe_u32 v6, v4, 16, 1
	v_add3_u32 v23, v4, v6, s21
                                        ; implicit-def: $vgpr4
; %bb.433:                              ;   in Loop: Header=BB391_363 Depth=1
	s_andn2_saveexec_b64 s[4:5], s[4:5]
; %bb.434:                              ;   in Loop: Header=BB391_363 Depth=1
	v_or_b32_e32 v6, 0x10000, v4
	v_cmp_eq_u32_sdwa vcc, v4, v11 src0_sel:WORD_0 src1_sel:DWORD
	v_cndmask_b32_e32 v23, v6, v4, vcc
; %bb.435:                              ;   in Loop: Header=BB391_363 Depth=1
	s_or_b64 exec, exec, s[4:5]
	v_mov_b32_e32 v10, v3
	v_cmp_ne_u16_sdwa s[12:13], v3, v11 src0_sel:BYTE_0 src1_sel:DWORD
	v_mov_b32_e32 v4, 0
	s_and_saveexec_b64 s[4:5], s[12:13]
	s_cbranch_execz .LBB391_441
; %bb.436:                              ;   in Loop: Header=BB391_363 Depth=1
	v_cmp_ne_u16_sdwa s[24:25], v3, s28 src0_sel:BYTE_0 src1_sel:DWORD
	v_bfrev_b32_e32 v4, 1
	s_and_saveexec_b64 s[12:13], s[24:25]
	s_cbranch_execz .LBB391_440
; %bb.437:                              ;   in Loop: Header=BB391_363 Depth=1
	v_and_b32_e32 v6, 0x7f, v3
	v_cmp_ne_u32_e32 vcc, s29, v6
	v_mov_b32_e32 v4, 0x7f800001
	s_and_saveexec_b64 s[24:25], vcc
	s_cbranch_execz .LBB391_439
; %bb.438:                              ;   in Loop: Header=BB391_363 Depth=1
	v_and_b32_e32 v4, 7, v3
	v_ffbh_u32_e32 v4, v4
	v_min_u32_e32 v4, 32, v4
	v_subrev_u32_e32 v21, 28, v4
	v_cmp_gt_u32_e32 vcc, 8, v6
	v_lshrrev_b32_e32 v20, 3, v6
	v_sub_u32_e32 v4, 29, v4
	v_cndmask_b32_e32 v6, 0, v21, vcc
	v_cndmask_b32_e32 v4, v20, v4, vcc
	v_lshlrev_b64 v[20:21], v6, v[10:11]
	v_lshlrev_b32_e32 v6, 20, v20
	v_lshlrev_b32_e32 v20, 24, v10
	v_and_b32_e32 v6, 0x700000, v6
	v_and_b32_e32 v20, 0x80000000, v20
	v_lshl_add_u32 v4, v4, 23, v39
	v_or3_b32 v4, v20, v4, v6
.LBB391_439:                            ;   in Loop: Header=BB391_363 Depth=1
	s_or_b64 exec, exec, s[24:25]
.LBB391_440:                            ;   in Loop: Header=BB391_363 Depth=1
	s_or_b64 exec, exec, s[12:13]
.LBB391_441:                            ;   in Loop: Header=BB391_363 Depth=1
	s_or_b64 exec, exec, s[4:5]
	v_mul_f32_e32 v6, v26, v4
	v_and_b32_e32 v4, 0x7f800000, v6
	v_cmp_ne_u32_e32 vcc, s15, v4
                                        ; implicit-def: $vgpr4
	s_and_saveexec_b64 s[4:5], vcc
	s_xor_b64 s[4:5], exec, s[4:5]
; %bb.442:                              ;   in Loop: Header=BB391_363 Depth=1
	v_bfe_u32 v4, v6, 16, 1
	v_add3_u32 v4, v6, v4, s21
                                        ; implicit-def: $vgpr6
; %bb.443:                              ;   in Loop: Header=BB391_363 Depth=1
	s_andn2_saveexec_b64 s[4:5], s[4:5]
; %bb.444:                              ;   in Loop: Header=BB391_363 Depth=1
	v_or_b32_e32 v4, 0x10000, v6
	v_cmp_eq_u32_sdwa vcc, v6, v11 src0_sel:WORD_0 src1_sel:DWORD
	v_cndmask_b32_e32 v4, v4, v6, vcc
; %bb.445:                              ;   in Loop: Header=BB391_363 Depth=1
	s_or_b64 exec, exec, s[4:5]
	v_lshrrev_b16_e32 v6, 8, v10
	v_cmp_ne_u16_e32 vcc, 0, v6
	v_mov_b32_e32 v20, 0
	s_and_saveexec_b64 s[4:5], vcc
	s_cbranch_execz .LBB391_451
; %bb.446:                              ;   in Loop: Header=BB391_363 Depth=1
	v_cmp_ne_u16_e32 vcc, s28, v6
	v_bfrev_b32_e32 v20, 1
	s_and_saveexec_b64 s[12:13], vcc
	s_cbranch_execz .LBB391_450
; %bb.447:                              ;   in Loop: Header=BB391_363 Depth=1
	v_and_b32_e32 v21, 0x7f, v6
	v_cmp_ne_u32_e32 vcc, s29, v21
	v_mov_b32_e32 v20, 0x7f800001
	s_and_saveexec_b64 s[24:25], vcc
	s_cbranch_execz .LBB391_449
; %bb.448:                              ;   in Loop: Header=BB391_363 Depth=1
	v_and_b32_e32 v20, 7, v6
	v_ffbh_u32_e32 v24, v20
	v_min_u32_e32 v33, 32, v24
	v_subrev_u32_e32 v24, 28, v33
	v_lshlrev_b64 v[24:25], v24, v[6:7]
	v_lshrrev_b32_e32 v22, 3, v21
	v_sub_u32_e32 v6, 29, v33
	v_and_b32_e32 v24, 7, v24
	v_cmp_gt_u32_e32 vcc, 8, v21
	v_cndmask_b32_e32 v6, v22, v6, vcc
	v_cndmask_b32_e32 v20, v20, v24, vcc
	v_lshlrev_b32_e32 v10, 16, v10
	v_lshlrev_b32_e32 v20, 20, v20
	v_and_b32_e32 v10, 0x80000000, v10
	v_lshl_add_u32 v6, v6, 23, v39
	v_or3_b32 v20, v10, v6, v20
.LBB391_449:                            ;   in Loop: Header=BB391_363 Depth=1
	s_or_b64 exec, exec, s[24:25]
.LBB391_450:                            ;   in Loop: Header=BB391_363 Depth=1
	s_or_b64 exec, exec, s[12:13]
.LBB391_451:                            ;   in Loop: Header=BB391_363 Depth=1
	s_or_b64 exec, exec, s[4:5]
	v_mul_f32_e32 v6, v26, v20
	v_and_b32_e32 v10, 0x7f800000, v6
	v_cmp_ne_u32_e32 vcc, s15, v10
                                        ; implicit-def: $vgpr10
	s_and_saveexec_b64 s[4:5], vcc
	s_xor_b64 s[4:5], exec, s[4:5]
; %bb.452:                              ;   in Loop: Header=BB391_363 Depth=1
	v_bfe_u32 v10, v6, 16, 1
	v_add3_u32 v10, v6, v10, s21
                                        ; implicit-def: $vgpr6
; %bb.453:                              ;   in Loop: Header=BB391_363 Depth=1
	s_andn2_saveexec_b64 s[4:5], s[4:5]
; %bb.454:                              ;   in Loop: Header=BB391_363 Depth=1
	v_or_b32_e32 v10, 0x10000, v6
	v_cmp_eq_u32_sdwa vcc, v6, v11 src0_sel:WORD_0 src1_sel:DWORD
	v_cndmask_b32_e32 v10, v10, v6, vcc
; %bb.455:                              ;   in Loop: Header=BB391_363 Depth=1
	s_or_b64 exec, exec, s[4:5]
	v_lshrrev_b32_e32 v6, 16, v3
	v_cmp_ne_u16_sdwa s[12:13], v6, v11 src0_sel:BYTE_0 src1_sel:DWORD
	v_mov_b32_e32 v20, 0
	s_and_saveexec_b64 s[4:5], s[12:13]
	s_cbranch_execz .LBB391_461
; %bb.456:                              ;   in Loop: Header=BB391_363 Depth=1
	v_cmp_ne_u16_sdwa s[24:25], v6, s28 src0_sel:BYTE_0 src1_sel:DWORD
	v_bfrev_b32_e32 v20, 1
	s_and_saveexec_b64 s[12:13], s[24:25]
	s_cbranch_execz .LBB391_460
; %bb.457:                              ;   in Loop: Header=BB391_363 Depth=1
	v_bfe_u32 v21, v3, 16, 7
	v_cmp_ne_u32_e32 vcc, s29, v21
	v_mov_b32_e32 v20, 0x7f800001
	s_and_saveexec_b64 s[24:25], vcc
	s_cbranch_execz .LBB391_459
; %bb.458:                              ;   in Loop: Header=BB391_363 Depth=1
	v_and_b32_e32 v20, 7, v6
	v_ffbh_u32_e32 v24, v20
	v_min_u32_e32 v33, 32, v24
	v_subrev_u32_e32 v24, 28, v33
	v_lshlrev_b64 v[24:25], v24, v[6:7]
	v_lshrrev_b32_e32 v22, 3, v21
	v_sub_u32_e32 v25, 29, v33
	v_and_b32_e32 v24, 7, v24
	v_cmp_gt_u32_e32 vcc, 8, v21
	v_cndmask_b32_e32 v21, v22, v25, vcc
	v_cndmask_b32_e32 v20, v20, v24, vcc
	v_lshlrev_b32_e32 v6, 24, v6
	v_lshlrev_b32_e32 v20, 20, v20
	v_and_b32_e32 v6, 0x80000000, v6
	v_lshl_add_u32 v21, v21, 23, v39
	v_or3_b32 v20, v6, v21, v20
.LBB391_459:                            ;   in Loop: Header=BB391_363 Depth=1
	s_or_b64 exec, exec, s[24:25]
.LBB391_460:                            ;   in Loop: Header=BB391_363 Depth=1
	s_or_b64 exec, exec, s[12:13]
.LBB391_461:                            ;   in Loop: Header=BB391_363 Depth=1
	s_or_b64 exec, exec, s[4:5]
	v_mul_f32_e32 v6, v26, v20
	v_and_b32_e32 v20, 0x7f800000, v6
	v_cmp_ne_u32_e32 vcc, s15, v20
                                        ; implicit-def: $vgpr20
	s_and_saveexec_b64 s[4:5], vcc
	s_xor_b64 s[4:5], exec, s[4:5]
; %bb.462:                              ;   in Loop: Header=BB391_363 Depth=1
	v_bfe_u32 v20, v6, 16, 1
	v_add3_u32 v20, v6, v20, s21
                                        ; implicit-def: $vgpr6
; %bb.463:                              ;   in Loop: Header=BB391_363 Depth=1
	s_andn2_saveexec_b64 s[4:5], s[4:5]
; %bb.464:                              ;   in Loop: Header=BB391_363 Depth=1
	v_or_b32_e32 v20, 0x10000, v6
	v_cmp_eq_u32_sdwa vcc, v6, v11 src0_sel:WORD_0 src1_sel:DWORD
	v_cndmask_b32_e32 v20, v20, v6, vcc
; %bb.465:                              ;   in Loop: Header=BB391_363 Depth=1
	s_or_b64 exec, exec, s[4:5]
	v_cmp_lt_u64_e32 vcc, s[8:9], v[2:3]
	v_mov_b32_e32 v6, 0
	s_and_saveexec_b64 s[4:5], vcc
	s_cbranch_execz .LBB391_471
; %bb.466:                              ;   in Loop: Header=BB391_363 Depth=1
	v_lshrrev_b32_e32 v2, 24, v3
	v_cmp_ne_u32_e32 vcc, s28, v2
	v_bfrev_b32_e32 v6, 1
	s_and_saveexec_b64 s[12:13], vcc
	s_cbranch_execz .LBB391_470
; %bb.467:                              ;   in Loop: Header=BB391_363 Depth=1
	v_bfe_u32 v3, v3, 24, 7
	v_cmp_ne_u32_e32 vcc, s29, v3
	v_mov_b32_e32 v6, 0x7f800001
	s_and_saveexec_b64 s[24:25], vcc
	s_cbranch_execz .LBB391_469
; %bb.468:                              ;   in Loop: Header=BB391_363 Depth=1
	v_and_b32_e32 v6, 7, v2
	v_ffbh_u32_e32 v22, v6
	v_min_u32_e32 v22, 32, v22
	v_subrev_u32_e32 v24, 28, v22
	v_lshlrev_b64 v[24:25], v24, v[2:3]
	v_lshrrev_b32_e32 v21, 3, v3
	v_sub_u32_e32 v22, 29, v22
	v_and_b32_e32 v24, 7, v24
	v_cmp_gt_u32_e32 vcc, 8, v3
	v_cndmask_b32_e32 v3, v21, v22, vcc
	v_cndmask_b32_e32 v6, v6, v24, vcc
	v_lshlrev_b32_e32 v2, 24, v2
	v_lshlrev_b32_e32 v6, 20, v6
	v_and_b32_e32 v2, 0x80000000, v2
	v_lshl_add_u32 v3, v3, 23, v39
	v_or3_b32 v6, v2, v3, v6
.LBB391_469:                            ;   in Loop: Header=BB391_363 Depth=1
	s_or_b64 exec, exec, s[24:25]
.LBB391_470:                            ;   in Loop: Header=BB391_363 Depth=1
	s_or_b64 exec, exec, s[12:13]
.LBB391_471:                            ;   in Loop: Header=BB391_363 Depth=1
	s_or_b64 exec, exec, s[4:5]
	v_mul_f32_e32 v3, v26, v6
	v_and_b32_e32 v2, 0x7f800000, v3
	v_cmp_ne_u32_e32 vcc, s15, v2
                                        ; implicit-def: $vgpr2
	s_and_saveexec_b64 s[4:5], vcc
	s_xor_b64 s[4:5], exec, s[4:5]
; %bb.472:                              ;   in Loop: Header=BB391_363 Depth=1
	v_bfe_u32 v2, v3, 16, 1
	v_add3_u32 v2, v3, v2, s21
                                        ; implicit-def: $vgpr3
; %bb.473:                              ;   in Loop: Header=BB391_363 Depth=1
	s_andn2_saveexec_b64 s[4:5], s[4:5]
; %bb.474:                              ;   in Loop: Header=BB391_363 Depth=1
	v_or_b32_e32 v2, 0x10000, v3
	v_cmp_eq_u32_sdwa vcc, v3, v11 src0_sel:WORD_0 src1_sel:DWORD
	v_cndmask_b32_e32 v2, v2, v3, vcc
; %bb.475:                              ;   in Loop: Header=BB391_363 Depth=1
	s_or_b64 exec, exec, s[4:5]
	v_lshrrev_b32_e32 v3, 16, v20
	v_add_u32_e32 v20, -2, v17
	v_accvgpr_write_b32 a14, v20
	v_add_u32_e32 v20, -1, v17
	v_cmp_eq_u32_e32 vcc, v48, v16
	v_add_u32_e32 v38, -7, v17
	v_lshrrev_b32_e32 v6, 16, v10
	v_lshrrev_b32_e32 v4, 16, v4
	;; [unrolled: 1-line block ×7, first 2 shown]
	v_add_u32_e32 v52, -6, v17
	v_add_u32_e32 v51, -5, v17
	;; [unrolled: 1-line block ×4, first 2 shown]
	v_accvgpr_write_b32 a13, v20
	s_and_saveexec_b64 s[12:13], vcc
	s_cbranch_execz .LBB391_477
; %bb.476:                              ;   in Loop: Header=BB391_363 Depth=1
	v_cmp_lt_i32_e64 s[4:5], v38, v32
	v_cndmask_b32_e64 v7, 0, v7, s[4:5]
	v_cmp_lt_i32_e64 s[4:5], v52, v32
	v_cndmask_b32_e64 v8, 0, v8, s[4:5]
	;; [unrolled: 2-line block ×4, first 2 shown]
	v_cmp_lt_i32_e64 s[4:5], v49, v32
	v_accvgpr_read_b32 v20, a14
	v_cndmask_b32_e64 v4, 0, v4, s[4:5]
	v_cmp_lt_i32_e64 s[4:5], v20, v32
	v_accvgpr_read_b32 v20, a13
	v_cndmask_b32_e64 v6, 0, v6, s[4:5]
	v_cmp_lt_i32_e64 s[4:5], v20, v32
	v_cndmask_b32_e64 v3, 0, v3, s[4:5]
	v_cmp_lt_i32_e64 s[4:5], v17, v32
	v_cndmask_b32_e64 v2, 0, v2, s[4:5]
.LBB391_477:                            ;   in Loop: Header=BB391_363 Depth=1
	s_or_b64 exec, exec, s[12:13]
	v_and_b32_e32 v54, 0xffff0000, v36
	v_lshlrev_b32_e32 v7, 16, v7
	v_mul_f32_e32 v20, v54, v7
	v_and_b32_e32 v7, 0x7f800000, v20
	v_cmp_ne_u32_e64 s[4:5], s15, v7
                                        ; implicit-def: $vgpr7
	s_and_saveexec_b64 s[12:13], s[4:5]
	s_xor_b64 s[4:5], exec, s[12:13]
; %bb.478:                              ;   in Loop: Header=BB391_363 Depth=1
	v_bfe_u32 v7, v20, 16, 1
	v_add3_u32 v7, v20, v7, s21
                                        ; implicit-def: $vgpr20
; %bb.479:                              ;   in Loop: Header=BB391_363 Depth=1
	s_andn2_saveexec_b64 s[12:13], s[4:5]
; %bb.480:                              ;   in Loop: Header=BB391_363 Depth=1
	v_or_b32_e32 v7, 0x10000, v20
	v_cmp_eq_u32_sdwa s[4:5], v20, v11 src0_sel:WORD_0 src1_sel:DWORD
	v_cndmask_b32_e64 v7, v7, v20, s[4:5]
; %bb.481:                              ;   in Loop: Header=BB391_363 Depth=1
	s_or_b64 exec, exec, s[12:13]
	v_and_b32_e32 v55, 0xffff0000, v35
	v_lshlrev_b32_e32 v8, 16, v8
	v_mul_f32_e32 v20, v55, v8
	v_and_b32_e32 v8, 0x7f800000, v20
	v_cmp_ne_u32_e64 s[4:5], s15, v8
                                        ; implicit-def: $vgpr8
	s_and_saveexec_b64 s[12:13], s[4:5]
	s_xor_b64 s[4:5], exec, s[12:13]
; %bb.482:                              ;   in Loop: Header=BB391_363 Depth=1
	v_bfe_u32 v8, v20, 16, 1
	v_add3_u32 v8, v20, v8, s21
                                        ; implicit-def: $vgpr20
; %bb.483:                              ;   in Loop: Header=BB391_363 Depth=1
	s_andn2_saveexec_b64 s[12:13], s[4:5]
; %bb.484:                              ;   in Loop: Header=BB391_363 Depth=1
	v_or_b32_e32 v8, 0x10000, v20
	v_cmp_eq_u32_sdwa s[4:5], v20, v11 src0_sel:WORD_0 src1_sel:DWORD
	v_cndmask_b32_e64 v8, v8, v20, s[4:5]
; %bb.485:                              ;   in Loop: Header=BB391_363 Depth=1
	s_or_b64 exec, exec, s[12:13]
	v_and_b32_e32 v40, 0xffff0000, v34
	v_lshlrev_b32_e32 v9, 16, v9
	v_mul_f32_e32 v20, v40, v9
	v_and_b32_e32 v9, 0x7f800000, v20
	v_cmp_ne_u32_e64 s[4:5], s15, v9
                                        ; implicit-def: $vgpr9
	s_and_saveexec_b64 s[12:13], s[4:5]
	s_xor_b64 s[4:5], exec, s[12:13]
; %bb.486:                              ;   in Loop: Header=BB391_363 Depth=1
	v_bfe_u32 v9, v20, 16, 1
	v_add3_u32 v9, v20, v9, s21
                                        ; implicit-def: $vgpr20
; %bb.487:                              ;   in Loop: Header=BB391_363 Depth=1
	s_andn2_saveexec_b64 s[12:13], s[4:5]
; %bb.488:                              ;   in Loop: Header=BB391_363 Depth=1
	v_or_b32_e32 v9, 0x10000, v20
	v_cmp_eq_u32_sdwa s[4:5], v20, v11 src0_sel:WORD_0 src1_sel:DWORD
	v_cndmask_b32_e64 v9, v9, v20, s[4:5]
; %bb.489:                              ;   in Loop: Header=BB391_363 Depth=1
	s_or_b64 exec, exec, s[12:13]
	v_and_b32_e32 v41, 0xffff0000, v31
	v_lshlrev_b32_e32 v10, 16, v10
	v_mul_f32_e32 v10, v41, v10
	v_and_b32_e32 v20, 0x7f800000, v10
	v_cmp_ne_u32_e64 s[4:5], s15, v20
                                        ; implicit-def: $vgpr34
	s_and_saveexec_b64 s[12:13], s[4:5]
	s_xor_b64 s[4:5], exec, s[12:13]
; %bb.490:                              ;   in Loop: Header=BB391_363 Depth=1
	v_bfe_u32 v20, v10, 16, 1
	v_add3_u32 v34, v10, v20, s21
                                        ; implicit-def: $vgpr10
; %bb.491:                              ;   in Loop: Header=BB391_363 Depth=1
	s_andn2_saveexec_b64 s[12:13], s[4:5]
; %bb.492:                              ;   in Loop: Header=BB391_363 Depth=1
	v_or_b32_e32 v20, 0x10000, v10
	v_cmp_eq_u32_sdwa s[4:5], v10, v11 src0_sel:WORD_0 src1_sel:DWORD
	v_cndmask_b32_e64 v34, v20, v10, s[4:5]
; %bb.493:                              ;   in Loop: Header=BB391_363 Depth=1
	s_or_b64 exec, exec, s[12:13]
	v_and_b32_e32 v42, 0xffff0000, v29
	v_lshlrev_b32_e32 v4, 16, v4
	v_mul_f32_e32 v4, v42, v4
	v_and_b32_e32 v10, 0x7f800000, v4
	v_cmp_ne_u32_e64 s[4:5], s15, v10
                                        ; implicit-def: $vgpr35
	s_and_saveexec_b64 s[12:13], s[4:5]
	s_xor_b64 s[4:5], exec, s[12:13]
; %bb.494:                              ;   in Loop: Header=BB391_363 Depth=1
	v_bfe_u32 v10, v4, 16, 1
	v_add3_u32 v35, v4, v10, s21
                                        ; implicit-def: $vgpr4
; %bb.495:                              ;   in Loop: Header=BB391_363 Depth=1
	s_andn2_saveexec_b64 s[12:13], s[4:5]
; %bb.496:                              ;   in Loop: Header=BB391_363 Depth=1
	v_or_b32_e32 v10, 0x10000, v4
	v_cmp_eq_u32_sdwa s[4:5], v4, v11 src0_sel:WORD_0 src1_sel:DWORD
	v_cndmask_b32_e64 v35, v10, v4, s[4:5]
; %bb.497:                              ;   in Loop: Header=BB391_363 Depth=1
	s_or_b64 exec, exec, s[12:13]
	v_and_b32_e32 v43, 0xffff0000, v28
	v_lshlrev_b32_e32 v4, 16, v6
	v_mul_f32_e32 v4, v43, v4
	v_and_b32_e32 v6, 0x7f800000, v4
	v_cmp_ne_u32_e64 s[4:5], s15, v6
                                        ; implicit-def: $vgpr36
	s_and_saveexec_b64 s[12:13], s[4:5]
	s_xor_b64 s[4:5], exec, s[12:13]
; %bb.498:                              ;   in Loop: Header=BB391_363 Depth=1
	v_bfe_u32 v6, v4, 16, 1
	v_add3_u32 v36, v4, v6, s21
                                        ; implicit-def: $vgpr4
; %bb.499:                              ;   in Loop: Header=BB391_363 Depth=1
	s_andn2_saveexec_b64 s[12:13], s[4:5]
; %bb.500:                              ;   in Loop: Header=BB391_363 Depth=1
	v_or_b32_e32 v6, 0x10000, v4
	v_cmp_eq_u32_sdwa s[4:5], v4, v11 src0_sel:WORD_0 src1_sel:DWORD
	v_cndmask_b32_e64 v36, v6, v4, s[4:5]
; %bb.501:                              ;   in Loop: Header=BB391_363 Depth=1
	s_or_b64 exec, exec, s[12:13]
	v_and_b32_e32 v44, 0xffff0000, v27
	v_lshlrev_b32_e32 v3, 16, v3
	v_mul_f32_e32 v3, v44, v3
	v_and_b32_e32 v4, 0x7f800000, v3
	v_cmp_ne_u32_e64 s[4:5], s15, v4
                                        ; implicit-def: $vgpr37
	s_and_saveexec_b64 s[12:13], s[4:5]
	s_xor_b64 s[4:5], exec, s[12:13]
; %bb.502:                              ;   in Loop: Header=BB391_363 Depth=1
	v_bfe_u32 v4, v3, 16, 1
	v_add3_u32 v37, v3, v4, s21
                                        ; implicit-def: $vgpr3
; %bb.503:                              ;   in Loop: Header=BB391_363 Depth=1
	s_andn2_saveexec_b64 s[12:13], s[4:5]
; %bb.504:                              ;   in Loop: Header=BB391_363 Depth=1
	v_or_b32_e32 v4, 0x10000, v3
	v_cmp_eq_u32_sdwa s[4:5], v3, v11 src0_sel:WORD_0 src1_sel:DWORD
	v_cndmask_b32_e64 v37, v4, v3, s[4:5]
; %bb.505:                              ;   in Loop: Header=BB391_363 Depth=1
	s_or_b64 exec, exec, s[12:13]
	v_and_b32_e32 v45, 0xffff0000, v5
	v_lshlrev_b32_e32 v2, 16, v2
	v_mul_f32_e32 v2, v45, v2
	v_and_b32_e32 v3, 0x7f800000, v2
	v_cmp_ne_u32_e64 s[4:5], s15, v3
                                        ; implicit-def: $vgpr53
	s_and_saveexec_b64 s[12:13], s[4:5]
	s_xor_b64 s[4:5], exec, s[12:13]
; %bb.506:                              ;   in Loop: Header=BB391_363 Depth=1
	v_bfe_u32 v3, v2, 16, 1
	v_add3_u32 v53, v2, v3, s21
                                        ; implicit-def: $vgpr2
; %bb.507:                              ;   in Loop: Header=BB391_363 Depth=1
	s_andn2_saveexec_b64 s[12:13], s[4:5]
; %bb.508:                              ;   in Loop: Header=BB391_363 Depth=1
	v_or_b32_e32 v3, 0x10000, v2
	v_cmp_eq_u32_sdwa s[4:5], v2, v11 src0_sel:WORD_0 src1_sel:DWORD
	v_cndmask_b32_e64 v53, v3, v2, s[4:5]
; %bb.509:                              ;   in Loop: Header=BB391_363 Depth=1
	s_or_b64 exec, exec, s[12:13]
	flat_load_dwordx2 v[2:3], v[0:1] offset:512
	v_mov_b32_e32 v4, 0
	s_waitcnt vmcnt(0) lgkmcnt(0)
	v_cmp_ne_u16_sdwa s[4:5], v2, v11 src0_sel:BYTE_0 src1_sel:DWORD
	s_and_saveexec_b64 s[12:13], s[4:5]
	s_cbranch_execz .LBB391_515
; %bb.510:                              ;   in Loop: Header=BB391_363 Depth=1
	v_cmp_ne_u16_sdwa s[4:5], v2, s28 src0_sel:BYTE_0 src1_sel:DWORD
	v_bfrev_b32_e32 v4, 1
	s_and_saveexec_b64 s[24:25], s[4:5]
	s_cbranch_execz .LBB391_514
; %bb.511:                              ;   in Loop: Header=BB391_363 Depth=1
	v_and_b32_e32 v5, 0x7f, v2
	v_cmp_ne_u32_e64 s[4:5], s29, v5
	v_mov_b32_e32 v4, 0x7f800001
	s_and_saveexec_b64 s[26:27], s[4:5]
	s_cbranch_execz .LBB391_513
; %bb.512:                              ;   in Loop: Header=BB391_363 Depth=1
	v_and_b32_e32 v4, 7, v2
	v_ffbh_u32_e32 v4, v4
	v_min_u32_e32 v4, 32, v4
	v_lshrrev_b32_e32 v6, 3, v5
	v_subrev_u32_e32 v10, 28, v4
	v_sub_u32_e32 v4, 29, v4
	v_cmp_gt_u32_e64 s[4:5], 8, v5
	v_cndmask_b32_e64 v6, v6, v4, s[4:5]
	v_cndmask_b32_e64 v4, 0, v10, s[4:5]
	v_lshlrev_b64 v[4:5], v4, v[2:3]
	v_lshlrev_b32_e32 v4, 20, v4
	v_lshlrev_b32_e32 v5, 24, v2
	v_and_b32_e32 v4, 0x700000, v4
	v_and_b32_e32 v5, 0x80000000, v5
	v_lshl_add_u32 v6, v6, 23, v39
	v_or3_b32 v4, v5, v6, v4
.LBB391_513:                            ;   in Loop: Header=BB391_363 Depth=1
	s_or_b64 exec, exec, s[26:27]
.LBB391_514:                            ;   in Loop: Header=BB391_363 Depth=1
	s_or_b64 exec, exec, s[24:25]
.LBB391_515:                            ;   in Loop: Header=BB391_363 Depth=1
	s_or_b64 exec, exec, s[12:13]
	v_mul_f32_e32 v4, v26, v4
	v_and_b32_e32 v5, 0x7f800000, v4
	v_cmp_ne_u32_e64 s[4:5], s15, v5
                                        ; implicit-def: $vgpr5
	s_and_saveexec_b64 s[12:13], s[4:5]
	s_xor_b64 s[4:5], exec, s[12:13]
; %bb.516:                              ;   in Loop: Header=BB391_363 Depth=1
	v_bfe_u32 v5, v4, 16, 1
	v_add3_u32 v5, v4, v5, s21
                                        ; implicit-def: $vgpr4
; %bb.517:                              ;   in Loop: Header=BB391_363 Depth=1
	s_andn2_saveexec_b64 s[12:13], s[4:5]
; %bb.518:                              ;   in Loop: Header=BB391_363 Depth=1
	v_or_b32_e32 v5, 0x10000, v4
	v_cmp_eq_u32_sdwa s[4:5], v4, v11 src0_sel:WORD_0 src1_sel:DWORD
	v_cndmask_b32_e64 v5, v5, v4, s[4:5]
; %bb.519:                              ;   in Loop: Header=BB391_363 Depth=1
	s_or_b64 exec, exec, s[12:13]
	v_lshrrev_b16_e32 v6, 8, v2
	v_cmp_ne_u16_e64 s[4:5], 0, v6
	v_mov_b32_e32 v4, 0
	s_and_saveexec_b64 s[12:13], s[4:5]
	s_cbranch_execz .LBB391_525
; %bb.520:                              ;   in Loop: Header=BB391_363 Depth=1
	v_cmp_ne_u16_e64 s[4:5], s28, v6
	v_bfrev_b32_e32 v4, 1
	s_and_saveexec_b64 s[24:25], s[4:5]
	s_cbranch_execz .LBB391_524
; %bb.521:                              ;   in Loop: Header=BB391_363 Depth=1
	v_and_b32_e32 v10, 0x7f, v6
	v_cmp_ne_u32_e64 s[4:5], s29, v10
	v_mov_b32_e32 v4, 0x7f800001
	s_and_saveexec_b64 s[26:27], s[4:5]
	s_cbranch_execz .LBB391_523
; %bb.522:                              ;   in Loop: Header=BB391_363 Depth=1
	v_and_b32_e32 v4, 7, v6
	v_ffbh_u32_e32 v20, v4
	v_min_u32_e32 v23, 32, v20
	v_subrev_u32_e32 v20, 28, v23
	v_lshlrev_b64 v[20:21], v20, v[6:7]
	v_lshrrev_b32_e32 v22, 3, v10
	v_sub_u32_e32 v6, 29, v23
	v_and_b32_e32 v20, 7, v20
	v_cmp_gt_u32_e64 s[4:5], 8, v10
	v_cndmask_b32_e64 v6, v22, v6, s[4:5]
	v_cndmask_b32_e64 v4, v4, v20, s[4:5]
	v_lshlrev_b32_e32 v10, 16, v2
	v_lshlrev_b32_e32 v4, 20, v4
	v_and_b32_e32 v10, 0x80000000, v10
	v_lshl_add_u32 v6, v6, 23, v39
	v_or3_b32 v4, v10, v6, v4
.LBB391_523:                            ;   in Loop: Header=BB391_363 Depth=1
	s_or_b64 exec, exec, s[26:27]
.LBB391_524:                            ;   in Loop: Header=BB391_363 Depth=1
	s_or_b64 exec, exec, s[24:25]
.LBB391_525:                            ;   in Loop: Header=BB391_363 Depth=1
	s_or_b64 exec, exec, s[12:13]
	v_mul_f32_e32 v4, v26, v4
	v_and_b32_e32 v6, 0x7f800000, v4
	v_cmp_ne_u32_e64 s[4:5], s15, v6
                                        ; implicit-def: $vgpr23
	s_and_saveexec_b64 s[12:13], s[4:5]
	s_xor_b64 s[4:5], exec, s[12:13]
; %bb.526:                              ;   in Loop: Header=BB391_363 Depth=1
	v_bfe_u32 v6, v4, 16, 1
	v_add3_u32 v23, v4, v6, s21
                                        ; implicit-def: $vgpr4
; %bb.527:                              ;   in Loop: Header=BB391_363 Depth=1
	s_andn2_saveexec_b64 s[12:13], s[4:5]
; %bb.528:                              ;   in Loop: Header=BB391_363 Depth=1
	v_or_b32_e32 v6, 0x10000, v4
	v_cmp_eq_u32_sdwa s[4:5], v4, v11 src0_sel:WORD_0 src1_sel:DWORD
	v_cndmask_b32_e64 v23, v6, v4, s[4:5]
; %bb.529:                              ;   in Loop: Header=BB391_363 Depth=1
	s_or_b64 exec, exec, s[12:13]
	v_lshrrev_b32_e32 v6, 16, v2
	v_cmp_ne_u16_sdwa s[4:5], v6, v11 src0_sel:BYTE_0 src1_sel:DWORD
	v_mov_b32_e32 v4, 0
	s_and_saveexec_b64 s[12:13], s[4:5]
	s_cbranch_execz .LBB391_535
; %bb.530:                              ;   in Loop: Header=BB391_363 Depth=1
	v_cmp_ne_u16_sdwa s[4:5], v6, s28 src0_sel:BYTE_0 src1_sel:DWORD
	v_bfrev_b32_e32 v4, 1
	s_and_saveexec_b64 s[24:25], s[4:5]
	s_cbranch_execz .LBB391_534
; %bb.531:                              ;   in Loop: Header=BB391_363 Depth=1
	v_bfe_u32 v10, v2, 16, 7
	v_cmp_ne_u32_e64 s[4:5], s29, v10
	v_mov_b32_e32 v4, 0x7f800001
	s_and_saveexec_b64 s[26:27], s[4:5]
	s_cbranch_execz .LBB391_533
; %bb.532:                              ;   in Loop: Header=BB391_363 Depth=1
	v_and_b32_e32 v4, 7, v6
	v_ffbh_u32_e32 v20, v4
	v_min_u32_e32 v24, 32, v20
	v_subrev_u32_e32 v20, 28, v24
	v_lshlrev_b64 v[20:21], v20, v[6:7]
	v_lshrrev_b32_e32 v22, 3, v10
	v_sub_u32_e32 v21, 29, v24
	v_and_b32_e32 v20, 7, v20
	v_cmp_gt_u32_e64 s[4:5], 8, v10
	v_cndmask_b32_e64 v10, v22, v21, s[4:5]
	v_cndmask_b32_e64 v4, v4, v20, s[4:5]
	v_lshlrev_b32_e32 v6, 24, v6
	v_lshlrev_b32_e32 v4, 20, v4
	v_and_b32_e32 v6, 0x80000000, v6
	v_lshl_add_u32 v10, v10, 23, v39
	v_or3_b32 v4, v6, v10, v4
.LBB391_533:                            ;   in Loop: Header=BB391_363 Depth=1
	s_or_b64 exec, exec, s[26:27]
.LBB391_534:                            ;   in Loop: Header=BB391_363 Depth=1
	s_or_b64 exec, exec, s[24:25]
.LBB391_535:                            ;   in Loop: Header=BB391_363 Depth=1
	s_or_b64 exec, exec, s[12:13]
	v_mul_f32_e32 v4, v26, v4
	v_and_b32_e32 v6, 0x7f800000, v4
	v_cmp_ne_u32_e64 s[4:5], s15, v6
                                        ; implicit-def: $vgpr24
	s_and_saveexec_b64 s[12:13], s[4:5]
	s_xor_b64 s[4:5], exec, s[12:13]
; %bb.536:                              ;   in Loop: Header=BB391_363 Depth=1
	v_bfe_u32 v6, v4, 16, 1
	v_add3_u32 v24, v4, v6, s21
                                        ; implicit-def: $vgpr4
; %bb.537:                              ;   in Loop: Header=BB391_363 Depth=1
	s_andn2_saveexec_b64 s[12:13], s[4:5]
; %bb.538:                              ;   in Loop: Header=BB391_363 Depth=1
	v_or_b32_e32 v6, 0x10000, v4
	v_cmp_eq_u32_sdwa s[4:5], v4, v11 src0_sel:WORD_0 src1_sel:DWORD
	v_cndmask_b32_e64 v24, v6, v4, s[4:5]
; %bb.539:                              ;   in Loop: Header=BB391_363 Depth=1
	s_or_b64 exec, exec, s[12:13]
	v_cmp_lt_u32_e64 s[4:5], s9, v2
	v_mov_b32_e32 v4, 0
	s_and_saveexec_b64 s[12:13], s[4:5]
	s_cbranch_execz .LBB391_545
; %bb.540:                              ;   in Loop: Header=BB391_363 Depth=1
	v_lshrrev_b32_e32 v6, 24, v2
	v_cmp_ne_u32_e64 s[4:5], s28, v6
	v_bfrev_b32_e32 v4, 1
	s_and_saveexec_b64 s[24:25], s[4:5]
	s_cbranch_execz .LBB391_544
; %bb.541:                              ;   in Loop: Header=BB391_363 Depth=1
	v_bfe_u32 v10, v2, 24, 7
	v_cmp_ne_u32_e64 s[4:5], s29, v10
	v_mov_b32_e32 v4, 0x7f800001
	s_and_saveexec_b64 s[26:27], s[4:5]
	s_cbranch_execz .LBB391_543
; %bb.542:                              ;   in Loop: Header=BB391_363 Depth=1
	v_and_b32_e32 v4, 7, v6
	v_ffbh_u32_e32 v20, v4
	v_min_u32_e32 v25, 32, v20
	v_subrev_u32_e32 v20, 28, v25
	v_lshlrev_b64 v[20:21], v20, v[6:7]
	v_lshrrev_b32_e32 v22, 3, v10
	v_sub_u32_e32 v21, 29, v25
	v_and_b32_e32 v20, 7, v20
	v_cmp_gt_u32_e64 s[4:5], 8, v10
	v_cndmask_b32_e64 v10, v22, v21, s[4:5]
	v_cndmask_b32_e64 v4, v4, v20, s[4:5]
	v_lshlrev_b32_e32 v6, 24, v6
	v_lshlrev_b32_e32 v4, 20, v4
	v_and_b32_e32 v6, 0x80000000, v6
	v_lshl_add_u32 v10, v10, 23, v39
	v_or3_b32 v4, v6, v10, v4
.LBB391_543:                            ;   in Loop: Header=BB391_363 Depth=1
	s_or_b64 exec, exec, s[26:27]
.LBB391_544:                            ;   in Loop: Header=BB391_363 Depth=1
	s_or_b64 exec, exec, s[24:25]
.LBB391_545:                            ;   in Loop: Header=BB391_363 Depth=1
	s_or_b64 exec, exec, s[12:13]
	v_mul_f32_e32 v6, v26, v4
	v_and_b32_e32 v4, 0x7f800000, v6
	v_cmp_ne_u32_e64 s[4:5], s15, v4
                                        ; implicit-def: $vgpr4
	s_and_saveexec_b64 s[12:13], s[4:5]
	s_xor_b64 s[4:5], exec, s[12:13]
; %bb.546:                              ;   in Loop: Header=BB391_363 Depth=1
	v_bfe_u32 v4, v6, 16, 1
	v_add3_u32 v4, v6, v4, s21
                                        ; implicit-def: $vgpr6
; %bb.547:                              ;   in Loop: Header=BB391_363 Depth=1
	s_andn2_saveexec_b64 s[12:13], s[4:5]
; %bb.548:                              ;   in Loop: Header=BB391_363 Depth=1
	v_or_b32_e32 v4, 0x10000, v6
	v_cmp_eq_u32_sdwa s[4:5], v6, v11 src0_sel:WORD_0 src1_sel:DWORD
	v_cndmask_b32_e64 v4, v4, v6, s[4:5]
; %bb.549:                              ;   in Loop: Header=BB391_363 Depth=1
	s_or_b64 exec, exec, s[12:13]
	v_mov_b32_e32 v10, v3
	v_cmp_ne_u16_sdwa s[4:5], v3, v11 src0_sel:BYTE_0 src1_sel:DWORD
	v_mov_b32_e32 v6, 0
	s_and_saveexec_b64 s[12:13], s[4:5]
	s_cbranch_execz .LBB391_555
; %bb.550:                              ;   in Loop: Header=BB391_363 Depth=1
	v_cmp_ne_u16_sdwa s[4:5], v3, s28 src0_sel:BYTE_0 src1_sel:DWORD
	v_bfrev_b32_e32 v6, 1
	s_and_saveexec_b64 s[24:25], s[4:5]
	s_cbranch_execz .LBB391_554
; %bb.551:                              ;   in Loop: Header=BB391_363 Depth=1
	v_and_b32_e32 v20, 0x7f, v3
	v_cmp_ne_u32_e64 s[4:5], s29, v20
	v_mov_b32_e32 v6, 0x7f800001
	s_and_saveexec_b64 s[26:27], s[4:5]
	s_cbranch_execz .LBB391_553
; %bb.552:                              ;   in Loop: Header=BB391_363 Depth=1
	v_and_b32_e32 v6, 7, v3
	v_ffbh_u32_e32 v6, v6
	v_min_u32_e32 v6, 32, v6
	v_subrev_u32_e32 v22, 28, v6
	v_cmp_gt_u32_e64 s[4:5], 8, v20
	v_lshrrev_b32_e32 v21, 3, v20
	v_sub_u32_e32 v6, 29, v6
	v_cndmask_b32_e64 v20, 0, v22, s[4:5]
	v_cndmask_b32_e64 v6, v21, v6, s[4:5]
	v_lshlrev_b64 v[20:21], v20, v[10:11]
	v_lshlrev_b32_e32 v20, 20, v20
	v_lshlrev_b32_e32 v21, 24, v10
	v_and_b32_e32 v20, 0x700000, v20
	v_and_b32_e32 v21, 0x80000000, v21
	v_lshl_add_u32 v6, v6, 23, v39
	v_or3_b32 v6, v21, v6, v20
.LBB391_553:                            ;   in Loop: Header=BB391_363 Depth=1
	s_or_b64 exec, exec, s[26:27]
.LBB391_554:                            ;   in Loop: Header=BB391_363 Depth=1
	s_or_b64 exec, exec, s[24:25]
.LBB391_555:                            ;   in Loop: Header=BB391_363 Depth=1
	s_or_b64 exec, exec, s[12:13]
	v_mul_f32_e32 v6, v26, v6
	v_and_b32_e32 v20, 0x7f800000, v6
	v_cmp_ne_u32_e64 s[4:5], s15, v20
                                        ; implicit-def: $vgpr20
	s_and_saveexec_b64 s[12:13], s[4:5]
	s_xor_b64 s[4:5], exec, s[12:13]
; %bb.556:                              ;   in Loop: Header=BB391_363 Depth=1
	v_bfe_u32 v20, v6, 16, 1
	v_add3_u32 v20, v6, v20, s21
                                        ; implicit-def: $vgpr6
; %bb.557:                              ;   in Loop: Header=BB391_363 Depth=1
	s_andn2_saveexec_b64 s[12:13], s[4:5]
; %bb.558:                              ;   in Loop: Header=BB391_363 Depth=1
	v_or_b32_e32 v20, 0x10000, v6
	v_cmp_eq_u32_sdwa s[4:5], v6, v11 src0_sel:WORD_0 src1_sel:DWORD
	v_cndmask_b32_e64 v20, v20, v6, s[4:5]
; %bb.559:                              ;   in Loop: Header=BB391_363 Depth=1
	s_or_b64 exec, exec, s[12:13]
	v_lshrrev_b16_e32 v6, 8, v10
	v_cmp_ne_u16_e64 s[4:5], 0, v6
	v_mov_b32_e32 v21, 0
	s_and_saveexec_b64 s[12:13], s[4:5]
	s_cbranch_execz .LBB391_565
; %bb.560:                              ;   in Loop: Header=BB391_363 Depth=1
	v_cmp_ne_u16_e64 s[4:5], s28, v6
	v_bfrev_b32_e32 v21, 1
	s_and_saveexec_b64 s[24:25], s[4:5]
	s_cbranch_execz .LBB391_564
; %bb.561:                              ;   in Loop: Header=BB391_363 Depth=1
	v_and_b32_e32 v22, 0x7f, v6
	v_cmp_ne_u32_e64 s[4:5], s29, v22
	v_mov_b32_e32 v21, 0x7f800001
	s_and_saveexec_b64 s[26:27], s[4:5]
	s_cbranch_execz .LBB391_563
; %bb.562:                              ;   in Loop: Header=BB391_363 Depth=1
	v_and_b32_e32 v21, 7, v6
	v_ffbh_u32_e32 v27, v21
	v_min_u32_e32 v27, 32, v27
	v_subrev_u32_e32 v28, 28, v27
	v_lshlrev_b64 v[28:29], v28, v[6:7]
	v_lshrrev_b32_e32 v25, 3, v22
	v_sub_u32_e32 v6, 29, v27
	v_and_b32_e32 v27, 7, v28
	v_cmp_gt_u32_e64 s[4:5], 8, v22
	v_cndmask_b32_e64 v6, v25, v6, s[4:5]
	v_cndmask_b32_e64 v21, v21, v27, s[4:5]
	v_lshlrev_b32_e32 v10, 16, v10
	v_lshlrev_b32_e32 v21, 20, v21
	v_and_b32_e32 v10, 0x80000000, v10
	v_lshl_add_u32 v6, v6, 23, v39
	v_or3_b32 v21, v10, v6, v21
.LBB391_563:                            ;   in Loop: Header=BB391_363 Depth=1
	s_or_b64 exec, exec, s[26:27]
.LBB391_564:                            ;   in Loop: Header=BB391_363 Depth=1
	s_or_b64 exec, exec, s[24:25]
.LBB391_565:                            ;   in Loop: Header=BB391_363 Depth=1
	s_or_b64 exec, exec, s[12:13]
	v_mul_f32_e32 v6, v26, v21
	v_and_b32_e32 v10, 0x7f800000, v6
	v_cmp_ne_u32_e64 s[4:5], s15, v10
                                        ; implicit-def: $vgpr10
	s_and_saveexec_b64 s[12:13], s[4:5]
	s_xor_b64 s[4:5], exec, s[12:13]
; %bb.566:                              ;   in Loop: Header=BB391_363 Depth=1
	v_bfe_u32 v10, v6, 16, 1
	v_add3_u32 v10, v6, v10, s21
                                        ; implicit-def: $vgpr6
; %bb.567:                              ;   in Loop: Header=BB391_363 Depth=1
	s_andn2_saveexec_b64 s[12:13], s[4:5]
; %bb.568:                              ;   in Loop: Header=BB391_363 Depth=1
	v_or_b32_e32 v10, 0x10000, v6
	v_cmp_eq_u32_sdwa s[4:5], v6, v11 src0_sel:WORD_0 src1_sel:DWORD
	v_cndmask_b32_e64 v10, v10, v6, s[4:5]
; %bb.569:                              ;   in Loop: Header=BB391_363 Depth=1
	s_or_b64 exec, exec, s[12:13]
	v_lshrrev_b32_e32 v6, 16, v3
	v_cmp_ne_u16_sdwa s[4:5], v6, v11 src0_sel:BYTE_0 src1_sel:DWORD
	v_mov_b32_e32 v21, 0
	s_and_saveexec_b64 s[12:13], s[4:5]
	s_cbranch_execz .LBB391_575
; %bb.570:                              ;   in Loop: Header=BB391_363 Depth=1
	v_cmp_ne_u16_sdwa s[4:5], v6, s28 src0_sel:BYTE_0 src1_sel:DWORD
	v_bfrev_b32_e32 v21, 1
	s_and_saveexec_b64 s[24:25], s[4:5]
	s_cbranch_execz .LBB391_574
; %bb.571:                              ;   in Loop: Header=BB391_363 Depth=1
	v_bfe_u32 v22, v3, 16, 7
	v_cmp_ne_u32_e64 s[4:5], s29, v22
	v_mov_b32_e32 v21, 0x7f800001
	s_and_saveexec_b64 s[26:27], s[4:5]
	s_cbranch_execz .LBB391_573
; %bb.572:                              ;   in Loop: Header=BB391_363 Depth=1
	v_and_b32_e32 v21, 7, v6
	v_ffbh_u32_e32 v27, v21
	v_min_u32_e32 v27, 32, v27
	v_subrev_u32_e32 v28, 28, v27
	v_lshlrev_b64 v[28:29], v28, v[6:7]
	v_lshrrev_b32_e32 v25, 3, v22
	v_sub_u32_e32 v27, 29, v27
	v_and_b32_e32 v28, 7, v28
	v_cmp_gt_u32_e64 s[4:5], 8, v22
	v_cndmask_b32_e64 v22, v25, v27, s[4:5]
	v_cndmask_b32_e64 v21, v21, v28, s[4:5]
	v_lshlrev_b32_e32 v6, 24, v6
	v_lshlrev_b32_e32 v21, 20, v21
	v_and_b32_e32 v6, 0x80000000, v6
	v_lshl_add_u32 v22, v22, 23, v39
	v_or3_b32 v21, v6, v22, v21
.LBB391_573:                            ;   in Loop: Header=BB391_363 Depth=1
	s_or_b64 exec, exec, s[26:27]
.LBB391_574:                            ;   in Loop: Header=BB391_363 Depth=1
	s_or_b64 exec, exec, s[24:25]
.LBB391_575:                            ;   in Loop: Header=BB391_363 Depth=1
	s_or_b64 exec, exec, s[12:13]
	v_mul_f32_e32 v6, v26, v21
	v_and_b32_e32 v21, 0x7f800000, v6
	v_cmp_ne_u32_e64 s[4:5], s15, v21
                                        ; implicit-def: $vgpr21
	s_and_saveexec_b64 s[12:13], s[4:5]
	s_xor_b64 s[4:5], exec, s[12:13]
; %bb.576:                              ;   in Loop: Header=BB391_363 Depth=1
	v_bfe_u32 v21, v6, 16, 1
	v_add3_u32 v21, v6, v21, s21
                                        ; implicit-def: $vgpr6
; %bb.577:                              ;   in Loop: Header=BB391_363 Depth=1
	s_andn2_saveexec_b64 s[12:13], s[4:5]
; %bb.578:                              ;   in Loop: Header=BB391_363 Depth=1
	v_or_b32_e32 v21, 0x10000, v6
	v_cmp_eq_u32_sdwa s[4:5], v6, v11 src0_sel:WORD_0 src1_sel:DWORD
	v_cndmask_b32_e64 v21, v21, v6, s[4:5]
; %bb.579:                              ;   in Loop: Header=BB391_363 Depth=1
	s_or_b64 exec, exec, s[12:13]
	v_cmp_lt_u64_e64 s[4:5], s[8:9], v[2:3]
	v_mov_b32_e32 v6, 0
	s_and_saveexec_b64 s[12:13], s[4:5]
	s_cbranch_execz .LBB391_585
; %bb.580:                              ;   in Loop: Header=BB391_363 Depth=1
	v_lshrrev_b32_e32 v2, 24, v3
	v_cmp_ne_u32_e64 s[4:5], s28, v2
	v_bfrev_b32_e32 v6, 1
	s_and_saveexec_b64 s[24:25], s[4:5]
	s_cbranch_execz .LBB391_584
; %bb.581:                              ;   in Loop: Header=BB391_363 Depth=1
	v_bfe_u32 v3, v3, 24, 7
	v_cmp_ne_u32_e64 s[4:5], s29, v3
	v_mov_b32_e32 v6, 0x7f800001
	s_and_saveexec_b64 s[26:27], s[4:5]
	s_cbranch_execz .LBB391_583
; %bb.582:                              ;   in Loop: Header=BB391_363 Depth=1
	v_and_b32_e32 v6, 7, v2
	v_ffbh_u32_e32 v25, v6
	v_min_u32_e32 v25, 32, v25
	v_subrev_u32_e32 v27, 28, v25
	v_lshlrev_b64 v[28:29], v27, v[2:3]
	v_lshrrev_b32_e32 v22, 3, v3
	v_sub_u32_e32 v25, 29, v25
	v_and_b32_e32 v27, 7, v28
	v_cmp_gt_u32_e64 s[4:5], 8, v3
	v_cndmask_b32_e64 v3, v22, v25, s[4:5]
	v_cndmask_b32_e64 v6, v6, v27, s[4:5]
	v_lshlrev_b32_e32 v2, 24, v2
	v_lshlrev_b32_e32 v6, 20, v6
	v_and_b32_e32 v2, 0x80000000, v2
	v_lshl_add_u32 v3, v3, 23, v39
	v_or3_b32 v6, v2, v3, v6
.LBB391_583:                            ;   in Loop: Header=BB391_363 Depth=1
	s_or_b64 exec, exec, s[26:27]
.LBB391_584:                            ;   in Loop: Header=BB391_363 Depth=1
	s_or_b64 exec, exec, s[24:25]
.LBB391_585:                            ;   in Loop: Header=BB391_363 Depth=1
	s_or_b64 exec, exec, s[12:13]
	v_mul_f32_e32 v3, v26, v6
	v_and_b32_e32 v2, 0x7f800000, v3
	v_cmp_ne_u32_e64 s[4:5], s15, v2
                                        ; implicit-def: $vgpr2
	s_and_saveexec_b64 s[12:13], s[4:5]
	s_xor_b64 s[4:5], exec, s[12:13]
; %bb.586:                              ;   in Loop: Header=BB391_363 Depth=1
	v_bfe_u32 v2, v3, 16, 1
	v_add3_u32 v2, v3, v2, s21
                                        ; implicit-def: $vgpr3
; %bb.587:                              ;   in Loop: Header=BB391_363 Depth=1
	s_andn2_saveexec_b64 s[12:13], s[4:5]
; %bb.588:                              ;   in Loop: Header=BB391_363 Depth=1
	v_or_b32_e32 v2, 0x10000, v3
	v_cmp_eq_u32_sdwa s[4:5], v3, v11 src0_sel:WORD_0 src1_sel:DWORD
	v_cndmask_b32_e64 v2, v2, v3, s[4:5]
; %bb.589:                              ;   in Loop: Header=BB391_363 Depth=1
	s_or_b64 exec, exec, s[12:13]
	v_lshrrev_b32_e32 v6, 16, v10
	v_lshrrev_b32_e32 v10, 16, v20
	;; [unrolled: 1-line block ×8, first 2 shown]
	s_and_saveexec_b64 s[12:13], vcc
	s_cbranch_execz .LBB391_591
; %bb.590:                              ;   in Loop: Header=BB391_363 Depth=1
	v_cmp_lt_i32_e64 s[4:5], v38, v32
	v_cndmask_b32_e64 v5, 0, v5, s[4:5]
	v_cmp_lt_i32_e64 s[4:5], v52, v32
	v_cndmask_b32_e64 v23, 0, v23, s[4:5]
	;; [unrolled: 2-line block ×4, first 2 shown]
	v_cmp_lt_i32_e64 s[4:5], v49, v32
	v_accvgpr_read_b32 v21, a14
	v_cndmask_b32_e64 v10, 0, v10, s[4:5]
	v_cmp_lt_i32_e64 s[4:5], v21, v32
	v_accvgpr_read_b32 v21, a13
	v_cndmask_b32_e64 v6, 0, v6, s[4:5]
	v_cmp_lt_i32_e64 s[4:5], v21, v32
	v_cndmask_b32_e64 v3, 0, v3, s[4:5]
	v_cmp_lt_i32_e64 s[4:5], v17, v32
	v_cndmask_b32_e64 v2, 0, v2, s[4:5]
.LBB391_591:                            ;   in Loop: Header=BB391_363 Depth=1
	s_or_b64 exec, exec, s[12:13]
	v_lshlrev_b32_e32 v5, 16, v5
	v_mul_f32_e32 v21, v54, v5
	v_and_b32_e32 v5, 0x7f800000, v21
	v_cmp_ne_u32_e64 s[4:5], s15, v5
                                        ; implicit-def: $vgpr5
	s_and_saveexec_b64 s[12:13], s[4:5]
	s_xor_b64 s[4:5], exec, s[12:13]
; %bb.592:                              ;   in Loop: Header=BB391_363 Depth=1
	v_bfe_u32 v5, v21, 16, 1
	v_add3_u32 v5, v21, v5, s21
                                        ; implicit-def: $vgpr21
; %bb.593:                              ;   in Loop: Header=BB391_363 Depth=1
	s_andn2_saveexec_b64 s[12:13], s[4:5]
; %bb.594:                              ;   in Loop: Header=BB391_363 Depth=1
	v_or_b32_e32 v5, 0x10000, v21
	v_cmp_eq_u32_sdwa s[4:5], v21, v11 src0_sel:WORD_0 src1_sel:DWORD
	v_cndmask_b32_e64 v5, v5, v21, s[4:5]
; %bb.595:                              ;   in Loop: Header=BB391_363 Depth=1
	s_or_b64 exec, exec, s[12:13]
	v_lshlrev_b32_e32 v21, 16, v23
	v_mul_f32_e32 v21, v55, v21
	v_and_b32_e32 v22, 0x7f800000, v21
	v_cmp_ne_u32_e64 s[4:5], s15, v22
                                        ; implicit-def: $vgpr27
	s_and_saveexec_b64 s[12:13], s[4:5]
	s_xor_b64 s[4:5], exec, s[12:13]
; %bb.596:                              ;   in Loop: Header=BB391_363 Depth=1
	v_bfe_u32 v22, v21, 16, 1
	v_add3_u32 v27, v21, v22, s21
                                        ; implicit-def: $vgpr21
; %bb.597:                              ;   in Loop: Header=BB391_363 Depth=1
	s_andn2_saveexec_b64 s[12:13], s[4:5]
; %bb.598:                              ;   in Loop: Header=BB391_363 Depth=1
	v_or_b32_e32 v22, 0x10000, v21
	v_cmp_eq_u32_sdwa s[4:5], v21, v11 src0_sel:WORD_0 src1_sel:DWORD
	v_cndmask_b32_e64 v27, v22, v21, s[4:5]
; %bb.599:                              ;   in Loop: Header=BB391_363 Depth=1
	s_or_b64 exec, exec, s[12:13]
	v_lshlrev_b32_e32 v20, 16, v20
	v_mul_f32_e32 v20, v40, v20
	v_and_b32_e32 v21, 0x7f800000, v20
	v_cmp_ne_u32_e64 s[4:5], s15, v21
                                        ; implicit-def: $vgpr29
	s_and_saveexec_b64 s[12:13], s[4:5]
	s_xor_b64 s[4:5], exec, s[12:13]
; %bb.600:                              ;   in Loop: Header=BB391_363 Depth=1
	v_bfe_u32 v21, v20, 16, 1
	v_add3_u32 v29, v20, v21, s21
                                        ; implicit-def: $vgpr20
; %bb.601:                              ;   in Loop: Header=BB391_363 Depth=1
	s_andn2_saveexec_b64 s[12:13], s[4:5]
; %bb.602:                              ;   in Loop: Header=BB391_363 Depth=1
	v_or_b32_e32 v21, 0x10000, v20
	v_cmp_eq_u32_sdwa s[4:5], v20, v11 src0_sel:WORD_0 src1_sel:DWORD
	v_cndmask_b32_e64 v29, v21, v20, s[4:5]
; %bb.603:                              ;   in Loop: Header=BB391_363 Depth=1
	s_or_b64 exec, exec, s[12:13]
	v_lshlrev_b32_e32 v4, 16, v4
	v_mul_f32_e32 v4, v41, v4
	v_and_b32_e32 v20, 0x7f800000, v4
	v_cmp_ne_u32_e64 s[4:5], s15, v20
                                        ; implicit-def: $vgpr31
	s_and_saveexec_b64 s[12:13], s[4:5]
	s_xor_b64 s[4:5], exec, s[12:13]
; %bb.604:                              ;   in Loop: Header=BB391_363 Depth=1
	v_bfe_u32 v20, v4, 16, 1
	v_add3_u32 v31, v4, v20, s21
                                        ; implicit-def: $vgpr4
; %bb.605:                              ;   in Loop: Header=BB391_363 Depth=1
	s_andn2_saveexec_b64 s[12:13], s[4:5]
; %bb.606:                              ;   in Loop: Header=BB391_363 Depth=1
	v_or_b32_e32 v20, 0x10000, v4
	v_cmp_eq_u32_sdwa s[4:5], v4, v11 src0_sel:WORD_0 src1_sel:DWORD
	v_cndmask_b32_e64 v31, v20, v4, s[4:5]
; %bb.607:                              ;   in Loop: Header=BB391_363 Depth=1
	s_or_b64 exec, exec, s[12:13]
	v_lshlrev_b32_e32 v4, 16, v10
	v_mul_f32_e32 v4, v42, v4
	v_and_b32_e32 v10, 0x7f800000, v4
	v_cmp_ne_u32_e64 s[4:5], s15, v10
                                        ; implicit-def: $vgpr46
	s_and_saveexec_b64 s[12:13], s[4:5]
	s_xor_b64 s[4:5], exec, s[12:13]
; %bb.608:                              ;   in Loop: Header=BB391_363 Depth=1
	v_bfe_u32 v10, v4, 16, 1
	v_add3_u32 v46, v4, v10, s21
                                        ; implicit-def: $vgpr4
; %bb.609:                              ;   in Loop: Header=BB391_363 Depth=1
	s_andn2_saveexec_b64 s[12:13], s[4:5]
; %bb.610:                              ;   in Loop: Header=BB391_363 Depth=1
	v_or_b32_e32 v10, 0x10000, v4
	v_cmp_eq_u32_sdwa s[4:5], v4, v11 src0_sel:WORD_0 src1_sel:DWORD
	v_cndmask_b32_e64 v46, v10, v4, s[4:5]
; %bb.611:                              ;   in Loop: Header=BB391_363 Depth=1
	s_or_b64 exec, exec, s[12:13]
	v_lshlrev_b32_e32 v4, 16, v6
	v_mul_f32_e32 v4, v43, v4
	v_and_b32_e32 v6, 0x7f800000, v4
	v_cmp_ne_u32_e64 s[4:5], s15, v6
                                        ; implicit-def: $vgpr47
	s_and_saveexec_b64 s[12:13], s[4:5]
	s_xor_b64 s[4:5], exec, s[12:13]
; %bb.612:                              ;   in Loop: Header=BB391_363 Depth=1
	v_bfe_u32 v6, v4, 16, 1
	v_add3_u32 v47, v4, v6, s21
                                        ; implicit-def: $vgpr4
; %bb.613:                              ;   in Loop: Header=BB391_363 Depth=1
	s_andn2_saveexec_b64 s[12:13], s[4:5]
; %bb.614:                              ;   in Loop: Header=BB391_363 Depth=1
	v_or_b32_e32 v6, 0x10000, v4
	v_cmp_eq_u32_sdwa s[4:5], v4, v11 src0_sel:WORD_0 src1_sel:DWORD
	v_cndmask_b32_e64 v47, v6, v4, s[4:5]
; %bb.615:                              ;   in Loop: Header=BB391_363 Depth=1
	s_or_b64 exec, exec, s[12:13]
	v_lshlrev_b32_e32 v3, 16, v3
	v_mul_f32_e32 v3, v44, v3
	v_and_b32_e32 v4, 0x7f800000, v3
	v_cmp_ne_u32_e64 s[4:5], s15, v4
                                        ; implicit-def: $vgpr56
	s_and_saveexec_b64 s[12:13], s[4:5]
	s_xor_b64 s[4:5], exec, s[12:13]
; %bb.616:                              ;   in Loop: Header=BB391_363 Depth=1
	v_bfe_u32 v4, v3, 16, 1
	v_add3_u32 v56, v3, v4, s21
                                        ; implicit-def: $vgpr3
; %bb.617:                              ;   in Loop: Header=BB391_363 Depth=1
	s_andn2_saveexec_b64 s[12:13], s[4:5]
; %bb.618:                              ;   in Loop: Header=BB391_363 Depth=1
	v_or_b32_e32 v4, 0x10000, v3
	v_cmp_eq_u32_sdwa s[4:5], v3, v11 src0_sel:WORD_0 src1_sel:DWORD
	v_cndmask_b32_e64 v56, v4, v3, s[4:5]
; %bb.619:                              ;   in Loop: Header=BB391_363 Depth=1
	s_or_b64 exec, exec, s[12:13]
	v_lshlrev_b32_e32 v2, 16, v2
	v_mul_f32_e32 v2, v45, v2
	v_and_b32_e32 v3, 0x7f800000, v2
	v_cmp_ne_u32_e64 s[4:5], s15, v3
                                        ; implicit-def: $vgpr57
	s_and_saveexec_b64 s[12:13], s[4:5]
	s_xor_b64 s[4:5], exec, s[12:13]
; %bb.620:                              ;   in Loop: Header=BB391_363 Depth=1
	v_bfe_u32 v3, v2, 16, 1
	v_add3_u32 v57, v2, v3, s21
                                        ; implicit-def: $vgpr2
; %bb.621:                              ;   in Loop: Header=BB391_363 Depth=1
	s_andn2_saveexec_b64 s[12:13], s[4:5]
; %bb.622:                              ;   in Loop: Header=BB391_363 Depth=1
	v_or_b32_e32 v3, 0x10000, v2
	v_cmp_eq_u32_sdwa s[4:5], v2, v11 src0_sel:WORD_0 src1_sel:DWORD
	v_cndmask_b32_e64 v57, v3, v2, s[4:5]
; %bb.623:                              ;   in Loop: Header=BB391_363 Depth=1
	s_or_b64 exec, exec, s[12:13]
	flat_load_dwordx2 v[2:3], v[0:1] offset:1024
	v_mov_b32_e32 v4, 0
	s_waitcnt vmcnt(0) lgkmcnt(0)
	v_cmp_ne_u16_sdwa s[4:5], v2, v11 src0_sel:BYTE_0 src1_sel:DWORD
	s_and_saveexec_b64 s[12:13], s[4:5]
	s_cbranch_execz .LBB391_629
; %bb.624:                              ;   in Loop: Header=BB391_363 Depth=1
	v_cmp_ne_u16_sdwa s[4:5], v2, s28 src0_sel:BYTE_0 src1_sel:DWORD
	v_bfrev_b32_e32 v4, 1
	s_and_saveexec_b64 s[24:25], s[4:5]
	s_cbranch_execz .LBB391_628
; %bb.625:                              ;   in Loop: Header=BB391_363 Depth=1
	v_and_b32_e32 v6, 0x7f, v2
	v_cmp_ne_u32_e64 s[4:5], s29, v6
	v_mov_b32_e32 v4, 0x7f800001
	s_and_saveexec_b64 s[26:27], s[4:5]
	s_cbranch_execz .LBB391_627
; %bb.626:                              ;   in Loop: Header=BB391_363 Depth=1
	v_and_b32_e32 v4, 7, v2
	v_ffbh_u32_e32 v4, v4
	v_min_u32_e32 v4, 32, v4
	v_subrev_u32_e32 v20, 28, v4
	v_cmp_gt_u32_e64 s[4:5], 8, v6
	v_lshrrev_b32_e32 v10, 3, v6
	v_cndmask_b32_e64 v6, 0, v20, s[4:5]
	v_sub_u32_e32 v4, 29, v4
	v_lshlrev_b64 v[20:21], v6, v[2:3]
	v_cndmask_b32_e64 v4, v10, v4, s[4:5]
	v_lshlrev_b32_e32 v6, 20, v20
	v_lshlrev_b32_e32 v10, 24, v2
	v_and_b32_e32 v6, 0x700000, v6
	v_and_b32_e32 v10, 0x80000000, v10
	v_lshl_add_u32 v4, v4, 23, v39
	v_or3_b32 v4, v10, v4, v6
.LBB391_627:                            ;   in Loop: Header=BB391_363 Depth=1
	s_or_b64 exec, exec, s[26:27]
.LBB391_628:                            ;   in Loop: Header=BB391_363 Depth=1
	s_or_b64 exec, exec, s[24:25]
.LBB391_629:                            ;   in Loop: Header=BB391_363 Depth=1
	s_or_b64 exec, exec, s[12:13]
	v_mul_f32_e32 v4, v26, v4
	v_and_b32_e32 v6, 0x7f800000, v4
	v_cmp_ne_u32_e64 s[4:5], s15, v6
                                        ; implicit-def: $vgpr28
	s_and_saveexec_b64 s[12:13], s[4:5]
	s_xor_b64 s[4:5], exec, s[12:13]
; %bb.630:                              ;   in Loop: Header=BB391_363 Depth=1
	v_bfe_u32 v6, v4, 16, 1
	v_add3_u32 v28, v4, v6, s21
                                        ; implicit-def: $vgpr4
; %bb.631:                              ;   in Loop: Header=BB391_363 Depth=1
	s_andn2_saveexec_b64 s[12:13], s[4:5]
; %bb.632:                              ;   in Loop: Header=BB391_363 Depth=1
	v_or_b32_e32 v6, 0x10000, v4
	v_cmp_eq_u32_sdwa s[4:5], v4, v11 src0_sel:WORD_0 src1_sel:DWORD
	v_cndmask_b32_e64 v28, v6, v4, s[4:5]
; %bb.633:                              ;   in Loop: Header=BB391_363 Depth=1
	s_or_b64 exec, exec, s[12:13]
	v_lshrrev_b16_e32 v6, 8, v2
	v_cmp_ne_u16_e64 s[4:5], 0, v6
	v_mov_b32_e32 v4, 0
	s_and_saveexec_b64 s[12:13], s[4:5]
	s_cbranch_execz .LBB391_639
; %bb.634:                              ;   in Loop: Header=BB391_363 Depth=1
	v_cmp_ne_u16_e64 s[4:5], s28, v6
	v_bfrev_b32_e32 v4, 1
	s_and_saveexec_b64 s[24:25], s[4:5]
	s_cbranch_execz .LBB391_638
; %bb.635:                              ;   in Loop: Header=BB391_363 Depth=1
	v_and_b32_e32 v10, 0x7f, v6
	v_cmp_ne_u32_e64 s[4:5], s29, v10
	v_mov_b32_e32 v4, 0x7f800001
	s_and_saveexec_b64 s[26:27], s[4:5]
	s_cbranch_execz .LBB391_637
; %bb.636:                              ;   in Loop: Header=BB391_363 Depth=1
	v_and_b32_e32 v4, 7, v6
	v_ffbh_u32_e32 v20, v4
	v_min_u32_e32 v23, 32, v20
	v_subrev_u32_e32 v20, 28, v23
	v_lshlrev_b64 v[20:21], v20, v[6:7]
	v_lshrrev_b32_e32 v22, 3, v10
	v_sub_u32_e32 v6, 29, v23
	v_and_b32_e32 v20, 7, v20
	v_cmp_gt_u32_e64 s[4:5], 8, v10
	v_cndmask_b32_e64 v6, v22, v6, s[4:5]
	v_cndmask_b32_e64 v4, v4, v20, s[4:5]
	v_lshlrev_b32_e32 v10, 16, v2
	v_lshlrev_b32_e32 v4, 20, v4
	v_and_b32_e32 v10, 0x80000000, v10
	v_lshl_add_u32 v6, v6, 23, v39
	v_or3_b32 v4, v10, v6, v4
.LBB391_637:                            ;   in Loop: Header=BB391_363 Depth=1
	s_or_b64 exec, exec, s[26:27]
.LBB391_638:                            ;   in Loop: Header=BB391_363 Depth=1
	s_or_b64 exec, exec, s[24:25]
.LBB391_639:                            ;   in Loop: Header=BB391_363 Depth=1
	s_or_b64 exec, exec, s[12:13]
	v_mul_f32_e32 v4, v26, v4
	v_and_b32_e32 v6, 0x7f800000, v4
	v_cmp_ne_u32_e64 s[4:5], s15, v6
                                        ; implicit-def: $vgpr23
	s_and_saveexec_b64 s[12:13], s[4:5]
	s_xor_b64 s[4:5], exec, s[12:13]
; %bb.640:                              ;   in Loop: Header=BB391_363 Depth=1
	v_bfe_u32 v6, v4, 16, 1
	v_add3_u32 v23, v4, v6, s21
                                        ; implicit-def: $vgpr4
; %bb.641:                              ;   in Loop: Header=BB391_363 Depth=1
	s_andn2_saveexec_b64 s[12:13], s[4:5]
; %bb.642:                              ;   in Loop: Header=BB391_363 Depth=1
	v_or_b32_e32 v6, 0x10000, v4
	v_cmp_eq_u32_sdwa s[4:5], v4, v11 src0_sel:WORD_0 src1_sel:DWORD
	v_cndmask_b32_e64 v23, v6, v4, s[4:5]
; %bb.643:                              ;   in Loop: Header=BB391_363 Depth=1
	s_or_b64 exec, exec, s[12:13]
	v_lshrrev_b32_e32 v6, 16, v2
	v_cmp_ne_u16_sdwa s[4:5], v6, v11 src0_sel:BYTE_0 src1_sel:DWORD
	v_mov_b32_e32 v4, 0
	s_and_saveexec_b64 s[12:13], s[4:5]
	s_cbranch_execz .LBB391_649
; %bb.644:                              ;   in Loop: Header=BB391_363 Depth=1
	v_cmp_ne_u16_sdwa s[4:5], v6, s28 src0_sel:BYTE_0 src1_sel:DWORD
	v_bfrev_b32_e32 v4, 1
	s_and_saveexec_b64 s[24:25], s[4:5]
	s_cbranch_execz .LBB391_648
; %bb.645:                              ;   in Loop: Header=BB391_363 Depth=1
	v_bfe_u32 v10, v2, 16, 7
	v_cmp_ne_u32_e64 s[4:5], s29, v10
	v_mov_b32_e32 v4, 0x7f800001
	s_and_saveexec_b64 s[26:27], s[4:5]
	s_cbranch_execz .LBB391_647
; %bb.646:                              ;   in Loop: Header=BB391_363 Depth=1
	v_and_b32_e32 v4, 7, v6
	v_ffbh_u32_e32 v20, v4
	v_min_u32_e32 v24, 32, v20
	v_subrev_u32_e32 v20, 28, v24
	v_lshlrev_b64 v[20:21], v20, v[6:7]
	v_lshrrev_b32_e32 v22, 3, v10
	v_sub_u32_e32 v21, 29, v24
	v_and_b32_e32 v20, 7, v20
	v_cmp_gt_u32_e64 s[4:5], 8, v10
	v_cndmask_b32_e64 v10, v22, v21, s[4:5]
	v_cndmask_b32_e64 v4, v4, v20, s[4:5]
	v_lshlrev_b32_e32 v6, 24, v6
	v_lshlrev_b32_e32 v4, 20, v4
	v_and_b32_e32 v6, 0x80000000, v6
	v_lshl_add_u32 v10, v10, 23, v39
	v_or3_b32 v4, v6, v10, v4
.LBB391_647:                            ;   in Loop: Header=BB391_363 Depth=1
	s_or_b64 exec, exec, s[26:27]
.LBB391_648:                            ;   in Loop: Header=BB391_363 Depth=1
	s_or_b64 exec, exec, s[24:25]
.LBB391_649:                            ;   in Loop: Header=BB391_363 Depth=1
	s_or_b64 exec, exec, s[12:13]
	v_mul_f32_e32 v4, v26, v4
	v_and_b32_e32 v6, 0x7f800000, v4
	v_cmp_ne_u32_e64 s[4:5], s15, v6
                                        ; implicit-def: $vgpr24
	s_and_saveexec_b64 s[12:13], s[4:5]
	s_xor_b64 s[4:5], exec, s[12:13]
; %bb.650:                              ;   in Loop: Header=BB391_363 Depth=1
	v_bfe_u32 v6, v4, 16, 1
	v_add3_u32 v24, v4, v6, s21
                                        ; implicit-def: $vgpr4
; %bb.651:                              ;   in Loop: Header=BB391_363 Depth=1
	s_andn2_saveexec_b64 s[12:13], s[4:5]
; %bb.652:                              ;   in Loop: Header=BB391_363 Depth=1
	v_or_b32_e32 v6, 0x10000, v4
	v_cmp_eq_u32_sdwa s[4:5], v4, v11 src0_sel:WORD_0 src1_sel:DWORD
	v_cndmask_b32_e64 v24, v6, v4, s[4:5]
; %bb.653:                              ;   in Loop: Header=BB391_363 Depth=1
	s_or_b64 exec, exec, s[12:13]
	v_cmp_lt_u32_e64 s[4:5], s9, v2
	v_mov_b32_e32 v4, 0
	s_and_saveexec_b64 s[12:13], s[4:5]
	s_cbranch_execz .LBB391_659
; %bb.654:                              ;   in Loop: Header=BB391_363 Depth=1
	v_lshrrev_b32_e32 v6, 24, v2
	v_cmp_ne_u32_e64 s[4:5], s28, v6
	v_bfrev_b32_e32 v4, 1
	s_and_saveexec_b64 s[24:25], s[4:5]
	s_cbranch_execz .LBB391_658
; %bb.655:                              ;   in Loop: Header=BB391_363 Depth=1
	v_bfe_u32 v10, v2, 24, 7
	v_cmp_ne_u32_e64 s[4:5], s29, v10
	v_mov_b32_e32 v4, 0x7f800001
	s_and_saveexec_b64 s[26:27], s[4:5]
	s_cbranch_execz .LBB391_657
; %bb.656:                              ;   in Loop: Header=BB391_363 Depth=1
	v_and_b32_e32 v4, 7, v6
	v_ffbh_u32_e32 v20, v4
	v_min_u32_e32 v25, 32, v20
	v_subrev_u32_e32 v20, 28, v25
	v_lshlrev_b64 v[20:21], v20, v[6:7]
	v_lshrrev_b32_e32 v22, 3, v10
	v_sub_u32_e32 v21, 29, v25
	v_and_b32_e32 v20, 7, v20
	v_cmp_gt_u32_e64 s[4:5], 8, v10
	v_cndmask_b32_e64 v10, v22, v21, s[4:5]
	v_cndmask_b32_e64 v4, v4, v20, s[4:5]
	v_lshlrev_b32_e32 v6, 24, v6
	v_lshlrev_b32_e32 v4, 20, v4
	v_and_b32_e32 v6, 0x80000000, v6
	v_lshl_add_u32 v10, v10, 23, v39
	v_or3_b32 v4, v6, v10, v4
.LBB391_657:                            ;   in Loop: Header=BB391_363 Depth=1
	s_or_b64 exec, exec, s[26:27]
.LBB391_658:                            ;   in Loop: Header=BB391_363 Depth=1
	s_or_b64 exec, exec, s[24:25]
.LBB391_659:                            ;   in Loop: Header=BB391_363 Depth=1
	s_or_b64 exec, exec, s[12:13]
	v_mul_f32_e32 v4, v26, v4
	v_and_b32_e32 v6, 0x7f800000, v4
	v_cmp_ne_u32_e64 s[4:5], s15, v6
                                        ; implicit-def: $vgpr25
	s_and_saveexec_b64 s[12:13], s[4:5]
	s_xor_b64 s[4:5], exec, s[12:13]
; %bb.660:                              ;   in Loop: Header=BB391_363 Depth=1
	v_bfe_u32 v6, v4, 16, 1
	v_add3_u32 v25, v4, v6, s21
                                        ; implicit-def: $vgpr4
; %bb.661:                              ;   in Loop: Header=BB391_363 Depth=1
	s_andn2_saveexec_b64 s[12:13], s[4:5]
; %bb.662:                              ;   in Loop: Header=BB391_363 Depth=1
	v_or_b32_e32 v6, 0x10000, v4
	v_cmp_eq_u32_sdwa s[4:5], v4, v11 src0_sel:WORD_0 src1_sel:DWORD
	v_cndmask_b32_e64 v25, v6, v4, s[4:5]
; %bb.663:                              ;   in Loop: Header=BB391_363 Depth=1
	s_or_b64 exec, exec, s[12:13]
	v_mov_b32_e32 v10, v3
	v_cmp_ne_u16_sdwa s[4:5], v3, v11 src0_sel:BYTE_0 src1_sel:DWORD
	v_mov_b32_e32 v4, 0
	s_and_saveexec_b64 s[12:13], s[4:5]
	s_cbranch_execz .LBB391_669
; %bb.664:                              ;   in Loop: Header=BB391_363 Depth=1
	v_cmp_ne_u16_sdwa s[4:5], v3, s28 src0_sel:BYTE_0 src1_sel:DWORD
	v_bfrev_b32_e32 v4, 1
	s_and_saveexec_b64 s[24:25], s[4:5]
	s_cbranch_execz .LBB391_668
; %bb.665:                              ;   in Loop: Header=BB391_363 Depth=1
	v_and_b32_e32 v6, 0x7f, v3
	v_cmp_ne_u32_e64 s[4:5], s29, v6
	v_mov_b32_e32 v4, 0x7f800001
	s_and_saveexec_b64 s[26:27], s[4:5]
	s_cbranch_execz .LBB391_667
; %bb.666:                              ;   in Loop: Header=BB391_363 Depth=1
	v_and_b32_e32 v4, 7, v3
	v_ffbh_u32_e32 v4, v4
	v_min_u32_e32 v4, 32, v4
	v_subrev_u32_e32 v21, 28, v4
	v_cmp_gt_u32_e64 s[4:5], 8, v6
	v_lshrrev_b32_e32 v20, 3, v6
	v_sub_u32_e32 v4, 29, v4
	v_cndmask_b32_e64 v6, 0, v21, s[4:5]
	v_cndmask_b32_e64 v4, v20, v4, s[4:5]
	v_lshlrev_b64 v[20:21], v6, v[10:11]
	v_lshlrev_b32_e32 v6, 20, v20
	v_lshlrev_b32_e32 v20, 24, v10
	v_and_b32_e32 v6, 0x700000, v6
	v_and_b32_e32 v20, 0x80000000, v20
	v_lshl_add_u32 v4, v4, 23, v39
	v_or3_b32 v4, v20, v4, v6
.LBB391_667:                            ;   in Loop: Header=BB391_363 Depth=1
	s_or_b64 exec, exec, s[26:27]
.LBB391_668:                            ;   in Loop: Header=BB391_363 Depth=1
	s_or_b64 exec, exec, s[24:25]
.LBB391_669:                            ;   in Loop: Header=BB391_363 Depth=1
	s_or_b64 exec, exec, s[12:13]
	v_mul_f32_e32 v6, v26, v4
	v_and_b32_e32 v4, 0x7f800000, v6
	v_cmp_ne_u32_e64 s[4:5], s15, v4
                                        ; implicit-def: $vgpr4
	s_and_saveexec_b64 s[12:13], s[4:5]
	s_xor_b64 s[4:5], exec, s[12:13]
; %bb.670:                              ;   in Loop: Header=BB391_363 Depth=1
	v_bfe_u32 v4, v6, 16, 1
	v_add3_u32 v4, v6, v4, s21
                                        ; implicit-def: $vgpr6
; %bb.671:                              ;   in Loop: Header=BB391_363 Depth=1
	s_andn2_saveexec_b64 s[12:13], s[4:5]
; %bb.672:                              ;   in Loop: Header=BB391_363 Depth=1
	v_or_b32_e32 v4, 0x10000, v6
	v_cmp_eq_u32_sdwa s[4:5], v6, v11 src0_sel:WORD_0 src1_sel:DWORD
	v_cndmask_b32_e64 v4, v4, v6, s[4:5]
; %bb.673:                              ;   in Loop: Header=BB391_363 Depth=1
	s_or_b64 exec, exec, s[12:13]
	v_lshrrev_b16_e32 v6, 8, v10
	v_cmp_ne_u16_e64 s[4:5], 0, v6
	v_mov_b32_e32 v20, 0
	s_and_saveexec_b64 s[12:13], s[4:5]
	s_cbranch_execz .LBB391_679
; %bb.674:                              ;   in Loop: Header=BB391_363 Depth=1
	v_cmp_ne_u16_e64 s[4:5], s28, v6
	v_bfrev_b32_e32 v20, 1
	s_and_saveexec_b64 s[24:25], s[4:5]
	s_cbranch_execz .LBB391_678
; %bb.675:                              ;   in Loop: Header=BB391_363 Depth=1
	v_and_b32_e32 v21, 0x7f, v6
	v_cmp_ne_u32_e64 s[4:5], s29, v21
	v_mov_b32_e32 v20, 0x7f800001
	s_and_saveexec_b64 s[26:27], s[4:5]
	s_cbranch_execz .LBB391_677
; %bb.676:                              ;   in Loop: Header=BB391_363 Depth=1
	v_and_b32_e32 v20, 7, v6
	v_ffbh_u32_e32 v33, v20
	v_min_u32_e32 v33, 32, v33
	v_accvgpr_write_b32 a12, v38
	v_subrev_u32_e32 v38, 28, v33
	v_lshlrev_b64 v[58:59], v38, v[6:7]
	v_lshrrev_b32_e32 v22, 3, v21
	v_sub_u32_e32 v6, 29, v33
	v_and_b32_e32 v33, 7, v58
	v_cmp_gt_u32_e64 s[4:5], 8, v21
	v_cndmask_b32_e64 v6, v22, v6, s[4:5]
	v_cndmask_b32_e64 v20, v20, v33, s[4:5]
	v_lshlrev_b32_e32 v10, 16, v10
	v_lshlrev_b32_e32 v20, 20, v20
	v_and_b32_e32 v10, 0x80000000, v10
	v_lshl_add_u32 v6, v6, 23, v39
	v_accvgpr_read_b32 v38, a12
	v_or3_b32 v20, v10, v6, v20
.LBB391_677:                            ;   in Loop: Header=BB391_363 Depth=1
	s_or_b64 exec, exec, s[26:27]
.LBB391_678:                            ;   in Loop: Header=BB391_363 Depth=1
	s_or_b64 exec, exec, s[24:25]
.LBB391_679:                            ;   in Loop: Header=BB391_363 Depth=1
	s_or_b64 exec, exec, s[12:13]
	v_mul_f32_e32 v6, v26, v20
	v_and_b32_e32 v10, 0x7f800000, v6
	v_cmp_ne_u32_e64 s[4:5], s15, v10
                                        ; implicit-def: $vgpr10
	s_and_saveexec_b64 s[12:13], s[4:5]
	s_xor_b64 s[4:5], exec, s[12:13]
; %bb.680:                              ;   in Loop: Header=BB391_363 Depth=1
	v_bfe_u32 v10, v6, 16, 1
	v_add3_u32 v10, v6, v10, s21
                                        ; implicit-def: $vgpr6
; %bb.681:                              ;   in Loop: Header=BB391_363 Depth=1
	s_andn2_saveexec_b64 s[12:13], s[4:5]
; %bb.682:                              ;   in Loop: Header=BB391_363 Depth=1
	v_or_b32_e32 v10, 0x10000, v6
	v_cmp_eq_u32_sdwa s[4:5], v6, v11 src0_sel:WORD_0 src1_sel:DWORD
	v_cndmask_b32_e64 v10, v10, v6, s[4:5]
; %bb.683:                              ;   in Loop: Header=BB391_363 Depth=1
	s_or_b64 exec, exec, s[12:13]
	v_lshrrev_b32_e32 v6, 16, v3
	v_cmp_ne_u16_sdwa s[4:5], v6, v11 src0_sel:BYTE_0 src1_sel:DWORD
	v_mov_b32_e32 v20, 0
	s_and_saveexec_b64 s[12:13], s[4:5]
	s_cbranch_execz .LBB391_689
; %bb.684:                              ;   in Loop: Header=BB391_363 Depth=1
	v_cmp_ne_u16_sdwa s[4:5], v6, s28 src0_sel:BYTE_0 src1_sel:DWORD
	v_bfrev_b32_e32 v20, 1
	s_and_saveexec_b64 s[24:25], s[4:5]
	s_cbranch_execz .LBB391_688
; %bb.685:                              ;   in Loop: Header=BB391_363 Depth=1
	v_bfe_u32 v21, v3, 16, 7
	v_cmp_ne_u32_e64 s[4:5], s29, v21
	v_mov_b32_e32 v20, 0x7f800001
	s_and_saveexec_b64 s[26:27], s[4:5]
	s_cbranch_execz .LBB391_687
; %bb.686:                              ;   in Loop: Header=BB391_363 Depth=1
	v_and_b32_e32 v20, 7, v6
	v_ffbh_u32_e32 v33, v20
	v_min_u32_e32 v33, 32, v33
	v_accvgpr_write_b32 a12, v38
	v_subrev_u32_e32 v38, 28, v33
	v_lshlrev_b64 v[58:59], v38, v[6:7]
	v_lshrrev_b32_e32 v22, 3, v21
	v_sub_u32_e32 v33, 29, v33
	v_and_b32_e32 v38, 7, v58
	v_cmp_gt_u32_e64 s[4:5], 8, v21
	v_cndmask_b32_e64 v21, v22, v33, s[4:5]
	v_cndmask_b32_e64 v20, v20, v38, s[4:5]
	v_lshlrev_b32_e32 v6, 24, v6
	v_lshlrev_b32_e32 v20, 20, v20
	v_and_b32_e32 v6, 0x80000000, v6
	v_lshl_add_u32 v21, v21, 23, v39
	v_accvgpr_read_b32 v38, a12
	v_or3_b32 v20, v6, v21, v20
.LBB391_687:                            ;   in Loop: Header=BB391_363 Depth=1
	s_or_b64 exec, exec, s[26:27]
.LBB391_688:                            ;   in Loop: Header=BB391_363 Depth=1
	s_or_b64 exec, exec, s[24:25]
.LBB391_689:                            ;   in Loop: Header=BB391_363 Depth=1
	s_or_b64 exec, exec, s[12:13]
	v_mul_f32_e32 v20, v26, v20
	v_and_b32_e32 v6, 0x7f800000, v20
	v_cmp_ne_u32_e64 s[4:5], s15, v6
                                        ; implicit-def: $vgpr6
	s_and_saveexec_b64 s[12:13], s[4:5]
	s_xor_b64 s[4:5], exec, s[12:13]
; %bb.690:                              ;   in Loop: Header=BB391_363 Depth=1
	v_bfe_u32 v6, v20, 16, 1
	v_add3_u32 v6, v20, v6, s21
                                        ; implicit-def: $vgpr20
; %bb.691:                              ;   in Loop: Header=BB391_363 Depth=1
	s_andn2_saveexec_b64 s[12:13], s[4:5]
; %bb.692:                              ;   in Loop: Header=BB391_363 Depth=1
	v_or_b32_e32 v6, 0x10000, v20
	v_cmp_eq_u32_sdwa s[4:5], v20, v11 src0_sel:WORD_0 src1_sel:DWORD
	v_cndmask_b32_e64 v6, v6, v20, s[4:5]
; %bb.693:                              ;   in Loop: Header=BB391_363 Depth=1
	s_or_b64 exec, exec, s[12:13]
	v_cmp_lt_u64_e64 s[4:5], s[8:9], v[2:3]
	v_mov_b32_e32 v20, 0
	s_and_saveexec_b64 s[12:13], s[4:5]
	s_cbranch_execz .LBB391_699
; %bb.694:                              ;   in Loop: Header=BB391_363 Depth=1
	v_lshrrev_b32_e32 v2, 24, v3
	v_cmp_ne_u32_e64 s[4:5], s28, v2
	v_bfrev_b32_e32 v20, 1
	s_and_saveexec_b64 s[24:25], s[4:5]
	s_cbranch_execz .LBB391_698
; %bb.695:                              ;   in Loop: Header=BB391_363 Depth=1
	v_bfe_u32 v3, v3, 24, 7
	v_cmp_ne_u32_e64 s[4:5], s29, v3
	v_mov_b32_e32 v20, 0x7f800001
	s_and_saveexec_b64 s[26:27], s[4:5]
	s_cbranch_execz .LBB391_697
; %bb.696:                              ;   in Loop: Header=BB391_363 Depth=1
	v_and_b32_e32 v22, 7, v2
	v_ffbh_u32_e32 v20, v22
	v_accvgpr_write_b32 a12, v38
	v_min_u32_e32 v38, 32, v20
	v_subrev_u32_e32 v20, 28, v38
	v_lshlrev_b64 v[20:21], v20, v[2:3]
	v_lshrrev_b32_e32 v33, 3, v3
	v_sub_u32_e32 v21, 29, v38
	v_and_b32_e32 v20, 7, v20
	v_cmp_gt_u32_e64 s[4:5], 8, v3
	v_cndmask_b32_e64 v3, v33, v21, s[4:5]
	v_cndmask_b32_e64 v20, v22, v20, s[4:5]
	v_lshlrev_b32_e32 v2, 24, v2
	v_lshlrev_b32_e32 v20, 20, v20
	v_and_b32_e32 v2, 0x80000000, v2
	v_lshl_add_u32 v3, v3, 23, v39
	v_accvgpr_read_b32 v38, a12
	v_or3_b32 v20, v2, v3, v20
.LBB391_697:                            ;   in Loop: Header=BB391_363 Depth=1
	s_or_b64 exec, exec, s[26:27]
.LBB391_698:                            ;   in Loop: Header=BB391_363 Depth=1
	s_or_b64 exec, exec, s[24:25]
.LBB391_699:                            ;   in Loop: Header=BB391_363 Depth=1
	s_or_b64 exec, exec, s[12:13]
	v_mul_f32_e32 v3, v26, v20
	v_and_b32_e32 v2, 0x7f800000, v3
	v_cmp_ne_u32_e64 s[4:5], s15, v2
                                        ; implicit-def: $vgpr2
	s_and_saveexec_b64 s[12:13], s[4:5]
	s_xor_b64 s[4:5], exec, s[12:13]
; %bb.700:                              ;   in Loop: Header=BB391_363 Depth=1
	v_bfe_u32 v2, v3, 16, 1
	v_add3_u32 v2, v3, v2, s21
                                        ; implicit-def: $vgpr3
; %bb.701:                              ;   in Loop: Header=BB391_363 Depth=1
	s_andn2_saveexec_b64 s[12:13], s[4:5]
; %bb.702:                              ;   in Loop: Header=BB391_363 Depth=1
	v_or_b32_e32 v2, 0x10000, v3
	v_cmp_eq_u32_sdwa s[4:5], v3, v11 src0_sel:WORD_0 src1_sel:DWORD
	v_cndmask_b32_e64 v2, v2, v3, s[4:5]
; %bb.703:                              ;   in Loop: Header=BB391_363 Depth=1
	s_or_b64 exec, exec, s[12:13]
	v_lshrrev_b32_e32 v10, 16, v10
	v_lshrrev_b32_e32 v20, 16, v4
	;; [unrolled: 1-line block ×8, first 2 shown]
	s_and_saveexec_b64 s[12:13], vcc
	s_cbranch_execz .LBB391_705
; %bb.704:                              ;   in Loop: Header=BB391_363 Depth=1
	v_cmp_lt_i32_e64 s[4:5], v38, v32
	v_cndmask_b32_e64 v3, 0, v3, s[4:5]
	v_cmp_lt_i32_e64 s[4:5], v52, v32
	v_cndmask_b32_e64 v23, 0, v23, s[4:5]
	;; [unrolled: 2-line block ×4, first 2 shown]
	v_cmp_lt_i32_e64 s[4:5], v49, v32
	v_accvgpr_read_b32 v6, a14
	v_cndmask_b32_e64 v20, 0, v20, s[4:5]
	v_cmp_lt_i32_e64 s[4:5], v6, v32
	v_accvgpr_read_b32 v6, a13
	v_cndmask_b32_e64 v10, 0, v10, s[4:5]
	v_cmp_lt_i32_e64 s[4:5], v6, v32
	v_cndmask_b32_e64 v4, 0, v4, s[4:5]
	v_cmp_lt_i32_e64 s[4:5], v17, v32
	v_cndmask_b32_e64 v2, 0, v2, s[4:5]
.LBB391_705:                            ;   in Loop: Header=BB391_363 Depth=1
	s_or_b64 exec, exec, s[12:13]
	v_lshlrev_b32_e32 v3, 16, v3
	v_mul_f32_e32 v6, v54, v3
	v_and_b32_e32 v3, 0x7f800000, v6
	v_cmp_ne_u32_e64 s[4:5], s15, v3
                                        ; implicit-def: $vgpr3
	s_and_saveexec_b64 s[12:13], s[4:5]
	s_xor_b64 s[4:5], exec, s[12:13]
; %bb.706:                              ;   in Loop: Header=BB391_363 Depth=1
	v_bfe_u32 v3, v6, 16, 1
	v_add3_u32 v3, v6, v3, s21
                                        ; implicit-def: $vgpr6
; %bb.707:                              ;   in Loop: Header=BB391_363 Depth=1
	s_andn2_saveexec_b64 s[12:13], s[4:5]
; %bb.708:                              ;   in Loop: Header=BB391_363 Depth=1
	v_or_b32_e32 v3, 0x10000, v6
	v_cmp_eq_u32_sdwa s[4:5], v6, v11 src0_sel:WORD_0 src1_sel:DWORD
	v_cndmask_b32_e64 v3, v3, v6, s[4:5]
; %bb.709:                              ;   in Loop: Header=BB391_363 Depth=1
	s_or_b64 exec, exec, s[12:13]
	v_lshlrev_b32_e32 v6, 16, v23
	v_mul_f32_e32 v22, v55, v6
	v_and_b32_e32 v6, 0x7f800000, v22
	v_cmp_ne_u32_e64 s[4:5], s15, v6
                                        ; implicit-def: $vgpr6
	s_and_saveexec_b64 s[12:13], s[4:5]
	s_xor_b64 s[4:5], exec, s[12:13]
; %bb.710:                              ;   in Loop: Header=BB391_363 Depth=1
	v_bfe_u32 v6, v22, 16, 1
	v_add3_u32 v6, v22, v6, s21
                                        ; implicit-def: $vgpr22
; %bb.711:                              ;   in Loop: Header=BB391_363 Depth=1
	s_andn2_saveexec_b64 s[12:13], s[4:5]
; %bb.712:                              ;   in Loop: Header=BB391_363 Depth=1
	v_or_b32_e32 v6, 0x10000, v22
	v_cmp_eq_u32_sdwa s[4:5], v22, v11 src0_sel:WORD_0 src1_sel:DWORD
	v_cndmask_b32_e64 v6, v6, v22, s[4:5]
; %bb.713:                              ;   in Loop: Header=BB391_363 Depth=1
	s_or_b64 exec, exec, s[12:13]
	v_lshlrev_b32_e32 v22, 16, v24
	v_mul_f32_e32 v22, v40, v22
	v_and_b32_e32 v23, 0x7f800000, v22
	v_cmp_ne_u32_e64 s[4:5], s15, v23
                                        ; implicit-def: $vgpr58
	s_and_saveexec_b64 s[12:13], s[4:5]
	s_xor_b64 s[4:5], exec, s[12:13]
; %bb.714:                              ;   in Loop: Header=BB391_363 Depth=1
	v_bfe_u32 v23, v22, 16, 1
	v_add3_u32 v58, v22, v23, s21
                                        ; implicit-def: $vgpr22
; %bb.715:                              ;   in Loop: Header=BB391_363 Depth=1
	s_andn2_saveexec_b64 s[12:13], s[4:5]
; %bb.716:                              ;   in Loop: Header=BB391_363 Depth=1
	v_or_b32_e32 v23, 0x10000, v22
	v_cmp_eq_u32_sdwa s[4:5], v22, v11 src0_sel:WORD_0 src1_sel:DWORD
	v_cndmask_b32_e64 v58, v23, v22, s[4:5]
; %bb.717:                              ;   in Loop: Header=BB391_363 Depth=1
	s_or_b64 exec, exec, s[12:13]
	v_lshlrev_b32_e32 v21, 16, v21
	v_mul_f32_e32 v21, v41, v21
	v_and_b32_e32 v22, 0x7f800000, v21
	v_cmp_ne_u32_e64 s[4:5], s15, v22
                                        ; implicit-def: $vgpr59
	s_and_saveexec_b64 s[12:13], s[4:5]
	s_xor_b64 s[4:5], exec, s[12:13]
; %bb.718:                              ;   in Loop: Header=BB391_363 Depth=1
	v_bfe_u32 v22, v21, 16, 1
	v_add3_u32 v59, v21, v22, s21
                                        ; implicit-def: $vgpr21
; %bb.719:                              ;   in Loop: Header=BB391_363 Depth=1
	s_andn2_saveexec_b64 s[12:13], s[4:5]
; %bb.720:                              ;   in Loop: Header=BB391_363 Depth=1
	v_or_b32_e32 v22, 0x10000, v21
	v_cmp_eq_u32_sdwa s[4:5], v21, v11 src0_sel:WORD_0 src1_sel:DWORD
	v_cndmask_b32_e64 v59, v22, v21, s[4:5]
; %bb.721:                              ;   in Loop: Header=BB391_363 Depth=1
	s_or_b64 exec, exec, s[12:13]
	v_lshlrev_b32_e32 v20, 16, v20
	v_mul_f32_e32 v20, v42, v20
	v_and_b32_e32 v21, 0x7f800000, v20
	v_cmp_ne_u32_e64 s[4:5], s15, v21
                                        ; implicit-def: $vgpr60
	s_and_saveexec_b64 s[12:13], s[4:5]
	s_xor_b64 s[4:5], exec, s[12:13]
; %bb.722:                              ;   in Loop: Header=BB391_363 Depth=1
	v_bfe_u32 v21, v20, 16, 1
	v_add3_u32 v60, v20, v21, s21
                                        ; implicit-def: $vgpr20
; %bb.723:                              ;   in Loop: Header=BB391_363 Depth=1
	s_andn2_saveexec_b64 s[12:13], s[4:5]
; %bb.724:                              ;   in Loop: Header=BB391_363 Depth=1
	v_or_b32_e32 v21, 0x10000, v20
	v_cmp_eq_u32_sdwa s[4:5], v20, v11 src0_sel:WORD_0 src1_sel:DWORD
	v_cndmask_b32_e64 v60, v21, v20, s[4:5]
; %bb.725:                              ;   in Loop: Header=BB391_363 Depth=1
	s_or_b64 exec, exec, s[12:13]
	v_lshlrev_b32_e32 v10, 16, v10
	v_mul_f32_e32 v10, v43, v10
	v_and_b32_e32 v20, 0x7f800000, v10
	v_cmp_ne_u32_e64 s[4:5], s15, v20
                                        ; implicit-def: $vgpr61
	s_and_saveexec_b64 s[12:13], s[4:5]
	s_xor_b64 s[4:5], exec, s[12:13]
; %bb.726:                              ;   in Loop: Header=BB391_363 Depth=1
	v_bfe_u32 v20, v10, 16, 1
	v_add3_u32 v61, v10, v20, s21
                                        ; implicit-def: $vgpr10
; %bb.727:                              ;   in Loop: Header=BB391_363 Depth=1
	s_andn2_saveexec_b64 s[12:13], s[4:5]
; %bb.728:                              ;   in Loop: Header=BB391_363 Depth=1
	v_or_b32_e32 v20, 0x10000, v10
	v_cmp_eq_u32_sdwa s[4:5], v10, v11 src0_sel:WORD_0 src1_sel:DWORD
	v_cndmask_b32_e64 v61, v20, v10, s[4:5]
; %bb.729:                              ;   in Loop: Header=BB391_363 Depth=1
	s_or_b64 exec, exec, s[12:13]
	v_lshlrev_b32_e32 v4, 16, v4
	v_mul_f32_e32 v4, v44, v4
	v_and_b32_e32 v10, 0x7f800000, v4
	v_cmp_ne_u32_e64 s[4:5], s15, v10
                                        ; implicit-def: $vgpr62
	s_and_saveexec_b64 s[12:13], s[4:5]
	s_xor_b64 s[4:5], exec, s[12:13]
; %bb.730:                              ;   in Loop: Header=BB391_363 Depth=1
	v_bfe_u32 v10, v4, 16, 1
	v_add3_u32 v62, v4, v10, s21
                                        ; implicit-def: $vgpr4
; %bb.731:                              ;   in Loop: Header=BB391_363 Depth=1
	s_andn2_saveexec_b64 s[12:13], s[4:5]
; %bb.732:                              ;   in Loop: Header=BB391_363 Depth=1
	v_or_b32_e32 v10, 0x10000, v4
	v_cmp_eq_u32_sdwa s[4:5], v4, v11 src0_sel:WORD_0 src1_sel:DWORD
	v_cndmask_b32_e64 v62, v10, v4, s[4:5]
; %bb.733:                              ;   in Loop: Header=BB391_363 Depth=1
	s_or_b64 exec, exec, s[12:13]
	v_lshlrev_b32_e32 v2, 16, v2
	v_mul_f32_e32 v2, v45, v2
	v_and_b32_e32 v4, 0x7f800000, v2
	v_cmp_ne_u32_e64 s[4:5], s15, v4
                                        ; implicit-def: $vgpr28
	s_and_saveexec_b64 s[12:13], s[4:5]
	s_xor_b64 s[4:5], exec, s[12:13]
; %bb.734:                              ;   in Loop: Header=BB391_363 Depth=1
	v_bfe_u32 v4, v2, 16, 1
	v_add3_u32 v28, v2, v4, s21
                                        ; implicit-def: $vgpr2
; %bb.735:                              ;   in Loop: Header=BB391_363 Depth=1
	s_andn2_saveexec_b64 s[12:13], s[4:5]
; %bb.736:                              ;   in Loop: Header=BB391_363 Depth=1
	v_or_b32_e32 v4, 0x10000, v2
	v_cmp_eq_u32_sdwa s[4:5], v2, v11 src0_sel:WORD_0 src1_sel:DWORD
	v_cndmask_b32_e64 v28, v4, v2, s[4:5]
; %bb.737:                              ;   in Loop: Header=BB391_363 Depth=1
	s_or_b64 exec, exec, s[12:13]
	flat_load_dwordx2 v[0:1], v[0:1] offset:1536
	v_mov_b32_e32 v2, 0
	s_waitcnt vmcnt(0) lgkmcnt(0)
	v_cmp_ne_u16_sdwa s[4:5], v0, v11 src0_sel:BYTE_0 src1_sel:DWORD
	s_and_saveexec_b64 s[12:13], s[4:5]
	s_cbranch_execz .LBB391_743
; %bb.738:                              ;   in Loop: Header=BB391_363 Depth=1
	v_cmp_ne_u16_sdwa s[4:5], v0, s28 src0_sel:BYTE_0 src1_sel:DWORD
	v_bfrev_b32_e32 v2, 1
	s_and_saveexec_b64 s[24:25], s[4:5]
	s_cbranch_execz .LBB391_742
; %bb.739:                              ;   in Loop: Header=BB391_363 Depth=1
	v_and_b32_e32 v4, 0x7f, v0
	v_cmp_ne_u32_e64 s[4:5], s29, v4
	v_mov_b32_e32 v2, 0x7f800001
	s_and_saveexec_b64 s[26:27], s[4:5]
	s_cbranch_execz .LBB391_741
; %bb.740:                              ;   in Loop: Header=BB391_363 Depth=1
	v_and_b32_e32 v2, 7, v0
	v_ffbh_u32_e32 v2, v2
	v_min_u32_e32 v2, 32, v2
	v_subrev_u32_e32 v20, 28, v2
	v_cmp_gt_u32_e64 s[4:5], 8, v4
	v_lshrrev_b32_e32 v10, 3, v4
	v_cndmask_b32_e64 v4, 0, v20, s[4:5]
	v_sub_u32_e32 v2, 29, v2
	v_lshlrev_b64 v[20:21], v4, v[0:1]
	v_cndmask_b32_e64 v2, v10, v2, s[4:5]
	v_lshlrev_b32_e32 v4, 20, v20
	v_lshlrev_b32_e32 v10, 24, v0
	v_and_b32_e32 v4, 0x700000, v4
	v_and_b32_e32 v10, 0x80000000, v10
	v_lshl_add_u32 v2, v2, 23, v39
	v_or3_b32 v2, v10, v2, v4
.LBB391_741:                            ;   in Loop: Header=BB391_363 Depth=1
	s_or_b64 exec, exec, s[26:27]
.LBB391_742:                            ;   in Loop: Header=BB391_363 Depth=1
	s_or_b64 exec, exec, s[24:25]
.LBB391_743:                            ;   in Loop: Header=BB391_363 Depth=1
	s_or_b64 exec, exec, s[12:13]
	v_mul_f32_e32 v2, v26, v2
	v_and_b32_e32 v4, 0x7f800000, v2
	v_cmp_ne_u32_e64 s[4:5], s15, v4
                                        ; implicit-def: $vgpr23
	s_and_saveexec_b64 s[12:13], s[4:5]
	s_xor_b64 s[4:5], exec, s[12:13]
; %bb.744:                              ;   in Loop: Header=BB391_363 Depth=1
	v_bfe_u32 v4, v2, 16, 1
	v_add3_u32 v23, v2, v4, s21
                                        ; implicit-def: $vgpr2
; %bb.745:                              ;   in Loop: Header=BB391_363 Depth=1
	s_andn2_saveexec_b64 s[12:13], s[4:5]
; %bb.746:                              ;   in Loop: Header=BB391_363 Depth=1
	v_or_b32_e32 v4, 0x10000, v2
	v_cmp_eq_u32_sdwa s[4:5], v2, v11 src0_sel:WORD_0 src1_sel:DWORD
	v_cndmask_b32_e64 v23, v4, v2, s[4:5]
; %bb.747:                              ;   in Loop: Header=BB391_363 Depth=1
	s_or_b64 exec, exec, s[12:13]
	v_lshrrev_b16_e32 v2, 8, v0
	v_cmp_ne_u16_e64 s[4:5], 0, v2
	v_mov_b32_e32 v4, 0
	s_and_saveexec_b64 s[12:13], s[4:5]
	s_cbranch_execz .LBB391_753
; %bb.748:                              ;   in Loop: Header=BB391_363 Depth=1
	v_cmp_ne_u16_e64 s[4:5], s28, v2
	v_bfrev_b32_e32 v4, 1
	s_and_saveexec_b64 s[24:25], s[4:5]
	s_cbranch_execz .LBB391_752
; %bb.749:                              ;   in Loop: Header=BB391_363 Depth=1
	v_and_b32_e32 v10, 0x7f, v2
	v_cmp_ne_u32_e64 s[4:5], s29, v10
	v_mov_b32_e32 v4, 0x7f800001
	s_and_saveexec_b64 s[26:27], s[4:5]
	s_cbranch_execz .LBB391_751
; %bb.750:                              ;   in Loop: Header=BB391_363 Depth=1
	v_and_b32_e32 v4, 7, v2
	v_ffbh_u32_e32 v20, v4
	v_min_u32_e32 v24, 32, v20
	v_subrev_u32_e32 v20, 28, v24
	v_lshlrev_b64 v[20:21], v20, v[2:3]
	v_lshrrev_b32_e32 v22, 3, v10
	v_sub_u32_e32 v2, 29, v24
	v_and_b32_e32 v20, 7, v20
	v_cmp_gt_u32_e64 s[4:5], 8, v10
	v_cndmask_b32_e64 v2, v22, v2, s[4:5]
	v_cndmask_b32_e64 v4, v4, v20, s[4:5]
	v_lshlrev_b32_e32 v10, 16, v0
	v_lshlrev_b32_e32 v4, 20, v4
	v_and_b32_e32 v10, 0x80000000, v10
	v_lshl_add_u32 v2, v2, 23, v39
	v_or3_b32 v4, v10, v2, v4
.LBB391_751:                            ;   in Loop: Header=BB391_363 Depth=1
	s_or_b64 exec, exec, s[26:27]
.LBB391_752:                            ;   in Loop: Header=BB391_363 Depth=1
	s_or_b64 exec, exec, s[24:25]
.LBB391_753:                            ;   in Loop: Header=BB391_363 Depth=1
	s_or_b64 exec, exec, s[12:13]
	v_mul_f32_e32 v2, v26, v4
	v_and_b32_e32 v4, 0x7f800000, v2
	v_cmp_ne_u32_e64 s[4:5], s15, v4
                                        ; implicit-def: $vgpr24
	s_and_saveexec_b64 s[12:13], s[4:5]
	s_xor_b64 s[4:5], exec, s[12:13]
; %bb.754:                              ;   in Loop: Header=BB391_363 Depth=1
	v_bfe_u32 v4, v2, 16, 1
	v_add3_u32 v24, v2, v4, s21
                                        ; implicit-def: $vgpr2
; %bb.755:                              ;   in Loop: Header=BB391_363 Depth=1
	s_andn2_saveexec_b64 s[12:13], s[4:5]
; %bb.756:                              ;   in Loop: Header=BB391_363 Depth=1
	v_or_b32_e32 v4, 0x10000, v2
	v_cmp_eq_u32_sdwa s[4:5], v2, v11 src0_sel:WORD_0 src1_sel:DWORD
	v_cndmask_b32_e64 v24, v4, v2, s[4:5]
; %bb.757:                              ;   in Loop: Header=BB391_363 Depth=1
	s_or_b64 exec, exec, s[12:13]
	v_lshrrev_b32_e32 v2, 16, v0
	v_cmp_ne_u16_sdwa s[4:5], v2, v11 src0_sel:BYTE_0 src1_sel:DWORD
	v_mov_b32_e32 v4, 0
	s_and_saveexec_b64 s[12:13], s[4:5]
	s_cbranch_execz .LBB391_763
; %bb.758:                              ;   in Loop: Header=BB391_363 Depth=1
	v_cmp_ne_u16_sdwa s[4:5], v2, s28 src0_sel:BYTE_0 src1_sel:DWORD
	v_bfrev_b32_e32 v4, 1
	s_and_saveexec_b64 s[24:25], s[4:5]
	s_cbranch_execz .LBB391_762
; %bb.759:                              ;   in Loop: Header=BB391_363 Depth=1
	v_bfe_u32 v10, v0, 16, 7
	v_cmp_ne_u32_e64 s[4:5], s29, v10
	v_mov_b32_e32 v4, 0x7f800001
	s_and_saveexec_b64 s[26:27], s[4:5]
	s_cbranch_execz .LBB391_761
; %bb.760:                              ;   in Loop: Header=BB391_363 Depth=1
	v_and_b32_e32 v4, 7, v2
	v_ffbh_u32_e32 v20, v4
	v_min_u32_e32 v25, 32, v20
	v_subrev_u32_e32 v20, 28, v25
	v_lshlrev_b64 v[20:21], v20, v[2:3]
	v_lshrrev_b32_e32 v22, 3, v10
	v_sub_u32_e32 v21, 29, v25
	v_and_b32_e32 v20, 7, v20
	v_cmp_gt_u32_e64 s[4:5], 8, v10
	v_cndmask_b32_e64 v10, v22, v21, s[4:5]
	v_cndmask_b32_e64 v4, v4, v20, s[4:5]
	v_lshlrev_b32_e32 v2, 24, v2
	v_lshlrev_b32_e32 v4, 20, v4
	v_and_b32_e32 v2, 0x80000000, v2
	v_lshl_add_u32 v10, v10, 23, v39
	v_or3_b32 v4, v2, v10, v4
.LBB391_761:                            ;   in Loop: Header=BB391_363 Depth=1
	s_or_b64 exec, exec, s[26:27]
.LBB391_762:                            ;   in Loop: Header=BB391_363 Depth=1
	s_or_b64 exec, exec, s[24:25]
.LBB391_763:                            ;   in Loop: Header=BB391_363 Depth=1
	s_or_b64 exec, exec, s[12:13]
	v_mul_f32_e32 v2, v26, v4
	v_and_b32_e32 v4, 0x7f800000, v2
	v_cmp_ne_u32_e64 s[4:5], s15, v4
                                        ; implicit-def: $vgpr25
	s_and_saveexec_b64 s[12:13], s[4:5]
	s_xor_b64 s[4:5], exec, s[12:13]
; %bb.764:                              ;   in Loop: Header=BB391_363 Depth=1
	v_bfe_u32 v4, v2, 16, 1
	v_add3_u32 v25, v2, v4, s21
                                        ; implicit-def: $vgpr2
; %bb.765:                              ;   in Loop: Header=BB391_363 Depth=1
	s_andn2_saveexec_b64 s[12:13], s[4:5]
; %bb.766:                              ;   in Loop: Header=BB391_363 Depth=1
	v_or_b32_e32 v4, 0x10000, v2
	v_cmp_eq_u32_sdwa s[4:5], v2, v11 src0_sel:WORD_0 src1_sel:DWORD
	v_cndmask_b32_e64 v25, v4, v2, s[4:5]
; %bb.767:                              ;   in Loop: Header=BB391_363 Depth=1
	s_or_b64 exec, exec, s[12:13]
	v_cmp_lt_u32_e64 s[4:5], s9, v0
	v_mov_b32_e32 v4, 0
	s_and_saveexec_b64 s[12:13], s[4:5]
	s_cbranch_execz .LBB391_773
; %bb.768:                              ;   in Loop: Header=BB391_363 Depth=1
	v_lshrrev_b32_e32 v2, 24, v0
	v_cmp_ne_u32_e64 s[4:5], s28, v2
	v_bfrev_b32_e32 v4, 1
	s_and_saveexec_b64 s[24:25], s[4:5]
	s_cbranch_execz .LBB391_772
; %bb.769:                              ;   in Loop: Header=BB391_363 Depth=1
	v_bfe_u32 v10, v0, 24, 7
	v_cmp_ne_u32_e64 s[4:5], s29, v10
	v_mov_b32_e32 v4, 0x7f800001
	s_and_saveexec_b64 s[26:27], s[4:5]
	s_cbranch_execz .LBB391_771
; %bb.770:                              ;   in Loop: Header=BB391_363 Depth=1
	v_and_b32_e32 v4, 7, v2
	v_ffbh_u32_e32 v20, v4
	v_min_u32_e32 v33, 32, v20
	v_subrev_u32_e32 v20, 28, v33
	v_lshlrev_b64 v[20:21], v20, v[2:3]
	v_lshrrev_b32_e32 v22, 3, v10
	v_sub_u32_e32 v21, 29, v33
	v_and_b32_e32 v20, 7, v20
	v_cmp_gt_u32_e64 s[4:5], 8, v10
	v_cndmask_b32_e64 v10, v22, v21, s[4:5]
	v_cndmask_b32_e64 v4, v4, v20, s[4:5]
	v_lshlrev_b32_e32 v2, 24, v2
	v_lshlrev_b32_e32 v4, 20, v4
	v_and_b32_e32 v2, 0x80000000, v2
	v_lshl_add_u32 v10, v10, 23, v39
	v_or3_b32 v4, v2, v10, v4
.LBB391_771:                            ;   in Loop: Header=BB391_363 Depth=1
	s_or_b64 exec, exec, s[26:27]
.LBB391_772:                            ;   in Loop: Header=BB391_363 Depth=1
	s_or_b64 exec, exec, s[24:25]
.LBB391_773:                            ;   in Loop: Header=BB391_363 Depth=1
	s_or_b64 exec, exec, s[12:13]
	v_mul_f32_e32 v2, v26, v4
	v_and_b32_e32 v4, 0x7f800000, v2
	v_cmp_ne_u32_e64 s[4:5], s15, v4
                                        ; implicit-def: $vgpr4
	s_and_saveexec_b64 s[12:13], s[4:5]
	s_xor_b64 s[4:5], exec, s[12:13]
; %bb.774:                              ;   in Loop: Header=BB391_363 Depth=1
	v_bfe_u32 v4, v2, 16, 1
	v_add3_u32 v4, v2, v4, s21
                                        ; implicit-def: $vgpr2
; %bb.775:                              ;   in Loop: Header=BB391_363 Depth=1
	s_andn2_saveexec_b64 s[12:13], s[4:5]
; %bb.776:                              ;   in Loop: Header=BB391_363 Depth=1
	v_or_b32_e32 v4, 0x10000, v2
	v_cmp_eq_u32_sdwa s[4:5], v2, v11 src0_sel:WORD_0 src1_sel:DWORD
	v_cndmask_b32_e64 v4, v4, v2, s[4:5]
; %bb.777:                              ;   in Loop: Header=BB391_363 Depth=1
	s_or_b64 exec, exec, s[12:13]
	v_mov_b32_e32 v10, v1
	v_cmp_ne_u16_sdwa s[4:5], v1, v11 src0_sel:BYTE_0 src1_sel:DWORD
	v_mov_b32_e32 v2, 0
	s_and_saveexec_b64 s[12:13], s[4:5]
	s_cbranch_execz .LBB391_783
; %bb.778:                              ;   in Loop: Header=BB391_363 Depth=1
	v_cmp_ne_u16_sdwa s[4:5], v1, s28 src0_sel:BYTE_0 src1_sel:DWORD
	v_bfrev_b32_e32 v2, 1
	s_and_saveexec_b64 s[24:25], s[4:5]
	s_cbranch_execz .LBB391_782
; %bb.779:                              ;   in Loop: Header=BB391_363 Depth=1
	v_and_b32_e32 v20, 0x7f, v1
	v_cmp_ne_u32_e64 s[4:5], s29, v20
	v_mov_b32_e32 v2, 0x7f800001
	s_and_saveexec_b64 s[26:27], s[4:5]
	s_cbranch_execz .LBB391_781
; %bb.780:                              ;   in Loop: Header=BB391_363 Depth=1
	v_and_b32_e32 v2, 7, v1
	v_ffbh_u32_e32 v2, v2
	v_min_u32_e32 v2, 32, v2
	v_subrev_u32_e32 v22, 28, v2
	v_cmp_gt_u32_e64 s[4:5], 8, v20
	v_lshrrev_b32_e32 v21, 3, v20
	v_sub_u32_e32 v2, 29, v2
	v_cndmask_b32_e64 v20, 0, v22, s[4:5]
	v_cndmask_b32_e64 v2, v21, v2, s[4:5]
	v_lshlrev_b64 v[20:21], v20, v[10:11]
	v_lshlrev_b32_e32 v20, 20, v20
	v_lshlrev_b32_e32 v21, 24, v10
	v_and_b32_e32 v20, 0x700000, v20
	v_and_b32_e32 v21, 0x80000000, v21
	v_lshl_add_u32 v2, v2, 23, v39
	v_or3_b32 v2, v21, v2, v20
.LBB391_781:                            ;   in Loop: Header=BB391_363 Depth=1
	s_or_b64 exec, exec, s[26:27]
.LBB391_782:                            ;   in Loop: Header=BB391_363 Depth=1
	s_or_b64 exec, exec, s[24:25]
.LBB391_783:                            ;   in Loop: Header=BB391_363 Depth=1
	s_or_b64 exec, exec, s[12:13]
	v_mul_f32_e32 v2, v26, v2
	v_and_b32_e32 v20, 0x7f800000, v2
	v_cmp_ne_u32_e64 s[4:5], s15, v20
                                        ; implicit-def: $vgpr20
	s_and_saveexec_b64 s[12:13], s[4:5]
	s_xor_b64 s[4:5], exec, s[12:13]
; %bb.784:                              ;   in Loop: Header=BB391_363 Depth=1
	v_bfe_u32 v20, v2, 16, 1
	v_add3_u32 v20, v2, v20, s21
                                        ; implicit-def: $vgpr2
; %bb.785:                              ;   in Loop: Header=BB391_363 Depth=1
	s_andn2_saveexec_b64 s[12:13], s[4:5]
; %bb.786:                              ;   in Loop: Header=BB391_363 Depth=1
	v_or_b32_e32 v20, 0x10000, v2
	v_cmp_eq_u32_sdwa s[4:5], v2, v11 src0_sel:WORD_0 src1_sel:DWORD
	v_cndmask_b32_e64 v20, v20, v2, s[4:5]
; %bb.787:                              ;   in Loop: Header=BB391_363 Depth=1
	s_or_b64 exec, exec, s[12:13]
	v_lshrrev_b16_e32 v2, 8, v10
	v_cmp_ne_u16_e64 s[4:5], 0, v2
	v_mov_b32_e32 v21, 0
	s_and_saveexec_b64 s[12:13], s[4:5]
	s_cbranch_execz .LBB391_793
; %bb.788:                              ;   in Loop: Header=BB391_363 Depth=1
	v_cmp_ne_u16_e64 s[4:5], s28, v2
	v_bfrev_b32_e32 v21, 1
	s_and_saveexec_b64 s[24:25], s[4:5]
	s_cbranch_execz .LBB391_792
; %bb.789:                              ;   in Loop: Header=BB391_363 Depth=1
	v_and_b32_e32 v22, 0x7f, v2
	v_cmp_ne_u32_e64 s[4:5], s29, v22
	v_mov_b32_e32 v21, 0x7f800001
	s_and_saveexec_b64 s[26:27], s[4:5]
	s_cbranch_execz .LBB391_791
; %bb.790:                              ;   in Loop: Header=BB391_363 Depth=1
	v_and_b32_e32 v21, 7, v2
	v_accvgpr_write_b32 a12, v38
	v_ffbh_u32_e32 v38, v21
	v_min_u32_e32 v48, 32, v38
	v_subrev_u32_e32 v38, 28, v48
	v_lshlrev_b64 v[38:39], v38, v[2:3]
	v_lshrrev_b32_e32 v33, 3, v22
	v_sub_u32_e32 v2, 29, v48
	v_and_b32_e32 v38, 7, v38
	v_cmp_gt_u32_e64 s[4:5], 8, v22
	v_bfrev_b32_e32 v39, 60
	v_cndmask_b32_e64 v2, v33, v2, s[4:5]
	v_cndmask_b32_e64 v21, v21, v38, s[4:5]
	v_lshlrev_b32_e32 v10, 16, v10
	v_lshlrev_b32_e32 v21, 20, v21
	v_and_b32_e32 v10, 0x80000000, v10
	v_lshl_add_u32 v2, v2, 23, v39
	v_accvgpr_read_b32 v48, a9
	v_accvgpr_read_b32 v38, a12
	v_or3_b32 v21, v10, v2, v21
.LBB391_791:                            ;   in Loop: Header=BB391_363 Depth=1
	s_or_b64 exec, exec, s[26:27]
.LBB391_792:                            ;   in Loop: Header=BB391_363 Depth=1
	s_or_b64 exec, exec, s[24:25]
.LBB391_793:                            ;   in Loop: Header=BB391_363 Depth=1
	s_or_b64 exec, exec, s[12:13]
	v_mul_f32_e32 v2, v26, v21
	v_and_b32_e32 v10, 0x7f800000, v2
	v_cmp_ne_u32_e64 s[4:5], s15, v10
                                        ; implicit-def: $vgpr10
	s_and_saveexec_b64 s[12:13], s[4:5]
	s_xor_b64 s[4:5], exec, s[12:13]
; %bb.794:                              ;   in Loop: Header=BB391_363 Depth=1
	v_bfe_u32 v10, v2, 16, 1
	v_add3_u32 v10, v2, v10, s21
                                        ; implicit-def: $vgpr2
; %bb.795:                              ;   in Loop: Header=BB391_363 Depth=1
	s_andn2_saveexec_b64 s[12:13], s[4:5]
; %bb.796:                              ;   in Loop: Header=BB391_363 Depth=1
	v_or_b32_e32 v10, 0x10000, v2
	v_cmp_eq_u32_sdwa s[4:5], v2, v11 src0_sel:WORD_0 src1_sel:DWORD
	v_cndmask_b32_e64 v10, v10, v2, s[4:5]
; %bb.797:                              ;   in Loop: Header=BB391_363 Depth=1
	s_or_b64 exec, exec, s[12:13]
	v_lshrrev_b32_e32 v2, 16, v1
	v_cmp_ne_u16_sdwa s[4:5], v2, v11 src0_sel:BYTE_0 src1_sel:DWORD
	v_mov_b32_e32 v21, 0
	s_and_saveexec_b64 s[12:13], s[4:5]
	s_cbranch_execz .LBB391_803
; %bb.798:                              ;   in Loop: Header=BB391_363 Depth=1
	v_cmp_ne_u16_sdwa s[4:5], v2, s28 src0_sel:BYTE_0 src1_sel:DWORD
	v_bfrev_b32_e32 v21, 1
	s_and_saveexec_b64 s[24:25], s[4:5]
	s_cbranch_execz .LBB391_802
; %bb.799:                              ;   in Loop: Header=BB391_363 Depth=1
	v_bfe_u32 v22, v1, 16, 7
	v_cmp_ne_u32_e64 s[4:5], s29, v22
	v_mov_b32_e32 v21, 0x7f800001
	s_and_saveexec_b64 s[26:27], s[4:5]
	s_cbranch_execz .LBB391_801
; %bb.800:                              ;   in Loop: Header=BB391_363 Depth=1
	v_and_b32_e32 v21, 7, v2
	v_accvgpr_write_b32 a12, v38
	v_ffbh_u32_e32 v38, v21
	v_min_u32_e32 v48, 32, v38
	v_subrev_u32_e32 v38, 28, v48
	v_lshlrev_b64 v[38:39], v38, v[2:3]
	v_lshrrev_b32_e32 v33, 3, v22
	v_sub_u32_e32 v39, 29, v48
	v_and_b32_e32 v38, 7, v38
	v_cmp_gt_u32_e64 s[4:5], 8, v22
	v_cndmask_b32_e64 v22, v33, v39, s[4:5]
	v_bfrev_b32_e32 v39, 60
	v_cndmask_b32_e64 v21, v21, v38, s[4:5]
	v_lshlrev_b32_e32 v2, 24, v2
	v_lshlrev_b32_e32 v21, 20, v21
	v_and_b32_e32 v2, 0x80000000, v2
	v_lshl_add_u32 v22, v22, 23, v39
	v_accvgpr_read_b32 v48, a9
	v_accvgpr_read_b32 v38, a12
	v_or3_b32 v21, v2, v22, v21
.LBB391_801:                            ;   in Loop: Header=BB391_363 Depth=1
	s_or_b64 exec, exec, s[26:27]
.LBB391_802:                            ;   in Loop: Header=BB391_363 Depth=1
	s_or_b64 exec, exec, s[24:25]
.LBB391_803:                            ;   in Loop: Header=BB391_363 Depth=1
	s_or_b64 exec, exec, s[12:13]
	v_mul_f32_e32 v21, v26, v21
	v_and_b32_e32 v2, 0x7f800000, v21
	v_cmp_ne_u32_e64 s[4:5], s15, v2
                                        ; implicit-def: $vgpr2
	s_and_saveexec_b64 s[12:13], s[4:5]
	s_xor_b64 s[4:5], exec, s[12:13]
; %bb.804:                              ;   in Loop: Header=BB391_363 Depth=1
	v_bfe_u32 v2, v21, 16, 1
	v_add3_u32 v2, v21, v2, s21
                                        ; implicit-def: $vgpr21
; %bb.805:                              ;   in Loop: Header=BB391_363 Depth=1
	s_andn2_saveexec_b64 s[12:13], s[4:5]
; %bb.806:                              ;   in Loop: Header=BB391_363 Depth=1
	v_or_b32_e32 v2, 0x10000, v21
	v_cmp_eq_u32_sdwa s[4:5], v21, v11 src0_sel:WORD_0 src1_sel:DWORD
	v_cndmask_b32_e64 v2, v2, v21, s[4:5]
; %bb.807:                              ;   in Loop: Header=BB391_363 Depth=1
	s_or_b64 exec, exec, s[12:13]
	v_cmp_lt_u64_e64 s[4:5], s[8:9], v[0:1]
	v_mov_b32_e32 v21, 0
	s_and_saveexec_b64 s[12:13], s[4:5]
	s_cbranch_execz .LBB391_813
; %bb.808:                              ;   in Loop: Header=BB391_363 Depth=1
	v_lshrrev_b32_e32 v0, 24, v1
	v_cmp_ne_u32_e64 s[4:5], s28, v0
	v_bfrev_b32_e32 v21, 1
	s_and_saveexec_b64 s[24:25], s[4:5]
	s_cbranch_execz .LBB391_812
; %bb.809:                              ;   in Loop: Header=BB391_363 Depth=1
	v_bfe_u32 v1, v1, 24, 7
	v_cmp_ne_u32_e64 s[4:5], s29, v1
	v_mov_b32_e32 v21, 0x7f800001
	s_and_saveexec_b64 s[26:27], s[4:5]
	s_cbranch_execz .LBB391_811
; %bb.810:                              ;   in Loop: Header=BB391_363 Depth=1
	v_and_b32_e32 v21, 7, v0
	v_ffbh_u32_e32 v33, v21
	v_min_u32_e32 v33, 32, v33
	v_accvgpr_write_b32 a12, v38
	v_subrev_u32_e32 v38, 28, v33
	v_lshlrev_b64 v[38:39], v38, v[0:1]
	v_lshrrev_b32_e32 v22, 3, v1
	v_sub_u32_e32 v33, 29, v33
	v_and_b32_e32 v38, 7, v38
	v_cmp_gt_u32_e64 s[4:5], 8, v1
	v_bfrev_b32_e32 v39, 60
	v_cndmask_b32_e64 v1, v22, v33, s[4:5]
	v_cndmask_b32_e64 v21, v21, v38, s[4:5]
	v_lshlrev_b32_e32 v0, 24, v0
	v_lshlrev_b32_e32 v21, 20, v21
	v_and_b32_e32 v0, 0x80000000, v0
	v_lshl_add_u32 v1, v1, 23, v39
	v_accvgpr_read_b32 v38, a12
	v_or3_b32 v21, v0, v1, v21
.LBB391_811:                            ;   in Loop: Header=BB391_363 Depth=1
	s_or_b64 exec, exec, s[26:27]
.LBB391_812:                            ;   in Loop: Header=BB391_363 Depth=1
	s_or_b64 exec, exec, s[24:25]
.LBB391_813:                            ;   in Loop: Header=BB391_363 Depth=1
	s_or_b64 exec, exec, s[12:13]
	v_mul_f32_e32 v0, v26, v21
	v_and_b32_e32 v1, 0x7f800000, v0
	v_cmp_ne_u32_e64 s[4:5], s15, v1
                                        ; implicit-def: $vgpr22
	s_and_saveexec_b64 s[12:13], s[4:5]
	s_xor_b64 s[4:5], exec, s[12:13]
; %bb.814:                              ;   in Loop: Header=BB391_363 Depth=1
	v_bfe_u32 v1, v0, 16, 1
	v_add3_u32 v22, v0, v1, s21
                                        ; implicit-def: $vgpr0
; %bb.815:                              ;   in Loop: Header=BB391_363 Depth=1
	s_andn2_saveexec_b64 s[12:13], s[4:5]
; %bb.816:                              ;   in Loop: Header=BB391_363 Depth=1
	v_or_b32_e32 v1, 0x10000, v0
	v_cmp_eq_u32_sdwa s[4:5], v0, v11 src0_sel:WORD_0 src1_sel:DWORD
	v_cndmask_b32_e64 v22, v1, v0, s[4:5]
; %bb.817:                              ;   in Loop: Header=BB391_363 Depth=1
	s_or_b64 exec, exec, s[12:13]
	v_lshrrev_b32_e32 v21, 16, v10
	v_lshrrev_b32_e32 v33, 16, v20
	;; [unrolled: 1-line block ×8, first 2 shown]
	s_and_saveexec_b64 s[4:5], vcc
	s_cbranch_execz .LBB391_819
; %bb.818:                              ;   in Loop: Header=BB391_363 Depth=1
	v_cmp_lt_i32_e32 vcc, v38, v32
	v_cndmask_b32_e32 v0, 0, v0, vcc
	v_cmp_lt_i32_e32 vcc, v52, v32
	v_cndmask_b32_e32 v1, 0, v1, vcc
	;; [unrolled: 2-line block ×4, first 2 shown]
	v_cmp_lt_i32_e32 vcc, v49, v32
	v_accvgpr_read_b32 v22, a14
	v_cndmask_b32_e32 v33, 0, v33, vcc
	v_cmp_lt_i32_e32 vcc, v22, v32
	v_accvgpr_read_b32 v22, a13
	v_cndmask_b32_e32 v21, 0, v21, vcc
	v_cmp_lt_i32_e32 vcc, v22, v32
	v_cndmask_b32_e32 v10, 0, v10, vcc
	v_cmp_lt_i32_e32 vcc, v17, v32
	v_cndmask_b32_e32 v2, 0, v2, vcc
.LBB391_819:                            ;   in Loop: Header=BB391_363 Depth=1
	s_or_b64 exec, exec, s[4:5]
	v_lshlrev_b32_e32 v0, 16, v0
	v_mul_f32_e32 v22, v54, v0
	v_and_b32_e32 v0, 0x7f800000, v22
	v_cmp_ne_u32_e32 vcc, s15, v0
                                        ; implicit-def: $vgpr0
	s_and_saveexec_b64 s[4:5], vcc
	s_xor_b64 s[4:5], exec, s[4:5]
; %bb.820:                              ;   in Loop: Header=BB391_363 Depth=1
	v_bfe_u32 v0, v22, 16, 1
	v_add3_u32 v0, v22, v0, s21
                                        ; implicit-def: $vgpr22
; %bb.821:                              ;   in Loop: Header=BB391_363 Depth=1
	s_andn2_saveexec_b64 s[4:5], s[4:5]
; %bb.822:                              ;   in Loop: Header=BB391_363 Depth=1
	v_or_b32_e32 v0, 0x10000, v22
	v_cmp_eq_u32_sdwa vcc, v22, v11 src0_sel:WORD_0 src1_sel:DWORD
	v_cndmask_b32_e32 v0, v0, v22, vcc
; %bb.823:                              ;   in Loop: Header=BB391_363 Depth=1
	s_or_b64 exec, exec, s[4:5]
	v_lshlrev_b32_e32 v1, 16, v1
	v_mul_f32_e32 v22, v55, v1
	v_and_b32_e32 v1, 0x7f800000, v22
	v_cmp_ne_u32_e32 vcc, s15, v1
                                        ; implicit-def: $vgpr1
	s_and_saveexec_b64 s[4:5], vcc
	s_xor_b64 s[4:5], exec, s[4:5]
; %bb.824:                              ;   in Loop: Header=BB391_363 Depth=1
	v_bfe_u32 v1, v22, 16, 1
	v_add3_u32 v1, v22, v1, s21
                                        ; implicit-def: $vgpr22
; %bb.825:                              ;   in Loop: Header=BB391_363 Depth=1
	s_andn2_saveexec_b64 s[4:5], s[4:5]
; %bb.826:                              ;   in Loop: Header=BB391_363 Depth=1
	v_or_b32_e32 v1, 0x10000, v22
	v_cmp_eq_u32_sdwa vcc, v22, v11 src0_sel:WORD_0 src1_sel:DWORD
	v_cndmask_b32_e32 v1, v1, v22, vcc
; %bb.827:                              ;   in Loop: Header=BB391_363 Depth=1
	s_or_b64 exec, exec, s[4:5]
	v_lshlrev_b32_e32 v4, 16, v4
	v_mul_f32_e32 v22, v40, v4
	v_and_b32_e32 v4, 0x7f800000, v22
	v_cmp_ne_u32_e32 vcc, s15, v4
                                        ; implicit-def: $vgpr4
	s_and_saveexec_b64 s[4:5], vcc
	s_xor_b64 s[4:5], exec, s[4:5]
; %bb.828:                              ;   in Loop: Header=BB391_363 Depth=1
	v_bfe_u32 v4, v22, 16, 1
	v_add3_u32 v4, v22, v4, s21
                                        ; implicit-def: $vgpr22
; %bb.829:                              ;   in Loop: Header=BB391_363 Depth=1
	s_andn2_saveexec_b64 s[4:5], s[4:5]
; %bb.830:                              ;   in Loop: Header=BB391_363 Depth=1
	v_or_b32_e32 v4, 0x10000, v22
	v_cmp_eq_u32_sdwa vcc, v22, v11 src0_sel:WORD_0 src1_sel:DWORD
	v_cndmask_b32_e32 v4, v4, v22, vcc
; %bb.831:                              ;   in Loop: Header=BB391_363 Depth=1
	s_or_b64 exec, exec, s[4:5]
	v_lshlrev_b32_e32 v20, 16, v20
	v_mul_f32_e32 v22, v41, v20
	v_and_b32_e32 v20, 0x7f800000, v22
	v_cmp_ne_u32_e32 vcc, s15, v20
                                        ; implicit-def: $vgpr20
	s_and_saveexec_b64 s[4:5], vcc
	s_xor_b64 s[4:5], exec, s[4:5]
; %bb.832:                              ;   in Loop: Header=BB391_363 Depth=1
	v_bfe_u32 v20, v22, 16, 1
	v_add3_u32 v20, v22, v20, s21
                                        ; implicit-def: $vgpr22
; %bb.833:                              ;   in Loop: Header=BB391_363 Depth=1
	s_andn2_saveexec_b64 s[4:5], s[4:5]
; %bb.834:                              ;   in Loop: Header=BB391_363 Depth=1
	v_or_b32_e32 v20, 0x10000, v22
	v_cmp_eq_u32_sdwa vcc, v22, v11 src0_sel:WORD_0 src1_sel:DWORD
	v_cndmask_b32_e32 v20, v20, v22, vcc
; %bb.835:                              ;   in Loop: Header=BB391_363 Depth=1
	s_or_b64 exec, exec, s[4:5]
	v_lshlrev_b32_e32 v22, 16, v33
	v_mul_f32_e32 v22, v42, v22
	v_and_b32_e32 v23, 0x7f800000, v22
	v_cmp_ne_u32_e32 vcc, s15, v23
                                        ; implicit-def: $vgpr23
	s_and_saveexec_b64 s[4:5], vcc
	s_xor_b64 s[4:5], exec, s[4:5]
; %bb.836:                              ;   in Loop: Header=BB391_363 Depth=1
	v_bfe_u32 v23, v22, 16, 1
	v_add3_u32 v23, v22, v23, s21
                                        ; implicit-def: $vgpr22
; %bb.837:                              ;   in Loop: Header=BB391_363 Depth=1
	s_andn2_saveexec_b64 s[4:5], s[4:5]
; %bb.838:                              ;   in Loop: Header=BB391_363 Depth=1
	v_or_b32_e32 v23, 0x10000, v22
	v_cmp_eq_u32_sdwa vcc, v22, v11 src0_sel:WORD_0 src1_sel:DWORD
	v_cndmask_b32_e32 v23, v23, v22, vcc
; %bb.839:                              ;   in Loop: Header=BB391_363 Depth=1
	s_or_b64 exec, exec, s[4:5]
	v_lshlrev_b32_e32 v21, 16, v21
	v_mul_f32_e32 v22, v43, v21
	v_and_b32_e32 v21, 0x7f800000, v22
	v_cmp_ne_u32_e32 vcc, s15, v21
                                        ; implicit-def: $vgpr21
	s_and_saveexec_b64 s[4:5], vcc
	s_xor_b64 s[4:5], exec, s[4:5]
; %bb.840:                              ;   in Loop: Header=BB391_363 Depth=1
	v_bfe_u32 v21, v22, 16, 1
	v_add3_u32 v21, v22, v21, s21
                                        ; implicit-def: $vgpr22
; %bb.841:                              ;   in Loop: Header=BB391_363 Depth=1
	s_andn2_saveexec_b64 s[4:5], s[4:5]
; %bb.842:                              ;   in Loop: Header=BB391_363 Depth=1
	v_or_b32_e32 v21, 0x10000, v22
	v_cmp_eq_u32_sdwa vcc, v22, v11 src0_sel:WORD_0 src1_sel:DWORD
	v_cndmask_b32_e32 v21, v21, v22, vcc
; %bb.843:                              ;   in Loop: Header=BB391_363 Depth=1
	s_or_b64 exec, exec, s[4:5]
	v_lshlrev_b32_e32 v10, 16, v10
	v_mul_f32_e32 v22, v44, v10
	v_and_b32_e32 v10, 0x7f800000, v22
	v_cmp_ne_u32_e32 vcc, s15, v10
                                        ; implicit-def: $vgpr10
	s_and_saveexec_b64 s[4:5], vcc
	s_xor_b64 s[4:5], exec, s[4:5]
; %bb.844:                              ;   in Loop: Header=BB391_363 Depth=1
	v_bfe_u32 v10, v22, 16, 1
	v_add3_u32 v10, v22, v10, s21
                                        ; implicit-def: $vgpr22
; %bb.845:                              ;   in Loop: Header=BB391_363 Depth=1
	s_andn2_saveexec_b64 s[4:5], s[4:5]
; %bb.846:                              ;   in Loop: Header=BB391_363 Depth=1
	v_or_b32_e32 v10, 0x10000, v22
	v_cmp_eq_u32_sdwa vcc, v22, v11 src0_sel:WORD_0 src1_sel:DWORD
	v_cndmask_b32_e32 v10, v10, v22, vcc
; %bb.847:                              ;   in Loop: Header=BB391_363 Depth=1
	s_or_b64 exec, exec, s[4:5]
	v_lshlrev_b32_e32 v2, 16, v2
	v_mul_f32_e32 v22, v45, v2
	v_and_b32_e32 v2, 0x7f800000, v22
	v_cmp_ne_u32_e32 vcc, s15, v2
                                        ; implicit-def: $vgpr2
	s_and_saveexec_b64 s[4:5], vcc
	s_xor_b64 s[4:5], exec, s[4:5]
; %bb.848:                              ;   in Loop: Header=BB391_363 Depth=1
	v_bfe_u32 v2, v22, 16, 1
	v_add3_u32 v2, v22, v2, s21
                                        ; implicit-def: $vgpr22
; %bb.849:                              ;   in Loop: Header=BB391_363 Depth=1
	s_andn2_saveexec_b64 s[4:5], s[4:5]
	s_cbranch_execz .LBB391_362
; %bb.850:                              ;   in Loop: Header=BB391_363 Depth=1
	v_or_b32_e32 v2, 0x10000, v22
	v_cmp_eq_u32_sdwa vcc, v22, v11 src0_sel:WORD_0 src1_sel:DWORD
	v_cndmask_b32_e32 v2, v2, v22, vcc
	s_branch .LBB391_362
.LBB391_851:
	s_or_b64 exec, exec, s[10:11]
	v_accvgpr_read_b32 v20, a0
	v_accvgpr_read_b32 v22, a1
	;; [unrolled: 1-line block ×7, first 2 shown]
.LBB391_852:
	s_or_b64 exec, exec, s[6:7]
	ds_bpermute_b32 v0, v23, v18
	ds_bpermute_b32 v1, v23, v19
	;; [unrolled: 1-line block ×4, first 2 shown]
	s_waitcnt lgkmcnt(0)
	s_barrier
	v_pk_add_f32 v[0:1], v[18:19], v[0:1]
	ds_bpermute_b32 v4, v24, v0
	ds_bpermute_b32 v5, v24, v1
	v_pk_add_f32 v[2:3], v[12:13], v[2:3]
	ds_bpermute_b32 v6, v24, v2
	ds_bpermute_b32 v7, v24, v3
	s_waitcnt lgkmcnt(0)
	v_pk_add_f32 v[0:1], v[0:1], v[4:5]
	v_and_b32_e32 v4, 0x3c3, v30
	v_cmp_eq_u32_e32 vcc, 64, v4
	v_pk_add_f32 v[2:3], v[2:3], v[6:7]
	s_and_saveexec_b64 s[4:5], vcc
	s_cbranch_execz .LBB391_854
; %bb.853:
	s_ashr_i32 s21, s20, 31
	s_lshl_b64 s[6:7], s[20:21], 2
	s_getpc_b64 s[8:9]
	s_add_u32 s8, s8, llvm.amdgcn.dynlds.offset.table@rel32@lo+4
	s_addc_u32 s9, s9, llvm.amdgcn.dynlds.offset.table@rel32@hi+12
	s_add_u32 s6, s6, s8
	s_addc_u32 s7, s7, s9
	s_load_dword s6, s[6:7], 0x0
	s_waitcnt lgkmcnt(0)
	v_add_u32_e32 v4, s6, v21
	ds_write2_b32 v4, v0, v1 offset1:16
	ds_write2_b32 v4, v2, v3 offset0:32 offset1:48
.LBB391_854:
	s_or_b64 exec, exec, s[4:5]
	v_cmp_gt_u32_e32 vcc, 64, v30
	s_waitcnt lgkmcnt(0)
	s_barrier
	s_and_saveexec_b64 s[6:7], vcc
	s_cbranch_execz .LBB391_861
; %bb.855:
	v_cmp_eq_u32_e64 s[4:5], 0, v8
	v_lshrrev_b32_e32 v4, 2, v30
	s_and_saveexec_b64 s[8:9], s[4:5]
	s_cbranch_execnz .LBB391_881
; %bb.856:
	s_or_b64 exec, exec, s[8:9]
	s_and_saveexec_b64 s[8:9], s[4:5]
	s_cbranch_execnz .LBB391_882
.LBB391_857:
	s_or_b64 exec, exec, s[8:9]
	s_and_saveexec_b64 s[8:9], s[4:5]
	s_cbranch_execnz .LBB391_883
.LBB391_858:
	s_or_b64 exec, exec, s[8:9]
	s_and_saveexec_b64 s[8:9], s[4:5]
	s_cbranch_execz .LBB391_860
.LBB391_859:
	s_ashr_i32 s21, s20, 31
	s_lshl_b64 s[4:5], s[20:21], 2
	s_getpc_b64 s[10:11]
	s_add_u32 s10, s10, llvm.amdgcn.dynlds.offset.table@rel32@lo+4
	s_addc_u32 s11, s11, llvm.amdgcn.dynlds.offset.table@rel32@hi+12
	s_add_u32 s4, s4, s10
	s_addc_u32 s5, s5, s11
	s_load_dword s4, s[4:5], 0x0
	s_waitcnt lgkmcnt(0)
	v_lshl_add_u32 v4, v4, 2, s4
	ds_read_b32 v4, v4 offset:192
	s_waitcnt lgkmcnt(0)
	v_add_f32_e32 v3, v3, v4
.LBB391_860:
	s_or_b64 exec, exec, s[8:9]
.LBB391_861:
	s_or_b64 exec, exec, s[6:7]
	s_barrier
	s_and_b64 exec, exec, vcc
	s_cbranch_execz .LBB391_880
; %bb.862:
	v_cmp_eq_u32_e32 vcc, 0, v8
	s_and_b64 exec, exec, vcc
	s_cbranch_execz .LBB391_880
; %bb.863:
	s_mov_b32 s4, 0x7f800000
	v_and_b32_e32 v4, 0x7f800000, v0
	v_cmp_ne_u32_e32 vcc, s4, v4
                                        ; implicit-def: $vgpr6
	s_and_saveexec_b64 s[4:5], vcc
	s_xor_b64 s[4:5], exec, s[4:5]
; %bb.864:
	v_bfe_u32 v4, v0, 16, 1
	s_movk_i32 s6, 0x7fff
	v_add3_u32 v6, v0, v4, s6
; %bb.865:
	s_andn2_saveexec_b64 s[4:5], s[4:5]
; %bb.866:
	v_mov_b32_e32 v4, 0
	v_or_b32_e32 v5, 0x10000, v0
	v_cmp_eq_u32_sdwa vcc, v0, v4 src0_sel:WORD_0 src1_sel:DWORD
	v_cndmask_b32_e32 v6, v5, v0, vcc
; %bb.867:
	s_or_b64 exec, exec, s[4:5]
	s_mul_i32 s4, s23, s18
	s_mul_i32 s4, s4, s19
	s_lshl_b32 s4, s4, 6
	s_mul_i32 s6, s22, s23
	s_lshl_b32 s8, s14, 6
	s_ashr_i32 s5, s4, 31
	s_ashr_i32 s7, s6, 31
	s_ashr_i32 s9, s8, 31
	s_lshl_b64 s[4:5], s[4:5], 1
	s_lshl_b64 s[6:7], s[6:7], 1
	;; [unrolled: 1-line block ×3, first 2 shown]
	s_add_u32 s6, s8, s6
	s_addc_u32 s7, s9, s7
	s_add_u32 s4, s6, s4
	s_addc_u32 s5, s7, s5
	v_mov_b32_e32 v0, s5
	v_add_co_u32_e32 v4, vcc, s4, v22
	v_lshrrev_b32_e32 v5, 1, v30
	v_addc_co_u32_e32 v0, vcc, v0, v20, vcc
	v_and_b32_e32 v5, 0x1fe, v5
	v_add_co_u32_e32 v4, vcc, v4, v5
	v_addc_co_u32_e32 v5, vcc, 0, v0, vcc
	s_mov_b32 s4, 0x7f800000
	v_and_b32_e32 v0, 0x7f800000, v1
	v_cmp_ne_u32_e32 vcc, s4, v0
	flat_store_short_d16_hi v[4:5], v6
                                        ; implicit-def: $vgpr0
	s_and_saveexec_b64 s[4:5], vcc
	s_xor_b64 s[4:5], exec, s[4:5]
; %bb.868:
	v_bfe_u32 v0, v1, 16, 1
	s_movk_i32 s6, 0x7fff
	v_add3_u32 v0, v1, v0, s6
; %bb.869:
	s_andn2_saveexec_b64 s[4:5], s[4:5]
; %bb.870:
	v_mov_b32_e32 v0, 0
	v_or_b32_e32 v6, 0x10000, v1
	v_cmp_eq_u32_sdwa vcc, v1, v0 src0_sel:WORD_0 src1_sel:DWORD
	v_cndmask_b32_e32 v0, v6, v1, vcc
; %bb.871:
	s_or_b64 exec, exec, s[4:5]
	flat_store_short_d16_hi v[4:5], v0 offset:32
	s_mov_b32 s4, 0x7f800000
	v_and_b32_e32 v0, 0x7f800000, v2
	v_cmp_ne_u32_e32 vcc, s4, v0
                                        ; implicit-def: $vgpr0
	s_and_saveexec_b64 s[4:5], vcc
	s_xor_b64 s[4:5], exec, s[4:5]
; %bb.872:
	v_bfe_u32 v0, v2, 16, 1
	s_movk_i32 s6, 0x7fff
	v_add3_u32 v0, v2, v0, s6
; %bb.873:
	s_andn2_saveexec_b64 s[4:5], s[4:5]
; %bb.874:
	v_mov_b32_e32 v0, 0
	v_or_b32_e32 v1, 0x10000, v2
	v_cmp_eq_u32_sdwa vcc, v2, v0 src0_sel:WORD_0 src1_sel:DWORD
	v_cndmask_b32_e32 v0, v1, v2, vcc
; %bb.875:
	s_or_b64 exec, exec, s[4:5]
	flat_store_short_d16_hi v[4:5], v0 offset:64
	s_mov_b32 s4, 0x7f800000
	v_and_b32_e32 v0, 0x7f800000, v3
	v_cmp_ne_u32_e32 vcc, s4, v0
                                        ; implicit-def: $vgpr6
	s_and_saveexec_b64 s[4:5], vcc
	s_xor_b64 s[4:5], exec, s[4:5]
; %bb.876:
	v_bfe_u32 v0, v3, 16, 1
	s_movk_i32 s6, 0x7fff
	v_add3_u32 v6, v3, v0, s6
                                        ; implicit-def: $vgpr0_vgpr1_vgpr2_vgpr3
; %bb.877:
	s_andn2_saveexec_b64 s[4:5], s[4:5]
; %bb.878:
	v_mov_b32_e32 v0, 0
	v_or_b32_e32 v1, 0x10000, v3
	v_cmp_eq_u32_sdwa vcc, v3, v0 src0_sel:WORD_0 src1_sel:DWORD
	v_cndmask_b32_e32 v6, v1, v3, vcc
; %bb.879:
	s_or_b64 exec, exec, s[4:5]
	flat_store_short_d16_hi v[4:5], v6 offset:96
.LBB391_880:
	s_or_b64 exec, exec, s[16:17]
	buffer_load_dword a51, off, s[0:3], s32 ; 4-byte Folded Reload
	buffer_load_dword a50, off, s[0:3], s32 offset:4 ; 4-byte Folded Reload
	buffer_load_dword a49, off, s[0:3], s32 offset:8 ; 4-byte Folded Reload
	buffer_load_dword a48, off, s[0:3], s32 offset:12 ; 4-byte Folded Reload
	buffer_load_dword a47, off, s[0:3], s32 offset:16 ; 4-byte Folded Reload
	buffer_load_dword a46, off, s[0:3], s32 offset:20 ; 4-byte Folded Reload
	buffer_load_dword a45, off, s[0:3], s32 offset:24 ; 4-byte Folded Reload
	buffer_load_dword a44, off, s[0:3], s32 offset:28 ; 4-byte Folded Reload
	buffer_load_dword a43, off, s[0:3], s32 offset:32 ; 4-byte Folded Reload
	buffer_load_dword a42, off, s[0:3], s32 offset:36 ; 4-byte Folded Reload
	buffer_load_dword a41, off, s[0:3], s32 offset:40 ; 4-byte Folded Reload
	buffer_load_dword a40, off, s[0:3], s32 offset:44 ; 4-byte Folded Reload
	buffer_load_dword a39, off, s[0:3], s32 offset:48 ; 4-byte Folded Reload
	buffer_load_dword a38, off, s[0:3], s32 offset:52 ; 4-byte Folded Reload
	buffer_load_dword a37, off, s[0:3], s32 offset:56 ; 4-byte Folded Reload
	buffer_load_dword a36, off, s[0:3], s32 offset:60 ; 4-byte Folded Reload
	buffer_load_dword a35, off, s[0:3], s32 offset:64 ; 4-byte Folded Reload
	buffer_load_dword a34, off, s[0:3], s32 offset:68 ; 4-byte Folded Reload
	buffer_load_dword a33, off, s[0:3], s32 offset:72 ; 4-byte Folded Reload
	buffer_load_dword a32, off, s[0:3], s32 offset:76 ; 4-byte Folded Reload
	buffer_load_dword v62, off, s[0:3], s32 offset:80 ; 4-byte Folded Reload
	buffer_load_dword v61, off, s[0:3], s32 offset:84 ; 4-byte Folded Reload
	buffer_load_dword v60, off, s[0:3], s32 offset:88 ; 4-byte Folded Reload
	buffer_load_dword v59, off, s[0:3], s32 offset:92 ; 4-byte Folded Reload
	buffer_load_dword v58, off, s[0:3], s32 offset:96 ; 4-byte Folded Reload
	buffer_load_dword v57, off, s[0:3], s32 offset:100 ; 4-byte Folded Reload
	buffer_load_dword v56, off, s[0:3], s32 offset:104 ; 4-byte Folded Reload
	buffer_load_dword v47, off, s[0:3], s32 offset:108 ; 4-byte Folded Reload
	buffer_load_dword v46, off, s[0:3], s32 offset:112 ; 4-byte Folded Reload
	buffer_load_dword v45, off, s[0:3], s32 offset:116 ; 4-byte Folded Reload
	buffer_load_dword v44, off, s[0:3], s32 offset:120 ; 4-byte Folded Reload
	buffer_load_dword v43, off, s[0:3], s32 offset:124 ; 4-byte Folded Reload
	buffer_load_dword v42, off, s[0:3], s32 offset:128 ; 4-byte Folded Reload
	buffer_load_dword v41, off, s[0:3], s32 offset:132 ; 4-byte Folded Reload
	buffer_load_dword v40, off, s[0:3], s32 offset:136 ; 4-byte Folded Reload
	v_readlane_b32 s30, v63, 7
	v_readlane_b32 s31, v63, 8
	;; [unrolled: 1-line block ×9, first 2 shown]
	s_or_saveexec_b64 s[4:5], -1
	buffer_load_dword v63, off, s[0:3], s32 offset:140 ; 4-byte Folded Reload
	s_mov_b64 exec, s[4:5]
	s_waitcnt vmcnt(0) lgkmcnt(0)
	s_setpc_b64 s[30:31]
.LBB391_881:
	s_ashr_i32 s21, s20, 31
	s_lshl_b64 s[10:11], s[20:21], 2
	s_getpc_b64 s[12:13]
	s_add_u32 s12, s12, llvm.amdgcn.dynlds.offset.table@rel32@lo+4
	s_addc_u32 s13, s13, llvm.amdgcn.dynlds.offset.table@rel32@hi+12
	s_add_u32 s10, s10, s12
	s_addc_u32 s11, s11, s13
	s_load_dword s10, s[10:11], 0x0
	s_waitcnt lgkmcnt(0)
	v_lshl_add_u32 v5, v4, 2, s10
	ds_read_b32 v5, v5
	s_waitcnt lgkmcnt(0)
	v_add_f32_e32 v0, v0, v5
	s_or_b64 exec, exec, s[8:9]
	s_and_saveexec_b64 s[8:9], s[4:5]
	s_cbranch_execz .LBB391_857
.LBB391_882:
	s_ashr_i32 s21, s20, 31
	s_lshl_b64 s[10:11], s[20:21], 2
	s_getpc_b64 s[12:13]
	s_add_u32 s12, s12, llvm.amdgcn.dynlds.offset.table@rel32@lo+4
	s_addc_u32 s13, s13, llvm.amdgcn.dynlds.offset.table@rel32@hi+12
	s_add_u32 s10, s10, s12
	s_addc_u32 s11, s11, s13
	s_load_dword s10, s[10:11], 0x0
	s_waitcnt lgkmcnt(0)
	v_lshl_add_u32 v5, v4, 2, s10
	ds_read_b32 v5, v5 offset:64
	s_waitcnt lgkmcnt(0)
	v_add_f32_e32 v1, v1, v5
	s_or_b64 exec, exec, s[8:9]
	s_and_saveexec_b64 s[8:9], s[4:5]
	s_cbranch_execz .LBB391_858
.LBB391_883:
	s_ashr_i32 s21, s20, 31
	s_lshl_b64 s[10:11], s[20:21], 2
	s_getpc_b64 s[12:13]
	s_add_u32 s12, s12, llvm.amdgcn.dynlds.offset.table@rel32@lo+4
	s_addc_u32 s13, s13, llvm.amdgcn.dynlds.offset.table@rel32@hi+12
	s_add_u32 s10, s10, s12
	s_addc_u32 s11, s11, s13
	s_load_dword s10, s[10:11], 0x0
	s_waitcnt lgkmcnt(0)
	v_lshl_add_u32 v5, v4, 2, s10
	ds_read_b32 v5, v5 offset:128
	s_waitcnt lgkmcnt(0)
	v_add_f32_e32 v2, v2, v5
	s_or_b64 exec, exec, s[8:9]
	s_and_saveexec_b64 s[8:9], s[4:5]
	s_cbranch_execnz .LBB391_859
	s_branch .LBB391_860
.Lfunc_end391:
	.size	_ZN4vllm22paged_attention_kernelI14__hip_bfloat16hLi64ELi32ELi128ELNS_18Fp8KVCacheDataTypeE1ELb0ELi512EEEvPfS3_PT_PKS4_PKT0_SA_ifPKiSC_iPKfiiiSE_SE_iiiii, .Lfunc_end391-_ZN4vllm22paged_attention_kernelI14__hip_bfloat16hLi64ELi32ELi128ELNS_18Fp8KVCacheDataTypeE1ELb0ELi512EEEvPfS3_PT_PKS4_PKT0_SA_ifPKiSC_iPKfiiiSE_SE_iiiii
                                        ; -- End function
	.section	.AMDGPU.csdata,"",@progbits
; Function info:
; codeLenInByte = 27248
; NumSgprs: 45
; NumVgprs: 64
; NumAgprs: 52
; TotalNumVgprs: 116
; ScratchSize: 148
; MemoryBound: 0
	.section	.text._ZN4vllm25paged_attention_v2_kernelI14__hip_bfloat16hLi64ELi32ELi128ELNS_18Fp8KVCacheDataTypeE1ELb0ELi512EEEvPfS3_PT_PKS4_PKT0_SA_ifPKiSC_iPKfiiiSE_SE_iiiii,"axG",@progbits,_ZN4vllm25paged_attention_v2_kernelI14__hip_bfloat16hLi64ELi32ELi128ELNS_18Fp8KVCacheDataTypeE1ELb0ELi512EEEvPfS3_PT_PKS4_PKT0_SA_ifPKiSC_iPKfiiiSE_SE_iiiii,comdat
	.protected	_ZN4vllm25paged_attention_v2_kernelI14__hip_bfloat16hLi64ELi32ELi128ELNS_18Fp8KVCacheDataTypeE1ELb0ELi512EEEvPfS3_PT_PKS4_PKT0_SA_ifPKiSC_iPKfiiiSE_SE_iiiii ; -- Begin function _ZN4vllm25paged_attention_v2_kernelI14__hip_bfloat16hLi64ELi32ELi128ELNS_18Fp8KVCacheDataTypeE1ELb0ELi512EEEvPfS3_PT_PKS4_PKT0_SA_ifPKiSC_iPKfiiiSE_SE_iiiii
	.globl	_ZN4vllm25paged_attention_v2_kernelI14__hip_bfloat16hLi64ELi32ELi128ELNS_18Fp8KVCacheDataTypeE1ELb0ELi512EEEvPfS3_PT_PKS4_PKT0_SA_ifPKiSC_iPKfiiiSE_SE_iiiii
	.p2align	8
	.type	_ZN4vllm25paged_attention_v2_kernelI14__hip_bfloat16hLi64ELi32ELi128ELNS_18Fp8KVCacheDataTypeE1ELb0ELi512EEEvPfS3_PT_PKS4_PKT0_SA_ifPKiSC_iPKfiiiSE_SE_iiiii,@function
_ZN4vllm25paged_attention_v2_kernelI14__hip_bfloat16hLi64ELi32ELi128ELNS_18Fp8KVCacheDataTypeE1ELb0ELi512EEEvPfS3_PT_PKS4_PKT0_SA_ifPKiSC_iPKfiiiSE_SE_iiiii: ; @_ZN4vllm25paged_attention_v2_kernelI14__hip_bfloat16hLi64ELi32ELi128ELNS_18Fp8KVCacheDataTypeE1ELb0ELi512EEEvPfS3_PT_PKS4_PKT0_SA_ifPKiSC_iPKfiiiSE_SE_iiiii
; %bb.0:
	s_add_u32 flat_scratch_lo, s6, s11
	s_addc_u32 flat_scratch_hi, s7, 0
	s_add_u32 s0, s0, s11
	s_load_dwordx8 s[24:31], s[4:5], 0x0
	s_load_dwordx8 s[16:23], s[4:5], 0x20
	s_load_dwordx2 s[6:7], s[4:5], 0x40
	s_load_dwordx2 s[34:35], s[4:5], 0x50
	s_load_dword s11, s[4:5], 0x48
	s_load_dwordx8 s[36:43], s[4:5], 0x58
	s_addc_u32 s1, s1, 0
	s_mov_b32 s12, s8
	s_add_u32 s8, s4, 0x90
	s_mov_b32 s13, s9
	s_addc_u32 s9, s5, 0
	s_mov_b32 s14, s10
	s_mov_b32 s15, 22
	v_mov_b32_e32 v31, v0
	s_waitcnt lgkmcnt(0)
	v_mov_b32_e32 v0, s24
	v_mov_b32_e32 v1, s25
	;; [unrolled: 1-line block ×28, first 2 shown]
	s_mov_b32 s32, 0
	s_getpc_b64 s[4:5]
	s_add_u32 s4, s4, _ZN4vllm22paged_attention_kernelI14__hip_bfloat16hLi64ELi32ELi128ELNS_18Fp8KVCacheDataTypeE1ELb0ELi512EEEvPfS3_PT_PKS4_PKT0_SA_ifPKiSC_iPKfiiiSE_SE_iiiii@rel32@lo+4
	s_addc_u32 s5, s5, _ZN4vllm22paged_attention_kernelI14__hip_bfloat16hLi64ELi32ELi128ELNS_18Fp8KVCacheDataTypeE1ELb0ELi512EEEvPfS3_PT_PKS4_PKT0_SA_ifPKiSC_iPKfiiiSE_SE_iiiii@rel32@hi+12
	s_swappc_b64 s[30:31], s[4:5]
	s_endpgm
	.section	.rodata,"a",@progbits
	.p2align	6, 0x0
	.amdhsa_kernel _ZN4vllm25paged_attention_v2_kernelI14__hip_bfloat16hLi64ELi32ELi128ELNS_18Fp8KVCacheDataTypeE1ELb0ELi512EEEvPfS3_PT_PKS4_PKT0_SA_ifPKiSC_iPKfiiiSE_SE_iiiii
		.amdhsa_group_segment_fixed_size 144
		.amdhsa_private_segment_fixed_size 148
		.amdhsa_kernarg_size 400
		.amdhsa_user_sgpr_count 8
		.amdhsa_user_sgpr_private_segment_buffer 1
		.amdhsa_user_sgpr_dispatch_ptr 0
		.amdhsa_user_sgpr_queue_ptr 0
		.amdhsa_user_sgpr_kernarg_segment_ptr 1
		.amdhsa_user_sgpr_dispatch_id 0
		.amdhsa_user_sgpr_flat_scratch_init 1
		.amdhsa_user_sgpr_kernarg_preload_length 0
		.amdhsa_user_sgpr_kernarg_preload_offset 0
		.amdhsa_user_sgpr_private_segment_size 0
		.amdhsa_uses_dynamic_stack 0
		.amdhsa_system_sgpr_private_segment_wavefront_offset 1
		.amdhsa_system_sgpr_workgroup_id_x 1
		.amdhsa_system_sgpr_workgroup_id_y 1
		.amdhsa_system_sgpr_workgroup_id_z 1
		.amdhsa_system_sgpr_workgroup_info 0
		.amdhsa_system_vgpr_workitem_id 0
		.amdhsa_next_free_vgpr 116
		.amdhsa_next_free_sgpr 44
		.amdhsa_accum_offset 64
		.amdhsa_reserve_vcc 1
		.amdhsa_reserve_flat_scratch 1
		.amdhsa_float_round_mode_32 0
		.amdhsa_float_round_mode_16_64 0
		.amdhsa_float_denorm_mode_32 3
		.amdhsa_float_denorm_mode_16_64 3
		.amdhsa_dx10_clamp 1
		.amdhsa_ieee_mode 1
		.amdhsa_fp16_overflow 0
		.amdhsa_tg_split 0
		.amdhsa_exception_fp_ieee_invalid_op 0
		.amdhsa_exception_fp_denorm_src 0
		.amdhsa_exception_fp_ieee_div_zero 0
		.amdhsa_exception_fp_ieee_overflow 0
		.amdhsa_exception_fp_ieee_underflow 0
		.amdhsa_exception_fp_ieee_inexact 0
		.amdhsa_exception_int_div_zero 0
	.end_amdhsa_kernel
	.section	.text._ZN4vllm25paged_attention_v2_kernelI14__hip_bfloat16hLi64ELi32ELi128ELNS_18Fp8KVCacheDataTypeE1ELb0ELi512EEEvPfS3_PT_PKS4_PKT0_SA_ifPKiSC_iPKfiiiSE_SE_iiiii,"axG",@progbits,_ZN4vllm25paged_attention_v2_kernelI14__hip_bfloat16hLi64ELi32ELi128ELNS_18Fp8KVCacheDataTypeE1ELb0ELi512EEEvPfS3_PT_PKS4_PKT0_SA_ifPKiSC_iPKfiiiSE_SE_iiiii,comdat
.Lfunc_end392:
	.size	_ZN4vllm25paged_attention_v2_kernelI14__hip_bfloat16hLi64ELi32ELi128ELNS_18Fp8KVCacheDataTypeE1ELb0ELi512EEEvPfS3_PT_PKS4_PKT0_SA_ifPKiSC_iPKfiiiSE_SE_iiiii, .Lfunc_end392-_ZN4vllm25paged_attention_v2_kernelI14__hip_bfloat16hLi64ELi32ELi128ELNS_18Fp8KVCacheDataTypeE1ELb0ELi512EEEvPfS3_PT_PKS4_PKT0_SA_ifPKiSC_iPKfiiiSE_SE_iiiii
                                        ; -- End function
	.section	.AMDGPU.csdata,"",@progbits
; Kernel info:
; codeLenInByte = 244
; NumSgprs: 50
; NumVgprs: 64
; NumAgprs: 52
; TotalNumVgprs: 116
; ScratchSize: 148
; MemoryBound: 0
; FloatMode: 240
; IeeeMode: 1
; LDSByteSize: 144 bytes/workgroup (compile time only)
; SGPRBlocks: 6
; VGPRBlocks: 14
; NumSGPRsForWavesPerEU: 50
; NumVGPRsForWavesPerEU: 116
; AccumOffset: 64
; Occupancy: 4
; WaveLimiterHint : 1
; COMPUTE_PGM_RSRC2:SCRATCH_EN: 1
; COMPUTE_PGM_RSRC2:USER_SGPR: 8
; COMPUTE_PGM_RSRC2:TRAP_HANDLER: 0
; COMPUTE_PGM_RSRC2:TGID_X_EN: 1
; COMPUTE_PGM_RSRC2:TGID_Y_EN: 1
; COMPUTE_PGM_RSRC2:TGID_Z_EN: 1
; COMPUTE_PGM_RSRC2:TIDIG_COMP_CNT: 0
; COMPUTE_PGM_RSRC3_GFX90A:ACCUM_OFFSET: 15
; COMPUTE_PGM_RSRC3_GFX90A:TG_SPLIT: 0
	.text
	.p2align	2                               ; -- Begin function _ZN4vllm22paged_attention_kernelI14__hip_bfloat16hLi80ELi32ELi128ELNS_18Fp8KVCacheDataTypeE1ELb0ELi512EEEvPfS3_PT_PKS4_PKT0_SA_ifPKiSC_iPKfiiiSE_SE_iiiii
	.type	_ZN4vllm22paged_attention_kernelI14__hip_bfloat16hLi80ELi32ELi128ELNS_18Fp8KVCacheDataTypeE1ELb0ELi512EEEvPfS3_PT_PKS4_PKT0_SA_ifPKiSC_iPKfiiiSE_SE_iiiii,@function
_ZN4vllm22paged_attention_kernelI14__hip_bfloat16hLi80ELi32ELi128ELNS_18Fp8KVCacheDataTypeE1ELb0ELi512EEEvPfS3_PT_PKS4_PKT0_SA_ifPKiSC_iPKfiiiSE_SE_iiiii: ; @_ZN4vllm22paged_attention_kernelI14__hip_bfloat16hLi80ELi32ELi128ELNS_18Fp8KVCacheDataTypeE1ELb0ELi512EEEvPfS3_PT_PKS4_PKT0_SA_ifPKiSC_iPKfiiiSE_SE_iiiii
; %bb.0:
	s_waitcnt vmcnt(0) expcnt(0) lgkmcnt(0)
	s_or_saveexec_b64 s[4:5], -1
	buffer_store_dword v63, off, s[0:3], s32 offset:200 ; 4-byte Folded Spill
	s_mov_b64 exec, s[4:5]
	buffer_store_dword v40, off, s[0:3], s32 offset:184 ; 4-byte Folded Spill
	buffer_store_dword v41, off, s[0:3], s32 offset:180 ; 4-byte Folded Spill
	;; [unrolled: 1-line block ×46, first 2 shown]
	buffer_store_dword a63, off, s[0:3], s32 ; 4-byte Folded Spill
	v_writelane_b32 v63, s34, 0
	v_writelane_b32 v63, s35, 1
	;; [unrolled: 1-line block ×9, first 2 shown]
	s_mov_b32 s18, s13
	s_ashr_i32 s19, s13, 31
	s_lshl_b64 s[4:5], s[18:19], 2
	v_mov_b32_e32 v30, v1
	v_mov_b32_e32 v34, v0
	;; [unrolled: 1-line block ×3, first 2 shown]
	v_add_co_u32_e32 v0, vcc, s4, v16
	v_addc_co_u32_e32 v1, vcc, v17, v1, vcc
	flat_load_dword v32, v[0:1]
	s_lshl_b32 s36, s14, 9
	v_pk_mov_b32 v[50:51], v[24:25], v[24:25] op_sel:[0,1]
	v_accvgpr_write_b32 a4, v22
	v_mov_b32_e32 v29, v20
	v_mov_b32_e32 v28, v19
	v_accvgpr_write_b32 a21, v13
	v_accvgpr_write_b32 a22, v11
	v_mov_b32_e32 v33, v10
	v_mov_b32_e32 v35, v3
	;; [unrolled: 1-line block ×3, first 2 shown]
	s_waitcnt vmcnt(0) lgkmcnt(0)
	v_cmp_lt_i32_e32 vcc, s36, v32
	s_and_saveexec_b64 s[16:17], vcc
	s_cbranch_execz .LBB393_1079
; %bb.1:
	v_sub_u32_e32 v0, 0, v12
	v_max_i32_e32 v0, v12, v0
	v_cvt_f32_u32_e32 v1, v0
	s_load_dword s4, s[8:9], 0x10
	s_load_dword s6, s[8:9], 0x0
	v_sub_u32_e32 v3, 0, v0
	v_accvgpr_write_b32 a1, v4
	v_rcp_iflag_f32_e32 v1, v1
	s_waitcnt lgkmcnt(0)
	s_lshr_b32 s4, s4, 16
	s_cmp_lg_u32 s4, 0
	s_cselect_b64 s[4:5], -1, 0
	v_mul_f32_e32 v1, 0x4f7ffffe, v1
	v_cvt_u32_f32_e32 v1, v1
	s_cmp_lg_u64 s[4:5], 0
	s_addc_u32 s19, s6, 0
	s_abs_i32 s4, s19
	v_mul_lo_u32 v3, v3, v1
	v_mul_hi_u32 v3, v1, v3
	v_add_u32_e32 v1, v1, v3
	v_mul_hi_u32 v1, s4, v1
	v_mul_lo_u32 v3, v1, v0
	v_sub_u32_e32 v3, s4, v3
	v_add_u32_e32 v4, 1, v1
	v_cmp_ge_u32_e32 vcc, v3, v0
	v_cndmask_b32_e32 v1, v1, v4, vcc
	v_sub_u32_e32 v4, v3, v0
	v_cndmask_b32_e32 v3, v3, v4, vcc
	v_xor_b32_e32 v2, s19, v12
	v_add_u32_e32 v4, 1, v1
	v_cmp_ge_u32_e32 vcc, v3, v0
	v_ashrrev_i32_e32 v2, 31, v2
	v_cndmask_b32_e32 v0, v1, v4, vcc
	v_xor_b32_e32 v0, v0, v2
	v_sub_u32_e32 v0, v0, v2
	v_sub_u32_e32 v1, 0, v0
	v_max_i32_e32 v1, v0, v1
	v_cvt_f32_u32_e32 v2, v1
	v_sub_u32_e32 v3, 0, v1
	s_abs_i32 s6, s12
	s_mov_b32 s20, s15
	v_rcp_iflag_f32_e32 v2, v2
	v_accvgpr_write_b32 a0, v5
	v_cmp_ne_u64_e32 vcc, 0, v[28:29]
	v_mov_b32_e32 v11, 0
	v_mul_f32_e32 v2, 0x4f7ffffe, v2
	v_cvt_u32_f32_e32 v2, v2
	v_mul_lo_u32 v3, v3, v2
	v_mul_hi_u32 v3, v2, v3
	v_add_u32_e32 v2, v2, v3
	v_mad_u64_u32 v[16:17], s[4:5], s6, v2, 0
	s_and_saveexec_b64 s[4:5], vcc
	s_cbranch_execz .LBB393_3
; %bb.2:
	s_ashr_i32 s13, s12, 31
	s_lshl_b64 s[10:11], s[12:13], 2
	v_mov_b32_e32 v3, s11
	v_add_co_u32_e32 v2, vcc, s10, v28
	v_addc_co_u32_e32 v3, vcc, v29, v3, vcc
	flat_load_dword v11, v[2:3]
.LBB393_3:
	s_or_b64 exec, exec, s[4:5]
	v_and_b32_e32 v28, 0x3ff, v31
	s_ashr_i32 s7, s12, 31
	v_ashrrev_i32_e32 v2, 31, v0
	v_and_b32_e32 v0, 1, v28
	s_movk_i32 s10, 0x50
	s_mul_i32 s22, s12, 0x50
	v_cmp_gt_u32_e32 vcc, 20, v28
	v_lshlrev_b32_e32 v31, 3, v28
	s_and_saveexec_b64 s[4:5], vcc
	s_cbranch_execz .LBB393_5
; %bb.4:
	v_mul_lo_u32 v4, s18, v21
	v_ashrrev_i32_e32 v5, 31, v4
	v_lshlrev_b64 v[4:5], 1, v[4:5]
	v_add_co_u32_e32 v3, vcc, v6, v4
	s_ashr_i32 s23, s22, 31
	v_addc_co_u32_e32 v4, vcc, v7, v5, vcc
	s_lshl_b64 s[24:25], s[22:23], 1
	v_mov_b32_e32 v5, s25
	v_add_co_u32_e32 v3, vcc, s24, v3
	v_addc_co_u32_e32 v5, vcc, v4, v5, vcc
	v_add_co_u32_e32 v4, vcc, v3, v31
	v_addc_co_u32_e32 v5, vcc, 0, v5, vcc
	flat_load_dwordx2 v[4:5], v[4:5]
	v_lshlrev_b32_e32 v3, 2, v28
	v_and_b32_e32 v3, 0xff8, v3
	v_mad_u32_u24 v3, v0, s10, v3
	s_waitcnt vmcnt(0) lgkmcnt(0)
	ds_write_b64 v3, v[4:5]
.LBB393_5:
	s_or_b64 exec, exec, s[4:5]
	v_add_u32_e32 v3, 31, v32
	v_ashrrev_i32_e32 v4, 31, v3
	v_lshrrev_b32_e32 v4, 27, v4
	v_add_u32_e32 v3, v3, v4
	v_ashrrev_i32_e32 v37, 5, v3
	v_mul_lo_u32 v3, v17, v1
	v_sub_u32_e32 v3, s6, v3
	v_add_u32_e32 v4, 1, v17
	v_cmp_ge_u32_e32 vcc, v3, v1
	v_sub_u32_e32 v5, v3, v1
	v_cndmask_b32_e32 v4, v17, v4, vcc
	v_cndmask_b32_e32 v3, v3, v5, vcc
	s_lshl_b32 s15, s14, 4
	v_add_u32_e32 v5, 1, v4
	v_cmp_ge_u32_e32 vcc, v3, v1
	s_add_i32 s4, s15, 16
	v_lshrrev_b32_e32 v38, 6, v28
	v_xor_b32_e32 v2, s7, v2
	v_cndmask_b32_e32 v1, v4, v5, vcc
	v_min_i32_e32 v10, s4, v37
	v_xor_b32_e32 v1, v1, v2
	v_mul_lo_u32 v6, s18, v18
	v_or_b32_e32 v16, s15, v38
	v_sub_u32_e32 v2, v1, v2
	v_ashrrev_i32_e32 v7, 31, v6
	v_cmp_lt_i32_e64 s[4:5], v16, v10
	v_accvgpr_write_b32 a3, v10
	v_cmp_ge_i32_e32 vcc, v16, v10
	v_mbcnt_lo_u32_b32 v1, -1, 0
	s_waitcnt lgkmcnt(0)
	s_barrier
	s_waitcnt lgkmcnt(0)
                                        ; implicit-def: $sgpr21
                                        ; implicit-def: $vgpr13
                                        ; implicit-def: $vgpr10
	s_and_saveexec_b64 s[6:7], vcc
	s_xor_b64 s[6:7], exec, s[6:7]
; %bb.6:
	v_mbcnt_hi_u32_b32 v13, -1, v1
	v_and_b32_e32 v0, 64, v13
	v_add_u32_e32 v10, 64, v0
	s_mov_b32 s21, 0xff7fffff
                                        ; implicit-def: $vgpr11
                                        ; implicit-def: $agpr21
                                        ; implicit-def: $vgpr50
                                        ; implicit-def: $vgpr8
                                        ; implicit-def: $vgpr9
                                        ; implicit-def: $vgpr0
                                        ; implicit-def: $vgpr1
; %bb.7:
	s_or_saveexec_b64 s[10:11], s[6:7]
	s_load_dword s23, s[8:9], 0x14
	s_load_dword s13, s[8:9], 0x8
	v_mul_lo_u32 v2, v2, v23
	v_accvgpr_write_b32 a17, v2
	v_ashrrev_i32_e32 v2, 31, v2
	v_mov_b32_e32 v24, s21
	v_ashrrev_i32_e32 v17, 31, v16
	v_accvgpr_write_b32 a20, v2
	v_lshlrev_b64 v[48:49], 2, v[6:7]
	s_xor_b64 exec, exec, s[10:11]
	s_cbranch_execz .LBB393_413
; %bb.8:
	v_accvgpr_read_b32 v2, a17
	v_add_co_u32_e32 v7, vcc, v8, v2
	v_accvgpr_read_b32 v2, a20
	v_mul_u32_u24_e32 v10, 0x50, v0
	v_addc_co_u32_e32 v9, vcc, v9, v2, vcc
	ds_read_b128 v[2:5], v10
	v_bfe_u32 v6, v28, 1, 5
	v_lshlrev_b32_e32 v8, 4, v6
	v_add_co_u32_e32 v8, vcc, v7, v8
	s_waitcnt lgkmcnt(0)
	v_lshlrev_b32_e32 v7, 16, v2
	v_and_b32_e32 v2, 0xffff0000, v2
	v_accvgpr_write_b32 a25, v2
	v_lshlrev_b32_e32 v2, 16, v3
	v_accvgpr_write_b32 a26, v2
	v_and_b32_e32 v2, 0xffff0000, v3
	buffer_store_dword v37, off, s[0:3], s32 offset:188 ; 4-byte Folded Spill
	v_accvgpr_write_b32 a8, v26
	v_accvgpr_write_b32 a27, v2
	v_lshlrev_b32_e32 v2, 16, v4
	v_accvgpr_write_b32 a13, v36
	v_accvgpr_write_b32 a12, v35
	;; [unrolled: 1-line block ×5, first 2 shown]
	ds_read_b128 v[18:21], v10 offset:16
	ds_read_b128 v[26:29], v10 offset:32
	;; [unrolled: 1-line block ×3, first 2 shown]
	v_accvgpr_write_b32 a28, v2
	v_and_b32_e32 v2, 0xffff0000, v4
	v_accvgpr_write_b32 a29, v2
	v_lshlrev_b32_e32 v2, 16, v5
	v_accvgpr_write_b32 a30, v2
	v_and_b32_e32 v2, 0xffff0000, v5
	v_accvgpr_write_b32 a31, v2
	s_waitcnt lgkmcnt(0)
	v_lshlrev_b32_e32 v2, 16, v18
	v_accvgpr_write_b32 a32, v2
	v_and_b32_e32 v2, 0xffff0000, v18
	v_accvgpr_write_b32 a33, v2
	v_lshlrev_b32_e32 v2, 16, v19
	v_accvgpr_write_b32 a34, v2
	v_and_b32_e32 v2, 0xffff0000, v19
	v_accvgpr_write_b32 a35, v2
	;; [unrolled: 4-line block ×10, first 2 shown]
	ds_read_b128 v[2:5], v10 offset:64
	v_accvgpr_write_b32 a24, v7
	v_lshlrev_b32_e32 v7, 16, v36
	v_accvgpr_write_b32 a52, v7
	v_and_b32_e32 v7, 0xffff0000, v36
	v_accvgpr_write_b32 a53, v7
	v_lshlrev_b32_e32 v7, 16, v37
	v_accvgpr_write_b32 a54, v7
	v_and_b32_e32 v7, 0xffff0000, v37
	v_accvgpr_write_b32 a55, v7
	s_waitcnt lgkmcnt(0)
	v_lshlrev_b32_e32 v7, 16, v2
	v_and_b32_e32 v2, 0xffff0000, v2
	v_accvgpr_write_b32 a57, v2
	v_lshlrev_b32_e32 v2, 16, v3
	v_accvgpr_write_b32 a58, v2
	v_and_b32_e32 v2, 0xffff0000, v3
	v_accvgpr_write_b32 a59, v2
	v_lshlrev_b32_e32 v2, 16, v4
	v_accvgpr_write_b32 a60, v2
	;; [unrolled: 4-line block ×3, first 2 shown]
	v_and_b32_e32 v2, 0xffff0000, v5
	v_addc_co_u32_e32 v9, vcc, 0, v9, vcc
	v_accvgpr_write_b32 a63, v2
	v_lshlrev_b64 v[2:3], 2, v[16:17]
	v_mbcnt_hi_u32_b32 v13, -1, v1
	v_add_co_u32_e32 v1, vcc, v48, v2
	buffer_store_dword v48, off, s[0:3], s32 offset:192 ; 4-byte Folded Spill
	s_nop 0
	buffer_store_dword v49, off, s[0:3], s32 offset:196 ; 4-byte Folded Spill
	s_ashr_i32 s21, s20, 31
	s_lshl_b64 s[8:9], s[20:21], 2
	s_getpc_b64 s[24:25]
	s_add_u32 s24, s24, llvm.amdgcn.dynlds.offset.table@rel32@lo+4
	s_addc_u32 s25, s25, llvm.amdgcn.dynlds.offset.table@rel32@hi+12
	s_add_u32 s24, s8, s24
	v_accvgpr_write_b32 a14, v31
	v_accvgpr_write_b32 a10, v30
	;; [unrolled: 1-line block ×6, first 2 shown]
	s_addc_u32 s25, s9, s25
	v_accvgpr_write_b32 a15, v38
	s_mov_b64 s[26:27], 0
	s_movk_i32 s21, 0x80
	s_movk_i32 s37, 0x7f
	s_mov_b32 s38, 0x7f800000
	s_movk_i32 s39, 0x7fff
	s_mov_b32 s40, 0xffffff
	v_mov_b32_e32 v24, 0xff7fffff
	v_bfrev_b32_e32 v23, 60
	v_pk_mov_b32 v[26:27], v[50:51], v[50:51] op_sel:[0,1]
	v_addc_co_u32_e32 v2, vcc, v49, v3, vcc
	v_add_co_u32_e32 v18, vcc, v14, v1
	v_and_b32_e32 v1, 64, v13
	v_addc_co_u32_e32 v19, vcc, v15, v2, vcc
	v_add_u32_e32 v2, 64, v1
	v_xor_b32_e32 v1, 1, v13
	v_cmp_lt_i32_e32 vcc, v1, v2
	v_cndmask_b32_e32 v1, v13, v1, vcc
	v_lshlrev_b32_e32 v1, 2, v1
	v_accvgpr_write_b32 a16, v1
	s_waitcnt vmcnt(0)
	v_mov_b32_e32 v1, v11
	v_cmp_eq_u32_e32 vcc, 0, v0
	v_cmp_neq_f32_e64 s[6:7], 0, v1
	v_lshlrev_b32_e32 v1, 5, v38
	v_lshlrev_b32_e32 v0, 2, v0
	v_add3_u32 v48, s36, v1, v6
	v_lshlrev_b32_e32 v1, 2, v6
	v_accvgpr_write_b32 a18, v0
	v_sub_u32_e32 v0, 1, v32
	v_accvgpr_write_b32 a23, v2
	v_lshl_or_b32 v15, v38, 7, v1
	v_mov_b32_e32 v14, 0
	v_accvgpr_write_b32 a19, v0
	v_mov_b32_e32 v49, v16
	s_branch .LBB393_10
.LBB393_9:                              ;   in Loop: Header=BB393_10 Depth=1
	s_or_b64 exec, exec, s[28:29]
	v_add_co_u32_e64 v18, s[8:9], 8, v18
	v_add_u32_e32 v49, 2, v49
	v_addc_co_u32_e64 v19, s[8:9], 0, v19, s[8:9]
	v_accvgpr_read_b32 v0, a3
	v_cmp_ge_i32_e64 s[8:9], v49, v0
	v_add_u32_e32 v48, 64, v48
	s_or_b64 s[26:27], s[8:9], s[26:27]
	v_add_u32_e32 v15, 0x100, v15
	s_andn2_b64 exec, exec, s[26:27]
	s_cbranch_execz .LBB393_412
.LBB393_10:                             ; =>This Inner Loop Header: Depth=1
	flat_load_dword v0, v[18:19]
	v_accvgpr_read_b32 v2, a4
	s_waitcnt vmcnt(0) lgkmcnt(0)
	v_mad_i64_i32 v[0:1], s[8:9], v0, v2, v[8:9]
	v_accvgpr_read_b32 v2, a18
	v_add_co_u32_e64 v20, s[8:9], v0, v2
	v_addc_co_u32_e64 v21, s[8:9], 0, v1, s[8:9]
	flat_load_dword v28, v[20:21]
	flat_load_dword v51, v[26:27]
	v_mov_b32_e32 v0, 0
	s_waitcnt vmcnt(0) lgkmcnt(0)
	v_cmp_ne_u16_sdwa s[8:9], v28, v14 src0_sel:BYTE_0 src1_sel:DWORD
	s_and_saveexec_b64 s[28:29], s[8:9]
	s_cbranch_execz .LBB393_16
; %bb.11:                               ;   in Loop: Header=BB393_10 Depth=1
	v_cmp_ne_u16_sdwa s[8:9], v28, s21 src0_sel:BYTE_0 src1_sel:DWORD
	v_bfrev_b32_e32 v0, 1
	s_and_saveexec_b64 s[30:31], s[8:9]
	s_cbranch_execz .LBB393_15
; %bb.12:                               ;   in Loop: Header=BB393_10 Depth=1
	v_and_b32_e32 v1, 0x7f, v28
	v_cmp_ne_u32_e64 s[8:9], s37, v1
	v_mov_b32_e32 v0, 0x7f800001
	s_and_saveexec_b64 s[34:35], s[8:9]
	s_cbranch_execz .LBB393_14
; %bb.13:                               ;   in Loop: Header=BB393_10 Depth=1
	v_and_b32_e32 v0, 7, v28
	v_ffbh_u32_e32 v2, v0
	v_min_u32_e32 v5, 32, v2
	v_subrev_u32_e32 v2, 28, v5
	v_lshlrev_b64 v[2:3], v2, v[28:29]
	v_lshrrev_b32_e32 v4, 3, v1
	v_sub_u32_e32 v3, 29, v5
	v_and_b32_e32 v2, 7, v2
	v_cmp_gt_u32_e64 s[8:9], 8, v1
	v_cndmask_b32_e64 v1, v4, v3, s[8:9]
	v_cndmask_b32_e64 v0, v0, v2, s[8:9]
	v_lshlrev_b32_e32 v2, 24, v28
	v_lshlrev_b32_e32 v0, 20, v0
	v_and_b32_e32 v2, 0x80000000, v2
	v_lshl_add_u32 v1, v1, 23, v23
	v_or3_b32 v0, v2, v1, v0
.LBB393_14:                             ;   in Loop: Header=BB393_10 Depth=1
	s_or_b64 exec, exec, s[34:35]
.LBB393_15:                             ;   in Loop: Header=BB393_10 Depth=1
	s_or_b64 exec, exec, s[30:31]
.LBB393_16:                             ;   in Loop: Header=BB393_10 Depth=1
	s_or_b64 exec, exec, s[28:29]
	v_mul_f32_e32 v0, v51, v0
	v_and_b32_e32 v1, 0x7f800000, v0
	v_cmp_ne_u32_e64 s[8:9], s38, v1
                                        ; implicit-def: $vgpr50
	s_and_saveexec_b64 s[28:29], s[8:9]
	s_xor_b64 s[8:9], exec, s[28:29]
; %bb.17:                               ;   in Loop: Header=BB393_10 Depth=1
	v_bfe_u32 v1, v0, 16, 1
	v_add3_u32 v50, v0, v1, s39
                                        ; implicit-def: $vgpr0
; %bb.18:                               ;   in Loop: Header=BB393_10 Depth=1
	s_andn2_saveexec_b64 s[28:29], s[8:9]
; %bb.19:                               ;   in Loop: Header=BB393_10 Depth=1
	v_or_b32_e32 v1, 0x10000, v0
	v_cmp_eq_u32_sdwa s[8:9], v0, v14 src0_sel:WORD_0 src1_sel:DWORD
	v_cndmask_b32_e64 v50, v1, v0, s[8:9]
; %bb.20:                               ;   in Loop: Header=BB393_10 Depth=1
	s_or_b64 exec, exec, s[28:29]
	v_lshrrev_b16_e32 v30, 8, v28
	v_cmp_ne_u16_e64 s[8:9], 0, v30
	v_mov_b32_e32 v0, 0
	s_and_saveexec_b64 s[28:29], s[8:9]
	s_cbranch_execz .LBB393_26
; %bb.21:                               ;   in Loop: Header=BB393_10 Depth=1
	v_cmp_ne_u16_e64 s[8:9], s21, v30
	v_bfrev_b32_e32 v0, 1
	s_and_saveexec_b64 s[30:31], s[8:9]
	s_cbranch_execz .LBB393_25
; %bb.22:                               ;   in Loop: Header=BB393_10 Depth=1
	v_and_b32_e32 v1, 0x7f, v30
	v_cmp_ne_u32_e64 s[8:9], s37, v1
	v_mov_b32_e32 v0, 0x7f800001
	s_and_saveexec_b64 s[34:35], s[8:9]
	s_cbranch_execz .LBB393_24
; %bb.23:                               ;   in Loop: Header=BB393_10 Depth=1
	v_and_b32_e32 v2, 7, v30
	v_ffbh_u32_e32 v0, v2
	v_min_u32_e32 v4, 32, v0
	v_subrev_u32_e32 v0, 28, v4
	v_lshrrev_b32_e32 v3, 3, v1
	v_cmp_gt_u32_e64 s[8:9], 8, v1
	v_lshlrev_b64 v[0:1], v0, v[30:31]
	v_sub_u32_e32 v1, 29, v4
	v_and_b32_e32 v0, 7, v0
	v_cndmask_b32_e64 v1, v3, v1, s[8:9]
	v_cndmask_b32_e64 v0, v2, v0, s[8:9]
	v_lshlrev_b32_e32 v2, 16, v28
	v_lshlrev_b32_e32 v0, 20, v0
	v_and_b32_e32 v2, 0x80000000, v2
	v_lshl_add_u32 v1, v1, 23, v23
	v_or3_b32 v0, v2, v1, v0
.LBB393_24:                             ;   in Loop: Header=BB393_10 Depth=1
	s_or_b64 exec, exec, s[34:35]
.LBB393_25:                             ;   in Loop: Header=BB393_10 Depth=1
	s_or_b64 exec, exec, s[30:31]
.LBB393_26:                             ;   in Loop: Header=BB393_10 Depth=1
	s_or_b64 exec, exec, s[28:29]
	v_mul_f32_e32 v0, v51, v0
	v_and_b32_e32 v1, 0x7f800000, v0
	v_cmp_ne_u32_e64 s[8:9], s38, v1
                                        ; implicit-def: $vgpr52
	s_and_saveexec_b64 s[28:29], s[8:9]
	s_xor_b64 s[8:9], exec, s[28:29]
; %bb.27:                               ;   in Loop: Header=BB393_10 Depth=1
	v_bfe_u32 v1, v0, 16, 1
	v_add3_u32 v52, v0, v1, s39
                                        ; implicit-def: $vgpr0
; %bb.28:                               ;   in Loop: Header=BB393_10 Depth=1
	s_andn2_saveexec_b64 s[28:29], s[8:9]
; %bb.29:                               ;   in Loop: Header=BB393_10 Depth=1
	v_or_b32_e32 v1, 0x10000, v0
	v_cmp_eq_u32_sdwa s[8:9], v0, v14 src0_sel:WORD_0 src1_sel:DWORD
	v_cndmask_b32_e64 v52, v1, v0, s[8:9]
; %bb.30:                               ;   in Loop: Header=BB393_10 Depth=1
	s_or_b64 exec, exec, s[28:29]
	v_lshrrev_b32_e32 v30, 16, v28
	v_cmp_ne_u16_sdwa s[8:9], v30, v14 src0_sel:BYTE_0 src1_sel:DWORD
	v_mov_b32_e32 v0, 0
	s_and_saveexec_b64 s[28:29], s[8:9]
	s_cbranch_execz .LBB393_36
; %bb.31:                               ;   in Loop: Header=BB393_10 Depth=1
	v_cmp_ne_u16_sdwa s[8:9], v30, s21 src0_sel:BYTE_0 src1_sel:DWORD
	v_bfrev_b32_e32 v0, 1
	s_and_saveexec_b64 s[30:31], s[8:9]
	s_cbranch_execz .LBB393_35
; %bb.32:                               ;   in Loop: Header=BB393_10 Depth=1
	v_bfe_u32 v1, v28, 16, 7
	v_cmp_ne_u32_e64 s[8:9], s37, v1
	v_mov_b32_e32 v0, 0x7f800001
	s_and_saveexec_b64 s[34:35], s[8:9]
	s_cbranch_execz .LBB393_34
; %bb.33:                               ;   in Loop: Header=BB393_10 Depth=1
	v_and_b32_e32 v0, 7, v30
	v_ffbh_u32_e32 v2, v0
	v_min_u32_e32 v5, 32, v2
	v_subrev_u32_e32 v2, 28, v5
	v_lshlrev_b64 v[2:3], v2, v[30:31]
	v_lshrrev_b32_e32 v4, 3, v1
	v_sub_u32_e32 v3, 29, v5
	v_and_b32_e32 v2, 7, v2
	v_cmp_gt_u32_e64 s[8:9], 8, v1
	v_cndmask_b32_e64 v1, v4, v3, s[8:9]
	v_cndmask_b32_e64 v0, v0, v2, s[8:9]
	v_lshlrev_b32_e32 v2, 24, v30
	v_lshlrev_b32_e32 v0, 20, v0
	v_and_b32_e32 v2, 0x80000000, v2
	v_lshl_add_u32 v1, v1, 23, v23
	v_or3_b32 v0, v2, v1, v0
.LBB393_34:                             ;   in Loop: Header=BB393_10 Depth=1
	s_or_b64 exec, exec, s[34:35]
.LBB393_35:                             ;   in Loop: Header=BB393_10 Depth=1
	s_or_b64 exec, exec, s[30:31]
.LBB393_36:                             ;   in Loop: Header=BB393_10 Depth=1
	s_or_b64 exec, exec, s[28:29]
	v_mul_f32_e32 v0, v51, v0
	v_and_b32_e32 v1, 0x7f800000, v0
	v_cmp_ne_u32_e64 s[8:9], s38, v1
                                        ; implicit-def: $vgpr53
	s_and_saveexec_b64 s[28:29], s[8:9]
	s_xor_b64 s[8:9], exec, s[28:29]
; %bb.37:                               ;   in Loop: Header=BB393_10 Depth=1
	v_bfe_u32 v1, v0, 16, 1
	v_add3_u32 v53, v0, v1, s39
                                        ; implicit-def: $vgpr0
; %bb.38:                               ;   in Loop: Header=BB393_10 Depth=1
	s_andn2_saveexec_b64 s[28:29], s[8:9]
; %bb.39:                               ;   in Loop: Header=BB393_10 Depth=1
	v_or_b32_e32 v1, 0x10000, v0
	v_cmp_eq_u32_sdwa s[8:9], v0, v14 src0_sel:WORD_0 src1_sel:DWORD
	v_cndmask_b32_e64 v53, v1, v0, s[8:9]
; %bb.40:                               ;   in Loop: Header=BB393_10 Depth=1
	s_or_b64 exec, exec, s[28:29]
	v_cmp_lt_u32_e64 s[8:9], s40, v28
	v_mov_b32_e32 v0, 0
	s_and_saveexec_b64 s[28:29], s[8:9]
	s_cbranch_execz .LBB393_46
; %bb.41:                               ;   in Loop: Header=BB393_10 Depth=1
	v_lshrrev_b32_e32 v30, 24, v28
	v_cmp_ne_u32_e64 s[8:9], s21, v30
	v_bfrev_b32_e32 v0, 1
	s_and_saveexec_b64 s[30:31], s[8:9]
	s_cbranch_execz .LBB393_45
; %bb.42:                               ;   in Loop: Header=BB393_10 Depth=1
	v_bfe_u32 v1, v28, 24, 7
	v_cmp_ne_u32_e64 s[8:9], s37, v1
	v_mov_b32_e32 v0, 0x7f800001
	s_and_saveexec_b64 s[34:35], s[8:9]
	s_cbranch_execz .LBB393_44
; %bb.43:                               ;   in Loop: Header=BB393_10 Depth=1
	v_and_b32_e32 v0, 7, v30
	v_ffbh_u32_e32 v2, v0
	v_min_u32_e32 v5, 32, v2
	v_subrev_u32_e32 v2, 28, v5
	v_lshlrev_b64 v[2:3], v2, v[30:31]
	v_lshrrev_b32_e32 v4, 3, v1
	v_sub_u32_e32 v3, 29, v5
	v_and_b32_e32 v2, 7, v2
	v_cmp_gt_u32_e64 s[8:9], 8, v1
	v_cndmask_b32_e64 v1, v4, v3, s[8:9]
	v_cndmask_b32_e64 v0, v0, v2, s[8:9]
	v_lshlrev_b32_e32 v2, 24, v30
	v_lshlrev_b32_e32 v0, 20, v0
	v_and_b32_e32 v2, 0x80000000, v2
	v_lshl_add_u32 v1, v1, 23, v23
	v_or3_b32 v0, v2, v1, v0
.LBB393_44:                             ;   in Loop: Header=BB393_10 Depth=1
	s_or_b64 exec, exec, s[34:35]
.LBB393_45:                             ;   in Loop: Header=BB393_10 Depth=1
	s_or_b64 exec, exec, s[30:31]
.LBB393_46:                             ;   in Loop: Header=BB393_10 Depth=1
	s_or_b64 exec, exec, s[28:29]
	v_mul_f32_e32 v0, v51, v0
	v_and_b32_e32 v1, 0x7f800000, v0
	v_cmp_ne_u32_e64 s[8:9], s38, v1
                                        ; implicit-def: $vgpr54
	s_and_saveexec_b64 s[28:29], s[8:9]
	s_xor_b64 s[8:9], exec, s[28:29]
; %bb.47:                               ;   in Loop: Header=BB393_10 Depth=1
	v_bfe_u32 v1, v0, 16, 1
	v_add3_u32 v54, v0, v1, s39
                                        ; implicit-def: $vgpr0
; %bb.48:                               ;   in Loop: Header=BB393_10 Depth=1
	s_andn2_saveexec_b64 s[28:29], s[8:9]
; %bb.49:                               ;   in Loop: Header=BB393_10 Depth=1
	v_or_b32_e32 v1, 0x10000, v0
	v_cmp_eq_u32_sdwa s[8:9], v0, v14 src0_sel:WORD_0 src1_sel:DWORD
	v_cndmask_b32_e64 v54, v1, v0, s[8:9]
; %bb.50:                               ;   in Loop: Header=BB393_10 Depth=1
	s_or_b64 exec, exec, s[28:29]
	flat_load_dword v28, v[20:21] offset:8
	v_mov_b32_e32 v0, 0
	s_waitcnt vmcnt(0) lgkmcnt(0)
	v_cmp_ne_u16_sdwa s[8:9], v28, v14 src0_sel:BYTE_0 src1_sel:DWORD
	s_and_saveexec_b64 s[28:29], s[8:9]
	s_cbranch_execz .LBB393_56
; %bb.51:                               ;   in Loop: Header=BB393_10 Depth=1
	v_cmp_ne_u16_sdwa s[8:9], v28, s21 src0_sel:BYTE_0 src1_sel:DWORD
	v_bfrev_b32_e32 v0, 1
	s_and_saveexec_b64 s[30:31], s[8:9]
	s_cbranch_execz .LBB393_55
; %bb.52:                               ;   in Loop: Header=BB393_10 Depth=1
	v_and_b32_e32 v1, 0x7f, v28
	v_cmp_ne_u32_e64 s[8:9], s37, v1
	v_mov_b32_e32 v0, 0x7f800001
	s_and_saveexec_b64 s[34:35], s[8:9]
	s_cbranch_execz .LBB393_54
; %bb.53:                               ;   in Loop: Header=BB393_10 Depth=1
	v_and_b32_e32 v0, 7, v28
	v_ffbh_u32_e32 v2, v0
	v_min_u32_e32 v5, 32, v2
	v_subrev_u32_e32 v2, 28, v5
	v_lshlrev_b64 v[2:3], v2, v[28:29]
	v_lshrrev_b32_e32 v4, 3, v1
	v_sub_u32_e32 v3, 29, v5
	v_and_b32_e32 v2, 7, v2
	v_cmp_gt_u32_e64 s[8:9], 8, v1
	v_cndmask_b32_e64 v1, v4, v3, s[8:9]
	v_cndmask_b32_e64 v0, v0, v2, s[8:9]
	v_lshlrev_b32_e32 v2, 24, v28
	v_lshlrev_b32_e32 v0, 20, v0
	v_and_b32_e32 v2, 0x80000000, v2
	v_lshl_add_u32 v1, v1, 23, v23
	v_or3_b32 v0, v2, v1, v0
.LBB393_54:                             ;   in Loop: Header=BB393_10 Depth=1
	s_or_b64 exec, exec, s[34:35]
.LBB393_55:                             ;   in Loop: Header=BB393_10 Depth=1
	s_or_b64 exec, exec, s[30:31]
.LBB393_56:                             ;   in Loop: Header=BB393_10 Depth=1
	s_or_b64 exec, exec, s[28:29]
	v_mul_f32_e32 v0, v51, v0
	v_and_b32_e32 v1, 0x7f800000, v0
	v_cmp_ne_u32_e64 s[8:9], s38, v1
                                        ; implicit-def: $vgpr55
	s_and_saveexec_b64 s[28:29], s[8:9]
	s_xor_b64 s[8:9], exec, s[28:29]
; %bb.57:                               ;   in Loop: Header=BB393_10 Depth=1
	v_bfe_u32 v1, v0, 16, 1
	v_add3_u32 v55, v0, v1, s39
                                        ; implicit-def: $vgpr0
; %bb.58:                               ;   in Loop: Header=BB393_10 Depth=1
	s_andn2_saveexec_b64 s[28:29], s[8:9]
; %bb.59:                               ;   in Loop: Header=BB393_10 Depth=1
	v_or_b32_e32 v1, 0x10000, v0
	v_cmp_eq_u32_sdwa s[8:9], v0, v14 src0_sel:WORD_0 src1_sel:DWORD
	v_cndmask_b32_e64 v55, v1, v0, s[8:9]
; %bb.60:                               ;   in Loop: Header=BB393_10 Depth=1
	s_or_b64 exec, exec, s[28:29]
	v_lshrrev_b16_e32 v30, 8, v28
	v_cmp_ne_u16_e64 s[8:9], 0, v30
	v_mov_b32_e32 v0, 0
	s_and_saveexec_b64 s[28:29], s[8:9]
	s_cbranch_execz .LBB393_66
; %bb.61:                               ;   in Loop: Header=BB393_10 Depth=1
	v_cmp_ne_u16_e64 s[8:9], s21, v30
	v_bfrev_b32_e32 v0, 1
	s_and_saveexec_b64 s[30:31], s[8:9]
	s_cbranch_execz .LBB393_65
; %bb.62:                               ;   in Loop: Header=BB393_10 Depth=1
	v_and_b32_e32 v1, 0x7f, v30
	v_cmp_ne_u32_e64 s[8:9], s37, v1
	v_mov_b32_e32 v0, 0x7f800001
	s_and_saveexec_b64 s[34:35], s[8:9]
	s_cbranch_execz .LBB393_64
; %bb.63:                               ;   in Loop: Header=BB393_10 Depth=1
	v_and_b32_e32 v0, 7, v30
	v_ffbh_u32_e32 v2, v0
	v_min_u32_e32 v5, 32, v2
	v_subrev_u32_e32 v2, 28, v5
	v_lshlrev_b64 v[2:3], v2, v[30:31]
	v_lshrrev_b32_e32 v4, 3, v1
	v_sub_u32_e32 v3, 29, v5
	v_and_b32_e32 v2, 7, v2
	v_cmp_gt_u32_e64 s[8:9], 8, v1
	v_cndmask_b32_e64 v1, v4, v3, s[8:9]
	v_cndmask_b32_e64 v0, v0, v2, s[8:9]
	v_lshlrev_b32_e32 v2, 16, v28
	v_lshlrev_b32_e32 v0, 20, v0
	v_and_b32_e32 v2, 0x80000000, v2
	v_lshl_add_u32 v1, v1, 23, v23
	v_or3_b32 v0, v2, v1, v0
.LBB393_64:                             ;   in Loop: Header=BB393_10 Depth=1
	s_or_b64 exec, exec, s[34:35]
.LBB393_65:                             ;   in Loop: Header=BB393_10 Depth=1
	s_or_b64 exec, exec, s[30:31]
.LBB393_66:                             ;   in Loop: Header=BB393_10 Depth=1
	s_or_b64 exec, exec, s[28:29]
	v_mul_f32_e32 v0, v51, v0
	v_and_b32_e32 v1, 0x7f800000, v0
	v_cmp_ne_u32_e64 s[8:9], s38, v1
                                        ; implicit-def: $vgpr40
	s_and_saveexec_b64 s[28:29], s[8:9]
	s_xor_b64 s[8:9], exec, s[28:29]
; %bb.67:                               ;   in Loop: Header=BB393_10 Depth=1
	v_bfe_u32 v1, v0, 16, 1
	v_add3_u32 v40, v0, v1, s39
                                        ; implicit-def: $vgpr0
; %bb.68:                               ;   in Loop: Header=BB393_10 Depth=1
	s_andn2_saveexec_b64 s[28:29], s[8:9]
; %bb.69:                               ;   in Loop: Header=BB393_10 Depth=1
	v_or_b32_e32 v1, 0x10000, v0
	v_cmp_eq_u32_sdwa s[8:9], v0, v14 src0_sel:WORD_0 src1_sel:DWORD
	v_cndmask_b32_e64 v40, v1, v0, s[8:9]
; %bb.70:                               ;   in Loop: Header=BB393_10 Depth=1
	s_or_b64 exec, exec, s[28:29]
	v_lshrrev_b32_e32 v30, 16, v28
	v_cmp_ne_u16_sdwa s[8:9], v30, v14 src0_sel:BYTE_0 src1_sel:DWORD
	v_mov_b32_e32 v0, 0
	s_and_saveexec_b64 s[28:29], s[8:9]
	s_cbranch_execz .LBB393_76
; %bb.71:                               ;   in Loop: Header=BB393_10 Depth=1
	v_cmp_ne_u16_sdwa s[8:9], v30, s21 src0_sel:BYTE_0 src1_sel:DWORD
	v_bfrev_b32_e32 v0, 1
	s_and_saveexec_b64 s[30:31], s[8:9]
	s_cbranch_execz .LBB393_75
; %bb.72:                               ;   in Loop: Header=BB393_10 Depth=1
	v_bfe_u32 v1, v28, 16, 7
	v_cmp_ne_u32_e64 s[8:9], s37, v1
	v_mov_b32_e32 v0, 0x7f800001
	s_and_saveexec_b64 s[34:35], s[8:9]
	s_cbranch_execz .LBB393_74
; %bb.73:                               ;   in Loop: Header=BB393_10 Depth=1
	v_and_b32_e32 v0, 7, v30
	v_ffbh_u32_e32 v2, v0
	v_min_u32_e32 v5, 32, v2
	v_subrev_u32_e32 v2, 28, v5
	v_lshlrev_b64 v[2:3], v2, v[30:31]
	v_lshrrev_b32_e32 v4, 3, v1
	v_sub_u32_e32 v3, 29, v5
	v_and_b32_e32 v2, 7, v2
	v_cmp_gt_u32_e64 s[8:9], 8, v1
	v_cndmask_b32_e64 v1, v4, v3, s[8:9]
	v_cndmask_b32_e64 v0, v0, v2, s[8:9]
	v_lshlrev_b32_e32 v2, 24, v30
	v_lshlrev_b32_e32 v0, 20, v0
	v_and_b32_e32 v2, 0x80000000, v2
	v_lshl_add_u32 v1, v1, 23, v23
	v_or3_b32 v0, v2, v1, v0
.LBB393_74:                             ;   in Loop: Header=BB393_10 Depth=1
	s_or_b64 exec, exec, s[34:35]
.LBB393_75:                             ;   in Loop: Header=BB393_10 Depth=1
	s_or_b64 exec, exec, s[30:31]
.LBB393_76:                             ;   in Loop: Header=BB393_10 Depth=1
	s_or_b64 exec, exec, s[28:29]
	v_mul_f32_e32 v0, v51, v0
	v_and_b32_e32 v1, 0x7f800000, v0
	v_cmp_ne_u32_e64 s[8:9], s38, v1
                                        ; implicit-def: $vgpr41
	s_and_saveexec_b64 s[28:29], s[8:9]
	s_xor_b64 s[8:9], exec, s[28:29]
; %bb.77:                               ;   in Loop: Header=BB393_10 Depth=1
	v_bfe_u32 v1, v0, 16, 1
	v_add3_u32 v41, v0, v1, s39
                                        ; implicit-def: $vgpr0
; %bb.78:                               ;   in Loop: Header=BB393_10 Depth=1
	s_andn2_saveexec_b64 s[28:29], s[8:9]
; %bb.79:                               ;   in Loop: Header=BB393_10 Depth=1
	v_or_b32_e32 v1, 0x10000, v0
	v_cmp_eq_u32_sdwa s[8:9], v0, v14 src0_sel:WORD_0 src1_sel:DWORD
	v_cndmask_b32_e64 v41, v1, v0, s[8:9]
; %bb.80:                               ;   in Loop: Header=BB393_10 Depth=1
	s_or_b64 exec, exec, s[28:29]
	v_cmp_lt_u32_e64 s[8:9], s40, v28
	v_mov_b32_e32 v0, 0
	s_and_saveexec_b64 s[28:29], s[8:9]
	s_cbranch_execz .LBB393_86
; %bb.81:                               ;   in Loop: Header=BB393_10 Depth=1
	v_lshrrev_b32_e32 v30, 24, v28
	v_cmp_ne_u32_e64 s[8:9], s21, v30
	v_bfrev_b32_e32 v0, 1
	s_and_saveexec_b64 s[30:31], s[8:9]
	s_cbranch_execz .LBB393_85
; %bb.82:                               ;   in Loop: Header=BB393_10 Depth=1
	v_bfe_u32 v1, v28, 24, 7
	v_cmp_ne_u32_e64 s[8:9], s37, v1
	v_mov_b32_e32 v0, 0x7f800001
	s_and_saveexec_b64 s[34:35], s[8:9]
	s_cbranch_execz .LBB393_84
; %bb.83:                               ;   in Loop: Header=BB393_10 Depth=1
	v_and_b32_e32 v0, 7, v30
	v_ffbh_u32_e32 v2, v0
	v_min_u32_e32 v5, 32, v2
	v_subrev_u32_e32 v2, 28, v5
	v_lshlrev_b64 v[2:3], v2, v[30:31]
	v_lshrrev_b32_e32 v4, 3, v1
	v_sub_u32_e32 v3, 29, v5
	v_and_b32_e32 v2, 7, v2
	v_cmp_gt_u32_e64 s[8:9], 8, v1
	v_cndmask_b32_e64 v1, v4, v3, s[8:9]
	v_cndmask_b32_e64 v0, v0, v2, s[8:9]
	v_lshlrev_b32_e32 v2, 24, v30
	v_lshlrev_b32_e32 v0, 20, v0
	v_and_b32_e32 v2, 0x80000000, v2
	v_lshl_add_u32 v1, v1, 23, v23
	v_or3_b32 v0, v2, v1, v0
.LBB393_84:                             ;   in Loop: Header=BB393_10 Depth=1
	s_or_b64 exec, exec, s[34:35]
.LBB393_85:                             ;   in Loop: Header=BB393_10 Depth=1
	s_or_b64 exec, exec, s[30:31]
.LBB393_86:                             ;   in Loop: Header=BB393_10 Depth=1
	s_or_b64 exec, exec, s[28:29]
	v_mul_f32_e32 v0, v51, v0
	v_and_b32_e32 v1, 0x7f800000, v0
	v_cmp_ne_u32_e64 s[8:9], s38, v1
                                        ; implicit-def: $vgpr42
	s_and_saveexec_b64 s[28:29], s[8:9]
	s_xor_b64 s[8:9], exec, s[28:29]
; %bb.87:                               ;   in Loop: Header=BB393_10 Depth=1
	v_bfe_u32 v1, v0, 16, 1
	v_add3_u32 v42, v0, v1, s39
                                        ; implicit-def: $vgpr0
; %bb.88:                               ;   in Loop: Header=BB393_10 Depth=1
	s_andn2_saveexec_b64 s[28:29], s[8:9]
; %bb.89:                               ;   in Loop: Header=BB393_10 Depth=1
	v_or_b32_e32 v1, 0x10000, v0
	v_cmp_eq_u32_sdwa s[8:9], v0, v14 src0_sel:WORD_0 src1_sel:DWORD
	v_cndmask_b32_e64 v42, v1, v0, s[8:9]
; %bb.90:                               ;   in Loop: Header=BB393_10 Depth=1
	s_or_b64 exec, exec, s[28:29]
	flat_load_dword v28, v[20:21] offset:512
	v_mov_b32_e32 v0, 0
	s_waitcnt vmcnt(0) lgkmcnt(0)
	v_cmp_ne_u16_sdwa s[8:9], v28, v14 src0_sel:BYTE_0 src1_sel:DWORD
	s_and_saveexec_b64 s[28:29], s[8:9]
	s_cbranch_execz .LBB393_96
; %bb.91:                               ;   in Loop: Header=BB393_10 Depth=1
	v_cmp_ne_u16_sdwa s[8:9], v28, s21 src0_sel:BYTE_0 src1_sel:DWORD
	v_bfrev_b32_e32 v0, 1
	s_and_saveexec_b64 s[30:31], s[8:9]
	s_cbranch_execz .LBB393_95
; %bb.92:                               ;   in Loop: Header=BB393_10 Depth=1
	v_and_b32_e32 v1, 0x7f, v28
	v_cmp_ne_u32_e64 s[8:9], s37, v1
	v_mov_b32_e32 v0, 0x7f800001
	s_and_saveexec_b64 s[34:35], s[8:9]
	s_cbranch_execz .LBB393_94
; %bb.93:                               ;   in Loop: Header=BB393_10 Depth=1
	v_and_b32_e32 v0, 7, v28
	v_ffbh_u32_e32 v2, v0
	v_min_u32_e32 v5, 32, v2
	v_subrev_u32_e32 v2, 28, v5
	v_lshlrev_b64 v[2:3], v2, v[28:29]
	v_lshrrev_b32_e32 v4, 3, v1
	v_sub_u32_e32 v3, 29, v5
	v_and_b32_e32 v2, 7, v2
	v_cmp_gt_u32_e64 s[8:9], 8, v1
	v_cndmask_b32_e64 v1, v4, v3, s[8:9]
	v_cndmask_b32_e64 v0, v0, v2, s[8:9]
	v_lshlrev_b32_e32 v2, 24, v28
	v_lshlrev_b32_e32 v0, 20, v0
	v_and_b32_e32 v2, 0x80000000, v2
	v_lshl_add_u32 v1, v1, 23, v23
	v_or3_b32 v0, v2, v1, v0
.LBB393_94:                             ;   in Loop: Header=BB393_10 Depth=1
	s_or_b64 exec, exec, s[34:35]
.LBB393_95:                             ;   in Loop: Header=BB393_10 Depth=1
	s_or_b64 exec, exec, s[30:31]
.LBB393_96:                             ;   in Loop: Header=BB393_10 Depth=1
	s_or_b64 exec, exec, s[28:29]
	v_mul_f32_e32 v0, v51, v0
	v_and_b32_e32 v1, 0x7f800000, v0
	v_cmp_ne_u32_e64 s[8:9], s38, v1
                                        ; implicit-def: $vgpr43
	s_and_saveexec_b64 s[28:29], s[8:9]
	s_xor_b64 s[8:9], exec, s[28:29]
; %bb.97:                               ;   in Loop: Header=BB393_10 Depth=1
	v_bfe_u32 v1, v0, 16, 1
	v_add3_u32 v43, v0, v1, s39
                                        ; implicit-def: $vgpr0
; %bb.98:                               ;   in Loop: Header=BB393_10 Depth=1
	s_andn2_saveexec_b64 s[28:29], s[8:9]
; %bb.99:                               ;   in Loop: Header=BB393_10 Depth=1
	v_or_b32_e32 v1, 0x10000, v0
	v_cmp_eq_u32_sdwa s[8:9], v0, v14 src0_sel:WORD_0 src1_sel:DWORD
	v_cndmask_b32_e64 v43, v1, v0, s[8:9]
; %bb.100:                              ;   in Loop: Header=BB393_10 Depth=1
	s_or_b64 exec, exec, s[28:29]
	v_lshrrev_b16_e32 v30, 8, v28
	v_cmp_ne_u16_e64 s[8:9], 0, v30
	v_mov_b32_e32 v0, 0
	s_and_saveexec_b64 s[28:29], s[8:9]
	s_cbranch_execz .LBB393_106
; %bb.101:                              ;   in Loop: Header=BB393_10 Depth=1
	v_cmp_ne_u16_e64 s[8:9], s21, v30
	v_bfrev_b32_e32 v0, 1
	s_and_saveexec_b64 s[30:31], s[8:9]
	s_cbranch_execz .LBB393_105
; %bb.102:                              ;   in Loop: Header=BB393_10 Depth=1
	v_and_b32_e32 v1, 0x7f, v30
	v_cmp_ne_u32_e64 s[8:9], s37, v1
	v_mov_b32_e32 v0, 0x7f800001
	s_and_saveexec_b64 s[34:35], s[8:9]
	s_cbranch_execz .LBB393_104
; %bb.103:                              ;   in Loop: Header=BB393_10 Depth=1
	v_and_b32_e32 v0, 7, v30
	v_ffbh_u32_e32 v2, v0
	v_min_u32_e32 v5, 32, v2
	v_subrev_u32_e32 v2, 28, v5
	v_lshlrev_b64 v[2:3], v2, v[30:31]
	v_lshrrev_b32_e32 v4, 3, v1
	v_sub_u32_e32 v3, 29, v5
	v_and_b32_e32 v2, 7, v2
	v_cmp_gt_u32_e64 s[8:9], 8, v1
	v_cndmask_b32_e64 v1, v4, v3, s[8:9]
	v_cndmask_b32_e64 v0, v0, v2, s[8:9]
	v_lshlrev_b32_e32 v2, 16, v28
	v_lshlrev_b32_e32 v0, 20, v0
	v_and_b32_e32 v2, 0x80000000, v2
	v_lshl_add_u32 v1, v1, 23, v23
	v_or3_b32 v0, v2, v1, v0
.LBB393_104:                            ;   in Loop: Header=BB393_10 Depth=1
	s_or_b64 exec, exec, s[34:35]
.LBB393_105:                            ;   in Loop: Header=BB393_10 Depth=1
	s_or_b64 exec, exec, s[30:31]
.LBB393_106:                            ;   in Loop: Header=BB393_10 Depth=1
	s_or_b64 exec, exec, s[28:29]
	v_mul_f32_e32 v0, v51, v0
	v_and_b32_e32 v1, 0x7f800000, v0
	v_cmp_ne_u32_e64 s[8:9], s38, v1
                                        ; implicit-def: $vgpr44
	s_and_saveexec_b64 s[28:29], s[8:9]
	s_xor_b64 s[8:9], exec, s[28:29]
; %bb.107:                              ;   in Loop: Header=BB393_10 Depth=1
	v_bfe_u32 v1, v0, 16, 1
	v_add3_u32 v44, v0, v1, s39
                                        ; implicit-def: $vgpr0
; %bb.108:                              ;   in Loop: Header=BB393_10 Depth=1
	s_andn2_saveexec_b64 s[28:29], s[8:9]
; %bb.109:                              ;   in Loop: Header=BB393_10 Depth=1
	v_or_b32_e32 v1, 0x10000, v0
	v_cmp_eq_u32_sdwa s[8:9], v0, v14 src0_sel:WORD_0 src1_sel:DWORD
	v_cndmask_b32_e64 v44, v1, v0, s[8:9]
; %bb.110:                              ;   in Loop: Header=BB393_10 Depth=1
	s_or_b64 exec, exec, s[28:29]
	v_lshrrev_b32_e32 v30, 16, v28
	v_cmp_ne_u16_sdwa s[8:9], v30, v14 src0_sel:BYTE_0 src1_sel:DWORD
	v_mov_b32_e32 v0, 0
	s_and_saveexec_b64 s[28:29], s[8:9]
	s_cbranch_execz .LBB393_116
; %bb.111:                              ;   in Loop: Header=BB393_10 Depth=1
	v_cmp_ne_u16_sdwa s[8:9], v30, s21 src0_sel:BYTE_0 src1_sel:DWORD
	v_bfrev_b32_e32 v0, 1
	s_and_saveexec_b64 s[30:31], s[8:9]
	s_cbranch_execz .LBB393_115
; %bb.112:                              ;   in Loop: Header=BB393_10 Depth=1
	v_bfe_u32 v1, v28, 16, 7
	v_cmp_ne_u32_e64 s[8:9], s37, v1
	v_mov_b32_e32 v0, 0x7f800001
	s_and_saveexec_b64 s[34:35], s[8:9]
	s_cbranch_execz .LBB393_114
; %bb.113:                              ;   in Loop: Header=BB393_10 Depth=1
	v_and_b32_e32 v0, 7, v30
	v_ffbh_u32_e32 v2, v0
	v_min_u32_e32 v5, 32, v2
	v_subrev_u32_e32 v2, 28, v5
	v_lshlrev_b64 v[2:3], v2, v[30:31]
	v_lshrrev_b32_e32 v4, 3, v1
	v_sub_u32_e32 v3, 29, v5
	v_and_b32_e32 v2, 7, v2
	v_cmp_gt_u32_e64 s[8:9], 8, v1
	v_cndmask_b32_e64 v1, v4, v3, s[8:9]
	v_cndmask_b32_e64 v0, v0, v2, s[8:9]
	v_lshlrev_b32_e32 v2, 24, v30
	v_lshlrev_b32_e32 v0, 20, v0
	v_and_b32_e32 v2, 0x80000000, v2
	v_lshl_add_u32 v1, v1, 23, v23
	v_or3_b32 v0, v2, v1, v0
.LBB393_114:                            ;   in Loop: Header=BB393_10 Depth=1
	s_or_b64 exec, exec, s[34:35]
.LBB393_115:                            ;   in Loop: Header=BB393_10 Depth=1
	s_or_b64 exec, exec, s[30:31]
.LBB393_116:                            ;   in Loop: Header=BB393_10 Depth=1
	s_or_b64 exec, exec, s[28:29]
	v_mul_f32_e32 v0, v51, v0
	v_and_b32_e32 v1, 0x7f800000, v0
	v_cmp_ne_u32_e64 s[8:9], s38, v1
                                        ; implicit-def: $vgpr45
	s_and_saveexec_b64 s[28:29], s[8:9]
	s_xor_b64 s[8:9], exec, s[28:29]
; %bb.117:                              ;   in Loop: Header=BB393_10 Depth=1
	v_bfe_u32 v1, v0, 16, 1
	v_add3_u32 v45, v0, v1, s39
                                        ; implicit-def: $vgpr0
; %bb.118:                              ;   in Loop: Header=BB393_10 Depth=1
	s_andn2_saveexec_b64 s[28:29], s[8:9]
; %bb.119:                              ;   in Loop: Header=BB393_10 Depth=1
	v_or_b32_e32 v1, 0x10000, v0
	v_cmp_eq_u32_sdwa s[8:9], v0, v14 src0_sel:WORD_0 src1_sel:DWORD
	v_cndmask_b32_e64 v45, v1, v0, s[8:9]
; %bb.120:                              ;   in Loop: Header=BB393_10 Depth=1
	s_or_b64 exec, exec, s[28:29]
	v_cmp_lt_u32_e64 s[8:9], s40, v28
	v_mov_b32_e32 v0, 0
	s_and_saveexec_b64 s[28:29], s[8:9]
	s_cbranch_execz .LBB393_126
; %bb.121:                              ;   in Loop: Header=BB393_10 Depth=1
	v_lshrrev_b32_e32 v30, 24, v28
	v_cmp_ne_u32_e64 s[8:9], s21, v30
	v_bfrev_b32_e32 v0, 1
	s_and_saveexec_b64 s[30:31], s[8:9]
	s_cbranch_execz .LBB393_125
; %bb.122:                              ;   in Loop: Header=BB393_10 Depth=1
	v_bfe_u32 v1, v28, 24, 7
	v_cmp_ne_u32_e64 s[8:9], s37, v1
	v_mov_b32_e32 v0, 0x7f800001
	s_and_saveexec_b64 s[34:35], s[8:9]
	s_cbranch_execz .LBB393_124
; %bb.123:                              ;   in Loop: Header=BB393_10 Depth=1
	v_and_b32_e32 v0, 7, v30
	v_ffbh_u32_e32 v2, v0
	v_min_u32_e32 v5, 32, v2
	v_subrev_u32_e32 v2, 28, v5
	v_lshlrev_b64 v[2:3], v2, v[30:31]
	v_lshrrev_b32_e32 v4, 3, v1
	v_sub_u32_e32 v3, 29, v5
	v_and_b32_e32 v2, 7, v2
	v_cmp_gt_u32_e64 s[8:9], 8, v1
	v_cndmask_b32_e64 v1, v4, v3, s[8:9]
	v_cndmask_b32_e64 v0, v0, v2, s[8:9]
	v_lshlrev_b32_e32 v2, 24, v30
	v_lshlrev_b32_e32 v0, 20, v0
	v_and_b32_e32 v2, 0x80000000, v2
	v_lshl_add_u32 v1, v1, 23, v23
	v_or3_b32 v0, v2, v1, v0
.LBB393_124:                            ;   in Loop: Header=BB393_10 Depth=1
	s_or_b64 exec, exec, s[34:35]
.LBB393_125:                            ;   in Loop: Header=BB393_10 Depth=1
	s_or_b64 exec, exec, s[30:31]
.LBB393_126:                            ;   in Loop: Header=BB393_10 Depth=1
	s_or_b64 exec, exec, s[28:29]
	v_mul_f32_e32 v0, v51, v0
	v_and_b32_e32 v1, 0x7f800000, v0
	v_cmp_ne_u32_e64 s[8:9], s38, v1
                                        ; implicit-def: $vgpr46
	s_and_saveexec_b64 s[28:29], s[8:9]
	s_xor_b64 s[8:9], exec, s[28:29]
; %bb.127:                              ;   in Loop: Header=BB393_10 Depth=1
	v_bfe_u32 v1, v0, 16, 1
	v_add3_u32 v46, v0, v1, s39
                                        ; implicit-def: $vgpr0
; %bb.128:                              ;   in Loop: Header=BB393_10 Depth=1
	s_andn2_saveexec_b64 s[28:29], s[8:9]
; %bb.129:                              ;   in Loop: Header=BB393_10 Depth=1
	v_or_b32_e32 v1, 0x10000, v0
	v_cmp_eq_u32_sdwa s[8:9], v0, v14 src0_sel:WORD_0 src1_sel:DWORD
	v_cndmask_b32_e64 v46, v1, v0, s[8:9]
; %bb.130:                              ;   in Loop: Header=BB393_10 Depth=1
	s_or_b64 exec, exec, s[28:29]
	flat_load_dword v28, v[20:21] offset:520
	v_mov_b32_e32 v0, 0
	s_waitcnt vmcnt(0) lgkmcnt(0)
	v_cmp_ne_u16_sdwa s[8:9], v28, v14 src0_sel:BYTE_0 src1_sel:DWORD
	s_and_saveexec_b64 s[28:29], s[8:9]
	s_cbranch_execz .LBB393_136
; %bb.131:                              ;   in Loop: Header=BB393_10 Depth=1
	v_cmp_ne_u16_sdwa s[8:9], v28, s21 src0_sel:BYTE_0 src1_sel:DWORD
	v_bfrev_b32_e32 v0, 1
	s_and_saveexec_b64 s[30:31], s[8:9]
	s_cbranch_execz .LBB393_135
; %bb.132:                              ;   in Loop: Header=BB393_10 Depth=1
	v_and_b32_e32 v1, 0x7f, v28
	v_cmp_ne_u32_e64 s[8:9], s37, v1
	v_mov_b32_e32 v0, 0x7f800001
	s_and_saveexec_b64 s[34:35], s[8:9]
	s_cbranch_execz .LBB393_134
; %bb.133:                              ;   in Loop: Header=BB393_10 Depth=1
	v_and_b32_e32 v0, 7, v28
	v_ffbh_u32_e32 v2, v0
	v_min_u32_e32 v5, 32, v2
	v_subrev_u32_e32 v2, 28, v5
	v_lshlrev_b64 v[2:3], v2, v[28:29]
	v_lshrrev_b32_e32 v4, 3, v1
	v_sub_u32_e32 v3, 29, v5
	v_and_b32_e32 v2, 7, v2
	v_cmp_gt_u32_e64 s[8:9], 8, v1
	v_cndmask_b32_e64 v1, v4, v3, s[8:9]
	v_cndmask_b32_e64 v0, v0, v2, s[8:9]
	v_lshlrev_b32_e32 v2, 24, v28
	v_lshlrev_b32_e32 v0, 20, v0
	v_and_b32_e32 v2, 0x80000000, v2
	v_lshl_add_u32 v1, v1, 23, v23
	v_or3_b32 v0, v2, v1, v0
.LBB393_134:                            ;   in Loop: Header=BB393_10 Depth=1
	s_or_b64 exec, exec, s[34:35]
.LBB393_135:                            ;   in Loop: Header=BB393_10 Depth=1
	s_or_b64 exec, exec, s[30:31]
.LBB393_136:                            ;   in Loop: Header=BB393_10 Depth=1
	s_or_b64 exec, exec, s[28:29]
	v_mul_f32_e32 v0, v51, v0
	v_and_b32_e32 v1, 0x7f800000, v0
	v_cmp_ne_u32_e64 s[8:9], s38, v1
                                        ; implicit-def: $vgpr47
	s_and_saveexec_b64 s[28:29], s[8:9]
	s_xor_b64 s[8:9], exec, s[28:29]
; %bb.137:                              ;   in Loop: Header=BB393_10 Depth=1
	v_bfe_u32 v1, v0, 16, 1
	v_add3_u32 v47, v0, v1, s39
                                        ; implicit-def: $vgpr0
; %bb.138:                              ;   in Loop: Header=BB393_10 Depth=1
	s_andn2_saveexec_b64 s[28:29], s[8:9]
; %bb.139:                              ;   in Loop: Header=BB393_10 Depth=1
	v_or_b32_e32 v1, 0x10000, v0
	v_cmp_eq_u32_sdwa s[8:9], v0, v14 src0_sel:WORD_0 src1_sel:DWORD
	v_cndmask_b32_e64 v47, v1, v0, s[8:9]
; %bb.140:                              ;   in Loop: Header=BB393_10 Depth=1
	s_or_b64 exec, exec, s[28:29]
	v_lshrrev_b16_e32 v30, 8, v28
	v_cmp_ne_u16_e64 s[8:9], 0, v30
	v_mov_b32_e32 v0, 0
	s_and_saveexec_b64 s[28:29], s[8:9]
	s_cbranch_execz .LBB393_146
; %bb.141:                              ;   in Loop: Header=BB393_10 Depth=1
	v_cmp_ne_u16_e64 s[8:9], s21, v30
	v_bfrev_b32_e32 v0, 1
	s_and_saveexec_b64 s[30:31], s[8:9]
	s_cbranch_execz .LBB393_145
; %bb.142:                              ;   in Loop: Header=BB393_10 Depth=1
	v_and_b32_e32 v1, 0x7f, v30
	v_cmp_ne_u32_e64 s[8:9], s37, v1
	v_mov_b32_e32 v0, 0x7f800001
	s_and_saveexec_b64 s[34:35], s[8:9]
	s_cbranch_execz .LBB393_144
; %bb.143:                              ;   in Loop: Header=BB393_10 Depth=1
	v_and_b32_e32 v0, 7, v30
	v_ffbh_u32_e32 v2, v0
	v_min_u32_e32 v5, 32, v2
	v_subrev_u32_e32 v2, 28, v5
	v_lshlrev_b64 v[2:3], v2, v[30:31]
	v_lshrrev_b32_e32 v4, 3, v1
	v_sub_u32_e32 v3, 29, v5
	v_and_b32_e32 v2, 7, v2
	v_cmp_gt_u32_e64 s[8:9], 8, v1
	v_cndmask_b32_e64 v1, v4, v3, s[8:9]
	v_cndmask_b32_e64 v0, v0, v2, s[8:9]
	v_lshlrev_b32_e32 v2, 16, v28
	v_lshlrev_b32_e32 v0, 20, v0
	v_and_b32_e32 v2, 0x80000000, v2
	v_lshl_add_u32 v1, v1, 23, v23
	v_or3_b32 v0, v2, v1, v0
.LBB393_144:                            ;   in Loop: Header=BB393_10 Depth=1
	s_or_b64 exec, exec, s[34:35]
.LBB393_145:                            ;   in Loop: Header=BB393_10 Depth=1
	s_or_b64 exec, exec, s[30:31]
.LBB393_146:                            ;   in Loop: Header=BB393_10 Depth=1
	s_or_b64 exec, exec, s[28:29]
	v_mul_f32_e32 v0, v51, v0
	v_and_b32_e32 v1, 0x7f800000, v0
	v_cmp_ne_u32_e64 s[8:9], s38, v1
                                        ; implicit-def: $vgpr56
	s_and_saveexec_b64 s[28:29], s[8:9]
	s_xor_b64 s[8:9], exec, s[28:29]
; %bb.147:                              ;   in Loop: Header=BB393_10 Depth=1
	v_bfe_u32 v1, v0, 16, 1
	v_add3_u32 v56, v0, v1, s39
                                        ; implicit-def: $vgpr0
; %bb.148:                              ;   in Loop: Header=BB393_10 Depth=1
	s_andn2_saveexec_b64 s[28:29], s[8:9]
; %bb.149:                              ;   in Loop: Header=BB393_10 Depth=1
	v_or_b32_e32 v1, 0x10000, v0
	v_cmp_eq_u32_sdwa s[8:9], v0, v14 src0_sel:WORD_0 src1_sel:DWORD
	v_cndmask_b32_e64 v56, v1, v0, s[8:9]
; %bb.150:                              ;   in Loop: Header=BB393_10 Depth=1
	s_or_b64 exec, exec, s[28:29]
	v_lshrrev_b32_e32 v30, 16, v28
	v_cmp_ne_u16_sdwa s[8:9], v30, v14 src0_sel:BYTE_0 src1_sel:DWORD
	v_mov_b32_e32 v0, 0
	s_and_saveexec_b64 s[28:29], s[8:9]
	s_cbranch_execz .LBB393_156
; %bb.151:                              ;   in Loop: Header=BB393_10 Depth=1
	v_cmp_ne_u16_sdwa s[8:9], v30, s21 src0_sel:BYTE_0 src1_sel:DWORD
	v_bfrev_b32_e32 v0, 1
	s_and_saveexec_b64 s[30:31], s[8:9]
	s_cbranch_execz .LBB393_155
; %bb.152:                              ;   in Loop: Header=BB393_10 Depth=1
	v_bfe_u32 v1, v28, 16, 7
	v_cmp_ne_u32_e64 s[8:9], s37, v1
	v_mov_b32_e32 v0, 0x7f800001
	s_and_saveexec_b64 s[34:35], s[8:9]
	s_cbranch_execz .LBB393_154
; %bb.153:                              ;   in Loop: Header=BB393_10 Depth=1
	v_and_b32_e32 v0, 7, v30
	v_ffbh_u32_e32 v2, v0
	v_min_u32_e32 v5, 32, v2
	v_subrev_u32_e32 v2, 28, v5
	v_lshlrev_b64 v[2:3], v2, v[30:31]
	v_lshrrev_b32_e32 v4, 3, v1
	v_sub_u32_e32 v3, 29, v5
	v_and_b32_e32 v2, 7, v2
	v_cmp_gt_u32_e64 s[8:9], 8, v1
	v_cndmask_b32_e64 v1, v4, v3, s[8:9]
	v_cndmask_b32_e64 v0, v0, v2, s[8:9]
	v_lshlrev_b32_e32 v2, 24, v30
	v_lshlrev_b32_e32 v0, 20, v0
	v_and_b32_e32 v2, 0x80000000, v2
	v_lshl_add_u32 v1, v1, 23, v23
	v_or3_b32 v0, v2, v1, v0
.LBB393_154:                            ;   in Loop: Header=BB393_10 Depth=1
	s_or_b64 exec, exec, s[34:35]
.LBB393_155:                            ;   in Loop: Header=BB393_10 Depth=1
	s_or_b64 exec, exec, s[30:31]
.LBB393_156:                            ;   in Loop: Header=BB393_10 Depth=1
	s_or_b64 exec, exec, s[28:29]
	v_mul_f32_e32 v0, v51, v0
	v_and_b32_e32 v1, 0x7f800000, v0
	v_cmp_ne_u32_e64 s[8:9], s38, v1
                                        ; implicit-def: $vgpr57
	s_and_saveexec_b64 s[28:29], s[8:9]
	s_xor_b64 s[8:9], exec, s[28:29]
; %bb.157:                              ;   in Loop: Header=BB393_10 Depth=1
	v_bfe_u32 v1, v0, 16, 1
	v_add3_u32 v57, v0, v1, s39
                                        ; implicit-def: $vgpr0
; %bb.158:                              ;   in Loop: Header=BB393_10 Depth=1
	s_andn2_saveexec_b64 s[28:29], s[8:9]
; %bb.159:                              ;   in Loop: Header=BB393_10 Depth=1
	v_or_b32_e32 v1, 0x10000, v0
	v_cmp_eq_u32_sdwa s[8:9], v0, v14 src0_sel:WORD_0 src1_sel:DWORD
	v_cndmask_b32_e64 v57, v1, v0, s[8:9]
; %bb.160:                              ;   in Loop: Header=BB393_10 Depth=1
	s_or_b64 exec, exec, s[28:29]
	v_cmp_lt_u32_e64 s[8:9], s40, v28
	v_mov_b32_e32 v0, 0
	s_and_saveexec_b64 s[28:29], s[8:9]
	s_cbranch_execz .LBB393_166
; %bb.161:                              ;   in Loop: Header=BB393_10 Depth=1
	v_lshrrev_b32_e32 v30, 24, v28
	v_cmp_ne_u32_e64 s[8:9], s21, v30
	v_bfrev_b32_e32 v0, 1
	s_and_saveexec_b64 s[30:31], s[8:9]
	s_cbranch_execz .LBB393_165
; %bb.162:                              ;   in Loop: Header=BB393_10 Depth=1
	v_bfe_u32 v1, v28, 24, 7
	v_cmp_ne_u32_e64 s[8:9], s37, v1
	v_mov_b32_e32 v0, 0x7f800001
	s_and_saveexec_b64 s[34:35], s[8:9]
	s_cbranch_execz .LBB393_164
; %bb.163:                              ;   in Loop: Header=BB393_10 Depth=1
	v_and_b32_e32 v0, 7, v30
	v_ffbh_u32_e32 v2, v0
	v_min_u32_e32 v5, 32, v2
	v_subrev_u32_e32 v2, 28, v5
	v_lshlrev_b64 v[2:3], v2, v[30:31]
	v_lshrrev_b32_e32 v4, 3, v1
	v_sub_u32_e32 v3, 29, v5
	v_and_b32_e32 v2, 7, v2
	v_cmp_gt_u32_e64 s[8:9], 8, v1
	v_cndmask_b32_e64 v1, v4, v3, s[8:9]
	v_cndmask_b32_e64 v0, v0, v2, s[8:9]
	v_lshlrev_b32_e32 v2, 24, v30
	v_lshlrev_b32_e32 v0, 20, v0
	v_and_b32_e32 v2, 0x80000000, v2
	v_lshl_add_u32 v1, v1, 23, v23
	v_or3_b32 v0, v2, v1, v0
.LBB393_164:                            ;   in Loop: Header=BB393_10 Depth=1
	s_or_b64 exec, exec, s[34:35]
.LBB393_165:                            ;   in Loop: Header=BB393_10 Depth=1
	s_or_b64 exec, exec, s[30:31]
.LBB393_166:                            ;   in Loop: Header=BB393_10 Depth=1
	s_or_b64 exec, exec, s[28:29]
	v_mul_f32_e32 v0, v51, v0
	v_and_b32_e32 v1, 0x7f800000, v0
	v_cmp_ne_u32_e64 s[8:9], s38, v1
                                        ; implicit-def: $vgpr58
	s_and_saveexec_b64 s[28:29], s[8:9]
	s_xor_b64 s[8:9], exec, s[28:29]
; %bb.167:                              ;   in Loop: Header=BB393_10 Depth=1
	v_bfe_u32 v1, v0, 16, 1
	v_add3_u32 v58, v0, v1, s39
                                        ; implicit-def: $vgpr0
; %bb.168:                              ;   in Loop: Header=BB393_10 Depth=1
	s_andn2_saveexec_b64 s[28:29], s[8:9]
; %bb.169:                              ;   in Loop: Header=BB393_10 Depth=1
	v_or_b32_e32 v1, 0x10000, v0
	v_cmp_eq_u32_sdwa s[8:9], v0, v14 src0_sel:WORD_0 src1_sel:DWORD
	v_cndmask_b32_e64 v58, v1, v0, s[8:9]
; %bb.170:                              ;   in Loop: Header=BB393_10 Depth=1
	s_or_b64 exec, exec, s[28:29]
	flat_load_dword v28, v[20:21] offset:1024
	v_mov_b32_e32 v0, 0
	s_waitcnt vmcnt(0) lgkmcnt(0)
	v_cmp_ne_u16_sdwa s[8:9], v28, v14 src0_sel:BYTE_0 src1_sel:DWORD
	s_and_saveexec_b64 s[28:29], s[8:9]
	s_cbranch_execz .LBB393_176
; %bb.171:                              ;   in Loop: Header=BB393_10 Depth=1
	v_cmp_ne_u16_sdwa s[8:9], v28, s21 src0_sel:BYTE_0 src1_sel:DWORD
	v_bfrev_b32_e32 v0, 1
	s_and_saveexec_b64 s[30:31], s[8:9]
	s_cbranch_execz .LBB393_175
; %bb.172:                              ;   in Loop: Header=BB393_10 Depth=1
	v_and_b32_e32 v1, 0x7f, v28
	v_cmp_ne_u32_e64 s[8:9], s37, v1
	v_mov_b32_e32 v0, 0x7f800001
	s_and_saveexec_b64 s[34:35], s[8:9]
	s_cbranch_execz .LBB393_174
; %bb.173:                              ;   in Loop: Header=BB393_10 Depth=1
	v_and_b32_e32 v0, 7, v28
	v_ffbh_u32_e32 v2, v0
	v_min_u32_e32 v5, 32, v2
	v_subrev_u32_e32 v2, 28, v5
	v_lshlrev_b64 v[2:3], v2, v[28:29]
	v_lshrrev_b32_e32 v4, 3, v1
	v_sub_u32_e32 v3, 29, v5
	v_and_b32_e32 v2, 7, v2
	v_cmp_gt_u32_e64 s[8:9], 8, v1
	v_cndmask_b32_e64 v1, v4, v3, s[8:9]
	v_cndmask_b32_e64 v0, v0, v2, s[8:9]
	v_lshlrev_b32_e32 v2, 24, v28
	v_lshlrev_b32_e32 v0, 20, v0
	v_and_b32_e32 v2, 0x80000000, v2
	v_lshl_add_u32 v1, v1, 23, v23
	v_or3_b32 v0, v2, v1, v0
.LBB393_174:                            ;   in Loop: Header=BB393_10 Depth=1
	s_or_b64 exec, exec, s[34:35]
.LBB393_175:                            ;   in Loop: Header=BB393_10 Depth=1
	s_or_b64 exec, exec, s[30:31]
.LBB393_176:                            ;   in Loop: Header=BB393_10 Depth=1
	s_or_b64 exec, exec, s[28:29]
	v_mul_f32_e32 v0, v51, v0
	v_and_b32_e32 v1, 0x7f800000, v0
	v_cmp_ne_u32_e64 s[8:9], s38, v1
                                        ; implicit-def: $vgpr59
	s_and_saveexec_b64 s[28:29], s[8:9]
	s_xor_b64 s[8:9], exec, s[28:29]
; %bb.177:                              ;   in Loop: Header=BB393_10 Depth=1
	v_bfe_u32 v1, v0, 16, 1
	v_add3_u32 v59, v0, v1, s39
                                        ; implicit-def: $vgpr0
; %bb.178:                              ;   in Loop: Header=BB393_10 Depth=1
	s_andn2_saveexec_b64 s[28:29], s[8:9]
; %bb.179:                              ;   in Loop: Header=BB393_10 Depth=1
	v_or_b32_e32 v1, 0x10000, v0
	v_cmp_eq_u32_sdwa s[8:9], v0, v14 src0_sel:WORD_0 src1_sel:DWORD
	v_cndmask_b32_e64 v59, v1, v0, s[8:9]
; %bb.180:                              ;   in Loop: Header=BB393_10 Depth=1
	s_or_b64 exec, exec, s[28:29]
	v_lshrrev_b16_e32 v30, 8, v28
	v_cmp_ne_u16_e64 s[8:9], 0, v30
	v_mov_b32_e32 v0, 0
	s_and_saveexec_b64 s[28:29], s[8:9]
	s_cbranch_execz .LBB393_186
; %bb.181:                              ;   in Loop: Header=BB393_10 Depth=1
	v_cmp_ne_u16_e64 s[8:9], s21, v30
	v_bfrev_b32_e32 v0, 1
	s_and_saveexec_b64 s[30:31], s[8:9]
	s_cbranch_execz .LBB393_185
; %bb.182:                              ;   in Loop: Header=BB393_10 Depth=1
	v_and_b32_e32 v1, 0x7f, v30
	v_cmp_ne_u32_e64 s[8:9], s37, v1
	v_mov_b32_e32 v0, 0x7f800001
	s_and_saveexec_b64 s[34:35], s[8:9]
	s_cbranch_execz .LBB393_184
; %bb.183:                              ;   in Loop: Header=BB393_10 Depth=1
	v_and_b32_e32 v0, 7, v30
	v_ffbh_u32_e32 v2, v0
	v_min_u32_e32 v5, 32, v2
	v_subrev_u32_e32 v2, 28, v5
	v_lshlrev_b64 v[2:3], v2, v[30:31]
	v_lshrrev_b32_e32 v4, 3, v1
	v_sub_u32_e32 v3, 29, v5
	v_and_b32_e32 v2, 7, v2
	v_cmp_gt_u32_e64 s[8:9], 8, v1
	v_cndmask_b32_e64 v1, v4, v3, s[8:9]
	v_cndmask_b32_e64 v0, v0, v2, s[8:9]
	v_lshlrev_b32_e32 v2, 16, v28
	v_lshlrev_b32_e32 v0, 20, v0
	v_and_b32_e32 v2, 0x80000000, v2
	v_lshl_add_u32 v1, v1, 23, v23
	v_or3_b32 v0, v2, v1, v0
.LBB393_184:                            ;   in Loop: Header=BB393_10 Depth=1
	s_or_b64 exec, exec, s[34:35]
.LBB393_185:                            ;   in Loop: Header=BB393_10 Depth=1
	s_or_b64 exec, exec, s[30:31]
.LBB393_186:                            ;   in Loop: Header=BB393_10 Depth=1
	s_or_b64 exec, exec, s[28:29]
	v_mul_f32_e32 v0, v51, v0
	v_and_b32_e32 v1, 0x7f800000, v0
	v_cmp_ne_u32_e64 s[8:9], s38, v1
                                        ; implicit-def: $vgpr60
	s_and_saveexec_b64 s[28:29], s[8:9]
	s_xor_b64 s[8:9], exec, s[28:29]
; %bb.187:                              ;   in Loop: Header=BB393_10 Depth=1
	v_bfe_u32 v1, v0, 16, 1
	v_add3_u32 v60, v0, v1, s39
                                        ; implicit-def: $vgpr0
; %bb.188:                              ;   in Loop: Header=BB393_10 Depth=1
	s_andn2_saveexec_b64 s[28:29], s[8:9]
; %bb.189:                              ;   in Loop: Header=BB393_10 Depth=1
	v_or_b32_e32 v1, 0x10000, v0
	v_cmp_eq_u32_sdwa s[8:9], v0, v14 src0_sel:WORD_0 src1_sel:DWORD
	v_cndmask_b32_e64 v60, v1, v0, s[8:9]
; %bb.190:                              ;   in Loop: Header=BB393_10 Depth=1
	s_or_b64 exec, exec, s[28:29]
	v_lshrrev_b32_e32 v30, 16, v28
	v_cmp_ne_u16_sdwa s[8:9], v30, v14 src0_sel:BYTE_0 src1_sel:DWORD
	v_mov_b32_e32 v0, 0
	s_and_saveexec_b64 s[28:29], s[8:9]
	s_cbranch_execz .LBB393_196
; %bb.191:                              ;   in Loop: Header=BB393_10 Depth=1
	v_cmp_ne_u16_sdwa s[8:9], v30, s21 src0_sel:BYTE_0 src1_sel:DWORD
	v_bfrev_b32_e32 v0, 1
	s_and_saveexec_b64 s[30:31], s[8:9]
	s_cbranch_execz .LBB393_195
; %bb.192:                              ;   in Loop: Header=BB393_10 Depth=1
	v_bfe_u32 v1, v28, 16, 7
	v_cmp_ne_u32_e64 s[8:9], s37, v1
	v_mov_b32_e32 v0, 0x7f800001
	s_and_saveexec_b64 s[34:35], s[8:9]
	s_cbranch_execz .LBB393_194
; %bb.193:                              ;   in Loop: Header=BB393_10 Depth=1
	v_and_b32_e32 v0, 7, v30
	v_ffbh_u32_e32 v2, v0
	v_min_u32_e32 v5, 32, v2
	v_subrev_u32_e32 v2, 28, v5
	v_lshlrev_b64 v[2:3], v2, v[30:31]
	v_lshrrev_b32_e32 v4, 3, v1
	v_sub_u32_e32 v3, 29, v5
	v_and_b32_e32 v2, 7, v2
	v_cmp_gt_u32_e64 s[8:9], 8, v1
	v_cndmask_b32_e64 v1, v4, v3, s[8:9]
	v_cndmask_b32_e64 v0, v0, v2, s[8:9]
	v_lshlrev_b32_e32 v2, 24, v30
	v_lshlrev_b32_e32 v0, 20, v0
	v_and_b32_e32 v2, 0x80000000, v2
	v_lshl_add_u32 v1, v1, 23, v23
	v_or3_b32 v0, v2, v1, v0
.LBB393_194:                            ;   in Loop: Header=BB393_10 Depth=1
	s_or_b64 exec, exec, s[34:35]
.LBB393_195:                            ;   in Loop: Header=BB393_10 Depth=1
	s_or_b64 exec, exec, s[30:31]
.LBB393_196:                            ;   in Loop: Header=BB393_10 Depth=1
	s_or_b64 exec, exec, s[28:29]
	v_mul_f32_e32 v0, v51, v0
	v_and_b32_e32 v1, 0x7f800000, v0
	v_cmp_ne_u32_e64 s[8:9], s38, v1
                                        ; implicit-def: $vgpr61
	s_and_saveexec_b64 s[28:29], s[8:9]
	s_xor_b64 s[8:9], exec, s[28:29]
; %bb.197:                              ;   in Loop: Header=BB393_10 Depth=1
	v_bfe_u32 v1, v0, 16, 1
	v_add3_u32 v61, v0, v1, s39
                                        ; implicit-def: $vgpr0
; %bb.198:                              ;   in Loop: Header=BB393_10 Depth=1
	s_andn2_saveexec_b64 s[28:29], s[8:9]
; %bb.199:                              ;   in Loop: Header=BB393_10 Depth=1
	v_or_b32_e32 v1, 0x10000, v0
	v_cmp_eq_u32_sdwa s[8:9], v0, v14 src0_sel:WORD_0 src1_sel:DWORD
	v_cndmask_b32_e64 v61, v1, v0, s[8:9]
; %bb.200:                              ;   in Loop: Header=BB393_10 Depth=1
	s_or_b64 exec, exec, s[28:29]
	v_cmp_lt_u32_e64 s[8:9], s40, v28
	v_mov_b32_e32 v0, 0
	s_and_saveexec_b64 s[28:29], s[8:9]
	s_cbranch_execz .LBB393_206
; %bb.201:                              ;   in Loop: Header=BB393_10 Depth=1
	v_lshrrev_b32_e32 v30, 24, v28
	v_cmp_ne_u32_e64 s[8:9], s21, v30
	v_bfrev_b32_e32 v0, 1
	s_and_saveexec_b64 s[30:31], s[8:9]
	s_cbranch_execz .LBB393_205
; %bb.202:                              ;   in Loop: Header=BB393_10 Depth=1
	v_bfe_u32 v1, v28, 24, 7
	v_cmp_ne_u32_e64 s[8:9], s37, v1
	v_mov_b32_e32 v0, 0x7f800001
	s_and_saveexec_b64 s[34:35], s[8:9]
	s_cbranch_execz .LBB393_204
; %bb.203:                              ;   in Loop: Header=BB393_10 Depth=1
	v_and_b32_e32 v0, 7, v30
	v_ffbh_u32_e32 v2, v0
	v_min_u32_e32 v5, 32, v2
	v_subrev_u32_e32 v2, 28, v5
	v_lshlrev_b64 v[2:3], v2, v[30:31]
	v_lshrrev_b32_e32 v4, 3, v1
	v_sub_u32_e32 v3, 29, v5
	v_and_b32_e32 v2, 7, v2
	v_cmp_gt_u32_e64 s[8:9], 8, v1
	v_cndmask_b32_e64 v1, v4, v3, s[8:9]
	v_cndmask_b32_e64 v0, v0, v2, s[8:9]
	v_lshlrev_b32_e32 v2, 24, v30
	v_lshlrev_b32_e32 v0, 20, v0
	v_and_b32_e32 v2, 0x80000000, v2
	v_lshl_add_u32 v1, v1, 23, v23
	v_or3_b32 v0, v2, v1, v0
.LBB393_204:                            ;   in Loop: Header=BB393_10 Depth=1
	s_or_b64 exec, exec, s[34:35]
.LBB393_205:                            ;   in Loop: Header=BB393_10 Depth=1
	s_or_b64 exec, exec, s[30:31]
.LBB393_206:                            ;   in Loop: Header=BB393_10 Depth=1
	s_or_b64 exec, exec, s[28:29]
	v_mul_f32_e32 v0, v51, v0
	v_and_b32_e32 v1, 0x7f800000, v0
	v_cmp_ne_u32_e64 s[8:9], s38, v1
                                        ; implicit-def: $vgpr62
	s_and_saveexec_b64 s[28:29], s[8:9]
	s_xor_b64 s[8:9], exec, s[28:29]
; %bb.207:                              ;   in Loop: Header=BB393_10 Depth=1
	v_bfe_u32 v1, v0, 16, 1
	v_add3_u32 v62, v0, v1, s39
                                        ; implicit-def: $vgpr0
; %bb.208:                              ;   in Loop: Header=BB393_10 Depth=1
	s_andn2_saveexec_b64 s[28:29], s[8:9]
; %bb.209:                              ;   in Loop: Header=BB393_10 Depth=1
	v_or_b32_e32 v1, 0x10000, v0
	v_cmp_eq_u32_sdwa s[8:9], v0, v14 src0_sel:WORD_0 src1_sel:DWORD
	v_cndmask_b32_e64 v62, v1, v0, s[8:9]
; %bb.210:                              ;   in Loop: Header=BB393_10 Depth=1
	s_or_b64 exec, exec, s[28:29]
	flat_load_dword v28, v[20:21] offset:1032
	v_mov_b32_e32 v0, 0
	s_waitcnt vmcnt(0) lgkmcnt(0)
	v_cmp_ne_u16_sdwa s[8:9], v28, v14 src0_sel:BYTE_0 src1_sel:DWORD
	s_and_saveexec_b64 s[28:29], s[8:9]
	s_cbranch_execz .LBB393_216
; %bb.211:                              ;   in Loop: Header=BB393_10 Depth=1
	v_cmp_ne_u16_sdwa s[8:9], v28, s21 src0_sel:BYTE_0 src1_sel:DWORD
	v_bfrev_b32_e32 v0, 1
	s_and_saveexec_b64 s[30:31], s[8:9]
	s_cbranch_execz .LBB393_215
; %bb.212:                              ;   in Loop: Header=BB393_10 Depth=1
	v_and_b32_e32 v1, 0x7f, v28
	v_cmp_ne_u32_e64 s[8:9], s37, v1
	v_mov_b32_e32 v0, 0x7f800001
	s_and_saveexec_b64 s[34:35], s[8:9]
	s_cbranch_execz .LBB393_214
; %bb.213:                              ;   in Loop: Header=BB393_10 Depth=1
	v_and_b32_e32 v0, 7, v28
	v_ffbh_u32_e32 v2, v0
	v_min_u32_e32 v5, 32, v2
	v_subrev_u32_e32 v2, 28, v5
	v_lshlrev_b64 v[2:3], v2, v[28:29]
	v_lshrrev_b32_e32 v4, 3, v1
	v_sub_u32_e32 v3, 29, v5
	v_and_b32_e32 v2, 7, v2
	v_cmp_gt_u32_e64 s[8:9], 8, v1
	v_cndmask_b32_e64 v1, v4, v3, s[8:9]
	v_cndmask_b32_e64 v0, v0, v2, s[8:9]
	v_lshlrev_b32_e32 v2, 24, v28
	v_lshlrev_b32_e32 v0, 20, v0
	v_and_b32_e32 v2, 0x80000000, v2
	v_lshl_add_u32 v1, v1, 23, v23
	v_or3_b32 v0, v2, v1, v0
.LBB393_214:                            ;   in Loop: Header=BB393_10 Depth=1
	s_or_b64 exec, exec, s[34:35]
.LBB393_215:                            ;   in Loop: Header=BB393_10 Depth=1
	s_or_b64 exec, exec, s[30:31]
.LBB393_216:                            ;   in Loop: Header=BB393_10 Depth=1
	s_or_b64 exec, exec, s[28:29]
	v_mul_f32_e32 v0, v51, v0
	v_and_b32_e32 v1, 0x7f800000, v0
	v_cmp_ne_u32_e64 s[8:9], s38, v1
                                        ; implicit-def: $vgpr37
	s_and_saveexec_b64 s[28:29], s[8:9]
	s_xor_b64 s[8:9], exec, s[28:29]
; %bb.217:                              ;   in Loop: Header=BB393_10 Depth=1
	v_bfe_u32 v1, v0, 16, 1
	v_add3_u32 v37, v0, v1, s39
                                        ; implicit-def: $vgpr0
; %bb.218:                              ;   in Loop: Header=BB393_10 Depth=1
	s_andn2_saveexec_b64 s[28:29], s[8:9]
; %bb.219:                              ;   in Loop: Header=BB393_10 Depth=1
	v_or_b32_e32 v1, 0x10000, v0
	v_cmp_eq_u32_sdwa s[8:9], v0, v14 src0_sel:WORD_0 src1_sel:DWORD
	v_cndmask_b32_e64 v37, v1, v0, s[8:9]
; %bb.220:                              ;   in Loop: Header=BB393_10 Depth=1
	s_or_b64 exec, exec, s[28:29]
	v_lshrrev_b16_e32 v30, 8, v28
	v_cmp_ne_u16_e64 s[8:9], 0, v30
	v_mov_b32_e32 v0, 0
	s_and_saveexec_b64 s[28:29], s[8:9]
	s_cbranch_execz .LBB393_226
; %bb.221:                              ;   in Loop: Header=BB393_10 Depth=1
	v_cmp_ne_u16_e64 s[8:9], s21, v30
	v_bfrev_b32_e32 v0, 1
	s_and_saveexec_b64 s[30:31], s[8:9]
	s_cbranch_execz .LBB393_225
; %bb.222:                              ;   in Loop: Header=BB393_10 Depth=1
	v_and_b32_e32 v1, 0x7f, v30
	v_cmp_ne_u32_e64 s[8:9], s37, v1
	v_mov_b32_e32 v0, 0x7f800001
	s_and_saveexec_b64 s[34:35], s[8:9]
	s_cbranch_execz .LBB393_224
; %bb.223:                              ;   in Loop: Header=BB393_10 Depth=1
	v_and_b32_e32 v0, 7, v30
	v_ffbh_u32_e32 v2, v0
	v_min_u32_e32 v5, 32, v2
	v_subrev_u32_e32 v2, 28, v5
	v_lshlrev_b64 v[2:3], v2, v[30:31]
	v_lshrrev_b32_e32 v4, 3, v1
	v_sub_u32_e32 v3, 29, v5
	v_and_b32_e32 v2, 7, v2
	v_cmp_gt_u32_e64 s[8:9], 8, v1
	v_cndmask_b32_e64 v1, v4, v3, s[8:9]
	v_cndmask_b32_e64 v0, v0, v2, s[8:9]
	v_lshlrev_b32_e32 v2, 16, v28
	v_lshlrev_b32_e32 v0, 20, v0
	v_and_b32_e32 v2, 0x80000000, v2
	v_lshl_add_u32 v1, v1, 23, v23
	v_or3_b32 v0, v2, v1, v0
.LBB393_224:                            ;   in Loop: Header=BB393_10 Depth=1
	s_or_b64 exec, exec, s[34:35]
.LBB393_225:                            ;   in Loop: Header=BB393_10 Depth=1
	s_or_b64 exec, exec, s[30:31]
.LBB393_226:                            ;   in Loop: Header=BB393_10 Depth=1
	s_or_b64 exec, exec, s[28:29]
	v_mul_f32_e32 v0, v51, v0
	v_and_b32_e32 v1, 0x7f800000, v0
	v_cmp_ne_u32_e64 s[8:9], s38, v1
                                        ; implicit-def: $vgpr5
	s_and_saveexec_b64 s[28:29], s[8:9]
	s_xor_b64 s[8:9], exec, s[28:29]
; %bb.227:                              ;   in Loop: Header=BB393_10 Depth=1
	v_bfe_u32 v1, v0, 16, 1
	v_add3_u32 v5, v0, v1, s39
                                        ; implicit-def: $vgpr0
; %bb.228:                              ;   in Loop: Header=BB393_10 Depth=1
	s_andn2_saveexec_b64 s[28:29], s[8:9]
; %bb.229:                              ;   in Loop: Header=BB393_10 Depth=1
	v_or_b32_e32 v1, 0x10000, v0
	v_cmp_eq_u32_sdwa s[8:9], v0, v14 src0_sel:WORD_0 src1_sel:DWORD
	v_cndmask_b32_e64 v5, v1, v0, s[8:9]
; %bb.230:                              ;   in Loop: Header=BB393_10 Depth=1
	s_or_b64 exec, exec, s[28:29]
	v_lshrrev_b32_e32 v30, 16, v28
	v_cmp_ne_u16_sdwa s[8:9], v30, v14 src0_sel:BYTE_0 src1_sel:DWORD
	v_mov_b32_e32 v0, 0
	s_and_saveexec_b64 s[28:29], s[8:9]
	s_cbranch_execz .LBB393_236
; %bb.231:                              ;   in Loop: Header=BB393_10 Depth=1
	v_cmp_ne_u16_sdwa s[8:9], v30, s21 src0_sel:BYTE_0 src1_sel:DWORD
	v_bfrev_b32_e32 v0, 1
	s_and_saveexec_b64 s[30:31], s[8:9]
	s_cbranch_execz .LBB393_235
; %bb.232:                              ;   in Loop: Header=BB393_10 Depth=1
	v_bfe_u32 v1, v28, 16, 7
	v_cmp_ne_u32_e64 s[8:9], s37, v1
	v_mov_b32_e32 v0, 0x7f800001
	s_and_saveexec_b64 s[34:35], s[8:9]
	s_cbranch_execz .LBB393_234
; %bb.233:                              ;   in Loop: Header=BB393_10 Depth=1
	v_and_b32_e32 v0, 7, v30
	v_ffbh_u32_e32 v2, v0
	v_min_u32_e32 v6, 32, v2
	v_subrev_u32_e32 v2, 28, v6
	v_lshlrev_b64 v[2:3], v2, v[30:31]
	v_lshrrev_b32_e32 v4, 3, v1
	v_sub_u32_e32 v3, 29, v6
	v_and_b32_e32 v2, 7, v2
	v_cmp_gt_u32_e64 s[8:9], 8, v1
	v_cndmask_b32_e64 v1, v4, v3, s[8:9]
	v_cndmask_b32_e64 v0, v0, v2, s[8:9]
	v_lshlrev_b32_e32 v2, 24, v30
	v_lshlrev_b32_e32 v0, 20, v0
	v_and_b32_e32 v2, 0x80000000, v2
	v_lshl_add_u32 v1, v1, 23, v23
	v_or3_b32 v0, v2, v1, v0
.LBB393_234:                            ;   in Loop: Header=BB393_10 Depth=1
	s_or_b64 exec, exec, s[34:35]
.LBB393_235:                            ;   in Loop: Header=BB393_10 Depth=1
	s_or_b64 exec, exec, s[30:31]
.LBB393_236:                            ;   in Loop: Header=BB393_10 Depth=1
	s_or_b64 exec, exec, s[28:29]
	v_mul_f32_e32 v0, v51, v0
	v_and_b32_e32 v1, 0x7f800000, v0
	v_cmp_ne_u32_e64 s[8:9], s38, v1
                                        ; implicit-def: $vgpr4
	s_and_saveexec_b64 s[28:29], s[8:9]
	s_xor_b64 s[8:9], exec, s[28:29]
; %bb.237:                              ;   in Loop: Header=BB393_10 Depth=1
	v_bfe_u32 v1, v0, 16, 1
	v_add3_u32 v4, v0, v1, s39
                                        ; implicit-def: $vgpr0
; %bb.238:                              ;   in Loop: Header=BB393_10 Depth=1
	s_andn2_saveexec_b64 s[28:29], s[8:9]
; %bb.239:                              ;   in Loop: Header=BB393_10 Depth=1
	v_or_b32_e32 v1, 0x10000, v0
	v_cmp_eq_u32_sdwa s[8:9], v0, v14 src0_sel:WORD_0 src1_sel:DWORD
	v_cndmask_b32_e64 v4, v1, v0, s[8:9]
; %bb.240:                              ;   in Loop: Header=BB393_10 Depth=1
	s_or_b64 exec, exec, s[28:29]
	v_cmp_lt_u32_e64 s[8:9], s40, v28
	v_mov_b32_e32 v0, 0
	s_and_saveexec_b64 s[28:29], s[8:9]
	s_cbranch_execz .LBB393_246
; %bb.241:                              ;   in Loop: Header=BB393_10 Depth=1
	v_lshrrev_b32_e32 v30, 24, v28
	v_cmp_ne_u32_e64 s[8:9], s21, v30
	v_bfrev_b32_e32 v0, 1
	s_and_saveexec_b64 s[30:31], s[8:9]
	s_cbranch_execz .LBB393_245
; %bb.242:                              ;   in Loop: Header=BB393_10 Depth=1
	v_bfe_u32 v1, v28, 24, 7
	v_cmp_ne_u32_e64 s[8:9], s37, v1
	v_mov_b32_e32 v0, 0x7f800001
	s_and_saveexec_b64 s[34:35], s[8:9]
	s_cbranch_execz .LBB393_244
; %bb.243:                              ;   in Loop: Header=BB393_10 Depth=1
	v_and_b32_e32 v0, 7, v30
	v_ffbh_u32_e32 v2, v0
	v_min_u32_e32 v7, 32, v2
	v_subrev_u32_e32 v2, 28, v7
	v_lshlrev_b64 v[2:3], v2, v[30:31]
	v_lshrrev_b32_e32 v6, 3, v1
	v_sub_u32_e32 v3, 29, v7
	v_and_b32_e32 v2, 7, v2
	v_cmp_gt_u32_e64 s[8:9], 8, v1
	v_cndmask_b32_e64 v1, v6, v3, s[8:9]
	v_cndmask_b32_e64 v0, v0, v2, s[8:9]
	v_lshlrev_b32_e32 v2, 24, v30
	v_lshlrev_b32_e32 v0, 20, v0
	v_and_b32_e32 v2, 0x80000000, v2
	v_lshl_add_u32 v1, v1, 23, v23
	v_or3_b32 v0, v2, v1, v0
.LBB393_244:                            ;   in Loop: Header=BB393_10 Depth=1
	s_or_b64 exec, exec, s[34:35]
.LBB393_245:                            ;   in Loop: Header=BB393_10 Depth=1
	s_or_b64 exec, exec, s[30:31]
.LBB393_246:                            ;   in Loop: Header=BB393_10 Depth=1
	s_or_b64 exec, exec, s[28:29]
	v_mul_f32_e32 v0, v51, v0
	v_and_b32_e32 v1, 0x7f800000, v0
	v_cmp_ne_u32_e64 s[8:9], s38, v1
                                        ; implicit-def: $vgpr33
	s_and_saveexec_b64 s[28:29], s[8:9]
	s_xor_b64 s[8:9], exec, s[28:29]
; %bb.247:                              ;   in Loop: Header=BB393_10 Depth=1
	v_bfe_u32 v1, v0, 16, 1
	v_add3_u32 v33, v0, v1, s39
                                        ; implicit-def: $vgpr0
; %bb.248:                              ;   in Loop: Header=BB393_10 Depth=1
	s_andn2_saveexec_b64 s[28:29], s[8:9]
; %bb.249:                              ;   in Loop: Header=BB393_10 Depth=1
	v_or_b32_e32 v1, 0x10000, v0
	v_cmp_eq_u32_sdwa s[8:9], v0, v14 src0_sel:WORD_0 src1_sel:DWORD
	v_cndmask_b32_e64 v33, v1, v0, s[8:9]
; %bb.250:                              ;   in Loop: Header=BB393_10 Depth=1
	s_or_b64 exec, exec, s[28:29]
	flat_load_dword v28, v[20:21] offset:1536
	v_mov_b32_e32 v0, 0
	s_waitcnt vmcnt(0) lgkmcnt(0)
	v_cmp_ne_u16_sdwa s[8:9], v28, v14 src0_sel:BYTE_0 src1_sel:DWORD
	s_and_saveexec_b64 s[28:29], s[8:9]
	s_cbranch_execz .LBB393_256
; %bb.251:                              ;   in Loop: Header=BB393_10 Depth=1
	v_cmp_ne_u16_sdwa s[8:9], v28, s21 src0_sel:BYTE_0 src1_sel:DWORD
	v_bfrev_b32_e32 v0, 1
	s_and_saveexec_b64 s[30:31], s[8:9]
	s_cbranch_execz .LBB393_255
; %bb.252:                              ;   in Loop: Header=BB393_10 Depth=1
	v_and_b32_e32 v1, 0x7f, v28
	v_cmp_ne_u32_e64 s[8:9], s37, v1
	v_mov_b32_e32 v0, 0x7f800001
	s_and_saveexec_b64 s[34:35], s[8:9]
	s_cbranch_execz .LBB393_254
; %bb.253:                              ;   in Loop: Header=BB393_10 Depth=1
	v_and_b32_e32 v0, 7, v28
	v_ffbh_u32_e32 v2, v0
	v_min_u32_e32 v7, 32, v2
	v_subrev_u32_e32 v2, 28, v7
	v_lshlrev_b64 v[2:3], v2, v[28:29]
	v_lshrrev_b32_e32 v6, 3, v1
	v_sub_u32_e32 v3, 29, v7
	v_and_b32_e32 v2, 7, v2
	v_cmp_gt_u32_e64 s[8:9], 8, v1
	v_cndmask_b32_e64 v1, v6, v3, s[8:9]
	v_cndmask_b32_e64 v0, v0, v2, s[8:9]
	v_lshlrev_b32_e32 v2, 24, v28
	v_lshlrev_b32_e32 v0, 20, v0
	v_and_b32_e32 v2, 0x80000000, v2
	v_lshl_add_u32 v1, v1, 23, v23
	v_or3_b32 v0, v2, v1, v0
.LBB393_254:                            ;   in Loop: Header=BB393_10 Depth=1
	s_or_b64 exec, exec, s[34:35]
.LBB393_255:                            ;   in Loop: Header=BB393_10 Depth=1
	s_or_b64 exec, exec, s[30:31]
.LBB393_256:                            ;   in Loop: Header=BB393_10 Depth=1
	s_or_b64 exec, exec, s[28:29]
	v_mul_f32_e32 v0, v51, v0
	v_and_b32_e32 v1, 0x7f800000, v0
	v_cmp_ne_u32_e64 s[8:9], s38, v1
                                        ; implicit-def: $vgpr35
	s_and_saveexec_b64 s[28:29], s[8:9]
	s_xor_b64 s[8:9], exec, s[28:29]
; %bb.257:                              ;   in Loop: Header=BB393_10 Depth=1
	v_bfe_u32 v1, v0, 16, 1
	v_add3_u32 v35, v0, v1, s39
                                        ; implicit-def: $vgpr0
; %bb.258:                              ;   in Loop: Header=BB393_10 Depth=1
	s_andn2_saveexec_b64 s[28:29], s[8:9]
; %bb.259:                              ;   in Loop: Header=BB393_10 Depth=1
	v_or_b32_e32 v1, 0x10000, v0
	v_cmp_eq_u32_sdwa s[8:9], v0, v14 src0_sel:WORD_0 src1_sel:DWORD
	v_cndmask_b32_e64 v35, v1, v0, s[8:9]
; %bb.260:                              ;   in Loop: Header=BB393_10 Depth=1
	s_or_b64 exec, exec, s[28:29]
	v_lshrrev_b16_e32 v30, 8, v28
	v_cmp_ne_u16_e64 s[8:9], 0, v30
	v_mov_b32_e32 v0, 0
	s_and_saveexec_b64 s[28:29], s[8:9]
	s_cbranch_execz .LBB393_266
; %bb.261:                              ;   in Loop: Header=BB393_10 Depth=1
	v_cmp_ne_u16_e64 s[8:9], s21, v30
	v_bfrev_b32_e32 v0, 1
	s_and_saveexec_b64 s[30:31], s[8:9]
	s_cbranch_execz .LBB393_265
; %bb.262:                              ;   in Loop: Header=BB393_10 Depth=1
	v_and_b32_e32 v1, 0x7f, v30
	v_cmp_ne_u32_e64 s[8:9], s37, v1
	v_mov_b32_e32 v0, 0x7f800001
	s_and_saveexec_b64 s[34:35], s[8:9]
	s_cbranch_execz .LBB393_264
; %bb.263:                              ;   in Loop: Header=BB393_10 Depth=1
	v_and_b32_e32 v0, 7, v30
	v_ffbh_u32_e32 v2, v0
	v_min_u32_e32 v7, 32, v2
	v_subrev_u32_e32 v2, 28, v7
	v_lshlrev_b64 v[2:3], v2, v[30:31]
	v_lshrrev_b32_e32 v6, 3, v1
	v_sub_u32_e32 v3, 29, v7
	v_and_b32_e32 v2, 7, v2
	v_cmp_gt_u32_e64 s[8:9], 8, v1
	v_cndmask_b32_e64 v1, v6, v3, s[8:9]
	v_cndmask_b32_e64 v0, v0, v2, s[8:9]
	v_lshlrev_b32_e32 v2, 16, v28
	v_lshlrev_b32_e32 v0, 20, v0
	v_and_b32_e32 v2, 0x80000000, v2
	v_lshl_add_u32 v1, v1, 23, v23
	v_or3_b32 v0, v2, v1, v0
.LBB393_264:                            ;   in Loop: Header=BB393_10 Depth=1
	s_or_b64 exec, exec, s[34:35]
.LBB393_265:                            ;   in Loop: Header=BB393_10 Depth=1
	s_or_b64 exec, exec, s[30:31]
.LBB393_266:                            ;   in Loop: Header=BB393_10 Depth=1
	s_or_b64 exec, exec, s[28:29]
	v_mul_f32_e32 v0, v51, v0
	v_and_b32_e32 v1, 0x7f800000, v0
	v_cmp_ne_u32_e64 s[8:9], s38, v1
                                        ; implicit-def: $vgpr6
	s_and_saveexec_b64 s[28:29], s[8:9]
	s_xor_b64 s[8:9], exec, s[28:29]
; %bb.267:                              ;   in Loop: Header=BB393_10 Depth=1
	v_bfe_u32 v1, v0, 16, 1
	v_add3_u32 v6, v0, v1, s39
                                        ; implicit-def: $vgpr0
; %bb.268:                              ;   in Loop: Header=BB393_10 Depth=1
	s_andn2_saveexec_b64 s[28:29], s[8:9]
; %bb.269:                              ;   in Loop: Header=BB393_10 Depth=1
	v_or_b32_e32 v1, 0x10000, v0
	v_cmp_eq_u32_sdwa s[8:9], v0, v14 src0_sel:WORD_0 src1_sel:DWORD
	v_cndmask_b32_e64 v6, v1, v0, s[8:9]
; %bb.270:                              ;   in Loop: Header=BB393_10 Depth=1
	s_or_b64 exec, exec, s[28:29]
	v_lshrrev_b32_e32 v30, 16, v28
	v_cmp_ne_u16_sdwa s[8:9], v30, v14 src0_sel:BYTE_0 src1_sel:DWORD
	v_mov_b32_e32 v0, 0
	s_and_saveexec_b64 s[28:29], s[8:9]
	s_cbranch_execz .LBB393_276
; %bb.271:                              ;   in Loop: Header=BB393_10 Depth=1
	v_cmp_ne_u16_sdwa s[8:9], v30, s21 src0_sel:BYTE_0 src1_sel:DWORD
	v_bfrev_b32_e32 v0, 1
	s_and_saveexec_b64 s[30:31], s[8:9]
	s_cbranch_execz .LBB393_275
; %bb.272:                              ;   in Loop: Header=BB393_10 Depth=1
	v_bfe_u32 v1, v28, 16, 7
	v_cmp_ne_u32_e64 s[8:9], s37, v1
	v_mov_b32_e32 v0, 0x7f800001
	s_and_saveexec_b64 s[34:35], s[8:9]
	s_cbranch_execz .LBB393_274
; %bb.273:                              ;   in Loop: Header=BB393_10 Depth=1
	v_and_b32_e32 v0, 7, v30
	v_ffbh_u32_e32 v2, v0
	v_min_u32_e32 v10, 32, v2
	v_subrev_u32_e32 v2, 28, v10
	v_lshlrev_b64 v[2:3], v2, v[30:31]
	v_lshrrev_b32_e32 v7, 3, v1
	v_sub_u32_e32 v3, 29, v10
	v_and_b32_e32 v2, 7, v2
	v_cmp_gt_u32_e64 s[8:9], 8, v1
	v_cndmask_b32_e64 v1, v7, v3, s[8:9]
	v_cndmask_b32_e64 v0, v0, v2, s[8:9]
	v_lshlrev_b32_e32 v2, 24, v30
	v_lshlrev_b32_e32 v0, 20, v0
	v_and_b32_e32 v2, 0x80000000, v2
	v_lshl_add_u32 v1, v1, 23, v23
	v_or3_b32 v0, v2, v1, v0
.LBB393_274:                            ;   in Loop: Header=BB393_10 Depth=1
	s_or_b64 exec, exec, s[34:35]
.LBB393_275:                            ;   in Loop: Header=BB393_10 Depth=1
	s_or_b64 exec, exec, s[30:31]
.LBB393_276:                            ;   in Loop: Header=BB393_10 Depth=1
	s_or_b64 exec, exec, s[28:29]
	v_mul_f32_e32 v0, v51, v0
	v_and_b32_e32 v1, 0x7f800000, v0
	v_cmp_ne_u32_e64 s[8:9], s38, v1
                                        ; implicit-def: $vgpr7
	s_and_saveexec_b64 s[28:29], s[8:9]
	s_xor_b64 s[8:9], exec, s[28:29]
; %bb.277:                              ;   in Loop: Header=BB393_10 Depth=1
	v_bfe_u32 v1, v0, 16, 1
	v_add3_u32 v7, v0, v1, s39
                                        ; implicit-def: $vgpr0
; %bb.278:                              ;   in Loop: Header=BB393_10 Depth=1
	s_andn2_saveexec_b64 s[28:29], s[8:9]
; %bb.279:                              ;   in Loop: Header=BB393_10 Depth=1
	v_or_b32_e32 v1, 0x10000, v0
	v_cmp_eq_u32_sdwa s[8:9], v0, v14 src0_sel:WORD_0 src1_sel:DWORD
	v_cndmask_b32_e64 v7, v1, v0, s[8:9]
; %bb.280:                              ;   in Loop: Header=BB393_10 Depth=1
	s_or_b64 exec, exec, s[28:29]
	v_cmp_lt_u32_e64 s[8:9], s40, v28
	v_mov_b32_e32 v0, 0
	s_and_saveexec_b64 s[28:29], s[8:9]
	s_cbranch_execz .LBB393_286
; %bb.281:                              ;   in Loop: Header=BB393_10 Depth=1
	v_lshrrev_b32_e32 v30, 24, v28
	v_cmp_ne_u32_e64 s[8:9], s21, v30
	v_bfrev_b32_e32 v0, 1
	s_and_saveexec_b64 s[30:31], s[8:9]
	s_cbranch_execz .LBB393_285
; %bb.282:                              ;   in Loop: Header=BB393_10 Depth=1
	v_bfe_u32 v1, v28, 24, 7
	v_cmp_ne_u32_e64 s[8:9], s37, v1
	v_mov_b32_e32 v0, 0x7f800001
	s_and_saveexec_b64 s[34:35], s[8:9]
	s_cbranch_execz .LBB393_284
; %bb.283:                              ;   in Loop: Header=BB393_10 Depth=1
	v_and_b32_e32 v0, 7, v30
	v_ffbh_u32_e32 v2, v0
	v_min_u32_e32 v12, 32, v2
	v_subrev_u32_e32 v2, 28, v12
	v_lshlrev_b64 v[2:3], v2, v[30:31]
	v_lshrrev_b32_e32 v10, 3, v1
	v_sub_u32_e32 v3, 29, v12
	v_and_b32_e32 v2, 7, v2
	v_cmp_gt_u32_e64 s[8:9], 8, v1
	v_cndmask_b32_e64 v1, v10, v3, s[8:9]
	v_cndmask_b32_e64 v0, v0, v2, s[8:9]
	v_lshlrev_b32_e32 v2, 24, v30
	v_lshlrev_b32_e32 v0, 20, v0
	v_and_b32_e32 v2, 0x80000000, v2
	v_lshl_add_u32 v1, v1, 23, v23
	v_or3_b32 v0, v2, v1, v0
.LBB393_284:                            ;   in Loop: Header=BB393_10 Depth=1
	s_or_b64 exec, exec, s[34:35]
.LBB393_285:                            ;   in Loop: Header=BB393_10 Depth=1
	s_or_b64 exec, exec, s[30:31]
.LBB393_286:                            ;   in Loop: Header=BB393_10 Depth=1
	s_or_b64 exec, exec, s[28:29]
	v_mul_f32_e32 v0, v51, v0
	v_and_b32_e32 v1, 0x7f800000, v0
	v_cmp_ne_u32_e64 s[8:9], s38, v1
                                        ; implicit-def: $vgpr36
	s_and_saveexec_b64 s[28:29], s[8:9]
	s_xor_b64 s[8:9], exec, s[28:29]
; %bb.287:                              ;   in Loop: Header=BB393_10 Depth=1
	v_bfe_u32 v1, v0, 16, 1
	v_add3_u32 v36, v0, v1, s39
                                        ; implicit-def: $vgpr0
; %bb.288:                              ;   in Loop: Header=BB393_10 Depth=1
	s_andn2_saveexec_b64 s[28:29], s[8:9]
; %bb.289:                              ;   in Loop: Header=BB393_10 Depth=1
	v_or_b32_e32 v1, 0x10000, v0
	v_cmp_eq_u32_sdwa s[8:9], v0, v14 src0_sel:WORD_0 src1_sel:DWORD
	v_cndmask_b32_e64 v36, v1, v0, s[8:9]
; %bb.290:                              ;   in Loop: Header=BB393_10 Depth=1
	s_or_b64 exec, exec, s[28:29]
	flat_load_dword v28, v[20:21] offset:1544
	v_mov_b32_e32 v0, 0
	s_waitcnt vmcnt(0) lgkmcnt(0)
	v_cmp_ne_u16_sdwa s[8:9], v28, v14 src0_sel:BYTE_0 src1_sel:DWORD
	s_and_saveexec_b64 s[28:29], s[8:9]
	s_cbranch_execz .LBB393_296
; %bb.291:                              ;   in Loop: Header=BB393_10 Depth=1
	v_cmp_ne_u16_sdwa s[8:9], v28, s21 src0_sel:BYTE_0 src1_sel:DWORD
	v_bfrev_b32_e32 v0, 1
	s_and_saveexec_b64 s[30:31], s[8:9]
	s_cbranch_execz .LBB393_295
; %bb.292:                              ;   in Loop: Header=BB393_10 Depth=1
	v_and_b32_e32 v1, 0x7f, v28
	v_cmp_ne_u32_e64 s[8:9], s37, v1
	v_mov_b32_e32 v0, 0x7f800001
	s_and_saveexec_b64 s[34:35], s[8:9]
	s_cbranch_execz .LBB393_294
; %bb.293:                              ;   in Loop: Header=BB393_10 Depth=1
	v_and_b32_e32 v0, 7, v28
	v_ffbh_u32_e32 v2, v0
	v_min_u32_e32 v12, 32, v2
	v_subrev_u32_e32 v2, 28, v12
	v_lshlrev_b64 v[2:3], v2, v[28:29]
	v_lshrrev_b32_e32 v10, 3, v1
	v_sub_u32_e32 v3, 29, v12
	v_and_b32_e32 v2, 7, v2
	v_cmp_gt_u32_e64 s[8:9], 8, v1
	v_cndmask_b32_e64 v1, v10, v3, s[8:9]
	v_cndmask_b32_e64 v0, v0, v2, s[8:9]
	v_lshlrev_b32_e32 v2, 24, v28
	v_lshlrev_b32_e32 v0, 20, v0
	v_and_b32_e32 v2, 0x80000000, v2
	v_lshl_add_u32 v1, v1, 23, v23
	v_or3_b32 v0, v2, v1, v0
.LBB393_294:                            ;   in Loop: Header=BB393_10 Depth=1
	s_or_b64 exec, exec, s[34:35]
.LBB393_295:                            ;   in Loop: Header=BB393_10 Depth=1
	s_or_b64 exec, exec, s[30:31]
.LBB393_296:                            ;   in Loop: Header=BB393_10 Depth=1
	s_or_b64 exec, exec, s[28:29]
	v_mul_f32_e32 v0, v51, v0
	v_and_b32_e32 v1, 0x7f800000, v0
	v_cmp_ne_u32_e64 s[8:9], s38, v1
                                        ; implicit-def: $vgpr22
	s_and_saveexec_b64 s[28:29], s[8:9]
	s_xor_b64 s[8:9], exec, s[28:29]
; %bb.297:                              ;   in Loop: Header=BB393_10 Depth=1
	v_bfe_u32 v1, v0, 16, 1
	v_add3_u32 v22, v0, v1, s39
                                        ; implicit-def: $vgpr0
; %bb.298:                              ;   in Loop: Header=BB393_10 Depth=1
	s_andn2_saveexec_b64 s[28:29], s[8:9]
; %bb.299:                              ;   in Loop: Header=BB393_10 Depth=1
	v_or_b32_e32 v1, 0x10000, v0
	v_cmp_eq_u32_sdwa s[8:9], v0, v14 src0_sel:WORD_0 src1_sel:DWORD
	v_cndmask_b32_e64 v22, v1, v0, s[8:9]
; %bb.300:                              ;   in Loop: Header=BB393_10 Depth=1
	s_or_b64 exec, exec, s[28:29]
	v_lshrrev_b16_e32 v30, 8, v28
	v_cmp_ne_u16_e64 s[8:9], 0, v30
	v_mov_b32_e32 v0, 0
	s_and_saveexec_b64 s[28:29], s[8:9]
	s_cbranch_execz .LBB393_306
; %bb.301:                              ;   in Loop: Header=BB393_10 Depth=1
	v_cmp_ne_u16_e64 s[8:9], s21, v30
	v_bfrev_b32_e32 v0, 1
	s_and_saveexec_b64 s[30:31], s[8:9]
	s_cbranch_execz .LBB393_305
; %bb.302:                              ;   in Loop: Header=BB393_10 Depth=1
	v_and_b32_e32 v1, 0x7f, v30
	v_cmp_ne_u32_e64 s[8:9], s37, v1
	v_mov_b32_e32 v0, 0x7f800001
	s_and_saveexec_b64 s[34:35], s[8:9]
	s_cbranch_execz .LBB393_304
; %bb.303:                              ;   in Loop: Header=BB393_10 Depth=1
	v_and_b32_e32 v0, 7, v30
	v_ffbh_u32_e32 v2, v0
	v_min_u32_e32 v12, 32, v2
	v_subrev_u32_e32 v2, 28, v12
	v_lshlrev_b64 v[2:3], v2, v[30:31]
	v_lshrrev_b32_e32 v10, 3, v1
	v_sub_u32_e32 v3, 29, v12
	v_and_b32_e32 v2, 7, v2
	v_cmp_gt_u32_e64 s[8:9], 8, v1
	v_cndmask_b32_e64 v1, v10, v3, s[8:9]
	v_cndmask_b32_e64 v0, v0, v2, s[8:9]
	v_lshlrev_b32_e32 v2, 16, v28
	v_lshlrev_b32_e32 v0, 20, v0
	v_and_b32_e32 v2, 0x80000000, v2
	v_lshl_add_u32 v1, v1, 23, v23
	v_or3_b32 v0, v2, v1, v0
.LBB393_304:                            ;   in Loop: Header=BB393_10 Depth=1
	s_or_b64 exec, exec, s[34:35]
.LBB393_305:                            ;   in Loop: Header=BB393_10 Depth=1
	s_or_b64 exec, exec, s[30:31]
.LBB393_306:                            ;   in Loop: Header=BB393_10 Depth=1
	s_or_b64 exec, exec, s[28:29]
	v_mul_f32_e32 v0, v51, v0
	v_and_b32_e32 v1, 0x7f800000, v0
	v_cmp_ne_u32_e64 s[8:9], s38, v1
                                        ; implicit-def: $vgpr34
	s_and_saveexec_b64 s[28:29], s[8:9]
	s_xor_b64 s[8:9], exec, s[28:29]
; %bb.307:                              ;   in Loop: Header=BB393_10 Depth=1
	v_bfe_u32 v1, v0, 16, 1
	v_add3_u32 v34, v0, v1, s39
                                        ; implicit-def: $vgpr0
; %bb.308:                              ;   in Loop: Header=BB393_10 Depth=1
	s_andn2_saveexec_b64 s[28:29], s[8:9]
; %bb.309:                              ;   in Loop: Header=BB393_10 Depth=1
	v_or_b32_e32 v1, 0x10000, v0
	v_cmp_eq_u32_sdwa s[8:9], v0, v14 src0_sel:WORD_0 src1_sel:DWORD
	v_cndmask_b32_e64 v34, v1, v0, s[8:9]
; %bb.310:                              ;   in Loop: Header=BB393_10 Depth=1
	s_or_b64 exec, exec, s[28:29]
	v_lshrrev_b32_e32 v30, 16, v28
	v_cmp_ne_u16_sdwa s[8:9], v30, v14 src0_sel:BYTE_0 src1_sel:DWORD
	v_mov_b32_e32 v0, 0
	s_and_saveexec_b64 s[28:29], s[8:9]
	s_cbranch_execz .LBB393_316
; %bb.311:                              ;   in Loop: Header=BB393_10 Depth=1
	v_cmp_ne_u16_sdwa s[8:9], v30, s21 src0_sel:BYTE_0 src1_sel:DWORD
	v_bfrev_b32_e32 v0, 1
	s_and_saveexec_b64 s[30:31], s[8:9]
	s_cbranch_execz .LBB393_315
; %bb.312:                              ;   in Loop: Header=BB393_10 Depth=1
	v_bfe_u32 v1, v28, 16, 7
	v_cmp_ne_u32_e64 s[8:9], s37, v1
	v_mov_b32_e32 v0, 0x7f800001
	s_and_saveexec_b64 s[34:35], s[8:9]
	s_cbranch_execz .LBB393_314
; %bb.313:                              ;   in Loop: Header=BB393_10 Depth=1
	v_and_b32_e32 v0, 7, v30
	v_ffbh_u32_e32 v2, v0
	v_min_u32_e32 v12, 32, v2
	v_subrev_u32_e32 v2, 28, v12
	v_lshlrev_b64 v[2:3], v2, v[30:31]
	v_lshrrev_b32_e32 v10, 3, v1
	v_sub_u32_e32 v3, 29, v12
	v_and_b32_e32 v2, 7, v2
	v_cmp_gt_u32_e64 s[8:9], 8, v1
	v_cndmask_b32_e64 v1, v10, v3, s[8:9]
	v_cndmask_b32_e64 v0, v0, v2, s[8:9]
	v_lshlrev_b32_e32 v2, 24, v30
	v_lshlrev_b32_e32 v0, 20, v0
	v_and_b32_e32 v2, 0x80000000, v2
	v_lshl_add_u32 v1, v1, 23, v23
	v_or3_b32 v0, v2, v1, v0
.LBB393_314:                            ;   in Loop: Header=BB393_10 Depth=1
	s_or_b64 exec, exec, s[34:35]
.LBB393_315:                            ;   in Loop: Header=BB393_10 Depth=1
	s_or_b64 exec, exec, s[30:31]
.LBB393_316:                            ;   in Loop: Header=BB393_10 Depth=1
	s_or_b64 exec, exec, s[28:29]
	v_mul_f32_e32 v0, v51, v0
	v_and_b32_e32 v1, 0x7f800000, v0
	v_cmp_ne_u32_e64 s[8:9], s38, v1
                                        ; implicit-def: $vgpr25
	s_and_saveexec_b64 s[28:29], s[8:9]
	s_xor_b64 s[8:9], exec, s[28:29]
; %bb.317:                              ;   in Loop: Header=BB393_10 Depth=1
	v_bfe_u32 v1, v0, 16, 1
	v_add3_u32 v25, v0, v1, s39
                                        ; implicit-def: $vgpr0
; %bb.318:                              ;   in Loop: Header=BB393_10 Depth=1
	s_andn2_saveexec_b64 s[28:29], s[8:9]
; %bb.319:                              ;   in Loop: Header=BB393_10 Depth=1
	v_or_b32_e32 v1, 0x10000, v0
	v_cmp_eq_u32_sdwa s[8:9], v0, v14 src0_sel:WORD_0 src1_sel:DWORD
	v_cndmask_b32_e64 v25, v1, v0, s[8:9]
; %bb.320:                              ;   in Loop: Header=BB393_10 Depth=1
	s_or_b64 exec, exec, s[28:29]
	v_cmp_lt_u32_e64 s[8:9], s40, v28
	v_mov_b32_e32 v0, 0
	s_and_saveexec_b64 s[28:29], s[8:9]
	s_cbranch_execz .LBB393_326
; %bb.321:                              ;   in Loop: Header=BB393_10 Depth=1
	v_lshrrev_b32_e32 v30, 24, v28
	v_cmp_ne_u32_e64 s[8:9], s21, v30
	v_bfrev_b32_e32 v0, 1
	s_and_saveexec_b64 s[30:31], s[8:9]
	s_cbranch_execz .LBB393_325
; %bb.322:                              ;   in Loop: Header=BB393_10 Depth=1
	v_bfe_u32 v1, v28, 24, 7
	v_cmp_ne_u32_e64 s[8:9], s37, v1
	v_mov_b32_e32 v0, 0x7f800001
	s_and_saveexec_b64 s[34:35], s[8:9]
	s_cbranch_execz .LBB393_324
; %bb.323:                              ;   in Loop: Header=BB393_10 Depth=1
	v_and_b32_e32 v0, 7, v30
	v_ffbh_u32_e32 v2, v0
	v_min_u32_e32 v28, 32, v2
	v_subrev_u32_e32 v2, 28, v28
	v_lshlrev_b64 v[2:3], v2, v[30:31]
	v_lshrrev_b32_e32 v10, 3, v1
	v_sub_u32_e32 v3, 29, v28
	v_and_b32_e32 v2, 7, v2
	v_cmp_gt_u32_e64 s[8:9], 8, v1
	v_cndmask_b32_e64 v1, v10, v3, s[8:9]
	v_cndmask_b32_e64 v0, v0, v2, s[8:9]
	v_lshlrev_b32_e32 v2, 24, v30
	v_lshlrev_b32_e32 v0, 20, v0
	v_and_b32_e32 v2, 0x80000000, v2
	v_lshl_add_u32 v1, v1, 23, v23
	v_or3_b32 v0, v2, v1, v0
.LBB393_324:                            ;   in Loop: Header=BB393_10 Depth=1
	s_or_b64 exec, exec, s[34:35]
.LBB393_325:                            ;   in Loop: Header=BB393_10 Depth=1
	s_or_b64 exec, exec, s[30:31]
.LBB393_326:                            ;   in Loop: Header=BB393_10 Depth=1
	s_or_b64 exec, exec, s[28:29]
	v_mul_f32_e32 v0, v51, v0
	v_and_b32_e32 v1, 0x7f800000, v0
	v_cmp_ne_u32_e64 s[8:9], s38, v1
                                        ; implicit-def: $vgpr10
	s_and_saveexec_b64 s[28:29], s[8:9]
	s_xor_b64 s[8:9], exec, s[28:29]
; %bb.327:                              ;   in Loop: Header=BB393_10 Depth=1
	v_bfe_u32 v1, v0, 16, 1
	v_add3_u32 v10, v0, v1, s39
                                        ; implicit-def: $vgpr0
; %bb.328:                              ;   in Loop: Header=BB393_10 Depth=1
	s_andn2_saveexec_b64 s[28:29], s[8:9]
; %bb.329:                              ;   in Loop: Header=BB393_10 Depth=1
	v_or_b32_e32 v1, 0x10000, v0
	v_cmp_eq_u32_sdwa s[8:9], v0, v14 src0_sel:WORD_0 src1_sel:DWORD
	v_cndmask_b32_e64 v10, v1, v0, s[8:9]
; %bb.330:                              ;   in Loop: Header=BB393_10 Depth=1
	s_or_b64 exec, exec, s[28:29]
	flat_load_dword v28, v[20:21] offset:2048
	v_mov_b32_e32 v0, 0
	s_waitcnt vmcnt(0) lgkmcnt(0)
	v_cmp_ne_u16_sdwa s[8:9], v28, v14 src0_sel:BYTE_0 src1_sel:DWORD
	s_and_saveexec_b64 s[28:29], s[8:9]
	s_cbranch_execz .LBB393_336
; %bb.331:                              ;   in Loop: Header=BB393_10 Depth=1
	v_cmp_ne_u16_sdwa s[8:9], v28, s21 src0_sel:BYTE_0 src1_sel:DWORD
	v_bfrev_b32_e32 v0, 1
	s_and_saveexec_b64 s[30:31], s[8:9]
	s_cbranch_execz .LBB393_335
; %bb.332:                              ;   in Loop: Header=BB393_10 Depth=1
	v_and_b32_e32 v1, 0x7f, v28
	v_cmp_ne_u32_e64 s[8:9], s37, v1
	v_mov_b32_e32 v0, 0x7f800001
	s_and_saveexec_b64 s[34:35], s[8:9]
	s_cbranch_execz .LBB393_334
; %bb.333:                              ;   in Loop: Header=BB393_10 Depth=1
	v_and_b32_e32 v0, 7, v28
	v_ffbh_u32_e32 v2, v0
	v_min_u32_e32 v30, 32, v2
	v_lshrrev_b32_e32 v29, 3, v1
	v_subrev_u32_e32 v2, 28, v30
	v_lshlrev_b64 v[2:3], v2, v[28:29]
	v_sub_u32_e32 v3, 29, v30
	v_and_b32_e32 v2, 7, v2
	v_cmp_gt_u32_e64 s[8:9], 8, v1
	v_cndmask_b32_e64 v1, v29, v3, s[8:9]
	v_cndmask_b32_e64 v0, v0, v2, s[8:9]
	v_lshlrev_b32_e32 v2, 24, v28
	v_lshlrev_b32_e32 v0, 20, v0
	v_and_b32_e32 v2, 0x80000000, v2
	v_lshl_add_u32 v1, v1, 23, v23
	v_or3_b32 v0, v2, v1, v0
.LBB393_334:                            ;   in Loop: Header=BB393_10 Depth=1
	s_or_b64 exec, exec, s[34:35]
.LBB393_335:                            ;   in Loop: Header=BB393_10 Depth=1
	s_or_b64 exec, exec, s[30:31]
.LBB393_336:                            ;   in Loop: Header=BB393_10 Depth=1
	s_or_b64 exec, exec, s[28:29]
	v_mul_f32_e32 v0, v51, v0
	v_and_b32_e32 v1, 0x7f800000, v0
	v_cmp_ne_u32_e64 s[8:9], s38, v1
                                        ; implicit-def: $vgpr1
	s_and_saveexec_b64 s[28:29], s[8:9]
	s_xor_b64 s[8:9], exec, s[28:29]
; %bb.337:                              ;   in Loop: Header=BB393_10 Depth=1
	v_bfe_u32 v1, v0, 16, 1
	v_add3_u32 v1, v0, v1, s39
                                        ; implicit-def: $vgpr0
; %bb.338:                              ;   in Loop: Header=BB393_10 Depth=1
	s_andn2_saveexec_b64 s[28:29], s[8:9]
; %bb.339:                              ;   in Loop: Header=BB393_10 Depth=1
	v_or_b32_e32 v1, 0x10000, v0
	v_cmp_eq_u32_sdwa s[8:9], v0, v14 src0_sel:WORD_0 src1_sel:DWORD
	v_cndmask_b32_e64 v1, v1, v0, s[8:9]
; %bb.340:                              ;   in Loop: Header=BB393_10 Depth=1
	s_or_b64 exec, exec, s[28:29]
	v_lshrrev_b16_e32 v30, 8, v28
	v_cmp_ne_u16_e64 s[8:9], 0, v30
	v_mov_b32_e32 v0, 0
	s_and_saveexec_b64 s[28:29], s[8:9]
	s_cbranch_execz .LBB393_346
; %bb.341:                              ;   in Loop: Header=BB393_10 Depth=1
	v_cmp_ne_u16_e64 s[8:9], s21, v30
	v_bfrev_b32_e32 v0, 1
	s_and_saveexec_b64 s[30:31], s[8:9]
	s_cbranch_execz .LBB393_345
; %bb.342:                              ;   in Loop: Header=BB393_10 Depth=1
	v_and_b32_e32 v2, 0x7f, v30
	v_cmp_ne_u32_e64 s[8:9], s37, v2
	v_mov_b32_e32 v0, 0x7f800001
	s_and_saveexec_b64 s[34:35], s[8:9]
	s_cbranch_execz .LBB393_344
; %bb.343:                              ;   in Loop: Header=BB393_10 Depth=1
	v_and_b32_e32 v0, 7, v30
	v_lshrrev_b32_e32 v29, 3, v2
	v_cmp_gt_u32_e64 s[8:9], 8, v2
	v_ffbh_u32_e32 v2, v0
	v_min_u32_e32 v31, 32, v2
	v_subrev_u32_e32 v2, 28, v31
	v_lshlrev_b64 v[2:3], v2, v[30:31]
	v_sub_u32_e32 v3, 29, v31
	v_and_b32_e32 v2, 7, v2
	v_cndmask_b32_e64 v3, v29, v3, s[8:9]
	v_cndmask_b32_e64 v0, v0, v2, s[8:9]
	v_lshlrev_b32_e32 v2, 16, v28
	v_lshlrev_b32_e32 v0, 20, v0
	v_and_b32_e32 v2, 0x80000000, v2
	v_lshl_add_u32 v3, v3, 23, v23
	v_or3_b32 v0, v2, v3, v0
.LBB393_344:                            ;   in Loop: Header=BB393_10 Depth=1
	s_or_b64 exec, exec, s[34:35]
.LBB393_345:                            ;   in Loop: Header=BB393_10 Depth=1
	s_or_b64 exec, exec, s[30:31]
.LBB393_346:                            ;   in Loop: Header=BB393_10 Depth=1
	s_or_b64 exec, exec, s[28:29]
	v_mul_f32_e32 v2, v51, v0
	v_and_b32_e32 v0, 0x7f800000, v2
	v_cmp_ne_u32_e64 s[8:9], s38, v0
                                        ; implicit-def: $vgpr0
	s_and_saveexec_b64 s[28:29], s[8:9]
	s_xor_b64 s[8:9], exec, s[28:29]
; %bb.347:                              ;   in Loop: Header=BB393_10 Depth=1
	v_bfe_u32 v0, v2, 16, 1
	v_add3_u32 v0, v2, v0, s39
                                        ; implicit-def: $vgpr2
; %bb.348:                              ;   in Loop: Header=BB393_10 Depth=1
	s_andn2_saveexec_b64 s[28:29], s[8:9]
; %bb.349:                              ;   in Loop: Header=BB393_10 Depth=1
	v_or_b32_e32 v0, 0x10000, v2
	v_cmp_eq_u32_sdwa s[8:9], v2, v14 src0_sel:WORD_0 src1_sel:DWORD
	v_cndmask_b32_e64 v0, v0, v2, s[8:9]
; %bb.350:                              ;   in Loop: Header=BB393_10 Depth=1
	s_or_b64 exec, exec, s[28:29]
	v_lshrrev_b32_e32 v30, 16, v28
	v_cmp_ne_u16_sdwa s[8:9], v30, v14 src0_sel:BYTE_0 src1_sel:DWORD
	v_mov_b32_e32 v2, 0
	s_and_saveexec_b64 s[28:29], s[8:9]
	s_cbranch_execz .LBB393_356
; %bb.351:                              ;   in Loop: Header=BB393_10 Depth=1
	v_cmp_ne_u16_sdwa s[8:9], v30, s21 src0_sel:BYTE_0 src1_sel:DWORD
	v_bfrev_b32_e32 v2, 1
	s_and_saveexec_b64 s[30:31], s[8:9]
	s_cbranch_execz .LBB393_355
; %bb.352:                              ;   in Loop: Header=BB393_10 Depth=1
	v_bfe_u32 v3, v28, 16, 7
	v_cmp_ne_u32_e64 s[8:9], s37, v3
	v_mov_b32_e32 v2, 0x7f800001
	s_and_saveexec_b64 s[34:35], s[8:9]
	s_cbranch_execz .LBB393_354
; %bb.353:                              ;   in Loop: Header=BB393_10 Depth=1
	v_and_b32_e32 v29, 7, v30
	v_ffbh_u32_e32 v2, v29
	v_min_u32_e32 v38, 32, v2
	v_lshrrev_b32_e32 v31, 3, v3
	v_subrev_u32_e32 v2, 28, v38
	v_cmp_gt_u32_e64 s[8:9], 8, v3
	v_lshlrev_b64 v[2:3], v2, v[30:31]
	v_sub_u32_e32 v3, 29, v38
	v_and_b32_e32 v2, 7, v2
	v_cndmask_b32_e64 v3, v31, v3, s[8:9]
	v_cndmask_b32_e64 v2, v29, v2, s[8:9]
	v_lshlrev_b32_e32 v29, 24, v30
	v_lshlrev_b32_e32 v2, 20, v2
	v_and_b32_e32 v29, 0x80000000, v29
	v_lshl_add_u32 v3, v3, 23, v23
	v_or3_b32 v2, v29, v3, v2
.LBB393_354:                            ;   in Loop: Header=BB393_10 Depth=1
	s_or_b64 exec, exec, s[34:35]
.LBB393_355:                            ;   in Loop: Header=BB393_10 Depth=1
	s_or_b64 exec, exec, s[30:31]
.LBB393_356:                            ;   in Loop: Header=BB393_10 Depth=1
	s_or_b64 exec, exec, s[28:29]
	v_mul_f32_e32 v2, v51, v2
	v_and_b32_e32 v3, 0x7f800000, v2
	v_cmp_ne_u32_e64 s[8:9], s38, v3
                                        ; implicit-def: $vgpr3
	s_and_saveexec_b64 s[28:29], s[8:9]
	s_xor_b64 s[8:9], exec, s[28:29]
; %bb.357:                              ;   in Loop: Header=BB393_10 Depth=1
	v_bfe_u32 v3, v2, 16, 1
	v_add3_u32 v3, v2, v3, s39
                                        ; implicit-def: $vgpr2
; %bb.358:                              ;   in Loop: Header=BB393_10 Depth=1
	s_andn2_saveexec_b64 s[28:29], s[8:9]
; %bb.359:                              ;   in Loop: Header=BB393_10 Depth=1
	v_or_b32_e32 v3, 0x10000, v2
	v_cmp_eq_u32_sdwa s[8:9], v2, v14 src0_sel:WORD_0 src1_sel:DWORD
	v_cndmask_b32_e64 v3, v3, v2, s[8:9]
; %bb.360:                              ;   in Loop: Header=BB393_10 Depth=1
	s_or_b64 exec, exec, s[28:29]
	v_cmp_lt_u32_e64 s[8:9], s40, v28
	v_mov_b32_e32 v2, 0
	s_and_saveexec_b64 s[28:29], s[8:9]
	s_cbranch_execz .LBB393_366
; %bb.361:                              ;   in Loop: Header=BB393_10 Depth=1
	v_lshrrev_b32_e32 v30, 24, v28
	v_cmp_ne_u32_e64 s[8:9], s21, v30
	v_bfrev_b32_e32 v2, 1
	s_and_saveexec_b64 s[30:31], s[8:9]
	s_cbranch_execz .LBB393_365
; %bb.362:                              ;   in Loop: Header=BB393_10 Depth=1
	v_bfe_u32 v28, v28, 24, 7
	v_cmp_ne_u32_e64 s[8:9], s37, v28
	v_mov_b32_e32 v2, 0x7f800001
	s_and_saveexec_b64 s[34:35], s[8:9]
	s_cbranch_execz .LBB393_364
; %bb.363:                              ;   in Loop: Header=BB393_10 Depth=1
	v_and_b32_e32 v2, 7, v30
	v_lshrrev_b32_e32 v31, 3, v28
	v_cmp_gt_u32_e64 s[8:9], 8, v28
	v_ffbh_u32_e32 v28, v2
	v_min_u32_e32 v38, 32, v28
	v_subrev_u32_e32 v28, 28, v38
	v_lshlrev_b64 v[28:29], v28, v[30:31]
	v_sub_u32_e32 v29, 29, v38
	v_and_b32_e32 v28, 7, v28
	v_cndmask_b32_e64 v29, v31, v29, s[8:9]
	v_cndmask_b32_e64 v2, v2, v28, s[8:9]
	v_lshlrev_b32_e32 v28, 24, v30
	v_lshlrev_b32_e32 v2, 20, v2
	v_and_b32_e32 v28, 0x80000000, v28
	v_lshl_add_u32 v29, v29, 23, v23
	v_or3_b32 v2, v28, v29, v2
.LBB393_364:                            ;   in Loop: Header=BB393_10 Depth=1
	s_or_b64 exec, exec, s[34:35]
.LBB393_365:                            ;   in Loop: Header=BB393_10 Depth=1
	s_or_b64 exec, exec, s[30:31]
.LBB393_366:                            ;   in Loop: Header=BB393_10 Depth=1
	s_or_b64 exec, exec, s[28:29]
	v_mul_f32_e32 v2, v51, v2
	v_and_b32_e32 v28, 0x7f800000, v2
	v_cmp_ne_u32_e64 s[8:9], s38, v28
                                        ; implicit-def: $vgpr30
	s_and_saveexec_b64 s[28:29], s[8:9]
	s_xor_b64 s[8:9], exec, s[28:29]
; %bb.367:                              ;   in Loop: Header=BB393_10 Depth=1
	v_bfe_u32 v28, v2, 16, 1
	v_add3_u32 v30, v2, v28, s39
                                        ; implicit-def: $vgpr2
; %bb.368:                              ;   in Loop: Header=BB393_10 Depth=1
	s_andn2_saveexec_b64 s[28:29], s[8:9]
; %bb.369:                              ;   in Loop: Header=BB393_10 Depth=1
	v_or_b32_e32 v28, 0x10000, v2
	v_cmp_eq_u32_sdwa s[8:9], v2, v14 src0_sel:WORD_0 src1_sel:DWORD
	v_cndmask_b32_e64 v30, v28, v2, s[8:9]
; %bb.370:                              ;   in Loop: Header=BB393_10 Depth=1
	s_or_b64 exec, exec, s[28:29]
	flat_load_dword v20, v[20:21] offset:2056
	v_mov_b32_e32 v2, 0
	s_waitcnt vmcnt(0) lgkmcnt(0)
	v_cmp_ne_u16_sdwa s[8:9], v20, v14 src0_sel:BYTE_0 src1_sel:DWORD
	s_and_saveexec_b64 s[28:29], s[8:9]
	s_cbranch_execz .LBB393_376
; %bb.371:                              ;   in Loop: Header=BB393_10 Depth=1
	v_cmp_ne_u16_sdwa s[8:9], v20, s21 src0_sel:BYTE_0 src1_sel:DWORD
	v_bfrev_b32_e32 v2, 1
	s_and_saveexec_b64 s[30:31], s[8:9]
	s_cbranch_execz .LBB393_375
; %bb.372:                              ;   in Loop: Header=BB393_10 Depth=1
	v_and_b32_e32 v21, 0x7f, v20
	v_cmp_ne_u32_e64 s[8:9], s37, v21
	v_mov_b32_e32 v2, 0x7f800001
	s_and_saveexec_b64 s[34:35], s[8:9]
	s_cbranch_execz .LBB393_374
; %bb.373:                              ;   in Loop: Header=BB393_10 Depth=1
	v_and_b32_e32 v2, 7, v20
	v_lshrrev_b32_e32 v31, 3, v21
	v_cmp_gt_u32_e64 s[8:9], 8, v21
	v_ffbh_u32_e32 v21, v2
	v_min_u32_e32 v21, 32, v21
	v_subrev_u32_e32 v28, 28, v21
	v_lshlrev_b64 v[28:29], v28, v[20:21]
	v_sub_u32_e32 v21, 29, v21
	v_and_b32_e32 v28, 7, v28
	v_cndmask_b32_e64 v21, v31, v21, s[8:9]
	v_cndmask_b32_e64 v2, v2, v28, s[8:9]
	v_lshlrev_b32_e32 v28, 24, v20
	v_lshlrev_b32_e32 v2, 20, v2
	v_and_b32_e32 v28, 0x80000000, v28
	v_lshl_add_u32 v21, v21, 23, v23
	v_or3_b32 v2, v28, v21, v2
.LBB393_374:                            ;   in Loop: Header=BB393_10 Depth=1
	s_or_b64 exec, exec, s[34:35]
.LBB393_375:                            ;   in Loop: Header=BB393_10 Depth=1
	s_or_b64 exec, exec, s[30:31]
.LBB393_376:                            ;   in Loop: Header=BB393_10 Depth=1
	s_or_b64 exec, exec, s[28:29]
	v_mul_f32_e32 v2, v51, v2
	v_and_b32_e32 v21, 0x7f800000, v2
	v_cmp_ne_u32_e64 s[8:9], s38, v21
                                        ; implicit-def: $vgpr21
	s_and_saveexec_b64 s[28:29], s[8:9]
	s_xor_b64 s[8:9], exec, s[28:29]
; %bb.377:                              ;   in Loop: Header=BB393_10 Depth=1
	v_bfe_u32 v21, v2, 16, 1
	v_add3_u32 v21, v2, v21, s39
                                        ; implicit-def: $vgpr2
; %bb.378:                              ;   in Loop: Header=BB393_10 Depth=1
	s_andn2_saveexec_b64 s[28:29], s[8:9]
; %bb.379:                              ;   in Loop: Header=BB393_10 Depth=1
	v_or_b32_e32 v21, 0x10000, v2
	v_cmp_eq_u32_sdwa s[8:9], v2, v14 src0_sel:WORD_0 src1_sel:DWORD
	v_cndmask_b32_e64 v21, v21, v2, s[8:9]
; %bb.380:                              ;   in Loop: Header=BB393_10 Depth=1
	s_or_b64 exec, exec, s[28:29]
	v_lshrrev_b16_e32 v28, 8, v20
	v_cmp_ne_u16_e64 s[8:9], 0, v28
	v_mov_b32_e32 v2, 0
	s_and_saveexec_b64 s[28:29], s[8:9]
	s_cbranch_execz .LBB393_386
; %bb.381:                              ;   in Loop: Header=BB393_10 Depth=1
	v_cmp_ne_u16_e64 s[8:9], s21, v28
	v_bfrev_b32_e32 v2, 1
	s_and_saveexec_b64 s[30:31], s[8:9]
	s_cbranch_execz .LBB393_385
; %bb.382:                              ;   in Loop: Header=BB393_10 Depth=1
	v_and_b32_e32 v29, 0x7f, v28
	v_cmp_ne_u32_e64 s[8:9], s37, v29
	v_mov_b32_e32 v2, 0x7f800001
	s_and_saveexec_b64 s[34:35], s[8:9]
	s_cbranch_execz .LBB393_384
; %bb.383:                              ;   in Loop: Header=BB393_10 Depth=1
	v_and_b32_e32 v2, 7, v28
	v_lshrrev_b32_e32 v31, 3, v29
	v_cmp_gt_u32_e64 s[8:9], 8, v29
	v_ffbh_u32_e32 v29, v2
	v_min_u32_e32 v38, 32, v29
	v_subrev_u32_e32 v29, 28, v38
	v_lshlrev_b64 v[28:29], v29, v[28:29]
	v_sub_u32_e32 v29, 29, v38
	v_and_b32_e32 v28, 7, v28
	v_cndmask_b32_e64 v29, v31, v29, s[8:9]
	v_cndmask_b32_e64 v2, v2, v28, s[8:9]
	v_lshlrev_b32_e32 v28, 16, v20
	v_lshlrev_b32_e32 v2, 20, v2
	v_and_b32_e32 v28, 0x80000000, v28
	v_lshl_add_u32 v29, v29, 23, v23
	v_or3_b32 v2, v28, v29, v2
.LBB393_384:                            ;   in Loop: Header=BB393_10 Depth=1
	s_or_b64 exec, exec, s[34:35]
.LBB393_385:                            ;   in Loop: Header=BB393_10 Depth=1
	s_or_b64 exec, exec, s[30:31]
.LBB393_386:                            ;   in Loop: Header=BB393_10 Depth=1
	s_or_b64 exec, exec, s[28:29]
	v_mul_f32_e32 v28, v51, v2
	v_and_b32_e32 v2, 0x7f800000, v28
	v_cmp_ne_u32_e64 s[8:9], s38, v2
                                        ; implicit-def: $vgpr2
	s_and_saveexec_b64 s[28:29], s[8:9]
	s_xor_b64 s[8:9], exec, s[28:29]
; %bb.387:                              ;   in Loop: Header=BB393_10 Depth=1
	v_bfe_u32 v2, v28, 16, 1
	v_add3_u32 v2, v28, v2, s39
                                        ; implicit-def: $vgpr28
; %bb.388:                              ;   in Loop: Header=BB393_10 Depth=1
	s_andn2_saveexec_b64 s[28:29], s[8:9]
; %bb.389:                              ;   in Loop: Header=BB393_10 Depth=1
	v_or_b32_e32 v2, 0x10000, v28
	v_cmp_eq_u32_sdwa s[8:9], v28, v14 src0_sel:WORD_0 src1_sel:DWORD
	v_cndmask_b32_e64 v2, v2, v28, s[8:9]
; %bb.390:                              ;   in Loop: Header=BB393_10 Depth=1
	s_or_b64 exec, exec, s[28:29]
	v_lshrrev_b32_e32 v28, 16, v20
	v_cmp_ne_u16_sdwa s[8:9], v28, v14 src0_sel:BYTE_0 src1_sel:DWORD
	v_mov_b32_e32 v29, 0
	s_and_saveexec_b64 s[28:29], s[8:9]
	s_cbranch_execz .LBB393_396
; %bb.391:                              ;   in Loop: Header=BB393_10 Depth=1
	v_cmp_ne_u16_sdwa s[8:9], v28, s21 src0_sel:BYTE_0 src1_sel:DWORD
	v_bfrev_b32_e32 v29, 1
	s_and_saveexec_b64 s[30:31], s[8:9]
	s_cbranch_execz .LBB393_395
; %bb.392:                              ;   in Loop: Header=BB393_10 Depth=1
	v_bfe_u32 v31, v20, 16, 7
	v_cmp_ne_u32_e64 s[8:9], s37, v31
	v_mov_b32_e32 v29, 0x7f800001
	s_and_saveexec_b64 s[34:35], s[8:9]
	s_cbranch_execz .LBB393_394
; %bb.393:                              ;   in Loop: Header=BB393_10 Depth=1
	v_and_b32_e32 v29, 7, v28
	v_lshrrev_b32_e32 v12, 3, v31
	v_cmp_gt_u32_e64 s[8:9], 8, v31
	v_ffbh_u32_e32 v31, v29
	v_min_u32_e32 v31, 32, v31
	v_subrev_u32_e32 v38, 28, v31
	v_lshlrev_b64 v[38:39], v38, v[28:29]
	v_sub_u32_e32 v31, 29, v31
	v_and_b32_e32 v38, 7, v38
	v_cndmask_b32_e64 v12, v12, v31, s[8:9]
	v_cndmask_b32_e64 v29, v29, v38, s[8:9]
	v_lshlrev_b32_e32 v28, 24, v28
	v_lshlrev_b32_e32 v29, 20, v29
	v_and_b32_e32 v28, 0x80000000, v28
	v_lshl_add_u32 v12, v12, 23, v23
	v_or3_b32 v29, v28, v12, v29
.LBB393_394:                            ;   in Loop: Header=BB393_10 Depth=1
	s_or_b64 exec, exec, s[34:35]
.LBB393_395:                            ;   in Loop: Header=BB393_10 Depth=1
	s_or_b64 exec, exec, s[30:31]
.LBB393_396:                            ;   in Loop: Header=BB393_10 Depth=1
	s_or_b64 exec, exec, s[28:29]
	v_mul_f32_e32 v28, v51, v29
	v_and_b32_e32 v12, 0x7f800000, v28
	v_cmp_ne_u32_e64 s[8:9], s38, v12
                                        ; implicit-def: $vgpr29
	s_and_saveexec_b64 s[28:29], s[8:9]
	s_xor_b64 s[8:9], exec, s[28:29]
; %bb.397:                              ;   in Loop: Header=BB393_10 Depth=1
	v_bfe_u32 v12, v28, 16, 1
	v_add3_u32 v29, v28, v12, s39
                                        ; implicit-def: $vgpr28
; %bb.398:                              ;   in Loop: Header=BB393_10 Depth=1
	s_andn2_saveexec_b64 s[28:29], s[8:9]
; %bb.399:                              ;   in Loop: Header=BB393_10 Depth=1
	v_or_b32_e32 v12, 0x10000, v28
	v_cmp_eq_u32_sdwa s[8:9], v28, v14 src0_sel:WORD_0 src1_sel:DWORD
	v_cndmask_b32_e64 v29, v12, v28, s[8:9]
; %bb.400:                              ;   in Loop: Header=BB393_10 Depth=1
	s_or_b64 exec, exec, s[28:29]
	v_cmp_lt_u32_e64 s[8:9], s40, v20
	v_mov_b32_e32 v31, 0
	s_and_saveexec_b64 s[28:29], s[8:9]
	s_cbranch_execz .LBB393_406
; %bb.401:                              ;   in Loop: Header=BB393_10 Depth=1
	v_lshrrev_b32_e32 v28, 24, v20
	v_cmp_ne_u32_e64 s[8:9], s21, v28
	v_bfrev_b32_e32 v31, 1
	s_and_saveexec_b64 s[30:31], s[8:9]
	s_cbranch_execz .LBB393_405
; %bb.402:                              ;   in Loop: Header=BB393_10 Depth=1
	v_bfe_u32 v20, v20, 24, 7
	v_cmp_ne_u32_e64 s[8:9], s37, v20
	v_mov_b32_e32 v31, 0x7f800001
	s_and_saveexec_b64 s[34:35], s[8:9]
	s_cbranch_execz .LBB393_404
; %bb.403:                              ;   in Loop: Header=BB393_10 Depth=1
	v_and_b32_e32 v12, 7, v28
	v_lshrrev_b32_e32 v31, 3, v20
	v_cmp_gt_u32_e64 s[8:9], 8, v20
	v_ffbh_u32_e32 v20, v12
	v_min_u32_e32 v20, 32, v20
	v_subrev_u32_e32 v38, 28, v20
	v_lshlrev_b64 v[38:39], v38, v[28:29]
	v_sub_u32_e32 v20, 29, v20
	v_and_b32_e32 v38, 7, v38
	v_cndmask_b32_e64 v20, v31, v20, s[8:9]
	v_cndmask_b32_e64 v12, v12, v38, s[8:9]
	v_lshlrev_b32_e32 v28, 24, v28
	v_lshlrev_b32_e32 v12, 20, v12
	v_and_b32_e32 v28, 0x80000000, v28
	v_lshl_add_u32 v20, v20, 23, v23
	v_or3_b32 v31, v28, v20, v12
.LBB393_404:                            ;   in Loop: Header=BB393_10 Depth=1
	s_or_b64 exec, exec, s[34:35]
.LBB393_405:                            ;   in Loop: Header=BB393_10 Depth=1
	s_or_b64 exec, exec, s[30:31]
.LBB393_406:                            ;   in Loop: Header=BB393_10 Depth=1
	s_or_b64 exec, exec, s[28:29]
	v_mul_f32_e32 v28, v51, v31
	v_and_b32_e32 v12, 0x7f800000, v28
	v_cmp_ne_u32_e64 s[8:9], s38, v12
                                        ; implicit-def: $vgpr20
	s_and_saveexec_b64 s[28:29], s[8:9]
	s_xor_b64 s[8:9], exec, s[28:29]
; %bb.407:                              ;   in Loop: Header=BB393_10 Depth=1
	v_bfe_u32 v12, v28, 16, 1
	v_add3_u32 v20, v28, v12, s39
                                        ; implicit-def: $vgpr28
; %bb.408:                              ;   in Loop: Header=BB393_10 Depth=1
	s_andn2_saveexec_b64 s[28:29], s[8:9]
; %bb.409:                              ;   in Loop: Header=BB393_10 Depth=1
	v_or_b32_e32 v12, 0x10000, v28
	v_cmp_eq_u32_sdwa s[8:9], v28, v14 src0_sel:WORD_0 src1_sel:DWORD
	v_cndmask_b32_e64 v20, v12, v28, s[8:9]
; %bb.410:                              ;   in Loop: Header=BB393_10 Depth=1
	s_or_b64 exec, exec, s[28:29]
	v_and_b32_e32 v12, 0xffff0000, v55
	v_accvgpr_read_b32 v31, a28
	v_and_b32_e32 v28, 0xffff0000, v50
	v_mul_f32_e32 v12, v31, v12
	v_accvgpr_read_b32 v31, a24
	v_fmac_f32_e32 v12, v31, v28
	v_and_b32_e32 v28, 0xffff0000, v40
	v_accvgpr_read_b32 v38, a29
	v_and_b32_e32 v31, 0xffff0000, v52
	v_mul_f32_e32 v28, v38, v28
	v_accvgpr_read_b32 v38, a25
	v_fmac_f32_e32 v28, v38, v31
	;; [unrolled: 6-line block ×4, first 2 shown]
	v_and_b32_e32 v39, 0xffff0000, v43
	v_accvgpr_read_b32 v50, a32
	v_fmac_f32_e32 v12, v50, v39
	v_and_b32_e32 v39, 0xffff0000, v44
	v_accvgpr_read_b32 v50, a33
	v_fmac_f32_e32 v28, v50, v39
	;; [unrolled: 3-line block ×15, first 2 shown]
	v_and_b32_e32 v4, 0xffff0000, v33
	v_accvgpr_read_b32 v5, a47
	v_and_b32_e32 v6, 0xffff0000, v6
	v_accvgpr_read_b32 v33, a49
	v_fmac_f32_e32 v38, v5, v4
	v_and_b32_e32 v4, 0xffff0000, v35
	v_accvgpr_read_b32 v5, a48
	v_and_b32_e32 v7, 0xffff0000, v7
	v_fmac_f32_e32 v28, v33, v6
	v_accvgpr_read_b32 v6, a50
	v_fmac_f32_e32 v12, v5, v4
	v_and_b32_e32 v5, 0xffff0000, v30
	v_and_b32_e32 v30, 0xffff0000, v36
	v_fmac_f32_e32 v31, v6, v7
	v_accvgpr_read_b32 v6, a51
	v_and_b32_e32 v22, 0xffff0000, v22
	v_fmac_f32_e32 v38, v6, v30
	v_accvgpr_read_b32 v6, a52
	v_and_b32_e32 v4, 0xffff0000, v21
	v_and_b32_e32 v21, 0xffff0000, v34
	v_fmac_f32_e32 v12, v6, v22
	v_accvgpr_read_b32 v6, a53
	v_and_b32_e32 v25, 0xffff0000, v25
	v_fmac_f32_e32 v28, v6, v21
	v_accvgpr_read_b32 v6, a54
	;; [unrolled: 3-line block ×6, first 2 shown]
	v_fmac_f32_e32 v31, v0, v3
	v_accvgpr_read_b32 v0, a59
	v_fmac_f32_e32 v38, v0, v5
	v_accvgpr_read_b32 v0, a60
	v_and_b32_e32 v2, 0xffff0000, v2
	v_fmac_f32_e32 v12, v0, v4
	v_accvgpr_read_b32 v0, a61
	v_and_b32_e32 v29, 0xffff0000, v29
	;; [unrolled: 3-line block ×3, first 2 shown]
	v_fmac_f32_e32 v31, v0, v29
	v_accvgpr_read_b32 v0, a63
	v_fmac_f32_e32 v38, v0, v20
	v_add_f32_e32 v0, v12, v28
	v_add_f32_e32 v0, v0, v31
	;; [unrolled: 1-line block ×3, first 2 shown]
	v_accvgpr_read_b32 v1, a16
	ds_bpermute_b32 v1, v1, v0
	s_and_saveexec_b64 s[28:29], vcc
	s_cbranch_execz .LBB393_9
; %bb.411:                              ;   in Loop: Header=BB393_10 Depth=1
	v_accvgpr_read_b32 v2, a19
	v_add_u32_e32 v2, v2, v48
	v_cvt_f32_i32_e32 v2, v2
	s_load_dword s8, s[24:25], 0x0
	s_waitcnt lgkmcnt(0)
	v_add_f32_e32 v0, v0, v1
	v_mov_b32_e32 v1, v11
	v_mul_f32_e32 v1, v1, v2
	v_cndmask_b32_e64 v1, 0, v1, s[6:7]
	v_accvgpr_read_b32 v3, a21
	v_add_u32_e32 v2, s8, v15
	v_fmac_f32_e32 v1, v0, v3
	v_cmp_lt_i32_e64 s[8:9], v48, v32
	v_cndmask_b32_e64 v0, 0, v1, s[8:9]
	ds_write_b32 v2, v0
	v_max_f32_e32 v0, v24, v24
	v_max_f32_e32 v0, v0, v1
	v_cndmask_b32_e64 v24, v24, v0, s[8:9]
	s_branch .LBB393_9
.LBB393_412:
	s_or_b64 exec, exec, s[26:27]
	buffer_load_dword v37, off, s[0:3], s32 offset:188 ; 4-byte Folded Reload
	buffer_load_dword v48, off, s[0:3], s32 offset:192 ; 4-byte Folded Reload
	;; [unrolled: 1-line block ×3, first 2 shown]
	v_accvgpr_read_b32 v27, a9
	v_accvgpr_read_b32 v28, a2
	v_accvgpr_read_b32 v15, a5
	v_accvgpr_read_b32 v14, a6
	v_accvgpr_read_b32 v26, a8
	v_accvgpr_read_b32 v33, a7
	v_accvgpr_read_b32 v30, a10
	v_accvgpr_read_b32 v34, a11
	v_accvgpr_read_b32 v35, a12
	v_accvgpr_read_b32 v36, a13
	v_accvgpr_read_b32 v31, a14
	v_accvgpr_read_b32 v38, a15
	v_accvgpr_read_b32 v10, a23
.LBB393_413:
	s_or_b64 exec, exec, s[10:11]
	v_xor_b32_e32 v0, 32, v13
	v_cmp_lt_i32_e32 vcc, v0, v10
	v_cndmask_b32_e32 v0, v13, v0, vcc
	v_lshlrev_b32_e32 v2, 2, v0
	ds_bpermute_b32 v0, v2, v24
	v_xor_b32_e32 v3, 16, v13
	s_waitcnt lgkmcnt(0)
	v_max_f32_e32 v1, v24, v24
	v_cmp_lt_i32_e32 vcc, v3, v10
	v_xor_b32_e32 v4, 8, v13
	v_max_f32_e32 v0, v0, v0
	v_max_f32_e32 v0, v1, v0
	v_cndmask_b32_e32 v1, v13, v3, vcc
	v_lshlrev_b32_e32 v3, 2, v1
	ds_bpermute_b32 v1, v3, v0
	v_cmp_lt_i32_e32 vcc, v4, v10
	v_xor_b32_e32 v5, 4, v13
	v_xor_b32_e32 v6, 2, v13
	v_and_b32_e32 v21, 63, v28
	s_waitcnt lgkmcnt(0)
	v_max_f32_e32 v1, v1, v1
	v_max_f32_e32 v0, v0, v1
	v_cndmask_b32_e32 v1, v13, v4, vcc
	v_lshlrev_b32_e32 v4, 2, v1
	ds_bpermute_b32 v1, v4, v0
	v_cmp_lt_i32_e32 vcc, v5, v10
	s_lshr_b32 s23, s23, 16
	s_waitcnt lgkmcnt(0)
	v_max_f32_e32 v1, v1, v1
	v_max_f32_e32 v0, v0, v1
	v_cndmask_b32_e32 v1, v13, v5, vcc
	v_lshlrev_b32_e32 v5, 2, v1
	ds_bpermute_b32 v1, v5, v0
	v_cmp_lt_i32_e32 vcc, v6, v10
	s_waitcnt lgkmcnt(0)
	v_max_f32_e32 v1, v1, v1
	v_max_f32_e32 v0, v0, v1
	v_cndmask_b32_e32 v1, v13, v6, vcc
	v_lshlrev_b32_e32 v22, 2, v1
	ds_bpermute_b32 v1, v22, v0
	v_cmp_eq_u32_e32 vcc, 0, v21
	v_lshlrev_b32_e32 v6, 2, v38
	s_and_saveexec_b64 s[6:7], vcc
	s_cbranch_execz .LBB393_415
; %bb.414:
	s_waitcnt lgkmcnt(0)
	v_max_f32_e32 v1, v1, v1
	v_max_f32_e32 v0, v0, v0
	;; [unrolled: 1-line block ×3, first 2 shown]
	ds_write_b32 v6, v0 offset:160
.LBB393_415:
	s_or_b64 exec, exec, s[6:7]
	v_cmp_gt_u32_e64 s[6:7], 2, v21
	v_mov_b32_e32 v0, 0xff7fffff
	v_lshlrev_b32_e32 v7, 2, v21
	s_waitcnt lgkmcnt(0)
	s_barrier
	s_and_saveexec_b64 s[8:9], s[6:7]
	s_cbranch_execz .LBB393_417
; %bb.416:
	ds_read_b32 v0, v7 offset:160
.LBB393_417:
	s_or_b64 exec, exec, s[8:9]
	v_xor_b32_e32 v1, 1, v13
	v_cmp_lt_i32_e64 s[8:9], v1, v10
	v_cndmask_b32_e64 v1, v13, v1, s[8:9]
	v_lshlrev_b32_e32 v23, 2, v1
	s_waitcnt lgkmcnt(0)
	ds_bpermute_b32 v1, v23, v0
	v_accvgpr_read_b32 v8, a3
	v_max_f32_e32 v0, v0, v0
	v_subrev_u32_e32 v8, s15, v8
	v_lshl_add_u32 v9, v8, 5, s36
	s_waitcnt lgkmcnt(0)
	v_max_f32_e32 v1, v1, v1
	v_max_f32_e32 v0, v0, v1
	v_lshlrev_b32_e32 v1, 2, v13
	v_and_b32_e32 v8, 0xffffff00, v1
	ds_bpermute_b32 v0, v8, v0
	v_min_i32_e32 v9, v9, v32
	v_subrev_u32_e32 v1, s36, v9
	v_cmp_lt_i32_e64 s[8:9], v28, v1
	v_mov_b32_e32 v10, 0
	s_and_saveexec_b64 s[24:25], s[8:9]
	s_cbranch_execz .LBB393_421
; %bb.418:
	s_ashr_i32 s21, s20, 31
	s_lshl_b64 s[10:11], s[20:21], 2
	s_getpc_b64 s[26:27]
	s_add_u32 s26, s26, llvm.amdgcn.dynlds.offset.table@rel32@lo+4
	s_addc_u32 s27, s27, llvm.amdgcn.dynlds.offset.table@rel32@hi+12
	s_add_u32 s10, s10, s26
	s_addc_u32 s11, s11, s27
	s_load_dword s10, s[10:11], 0x0
	s_mov_b64 s[26:27], 0
	v_mov_b32_e32 v10, 0
	v_mov_b32_e32 v12, v28
	s_waitcnt lgkmcnt(0)
	v_lshl_add_u32 v18, v28, 2, s10
.LBB393_419:                            ; =>This Inner Loop Header: Depth=1
	ds_read_b32 v13, v18
	v_add_u32_e32 v12, 0x80, v12
	v_cmp_ge_i32_e64 s[10:11], v12, v1
	s_or_b64 s[26:27], s[10:11], s[26:27]
	s_waitcnt lgkmcnt(0)
	v_sub_f32_e32 v13, v13, v0
	v_mul_f32_e32 v13, 0x3fb8aa3b, v13
	v_exp_f32_e32 v13, v13
	ds_write_b32 v18, v13
	v_add_f32_e32 v10, v10, v13
	v_add_u32_e32 v18, 0x200, v18
	s_andn2_b64 exec, exec, s[26:27]
	s_cbranch_execnz .LBB393_419
; %bb.420:
	s_or_b64 exec, exec, s[26:27]
.LBB393_421:
	s_or_b64 exec, exec, s[24:25]
	ds_bpermute_b32 v2, v2, v10
	s_waitcnt lgkmcnt(0)
	v_add_f32_e32 v2, v10, v2
	ds_bpermute_b32 v3, v3, v2
	s_waitcnt lgkmcnt(0)
	v_add_f32_e32 v2, v2, v3
	;; [unrolled: 3-line block ×6, first 2 shown]
	s_and_saveexec_b64 s[10:11], vcc
	s_cbranch_execz .LBB393_423
; %bb.422:
	ds_write_b32 v6, v2 offset:168
.LBB393_423:
	s_or_b64 exec, exec, s[10:11]
	s_waitcnt lgkmcnt(0)
	s_barrier
	s_and_saveexec_b64 s[10:11], s[6:7]
	s_cbranch_execz .LBB393_425
; %bb.424:
	ds_read_b32 v2, v7 offset:168
.LBB393_425:
	s_or_b64 exec, exec, s[10:11]
	s_waitcnt lgkmcnt(0)
	ds_bpermute_b32 v3, v23, v2
	s_waitcnt lgkmcnt(0)
	v_add_f32_e32 v2, v2, v3
	ds_bpermute_b32 v2, v8, v2
	s_and_saveexec_b64 s[6:7], s[8:9]
	s_cbranch_execz .LBB393_438
; %bb.426:
	s_waitcnt lgkmcnt(0)
	v_add_f32_e32 v3, 0x358637bd, v2
	v_div_scale_f32 v4, s[8:9], v3, v3, 1.0
	v_rcp_f32_e32 v5, v4
	v_div_scale_f32 v6, vcc, 1.0, v3, 1.0
	s_movk_i32 s8, 0x7f
	v_fma_f32 v7, -v4, v5, 1.0
	v_fmac_f32_e32 v5, v7, v5
	v_mul_f32_e32 v7, v6, v5
	v_fma_f32 v8, -v4, v7, v6
	v_fmac_f32_e32 v7, v8, v5
	v_fma_f32 v4, -v4, v7, v6
	v_div_fmas_f32 v4, v4, v5, v7
	v_div_fixup_f32 v8, v4, v3, 1.0
	v_xad_u32 v3, v28, -1, v9
	v_subrev_u32_e32 v4, s36, v3
	v_cmp_lt_u32_e32 vcc, s8, v4
	s_mov_b64 s[10:11], -1
	v_mov_b32_e32 v3, v28
	s_and_saveexec_b64 s[8:9], vcc
	s_cbranch_execz .LBB393_435
; %bb.427:
	v_lshrrev_b32_e32 v3, 7, v4
	v_add_u32_e32 v5, -1, v3
	v_lshrrev_b32_e32 v4, 1, v5
	v_mov_b32_e32 v9, v8
	v_add_u32_e32 v4, 1, v4
	v_cmp_lt_u32_e32 vcc, 13, v5
	v_mov_b32_e32 v7, 0
	s_and_saveexec_b64 s[10:11], vcc
	s_cbranch_execz .LBB393_431
; %bb.428:
	s_ashr_i32 s21, s20, 31
	s_lshl_b64 s[24:25], s[20:21], 2
	s_getpc_b64 s[26:27]
	s_add_u32 s26, s26, llvm.amdgcn.dynlds.offset.table@rel32@lo+4
	s_addc_u32 s27, s27, llvm.amdgcn.dynlds.offset.table@rel32@hi+12
	s_add_u32 s24, s24, s26
	s_addc_u32 s25, s25, s27
	s_load_dword s21, s[24:25], 0x0
	v_and_b32_e32 v5, -8, v4
	s_mov_b32 s15, 0
	v_mov_b32_e32 v20, v28
	s_mov_b64 s[24:25], 0
	s_waitcnt lgkmcnt(0)
	v_lshl_add_u32 v6, v28, 2, s21
.LBB393_429:                            ; =>This Inner Loop Header: Depth=1
	s_waitcnt vmcnt(0)
	ds_read2st64_b32 v[10:11], v6 offset1:2
	ds_read2st64_b32 v[12:13], v6 offset0:4 offset1:6
	ds_read2st64_b32 v[24:25], v6 offset0:8 offset1:10
	;; [unrolled: 1-line block ×3, first 2 shown]
	v_add_u32_e32 v5, -8, v5
	s_waitcnt lgkmcnt(3)
	v_pk_mul_f32 v[10:11], v[8:9], v[10:11]
	s_waitcnt lgkmcnt(2)
	v_pk_mul_f32 v[12:13], v[8:9], v[12:13]
	ds_write2st64_b32 v6, v10, v11 offset1:2
	ds_write2st64_b32 v6, v12, v13 offset0:4 offset1:6
	ds_read2st64_b32 v[12:13], v6 offset0:16 offset1:18
	s_waitcnt lgkmcnt(4)
	v_pk_mul_f32 v[10:11], v[8:9], v[24:25]
	ds_write2st64_b32 v6, v10, v11 offset0:8 offset1:10
	s_waitcnt lgkmcnt(4)
	v_pk_mul_f32 v[10:11], v[8:9], v[18:19]
	ds_write2st64_b32 v6, v10, v11 offset0:12 offset1:14
	ds_read2st64_b32 v[10:11], v6 offset0:20 offset1:22
	s_waitcnt lgkmcnt(3)
	v_pk_mul_f32 v[12:13], v[8:9], v[12:13]
	ds_read2st64_b32 v[18:19], v6 offset0:24 offset1:26
	ds_write2st64_b32 v6, v12, v13 offset0:16 offset1:18
	ds_read2st64_b32 v[12:13], v6 offset0:28 offset1:30
	s_waitcnt lgkmcnt(3)
	v_pk_mul_f32 v[10:11], v[8:9], v[10:11]
	ds_write2st64_b32 v6, v10, v11 offset0:20 offset1:22
	s_waitcnt lgkmcnt(3)
	v_pk_mul_f32 v[10:11], v[8:9], v[18:19]
	ds_write2st64_b32 v6, v10, v11 offset0:24 offset1:26
	s_waitcnt lgkmcnt(2)
	v_pk_mul_f32 v[10:11], v[8:9], v[12:13]
	s_add_i32 s15, s15, 16
	v_cmp_eq_u32_e32 vcc, 0, v5
	ds_write2st64_b32 v6, v10, v11 offset0:28 offset1:30
	v_add_u32_e32 v6, 0x2000, v6
	s_or_b64 s[24:25], vcc, s[24:25]
	v_mov_b32_e32 v7, s15
	s_andn2_b64 exec, exec, s[24:25]
	s_cbranch_execnz .LBB393_429
; %bb.430:
	s_or_b64 exec, exec, s[24:25]
	v_mov_b32_e32 v28, v20
.LBB393_431:
	s_or_b64 exec, exec, s[10:11]
	v_and_b32_e32 v4, 7, v4
	v_cmp_ne_u32_e32 vcc, 0, v4
	s_and_saveexec_b64 s[10:11], vcc
	s_cbranch_execz .LBB393_434
; %bb.432:
	s_ashr_i32 s21, s20, 31
	s_lshl_b64 s[24:25], s[20:21], 2
	s_getpc_b64 s[26:27]
	s_add_u32 s26, s26, llvm.amdgcn.dynlds.offset.table@rel32@lo+4
	s_addc_u32 s27, s27, llvm.amdgcn.dynlds.offset.table@rel32@hi+12
	s_add_u32 s24, s24, s26
	s_addc_u32 s25, s25, s27
	s_load_dword s15, s[24:25], 0x0
	v_lshlrev_b32_e32 v5, 9, v7
	v_lshlrev_b32_e32 v6, 2, v28
	s_mov_b64 s[24:25], 0
	s_waitcnt lgkmcnt(0)
	v_add3_u32 v5, v5, v6, s15
.LBB393_433:                            ; =>This Inner Loop Header: Depth=1
	ds_read2st64_b32 v[6:7], v5 offset1:2
	v_add_u32_e32 v4, -1, v4
	v_cmp_eq_u32_e32 vcc, 0, v4
	s_or_b64 s[24:25], vcc, s[24:25]
	s_waitcnt lgkmcnt(0)
	v_pk_mul_f32 v[6:7], v[8:9], v[6:7]
	ds_write2st64_b32 v5, v6, v7 offset1:2
	v_add_u32_e32 v5, 0x400, v5
	s_andn2_b64 exec, exec, s[24:25]
	s_cbranch_execnz .LBB393_433
.LBB393_434:
	s_or_b64 exec, exec, s[10:11]
	v_add_u32_e32 v4, 1, v3
	v_and_b32_e32 v5, 0x3fffffe, v4
	v_cmp_ne_u32_e32 vcc, v4, v5
	v_lshl_add_u32 v3, v5, 7, v28
	s_orn2_b64 s[10:11], vcc, exec
.LBB393_435:
	s_or_b64 exec, exec, s[8:9]
	s_and_b64 exec, exec, s[10:11]
	s_cbranch_execz .LBB393_438
; %bb.436:
	s_ashr_i32 s21, s20, 31
	s_lshl_b64 s[8:9], s[20:21], 2
	s_getpc_b64 s[10:11]
	s_add_u32 s10, s10, llvm.amdgcn.dynlds.offset.table@rel32@lo+4
	s_addc_u32 s11, s11, llvm.amdgcn.dynlds.offset.table@rel32@hi+12
	s_add_u32 s8, s8, s10
	s_addc_u32 s9, s9, s11
	s_load_dword s8, s[8:9], 0x0
	s_waitcnt lgkmcnt(0)
	v_lshl_add_u32 v4, v3, 2, s8
	s_mov_b64 s[8:9], 0
.LBB393_437:                            ; =>This Inner Loop Header: Depth=1
	ds_read_b32 v5, v4
	v_add_u32_e32 v3, 0x80, v3
	v_cmp_ge_i32_e32 vcc, v3, v1
	s_or_b64 s[8:9], vcc, s[8:9]
	s_waitcnt lgkmcnt(0)
	v_mul_f32_e32 v5, v8, v5
	ds_write_b32 v4, v5
	v_add_u32_e32 v4, 0x200, v4
	s_andn2_b64 exec, exec, s[8:9]
	s_cbranch_execnz .LBB393_437
.LBB393_438:
	s_or_b64 exec, exec, s[6:7]
	v_cmp_ne_u16_e64 s[6:7], s23, 0
	s_cmp_lg_u64 s[6:7], 0
	s_addc_u32 s23, s13, 0
	v_cmp_eq_u32_e32 vcc, 0, v28
	s_waitcnt lgkmcnt(0)
	s_barrier
	s_and_saveexec_b64 s[6:7], vcc
	s_cbranch_execz .LBB393_440
; %bb.439:
	s_mul_i32 s8, s23, s18
	s_mul_i32 s8, s8, s19
	;; [unrolled: 1-line block ×3, first 2 shown]
	s_ashr_i32 s9, s8, 31
	s_ashr_i32 s11, s10, 31
	;; [unrolled: 1-line block ×3, first 2 shown]
	s_lshl_b64 s[8:9], s[8:9], 2
	s_lshl_b64 s[10:11], s[10:11], 2
	;; [unrolled: 1-line block ×3, first 2 shown]
	s_add_u32 s10, s12, s10
	s_addc_u32 s11, s13, s11
	s_add_u32 s8, s10, s8
	s_addc_u32 s9, s11, s9
	v_mov_b32_e32 v1, s9
	v_add_co_u32_e32 v4, vcc, s8, v36
	v_addc_co_u32_e32 v5, vcc, v1, v35, vcc
	flat_store_dword v[4:5], v0
	v_add_co_u32_e32 v0, vcc, s8, v34
	v_addc_co_u32_e32 v1, vcc, v1, v30, vcc
	flat_store_dword v[0:1], v2
.LBB393_440:
	s_or_b64 exec, exec, s[6:7]
	v_mov_b32_e32 v30, 0
	v_and_b32_e32 v20, 3, v28
	v_mov_b32_e32 v13, 0
	v_mov_b32_e32 v12, 0
	v_mov_b32_e32 v19, 0
	v_mov_b32_e32 v18, 0
	s_and_saveexec_b64 s[6:7], s[4:5]
	s_cbranch_execz .LBB393_1046
; %bb.441:
	flat_load_dword v26, v[26:27]
	v_accvgpr_read_b32 v0, a17
	v_add_co_u32_e32 v0, vcc, v33, v0
	v_accvgpr_read_b32 v1, a20
	s_waitcnt vmcnt(0)
	v_accvgpr_read_b32 v11, a22
	v_add_u32_e32 v3, -1, v37
	s_ashr_i32 s21, s20, 31
	v_addc_co_u32_e32 v1, vcc, v11, v1, vcc
	v_accvgpr_write_b32 a9, v3
	v_and_b32_e32 v3, 0x1f8, v31
	s_lshl_b64 s[4:5], s[20:21], 2
	v_add_co_u32_e32 v0, vcc, v0, v3
	s_getpc_b64 s[8:9]
	s_add_u32 s8, s8, llvm.amdgcn.dynlds.offset.table@rel32@lo+4
	s_addc_u32 s9, s9, llvm.amdgcn.dynlds.offset.table@rel32@hi+12
	v_addc_co_u32_e32 v1, vcc, 0, v1, vcc
	s_add_u32 s4, s4, s8
	v_accvgpr_write_b32 a11, v1
	s_addc_u32 s5, s5, s9
	v_accvgpr_write_b32 a10, v0
	v_lshlrev_b64 v[0:1], 2, v[16:17]
	s_load_dword s4, s[4:5], 0x0
	v_add_co_u32_e32 v0, vcc, v48, v0
	v_addc_co_u32_e32 v1, vcc, v49, v1, vcc
	v_and_b32_e32 v2, 24, v31
	v_add_co_u32_e32 v14, vcc, v14, v0
	v_lshl_add_u32 v0, v38, 5, s36
	v_add3_u32 v17, v0, v2, 7
	v_lshlrev_b32_e32 v0, 5, v20
	s_mov_b32 s8, -1
	v_lshl_or_b32 v0, v38, 7, v0
	v_accvgpr_write_b32 a7, v23
	v_accvgpr_write_b32 a6, v22
	;; [unrolled: 1-line block ×4, first 2 shown]
	s_mov_b32 s9, 0xffffff
	v_mov_b32_e32 v11, 0
	v_addc_co_u32_e32 v15, vcc, v15, v1, vcc
	v_accvgpr_write_b32 a8, v20
	s_waitcnt lgkmcnt(0)
	v_add_u32_e32 v33, s4, v0
	s_mov_b64 s[10:11], 0
	s_mov_b32 s15, 0x7f800000
	s_movk_i32 s21, 0x7fff
	s_movk_i32 s28, 0x80
	;; [unrolled: 1-line block ×3, first 2 shown]
	v_bfrev_b32_e32 v35, 60
	v_mov_b32_e32 v18, 0
	v_mov_b32_e32 v19, 0
	;; [unrolled: 1-line block ×5, first 2 shown]
	s_branch .LBB393_443
.LBB393_442:                            ;   in Loop: Header=BB393_443 Depth=1
	s_or_b64 exec, exec, s[4:5]
	v_accvgpr_read_b32 v7, a15
	v_and_b32_e32 v53, 0xffff0000, v7
	v_accvgpr_read_b32 v7, a13
	v_and_b32_e32 v52, 0xffff0000, v7
	;; [unrolled: 2-line block ×4, first 2 shown]
	v_and_b32_e32 v54, 0xffff0000, v7
	v_and_b32_e32 v8, 0xffff0000, v37
	;; [unrolled: 1-line block ×4, first 2 shown]
	v_pk_add_f32 v[52:53], v[54:55], v[52:53]
	v_pk_add_f32 v[8:9], v[36:37], v[8:9]
	v_add_f32_e32 v7, v52, v53
	v_add_f32_e32 v7, v7, v8
	v_and_b32_e32 v53, 0xffff0000, v31
	v_and_b32_e32 v52, 0xffff0000, v27
	;; [unrolled: 1-line block ×4, first 2 shown]
	v_add_f32_e32 v7, v7, v9
	v_and_b32_e32 v9, 0xffff0000, v58
	v_and_b32_e32 v8, 0xffff0000, v56
	;; [unrolled: 1-line block ×4, first 2 shown]
	v_pk_add_f32 v[52:53], v[54:55], v[52:53]
	v_pk_add_f32 v[8:9], v[36:37], v[8:9]
	v_add_f32_e32 v5, v52, v53
	v_add_f32_e32 v5, v5, v8
	;; [unrolled: 1-line block ×3, first 2 shown]
	v_and_b32_e32 v9, 0xffff0000, v25
	v_and_b32_e32 v25, 0xffff0000, v24
	;; [unrolled: 1-line block ×8, first 2 shown]
	v_pk_add_f32 v[28:29], v[36:37], v[28:29]
	v_add_f32_e32 v19, v19, v5
	v_pk_add_f32 v[8:9], v[24:25], v[8:9]
	v_add_f32_e32 v5, v28, v29
	v_add_f32_e32 v5, v5, v8
	;; [unrolled: 1-line block ×5, first 2 shown]
	v_and_b32_e32 v7, 0xffff0000, v20
	v_and_b32_e32 v6, 0xffff0000, v6
	;; [unrolled: 1-line block ×8, first 2 shown]
	v_pk_add_f32 v[4:5], v[4:5], v[6:7]
	v_pk_add_f32 v[6:7], v[22:23], v[8:9]
	v_add_f32_e32 v3, v4, v5
	v_add_f32_e32 v3, v3, v6
	v_add_f32_e32 v3, v3, v7
	v_and_b32_e32 v7, 0xffff0000, v50
	v_and_b32_e32 v6, 0xffff0000, v1
	;; [unrolled: 1-line block ×4, first 2 shown]
	v_add_f32_e32 v13, v13, v3
	v_and_b32_e32 v3, 0xffff0000, v2
	v_and_b32_e32 v2, 0xffff0000, v34
	;; [unrolled: 1-line block ×4, first 2 shown]
	v_pk_add_f32 v[0:1], v[0:1], v[6:7]
	v_pk_add_f32 v[2:3], v[4:5], v[2:3]
	v_add_f32_e32 v0, v0, v1
	v_add_f32_e32 v0, v0, v2
	;; [unrolled: 1-line block ×3, first 2 shown]
	v_add_co_u32_e32 v14, vcc, 8, v14
	v_add_f32_e32 v30, v30, v0
	v_add_u32_e32 v16, 2, v16
	v_addc_co_u32_e32 v15, vcc, 0, v15, vcc
	v_accvgpr_read_b32 v0, a3
	v_cmp_ge_i32_e32 vcc, v16, v0
	v_add_u32_e32 v17, 64, v17
	s_or_b64 s[10:11], vcc, s[10:11]
	v_add_u32_e32 v33, 0x100, v33
	s_andn2_b64 exec, exec, s[10:11]
	s_cbranch_execz .LBB393_1045
.LBB393_443:                            ; =>This Inner Loop Header: Depth=1
	flat_load_dword v10, v[14:15]
	ds_read2_b64 v[6:9], v33 offset1:1
	ds_read2_b64 v[0:3], v33 offset0:2 offset1:3
                                        ; implicit-def: $vgpr25
	s_waitcnt lgkmcnt(0)
	v_and_b32_e32 v4, 0x7f800000, v6
	v_cmp_ne_u32_e32 vcc, s15, v4
	s_and_saveexec_b64 s[4:5], vcc
	s_xor_b64 s[4:5], exec, s[4:5]
; %bb.444:                              ;   in Loop: Header=BB393_443 Depth=1
	v_bfe_u32 v4, v6, 16, 1
	v_add3_u32 v25, v6, v4, s21
; %bb.445:                              ;   in Loop: Header=BB393_443 Depth=1
	s_andn2_saveexec_b64 s[4:5], s[4:5]
; %bb.446:                              ;   in Loop: Header=BB393_443 Depth=1
	v_or_b32_e32 v4, 0x10000, v6
	v_cmp_eq_u32_sdwa vcc, v6, v11 src0_sel:WORD_0 src1_sel:DWORD
	v_cndmask_b32_e32 v25, v4, v6, vcc
; %bb.447:                              ;   in Loop: Header=BB393_443 Depth=1
	s_or_b64 exec, exec, s[4:5]
	v_and_b32_e32 v4, 0x7f800000, v7
	v_cmp_ne_u32_e32 vcc, s15, v4
                                        ; implicit-def: $vgpr24
	s_and_saveexec_b64 s[4:5], vcc
	s_xor_b64 s[4:5], exec, s[4:5]
; %bb.448:                              ;   in Loop: Header=BB393_443 Depth=1
	v_bfe_u32 v4, v7, 16, 1
	v_add3_u32 v24, v7, v4, s21
; %bb.449:                              ;   in Loop: Header=BB393_443 Depth=1
	s_andn2_saveexec_b64 s[4:5], s[4:5]
; %bb.450:                              ;   in Loop: Header=BB393_443 Depth=1
	v_or_b32_e32 v4, 0x10000, v7
	v_cmp_eq_u32_sdwa vcc, v7, v11 src0_sel:WORD_0 src1_sel:DWORD
	v_cndmask_b32_e32 v24, v4, v7, vcc
; %bb.451:                              ;   in Loop: Header=BB393_443 Depth=1
	s_or_b64 exec, exec, s[4:5]
	v_and_b32_e32 v4, 0x7f800000, v8
	v_cmp_ne_u32_e32 vcc, s15, v4
                                        ; implicit-def: $vgpr23
	s_and_saveexec_b64 s[4:5], vcc
	s_xor_b64 s[4:5], exec, s[4:5]
; %bb.452:                              ;   in Loop: Header=BB393_443 Depth=1
	v_bfe_u32 v4, v8, 16, 1
	v_add3_u32 v23, v8, v4, s21
; %bb.453:                              ;   in Loop: Header=BB393_443 Depth=1
	s_andn2_saveexec_b64 s[4:5], s[4:5]
; %bb.454:                              ;   in Loop: Header=BB393_443 Depth=1
	v_or_b32_e32 v4, 0x10000, v8
	v_cmp_eq_u32_sdwa vcc, v8, v11 src0_sel:WORD_0 src1_sel:DWORD
	v_cndmask_b32_e32 v23, v4, v8, vcc
; %bb.455:                              ;   in Loop: Header=BB393_443 Depth=1
	s_or_b64 exec, exec, s[4:5]
	v_and_b32_e32 v4, 0x7f800000, v9
	v_cmp_ne_u32_e32 vcc, s15, v4
                                        ; implicit-def: $vgpr22
	s_and_saveexec_b64 s[4:5], vcc
	s_xor_b64 s[4:5], exec, s[4:5]
; %bb.456:                              ;   in Loop: Header=BB393_443 Depth=1
	v_bfe_u32 v4, v9, 16, 1
	v_add3_u32 v22, v9, v4, s21
                                        ; implicit-def: $vgpr6_vgpr7_vgpr8_vgpr9
; %bb.457:                              ;   in Loop: Header=BB393_443 Depth=1
	s_andn2_saveexec_b64 s[4:5], s[4:5]
; %bb.458:                              ;   in Loop: Header=BB393_443 Depth=1
	v_or_b32_e32 v4, 0x10000, v9
	v_cmp_eq_u32_sdwa vcc, v9, v11 src0_sel:WORD_0 src1_sel:DWORD
	v_cndmask_b32_e32 v22, v4, v9, vcc
; %bb.459:                              ;   in Loop: Header=BB393_443 Depth=1
	s_or_b64 exec, exec, s[4:5]
	v_and_b32_e32 v4, 0x7f800000, v0
	v_cmp_ne_u32_e32 vcc, s15, v4
                                        ; implicit-def: $vgpr21
	s_and_saveexec_b64 s[4:5], vcc
	s_xor_b64 s[4:5], exec, s[4:5]
; %bb.460:                              ;   in Loop: Header=BB393_443 Depth=1
	v_bfe_u32 v4, v0, 16, 1
	v_add3_u32 v21, v0, v4, s21
; %bb.461:                              ;   in Loop: Header=BB393_443 Depth=1
	s_andn2_saveexec_b64 s[4:5], s[4:5]
; %bb.462:                              ;   in Loop: Header=BB393_443 Depth=1
	v_or_b32_e32 v4, 0x10000, v0
	v_cmp_eq_u32_sdwa vcc, v0, v11 src0_sel:WORD_0 src1_sel:DWORD
	v_cndmask_b32_e32 v21, v4, v0, vcc
; %bb.463:                              ;   in Loop: Header=BB393_443 Depth=1
	s_or_b64 exec, exec, s[4:5]
	v_and_b32_e32 v0, 0x7f800000, v1
	v_cmp_ne_u32_e32 vcc, s15, v0
                                        ; implicit-def: $vgpr20
	s_and_saveexec_b64 s[4:5], vcc
	s_xor_b64 s[4:5], exec, s[4:5]
; %bb.464:                              ;   in Loop: Header=BB393_443 Depth=1
	v_bfe_u32 v0, v1, 16, 1
	v_add3_u32 v20, v1, v0, s21
; %bb.465:                              ;   in Loop: Header=BB393_443 Depth=1
	s_andn2_saveexec_b64 s[4:5], s[4:5]
; %bb.466:                              ;   in Loop: Header=BB393_443 Depth=1
	v_or_b32_e32 v0, 0x10000, v1
	v_cmp_eq_u32_sdwa vcc, v1, v11 src0_sel:WORD_0 src1_sel:DWORD
	v_cndmask_b32_e32 v20, v0, v1, vcc
; %bb.467:                              ;   in Loop: Header=BB393_443 Depth=1
	s_or_b64 exec, exec, s[4:5]
	v_and_b32_e32 v0, 0x7f800000, v2
	v_cmp_ne_u32_e32 vcc, s15, v0
                                        ; implicit-def: $vgpr5
	s_and_saveexec_b64 s[4:5], vcc
	s_xor_b64 s[4:5], exec, s[4:5]
; %bb.468:                              ;   in Loop: Header=BB393_443 Depth=1
	v_bfe_u32 v0, v2, 16, 1
	v_add3_u32 v5, v2, v0, s21
; %bb.469:                              ;   in Loop: Header=BB393_443 Depth=1
	s_andn2_saveexec_b64 s[4:5], s[4:5]
; %bb.470:                              ;   in Loop: Header=BB393_443 Depth=1
	v_or_b32_e32 v0, 0x10000, v2
	v_cmp_eq_u32_sdwa vcc, v2, v11 src0_sel:WORD_0 src1_sel:DWORD
	v_cndmask_b32_e32 v5, v0, v2, vcc
; %bb.471:                              ;   in Loop: Header=BB393_443 Depth=1
	s_or_b64 exec, exec, s[4:5]
	v_and_b32_e32 v0, 0x7f800000, v3
	v_cmp_ne_u32_e32 vcc, s15, v0
                                        ; implicit-def: $vgpr4
	s_and_saveexec_b64 s[4:5], vcc
	s_xor_b64 s[4:5], exec, s[4:5]
; %bb.472:                              ;   in Loop: Header=BB393_443 Depth=1
	v_bfe_u32 v0, v3, 16, 1
	v_add3_u32 v4, v3, v0, s21
                                        ; implicit-def: $vgpr0_vgpr1_vgpr2_vgpr3
; %bb.473:                              ;   in Loop: Header=BB393_443 Depth=1
	s_andn2_saveexec_b64 s[4:5], s[4:5]
; %bb.474:                              ;   in Loop: Header=BB393_443 Depth=1
	v_or_b32_e32 v0, 0x10000, v3
	v_cmp_eq_u32_sdwa vcc, v3, v11 src0_sel:WORD_0 src1_sel:DWORD
	v_cndmask_b32_e32 v4, v0, v3, vcc
; %bb.475:                              ;   in Loop: Header=BB393_443 Depth=1
	s_or_b64 exec, exec, s[4:5]
	v_accvgpr_read_b32 v2, a10
	v_accvgpr_read_b32 v0, a4
	;; [unrolled: 1-line block ×3, first 2 shown]
	s_waitcnt vmcnt(0)
	v_mad_i64_i32 v[0:1], s[4:5], v10, v0, v[2:3]
	flat_load_dwordx2 v[2:3], v[0:1]
	v_mov_b32_e32 v6, 0
	s_waitcnt vmcnt(0) lgkmcnt(0)
	v_cmp_ne_u16_sdwa s[12:13], v2, v11 src0_sel:BYTE_0 src1_sel:DWORD
	s_and_saveexec_b64 s[4:5], s[12:13]
	s_cbranch_execz .LBB393_481
; %bb.476:                              ;   in Loop: Header=BB393_443 Depth=1
	v_cmp_ne_u16_sdwa s[24:25], v2, s28 src0_sel:BYTE_0 src1_sel:DWORD
	v_bfrev_b32_e32 v6, 1
	s_and_saveexec_b64 s[12:13], s[24:25]
	s_cbranch_execz .LBB393_480
; %bb.477:                              ;   in Loop: Header=BB393_443 Depth=1
	v_and_b32_e32 v7, 0x7f, v2
	v_cmp_ne_u32_e32 vcc, s29, v7
	v_mov_b32_e32 v6, 0x7f800001
	s_and_saveexec_b64 s[24:25], vcc
	s_cbranch_execz .LBB393_479
; %bb.478:                              ;   in Loop: Header=BB393_443 Depth=1
	v_and_b32_e32 v6, 7, v2
	v_ffbh_u32_e32 v6, v6
	v_min_u32_e32 v6, 32, v6
	v_lshrrev_b32_e32 v8, 3, v7
	v_subrev_u32_e32 v9, 28, v6
	v_sub_u32_e32 v6, 29, v6
	v_cmp_gt_u32_e32 vcc, 8, v7
	v_cndmask_b32_e32 v8, v8, v6, vcc
	v_cndmask_b32_e32 v6, 0, v9, vcc
	v_lshlrev_b64 v[6:7], v6, v[2:3]
	v_lshlrev_b32_e32 v6, 20, v6
	v_lshlrev_b32_e32 v7, 24, v2
	v_and_b32_e32 v6, 0x700000, v6
	v_and_b32_e32 v7, 0x80000000, v7
	v_lshl_add_u32 v8, v8, 23, v35
	v_or3_b32 v6, v7, v8, v6
.LBB393_479:                            ;   in Loop: Header=BB393_443 Depth=1
	s_or_b64 exec, exec, s[24:25]
.LBB393_480:                            ;   in Loop: Header=BB393_443 Depth=1
	s_or_b64 exec, exec, s[12:13]
.LBB393_481:                            ;   in Loop: Header=BB393_443 Depth=1
	s_or_b64 exec, exec, s[4:5]
	v_mul_f32_e32 v6, v26, v6
	v_and_b32_e32 v7, 0x7f800000, v6
	v_cmp_ne_u32_e32 vcc, s15, v7
                                        ; implicit-def: $vgpr7
	s_and_saveexec_b64 s[4:5], vcc
	s_xor_b64 s[4:5], exec, s[4:5]
; %bb.482:                              ;   in Loop: Header=BB393_443 Depth=1
	v_bfe_u32 v7, v6, 16, 1
	v_add3_u32 v7, v6, v7, s21
                                        ; implicit-def: $vgpr6
; %bb.483:                              ;   in Loop: Header=BB393_443 Depth=1
	s_andn2_saveexec_b64 s[4:5], s[4:5]
; %bb.484:                              ;   in Loop: Header=BB393_443 Depth=1
	v_or_b32_e32 v7, 0x10000, v6
	v_cmp_eq_u32_sdwa vcc, v6, v11 src0_sel:WORD_0 src1_sel:DWORD
	v_cndmask_b32_e32 v7, v7, v6, vcc
; %bb.485:                              ;   in Loop: Header=BB393_443 Depth=1
	s_or_b64 exec, exec, s[4:5]
	v_lshrrev_b16_e32 v6, 8, v2
	v_cmp_ne_u16_e32 vcc, 0, v6
	v_mov_b32_e32 v8, 0
	s_and_saveexec_b64 s[4:5], vcc
	s_cbranch_execz .LBB393_491
; %bb.486:                              ;   in Loop: Header=BB393_443 Depth=1
	v_cmp_ne_u16_e32 vcc, s28, v6
	v_bfrev_b32_e32 v8, 1
	s_and_saveexec_b64 s[12:13], vcc
	s_cbranch_execz .LBB393_490
; %bb.487:                              ;   in Loop: Header=BB393_443 Depth=1
	v_and_b32_e32 v9, 0x7f, v6
	v_cmp_ne_u32_e32 vcc, s29, v9
	v_mov_b32_e32 v8, 0x7f800001
	s_and_saveexec_b64 s[24:25], vcc
	s_cbranch_execz .LBB393_489
; %bb.488:                              ;   in Loop: Header=BB393_443 Depth=1
	v_and_b32_e32 v8, 7, v6
	v_ffbh_u32_e32 v27, v8
	v_min_u32_e32 v27, 32, v27
	v_subrev_u32_e32 v28, 28, v27
	v_lshlrev_b64 v[28:29], v28, v[6:7]
	v_lshrrev_b32_e32 v10, 3, v9
	v_sub_u32_e32 v6, 29, v27
	v_and_b32_e32 v27, 7, v28
	v_cmp_gt_u32_e32 vcc, 8, v9
	v_cndmask_b32_e32 v6, v10, v6, vcc
	v_cndmask_b32_e32 v8, v8, v27, vcc
	v_lshlrev_b32_e32 v9, 16, v2
	v_lshlrev_b32_e32 v8, 20, v8
	v_and_b32_e32 v9, 0x80000000, v9
	v_lshl_add_u32 v6, v6, 23, v35
	v_or3_b32 v8, v9, v6, v8
.LBB393_489:                            ;   in Loop: Header=BB393_443 Depth=1
	s_or_b64 exec, exec, s[24:25]
.LBB393_490:                            ;   in Loop: Header=BB393_443 Depth=1
	s_or_b64 exec, exec, s[12:13]
.LBB393_491:                            ;   in Loop: Header=BB393_443 Depth=1
	s_or_b64 exec, exec, s[4:5]
	v_mul_f32_e32 v6, v26, v8
	v_and_b32_e32 v8, 0x7f800000, v6
	v_cmp_ne_u32_e32 vcc, s15, v8
                                        ; implicit-def: $vgpr8
	s_and_saveexec_b64 s[4:5], vcc
	s_xor_b64 s[4:5], exec, s[4:5]
; %bb.492:                              ;   in Loop: Header=BB393_443 Depth=1
	v_bfe_u32 v8, v6, 16, 1
	v_add3_u32 v8, v6, v8, s21
                                        ; implicit-def: $vgpr6
; %bb.493:                              ;   in Loop: Header=BB393_443 Depth=1
	s_andn2_saveexec_b64 s[4:5], s[4:5]
; %bb.494:                              ;   in Loop: Header=BB393_443 Depth=1
	v_or_b32_e32 v8, 0x10000, v6
	v_cmp_eq_u32_sdwa vcc, v6, v11 src0_sel:WORD_0 src1_sel:DWORD
	v_cndmask_b32_e32 v8, v8, v6, vcc
; %bb.495:                              ;   in Loop: Header=BB393_443 Depth=1
	s_or_b64 exec, exec, s[4:5]
	v_lshrrev_b32_e32 v6, 16, v2
	v_cmp_ne_u16_sdwa s[12:13], v6, v11 src0_sel:BYTE_0 src1_sel:DWORD
	v_mov_b32_e32 v9, 0
	s_and_saveexec_b64 s[4:5], s[12:13]
	s_cbranch_execz .LBB393_501
; %bb.496:                              ;   in Loop: Header=BB393_443 Depth=1
	v_cmp_ne_u16_sdwa s[24:25], v6, s28 src0_sel:BYTE_0 src1_sel:DWORD
	v_bfrev_b32_e32 v9, 1
	s_and_saveexec_b64 s[12:13], s[24:25]
	s_cbranch_execz .LBB393_500
; %bb.497:                              ;   in Loop: Header=BB393_443 Depth=1
	v_bfe_u32 v10, v2, 16, 7
	v_cmp_ne_u32_e32 vcc, s29, v10
	v_mov_b32_e32 v9, 0x7f800001
	s_and_saveexec_b64 s[24:25], vcc
	s_cbranch_execz .LBB393_499
; %bb.498:                              ;   in Loop: Header=BB393_443 Depth=1
	v_and_b32_e32 v9, 7, v6
	v_ffbh_u32_e32 v28, v9
	v_min_u32_e32 v31, 32, v28
	v_subrev_u32_e32 v28, 28, v31
	v_lshlrev_b64 v[28:29], v28, v[6:7]
	v_lshrrev_b32_e32 v27, 3, v10
	v_sub_u32_e32 v29, 29, v31
	v_and_b32_e32 v28, 7, v28
	v_cmp_gt_u32_e32 vcc, 8, v10
	v_cndmask_b32_e32 v10, v27, v29, vcc
	v_cndmask_b32_e32 v9, v9, v28, vcc
	v_lshlrev_b32_e32 v6, 24, v6
	v_lshlrev_b32_e32 v9, 20, v9
	v_and_b32_e32 v6, 0x80000000, v6
	v_lshl_add_u32 v10, v10, 23, v35
	v_or3_b32 v9, v6, v10, v9
.LBB393_499:                            ;   in Loop: Header=BB393_443 Depth=1
	s_or_b64 exec, exec, s[24:25]
.LBB393_500:                            ;   in Loop: Header=BB393_443 Depth=1
	s_or_b64 exec, exec, s[12:13]
.LBB393_501:                            ;   in Loop: Header=BB393_443 Depth=1
	s_or_b64 exec, exec, s[4:5]
	v_mul_f32_e32 v6, v26, v9
	v_and_b32_e32 v9, 0x7f800000, v6
	v_cmp_ne_u32_e32 vcc, s15, v9
                                        ; implicit-def: $vgpr9
	s_and_saveexec_b64 s[4:5], vcc
	s_xor_b64 s[4:5], exec, s[4:5]
; %bb.502:                              ;   in Loop: Header=BB393_443 Depth=1
	v_bfe_u32 v9, v6, 16, 1
	v_add3_u32 v9, v6, v9, s21
                                        ; implicit-def: $vgpr6
; %bb.503:                              ;   in Loop: Header=BB393_443 Depth=1
	s_andn2_saveexec_b64 s[4:5], s[4:5]
; %bb.504:                              ;   in Loop: Header=BB393_443 Depth=1
	v_or_b32_e32 v9, 0x10000, v6
	v_cmp_eq_u32_sdwa vcc, v6, v11 src0_sel:WORD_0 src1_sel:DWORD
	v_cndmask_b32_e32 v9, v9, v6, vcc
; %bb.505:                              ;   in Loop: Header=BB393_443 Depth=1
	s_or_b64 exec, exec, s[4:5]
	v_cmp_lt_u32_e32 vcc, s9, v2
	v_mov_b32_e32 v10, 0
	s_and_saveexec_b64 s[4:5], vcc
	s_cbranch_execz .LBB393_511
; %bb.506:                              ;   in Loop: Header=BB393_443 Depth=1
	v_lshrrev_b32_e32 v6, 24, v2
	v_cmp_ne_u32_e32 vcc, s28, v6
	v_bfrev_b32_e32 v10, 1
	s_and_saveexec_b64 s[12:13], vcc
	s_cbranch_execz .LBB393_510
; %bb.507:                              ;   in Loop: Header=BB393_443 Depth=1
	v_bfe_u32 v27, v2, 24, 7
	v_cmp_ne_u32_e32 vcc, s29, v27
	v_mov_b32_e32 v10, 0x7f800001
	s_and_saveexec_b64 s[24:25], vcc
	s_cbranch_execz .LBB393_509
; %bb.508:                              ;   in Loop: Header=BB393_443 Depth=1
	v_and_b32_e32 v10, 7, v6
	v_ffbh_u32_e32 v28, v10
	v_min_u32_e32 v34, 32, v28
	v_subrev_u32_e32 v28, 28, v34
	v_lshlrev_b64 v[28:29], v28, v[6:7]
	v_lshrrev_b32_e32 v31, 3, v27
	v_sub_u32_e32 v29, 29, v34
	v_and_b32_e32 v28, 7, v28
	v_cmp_gt_u32_e32 vcc, 8, v27
	v_cndmask_b32_e32 v27, v31, v29, vcc
	v_cndmask_b32_e32 v10, v10, v28, vcc
	v_lshlrev_b32_e32 v6, 24, v6
	v_lshlrev_b32_e32 v10, 20, v10
	v_and_b32_e32 v6, 0x80000000, v6
	v_lshl_add_u32 v27, v27, 23, v35
	v_or3_b32 v10, v6, v27, v10
.LBB393_509:                            ;   in Loop: Header=BB393_443 Depth=1
	s_or_b64 exec, exec, s[24:25]
.LBB393_510:                            ;   in Loop: Header=BB393_443 Depth=1
	s_or_b64 exec, exec, s[12:13]
.LBB393_511:                            ;   in Loop: Header=BB393_443 Depth=1
	s_or_b64 exec, exec, s[4:5]
	v_mul_f32_e32 v6, v26, v10
	v_and_b32_e32 v10, 0x7f800000, v6
	v_cmp_ne_u32_e32 vcc, s15, v10
                                        ; implicit-def: $vgpr27
	s_and_saveexec_b64 s[4:5], vcc
	s_xor_b64 s[4:5], exec, s[4:5]
; %bb.512:                              ;   in Loop: Header=BB393_443 Depth=1
	v_bfe_u32 v10, v6, 16, 1
	v_add3_u32 v27, v6, v10, s21
                                        ; implicit-def: $vgpr6
; %bb.513:                              ;   in Loop: Header=BB393_443 Depth=1
	s_andn2_saveexec_b64 s[4:5], s[4:5]
; %bb.514:                              ;   in Loop: Header=BB393_443 Depth=1
	v_or_b32_e32 v10, 0x10000, v6
	v_cmp_eq_u32_sdwa vcc, v6, v11 src0_sel:WORD_0 src1_sel:DWORD
	v_cndmask_b32_e32 v27, v10, v6, vcc
; %bb.515:                              ;   in Loop: Header=BB393_443 Depth=1
	s_or_b64 exec, exec, s[4:5]
	v_mov_b32_e32 v10, v3
	v_cmp_ne_u16_sdwa s[12:13], v3, v11 src0_sel:BYTE_0 src1_sel:DWORD
	v_mov_b32_e32 v6, 0
	s_and_saveexec_b64 s[4:5], s[12:13]
	s_cbranch_execz .LBB393_521
; %bb.516:                              ;   in Loop: Header=BB393_443 Depth=1
	v_cmp_ne_u16_sdwa s[24:25], v3, s28 src0_sel:BYTE_0 src1_sel:DWORD
	v_bfrev_b32_e32 v6, 1
	s_and_saveexec_b64 s[12:13], s[24:25]
	s_cbranch_execz .LBB393_520
; %bb.517:                              ;   in Loop: Header=BB393_443 Depth=1
	v_and_b32_e32 v28, 0x7f, v3
	v_cmp_ne_u32_e32 vcc, s29, v28
	v_mov_b32_e32 v6, 0x7f800001
	s_and_saveexec_b64 s[24:25], vcc
	s_cbranch_execz .LBB393_519
; %bb.518:                              ;   in Loop: Header=BB393_443 Depth=1
	v_and_b32_e32 v6, 7, v3
	v_ffbh_u32_e32 v6, v6
	v_min_u32_e32 v6, 32, v6
	v_subrev_u32_e32 v31, 28, v6
	v_cmp_gt_u32_e32 vcc, 8, v28
	v_lshrrev_b32_e32 v29, 3, v28
	v_sub_u32_e32 v6, 29, v6
	v_cndmask_b32_e32 v28, 0, v31, vcc
	v_cndmask_b32_e32 v6, v29, v6, vcc
	v_lshlrev_b64 v[28:29], v28, v[10:11]
	v_lshlrev_b32_e32 v28, 20, v28
	v_lshlrev_b32_e32 v29, 24, v10
	v_and_b32_e32 v28, 0x700000, v28
	v_and_b32_e32 v29, 0x80000000, v29
	v_lshl_add_u32 v6, v6, 23, v35
	v_or3_b32 v6, v29, v6, v28
.LBB393_519:                            ;   in Loop: Header=BB393_443 Depth=1
	s_or_b64 exec, exec, s[24:25]
.LBB393_520:                            ;   in Loop: Header=BB393_443 Depth=1
	s_or_b64 exec, exec, s[12:13]
.LBB393_521:                            ;   in Loop: Header=BB393_443 Depth=1
	s_or_b64 exec, exec, s[4:5]
	v_mul_f32_e32 v6, v26, v6
	v_and_b32_e32 v28, 0x7f800000, v6
	v_cmp_ne_u32_e32 vcc, s15, v28
                                        ; implicit-def: $vgpr28
	s_and_saveexec_b64 s[4:5], vcc
	s_xor_b64 s[4:5], exec, s[4:5]
; %bb.522:                              ;   in Loop: Header=BB393_443 Depth=1
	v_bfe_u32 v28, v6, 16, 1
	v_add3_u32 v28, v6, v28, s21
                                        ; implicit-def: $vgpr6
; %bb.523:                              ;   in Loop: Header=BB393_443 Depth=1
	s_andn2_saveexec_b64 s[4:5], s[4:5]
; %bb.524:                              ;   in Loop: Header=BB393_443 Depth=1
	v_or_b32_e32 v28, 0x10000, v6
	v_cmp_eq_u32_sdwa vcc, v6, v11 src0_sel:WORD_0 src1_sel:DWORD
	v_cndmask_b32_e32 v28, v28, v6, vcc
; %bb.525:                              ;   in Loop: Header=BB393_443 Depth=1
	s_or_b64 exec, exec, s[4:5]
	v_lshrrev_b16_e32 v6, 8, v10
	v_cmp_ne_u16_e32 vcc, 0, v6
	v_mov_b32_e32 v29, 0
	s_and_saveexec_b64 s[4:5], vcc
	s_cbranch_execz .LBB393_531
; %bb.526:                              ;   in Loop: Header=BB393_443 Depth=1
	v_cmp_ne_u16_e32 vcc, s28, v6
	v_bfrev_b32_e32 v29, 1
	s_and_saveexec_b64 s[12:13], vcc
	s_cbranch_execz .LBB393_530
; %bb.527:                              ;   in Loop: Header=BB393_443 Depth=1
	v_and_b32_e32 v31, 0x7f, v6
	v_cmp_ne_u32_e32 vcc, s29, v31
	v_mov_b32_e32 v29, 0x7f800001
	s_and_saveexec_b64 s[24:25], vcc
	s_cbranch_execz .LBB393_529
; %bb.528:                              ;   in Loop: Header=BB393_443 Depth=1
	v_and_b32_e32 v29, 7, v6
	v_ffbh_u32_e32 v34, v29
	v_min_u32_e32 v37, 32, v34
	v_subrev_u32_e32 v34, 28, v37
	v_lshlrev_b64 v[34:35], v34, v[6:7]
	v_lshrrev_b32_e32 v36, 3, v31
	v_sub_u32_e32 v6, 29, v37
	v_and_b32_e32 v34, 7, v34
	v_cmp_gt_u32_e32 vcc, 8, v31
	v_bfrev_b32_e32 v35, 60
	v_cndmask_b32_e32 v6, v36, v6, vcc
	v_cndmask_b32_e32 v29, v29, v34, vcc
	v_lshlrev_b32_e32 v10, 16, v10
	v_lshlrev_b32_e32 v29, 20, v29
	v_and_b32_e32 v10, 0x80000000, v10
	v_lshl_add_u32 v6, v6, 23, v35
	v_or3_b32 v29, v10, v6, v29
.LBB393_529:                            ;   in Loop: Header=BB393_443 Depth=1
	s_or_b64 exec, exec, s[24:25]
.LBB393_530:                            ;   in Loop: Header=BB393_443 Depth=1
	s_or_b64 exec, exec, s[12:13]
.LBB393_531:                            ;   in Loop: Header=BB393_443 Depth=1
	s_or_b64 exec, exec, s[4:5]
	v_mul_f32_e32 v6, v26, v29
	v_and_b32_e32 v10, 0x7f800000, v6
	v_cmp_ne_u32_e32 vcc, s15, v10
                                        ; implicit-def: $vgpr10
	s_and_saveexec_b64 s[4:5], vcc
	s_xor_b64 s[4:5], exec, s[4:5]
; %bb.532:                              ;   in Loop: Header=BB393_443 Depth=1
	v_bfe_u32 v10, v6, 16, 1
	v_add3_u32 v10, v6, v10, s21
                                        ; implicit-def: $vgpr6
; %bb.533:                              ;   in Loop: Header=BB393_443 Depth=1
	s_andn2_saveexec_b64 s[4:5], s[4:5]
; %bb.534:                              ;   in Loop: Header=BB393_443 Depth=1
	v_or_b32_e32 v10, 0x10000, v6
	v_cmp_eq_u32_sdwa vcc, v6, v11 src0_sel:WORD_0 src1_sel:DWORD
	v_cndmask_b32_e32 v10, v10, v6, vcc
; %bb.535:                              ;   in Loop: Header=BB393_443 Depth=1
	s_or_b64 exec, exec, s[4:5]
	v_lshrrev_b32_e32 v6, 16, v3
	v_cmp_ne_u16_sdwa s[12:13], v6, v11 src0_sel:BYTE_0 src1_sel:DWORD
	v_mov_b32_e32 v29, 0
	s_and_saveexec_b64 s[4:5], s[12:13]
	s_cbranch_execz .LBB393_541
; %bb.536:                              ;   in Loop: Header=BB393_443 Depth=1
	v_cmp_ne_u16_sdwa s[24:25], v6, s28 src0_sel:BYTE_0 src1_sel:DWORD
	v_bfrev_b32_e32 v29, 1
	s_and_saveexec_b64 s[12:13], s[24:25]
	s_cbranch_execz .LBB393_540
; %bb.537:                              ;   in Loop: Header=BB393_443 Depth=1
	v_bfe_u32 v31, v3, 16, 7
	v_cmp_ne_u32_e32 vcc, s29, v31
	v_mov_b32_e32 v29, 0x7f800001
	s_and_saveexec_b64 s[24:25], vcc
	s_cbranch_execz .LBB393_539
; %bb.538:                              ;   in Loop: Header=BB393_443 Depth=1
	v_and_b32_e32 v29, 7, v6
	v_ffbh_u32_e32 v34, v29
	v_min_u32_e32 v37, 32, v34
	v_subrev_u32_e32 v34, 28, v37
	v_lshlrev_b64 v[34:35], v34, v[6:7]
	v_lshrrev_b32_e32 v36, 3, v31
	v_sub_u32_e32 v35, 29, v37
	v_and_b32_e32 v34, 7, v34
	v_cmp_gt_u32_e32 vcc, 8, v31
	v_cndmask_b32_e32 v31, v36, v35, vcc
	v_bfrev_b32_e32 v35, 60
	v_cndmask_b32_e32 v29, v29, v34, vcc
	v_lshlrev_b32_e32 v6, 24, v6
	v_lshlrev_b32_e32 v29, 20, v29
	v_and_b32_e32 v6, 0x80000000, v6
	v_lshl_add_u32 v31, v31, 23, v35
	v_or3_b32 v29, v6, v31, v29
.LBB393_539:                            ;   in Loop: Header=BB393_443 Depth=1
	s_or_b64 exec, exec, s[24:25]
.LBB393_540:                            ;   in Loop: Header=BB393_443 Depth=1
	s_or_b64 exec, exec, s[12:13]
.LBB393_541:                            ;   in Loop: Header=BB393_443 Depth=1
	s_or_b64 exec, exec, s[4:5]
	v_mul_f32_e32 v6, v26, v29
	v_and_b32_e32 v29, 0x7f800000, v6
	v_cmp_ne_u32_e32 vcc, s15, v29
                                        ; implicit-def: $vgpr29
	s_and_saveexec_b64 s[4:5], vcc
	s_xor_b64 s[4:5], exec, s[4:5]
; %bb.542:                              ;   in Loop: Header=BB393_443 Depth=1
	v_bfe_u32 v29, v6, 16, 1
	v_add3_u32 v29, v6, v29, s21
                                        ; implicit-def: $vgpr6
; %bb.543:                              ;   in Loop: Header=BB393_443 Depth=1
	s_andn2_saveexec_b64 s[4:5], s[4:5]
; %bb.544:                              ;   in Loop: Header=BB393_443 Depth=1
	v_or_b32_e32 v29, 0x10000, v6
	v_cmp_eq_u32_sdwa vcc, v6, v11 src0_sel:WORD_0 src1_sel:DWORD
	v_cndmask_b32_e32 v29, v29, v6, vcc
; %bb.545:                              ;   in Loop: Header=BB393_443 Depth=1
	s_or_b64 exec, exec, s[4:5]
	v_cmp_lt_u64_e32 vcc, s[8:9], v[2:3]
	v_mov_b32_e32 v6, 0
	s_and_saveexec_b64 s[4:5], vcc
	s_cbranch_execz .LBB393_551
; %bb.546:                              ;   in Loop: Header=BB393_443 Depth=1
	v_lshrrev_b32_e32 v2, 24, v3
	v_cmp_ne_u32_e32 vcc, s28, v2
	v_bfrev_b32_e32 v6, 1
	s_and_saveexec_b64 s[12:13], vcc
	s_cbranch_execz .LBB393_550
; %bb.547:                              ;   in Loop: Header=BB393_443 Depth=1
	v_bfe_u32 v3, v3, 24, 7
	v_cmp_ne_u32_e32 vcc, s29, v3
	v_mov_b32_e32 v6, 0x7f800001
	s_and_saveexec_b64 s[24:25], vcc
	s_cbranch_execz .LBB393_549
; %bb.548:                              ;   in Loop: Header=BB393_443 Depth=1
	v_and_b32_e32 v6, 7, v2
	v_ffbh_u32_e32 v34, v6
	v_min_u32_e32 v36, 32, v34
	v_subrev_u32_e32 v34, 28, v36
	v_lshlrev_b64 v[34:35], v34, v[2:3]
	v_lshrrev_b32_e32 v31, 3, v3
	v_sub_u32_e32 v35, 29, v36
	v_and_b32_e32 v34, 7, v34
	v_cmp_gt_u32_e32 vcc, 8, v3
	v_cndmask_b32_e32 v3, v31, v35, vcc
	v_bfrev_b32_e32 v35, 60
	v_cndmask_b32_e32 v6, v6, v34, vcc
	v_lshlrev_b32_e32 v2, 24, v2
	v_lshlrev_b32_e32 v6, 20, v6
	v_and_b32_e32 v2, 0x80000000, v2
	v_lshl_add_u32 v3, v3, 23, v35
	v_or3_b32 v6, v2, v3, v6
.LBB393_549:                            ;   in Loop: Header=BB393_443 Depth=1
	s_or_b64 exec, exec, s[24:25]
.LBB393_550:                            ;   in Loop: Header=BB393_443 Depth=1
	s_or_b64 exec, exec, s[12:13]
.LBB393_551:                            ;   in Loop: Header=BB393_443 Depth=1
	s_or_b64 exec, exec, s[4:5]
	v_mul_f32_e32 v3, v26, v6
	v_and_b32_e32 v2, 0x7f800000, v3
	v_cmp_ne_u32_e32 vcc, s15, v2
                                        ; implicit-def: $vgpr2
	s_and_saveexec_b64 s[4:5], vcc
	s_xor_b64 s[4:5], exec, s[4:5]
; %bb.552:                              ;   in Loop: Header=BB393_443 Depth=1
	v_bfe_u32 v2, v3, 16, 1
	v_add3_u32 v2, v3, v2, s21
                                        ; implicit-def: $vgpr3
; %bb.553:                              ;   in Loop: Header=BB393_443 Depth=1
	s_andn2_saveexec_b64 s[4:5], s[4:5]
; %bb.554:                              ;   in Loop: Header=BB393_443 Depth=1
	v_or_b32_e32 v2, 0x10000, v3
	v_cmp_eq_u32_sdwa vcc, v3, v11 src0_sel:WORD_0 src1_sel:DWORD
	v_cndmask_b32_e32 v2, v2, v3, vcc
; %bb.555:                              ;   in Loop: Header=BB393_443 Depth=1
	s_or_b64 exec, exec, s[4:5]
	v_lshrrev_b32_e32 v6, 16, v10
	v_lshrrev_b32_e32 v10, 16, v28
	v_add_u32_e32 v28, -6, v17
	v_accvgpr_write_b32 a23, v28
	v_add_u32_e32 v28, -5, v17
	v_accvgpr_write_b32 a22, v28
	;; [unrolled: 2-line block ×3, first 2 shown]
	v_add_u32_e32 v28, -3, v17
	v_accvgpr_read_b32 v3, a9
	v_accvgpr_write_b32 a20, v28
	v_add_u32_e32 v28, -2, v17
	v_cmp_eq_u32_e32 vcc, v3, v16
	v_add_u32_e32 v3, -7, v17
	v_accvgpr_write_b32 a19, v28
	v_add_u32_e32 v28, -1, v17
	v_accvgpr_write_b32 a17, v3
	v_lshrrev_b32_e32 v27, 16, v27
	v_lshrrev_b32_e32 v9, 16, v9
	;; [unrolled: 1-line block ×6, first 2 shown]
	v_accvgpr_write_b32 a18, v28
	s_and_saveexec_b64 s[12:13], vcc
	s_cbranch_execz .LBB393_557
; %bb.556:                              ;   in Loop: Header=BB393_443 Depth=1
	v_accvgpr_read_b32 v28, a17
	v_cmp_lt_i32_e64 s[4:5], v28, v32
	v_accvgpr_read_b32 v28, a23
	v_cndmask_b32_e64 v7, 0, v7, s[4:5]
	v_cmp_lt_i32_e64 s[4:5], v28, v32
	v_accvgpr_read_b32 v28, a22
	v_cndmask_b32_e64 v8, 0, v8, s[4:5]
	;; [unrolled: 3-line block ×6, first 2 shown]
	v_cmp_lt_i32_e64 s[4:5], v28, v32
	v_cndmask_b32_e64 v3, 0, v3, s[4:5]
	v_cmp_lt_i32_e64 s[4:5], v17, v32
	v_cndmask_b32_e64 v2, 0, v2, s[4:5]
.LBB393_557:                            ;   in Loop: Header=BB393_443 Depth=1
	s_or_b64 exec, exec, s[12:13]
	v_and_b32_e32 v55, 0xffff0000, v25
	v_lshlrev_b32_e32 v7, 16, v7
	v_mul_f32_e32 v7, v55, v7
	v_and_b32_e32 v25, 0x7f800000, v7
	v_cmp_ne_u32_e64 s[4:5], s15, v25
                                        ; implicit-def: $agpr12
	s_and_saveexec_b64 s[12:13], s[4:5]
	s_xor_b64 s[4:5], exec, s[12:13]
; %bb.558:                              ;   in Loop: Header=BB393_443 Depth=1
	v_bfe_u32 v25, v7, 16, 1
	v_add3_u32 v7, v7, v25, s21
	v_accvgpr_write_b32 a12, v7
                                        ; implicit-def: $vgpr7
; %bb.559:                              ;   in Loop: Header=BB393_443 Depth=1
	s_andn2_saveexec_b64 s[12:13], s[4:5]
; %bb.560:                              ;   in Loop: Header=BB393_443 Depth=1
	v_or_b32_e32 v25, 0x10000, v7
	v_cmp_eq_u32_sdwa s[4:5], v7, v11 src0_sel:WORD_0 src1_sel:DWORD
	v_cndmask_b32_e64 v7, v25, v7, s[4:5]
	v_accvgpr_write_b32 a12, v7
; %bb.561:                              ;   in Loop: Header=BB393_443 Depth=1
	s_or_b64 exec, exec, s[12:13]
	v_and_b32_e32 v40, 0xffff0000, v24
	v_lshlrev_b32_e32 v7, 16, v8
	v_mul_f32_e32 v7, v40, v7
	v_and_b32_e32 v8, 0x7f800000, v7
	v_cmp_ne_u32_e64 s[4:5], s15, v8
                                        ; implicit-def: $agpr13
	s_and_saveexec_b64 s[12:13], s[4:5]
	s_xor_b64 s[4:5], exec, s[12:13]
; %bb.562:                              ;   in Loop: Header=BB393_443 Depth=1
	v_bfe_u32 v8, v7, 16, 1
	v_add3_u32 v7, v7, v8, s21
	v_accvgpr_write_b32 a13, v7
                                        ; implicit-def: $vgpr7
; %bb.563:                              ;   in Loop: Header=BB393_443 Depth=1
	s_andn2_saveexec_b64 s[12:13], s[4:5]
; %bb.564:                              ;   in Loop: Header=BB393_443 Depth=1
	v_or_b32_e32 v8, 0x10000, v7
	v_cmp_eq_u32_sdwa s[4:5], v7, v11 src0_sel:WORD_0 src1_sel:DWORD
	v_cndmask_b32_e64 v7, v8, v7, s[4:5]
	v_accvgpr_write_b32 a13, v7
; %bb.565:                              ;   in Loop: Header=BB393_443 Depth=1
	s_or_b64 exec, exec, s[12:13]
	v_and_b32_e32 v41, 0xffff0000, v23
	v_lshlrev_b32_e32 v7, 16, v9
	v_mul_f32_e32 v7, v41, v7
	v_and_b32_e32 v8, 0x7f800000, v7
	v_cmp_ne_u32_e64 s[4:5], s15, v8
                                        ; implicit-def: $agpr14
	s_and_saveexec_b64 s[12:13], s[4:5]
	s_xor_b64 s[4:5], exec, s[12:13]
; %bb.566:                              ;   in Loop: Header=BB393_443 Depth=1
	v_bfe_u32 v8, v7, 16, 1
	v_add3_u32 v7, v7, v8, s21
	v_accvgpr_write_b32 a14, v7
                                        ; implicit-def: $vgpr7
; %bb.567:                              ;   in Loop: Header=BB393_443 Depth=1
	s_andn2_saveexec_b64 s[12:13], s[4:5]
; %bb.568:                              ;   in Loop: Header=BB393_443 Depth=1
	v_or_b32_e32 v8, 0x10000, v7
	v_cmp_eq_u32_sdwa s[4:5], v7, v11 src0_sel:WORD_0 src1_sel:DWORD
	v_cndmask_b32_e64 v7, v8, v7, s[4:5]
	v_accvgpr_write_b32 a14, v7
; %bb.569:                              ;   in Loop: Header=BB393_443 Depth=1
	s_or_b64 exec, exec, s[12:13]
	v_and_b32_e32 v42, 0xffff0000, v22
	v_lshlrev_b32_e32 v7, 16, v27
	v_mul_f32_e32 v7, v42, v7
	v_and_b32_e32 v8, 0x7f800000, v7
	v_cmp_ne_u32_e64 s[4:5], s15, v8
                                        ; implicit-def: $agpr15
	s_and_saveexec_b64 s[12:13], s[4:5]
	s_xor_b64 s[4:5], exec, s[12:13]
; %bb.570:                              ;   in Loop: Header=BB393_443 Depth=1
	v_bfe_u32 v8, v7, 16, 1
	v_add3_u32 v7, v7, v8, s21
	v_accvgpr_write_b32 a15, v7
                                        ; implicit-def: $vgpr7
; %bb.571:                              ;   in Loop: Header=BB393_443 Depth=1
	s_andn2_saveexec_b64 s[12:13], s[4:5]
; %bb.572:                              ;   in Loop: Header=BB393_443 Depth=1
	v_or_b32_e32 v8, 0x10000, v7
	v_cmp_eq_u32_sdwa s[4:5], v7, v11 src0_sel:WORD_0 src1_sel:DWORD
	v_cndmask_b32_e64 v7, v8, v7, s[4:5]
	v_accvgpr_write_b32 a15, v7
; %bb.573:                              ;   in Loop: Header=BB393_443 Depth=1
	s_or_b64 exec, exec, s[12:13]
	v_and_b32_e32 v43, 0xffff0000, v21
	v_lshlrev_b32_e32 v7, 16, v10
	v_mul_f32_e32 v7, v43, v7
	v_and_b32_e32 v8, 0x7f800000, v7
	v_cmp_ne_u32_e64 s[4:5], s15, v8
                                        ; implicit-def: $vgpr36
	s_and_saveexec_b64 s[12:13], s[4:5]
	s_xor_b64 s[4:5], exec, s[12:13]
; %bb.574:                              ;   in Loop: Header=BB393_443 Depth=1
	v_bfe_u32 v8, v7, 16, 1
	v_add3_u32 v36, v7, v8, s21
                                        ; implicit-def: $vgpr7
; %bb.575:                              ;   in Loop: Header=BB393_443 Depth=1
	s_andn2_saveexec_b64 s[12:13], s[4:5]
; %bb.576:                              ;   in Loop: Header=BB393_443 Depth=1
	v_or_b32_e32 v8, 0x10000, v7
	v_cmp_eq_u32_sdwa s[4:5], v7, v11 src0_sel:WORD_0 src1_sel:DWORD
	v_cndmask_b32_e64 v36, v8, v7, s[4:5]
; %bb.577:                              ;   in Loop: Header=BB393_443 Depth=1
	s_or_b64 exec, exec, s[12:13]
	v_and_b32_e32 v44, 0xffff0000, v20
	v_lshlrev_b32_e32 v6, 16, v6
	v_mul_f32_e32 v6, v44, v6
	v_and_b32_e32 v7, 0x7f800000, v6
	v_cmp_ne_u32_e64 s[4:5], s15, v7
                                        ; implicit-def: $vgpr37
	s_and_saveexec_b64 s[12:13], s[4:5]
	s_xor_b64 s[4:5], exec, s[12:13]
; %bb.578:                              ;   in Loop: Header=BB393_443 Depth=1
	v_bfe_u32 v7, v6, 16, 1
	v_add3_u32 v37, v6, v7, s21
                                        ; implicit-def: $vgpr6
; %bb.579:                              ;   in Loop: Header=BB393_443 Depth=1
	s_andn2_saveexec_b64 s[12:13], s[4:5]
; %bb.580:                              ;   in Loop: Header=BB393_443 Depth=1
	v_or_b32_e32 v7, 0x10000, v6
	v_cmp_eq_u32_sdwa s[4:5], v6, v11 src0_sel:WORD_0 src1_sel:DWORD
	v_cndmask_b32_e64 v37, v7, v6, s[4:5]
; %bb.581:                              ;   in Loop: Header=BB393_443 Depth=1
	s_or_b64 exec, exec, s[12:13]
	v_and_b32_e32 v45, 0xffff0000, v5
	v_lshlrev_b32_e32 v3, 16, v3
	v_mul_f32_e32 v3, v45, v3
	v_and_b32_e32 v5, 0x7f800000, v3
	v_cmp_ne_u32_e64 s[4:5], s15, v5
                                        ; implicit-def: $vgpr38
	s_and_saveexec_b64 s[12:13], s[4:5]
	s_xor_b64 s[4:5], exec, s[12:13]
; %bb.582:                              ;   in Loop: Header=BB393_443 Depth=1
	v_bfe_u32 v5, v3, 16, 1
	v_add3_u32 v38, v3, v5, s21
                                        ; implicit-def: $vgpr3
; %bb.583:                              ;   in Loop: Header=BB393_443 Depth=1
	s_andn2_saveexec_b64 s[12:13], s[4:5]
; %bb.584:                              ;   in Loop: Header=BB393_443 Depth=1
	v_or_b32_e32 v5, 0x10000, v3
	v_cmp_eq_u32_sdwa s[4:5], v3, v11 src0_sel:WORD_0 src1_sel:DWORD
	v_cndmask_b32_e64 v38, v5, v3, s[4:5]
; %bb.585:                              ;   in Loop: Header=BB393_443 Depth=1
	s_or_b64 exec, exec, s[12:13]
	v_and_b32_e32 v46, 0xffff0000, v4
	v_lshlrev_b32_e32 v2, 16, v2
	v_mul_f32_e32 v2, v46, v2
	v_and_b32_e32 v3, 0x7f800000, v2
	v_cmp_ne_u32_e64 s[4:5], s15, v3
                                        ; implicit-def: $vgpr54
	s_and_saveexec_b64 s[12:13], s[4:5]
	s_xor_b64 s[4:5], exec, s[12:13]
; %bb.586:                              ;   in Loop: Header=BB393_443 Depth=1
	v_bfe_u32 v3, v2, 16, 1
	v_add3_u32 v54, v2, v3, s21
                                        ; implicit-def: $vgpr2
; %bb.587:                              ;   in Loop: Header=BB393_443 Depth=1
	s_andn2_saveexec_b64 s[12:13], s[4:5]
; %bb.588:                              ;   in Loop: Header=BB393_443 Depth=1
	v_or_b32_e32 v3, 0x10000, v2
	v_cmp_eq_u32_sdwa s[4:5], v2, v11 src0_sel:WORD_0 src1_sel:DWORD
	v_cndmask_b32_e64 v54, v3, v2, s[4:5]
; %bb.589:                              ;   in Loop: Header=BB393_443 Depth=1
	s_or_b64 exec, exec, s[12:13]
	flat_load_dwordx2 v[2:3], v[0:1] offset:512
	v_mov_b32_e32 v4, 0
	s_waitcnt vmcnt(0) lgkmcnt(0)
	v_cmp_ne_u16_sdwa s[4:5], v2, v11 src0_sel:BYTE_0 src1_sel:DWORD
	s_and_saveexec_b64 s[12:13], s[4:5]
	s_cbranch_execz .LBB393_595
; %bb.590:                              ;   in Loop: Header=BB393_443 Depth=1
	v_cmp_ne_u16_sdwa s[4:5], v2, s28 src0_sel:BYTE_0 src1_sel:DWORD
	v_bfrev_b32_e32 v4, 1
	s_and_saveexec_b64 s[24:25], s[4:5]
	s_cbranch_execz .LBB393_594
; %bb.591:                              ;   in Loop: Header=BB393_443 Depth=1
	v_and_b32_e32 v5, 0x7f, v2
	v_cmp_ne_u32_e64 s[4:5], s29, v5
	v_mov_b32_e32 v4, 0x7f800001
	s_and_saveexec_b64 s[26:27], s[4:5]
	s_cbranch_execz .LBB393_593
; %bb.592:                              ;   in Loop: Header=BB393_443 Depth=1
	v_and_b32_e32 v4, 7, v2
	v_ffbh_u32_e32 v4, v4
	v_min_u32_e32 v4, 32, v4
	v_lshrrev_b32_e32 v6, 3, v5
	v_subrev_u32_e32 v7, 28, v4
	v_sub_u32_e32 v4, 29, v4
	v_cmp_gt_u32_e64 s[4:5], 8, v5
	v_cndmask_b32_e64 v6, v6, v4, s[4:5]
	v_cndmask_b32_e64 v4, 0, v7, s[4:5]
	v_lshlrev_b64 v[4:5], v4, v[2:3]
	v_lshlrev_b32_e32 v4, 20, v4
	v_lshlrev_b32_e32 v5, 24, v2
	v_and_b32_e32 v4, 0x700000, v4
	v_and_b32_e32 v5, 0x80000000, v5
	v_lshl_add_u32 v6, v6, 23, v35
	v_or3_b32 v4, v5, v6, v4
.LBB393_593:                            ;   in Loop: Header=BB393_443 Depth=1
	s_or_b64 exec, exec, s[26:27]
.LBB393_594:                            ;   in Loop: Header=BB393_443 Depth=1
	s_or_b64 exec, exec, s[24:25]
.LBB393_595:                            ;   in Loop: Header=BB393_443 Depth=1
	s_or_b64 exec, exec, s[12:13]
	v_mul_f32_e32 v5, v26, v4
	v_and_b32_e32 v4, 0x7f800000, v5
	v_cmp_ne_u32_e64 s[4:5], s15, v4
                                        ; implicit-def: $vgpr4
	s_and_saveexec_b64 s[12:13], s[4:5]
	s_xor_b64 s[4:5], exec, s[12:13]
; %bb.596:                              ;   in Loop: Header=BB393_443 Depth=1
	v_bfe_u32 v4, v5, 16, 1
	v_add3_u32 v4, v5, v4, s21
                                        ; implicit-def: $vgpr5
; %bb.597:                              ;   in Loop: Header=BB393_443 Depth=1
	s_andn2_saveexec_b64 s[12:13], s[4:5]
; %bb.598:                              ;   in Loop: Header=BB393_443 Depth=1
	v_or_b32_e32 v4, 0x10000, v5
	v_cmp_eq_u32_sdwa s[4:5], v5, v11 src0_sel:WORD_0 src1_sel:DWORD
	v_cndmask_b32_e64 v4, v4, v5, s[4:5]
; %bb.599:                              ;   in Loop: Header=BB393_443 Depth=1
	s_or_b64 exec, exec, s[12:13]
	v_lshrrev_b16_e32 v6, 8, v2
	v_cmp_ne_u16_e64 s[4:5], 0, v6
	v_mov_b32_e32 v5, 0
	s_and_saveexec_b64 s[12:13], s[4:5]
	s_cbranch_execz .LBB393_605
; %bb.600:                              ;   in Loop: Header=BB393_443 Depth=1
	v_cmp_ne_u16_e64 s[4:5], s28, v6
	v_bfrev_b32_e32 v5, 1
	s_and_saveexec_b64 s[24:25], s[4:5]
	s_cbranch_execz .LBB393_604
; %bb.601:                              ;   in Loop: Header=BB393_443 Depth=1
	v_and_b32_e32 v7, 0x7f, v6
	v_cmp_ne_u32_e64 s[4:5], s29, v7
	v_mov_b32_e32 v5, 0x7f800001
	s_and_saveexec_b64 s[26:27], s[4:5]
	s_cbranch_execz .LBB393_603
; %bb.602:                              ;   in Loop: Header=BB393_443 Depth=1
	v_and_b32_e32 v5, 7, v6
	v_ffbh_u32_e32 v9, v5
	v_min_u32_e32 v9, 32, v9
	v_subrev_u32_e32 v10, 28, v9
	v_lshlrev_b64 v[20:21], v10, v[6:7]
	v_lshrrev_b32_e32 v8, 3, v7
	v_sub_u32_e32 v6, 29, v9
	v_and_b32_e32 v9, 7, v20
	v_cmp_gt_u32_e64 s[4:5], 8, v7
	v_cndmask_b32_e64 v6, v8, v6, s[4:5]
	v_cndmask_b32_e64 v5, v5, v9, s[4:5]
	v_lshlrev_b32_e32 v7, 16, v2
	v_lshlrev_b32_e32 v5, 20, v5
	v_and_b32_e32 v7, 0x80000000, v7
	v_lshl_add_u32 v6, v6, 23, v35
	v_or3_b32 v5, v7, v6, v5
.LBB393_603:                            ;   in Loop: Header=BB393_443 Depth=1
	s_or_b64 exec, exec, s[26:27]
.LBB393_604:                            ;   in Loop: Header=BB393_443 Depth=1
	s_or_b64 exec, exec, s[24:25]
.LBB393_605:                            ;   in Loop: Header=BB393_443 Depth=1
	s_or_b64 exec, exec, s[12:13]
	v_mul_f32_e32 v6, v26, v5
	v_and_b32_e32 v5, 0x7f800000, v6
	v_cmp_ne_u32_e64 s[4:5], s15, v5
                                        ; implicit-def: $vgpr5
	s_and_saveexec_b64 s[12:13], s[4:5]
	s_xor_b64 s[4:5], exec, s[12:13]
; %bb.606:                              ;   in Loop: Header=BB393_443 Depth=1
	v_bfe_u32 v5, v6, 16, 1
	v_add3_u32 v5, v6, v5, s21
                                        ; implicit-def: $vgpr6
; %bb.607:                              ;   in Loop: Header=BB393_443 Depth=1
	s_andn2_saveexec_b64 s[12:13], s[4:5]
; %bb.608:                              ;   in Loop: Header=BB393_443 Depth=1
	v_or_b32_e32 v5, 0x10000, v6
	v_cmp_eq_u32_sdwa s[4:5], v6, v11 src0_sel:WORD_0 src1_sel:DWORD
	v_cndmask_b32_e64 v5, v5, v6, s[4:5]
; %bb.609:                              ;   in Loop: Header=BB393_443 Depth=1
	s_or_b64 exec, exec, s[12:13]
	v_lshrrev_b32_e32 v6, 16, v2
	v_cmp_ne_u16_sdwa s[4:5], v6, v11 src0_sel:BYTE_0 src1_sel:DWORD
	v_mov_b32_e32 v10, 0
	s_and_saveexec_b64 s[12:13], s[4:5]
	s_cbranch_execz .LBB393_615
; %bb.610:                              ;   in Loop: Header=BB393_443 Depth=1
	v_cmp_ne_u16_sdwa s[4:5], v6, s28 src0_sel:BYTE_0 src1_sel:DWORD
	v_bfrev_b32_e32 v10, 1
	s_and_saveexec_b64 s[24:25], s[4:5]
	s_cbranch_execz .LBB393_614
; %bb.611:                              ;   in Loop: Header=BB393_443 Depth=1
	v_bfe_u32 v7, v2, 16, 7
	v_cmp_ne_u32_e64 s[4:5], s29, v7
	v_mov_b32_e32 v10, 0x7f800001
	s_and_saveexec_b64 s[26:27], s[4:5]
	s_cbranch_execz .LBB393_613
; %bb.612:                              ;   in Loop: Header=BB393_443 Depth=1
	v_and_b32_e32 v8, 7, v6
	v_ffbh_u32_e32 v10, v8
	v_min_u32_e32 v10, 32, v10
	v_subrev_u32_e32 v20, 28, v10
	v_lshlrev_b64 v[20:21], v20, v[6:7]
	v_lshrrev_b32_e32 v9, 3, v7
	v_sub_u32_e32 v10, 29, v10
	v_and_b32_e32 v20, 7, v20
	v_cmp_gt_u32_e64 s[4:5], 8, v7
	v_cndmask_b32_e64 v7, v9, v10, s[4:5]
	v_cndmask_b32_e64 v8, v8, v20, s[4:5]
	v_lshlrev_b32_e32 v6, 24, v6
	v_lshlrev_b32_e32 v8, 20, v8
	v_and_b32_e32 v6, 0x80000000, v6
	v_lshl_add_u32 v7, v7, 23, v35
	v_or3_b32 v10, v6, v7, v8
.LBB393_613:                            ;   in Loop: Header=BB393_443 Depth=1
	s_or_b64 exec, exec, s[26:27]
.LBB393_614:                            ;   in Loop: Header=BB393_443 Depth=1
	s_or_b64 exec, exec, s[24:25]
.LBB393_615:                            ;   in Loop: Header=BB393_443 Depth=1
	s_or_b64 exec, exec, s[12:13]
	v_mul_f32_e32 v6, v26, v10
	v_and_b32_e32 v7, 0x7f800000, v6
	v_cmp_ne_u32_e64 s[4:5], s15, v7
                                        ; implicit-def: $vgpr20
	s_and_saveexec_b64 s[12:13], s[4:5]
	s_xor_b64 s[4:5], exec, s[12:13]
; %bb.616:                              ;   in Loop: Header=BB393_443 Depth=1
	v_bfe_u32 v7, v6, 16, 1
	v_add3_u32 v20, v6, v7, s21
                                        ; implicit-def: $vgpr6
; %bb.617:                              ;   in Loop: Header=BB393_443 Depth=1
	s_andn2_saveexec_b64 s[12:13], s[4:5]
; %bb.618:                              ;   in Loop: Header=BB393_443 Depth=1
	v_or_b32_e32 v7, 0x10000, v6
	v_cmp_eq_u32_sdwa s[4:5], v6, v11 src0_sel:WORD_0 src1_sel:DWORD
	v_cndmask_b32_e64 v20, v7, v6, s[4:5]
; %bb.619:                              ;   in Loop: Header=BB393_443 Depth=1
	s_or_b64 exec, exec, s[12:13]
	v_cmp_lt_u32_e64 s[4:5], s9, v2
	v_mov_b32_e32 v10, 0
	s_and_saveexec_b64 s[12:13], s[4:5]
	s_cbranch_execz .LBB393_625
; %bb.620:                              ;   in Loop: Header=BB393_443 Depth=1
	v_lshrrev_b32_e32 v6, 24, v2
	v_cmp_ne_u32_e64 s[4:5], s28, v6
	v_bfrev_b32_e32 v10, 1
	s_and_saveexec_b64 s[24:25], s[4:5]
	s_cbranch_execz .LBB393_624
; %bb.621:                              ;   in Loop: Header=BB393_443 Depth=1
	v_bfe_u32 v7, v2, 24, 7
	v_cmp_ne_u32_e64 s[4:5], s29, v7
	v_mov_b32_e32 v10, 0x7f800001
	s_and_saveexec_b64 s[26:27], s[4:5]
	s_cbranch_execz .LBB393_623
; %bb.622:                              ;   in Loop: Header=BB393_443 Depth=1
	v_and_b32_e32 v8, 7, v6
	v_ffbh_u32_e32 v10, v8
	v_min_u32_e32 v10, 32, v10
	v_subrev_u32_e32 v21, 28, v10
	v_lshlrev_b64 v[22:23], v21, v[6:7]
	v_lshrrev_b32_e32 v9, 3, v7
	v_sub_u32_e32 v10, 29, v10
	v_and_b32_e32 v21, 7, v22
	v_cmp_gt_u32_e64 s[4:5], 8, v7
	v_cndmask_b32_e64 v7, v9, v10, s[4:5]
	v_cndmask_b32_e64 v8, v8, v21, s[4:5]
	v_lshlrev_b32_e32 v6, 24, v6
	v_lshlrev_b32_e32 v8, 20, v8
	v_and_b32_e32 v6, 0x80000000, v6
	v_lshl_add_u32 v7, v7, 23, v35
	v_or3_b32 v10, v6, v7, v8
.LBB393_623:                            ;   in Loop: Header=BB393_443 Depth=1
	s_or_b64 exec, exec, s[26:27]
.LBB393_624:                            ;   in Loop: Header=BB393_443 Depth=1
	s_or_b64 exec, exec, s[24:25]
.LBB393_625:                            ;   in Loop: Header=BB393_443 Depth=1
	s_or_b64 exec, exec, s[12:13]
	v_mul_f32_e32 v6, v26, v10
	v_and_b32_e32 v7, 0x7f800000, v6
	v_cmp_ne_u32_e64 s[4:5], s15, v7
                                        ; implicit-def: $vgpr21
	s_and_saveexec_b64 s[12:13], s[4:5]
	s_xor_b64 s[4:5], exec, s[12:13]
; %bb.626:                              ;   in Loop: Header=BB393_443 Depth=1
	v_bfe_u32 v7, v6, 16, 1
	v_add3_u32 v21, v6, v7, s21
                                        ; implicit-def: $vgpr6
; %bb.627:                              ;   in Loop: Header=BB393_443 Depth=1
	s_andn2_saveexec_b64 s[12:13], s[4:5]
; %bb.628:                              ;   in Loop: Header=BB393_443 Depth=1
	v_or_b32_e32 v7, 0x10000, v6
	v_cmp_eq_u32_sdwa s[4:5], v6, v11 src0_sel:WORD_0 src1_sel:DWORD
	v_cndmask_b32_e64 v21, v7, v6, s[4:5]
; %bb.629:                              ;   in Loop: Header=BB393_443 Depth=1
	s_or_b64 exec, exec, s[12:13]
	v_mov_b32_e32 v10, v3
	v_cmp_ne_u16_sdwa s[4:5], v3, v11 src0_sel:BYTE_0 src1_sel:DWORD
	v_mov_b32_e32 v6, 0
	s_and_saveexec_b64 s[12:13], s[4:5]
	s_cbranch_execz .LBB393_635
; %bb.630:                              ;   in Loop: Header=BB393_443 Depth=1
	v_cmp_ne_u16_sdwa s[4:5], v3, s28 src0_sel:BYTE_0 src1_sel:DWORD
	v_bfrev_b32_e32 v6, 1
	s_and_saveexec_b64 s[24:25], s[4:5]
	s_cbranch_execz .LBB393_634
; %bb.631:                              ;   in Loop: Header=BB393_443 Depth=1
	v_and_b32_e32 v7, 0x7f, v3
	v_cmp_ne_u32_e64 s[4:5], s29, v7
	v_mov_b32_e32 v6, 0x7f800001
	s_and_saveexec_b64 s[26:27], s[4:5]
	s_cbranch_execz .LBB393_633
; %bb.632:                              ;   in Loop: Header=BB393_443 Depth=1
	v_and_b32_e32 v6, 7, v3
	v_ffbh_u32_e32 v6, v6
	v_min_u32_e32 v6, 32, v6
	v_lshrrev_b32_e32 v8, 3, v7
	v_subrev_u32_e32 v9, 28, v6
	v_sub_u32_e32 v6, 29, v6
	v_cmp_gt_u32_e64 s[4:5], 8, v7
	v_cndmask_b32_e64 v8, v8, v6, s[4:5]
	v_cndmask_b32_e64 v6, 0, v9, s[4:5]
	v_lshlrev_b64 v[6:7], v6, v[10:11]
	v_lshlrev_b32_e32 v6, 20, v6
	v_lshlrev_b32_e32 v7, 24, v10
	v_and_b32_e32 v6, 0x700000, v6
	v_and_b32_e32 v7, 0x80000000, v7
	v_lshl_add_u32 v8, v8, 23, v35
	v_or3_b32 v6, v7, v8, v6
.LBB393_633:                            ;   in Loop: Header=BB393_443 Depth=1
	s_or_b64 exec, exec, s[26:27]
.LBB393_634:                            ;   in Loop: Header=BB393_443 Depth=1
	s_or_b64 exec, exec, s[24:25]
.LBB393_635:                            ;   in Loop: Header=BB393_443 Depth=1
	s_or_b64 exec, exec, s[12:13]
	v_mul_f32_e32 v6, v26, v6
	v_and_b32_e32 v7, 0x7f800000, v6
	v_cmp_ne_u32_e64 s[4:5], s15, v7
                                        ; implicit-def: $vgpr22
	s_and_saveexec_b64 s[12:13], s[4:5]
	s_xor_b64 s[4:5], exec, s[12:13]
; %bb.636:                              ;   in Loop: Header=BB393_443 Depth=1
	v_bfe_u32 v7, v6, 16, 1
	v_add3_u32 v22, v6, v7, s21
                                        ; implicit-def: $vgpr6
; %bb.637:                              ;   in Loop: Header=BB393_443 Depth=1
	s_andn2_saveexec_b64 s[12:13], s[4:5]
; %bb.638:                              ;   in Loop: Header=BB393_443 Depth=1
	v_or_b32_e32 v7, 0x10000, v6
	v_cmp_eq_u32_sdwa s[4:5], v6, v11 src0_sel:WORD_0 src1_sel:DWORD
	v_cndmask_b32_e64 v22, v7, v6, s[4:5]
; %bb.639:                              ;   in Loop: Header=BB393_443 Depth=1
	s_or_b64 exec, exec, s[12:13]
	v_lshrrev_b16_e32 v6, 8, v10
	v_cmp_ne_u16_e64 s[4:5], 0, v6
	v_mov_b32_e32 v23, 0
	s_and_saveexec_b64 s[12:13], s[4:5]
	s_cbranch_execz .LBB393_645
; %bb.640:                              ;   in Loop: Header=BB393_443 Depth=1
	v_cmp_ne_u16_e64 s[4:5], s28, v6
	v_bfrev_b32_e32 v23, 1
	s_and_saveexec_b64 s[24:25], s[4:5]
	s_cbranch_execz .LBB393_644
; %bb.641:                              ;   in Loop: Header=BB393_443 Depth=1
	v_and_b32_e32 v7, 0x7f, v6
	v_cmp_ne_u32_e64 s[4:5], s29, v7
	v_mov_b32_e32 v23, 0x7f800001
	s_and_saveexec_b64 s[26:27], s[4:5]
	s_cbranch_execz .LBB393_643
; %bb.642:                              ;   in Loop: Header=BB393_443 Depth=1
	v_and_b32_e32 v8, 7, v6
	v_ffbh_u32_e32 v23, v8
	v_min_u32_e32 v23, 32, v23
	v_subrev_u32_e32 v24, 28, v23
	v_lshlrev_b64 v[24:25], v24, v[6:7]
	v_lshrrev_b32_e32 v9, 3, v7
	v_sub_u32_e32 v6, 29, v23
	v_and_b32_e32 v23, 7, v24
	v_cmp_gt_u32_e64 s[4:5], 8, v7
	v_cndmask_b32_e64 v6, v9, v6, s[4:5]
	v_cndmask_b32_e64 v7, v8, v23, s[4:5]
	v_lshlrev_b32_e32 v8, 16, v10
	v_lshlrev_b32_e32 v7, 20, v7
	v_and_b32_e32 v8, 0x80000000, v8
	v_lshl_add_u32 v6, v6, 23, v35
	v_or3_b32 v23, v8, v6, v7
.LBB393_643:                            ;   in Loop: Header=BB393_443 Depth=1
	s_or_b64 exec, exec, s[26:27]
.LBB393_644:                            ;   in Loop: Header=BB393_443 Depth=1
	s_or_b64 exec, exec, s[24:25]
.LBB393_645:                            ;   in Loop: Header=BB393_443 Depth=1
	s_or_b64 exec, exec, s[12:13]
	v_mul_f32_e32 v6, v26, v23
	v_and_b32_e32 v7, 0x7f800000, v6
	v_cmp_ne_u32_e64 s[4:5], s15, v7
                                        ; implicit-def: $vgpr10
	s_and_saveexec_b64 s[12:13], s[4:5]
	s_xor_b64 s[4:5], exec, s[12:13]
; %bb.646:                              ;   in Loop: Header=BB393_443 Depth=1
	v_bfe_u32 v7, v6, 16, 1
	v_add3_u32 v10, v6, v7, s21
                                        ; implicit-def: $vgpr6
; %bb.647:                              ;   in Loop: Header=BB393_443 Depth=1
	s_andn2_saveexec_b64 s[12:13], s[4:5]
; %bb.648:                              ;   in Loop: Header=BB393_443 Depth=1
	v_or_b32_e32 v7, 0x10000, v6
	v_cmp_eq_u32_sdwa s[4:5], v6, v11 src0_sel:WORD_0 src1_sel:DWORD
	v_cndmask_b32_e64 v10, v7, v6, s[4:5]
; %bb.649:                              ;   in Loop: Header=BB393_443 Depth=1
	s_or_b64 exec, exec, s[12:13]
	v_lshrrev_b32_e32 v6, 16, v3
	v_cmp_ne_u16_sdwa s[4:5], v6, v11 src0_sel:BYTE_0 src1_sel:DWORD
	v_mov_b32_e32 v23, 0
	s_and_saveexec_b64 s[12:13], s[4:5]
	s_cbranch_execz .LBB393_655
; %bb.650:                              ;   in Loop: Header=BB393_443 Depth=1
	v_cmp_ne_u16_sdwa s[4:5], v6, s28 src0_sel:BYTE_0 src1_sel:DWORD
	v_bfrev_b32_e32 v23, 1
	s_and_saveexec_b64 s[24:25], s[4:5]
	s_cbranch_execz .LBB393_654
; %bb.651:                              ;   in Loop: Header=BB393_443 Depth=1
	v_bfe_u32 v7, v3, 16, 7
	v_cmp_ne_u32_e64 s[4:5], s29, v7
	v_mov_b32_e32 v23, 0x7f800001
	s_and_saveexec_b64 s[26:27], s[4:5]
	s_cbranch_execz .LBB393_653
; %bb.652:                              ;   in Loop: Header=BB393_443 Depth=1
	v_and_b32_e32 v8, 7, v6
	v_ffbh_u32_e32 v23, v8
	v_min_u32_e32 v23, 32, v23
	v_subrev_u32_e32 v24, 28, v23
	v_lshlrev_b64 v[24:25], v24, v[6:7]
	v_lshrrev_b32_e32 v9, 3, v7
	v_sub_u32_e32 v23, 29, v23
	v_and_b32_e32 v24, 7, v24
	v_cmp_gt_u32_e64 s[4:5], 8, v7
	v_cndmask_b32_e64 v7, v9, v23, s[4:5]
	v_cndmask_b32_e64 v8, v8, v24, s[4:5]
	v_lshlrev_b32_e32 v6, 24, v6
	v_lshlrev_b32_e32 v8, 20, v8
	v_and_b32_e32 v6, 0x80000000, v6
	v_lshl_add_u32 v7, v7, 23, v35
	v_or3_b32 v23, v6, v7, v8
.LBB393_653:                            ;   in Loop: Header=BB393_443 Depth=1
	s_or_b64 exec, exec, s[26:27]
.LBB393_654:                            ;   in Loop: Header=BB393_443 Depth=1
	s_or_b64 exec, exec, s[24:25]
.LBB393_655:                            ;   in Loop: Header=BB393_443 Depth=1
	s_or_b64 exec, exec, s[12:13]
	v_mul_f32_e32 v6, v26, v23
	v_and_b32_e32 v7, 0x7f800000, v6
	v_cmp_ne_u32_e64 s[4:5], s15, v7
                                        ; implicit-def: $vgpr23
	s_and_saveexec_b64 s[12:13], s[4:5]
	s_xor_b64 s[4:5], exec, s[12:13]
; %bb.656:                              ;   in Loop: Header=BB393_443 Depth=1
	v_bfe_u32 v7, v6, 16, 1
	v_add3_u32 v23, v6, v7, s21
                                        ; implicit-def: $vgpr6
; %bb.657:                              ;   in Loop: Header=BB393_443 Depth=1
	s_andn2_saveexec_b64 s[12:13], s[4:5]
; %bb.658:                              ;   in Loop: Header=BB393_443 Depth=1
	v_or_b32_e32 v7, 0x10000, v6
	v_cmp_eq_u32_sdwa s[4:5], v6, v11 src0_sel:WORD_0 src1_sel:DWORD
	v_cndmask_b32_e64 v23, v7, v6, s[4:5]
; %bb.659:                              ;   in Loop: Header=BB393_443 Depth=1
	s_or_b64 exec, exec, s[12:13]
	v_cmp_lt_u64_e64 s[4:5], s[8:9], v[2:3]
	v_mov_b32_e32 v6, 0
	s_and_saveexec_b64 s[12:13], s[4:5]
	s_cbranch_execz .LBB393_665
; %bb.660:                              ;   in Loop: Header=BB393_443 Depth=1
	v_lshrrev_b32_e32 v2, 24, v3
	v_cmp_ne_u32_e64 s[4:5], s28, v2
	v_bfrev_b32_e32 v6, 1
	s_and_saveexec_b64 s[24:25], s[4:5]
	s_cbranch_execz .LBB393_664
; %bb.661:                              ;   in Loop: Header=BB393_443 Depth=1
	v_bfe_u32 v3, v3, 24, 7
	v_cmp_ne_u32_e64 s[4:5], s29, v3
	v_mov_b32_e32 v6, 0x7f800001
	s_and_saveexec_b64 s[26:27], s[4:5]
	s_cbranch_execz .LBB393_663
; %bb.662:                              ;   in Loop: Header=BB393_443 Depth=1
	v_and_b32_e32 v8, 7, v2
	v_ffbh_u32_e32 v6, v8
	v_min_u32_e32 v24, 32, v6
	v_subrev_u32_e32 v6, 28, v24
	v_lshlrev_b64 v[6:7], v6, v[2:3]
	v_lshrrev_b32_e32 v9, 3, v3
	v_sub_u32_e32 v7, 29, v24
	v_and_b32_e32 v6, 7, v6
	v_cmp_gt_u32_e64 s[4:5], 8, v3
	v_cndmask_b32_e64 v3, v9, v7, s[4:5]
	v_cndmask_b32_e64 v6, v8, v6, s[4:5]
	v_lshlrev_b32_e32 v2, 24, v2
	v_lshlrev_b32_e32 v6, 20, v6
	v_and_b32_e32 v2, 0x80000000, v2
	v_lshl_add_u32 v3, v3, 23, v35
	v_or3_b32 v6, v2, v3, v6
.LBB393_663:                            ;   in Loop: Header=BB393_443 Depth=1
	s_or_b64 exec, exec, s[26:27]
.LBB393_664:                            ;   in Loop: Header=BB393_443 Depth=1
	s_or_b64 exec, exec, s[24:25]
.LBB393_665:                            ;   in Loop: Header=BB393_443 Depth=1
	s_or_b64 exec, exec, s[12:13]
	v_mul_f32_e32 v3, v26, v6
	v_and_b32_e32 v2, 0x7f800000, v3
	v_cmp_ne_u32_e64 s[4:5], s15, v2
                                        ; implicit-def: $vgpr2
	s_and_saveexec_b64 s[12:13], s[4:5]
	s_xor_b64 s[4:5], exec, s[12:13]
; %bb.666:                              ;   in Loop: Header=BB393_443 Depth=1
	v_bfe_u32 v2, v3, 16, 1
	v_add3_u32 v2, v3, v2, s21
                                        ; implicit-def: $vgpr3
; %bb.667:                              ;   in Loop: Header=BB393_443 Depth=1
	s_andn2_saveexec_b64 s[12:13], s[4:5]
; %bb.668:                              ;   in Loop: Header=BB393_443 Depth=1
	v_or_b32_e32 v2, 0x10000, v3
	v_cmp_eq_u32_sdwa s[4:5], v3, v11 src0_sel:WORD_0 src1_sel:DWORD
	v_cndmask_b32_e64 v2, v2, v3, s[4:5]
; %bb.669:                              ;   in Loop: Header=BB393_443 Depth=1
	s_or_b64 exec, exec, s[12:13]
	v_lshrrev_b32_e32 v6, 16, v10
	v_lshrrev_b32_e32 v10, 16, v22
	;; [unrolled: 1-line block ×8, first 2 shown]
	s_and_saveexec_b64 s[12:13], vcc
	s_cbranch_execz .LBB393_671
; %bb.670:                              ;   in Loop: Header=BB393_443 Depth=1
	v_accvgpr_read_b32 v5, a17
	v_cmp_lt_i32_e64 s[4:5], v5, v32
	v_accvgpr_read_b32 v5, a23
	v_cndmask_b32_e64 v4, 0, v4, s[4:5]
	v_cmp_lt_i32_e64 s[4:5], v5, v32
	v_accvgpr_read_b32 v5, a22
	v_cndmask_b32_e64 v22, 0, v22, s[4:5]
	;; [unrolled: 3-line block ×6, first 2 shown]
	v_cmp_lt_i32_e64 s[4:5], v5, v32
	v_cndmask_b32_e64 v3, 0, v3, s[4:5]
	v_cmp_lt_i32_e64 s[4:5], v17, v32
	v_cndmask_b32_e64 v2, 0, v2, s[4:5]
.LBB393_671:                            ;   in Loop: Header=BB393_443 Depth=1
	s_or_b64 exec, exec, s[12:13]
	v_lshlrev_b32_e32 v4, 16, v4
	v_mul_f32_e32 v4, v55, v4
	v_and_b32_e32 v5, 0x7f800000, v4
	v_cmp_ne_u32_e64 s[4:5], s15, v5
                                        ; implicit-def: $vgpr5
	s_and_saveexec_b64 s[12:13], s[4:5]
	s_xor_b64 s[4:5], exec, s[12:13]
; %bb.672:                              ;   in Loop: Header=BB393_443 Depth=1
	v_bfe_u32 v5, v4, 16, 1
	v_add3_u32 v5, v4, v5, s21
                                        ; implicit-def: $vgpr4
; %bb.673:                              ;   in Loop: Header=BB393_443 Depth=1
	s_andn2_saveexec_b64 s[12:13], s[4:5]
; %bb.674:                              ;   in Loop: Header=BB393_443 Depth=1
	v_or_b32_e32 v5, 0x10000, v4
	v_cmp_eq_u32_sdwa s[4:5], v4, v11 src0_sel:WORD_0 src1_sel:DWORD
	v_cndmask_b32_e64 v5, v5, v4, s[4:5]
; %bb.675:                              ;   in Loop: Header=BB393_443 Depth=1
	s_or_b64 exec, exec, s[12:13]
	v_lshlrev_b32_e32 v4, 16, v22
	v_mul_f32_e32 v4, v40, v4
	v_and_b32_e32 v7, 0x7f800000, v4
	v_cmp_ne_u32_e64 s[4:5], s15, v7
                                        ; implicit-def: $vgpr27
	s_and_saveexec_b64 s[12:13], s[4:5]
	s_xor_b64 s[4:5], exec, s[12:13]
; %bb.676:                              ;   in Loop: Header=BB393_443 Depth=1
	v_bfe_u32 v7, v4, 16, 1
	v_add3_u32 v27, v4, v7, s21
                                        ; implicit-def: $vgpr4
; %bb.677:                              ;   in Loop: Header=BB393_443 Depth=1
	s_andn2_saveexec_b64 s[12:13], s[4:5]
; %bb.678:                              ;   in Loop: Header=BB393_443 Depth=1
	v_or_b32_e32 v7, 0x10000, v4
	v_cmp_eq_u32_sdwa s[4:5], v4, v11 src0_sel:WORD_0 src1_sel:DWORD
	v_cndmask_b32_e64 v27, v7, v4, s[4:5]
; %bb.679:                              ;   in Loop: Header=BB393_443 Depth=1
	s_or_b64 exec, exec, s[12:13]
	v_lshlrev_b32_e32 v4, 16, v20
	v_mul_f32_e32 v4, v41, v4
	v_and_b32_e32 v7, 0x7f800000, v4
	v_cmp_ne_u32_e64 s[4:5], s15, v7
                                        ; implicit-def: $vgpr29
	s_and_saveexec_b64 s[12:13], s[4:5]
	s_xor_b64 s[4:5], exec, s[12:13]
; %bb.680:                              ;   in Loop: Header=BB393_443 Depth=1
	v_bfe_u32 v7, v4, 16, 1
	v_add3_u32 v29, v4, v7, s21
                                        ; implicit-def: $vgpr4
; %bb.681:                              ;   in Loop: Header=BB393_443 Depth=1
	s_andn2_saveexec_b64 s[12:13], s[4:5]
; %bb.682:                              ;   in Loop: Header=BB393_443 Depth=1
	v_or_b32_e32 v7, 0x10000, v4
	v_cmp_eq_u32_sdwa s[4:5], v4, v11 src0_sel:WORD_0 src1_sel:DWORD
	v_cndmask_b32_e64 v29, v7, v4, s[4:5]
; %bb.683:                              ;   in Loop: Header=BB393_443 Depth=1
	s_or_b64 exec, exec, s[12:13]
	v_lshlrev_b32_e32 v4, 16, v21
	v_mul_f32_e32 v4, v42, v4
	v_and_b32_e32 v7, 0x7f800000, v4
	v_cmp_ne_u32_e64 s[4:5], s15, v7
                                        ; implicit-def: $vgpr31
	s_and_saveexec_b64 s[12:13], s[4:5]
	s_xor_b64 s[4:5], exec, s[12:13]
; %bb.684:                              ;   in Loop: Header=BB393_443 Depth=1
	v_bfe_u32 v7, v4, 16, 1
	v_add3_u32 v31, v4, v7, s21
                                        ; implicit-def: $vgpr4
; %bb.685:                              ;   in Loop: Header=BB393_443 Depth=1
	s_andn2_saveexec_b64 s[12:13], s[4:5]
; %bb.686:                              ;   in Loop: Header=BB393_443 Depth=1
	v_or_b32_e32 v7, 0x10000, v4
	v_cmp_eq_u32_sdwa s[4:5], v4, v11 src0_sel:WORD_0 src1_sel:DWORD
	v_cndmask_b32_e64 v31, v7, v4, s[4:5]
; %bb.687:                              ;   in Loop: Header=BB393_443 Depth=1
	s_or_b64 exec, exec, s[12:13]
	v_lshlrev_b32_e32 v4, 16, v10
	v_mul_f32_e32 v4, v43, v4
	v_and_b32_e32 v7, 0x7f800000, v4
	v_cmp_ne_u32_e64 s[4:5], s15, v7
                                        ; implicit-def: $vgpr47
	s_and_saveexec_b64 s[12:13], s[4:5]
	s_xor_b64 s[4:5], exec, s[12:13]
; %bb.688:                              ;   in Loop: Header=BB393_443 Depth=1
	v_bfe_u32 v7, v4, 16, 1
	v_add3_u32 v47, v4, v7, s21
                                        ; implicit-def: $vgpr4
; %bb.689:                              ;   in Loop: Header=BB393_443 Depth=1
	s_andn2_saveexec_b64 s[12:13], s[4:5]
; %bb.690:                              ;   in Loop: Header=BB393_443 Depth=1
	v_or_b32_e32 v7, 0x10000, v4
	v_cmp_eq_u32_sdwa s[4:5], v4, v11 src0_sel:WORD_0 src1_sel:DWORD
	v_cndmask_b32_e64 v47, v7, v4, s[4:5]
; %bb.691:                              ;   in Loop: Header=BB393_443 Depth=1
	s_or_b64 exec, exec, s[12:13]
	v_lshlrev_b32_e32 v4, 16, v6
	v_mul_f32_e32 v4, v44, v4
	v_and_b32_e32 v6, 0x7f800000, v4
	v_cmp_ne_u32_e64 s[4:5], s15, v6
                                        ; implicit-def: $vgpr56
	s_and_saveexec_b64 s[12:13], s[4:5]
	s_xor_b64 s[4:5], exec, s[12:13]
; %bb.692:                              ;   in Loop: Header=BB393_443 Depth=1
	v_bfe_u32 v6, v4, 16, 1
	v_add3_u32 v56, v4, v6, s21
                                        ; implicit-def: $vgpr4
; %bb.693:                              ;   in Loop: Header=BB393_443 Depth=1
	s_andn2_saveexec_b64 s[12:13], s[4:5]
; %bb.694:                              ;   in Loop: Header=BB393_443 Depth=1
	v_or_b32_e32 v6, 0x10000, v4
	v_cmp_eq_u32_sdwa s[4:5], v4, v11 src0_sel:WORD_0 src1_sel:DWORD
	v_cndmask_b32_e64 v56, v6, v4, s[4:5]
; %bb.695:                              ;   in Loop: Header=BB393_443 Depth=1
	s_or_b64 exec, exec, s[12:13]
	v_lshlrev_b32_e32 v3, 16, v3
	v_mul_f32_e32 v3, v45, v3
	v_and_b32_e32 v4, 0x7f800000, v3
	v_cmp_ne_u32_e64 s[4:5], s15, v4
                                        ; implicit-def: $vgpr57
	s_and_saveexec_b64 s[12:13], s[4:5]
	s_xor_b64 s[4:5], exec, s[12:13]
; %bb.696:                              ;   in Loop: Header=BB393_443 Depth=1
	v_bfe_u32 v4, v3, 16, 1
	v_add3_u32 v57, v3, v4, s21
                                        ; implicit-def: $vgpr3
; %bb.697:                              ;   in Loop: Header=BB393_443 Depth=1
	s_andn2_saveexec_b64 s[12:13], s[4:5]
; %bb.698:                              ;   in Loop: Header=BB393_443 Depth=1
	v_or_b32_e32 v4, 0x10000, v3
	v_cmp_eq_u32_sdwa s[4:5], v3, v11 src0_sel:WORD_0 src1_sel:DWORD
	v_cndmask_b32_e64 v57, v4, v3, s[4:5]
; %bb.699:                              ;   in Loop: Header=BB393_443 Depth=1
	s_or_b64 exec, exec, s[12:13]
	v_lshlrev_b32_e32 v2, 16, v2
	v_mul_f32_e32 v2, v46, v2
	v_and_b32_e32 v3, 0x7f800000, v2
	v_cmp_ne_u32_e64 s[4:5], s15, v3
                                        ; implicit-def: $vgpr58
	s_and_saveexec_b64 s[12:13], s[4:5]
	s_xor_b64 s[4:5], exec, s[12:13]
; %bb.700:                              ;   in Loop: Header=BB393_443 Depth=1
	v_bfe_u32 v3, v2, 16, 1
	v_add3_u32 v58, v2, v3, s21
                                        ; implicit-def: $vgpr2
; %bb.701:                              ;   in Loop: Header=BB393_443 Depth=1
	s_andn2_saveexec_b64 s[12:13], s[4:5]
; %bb.702:                              ;   in Loop: Header=BB393_443 Depth=1
	v_or_b32_e32 v3, 0x10000, v2
	v_cmp_eq_u32_sdwa s[4:5], v2, v11 src0_sel:WORD_0 src1_sel:DWORD
	v_cndmask_b32_e64 v58, v3, v2, s[4:5]
; %bb.703:                              ;   in Loop: Header=BB393_443 Depth=1
	s_or_b64 exec, exec, s[12:13]
	flat_load_dwordx2 v[2:3], v[0:1] offset:1024
	v_mov_b32_e32 v4, 0
	s_waitcnt vmcnt(0) lgkmcnt(0)
	v_cmp_ne_u16_sdwa s[4:5], v2, v11 src0_sel:BYTE_0 src1_sel:DWORD
	s_and_saveexec_b64 s[12:13], s[4:5]
	s_cbranch_execz .LBB393_709
; %bb.704:                              ;   in Loop: Header=BB393_443 Depth=1
	v_cmp_ne_u16_sdwa s[4:5], v2, s28 src0_sel:BYTE_0 src1_sel:DWORD
	v_bfrev_b32_e32 v4, 1
	s_and_saveexec_b64 s[24:25], s[4:5]
	s_cbranch_execz .LBB393_708
; %bb.705:                              ;   in Loop: Header=BB393_443 Depth=1
	v_and_b32_e32 v6, 0x7f, v2
	v_cmp_ne_u32_e64 s[4:5], s29, v6
	v_mov_b32_e32 v4, 0x7f800001
	s_and_saveexec_b64 s[26:27], s[4:5]
	s_cbranch_execz .LBB393_707
; %bb.706:                              ;   in Loop: Header=BB393_443 Depth=1
	v_and_b32_e32 v4, 7, v2
	v_ffbh_u32_e32 v4, v4
	v_min_u32_e32 v4, 32, v4
	v_subrev_u32_e32 v8, 28, v4
	v_cmp_gt_u32_e64 s[4:5], 8, v6
	v_lshrrev_b32_e32 v7, 3, v6
	v_sub_u32_e32 v4, 29, v4
	v_cndmask_b32_e64 v6, 0, v8, s[4:5]
	v_cndmask_b32_e64 v4, v7, v4, s[4:5]
	v_lshlrev_b64 v[6:7], v6, v[2:3]
	v_lshlrev_b32_e32 v6, 20, v6
	v_lshlrev_b32_e32 v7, 24, v2
	v_and_b32_e32 v6, 0x700000, v6
	v_and_b32_e32 v7, 0x80000000, v7
	v_lshl_add_u32 v4, v4, 23, v35
	v_or3_b32 v4, v7, v4, v6
.LBB393_707:                            ;   in Loop: Header=BB393_443 Depth=1
	s_or_b64 exec, exec, s[26:27]
.LBB393_708:                            ;   in Loop: Header=BB393_443 Depth=1
	s_or_b64 exec, exec, s[24:25]
.LBB393_709:                            ;   in Loop: Header=BB393_443 Depth=1
	s_or_b64 exec, exec, s[12:13]
	v_mul_f32_e32 v6, v26, v4
	v_and_b32_e32 v4, 0x7f800000, v6
	v_cmp_ne_u32_e64 s[4:5], s15, v4
                                        ; implicit-def: $vgpr4
	s_and_saveexec_b64 s[12:13], s[4:5]
	s_xor_b64 s[4:5], exec, s[12:13]
; %bb.710:                              ;   in Loop: Header=BB393_443 Depth=1
	v_bfe_u32 v4, v6, 16, 1
	v_add3_u32 v4, v6, v4, s21
                                        ; implicit-def: $vgpr6
; %bb.711:                              ;   in Loop: Header=BB393_443 Depth=1
	s_andn2_saveexec_b64 s[12:13], s[4:5]
; %bb.712:                              ;   in Loop: Header=BB393_443 Depth=1
	v_or_b32_e32 v4, 0x10000, v6
	v_cmp_eq_u32_sdwa s[4:5], v6, v11 src0_sel:WORD_0 src1_sel:DWORD
	v_cndmask_b32_e64 v4, v4, v6, s[4:5]
; %bb.713:                              ;   in Loop: Header=BB393_443 Depth=1
	s_or_b64 exec, exec, s[12:13]
	v_lshrrev_b16_e32 v6, 8, v2
	v_cmp_ne_u16_e64 s[4:5], 0, v6
	v_mov_b32_e32 v10, 0
	s_and_saveexec_b64 s[12:13], s[4:5]
	s_cbranch_execz .LBB393_719
; %bb.714:                              ;   in Loop: Header=BB393_443 Depth=1
	v_cmp_ne_u16_e64 s[4:5], s28, v6
	v_bfrev_b32_e32 v10, 1
	s_and_saveexec_b64 s[24:25], s[4:5]
	s_cbranch_execz .LBB393_718
; %bb.715:                              ;   in Loop: Header=BB393_443 Depth=1
	v_and_b32_e32 v7, 0x7f, v6
	v_cmp_ne_u32_e64 s[4:5], s29, v7
	v_mov_b32_e32 v10, 0x7f800001
	s_and_saveexec_b64 s[26:27], s[4:5]
	s_cbranch_execz .LBB393_717
; %bb.716:                              ;   in Loop: Header=BB393_443 Depth=1
	v_and_b32_e32 v8, 7, v6
	v_ffbh_u32_e32 v10, v8
	v_min_u32_e32 v10, 32, v10
	v_subrev_u32_e32 v20, 28, v10
	v_lshlrev_b64 v[20:21], v20, v[6:7]
	v_lshrrev_b32_e32 v9, 3, v7
	v_sub_u32_e32 v6, 29, v10
	v_and_b32_e32 v10, 7, v20
	v_cmp_gt_u32_e64 s[4:5], 8, v7
	v_cndmask_b32_e64 v6, v9, v6, s[4:5]
	v_cndmask_b32_e64 v7, v8, v10, s[4:5]
	v_lshlrev_b32_e32 v8, 16, v2
	v_lshlrev_b32_e32 v7, 20, v7
	v_and_b32_e32 v8, 0x80000000, v8
	v_lshl_add_u32 v6, v6, 23, v35
	v_or3_b32 v10, v8, v6, v7
.LBB393_717:                            ;   in Loop: Header=BB393_443 Depth=1
	s_or_b64 exec, exec, s[26:27]
.LBB393_718:                            ;   in Loop: Header=BB393_443 Depth=1
	s_or_b64 exec, exec, s[24:25]
.LBB393_719:                            ;   in Loop: Header=BB393_443 Depth=1
	s_or_b64 exec, exec, s[12:13]
	v_mul_f32_e32 v6, v26, v10
	v_and_b32_e32 v7, 0x7f800000, v6
	v_cmp_ne_u32_e64 s[4:5], s15, v7
                                        ; implicit-def: $vgpr20
	s_and_saveexec_b64 s[12:13], s[4:5]
	s_xor_b64 s[4:5], exec, s[12:13]
; %bb.720:                              ;   in Loop: Header=BB393_443 Depth=1
	v_bfe_u32 v7, v6, 16, 1
	v_add3_u32 v20, v6, v7, s21
                                        ; implicit-def: $vgpr6
; %bb.721:                              ;   in Loop: Header=BB393_443 Depth=1
	s_andn2_saveexec_b64 s[12:13], s[4:5]
; %bb.722:                              ;   in Loop: Header=BB393_443 Depth=1
	v_or_b32_e32 v7, 0x10000, v6
	v_cmp_eq_u32_sdwa s[4:5], v6, v11 src0_sel:WORD_0 src1_sel:DWORD
	v_cndmask_b32_e64 v20, v7, v6, s[4:5]
; %bb.723:                              ;   in Loop: Header=BB393_443 Depth=1
	s_or_b64 exec, exec, s[12:13]
	v_lshrrev_b32_e32 v6, 16, v2
	v_cmp_ne_u16_sdwa s[4:5], v6, v11 src0_sel:BYTE_0 src1_sel:DWORD
	v_mov_b32_e32 v10, 0
	s_and_saveexec_b64 s[12:13], s[4:5]
	s_cbranch_execz .LBB393_729
; %bb.724:                              ;   in Loop: Header=BB393_443 Depth=1
	v_cmp_ne_u16_sdwa s[4:5], v6, s28 src0_sel:BYTE_0 src1_sel:DWORD
	v_bfrev_b32_e32 v10, 1
	s_and_saveexec_b64 s[24:25], s[4:5]
	s_cbranch_execz .LBB393_728
; %bb.725:                              ;   in Loop: Header=BB393_443 Depth=1
	v_bfe_u32 v7, v2, 16, 7
	v_cmp_ne_u32_e64 s[4:5], s29, v7
	v_mov_b32_e32 v10, 0x7f800001
	s_and_saveexec_b64 s[26:27], s[4:5]
	s_cbranch_execz .LBB393_727
; %bb.726:                              ;   in Loop: Header=BB393_443 Depth=1
	v_and_b32_e32 v8, 7, v6
	v_ffbh_u32_e32 v10, v8
	v_min_u32_e32 v10, 32, v10
	v_subrev_u32_e32 v21, 28, v10
	v_lshlrev_b64 v[22:23], v21, v[6:7]
	v_lshrrev_b32_e32 v9, 3, v7
	v_sub_u32_e32 v10, 29, v10
	v_and_b32_e32 v21, 7, v22
	v_cmp_gt_u32_e64 s[4:5], 8, v7
	v_cndmask_b32_e64 v7, v9, v10, s[4:5]
	v_cndmask_b32_e64 v8, v8, v21, s[4:5]
	v_lshlrev_b32_e32 v6, 24, v6
	v_lshlrev_b32_e32 v8, 20, v8
	v_and_b32_e32 v6, 0x80000000, v6
	v_lshl_add_u32 v7, v7, 23, v35
	v_or3_b32 v10, v6, v7, v8
.LBB393_727:                            ;   in Loop: Header=BB393_443 Depth=1
	s_or_b64 exec, exec, s[26:27]
.LBB393_728:                            ;   in Loop: Header=BB393_443 Depth=1
	s_or_b64 exec, exec, s[24:25]
.LBB393_729:                            ;   in Loop: Header=BB393_443 Depth=1
	s_or_b64 exec, exec, s[12:13]
	v_mul_f32_e32 v6, v26, v10
	v_and_b32_e32 v7, 0x7f800000, v6
	v_cmp_ne_u32_e64 s[4:5], s15, v7
                                        ; implicit-def: $vgpr21
	s_and_saveexec_b64 s[12:13], s[4:5]
	s_xor_b64 s[4:5], exec, s[12:13]
; %bb.730:                              ;   in Loop: Header=BB393_443 Depth=1
	v_bfe_u32 v7, v6, 16, 1
	v_add3_u32 v21, v6, v7, s21
                                        ; implicit-def: $vgpr6
; %bb.731:                              ;   in Loop: Header=BB393_443 Depth=1
	s_andn2_saveexec_b64 s[12:13], s[4:5]
; %bb.732:                              ;   in Loop: Header=BB393_443 Depth=1
	v_or_b32_e32 v7, 0x10000, v6
	v_cmp_eq_u32_sdwa s[4:5], v6, v11 src0_sel:WORD_0 src1_sel:DWORD
	v_cndmask_b32_e64 v21, v7, v6, s[4:5]
; %bb.733:                              ;   in Loop: Header=BB393_443 Depth=1
	s_or_b64 exec, exec, s[12:13]
	v_cmp_lt_u32_e64 s[4:5], s9, v2
	v_mov_b32_e32 v10, 0
	s_and_saveexec_b64 s[12:13], s[4:5]
	s_cbranch_execz .LBB393_739
; %bb.734:                              ;   in Loop: Header=BB393_443 Depth=1
	v_lshrrev_b32_e32 v6, 24, v2
	v_cmp_ne_u32_e64 s[4:5], s28, v6
	v_bfrev_b32_e32 v10, 1
	s_and_saveexec_b64 s[24:25], s[4:5]
	s_cbranch_execz .LBB393_738
; %bb.735:                              ;   in Loop: Header=BB393_443 Depth=1
	v_bfe_u32 v7, v2, 24, 7
	v_cmp_ne_u32_e64 s[4:5], s29, v7
	v_mov_b32_e32 v10, 0x7f800001
	s_and_saveexec_b64 s[26:27], s[4:5]
	s_cbranch_execz .LBB393_737
; %bb.736:                              ;   in Loop: Header=BB393_443 Depth=1
	v_and_b32_e32 v8, 7, v6
	v_ffbh_u32_e32 v10, v8
	v_min_u32_e32 v10, 32, v10
	v_subrev_u32_e32 v22, 28, v10
	v_lshlrev_b64 v[22:23], v22, v[6:7]
	v_lshrrev_b32_e32 v9, 3, v7
	v_sub_u32_e32 v10, 29, v10
	v_and_b32_e32 v22, 7, v22
	v_cmp_gt_u32_e64 s[4:5], 8, v7
	v_cndmask_b32_e64 v7, v9, v10, s[4:5]
	v_cndmask_b32_e64 v8, v8, v22, s[4:5]
	v_lshlrev_b32_e32 v6, 24, v6
	v_lshlrev_b32_e32 v8, 20, v8
	v_and_b32_e32 v6, 0x80000000, v6
	v_lshl_add_u32 v7, v7, 23, v35
	v_or3_b32 v10, v6, v7, v8
.LBB393_737:                            ;   in Loop: Header=BB393_443 Depth=1
	s_or_b64 exec, exec, s[26:27]
.LBB393_738:                            ;   in Loop: Header=BB393_443 Depth=1
	s_or_b64 exec, exec, s[24:25]
.LBB393_739:                            ;   in Loop: Header=BB393_443 Depth=1
	s_or_b64 exec, exec, s[12:13]
	v_mul_f32_e32 v6, v26, v10
	v_and_b32_e32 v7, 0x7f800000, v6
	v_cmp_ne_u32_e64 s[4:5], s15, v7
                                        ; implicit-def: $vgpr22
	s_and_saveexec_b64 s[12:13], s[4:5]
	s_xor_b64 s[4:5], exec, s[12:13]
; %bb.740:                              ;   in Loop: Header=BB393_443 Depth=1
	v_bfe_u32 v7, v6, 16, 1
	v_add3_u32 v22, v6, v7, s21
                                        ; implicit-def: $vgpr6
; %bb.741:                              ;   in Loop: Header=BB393_443 Depth=1
	s_andn2_saveexec_b64 s[12:13], s[4:5]
; %bb.742:                              ;   in Loop: Header=BB393_443 Depth=1
	v_or_b32_e32 v7, 0x10000, v6
	v_cmp_eq_u32_sdwa s[4:5], v6, v11 src0_sel:WORD_0 src1_sel:DWORD
	v_cndmask_b32_e64 v22, v7, v6, s[4:5]
; %bb.743:                              ;   in Loop: Header=BB393_443 Depth=1
	s_or_b64 exec, exec, s[12:13]
	v_mov_b32_e32 v10, v3
	v_cmp_ne_u16_sdwa s[4:5], v3, v11 src0_sel:BYTE_0 src1_sel:DWORD
	v_mov_b32_e32 v6, 0
	s_and_saveexec_b64 s[12:13], s[4:5]
	s_cbranch_execz .LBB393_749
; %bb.744:                              ;   in Loop: Header=BB393_443 Depth=1
	v_cmp_ne_u16_sdwa s[4:5], v3, s28 src0_sel:BYTE_0 src1_sel:DWORD
	v_bfrev_b32_e32 v6, 1
	s_and_saveexec_b64 s[24:25], s[4:5]
	s_cbranch_execz .LBB393_748
; %bb.745:                              ;   in Loop: Header=BB393_443 Depth=1
	v_and_b32_e32 v7, 0x7f, v3
	v_cmp_ne_u32_e64 s[4:5], s29, v7
	v_mov_b32_e32 v6, 0x7f800001
	s_and_saveexec_b64 s[26:27], s[4:5]
	s_cbranch_execz .LBB393_747
; %bb.746:                              ;   in Loop: Header=BB393_443 Depth=1
	v_and_b32_e32 v6, 7, v3
	v_ffbh_u32_e32 v6, v6
	v_min_u32_e32 v6, 32, v6
	v_lshrrev_b32_e32 v8, 3, v7
	v_subrev_u32_e32 v9, 28, v6
	v_sub_u32_e32 v6, 29, v6
	v_cmp_gt_u32_e64 s[4:5], 8, v7
	v_cndmask_b32_e64 v8, v8, v6, s[4:5]
	v_cndmask_b32_e64 v6, 0, v9, s[4:5]
	v_lshlrev_b64 v[6:7], v6, v[10:11]
	v_lshlrev_b32_e32 v6, 20, v6
	v_lshlrev_b32_e32 v7, 24, v10
	v_and_b32_e32 v6, 0x700000, v6
	v_and_b32_e32 v7, 0x80000000, v7
	v_lshl_add_u32 v8, v8, 23, v35
	v_or3_b32 v6, v7, v8, v6
.LBB393_747:                            ;   in Loop: Header=BB393_443 Depth=1
	s_or_b64 exec, exec, s[26:27]
.LBB393_748:                            ;   in Loop: Header=BB393_443 Depth=1
	s_or_b64 exec, exec, s[24:25]
.LBB393_749:                            ;   in Loop: Header=BB393_443 Depth=1
	s_or_b64 exec, exec, s[12:13]
	v_mul_f32_e32 v6, v26, v6
	v_and_b32_e32 v7, 0x7f800000, v6
	v_cmp_ne_u32_e64 s[4:5], s15, v7
                                        ; implicit-def: $vgpr23
	s_and_saveexec_b64 s[12:13], s[4:5]
	s_xor_b64 s[4:5], exec, s[12:13]
; %bb.750:                              ;   in Loop: Header=BB393_443 Depth=1
	v_bfe_u32 v7, v6, 16, 1
	v_add3_u32 v23, v6, v7, s21
                                        ; implicit-def: $vgpr6
; %bb.751:                              ;   in Loop: Header=BB393_443 Depth=1
	s_andn2_saveexec_b64 s[12:13], s[4:5]
; %bb.752:                              ;   in Loop: Header=BB393_443 Depth=1
	v_or_b32_e32 v7, 0x10000, v6
	v_cmp_eq_u32_sdwa s[4:5], v6, v11 src0_sel:WORD_0 src1_sel:DWORD
	v_cndmask_b32_e64 v23, v7, v6, s[4:5]
; %bb.753:                              ;   in Loop: Header=BB393_443 Depth=1
	s_or_b64 exec, exec, s[12:13]
	v_lshrrev_b16_e32 v6, 8, v10
	v_cmp_ne_u16_e64 s[4:5], 0, v6
	v_mov_b32_e32 v24, 0
	s_and_saveexec_b64 s[12:13], s[4:5]
	s_cbranch_execz .LBB393_759
; %bb.754:                              ;   in Loop: Header=BB393_443 Depth=1
	v_cmp_ne_u16_e64 s[4:5], s28, v6
	v_bfrev_b32_e32 v24, 1
	s_and_saveexec_b64 s[24:25], s[4:5]
	s_cbranch_execz .LBB393_758
; %bb.755:                              ;   in Loop: Header=BB393_443 Depth=1
	v_and_b32_e32 v7, 0x7f, v6
	v_cmp_ne_u32_e64 s[4:5], s29, v7
	v_mov_b32_e32 v24, 0x7f800001
	s_and_saveexec_b64 s[26:27], s[4:5]
	s_cbranch_execz .LBB393_757
; %bb.756:                              ;   in Loop: Header=BB393_443 Depth=1
	v_and_b32_e32 v8, 7, v6
	v_ffbh_u32_e32 v24, v8
	v_min_u32_e32 v28, 32, v24
	v_subrev_u32_e32 v24, 28, v28
	v_lshlrev_b64 v[24:25], v24, v[6:7]
	v_lshrrev_b32_e32 v9, 3, v7
	v_sub_u32_e32 v6, 29, v28
	v_and_b32_e32 v24, 7, v24
	v_cmp_gt_u32_e64 s[4:5], 8, v7
	v_cndmask_b32_e64 v6, v9, v6, s[4:5]
	v_cndmask_b32_e64 v7, v8, v24, s[4:5]
	v_lshlrev_b32_e32 v8, 16, v10
	v_lshlrev_b32_e32 v7, 20, v7
	v_and_b32_e32 v8, 0x80000000, v8
	v_lshl_add_u32 v6, v6, 23, v35
	v_or3_b32 v24, v8, v6, v7
.LBB393_757:                            ;   in Loop: Header=BB393_443 Depth=1
	s_or_b64 exec, exec, s[26:27]
.LBB393_758:                            ;   in Loop: Header=BB393_443 Depth=1
	s_or_b64 exec, exec, s[24:25]
.LBB393_759:                            ;   in Loop: Header=BB393_443 Depth=1
	s_or_b64 exec, exec, s[12:13]
	v_mul_f32_e32 v6, v26, v24
	v_and_b32_e32 v7, 0x7f800000, v6
	v_cmp_ne_u32_e64 s[4:5], s15, v7
                                        ; implicit-def: $vgpr10
	s_and_saveexec_b64 s[12:13], s[4:5]
	s_xor_b64 s[4:5], exec, s[12:13]
; %bb.760:                              ;   in Loop: Header=BB393_443 Depth=1
	v_bfe_u32 v7, v6, 16, 1
	v_add3_u32 v10, v6, v7, s21
                                        ; implicit-def: $vgpr6
; %bb.761:                              ;   in Loop: Header=BB393_443 Depth=1
	s_andn2_saveexec_b64 s[12:13], s[4:5]
; %bb.762:                              ;   in Loop: Header=BB393_443 Depth=1
	v_or_b32_e32 v7, 0x10000, v6
	v_cmp_eq_u32_sdwa s[4:5], v6, v11 src0_sel:WORD_0 src1_sel:DWORD
	v_cndmask_b32_e64 v10, v7, v6, s[4:5]
; %bb.763:                              ;   in Loop: Header=BB393_443 Depth=1
	s_or_b64 exec, exec, s[12:13]
	v_lshrrev_b32_e32 v6, 16, v3
	v_cmp_ne_u16_sdwa s[4:5], v6, v11 src0_sel:BYTE_0 src1_sel:DWORD
	v_mov_b32_e32 v24, 0
	s_and_saveexec_b64 s[12:13], s[4:5]
	s_cbranch_execz .LBB393_769
; %bb.764:                              ;   in Loop: Header=BB393_443 Depth=1
	v_cmp_ne_u16_sdwa s[4:5], v6, s28 src0_sel:BYTE_0 src1_sel:DWORD
	v_bfrev_b32_e32 v24, 1
	s_and_saveexec_b64 s[24:25], s[4:5]
	s_cbranch_execz .LBB393_768
; %bb.765:                              ;   in Loop: Header=BB393_443 Depth=1
	v_bfe_u32 v7, v3, 16, 7
	v_cmp_ne_u32_e64 s[4:5], s29, v7
	v_mov_b32_e32 v24, 0x7f800001
	s_and_saveexec_b64 s[26:27], s[4:5]
	s_cbranch_execz .LBB393_767
; %bb.766:                              ;   in Loop: Header=BB393_443 Depth=1
	v_and_b32_e32 v8, 7, v6
	v_ffbh_u32_e32 v24, v8
	v_min_u32_e32 v28, 32, v24
	v_subrev_u32_e32 v24, 28, v28
	v_lshlrev_b64 v[24:25], v24, v[6:7]
	v_lshrrev_b32_e32 v9, 3, v7
	v_sub_u32_e32 v25, 29, v28
	v_and_b32_e32 v24, 7, v24
	v_cmp_gt_u32_e64 s[4:5], 8, v7
	v_cndmask_b32_e64 v7, v9, v25, s[4:5]
	v_cndmask_b32_e64 v8, v8, v24, s[4:5]
	v_lshlrev_b32_e32 v6, 24, v6
	v_lshlrev_b32_e32 v8, 20, v8
	v_and_b32_e32 v6, 0x80000000, v6
	v_lshl_add_u32 v7, v7, 23, v35
	v_or3_b32 v24, v6, v7, v8
.LBB393_767:                            ;   in Loop: Header=BB393_443 Depth=1
	s_or_b64 exec, exec, s[26:27]
.LBB393_768:                            ;   in Loop: Header=BB393_443 Depth=1
	s_or_b64 exec, exec, s[24:25]
.LBB393_769:                            ;   in Loop: Header=BB393_443 Depth=1
	s_or_b64 exec, exec, s[12:13]
	v_mul_f32_e32 v6, v26, v24
	v_and_b32_e32 v7, 0x7f800000, v6
	v_cmp_ne_u32_e64 s[4:5], s15, v7
                                        ; implicit-def: $vgpr24
	s_and_saveexec_b64 s[12:13], s[4:5]
	s_xor_b64 s[4:5], exec, s[12:13]
; %bb.770:                              ;   in Loop: Header=BB393_443 Depth=1
	v_bfe_u32 v7, v6, 16, 1
	v_add3_u32 v24, v6, v7, s21
                                        ; implicit-def: $vgpr6
; %bb.771:                              ;   in Loop: Header=BB393_443 Depth=1
	s_andn2_saveexec_b64 s[12:13], s[4:5]
; %bb.772:                              ;   in Loop: Header=BB393_443 Depth=1
	v_or_b32_e32 v7, 0x10000, v6
	v_cmp_eq_u32_sdwa s[4:5], v6, v11 src0_sel:WORD_0 src1_sel:DWORD
	v_cndmask_b32_e64 v24, v7, v6, s[4:5]
; %bb.773:                              ;   in Loop: Header=BB393_443 Depth=1
	s_or_b64 exec, exec, s[12:13]
	v_cmp_lt_u64_e64 s[4:5], s[8:9], v[2:3]
	v_mov_b32_e32 v6, 0
	s_and_saveexec_b64 s[12:13], s[4:5]
	s_cbranch_execz .LBB393_779
; %bb.774:                              ;   in Loop: Header=BB393_443 Depth=1
	v_lshrrev_b32_e32 v2, 24, v3
	v_cmp_ne_u32_e64 s[4:5], s28, v2
	v_bfrev_b32_e32 v6, 1
	s_and_saveexec_b64 s[24:25], s[4:5]
	s_cbranch_execz .LBB393_778
; %bb.775:                              ;   in Loop: Header=BB393_443 Depth=1
	v_bfe_u32 v3, v3, 24, 7
	v_cmp_ne_u32_e64 s[4:5], s29, v3
	v_mov_b32_e32 v6, 0x7f800001
	s_and_saveexec_b64 s[26:27], s[4:5]
	s_cbranch_execz .LBB393_777
; %bb.776:                              ;   in Loop: Header=BB393_443 Depth=1
	v_and_b32_e32 v8, 7, v2
	v_ffbh_u32_e32 v6, v8
	v_min_u32_e32 v25, 32, v6
	v_subrev_u32_e32 v6, 28, v25
	v_lshlrev_b64 v[6:7], v6, v[2:3]
	v_lshrrev_b32_e32 v9, 3, v3
	v_sub_u32_e32 v7, 29, v25
	v_and_b32_e32 v6, 7, v6
	v_cmp_gt_u32_e64 s[4:5], 8, v3
	v_cndmask_b32_e64 v3, v9, v7, s[4:5]
	v_cndmask_b32_e64 v6, v8, v6, s[4:5]
	v_lshlrev_b32_e32 v2, 24, v2
	v_lshlrev_b32_e32 v6, 20, v6
	v_and_b32_e32 v2, 0x80000000, v2
	v_lshl_add_u32 v3, v3, 23, v35
	v_or3_b32 v6, v2, v3, v6
.LBB393_777:                            ;   in Loop: Header=BB393_443 Depth=1
	s_or_b64 exec, exec, s[26:27]
.LBB393_778:                            ;   in Loop: Header=BB393_443 Depth=1
	s_or_b64 exec, exec, s[24:25]
.LBB393_779:                            ;   in Loop: Header=BB393_443 Depth=1
	s_or_b64 exec, exec, s[12:13]
	v_mul_f32_e32 v3, v26, v6
	v_and_b32_e32 v2, 0x7f800000, v3
	v_cmp_ne_u32_e64 s[4:5], s15, v2
                                        ; implicit-def: $vgpr2
	s_and_saveexec_b64 s[12:13], s[4:5]
	s_xor_b64 s[4:5], exec, s[12:13]
; %bb.780:                              ;   in Loop: Header=BB393_443 Depth=1
	v_bfe_u32 v2, v3, 16, 1
	v_add3_u32 v2, v3, v2, s21
                                        ; implicit-def: $vgpr3
; %bb.781:                              ;   in Loop: Header=BB393_443 Depth=1
	s_andn2_saveexec_b64 s[12:13], s[4:5]
; %bb.782:                              ;   in Loop: Header=BB393_443 Depth=1
	v_or_b32_e32 v2, 0x10000, v3
	v_cmp_eq_u32_sdwa s[4:5], v3, v11 src0_sel:WORD_0 src1_sel:DWORD
	v_cndmask_b32_e64 v2, v2, v3, s[4:5]
; %bb.783:                              ;   in Loop: Header=BB393_443 Depth=1
	s_or_b64 exec, exec, s[12:13]
	v_lshrrev_b32_e32 v6, 16, v10
	v_lshrrev_b32_e32 v10, 16, v23
	;; [unrolled: 1-line block ×8, first 2 shown]
	s_and_saveexec_b64 s[12:13], vcc
	s_cbranch_execz .LBB393_785
; %bb.784:                              ;   in Loop: Header=BB393_443 Depth=1
	v_accvgpr_read_b32 v7, a17
	v_cmp_lt_i32_e64 s[4:5], v7, v32
	v_accvgpr_read_b32 v7, a23
	v_cndmask_b32_e64 v4, 0, v4, s[4:5]
	v_cmp_lt_i32_e64 s[4:5], v7, v32
	v_accvgpr_read_b32 v7, a22
	v_cndmask_b32_e64 v20, 0, v20, s[4:5]
	;; [unrolled: 3-line block ×6, first 2 shown]
	v_cmp_lt_i32_e64 s[4:5], v7, v32
	v_cndmask_b32_e64 v3, 0, v3, s[4:5]
	v_cmp_lt_i32_e64 s[4:5], v17, v32
	v_cndmask_b32_e64 v2, 0, v2, s[4:5]
.LBB393_785:                            ;   in Loop: Header=BB393_443 Depth=1
	s_or_b64 exec, exec, s[12:13]
	v_lshlrev_b32_e32 v4, 16, v4
	v_mul_f32_e32 v4, v55, v4
	v_and_b32_e32 v7, 0x7f800000, v4
	v_cmp_ne_u32_e64 s[4:5], s15, v7
                                        ; implicit-def: $vgpr59
	s_and_saveexec_b64 s[12:13], s[4:5]
	s_xor_b64 s[4:5], exec, s[12:13]
; %bb.786:                              ;   in Loop: Header=BB393_443 Depth=1
	v_bfe_u32 v7, v4, 16, 1
	v_add3_u32 v59, v4, v7, s21
                                        ; implicit-def: $vgpr4
; %bb.787:                              ;   in Loop: Header=BB393_443 Depth=1
	s_andn2_saveexec_b64 s[12:13], s[4:5]
; %bb.788:                              ;   in Loop: Header=BB393_443 Depth=1
	v_or_b32_e32 v7, 0x10000, v4
	v_cmp_eq_u32_sdwa s[4:5], v4, v11 src0_sel:WORD_0 src1_sel:DWORD
	v_cndmask_b32_e64 v59, v7, v4, s[4:5]
; %bb.789:                              ;   in Loop: Header=BB393_443 Depth=1
	s_or_b64 exec, exec, s[12:13]
	v_lshlrev_b32_e32 v4, 16, v20
	v_mul_f32_e32 v4, v40, v4
	v_and_b32_e32 v7, 0x7f800000, v4
	v_cmp_ne_u32_e64 s[4:5], s15, v7
                                        ; implicit-def: $vgpr60
	s_and_saveexec_b64 s[12:13], s[4:5]
	s_xor_b64 s[4:5], exec, s[12:13]
; %bb.790:                              ;   in Loop: Header=BB393_443 Depth=1
	v_bfe_u32 v7, v4, 16, 1
	v_add3_u32 v60, v4, v7, s21
                                        ; implicit-def: $vgpr4
; %bb.791:                              ;   in Loop: Header=BB393_443 Depth=1
	s_andn2_saveexec_b64 s[12:13], s[4:5]
; %bb.792:                              ;   in Loop: Header=BB393_443 Depth=1
	v_or_b32_e32 v7, 0x10000, v4
	v_cmp_eq_u32_sdwa s[4:5], v4, v11 src0_sel:WORD_0 src1_sel:DWORD
	v_cndmask_b32_e64 v60, v7, v4, s[4:5]
; %bb.793:                              ;   in Loop: Header=BB393_443 Depth=1
	s_or_b64 exec, exec, s[12:13]
	v_lshlrev_b32_e32 v4, 16, v21
	v_mul_f32_e32 v4, v41, v4
	v_and_b32_e32 v7, 0x7f800000, v4
	v_cmp_ne_u32_e64 s[4:5], s15, v7
                                        ; implicit-def: $vgpr61
	s_and_saveexec_b64 s[12:13], s[4:5]
	s_xor_b64 s[4:5], exec, s[12:13]
; %bb.794:                              ;   in Loop: Header=BB393_443 Depth=1
	v_bfe_u32 v7, v4, 16, 1
	v_add3_u32 v61, v4, v7, s21
                                        ; implicit-def: $vgpr4
; %bb.795:                              ;   in Loop: Header=BB393_443 Depth=1
	s_andn2_saveexec_b64 s[12:13], s[4:5]
; %bb.796:                              ;   in Loop: Header=BB393_443 Depth=1
	v_or_b32_e32 v7, 0x10000, v4
	v_cmp_eq_u32_sdwa s[4:5], v4, v11 src0_sel:WORD_0 src1_sel:DWORD
	v_cndmask_b32_e64 v61, v7, v4, s[4:5]
; %bb.797:                              ;   in Loop: Header=BB393_443 Depth=1
	s_or_b64 exec, exec, s[12:13]
	v_lshlrev_b32_e32 v4, 16, v22
	v_mul_f32_e32 v4, v42, v4
	v_and_b32_e32 v7, 0x7f800000, v4
	v_cmp_ne_u32_e64 s[4:5], s15, v7
                                        ; implicit-def: $vgpr62
	s_and_saveexec_b64 s[12:13], s[4:5]
	s_xor_b64 s[4:5], exec, s[12:13]
; %bb.798:                              ;   in Loop: Header=BB393_443 Depth=1
	v_bfe_u32 v7, v4, 16, 1
	v_add3_u32 v62, v4, v7, s21
                                        ; implicit-def: $vgpr4
; %bb.799:                              ;   in Loop: Header=BB393_443 Depth=1
	s_andn2_saveexec_b64 s[12:13], s[4:5]
; %bb.800:                              ;   in Loop: Header=BB393_443 Depth=1
	v_or_b32_e32 v7, 0x10000, v4
	v_cmp_eq_u32_sdwa s[4:5], v4, v11 src0_sel:WORD_0 src1_sel:DWORD
	v_cndmask_b32_e64 v62, v7, v4, s[4:5]
; %bb.801:                              ;   in Loop: Header=BB393_443 Depth=1
	s_or_b64 exec, exec, s[12:13]
	v_lshlrev_b32_e32 v4, 16, v10
	v_mul_f32_e32 v4, v43, v4
	v_and_b32_e32 v7, 0x7f800000, v4
	v_cmp_ne_u32_e64 s[4:5], s15, v7
                                        ; implicit-def: $vgpr28
	s_and_saveexec_b64 s[12:13], s[4:5]
	s_xor_b64 s[4:5], exec, s[12:13]
; %bb.802:                              ;   in Loop: Header=BB393_443 Depth=1
	v_bfe_u32 v7, v4, 16, 1
	v_add3_u32 v28, v4, v7, s21
                                        ; implicit-def: $vgpr4
; %bb.803:                              ;   in Loop: Header=BB393_443 Depth=1
	s_andn2_saveexec_b64 s[12:13], s[4:5]
; %bb.804:                              ;   in Loop: Header=BB393_443 Depth=1
	v_or_b32_e32 v7, 0x10000, v4
	v_cmp_eq_u32_sdwa s[4:5], v4, v11 src0_sel:WORD_0 src1_sel:DWORD
	v_cndmask_b32_e64 v28, v7, v4, s[4:5]
; %bb.805:                              ;   in Loop: Header=BB393_443 Depth=1
	s_or_b64 exec, exec, s[12:13]
	v_lshlrev_b32_e32 v4, 16, v6
	v_mul_f32_e32 v4, v44, v4
	v_and_b32_e32 v6, 0x7f800000, v4
	v_cmp_ne_u32_e64 s[4:5], s15, v6
                                        ; implicit-def: $vgpr23
	s_and_saveexec_b64 s[12:13], s[4:5]
	s_xor_b64 s[4:5], exec, s[12:13]
; %bb.806:                              ;   in Loop: Header=BB393_443 Depth=1
	v_bfe_u32 v6, v4, 16, 1
	v_add3_u32 v23, v4, v6, s21
                                        ; implicit-def: $vgpr4
; %bb.807:                              ;   in Loop: Header=BB393_443 Depth=1
	s_andn2_saveexec_b64 s[12:13], s[4:5]
; %bb.808:                              ;   in Loop: Header=BB393_443 Depth=1
	v_or_b32_e32 v6, 0x10000, v4
	v_cmp_eq_u32_sdwa s[4:5], v4, v11 src0_sel:WORD_0 src1_sel:DWORD
	v_cndmask_b32_e64 v23, v6, v4, s[4:5]
; %bb.809:                              ;   in Loop: Header=BB393_443 Depth=1
	s_or_b64 exec, exec, s[12:13]
	v_lshlrev_b32_e32 v3, 16, v3
	v_mul_f32_e32 v3, v45, v3
	v_and_b32_e32 v4, 0x7f800000, v3
	v_cmp_ne_u32_e64 s[4:5], s15, v4
                                        ; implicit-def: $vgpr24
	s_and_saveexec_b64 s[12:13], s[4:5]
	s_xor_b64 s[4:5], exec, s[12:13]
; %bb.810:                              ;   in Loop: Header=BB393_443 Depth=1
	v_bfe_u32 v4, v3, 16, 1
	v_add3_u32 v24, v3, v4, s21
                                        ; implicit-def: $vgpr3
; %bb.811:                              ;   in Loop: Header=BB393_443 Depth=1
	s_andn2_saveexec_b64 s[12:13], s[4:5]
; %bb.812:                              ;   in Loop: Header=BB393_443 Depth=1
	v_or_b32_e32 v4, 0x10000, v3
	v_cmp_eq_u32_sdwa s[4:5], v3, v11 src0_sel:WORD_0 src1_sel:DWORD
	v_cndmask_b32_e64 v24, v4, v3, s[4:5]
; %bb.813:                              ;   in Loop: Header=BB393_443 Depth=1
	s_or_b64 exec, exec, s[12:13]
	v_lshlrev_b32_e32 v2, 16, v2
	v_mul_f32_e32 v2, v46, v2
	v_and_b32_e32 v3, 0x7f800000, v2
	v_cmp_ne_u32_e64 s[4:5], s15, v3
                                        ; implicit-def: $vgpr25
	s_and_saveexec_b64 s[12:13], s[4:5]
	s_xor_b64 s[4:5], exec, s[12:13]
; %bb.814:                              ;   in Loop: Header=BB393_443 Depth=1
	v_bfe_u32 v3, v2, 16, 1
	v_add3_u32 v25, v2, v3, s21
                                        ; implicit-def: $vgpr2
; %bb.815:                              ;   in Loop: Header=BB393_443 Depth=1
	s_andn2_saveexec_b64 s[12:13], s[4:5]
; %bb.816:                              ;   in Loop: Header=BB393_443 Depth=1
	v_or_b32_e32 v3, 0x10000, v2
	v_cmp_eq_u32_sdwa s[4:5], v2, v11 src0_sel:WORD_0 src1_sel:DWORD
	v_cndmask_b32_e64 v25, v3, v2, s[4:5]
; %bb.817:                              ;   in Loop: Header=BB393_443 Depth=1
	s_or_b64 exec, exec, s[12:13]
	flat_load_dwordx2 v[2:3], v[0:1] offset:1536
	v_mov_b32_e32 v4, 0
	s_waitcnt vmcnt(0) lgkmcnt(0)
	v_cmp_ne_u16_sdwa s[4:5], v2, v11 src0_sel:BYTE_0 src1_sel:DWORD
	s_and_saveexec_b64 s[12:13], s[4:5]
	s_cbranch_execz .LBB393_823
; %bb.818:                              ;   in Loop: Header=BB393_443 Depth=1
	v_cmp_ne_u16_sdwa s[4:5], v2, s28 src0_sel:BYTE_0 src1_sel:DWORD
	v_bfrev_b32_e32 v4, 1
	s_and_saveexec_b64 s[24:25], s[4:5]
	s_cbranch_execz .LBB393_822
; %bb.819:                              ;   in Loop: Header=BB393_443 Depth=1
	v_and_b32_e32 v6, 0x7f, v2
	v_cmp_ne_u32_e64 s[4:5], s29, v6
	v_mov_b32_e32 v4, 0x7f800001
	s_and_saveexec_b64 s[26:27], s[4:5]
	s_cbranch_execz .LBB393_821
; %bb.820:                              ;   in Loop: Header=BB393_443 Depth=1
	v_and_b32_e32 v4, 7, v2
	v_ffbh_u32_e32 v4, v4
	v_min_u32_e32 v4, 32, v4
	v_subrev_u32_e32 v8, 28, v4
	v_cmp_gt_u32_e64 s[4:5], 8, v6
	v_lshrrev_b32_e32 v7, 3, v6
	v_sub_u32_e32 v4, 29, v4
	v_cndmask_b32_e64 v6, 0, v8, s[4:5]
	v_cndmask_b32_e64 v4, v7, v4, s[4:5]
	v_lshlrev_b64 v[6:7], v6, v[2:3]
	v_lshlrev_b32_e32 v6, 20, v6
	v_lshlrev_b32_e32 v7, 24, v2
	v_and_b32_e32 v6, 0x700000, v6
	v_and_b32_e32 v7, 0x80000000, v7
	v_lshl_add_u32 v4, v4, 23, v35
	v_or3_b32 v4, v7, v4, v6
.LBB393_821:                            ;   in Loop: Header=BB393_443 Depth=1
	s_or_b64 exec, exec, s[26:27]
.LBB393_822:                            ;   in Loop: Header=BB393_443 Depth=1
	s_or_b64 exec, exec, s[24:25]
.LBB393_823:                            ;   in Loop: Header=BB393_443 Depth=1
	s_or_b64 exec, exec, s[12:13]
	v_mul_f32_e32 v6, v26, v4
	v_and_b32_e32 v4, 0x7f800000, v6
	v_cmp_ne_u32_e64 s[4:5], s15, v4
                                        ; implicit-def: $vgpr4
	s_and_saveexec_b64 s[12:13], s[4:5]
	s_xor_b64 s[4:5], exec, s[12:13]
; %bb.824:                              ;   in Loop: Header=BB393_443 Depth=1
	v_bfe_u32 v4, v6, 16, 1
	v_add3_u32 v4, v6, v4, s21
                                        ; implicit-def: $vgpr6
; %bb.825:                              ;   in Loop: Header=BB393_443 Depth=1
	s_andn2_saveexec_b64 s[12:13], s[4:5]
; %bb.826:                              ;   in Loop: Header=BB393_443 Depth=1
	v_or_b32_e32 v4, 0x10000, v6
	v_cmp_eq_u32_sdwa s[4:5], v6, v11 src0_sel:WORD_0 src1_sel:DWORD
	v_cndmask_b32_e64 v4, v4, v6, s[4:5]
; %bb.827:                              ;   in Loop: Header=BB393_443 Depth=1
	s_or_b64 exec, exec, s[12:13]
	v_lshrrev_b16_e32 v6, 8, v2
	v_cmp_ne_u16_e64 s[4:5], 0, v6
	v_mov_b32_e32 v10, 0
	s_and_saveexec_b64 s[12:13], s[4:5]
	s_cbranch_execz .LBB393_833
; %bb.828:                              ;   in Loop: Header=BB393_443 Depth=1
	v_cmp_ne_u16_e64 s[4:5], s28, v6
	v_bfrev_b32_e32 v10, 1
	s_and_saveexec_b64 s[24:25], s[4:5]
	s_cbranch_execz .LBB393_832
; %bb.829:                              ;   in Loop: Header=BB393_443 Depth=1
	v_and_b32_e32 v7, 0x7f, v6
	v_cmp_ne_u32_e64 s[4:5], s29, v7
	v_mov_b32_e32 v10, 0x7f800001
	s_and_saveexec_b64 s[26:27], s[4:5]
	s_cbranch_execz .LBB393_831
; %bb.830:                              ;   in Loop: Header=BB393_443 Depth=1
	v_and_b32_e32 v8, 7, v6
	v_ffbh_u32_e32 v10, v8
	v_min_u32_e32 v10, 32, v10
	v_subrev_u32_e32 v20, 28, v10
	v_lshlrev_b64 v[20:21], v20, v[6:7]
	v_lshrrev_b32_e32 v9, 3, v7
	v_sub_u32_e32 v6, 29, v10
	v_and_b32_e32 v10, 7, v20
	v_cmp_gt_u32_e64 s[4:5], 8, v7
	v_cndmask_b32_e64 v6, v9, v6, s[4:5]
	v_cndmask_b32_e64 v7, v8, v10, s[4:5]
	v_lshlrev_b32_e32 v8, 16, v2
	v_lshlrev_b32_e32 v7, 20, v7
	v_and_b32_e32 v8, 0x80000000, v8
	v_lshl_add_u32 v6, v6, 23, v35
	v_or3_b32 v10, v8, v6, v7
.LBB393_831:                            ;   in Loop: Header=BB393_443 Depth=1
	s_or_b64 exec, exec, s[26:27]
.LBB393_832:                            ;   in Loop: Header=BB393_443 Depth=1
	s_or_b64 exec, exec, s[24:25]
.LBB393_833:                            ;   in Loop: Header=BB393_443 Depth=1
	s_or_b64 exec, exec, s[12:13]
	v_mul_f32_e32 v6, v26, v10
	v_and_b32_e32 v7, 0x7f800000, v6
	v_cmp_ne_u32_e64 s[4:5], s15, v7
                                        ; implicit-def: $vgpr20
	s_and_saveexec_b64 s[12:13], s[4:5]
	s_xor_b64 s[4:5], exec, s[12:13]
; %bb.834:                              ;   in Loop: Header=BB393_443 Depth=1
	v_bfe_u32 v7, v6, 16, 1
	v_add3_u32 v20, v6, v7, s21
                                        ; implicit-def: $vgpr6
; %bb.835:                              ;   in Loop: Header=BB393_443 Depth=1
	s_andn2_saveexec_b64 s[12:13], s[4:5]
; %bb.836:                              ;   in Loop: Header=BB393_443 Depth=1
	v_or_b32_e32 v7, 0x10000, v6
	v_cmp_eq_u32_sdwa s[4:5], v6, v11 src0_sel:WORD_0 src1_sel:DWORD
	v_cndmask_b32_e64 v20, v7, v6, s[4:5]
; %bb.837:                              ;   in Loop: Header=BB393_443 Depth=1
	s_or_b64 exec, exec, s[12:13]
	v_lshrrev_b32_e32 v6, 16, v2
	v_cmp_ne_u16_sdwa s[4:5], v6, v11 src0_sel:BYTE_0 src1_sel:DWORD
	v_mov_b32_e32 v10, 0
	s_and_saveexec_b64 s[12:13], s[4:5]
	s_cbranch_execz .LBB393_843
; %bb.838:                              ;   in Loop: Header=BB393_443 Depth=1
	v_cmp_ne_u16_sdwa s[4:5], v6, s28 src0_sel:BYTE_0 src1_sel:DWORD
	v_bfrev_b32_e32 v10, 1
	s_and_saveexec_b64 s[24:25], s[4:5]
	s_cbranch_execz .LBB393_842
; %bb.839:                              ;   in Loop: Header=BB393_443 Depth=1
	v_bfe_u32 v7, v2, 16, 7
	v_cmp_ne_u32_e64 s[4:5], s29, v7
	v_mov_b32_e32 v10, 0x7f800001
	s_and_saveexec_b64 s[26:27], s[4:5]
	s_cbranch_execz .LBB393_841
; %bb.840:                              ;   in Loop: Header=BB393_443 Depth=1
	v_and_b32_e32 v8, 7, v6
	v_ffbh_u32_e32 v10, v8
	v_min_u32_e32 v10, 32, v10
	v_subrev_u32_e32 v21, 28, v10
	v_lshlrev_b64 v[48:49], v21, v[6:7]
	v_lshrrev_b32_e32 v9, 3, v7
	v_sub_u32_e32 v10, 29, v10
	v_and_b32_e32 v21, 7, v48
	v_cmp_gt_u32_e64 s[4:5], 8, v7
	v_cndmask_b32_e64 v7, v9, v10, s[4:5]
	v_cndmask_b32_e64 v8, v8, v21, s[4:5]
	v_lshlrev_b32_e32 v6, 24, v6
	v_lshlrev_b32_e32 v8, 20, v8
	v_and_b32_e32 v6, 0x80000000, v6
	v_lshl_add_u32 v7, v7, 23, v35
	v_or3_b32 v10, v6, v7, v8
.LBB393_841:                            ;   in Loop: Header=BB393_443 Depth=1
	s_or_b64 exec, exec, s[26:27]
.LBB393_842:                            ;   in Loop: Header=BB393_443 Depth=1
	s_or_b64 exec, exec, s[24:25]
.LBB393_843:                            ;   in Loop: Header=BB393_443 Depth=1
	s_or_b64 exec, exec, s[12:13]
	v_mul_f32_e32 v6, v26, v10
	v_and_b32_e32 v7, 0x7f800000, v6
	v_cmp_ne_u32_e64 s[4:5], s15, v7
                                        ; implicit-def: $vgpr21
	s_and_saveexec_b64 s[12:13], s[4:5]
	s_xor_b64 s[4:5], exec, s[12:13]
; %bb.844:                              ;   in Loop: Header=BB393_443 Depth=1
	v_bfe_u32 v7, v6, 16, 1
	v_add3_u32 v21, v6, v7, s21
                                        ; implicit-def: $vgpr6
; %bb.845:                              ;   in Loop: Header=BB393_443 Depth=1
	s_andn2_saveexec_b64 s[12:13], s[4:5]
; %bb.846:                              ;   in Loop: Header=BB393_443 Depth=1
	v_or_b32_e32 v7, 0x10000, v6
	v_cmp_eq_u32_sdwa s[4:5], v6, v11 src0_sel:WORD_0 src1_sel:DWORD
	v_cndmask_b32_e64 v21, v7, v6, s[4:5]
; %bb.847:                              ;   in Loop: Header=BB393_443 Depth=1
	s_or_b64 exec, exec, s[12:13]
	v_cmp_lt_u32_e64 s[4:5], s9, v2
	v_mov_b32_e32 v10, 0
	s_and_saveexec_b64 s[12:13], s[4:5]
	s_cbranch_execz .LBB393_853
; %bb.848:                              ;   in Loop: Header=BB393_443 Depth=1
	v_lshrrev_b32_e32 v6, 24, v2
	v_cmp_ne_u32_e64 s[4:5], s28, v6
	v_bfrev_b32_e32 v10, 1
	s_and_saveexec_b64 s[24:25], s[4:5]
	s_cbranch_execz .LBB393_852
; %bb.849:                              ;   in Loop: Header=BB393_443 Depth=1
	v_bfe_u32 v7, v2, 24, 7
	v_cmp_ne_u32_e64 s[4:5], s29, v7
	v_mov_b32_e32 v10, 0x7f800001
	s_and_saveexec_b64 s[26:27], s[4:5]
	s_cbranch_execz .LBB393_851
; %bb.850:                              ;   in Loop: Header=BB393_443 Depth=1
	v_and_b32_e32 v8, 7, v6
	v_ffbh_u32_e32 v10, v8
	v_min_u32_e32 v10, 32, v10
	v_subrev_u32_e32 v22, 28, v10
	v_lshlrev_b64 v[48:49], v22, v[6:7]
	v_lshrrev_b32_e32 v9, 3, v7
	v_sub_u32_e32 v10, 29, v10
	v_and_b32_e32 v22, 7, v48
	v_cmp_gt_u32_e64 s[4:5], 8, v7
	v_cndmask_b32_e64 v7, v9, v10, s[4:5]
	v_cndmask_b32_e64 v8, v8, v22, s[4:5]
	v_lshlrev_b32_e32 v6, 24, v6
	v_lshlrev_b32_e32 v8, 20, v8
	v_and_b32_e32 v6, 0x80000000, v6
	v_lshl_add_u32 v7, v7, 23, v35
	v_or3_b32 v10, v6, v7, v8
.LBB393_851:                            ;   in Loop: Header=BB393_443 Depth=1
	s_or_b64 exec, exec, s[26:27]
.LBB393_852:                            ;   in Loop: Header=BB393_443 Depth=1
	s_or_b64 exec, exec, s[24:25]
.LBB393_853:                            ;   in Loop: Header=BB393_443 Depth=1
	s_or_b64 exec, exec, s[12:13]
	v_mul_f32_e32 v6, v26, v10
	v_and_b32_e32 v7, 0x7f800000, v6
	v_cmp_ne_u32_e64 s[4:5], s15, v7
                                        ; implicit-def: $vgpr22
	s_and_saveexec_b64 s[12:13], s[4:5]
	s_xor_b64 s[4:5], exec, s[12:13]
; %bb.854:                              ;   in Loop: Header=BB393_443 Depth=1
	v_bfe_u32 v7, v6, 16, 1
	v_add3_u32 v22, v6, v7, s21
                                        ; implicit-def: $vgpr6
; %bb.855:                              ;   in Loop: Header=BB393_443 Depth=1
	s_andn2_saveexec_b64 s[12:13], s[4:5]
; %bb.856:                              ;   in Loop: Header=BB393_443 Depth=1
	v_or_b32_e32 v7, 0x10000, v6
	v_cmp_eq_u32_sdwa s[4:5], v6, v11 src0_sel:WORD_0 src1_sel:DWORD
	v_cndmask_b32_e64 v22, v7, v6, s[4:5]
; %bb.857:                              ;   in Loop: Header=BB393_443 Depth=1
	s_or_b64 exec, exec, s[12:13]
	v_mov_b32_e32 v10, v3
	v_cmp_ne_u16_sdwa s[4:5], v3, v11 src0_sel:BYTE_0 src1_sel:DWORD
	v_mov_b32_e32 v6, 0
	s_and_saveexec_b64 s[12:13], s[4:5]
	s_cbranch_execz .LBB393_863
; %bb.858:                              ;   in Loop: Header=BB393_443 Depth=1
	v_cmp_ne_u16_sdwa s[4:5], v3, s28 src0_sel:BYTE_0 src1_sel:DWORD
	v_bfrev_b32_e32 v6, 1
	s_and_saveexec_b64 s[24:25], s[4:5]
	s_cbranch_execz .LBB393_862
; %bb.859:                              ;   in Loop: Header=BB393_443 Depth=1
	v_and_b32_e32 v7, 0x7f, v3
	v_cmp_ne_u32_e64 s[4:5], s29, v7
	v_mov_b32_e32 v6, 0x7f800001
	s_and_saveexec_b64 s[26:27], s[4:5]
	s_cbranch_execz .LBB393_861
; %bb.860:                              ;   in Loop: Header=BB393_443 Depth=1
	v_and_b32_e32 v6, 7, v3
	v_ffbh_u32_e32 v6, v6
	v_min_u32_e32 v6, 32, v6
	v_lshrrev_b32_e32 v8, 3, v7
	v_subrev_u32_e32 v9, 28, v6
	v_sub_u32_e32 v6, 29, v6
	v_cmp_gt_u32_e64 s[4:5], 8, v7
	v_cndmask_b32_e64 v8, v8, v6, s[4:5]
	v_cndmask_b32_e64 v6, 0, v9, s[4:5]
	v_lshlrev_b64 v[6:7], v6, v[10:11]
	v_lshlrev_b32_e32 v6, 20, v6
	v_lshlrev_b32_e32 v7, 24, v10
	v_and_b32_e32 v6, 0x700000, v6
	v_and_b32_e32 v7, 0x80000000, v7
	v_lshl_add_u32 v8, v8, 23, v35
	v_or3_b32 v6, v7, v8, v6
.LBB393_861:                            ;   in Loop: Header=BB393_443 Depth=1
	s_or_b64 exec, exec, s[26:27]
.LBB393_862:                            ;   in Loop: Header=BB393_443 Depth=1
	s_or_b64 exec, exec, s[24:25]
.LBB393_863:                            ;   in Loop: Header=BB393_443 Depth=1
	s_or_b64 exec, exec, s[12:13]
	v_mul_f32_e32 v6, v26, v6
	v_and_b32_e32 v7, 0x7f800000, v6
	v_cmp_ne_u32_e64 s[4:5], s15, v7
                                        ; implicit-def: $vgpr39
	s_and_saveexec_b64 s[12:13], s[4:5]
	s_xor_b64 s[4:5], exec, s[12:13]
; %bb.864:                              ;   in Loop: Header=BB393_443 Depth=1
	v_bfe_u32 v7, v6, 16, 1
	v_add3_u32 v39, v6, v7, s21
                                        ; implicit-def: $vgpr6
; %bb.865:                              ;   in Loop: Header=BB393_443 Depth=1
	s_andn2_saveexec_b64 s[12:13], s[4:5]
; %bb.866:                              ;   in Loop: Header=BB393_443 Depth=1
	v_or_b32_e32 v7, 0x10000, v6
	v_cmp_eq_u32_sdwa s[4:5], v6, v11 src0_sel:WORD_0 src1_sel:DWORD
	v_cndmask_b32_e64 v39, v7, v6, s[4:5]
; %bb.867:                              ;   in Loop: Header=BB393_443 Depth=1
	s_or_b64 exec, exec, s[12:13]
	v_lshrrev_b16_e32 v6, 8, v10
	v_cmp_ne_u16_e64 s[4:5], 0, v6
	v_mov_b32_e32 v34, 0
	s_and_saveexec_b64 s[12:13], s[4:5]
	s_cbranch_execz .LBB393_873
; %bb.868:                              ;   in Loop: Header=BB393_443 Depth=1
	v_cmp_ne_u16_e64 s[4:5], s28, v6
	v_bfrev_b32_e32 v34, 1
	s_and_saveexec_b64 s[24:25], s[4:5]
	s_cbranch_execz .LBB393_872
; %bb.869:                              ;   in Loop: Header=BB393_443 Depth=1
	v_and_b32_e32 v7, 0x7f, v6
	v_cmp_ne_u32_e64 s[4:5], s29, v7
	v_mov_b32_e32 v34, 0x7f800001
	s_and_saveexec_b64 s[26:27], s[4:5]
	s_cbranch_execz .LBB393_871
; %bb.870:                              ;   in Loop: Header=BB393_443 Depth=1
	v_and_b32_e32 v8, 7, v6
	v_ffbh_u32_e32 v34, v8
	v_min_u32_e32 v34, 32, v34
	v_subrev_u32_e32 v48, 28, v34
	v_lshlrev_b64 v[48:49], v48, v[6:7]
	v_lshrrev_b32_e32 v9, 3, v7
	v_sub_u32_e32 v6, 29, v34
	v_and_b32_e32 v34, 7, v48
	v_cmp_gt_u32_e64 s[4:5], 8, v7
	v_cndmask_b32_e64 v6, v9, v6, s[4:5]
	v_cndmask_b32_e64 v7, v8, v34, s[4:5]
	v_lshlrev_b32_e32 v8, 16, v10
	v_lshlrev_b32_e32 v7, 20, v7
	v_and_b32_e32 v8, 0x80000000, v8
	v_lshl_add_u32 v6, v6, 23, v35
	v_or3_b32 v34, v8, v6, v7
.LBB393_871:                            ;   in Loop: Header=BB393_443 Depth=1
	s_or_b64 exec, exec, s[26:27]
.LBB393_872:                            ;   in Loop: Header=BB393_443 Depth=1
	s_or_b64 exec, exec, s[24:25]
.LBB393_873:                            ;   in Loop: Header=BB393_443 Depth=1
	s_or_b64 exec, exec, s[12:13]
	v_mul_f32_e32 v6, v26, v34
	v_and_b32_e32 v7, 0x7f800000, v6
	v_cmp_ne_u32_e64 s[4:5], s15, v7
                                        ; implicit-def: $vgpr10
	s_and_saveexec_b64 s[12:13], s[4:5]
	s_xor_b64 s[4:5], exec, s[12:13]
; %bb.874:                              ;   in Loop: Header=BB393_443 Depth=1
	v_bfe_u32 v7, v6, 16, 1
	v_add3_u32 v10, v6, v7, s21
                                        ; implicit-def: $vgpr6
; %bb.875:                              ;   in Loop: Header=BB393_443 Depth=1
	s_andn2_saveexec_b64 s[12:13], s[4:5]
; %bb.876:                              ;   in Loop: Header=BB393_443 Depth=1
	v_or_b32_e32 v7, 0x10000, v6
	v_cmp_eq_u32_sdwa s[4:5], v6, v11 src0_sel:WORD_0 src1_sel:DWORD
	v_cndmask_b32_e64 v10, v7, v6, s[4:5]
; %bb.877:                              ;   in Loop: Header=BB393_443 Depth=1
	s_or_b64 exec, exec, s[12:13]
	v_lshrrev_b32_e32 v6, 16, v3
	v_cmp_ne_u16_sdwa s[4:5], v6, v11 src0_sel:BYTE_0 src1_sel:DWORD
	v_mov_b32_e32 v34, 0
	s_and_saveexec_b64 s[12:13], s[4:5]
	s_cbranch_execz .LBB393_883
; %bb.878:                              ;   in Loop: Header=BB393_443 Depth=1
	v_cmp_ne_u16_sdwa s[4:5], v6, s28 src0_sel:BYTE_0 src1_sel:DWORD
	v_bfrev_b32_e32 v34, 1
	s_and_saveexec_b64 s[24:25], s[4:5]
	s_cbranch_execz .LBB393_882
; %bb.879:                              ;   in Loop: Header=BB393_443 Depth=1
	v_bfe_u32 v7, v3, 16, 7
	v_cmp_ne_u32_e64 s[4:5], s29, v7
	v_mov_b32_e32 v34, 0x7f800001
	s_and_saveexec_b64 s[26:27], s[4:5]
	s_cbranch_execz .LBB393_881
; %bb.880:                              ;   in Loop: Header=BB393_443 Depth=1
	v_and_b32_e32 v8, 7, v6
	v_ffbh_u32_e32 v34, v8
	v_min_u32_e32 v34, 32, v34
	v_subrev_u32_e32 v48, 28, v34
	v_lshlrev_b64 v[48:49], v48, v[6:7]
	v_lshrrev_b32_e32 v9, 3, v7
	v_sub_u32_e32 v34, 29, v34
	v_and_b32_e32 v48, 7, v48
	v_cmp_gt_u32_e64 s[4:5], 8, v7
	v_cndmask_b32_e64 v7, v9, v34, s[4:5]
	v_cndmask_b32_e64 v8, v8, v48, s[4:5]
	v_lshlrev_b32_e32 v6, 24, v6
	v_lshlrev_b32_e32 v8, 20, v8
	v_and_b32_e32 v6, 0x80000000, v6
	v_lshl_add_u32 v7, v7, 23, v35
	v_or3_b32 v34, v6, v7, v8
.LBB393_881:                            ;   in Loop: Header=BB393_443 Depth=1
	s_or_b64 exec, exec, s[26:27]
.LBB393_882:                            ;   in Loop: Header=BB393_443 Depth=1
	s_or_b64 exec, exec, s[24:25]
.LBB393_883:                            ;   in Loop: Header=BB393_443 Depth=1
	s_or_b64 exec, exec, s[12:13]
	v_mul_f32_e32 v7, v26, v34
	v_and_b32_e32 v6, 0x7f800000, v7
	v_cmp_ne_u32_e64 s[4:5], s15, v6
                                        ; implicit-def: $vgpr6
	s_and_saveexec_b64 s[12:13], s[4:5]
	s_xor_b64 s[4:5], exec, s[12:13]
; %bb.884:                              ;   in Loop: Header=BB393_443 Depth=1
	v_bfe_u32 v6, v7, 16, 1
	v_add3_u32 v6, v7, v6, s21
                                        ; implicit-def: $vgpr7
; %bb.885:                              ;   in Loop: Header=BB393_443 Depth=1
	s_andn2_saveexec_b64 s[12:13], s[4:5]
; %bb.886:                              ;   in Loop: Header=BB393_443 Depth=1
	v_or_b32_e32 v6, 0x10000, v7
	v_cmp_eq_u32_sdwa s[4:5], v7, v11 src0_sel:WORD_0 src1_sel:DWORD
	v_cndmask_b32_e64 v6, v6, v7, s[4:5]
; %bb.887:                              ;   in Loop: Header=BB393_443 Depth=1
	s_or_b64 exec, exec, s[12:13]
	v_cmp_lt_u64_e64 s[4:5], s[8:9], v[2:3]
	v_mov_b32_e32 v34, 0
	s_and_saveexec_b64 s[12:13], s[4:5]
	s_cbranch_execz .LBB393_893
; %bb.888:                              ;   in Loop: Header=BB393_443 Depth=1
	v_lshrrev_b32_e32 v2, 24, v3
	v_cmp_ne_u32_e64 s[4:5], s28, v2
	v_bfrev_b32_e32 v34, 1
	s_and_saveexec_b64 s[24:25], s[4:5]
	s_cbranch_execz .LBB393_892
; %bb.889:                              ;   in Loop: Header=BB393_443 Depth=1
	v_bfe_u32 v3, v3, 24, 7
	v_cmp_ne_u32_e64 s[4:5], s29, v3
	v_mov_b32_e32 v34, 0x7f800001
	s_and_saveexec_b64 s[26:27], s[4:5]
	s_cbranch_execz .LBB393_891
; %bb.890:                              ;   in Loop: Header=BB393_443 Depth=1
	v_and_b32_e32 v7, 7, v2
	v_ffbh_u32_e32 v9, v7
	v_min_u32_e32 v9, 32, v9
	v_subrev_u32_e32 v34, 28, v9
	v_lshlrev_b64 v[48:49], v34, v[2:3]
	v_lshrrev_b32_e32 v8, 3, v3
	v_sub_u32_e32 v9, 29, v9
	v_and_b32_e32 v34, 7, v48
	v_cmp_gt_u32_e64 s[4:5], 8, v3
	v_cndmask_b32_e64 v3, v8, v9, s[4:5]
	v_cndmask_b32_e64 v7, v7, v34, s[4:5]
	v_lshlrev_b32_e32 v2, 24, v2
	v_lshlrev_b32_e32 v7, 20, v7
	v_and_b32_e32 v2, 0x80000000, v2
	v_lshl_add_u32 v3, v3, 23, v35
	v_or3_b32 v34, v2, v3, v7
.LBB393_891:                            ;   in Loop: Header=BB393_443 Depth=1
	s_or_b64 exec, exec, s[26:27]
.LBB393_892:                            ;   in Loop: Header=BB393_443 Depth=1
	s_or_b64 exec, exec, s[24:25]
.LBB393_893:                            ;   in Loop: Header=BB393_443 Depth=1
	s_or_b64 exec, exec, s[12:13]
	v_mul_f32_e32 v3, v26, v34
	v_and_b32_e32 v2, 0x7f800000, v3
	v_cmp_ne_u32_e64 s[4:5], s15, v2
                                        ; implicit-def: $vgpr2
	s_and_saveexec_b64 s[12:13], s[4:5]
	s_xor_b64 s[4:5], exec, s[12:13]
; %bb.894:                              ;   in Loop: Header=BB393_443 Depth=1
	v_bfe_u32 v2, v3, 16, 1
	v_add3_u32 v2, v3, v2, s21
                                        ; implicit-def: $vgpr3
; %bb.895:                              ;   in Loop: Header=BB393_443 Depth=1
	s_andn2_saveexec_b64 s[12:13], s[4:5]
; %bb.896:                              ;   in Loop: Header=BB393_443 Depth=1
	v_or_b32_e32 v2, 0x10000, v3
	v_cmp_eq_u32_sdwa s[4:5], v3, v11 src0_sel:WORD_0 src1_sel:DWORD
	v_cndmask_b32_e64 v2, v2, v3, s[4:5]
; %bb.897:                              ;   in Loop: Header=BB393_443 Depth=1
	s_or_b64 exec, exec, s[12:13]
	v_lshrrev_b32_e32 v48, 16, v10
	v_lshrrev_b32_e32 v34, 16, v39
	;; [unrolled: 1-line block ×8, first 2 shown]
	s_and_saveexec_b64 s[12:13], vcc
	s_cbranch_execz .LBB393_899
; %bb.898:                              ;   in Loop: Header=BB393_443 Depth=1
	v_accvgpr_read_b32 v4, a17
	v_cmp_lt_i32_e64 s[4:5], v4, v32
	v_accvgpr_read_b32 v4, a23
	v_cndmask_b32_e64 v3, 0, v3, s[4:5]
	v_cmp_lt_i32_e64 s[4:5], v4, v32
	v_accvgpr_read_b32 v4, a22
	v_cndmask_b32_e64 v20, 0, v20, s[4:5]
	;; [unrolled: 3-line block ×6, first 2 shown]
	v_cmp_lt_i32_e64 s[4:5], v4, v32
	v_cndmask_b32_e64 v10, 0, v10, s[4:5]
	v_cmp_lt_i32_e64 s[4:5], v17, v32
	v_cndmask_b32_e64 v2, 0, v2, s[4:5]
.LBB393_899:                            ;   in Loop: Header=BB393_443 Depth=1
	s_or_b64 exec, exec, s[12:13]
	v_lshlrev_b32_e32 v3, 16, v3
	v_mul_f32_e32 v4, v55, v3
	v_and_b32_e32 v3, 0x7f800000, v4
	v_cmp_ne_u32_e64 s[4:5], s15, v3
                                        ; implicit-def: $vgpr3
	s_and_saveexec_b64 s[12:13], s[4:5]
	s_xor_b64 s[4:5], exec, s[12:13]
; %bb.900:                              ;   in Loop: Header=BB393_443 Depth=1
	v_bfe_u32 v3, v4, 16, 1
	v_add3_u32 v3, v4, v3, s21
                                        ; implicit-def: $vgpr4
; %bb.901:                              ;   in Loop: Header=BB393_443 Depth=1
	s_andn2_saveexec_b64 s[12:13], s[4:5]
; %bb.902:                              ;   in Loop: Header=BB393_443 Depth=1
	v_or_b32_e32 v3, 0x10000, v4
	v_cmp_eq_u32_sdwa s[4:5], v4, v11 src0_sel:WORD_0 src1_sel:DWORD
	v_cndmask_b32_e64 v3, v3, v4, s[4:5]
; %bb.903:                              ;   in Loop: Header=BB393_443 Depth=1
	s_or_b64 exec, exec, s[12:13]
	v_lshlrev_b32_e32 v4, 16, v20
	v_mul_f32_e32 v4, v40, v4
	v_and_b32_e32 v6, 0x7f800000, v4
	v_cmp_ne_u32_e64 s[4:5], s15, v6
                                        ; implicit-def: $vgpr6
	s_and_saveexec_b64 s[12:13], s[4:5]
	s_xor_b64 s[4:5], exec, s[12:13]
; %bb.904:                              ;   in Loop: Header=BB393_443 Depth=1
	v_bfe_u32 v6, v4, 16, 1
	v_add3_u32 v6, v4, v6, s21
                                        ; implicit-def: $vgpr4
; %bb.905:                              ;   in Loop: Header=BB393_443 Depth=1
	s_andn2_saveexec_b64 s[12:13], s[4:5]
; %bb.906:                              ;   in Loop: Header=BB393_443 Depth=1
	v_or_b32_e32 v6, 0x10000, v4
	v_cmp_eq_u32_sdwa s[4:5], v4, v11 src0_sel:WORD_0 src1_sel:DWORD
	v_cndmask_b32_e64 v6, v6, v4, s[4:5]
; %bb.907:                              ;   in Loop: Header=BB393_443 Depth=1
	s_or_b64 exec, exec, s[12:13]
	v_lshlrev_b32_e32 v4, 16, v21
	v_mul_f32_e32 v7, v41, v4
	v_and_b32_e32 v4, 0x7f800000, v7
	v_cmp_ne_u32_e64 s[4:5], s15, v4
                                        ; implicit-def: $vgpr4
	s_and_saveexec_b64 s[12:13], s[4:5]
	s_xor_b64 s[4:5], exec, s[12:13]
; %bb.908:                              ;   in Loop: Header=BB393_443 Depth=1
	v_bfe_u32 v4, v7, 16, 1
	v_add3_u32 v4, v7, v4, s21
                                        ; implicit-def: $vgpr7
; %bb.909:                              ;   in Loop: Header=BB393_443 Depth=1
	s_andn2_saveexec_b64 s[12:13], s[4:5]
; %bb.910:                              ;   in Loop: Header=BB393_443 Depth=1
	v_or_b32_e32 v4, 0x10000, v7
	v_cmp_eq_u32_sdwa s[4:5], v7, v11 src0_sel:WORD_0 src1_sel:DWORD
	v_cndmask_b32_e64 v4, v4, v7, s[4:5]
; %bb.911:                              ;   in Loop: Header=BB393_443 Depth=1
	s_or_b64 exec, exec, s[12:13]
	v_lshlrev_b32_e32 v7, 16, v22
	v_mul_f32_e32 v7, v42, v7
	v_and_b32_e32 v8, 0x7f800000, v7
	v_cmp_ne_u32_e64 s[4:5], s15, v8
                                        ; implicit-def: $vgpr20
	s_and_saveexec_b64 s[12:13], s[4:5]
	s_xor_b64 s[4:5], exec, s[12:13]
; %bb.912:                              ;   in Loop: Header=BB393_443 Depth=1
	v_bfe_u32 v8, v7, 16, 1
	v_add3_u32 v20, v7, v8, s21
                                        ; implicit-def: $vgpr7
; %bb.913:                              ;   in Loop: Header=BB393_443 Depth=1
	s_andn2_saveexec_b64 s[12:13], s[4:5]
; %bb.914:                              ;   in Loop: Header=BB393_443 Depth=1
	v_or_b32_e32 v8, 0x10000, v7
	v_cmp_eq_u32_sdwa s[4:5], v7, v11 src0_sel:WORD_0 src1_sel:DWORD
	v_cndmask_b32_e64 v20, v8, v7, s[4:5]
; %bb.915:                              ;   in Loop: Header=BB393_443 Depth=1
	s_or_b64 exec, exec, s[12:13]
	v_lshlrev_b32_e32 v7, 16, v34
	v_mul_f32_e32 v7, v43, v7
	v_and_b32_e32 v8, 0x7f800000, v7
	v_cmp_ne_u32_e64 s[4:5], s15, v8
                                        ; implicit-def: $vgpr21
	s_and_saveexec_b64 s[12:13], s[4:5]
	s_xor_b64 s[4:5], exec, s[12:13]
; %bb.916:                              ;   in Loop: Header=BB393_443 Depth=1
	v_bfe_u32 v8, v7, 16, 1
	v_add3_u32 v21, v7, v8, s21
                                        ; implicit-def: $vgpr7
; %bb.917:                              ;   in Loop: Header=BB393_443 Depth=1
	s_andn2_saveexec_b64 s[12:13], s[4:5]
; %bb.918:                              ;   in Loop: Header=BB393_443 Depth=1
	v_or_b32_e32 v8, 0x10000, v7
	v_cmp_eq_u32_sdwa s[4:5], v7, v11 src0_sel:WORD_0 src1_sel:DWORD
	v_cndmask_b32_e64 v21, v8, v7, s[4:5]
; %bb.919:                              ;   in Loop: Header=BB393_443 Depth=1
	s_or_b64 exec, exec, s[12:13]
	v_lshlrev_b32_e32 v7, 16, v48
	v_mul_f32_e32 v7, v44, v7
	v_and_b32_e32 v8, 0x7f800000, v7
	v_cmp_ne_u32_e64 s[4:5], s15, v8
                                        ; implicit-def: $vgpr39
	s_and_saveexec_b64 s[12:13], s[4:5]
	s_xor_b64 s[4:5], exec, s[12:13]
; %bb.920:                              ;   in Loop: Header=BB393_443 Depth=1
	v_bfe_u32 v8, v7, 16, 1
	v_add3_u32 v39, v7, v8, s21
                                        ; implicit-def: $vgpr7
; %bb.921:                              ;   in Loop: Header=BB393_443 Depth=1
	s_andn2_saveexec_b64 s[12:13], s[4:5]
; %bb.922:                              ;   in Loop: Header=BB393_443 Depth=1
	v_or_b32_e32 v8, 0x10000, v7
	v_cmp_eq_u32_sdwa s[4:5], v7, v11 src0_sel:WORD_0 src1_sel:DWORD
	v_cndmask_b32_e64 v39, v8, v7, s[4:5]
; %bb.923:                              ;   in Loop: Header=BB393_443 Depth=1
	s_or_b64 exec, exec, s[12:13]
	v_lshlrev_b32_e32 v7, 16, v10
	v_mul_f32_e32 v7, v45, v7
	v_and_b32_e32 v8, 0x7f800000, v7
	v_cmp_ne_u32_e64 s[4:5], s15, v8
                                        ; implicit-def: $vgpr22
	s_and_saveexec_b64 s[12:13], s[4:5]
	s_xor_b64 s[4:5], exec, s[12:13]
; %bb.924:                              ;   in Loop: Header=BB393_443 Depth=1
	v_bfe_u32 v8, v7, 16, 1
	v_add3_u32 v22, v7, v8, s21
                                        ; implicit-def: $vgpr7
; %bb.925:                              ;   in Loop: Header=BB393_443 Depth=1
	s_andn2_saveexec_b64 s[12:13], s[4:5]
; %bb.926:                              ;   in Loop: Header=BB393_443 Depth=1
	v_or_b32_e32 v8, 0x10000, v7
	v_cmp_eq_u32_sdwa s[4:5], v7, v11 src0_sel:WORD_0 src1_sel:DWORD
	v_cndmask_b32_e64 v22, v8, v7, s[4:5]
; %bb.927:                              ;   in Loop: Header=BB393_443 Depth=1
	s_or_b64 exec, exec, s[12:13]
	v_lshlrev_b32_e32 v2, 16, v2
	v_mul_f32_e32 v2, v46, v2
	v_and_b32_e32 v7, 0x7f800000, v2
	v_cmp_ne_u32_e64 s[4:5], s15, v7
                                        ; implicit-def: $vgpr48
	s_and_saveexec_b64 s[12:13], s[4:5]
	s_xor_b64 s[4:5], exec, s[12:13]
; %bb.928:                              ;   in Loop: Header=BB393_443 Depth=1
	v_bfe_u32 v7, v2, 16, 1
	v_add3_u32 v48, v2, v7, s21
                                        ; implicit-def: $vgpr2
; %bb.929:                              ;   in Loop: Header=BB393_443 Depth=1
	s_andn2_saveexec_b64 s[12:13], s[4:5]
; %bb.930:                              ;   in Loop: Header=BB393_443 Depth=1
	v_or_b32_e32 v7, 0x10000, v2
	v_cmp_eq_u32_sdwa s[4:5], v2, v11 src0_sel:WORD_0 src1_sel:DWORD
	v_cndmask_b32_e64 v48, v7, v2, s[4:5]
; %bb.931:                              ;   in Loop: Header=BB393_443 Depth=1
	s_or_b64 exec, exec, s[12:13]
	flat_load_dwordx2 v[0:1], v[0:1] offset:2048
	v_mov_b32_e32 v2, 0
	s_waitcnt vmcnt(0) lgkmcnt(0)
	v_cmp_ne_u16_sdwa s[4:5], v0, v11 src0_sel:BYTE_0 src1_sel:DWORD
	s_and_saveexec_b64 s[12:13], s[4:5]
	s_cbranch_execz .LBB393_937
; %bb.932:                              ;   in Loop: Header=BB393_443 Depth=1
	v_cmp_ne_u16_sdwa s[4:5], v0, s28 src0_sel:BYTE_0 src1_sel:DWORD
	v_bfrev_b32_e32 v2, 1
	s_and_saveexec_b64 s[24:25], s[4:5]
	s_cbranch_execz .LBB393_936
; %bb.933:                              ;   in Loop: Header=BB393_443 Depth=1
	v_and_b32_e32 v7, 0x7f, v0
	v_cmp_ne_u32_e64 s[4:5], s29, v7
	v_mov_b32_e32 v2, 0x7f800001
	s_and_saveexec_b64 s[26:27], s[4:5]
	s_cbranch_execz .LBB393_935
; %bb.934:                              ;   in Loop: Header=BB393_443 Depth=1
	v_and_b32_e32 v2, 7, v0
	v_ffbh_u32_e32 v2, v2
	v_min_u32_e32 v2, 32, v2
	v_subrev_u32_e32 v9, 28, v2
	v_cmp_gt_u32_e64 s[4:5], 8, v7
	v_lshrrev_b32_e32 v8, 3, v7
	v_cndmask_b32_e64 v7, 0, v9, s[4:5]
	v_sub_u32_e32 v2, 29, v2
	v_lshlrev_b64 v[50:51], v7, v[0:1]
	v_cndmask_b32_e64 v2, v8, v2, s[4:5]
	v_lshlrev_b32_e32 v7, 20, v50
	v_lshlrev_b32_e32 v8, 24, v0
	v_and_b32_e32 v7, 0x700000, v7
	v_and_b32_e32 v8, 0x80000000, v8
	v_lshl_add_u32 v2, v2, 23, v35
	v_or3_b32 v2, v8, v2, v7
.LBB393_935:                            ;   in Loop: Header=BB393_443 Depth=1
	s_or_b64 exec, exec, s[26:27]
.LBB393_936:                            ;   in Loop: Header=BB393_443 Depth=1
	s_or_b64 exec, exec, s[24:25]
.LBB393_937:                            ;   in Loop: Header=BB393_443 Depth=1
	s_or_b64 exec, exec, s[12:13]
	v_mul_f32_e32 v2, v26, v2
	v_and_b32_e32 v7, 0x7f800000, v2
	v_cmp_ne_u32_e64 s[4:5], s15, v7
                                        ; implicit-def: $vgpr49
	s_and_saveexec_b64 s[12:13], s[4:5]
	s_xor_b64 s[4:5], exec, s[12:13]
; %bb.938:                              ;   in Loop: Header=BB393_443 Depth=1
	v_bfe_u32 v7, v2, 16, 1
	v_add3_u32 v49, v2, v7, s21
                                        ; implicit-def: $vgpr2
; %bb.939:                              ;   in Loop: Header=BB393_443 Depth=1
	s_andn2_saveexec_b64 s[12:13], s[4:5]
; %bb.940:                              ;   in Loop: Header=BB393_443 Depth=1
	v_or_b32_e32 v7, 0x10000, v2
	v_cmp_eq_u32_sdwa s[4:5], v2, v11 src0_sel:WORD_0 src1_sel:DWORD
	v_cndmask_b32_e64 v49, v7, v2, s[4:5]
; %bb.941:                              ;   in Loop: Header=BB393_443 Depth=1
	s_or_b64 exec, exec, s[12:13]
	v_lshrrev_b16_e32 v2, 8, v0
	v_cmp_ne_u16_e64 s[4:5], 0, v2
	v_mov_b32_e32 v10, 0
	s_and_saveexec_b64 s[12:13], s[4:5]
	s_cbranch_execz .LBB393_947
; %bb.942:                              ;   in Loop: Header=BB393_443 Depth=1
	v_cmp_ne_u16_e64 s[4:5], s28, v2
	v_bfrev_b32_e32 v10, 1
	s_and_saveexec_b64 s[24:25], s[4:5]
	s_cbranch_execz .LBB393_946
; %bb.943:                              ;   in Loop: Header=BB393_443 Depth=1
	v_and_b32_e32 v7, 0x7f, v2
	v_cmp_ne_u32_e64 s[4:5], s29, v7
	v_mov_b32_e32 v10, 0x7f800001
	s_and_saveexec_b64 s[26:27], s[4:5]
	s_cbranch_execz .LBB393_945
; %bb.944:                              ;   in Loop: Header=BB393_443 Depth=1
	v_and_b32_e32 v8, 7, v2
	v_ffbh_u32_e32 v10, v8
	v_min_u32_e32 v10, 32, v10
	v_subrev_u32_e32 v34, 28, v10
	v_lshlrev_b64 v[50:51], v34, v[2:3]
	v_lshrrev_b32_e32 v9, 3, v7
	v_sub_u32_e32 v2, 29, v10
	v_and_b32_e32 v10, 7, v50
	v_cmp_gt_u32_e64 s[4:5], 8, v7
	v_cndmask_b32_e64 v2, v9, v2, s[4:5]
	v_cndmask_b32_e64 v7, v8, v10, s[4:5]
	v_lshlrev_b32_e32 v8, 16, v0
	v_lshlrev_b32_e32 v7, 20, v7
	v_and_b32_e32 v8, 0x80000000, v8
	v_lshl_add_u32 v2, v2, 23, v35
	v_or3_b32 v10, v8, v2, v7
.LBB393_945:                            ;   in Loop: Header=BB393_443 Depth=1
	s_or_b64 exec, exec, s[26:27]
.LBB393_946:                            ;   in Loop: Header=BB393_443 Depth=1
	s_or_b64 exec, exec, s[24:25]
.LBB393_947:                            ;   in Loop: Header=BB393_443 Depth=1
	s_or_b64 exec, exec, s[12:13]
	v_mul_f32_e32 v2, v26, v10
	v_and_b32_e32 v7, 0x7f800000, v2
	v_cmp_ne_u32_e64 s[4:5], s15, v7
                                        ; implicit-def: $vgpr50
	s_and_saveexec_b64 s[12:13], s[4:5]
	s_xor_b64 s[4:5], exec, s[12:13]
; %bb.948:                              ;   in Loop: Header=BB393_443 Depth=1
	v_bfe_u32 v7, v2, 16, 1
	v_add3_u32 v50, v2, v7, s21
                                        ; implicit-def: $vgpr2
; %bb.949:                              ;   in Loop: Header=BB393_443 Depth=1
	s_andn2_saveexec_b64 s[12:13], s[4:5]
; %bb.950:                              ;   in Loop: Header=BB393_443 Depth=1
	v_or_b32_e32 v7, 0x10000, v2
	v_cmp_eq_u32_sdwa s[4:5], v2, v11 src0_sel:WORD_0 src1_sel:DWORD
	v_cndmask_b32_e64 v50, v7, v2, s[4:5]
; %bb.951:                              ;   in Loop: Header=BB393_443 Depth=1
	s_or_b64 exec, exec, s[12:13]
	v_lshrrev_b32_e32 v2, 16, v0
	v_cmp_ne_u16_sdwa s[4:5], v2, v11 src0_sel:BYTE_0 src1_sel:DWORD
	v_mov_b32_e32 v10, 0
	s_and_saveexec_b64 s[12:13], s[4:5]
	s_cbranch_execz .LBB393_957
; %bb.952:                              ;   in Loop: Header=BB393_443 Depth=1
	v_cmp_ne_u16_sdwa s[4:5], v2, s28 src0_sel:BYTE_0 src1_sel:DWORD
	v_bfrev_b32_e32 v10, 1
	s_and_saveexec_b64 s[24:25], s[4:5]
	s_cbranch_execz .LBB393_956
; %bb.953:                              ;   in Loop: Header=BB393_443 Depth=1
	v_bfe_u32 v7, v0, 16, 7
	v_cmp_ne_u32_e64 s[4:5], s29, v7
	v_mov_b32_e32 v10, 0x7f800001
	s_and_saveexec_b64 s[26:27], s[4:5]
	s_cbranch_execz .LBB393_955
; %bb.954:                              ;   in Loop: Header=BB393_443 Depth=1
	v_and_b32_e32 v8, 7, v2
	v_ffbh_u32_e32 v10, v8
	v_min_u32_e32 v10, 32, v10
	v_subrev_u32_e32 v34, 28, v10
	v_lshlrev_b64 v[52:53], v34, v[2:3]
	v_lshrrev_b32_e32 v9, 3, v7
	v_sub_u32_e32 v10, 29, v10
	v_and_b32_e32 v34, 7, v52
	v_cmp_gt_u32_e64 s[4:5], 8, v7
	v_cndmask_b32_e64 v7, v9, v10, s[4:5]
	v_cndmask_b32_e64 v8, v8, v34, s[4:5]
	v_lshlrev_b32_e32 v2, 24, v2
	v_lshlrev_b32_e32 v8, 20, v8
	v_and_b32_e32 v2, 0x80000000, v2
	v_lshl_add_u32 v7, v7, 23, v35
	v_or3_b32 v10, v2, v7, v8
.LBB393_955:                            ;   in Loop: Header=BB393_443 Depth=1
	s_or_b64 exec, exec, s[26:27]
.LBB393_956:                            ;   in Loop: Header=BB393_443 Depth=1
	s_or_b64 exec, exec, s[24:25]
.LBB393_957:                            ;   in Loop: Header=BB393_443 Depth=1
	s_or_b64 exec, exec, s[12:13]
	v_mul_f32_e32 v2, v26, v10
	v_and_b32_e32 v7, 0x7f800000, v2
	v_cmp_ne_u32_e64 s[4:5], s15, v7
                                        ; implicit-def: $vgpr51
	s_and_saveexec_b64 s[12:13], s[4:5]
	s_xor_b64 s[4:5], exec, s[12:13]
; %bb.958:                              ;   in Loop: Header=BB393_443 Depth=1
	v_bfe_u32 v7, v2, 16, 1
	v_add3_u32 v51, v2, v7, s21
                                        ; implicit-def: $vgpr2
; %bb.959:                              ;   in Loop: Header=BB393_443 Depth=1
	s_andn2_saveexec_b64 s[12:13], s[4:5]
; %bb.960:                              ;   in Loop: Header=BB393_443 Depth=1
	v_or_b32_e32 v7, 0x10000, v2
	v_cmp_eq_u32_sdwa s[4:5], v2, v11 src0_sel:WORD_0 src1_sel:DWORD
	v_cndmask_b32_e64 v51, v7, v2, s[4:5]
; %bb.961:                              ;   in Loop: Header=BB393_443 Depth=1
	s_or_b64 exec, exec, s[12:13]
	v_cmp_lt_u32_e64 s[4:5], s9, v0
	v_mov_b32_e32 v10, 0
	s_and_saveexec_b64 s[12:13], s[4:5]
	s_cbranch_execz .LBB393_967
; %bb.962:                              ;   in Loop: Header=BB393_443 Depth=1
	v_lshrrev_b32_e32 v2, 24, v0
	v_cmp_ne_u32_e64 s[4:5], s28, v2
	v_bfrev_b32_e32 v10, 1
	s_and_saveexec_b64 s[24:25], s[4:5]
	s_cbranch_execz .LBB393_966
; %bb.963:                              ;   in Loop: Header=BB393_443 Depth=1
	v_bfe_u32 v7, v0, 24, 7
	v_cmp_ne_u32_e64 s[4:5], s29, v7
	v_mov_b32_e32 v10, 0x7f800001
	s_and_saveexec_b64 s[26:27], s[4:5]
	s_cbranch_execz .LBB393_965
; %bb.964:                              ;   in Loop: Header=BB393_443 Depth=1
	v_and_b32_e32 v8, 7, v2
	v_ffbh_u32_e32 v10, v8
	v_min_u32_e32 v10, 32, v10
	v_subrev_u32_e32 v34, 28, v10
	v_lshlrev_b64 v[52:53], v34, v[2:3]
	v_lshrrev_b32_e32 v9, 3, v7
	v_sub_u32_e32 v10, 29, v10
	v_and_b32_e32 v34, 7, v52
	v_cmp_gt_u32_e64 s[4:5], 8, v7
	v_cndmask_b32_e64 v7, v9, v10, s[4:5]
	v_cndmask_b32_e64 v8, v8, v34, s[4:5]
	v_lshlrev_b32_e32 v2, 24, v2
	v_lshlrev_b32_e32 v8, 20, v8
	v_and_b32_e32 v2, 0x80000000, v2
	v_lshl_add_u32 v7, v7, 23, v35
	v_or3_b32 v10, v2, v7, v8
.LBB393_965:                            ;   in Loop: Header=BB393_443 Depth=1
	s_or_b64 exec, exec, s[26:27]
.LBB393_966:                            ;   in Loop: Header=BB393_443 Depth=1
	s_or_b64 exec, exec, s[24:25]
.LBB393_967:                            ;   in Loop: Header=BB393_443 Depth=1
	s_or_b64 exec, exec, s[12:13]
	v_mul_f32_e32 v2, v26, v10
	v_and_b32_e32 v7, 0x7f800000, v2
	v_cmp_ne_u32_e64 s[4:5], s15, v7
                                        ; implicit-def: $vgpr52
	s_and_saveexec_b64 s[12:13], s[4:5]
	s_xor_b64 s[4:5], exec, s[12:13]
; %bb.968:                              ;   in Loop: Header=BB393_443 Depth=1
	v_bfe_u32 v7, v2, 16, 1
	v_add3_u32 v52, v2, v7, s21
                                        ; implicit-def: $vgpr2
; %bb.969:                              ;   in Loop: Header=BB393_443 Depth=1
	s_andn2_saveexec_b64 s[12:13], s[4:5]
; %bb.970:                              ;   in Loop: Header=BB393_443 Depth=1
	v_or_b32_e32 v7, 0x10000, v2
	v_cmp_eq_u32_sdwa s[4:5], v2, v11 src0_sel:WORD_0 src1_sel:DWORD
	v_cndmask_b32_e64 v52, v7, v2, s[4:5]
; %bb.971:                              ;   in Loop: Header=BB393_443 Depth=1
	s_or_b64 exec, exec, s[12:13]
	v_mov_b32_e32 v10, v1
	v_cmp_ne_u16_sdwa s[4:5], v1, v11 src0_sel:BYTE_0 src1_sel:DWORD
	v_mov_b32_e32 v2, 0
	s_and_saveexec_b64 s[12:13], s[4:5]
	s_cbranch_execz .LBB393_977
; %bb.972:                              ;   in Loop: Header=BB393_443 Depth=1
	v_cmp_ne_u16_sdwa s[4:5], v1, s28 src0_sel:BYTE_0 src1_sel:DWORD
	v_bfrev_b32_e32 v2, 1
	s_and_saveexec_b64 s[24:25], s[4:5]
	s_cbranch_execz .LBB393_976
; %bb.973:                              ;   in Loop: Header=BB393_443 Depth=1
	v_and_b32_e32 v7, 0x7f, v1
	v_cmp_ne_u32_e64 s[4:5], s29, v7
	v_mov_b32_e32 v2, 0x7f800001
	s_and_saveexec_b64 s[26:27], s[4:5]
	s_cbranch_execz .LBB393_975
; %bb.974:                              ;   in Loop: Header=BB393_443 Depth=1
	v_and_b32_e32 v2, 7, v1
	v_ffbh_u32_e32 v2, v2
	v_min_u32_e32 v2, 32, v2
	v_subrev_u32_e32 v9, 28, v2
	v_cmp_gt_u32_e64 s[4:5], 8, v7
	v_lshrrev_b32_e32 v8, 3, v7
	v_sub_u32_e32 v2, 29, v2
	v_cndmask_b32_e64 v7, 0, v9, s[4:5]
	v_cndmask_b32_e64 v2, v8, v2, s[4:5]
	v_lshlrev_b64 v[8:9], v7, v[10:11]
	v_lshlrev_b32_e32 v7, 20, v8
	v_lshlrev_b32_e32 v8, 24, v10
	v_and_b32_e32 v7, 0x700000, v7
	v_and_b32_e32 v8, 0x80000000, v8
	v_lshl_add_u32 v2, v2, 23, v35
	v_or3_b32 v2, v8, v2, v7
.LBB393_975:                            ;   in Loop: Header=BB393_443 Depth=1
	s_or_b64 exec, exec, s[26:27]
.LBB393_976:                            ;   in Loop: Header=BB393_443 Depth=1
	s_or_b64 exec, exec, s[24:25]
.LBB393_977:                            ;   in Loop: Header=BB393_443 Depth=1
	s_or_b64 exec, exec, s[12:13]
	v_mul_f32_e32 v2, v26, v2
	v_and_b32_e32 v7, 0x7f800000, v2
	v_cmp_ne_u32_e64 s[4:5], s15, v7
                                        ; implicit-def: $vgpr53
	s_and_saveexec_b64 s[12:13], s[4:5]
	s_xor_b64 s[4:5], exec, s[12:13]
; %bb.978:                              ;   in Loop: Header=BB393_443 Depth=1
	v_bfe_u32 v7, v2, 16, 1
	v_add3_u32 v53, v2, v7, s21
                                        ; implicit-def: $vgpr2
; %bb.979:                              ;   in Loop: Header=BB393_443 Depth=1
	s_andn2_saveexec_b64 s[12:13], s[4:5]
; %bb.980:                              ;   in Loop: Header=BB393_443 Depth=1
	v_or_b32_e32 v7, 0x10000, v2
	v_cmp_eq_u32_sdwa s[4:5], v2, v11 src0_sel:WORD_0 src1_sel:DWORD
	v_cndmask_b32_e64 v53, v7, v2, s[4:5]
; %bb.981:                              ;   in Loop: Header=BB393_443 Depth=1
	s_or_b64 exec, exec, s[12:13]
	v_lshrrev_b16_e32 v2, 8, v10
	v_cmp_ne_u16_e64 s[4:5], 0, v2
	v_mov_b32_e32 v34, 0
	s_and_saveexec_b64 s[12:13], s[4:5]
	s_cbranch_execz .LBB393_987
; %bb.982:                              ;   in Loop: Header=BB393_443 Depth=1
	v_cmp_ne_u16_e64 s[4:5], s28, v2
	v_bfrev_b32_e32 v34, 1
	s_and_saveexec_b64 s[24:25], s[4:5]
	s_cbranch_execz .LBB393_986
; %bb.983:                              ;   in Loop: Header=BB393_443 Depth=1
	v_and_b32_e32 v7, 0x7f, v2
	v_cmp_ne_u32_e64 s[4:5], s29, v7
	v_mov_b32_e32 v34, 0x7f800001
	s_and_saveexec_b64 s[26:27], s[4:5]
	s_cbranch_execz .LBB393_985
; %bb.984:                              ;   in Loop: Header=BB393_443 Depth=1
	v_and_b32_e32 v34, 7, v2
	v_ffbh_u32_e32 v8, v34
	v_accvgpr_write_b32 a16, v36
	v_min_u32_e32 v36, 32, v8
	v_subrev_u32_e32 v8, 28, v36
	v_lshlrev_b64 v[8:9], v8, v[2:3]
	v_lshrrev_b32_e32 v35, 3, v7
	v_sub_u32_e32 v2, 29, v36
	v_and_b32_e32 v8, 7, v8
	v_cmp_gt_u32_e64 s[4:5], 8, v7
	v_cndmask_b32_e64 v2, v35, v2, s[4:5]
	v_bfrev_b32_e32 v35, 60
	v_cndmask_b32_e64 v7, v34, v8, s[4:5]
	v_lshlrev_b32_e32 v8, 16, v10
	v_lshlrev_b32_e32 v7, 20, v7
	v_and_b32_e32 v8, 0x80000000, v8
	v_lshl_add_u32 v2, v2, 23, v35
	v_accvgpr_read_b32 v36, a16
	v_or3_b32 v34, v8, v2, v7
.LBB393_985:                            ;   in Loop: Header=BB393_443 Depth=1
	s_or_b64 exec, exec, s[26:27]
.LBB393_986:                            ;   in Loop: Header=BB393_443 Depth=1
	s_or_b64 exec, exec, s[24:25]
.LBB393_987:                            ;   in Loop: Header=BB393_443 Depth=1
	s_or_b64 exec, exec, s[12:13]
	v_mul_f32_e32 v2, v26, v34
	v_and_b32_e32 v7, 0x7f800000, v2
	v_cmp_ne_u32_e64 s[4:5], s15, v7
                                        ; implicit-def: $vgpr10
	s_and_saveexec_b64 s[12:13], s[4:5]
	s_xor_b64 s[4:5], exec, s[12:13]
; %bb.988:                              ;   in Loop: Header=BB393_443 Depth=1
	v_bfe_u32 v7, v2, 16, 1
	v_add3_u32 v10, v2, v7, s21
                                        ; implicit-def: $vgpr2
; %bb.989:                              ;   in Loop: Header=BB393_443 Depth=1
	s_andn2_saveexec_b64 s[12:13], s[4:5]
; %bb.990:                              ;   in Loop: Header=BB393_443 Depth=1
	v_or_b32_e32 v7, 0x10000, v2
	v_cmp_eq_u32_sdwa s[4:5], v2, v11 src0_sel:WORD_0 src1_sel:DWORD
	v_cndmask_b32_e64 v10, v7, v2, s[4:5]
; %bb.991:                              ;   in Loop: Header=BB393_443 Depth=1
	s_or_b64 exec, exec, s[12:13]
	v_lshrrev_b32_e32 v2, 16, v1
	v_cmp_ne_u16_sdwa s[4:5], v2, v11 src0_sel:BYTE_0 src1_sel:DWORD
	v_mov_b32_e32 v34, 0
	s_and_saveexec_b64 s[12:13], s[4:5]
	s_cbranch_execz .LBB393_997
; %bb.992:                              ;   in Loop: Header=BB393_443 Depth=1
	v_cmp_ne_u16_sdwa s[4:5], v2, s28 src0_sel:BYTE_0 src1_sel:DWORD
	v_bfrev_b32_e32 v34, 1
	s_and_saveexec_b64 s[24:25], s[4:5]
	s_cbranch_execz .LBB393_996
; %bb.993:                              ;   in Loop: Header=BB393_443 Depth=1
	v_bfe_u32 v7, v1, 16, 7
	v_cmp_ne_u32_e64 s[4:5], s29, v7
	v_mov_b32_e32 v34, 0x7f800001
	s_and_saveexec_b64 s[26:27], s[4:5]
	s_cbranch_execz .LBB393_995
; %bb.994:                              ;   in Loop: Header=BB393_443 Depth=1
	v_and_b32_e32 v34, 7, v2
	v_ffbh_u32_e32 v8, v34
	v_accvgpr_write_b32 a16, v36
	v_min_u32_e32 v36, 32, v8
	v_subrev_u32_e32 v8, 28, v36
	v_lshlrev_b64 v[8:9], v8, v[2:3]
	v_lshrrev_b32_e32 v35, 3, v7
	v_sub_u32_e32 v9, 29, v36
	v_and_b32_e32 v8, 7, v8
	v_cmp_gt_u32_e64 s[4:5], 8, v7
	v_cndmask_b32_e64 v7, v35, v9, s[4:5]
	v_bfrev_b32_e32 v35, 60
	v_cndmask_b32_e64 v8, v34, v8, s[4:5]
	v_lshlrev_b32_e32 v2, 24, v2
	v_lshlrev_b32_e32 v8, 20, v8
	v_and_b32_e32 v2, 0x80000000, v2
	v_lshl_add_u32 v7, v7, 23, v35
	v_accvgpr_read_b32 v36, a16
	v_or3_b32 v34, v2, v7, v8
.LBB393_995:                            ;   in Loop: Header=BB393_443 Depth=1
	s_or_b64 exec, exec, s[26:27]
.LBB393_996:                            ;   in Loop: Header=BB393_443 Depth=1
	s_or_b64 exec, exec, s[24:25]
.LBB393_997:                            ;   in Loop: Header=BB393_443 Depth=1
	s_or_b64 exec, exec, s[12:13]
	v_mul_f32_e32 v7, v26, v34
	v_and_b32_e32 v2, 0x7f800000, v7
	v_cmp_ne_u32_e64 s[4:5], s15, v2
                                        ; implicit-def: $vgpr2
	s_and_saveexec_b64 s[12:13], s[4:5]
	s_xor_b64 s[4:5], exec, s[12:13]
; %bb.998:                              ;   in Loop: Header=BB393_443 Depth=1
	v_bfe_u32 v2, v7, 16, 1
	v_add3_u32 v2, v7, v2, s21
                                        ; implicit-def: $vgpr7
; %bb.999:                              ;   in Loop: Header=BB393_443 Depth=1
	s_andn2_saveexec_b64 s[12:13], s[4:5]
; %bb.1000:                             ;   in Loop: Header=BB393_443 Depth=1
	v_or_b32_e32 v2, 0x10000, v7
	v_cmp_eq_u32_sdwa s[4:5], v7, v11 src0_sel:WORD_0 src1_sel:DWORD
	v_cndmask_b32_e64 v2, v2, v7, s[4:5]
; %bb.1001:                             ;   in Loop: Header=BB393_443 Depth=1
	s_or_b64 exec, exec, s[12:13]
	v_cmp_lt_u64_e64 s[4:5], s[8:9], v[0:1]
	v_mov_b32_e32 v34, 0
	s_and_saveexec_b64 s[12:13], s[4:5]
	s_cbranch_execz .LBB393_1007
; %bb.1002:                             ;   in Loop: Header=BB393_443 Depth=1
	v_lshrrev_b32_e32 v0, 24, v1
	v_cmp_ne_u32_e64 s[4:5], s28, v0
	v_bfrev_b32_e32 v34, 1
	s_and_saveexec_b64 s[24:25], s[4:5]
	s_cbranch_execz .LBB393_1006
; %bb.1003:                             ;   in Loop: Header=BB393_443 Depth=1
	v_bfe_u32 v1, v1, 24, 7
	v_cmp_ne_u32_e64 s[4:5], s29, v1
	v_mov_b32_e32 v34, 0x7f800001
	s_and_saveexec_b64 s[26:27], s[4:5]
	s_cbranch_execz .LBB393_1005
; %bb.1004:                             ;   in Loop: Header=BB393_443 Depth=1
	v_and_b32_e32 v7, 7, v0
	v_ffbh_u32_e32 v8, v7
	v_min_u32_e32 v35, 32, v8
	v_subrev_u32_e32 v8, 28, v35
	v_lshlrev_b64 v[8:9], v8, v[0:1]
	v_lshrrev_b32_e32 v34, 3, v1
	v_sub_u32_e32 v9, 29, v35
	v_and_b32_e32 v8, 7, v8
	v_cmp_gt_u32_e64 s[4:5], 8, v1
	v_bfrev_b32_e32 v35, 60
	v_cndmask_b32_e64 v1, v34, v9, s[4:5]
	v_cndmask_b32_e64 v7, v7, v8, s[4:5]
	v_lshlrev_b32_e32 v0, 24, v0
	v_lshlrev_b32_e32 v7, 20, v7
	v_and_b32_e32 v0, 0x80000000, v0
	v_lshl_add_u32 v1, v1, 23, v35
	v_or3_b32 v34, v0, v1, v7
.LBB393_1005:                           ;   in Loop: Header=BB393_443 Depth=1
	s_or_b64 exec, exec, s[26:27]
.LBB393_1006:                           ;   in Loop: Header=BB393_443 Depth=1
	s_or_b64 exec, exec, s[24:25]
.LBB393_1007:                           ;   in Loop: Header=BB393_443 Depth=1
	s_or_b64 exec, exec, s[12:13]
	v_mul_f32_e32 v0, v26, v34
	v_and_b32_e32 v1, 0x7f800000, v0
	v_cmp_ne_u32_e64 s[4:5], s15, v1
                                        ; implicit-def: $vgpr7
	s_and_saveexec_b64 s[12:13], s[4:5]
	s_xor_b64 s[4:5], exec, s[12:13]
; %bb.1008:                             ;   in Loop: Header=BB393_443 Depth=1
	v_bfe_u32 v1, v0, 16, 1
	v_add3_u32 v7, v0, v1, s21
                                        ; implicit-def: $vgpr0
; %bb.1009:                             ;   in Loop: Header=BB393_443 Depth=1
	s_andn2_saveexec_b64 s[12:13], s[4:5]
; %bb.1010:                             ;   in Loop: Header=BB393_443 Depth=1
	v_or_b32_e32 v1, 0x10000, v0
	v_cmp_eq_u32_sdwa s[4:5], v0, v11 src0_sel:WORD_0 src1_sel:DWORD
	v_cndmask_b32_e64 v7, v1, v0, s[4:5]
; %bb.1011:                             ;   in Loop: Header=BB393_443 Depth=1
	s_or_b64 exec, exec, s[12:13]
	v_lshrrev_b32_e32 v34, 16, v10
	v_lshrrev_b32_e32 v53, 16, v53
	;; [unrolled: 1-line block ×8, first 2 shown]
	s_and_saveexec_b64 s[4:5], vcc
	s_cbranch_execz .LBB393_1013
; %bb.1012:                             ;   in Loop: Header=BB393_443 Depth=1
	v_accvgpr_read_b32 v7, a17
	v_cmp_lt_i32_e32 vcc, v7, v32
	v_accvgpr_read_b32 v7, a23
	v_cndmask_b32_e32 v0, 0, v0, vcc
	v_cmp_lt_i32_e32 vcc, v7, v32
	v_accvgpr_read_b32 v7, a22
	v_cndmask_b32_e32 v1, 0, v1, vcc
	;; [unrolled: 3-line block ×6, first 2 shown]
	v_cmp_lt_i32_e32 vcc, v7, v32
	v_cndmask_b32_e32 v49, 0, v49, vcc
	v_cmp_lt_i32_e32 vcc, v17, v32
	v_cndmask_b32_e32 v2, 0, v2, vcc
.LBB393_1013:                           ;   in Loop: Header=BB393_443 Depth=1
	s_or_b64 exec, exec, s[4:5]
	v_lshlrev_b32_e32 v0, 16, v0
	v_mul_f32_e32 v7, v55, v0
	v_and_b32_e32 v0, 0x7f800000, v7
	v_cmp_ne_u32_e32 vcc, s15, v0
                                        ; implicit-def: $vgpr0
	s_and_saveexec_b64 s[4:5], vcc
	s_xor_b64 s[4:5], exec, s[4:5]
; %bb.1014:                             ;   in Loop: Header=BB393_443 Depth=1
	v_bfe_u32 v0, v7, 16, 1
	v_add3_u32 v0, v7, v0, s21
                                        ; implicit-def: $vgpr7
; %bb.1015:                             ;   in Loop: Header=BB393_443 Depth=1
	s_andn2_saveexec_b64 s[4:5], s[4:5]
; %bb.1016:                             ;   in Loop: Header=BB393_443 Depth=1
	v_or_b32_e32 v0, 0x10000, v7
	v_cmp_eq_u32_sdwa vcc, v7, v11 src0_sel:WORD_0 src1_sel:DWORD
	v_cndmask_b32_e32 v0, v0, v7, vcc
; %bb.1017:                             ;   in Loop: Header=BB393_443 Depth=1
	s_or_b64 exec, exec, s[4:5]
	v_lshlrev_b32_e32 v1, 16, v1
	v_mul_f32_e32 v7, v40, v1
	v_and_b32_e32 v1, 0x7f800000, v7
	v_cmp_ne_u32_e32 vcc, s15, v1
                                        ; implicit-def: $vgpr1
	s_and_saveexec_b64 s[4:5], vcc
	s_xor_b64 s[4:5], exec, s[4:5]
; %bb.1018:                             ;   in Loop: Header=BB393_443 Depth=1
	v_bfe_u32 v1, v7, 16, 1
	v_add3_u32 v1, v7, v1, s21
                                        ; implicit-def: $vgpr7
; %bb.1019:                             ;   in Loop: Header=BB393_443 Depth=1
	s_andn2_saveexec_b64 s[4:5], s[4:5]
; %bb.1020:                             ;   in Loop: Header=BB393_443 Depth=1
	v_or_b32_e32 v1, 0x10000, v7
	v_cmp_eq_u32_sdwa vcc, v7, v11 src0_sel:WORD_0 src1_sel:DWORD
	v_cndmask_b32_e32 v1, v1, v7, vcc
; %bb.1021:                             ;   in Loop: Header=BB393_443 Depth=1
	s_or_b64 exec, exec, s[4:5]
	v_lshlrev_b32_e32 v7, 16, v10
	v_mul_f32_e32 v7, v41, v7
	v_and_b32_e32 v8, 0x7f800000, v7
	v_cmp_ne_u32_e32 vcc, s15, v8
                                        ; implicit-def: $vgpr10
	s_and_saveexec_b64 s[4:5], vcc
	s_xor_b64 s[4:5], exec, s[4:5]
; %bb.1022:                             ;   in Loop: Header=BB393_443 Depth=1
	v_bfe_u32 v8, v7, 16, 1
	v_add3_u32 v10, v7, v8, s21
                                        ; implicit-def: $vgpr7
; %bb.1023:                             ;   in Loop: Header=BB393_443 Depth=1
	s_andn2_saveexec_b64 s[4:5], s[4:5]
; %bb.1024:                             ;   in Loop: Header=BB393_443 Depth=1
	v_or_b32_e32 v8, 0x10000, v7
	v_cmp_eq_u32_sdwa vcc, v7, v11 src0_sel:WORD_0 src1_sel:DWORD
	v_cndmask_b32_e32 v10, v8, v7, vcc
; %bb.1025:                             ;   in Loop: Header=BB393_443 Depth=1
	s_or_b64 exec, exec, s[4:5]
	v_lshlrev_b32_e32 v7, 16, v52
	v_mul_f32_e32 v7, v42, v7
	v_and_b32_e32 v8, 0x7f800000, v7
	v_cmp_ne_u32_e32 vcc, s15, v8
                                        ; implicit-def: $vgpr50
	s_and_saveexec_b64 s[4:5], vcc
	s_xor_b64 s[4:5], exec, s[4:5]
; %bb.1026:                             ;   in Loop: Header=BB393_443 Depth=1
	v_bfe_u32 v8, v7, 16, 1
	v_add3_u32 v50, v7, v8, s21
                                        ; implicit-def: $vgpr7
; %bb.1027:                             ;   in Loop: Header=BB393_443 Depth=1
	s_andn2_saveexec_b64 s[4:5], s[4:5]
; %bb.1028:                             ;   in Loop: Header=BB393_443 Depth=1
	v_or_b32_e32 v8, 0x10000, v7
	v_cmp_eq_u32_sdwa vcc, v7, v11 src0_sel:WORD_0 src1_sel:DWORD
	v_cndmask_b32_e32 v50, v8, v7, vcc
; %bb.1029:                             ;   in Loop: Header=BB393_443 Depth=1
	s_or_b64 exec, exec, s[4:5]
	v_lshlrev_b32_e32 v7, 16, v53
	v_mul_f32_e32 v7, v43, v7
	v_and_b32_e32 v8, 0x7f800000, v7
	v_cmp_ne_u32_e32 vcc, s15, v8
                                        ; implicit-def: $vgpr51
	s_and_saveexec_b64 s[4:5], vcc
	s_xor_b64 s[4:5], exec, s[4:5]
; %bb.1030:                             ;   in Loop: Header=BB393_443 Depth=1
	v_bfe_u32 v8, v7, 16, 1
	v_add3_u32 v51, v7, v8, s21
                                        ; implicit-def: $vgpr7
; %bb.1031:                             ;   in Loop: Header=BB393_443 Depth=1
	s_andn2_saveexec_b64 s[4:5], s[4:5]
; %bb.1032:                             ;   in Loop: Header=BB393_443 Depth=1
	v_or_b32_e32 v8, 0x10000, v7
	v_cmp_eq_u32_sdwa vcc, v7, v11 src0_sel:WORD_0 src1_sel:DWORD
	v_cndmask_b32_e32 v51, v8, v7, vcc
; %bb.1033:                             ;   in Loop: Header=BB393_443 Depth=1
	s_or_b64 exec, exec, s[4:5]
	v_lshlrev_b32_e32 v7, 16, v34
	v_mul_f32_e32 v7, v44, v7
	v_and_b32_e32 v8, 0x7f800000, v7
	v_cmp_ne_u32_e32 vcc, s15, v8
                                        ; implicit-def: $vgpr34
	s_and_saveexec_b64 s[4:5], vcc
	s_xor_b64 s[4:5], exec, s[4:5]
; %bb.1034:                             ;   in Loop: Header=BB393_443 Depth=1
	v_bfe_u32 v8, v7, 16, 1
	v_add3_u32 v34, v7, v8, s21
                                        ; implicit-def: $vgpr7
; %bb.1035:                             ;   in Loop: Header=BB393_443 Depth=1
	s_andn2_saveexec_b64 s[4:5], s[4:5]
; %bb.1036:                             ;   in Loop: Header=BB393_443 Depth=1
	v_or_b32_e32 v8, 0x10000, v7
	v_cmp_eq_u32_sdwa vcc, v7, v11 src0_sel:WORD_0 src1_sel:DWORD
	v_cndmask_b32_e32 v34, v8, v7, vcc
; %bb.1037:                             ;   in Loop: Header=BB393_443 Depth=1
	s_or_b64 exec, exec, s[4:5]
	v_lshlrev_b32_e32 v7, 16, v49
	v_mul_f32_e32 v7, v45, v7
	v_and_b32_e32 v8, 0x7f800000, v7
	v_cmp_ne_u32_e32 vcc, s15, v8
                                        ; implicit-def: $vgpr49
	s_and_saveexec_b64 s[4:5], vcc
	s_xor_b64 s[4:5], exec, s[4:5]
; %bb.1038:                             ;   in Loop: Header=BB393_443 Depth=1
	v_bfe_u32 v8, v7, 16, 1
	v_add3_u32 v49, v7, v8, s21
                                        ; implicit-def: $vgpr7
; %bb.1039:                             ;   in Loop: Header=BB393_443 Depth=1
	s_andn2_saveexec_b64 s[4:5], s[4:5]
; %bb.1040:                             ;   in Loop: Header=BB393_443 Depth=1
	v_or_b32_e32 v8, 0x10000, v7
	v_cmp_eq_u32_sdwa vcc, v7, v11 src0_sel:WORD_0 src1_sel:DWORD
	v_cndmask_b32_e32 v49, v8, v7, vcc
; %bb.1041:                             ;   in Loop: Header=BB393_443 Depth=1
	s_or_b64 exec, exec, s[4:5]
	v_lshlrev_b32_e32 v2, 16, v2
	v_mul_f32_e32 v7, v46, v2
	v_and_b32_e32 v2, 0x7f800000, v7
	v_cmp_ne_u32_e32 vcc, s15, v2
                                        ; implicit-def: $vgpr2
	s_and_saveexec_b64 s[4:5], vcc
	s_xor_b64 s[4:5], exec, s[4:5]
; %bb.1042:                             ;   in Loop: Header=BB393_443 Depth=1
	v_bfe_u32 v2, v7, 16, 1
	v_add3_u32 v2, v7, v2, s21
                                        ; implicit-def: $vgpr7
; %bb.1043:                             ;   in Loop: Header=BB393_443 Depth=1
	s_andn2_saveexec_b64 s[4:5], s[4:5]
	s_cbranch_execz .LBB393_442
; %bb.1044:                             ;   in Loop: Header=BB393_443 Depth=1
	v_or_b32_e32 v2, 0x10000, v7
	v_cmp_eq_u32_sdwa vcc, v7, v11 src0_sel:WORD_0 src1_sel:DWORD
	v_cndmask_b32_e32 v2, v2, v7, vcc
	s_branch .LBB393_442
.LBB393_1045:
	s_or_b64 exec, exec, s[10:11]
	v_accvgpr_read_b32 v28, a2
	v_accvgpr_read_b32 v21, a5
	;; [unrolled: 1-line block ×5, first 2 shown]
.LBB393_1046:
	s_or_b64 exec, exec, s[6:7]
	ds_bpermute_b32 v0, v22, v18
	ds_bpermute_b32 v1, v22, v19
	;; [unrolled: 1-line block ×5, first 2 shown]
	s_waitcnt lgkmcnt(0)
	v_pk_add_f32 v[0:1], v[18:19], v[0:1]
	ds_bpermute_b32 v4, v23, v0
	ds_bpermute_b32 v5, v23, v1
	v_pk_add_f32 v[6:7], v[12:13], v[2:3]
	v_add_f32_e32 v10, v30, v10
	ds_bpermute_b32 v8, v23, v6
	ds_bpermute_b32 v9, v23, v7
	s_waitcnt vmcnt(0)
	ds_bpermute_b32 v11, v23, v10
	s_waitcnt lgkmcnt(3)
	v_pk_add_f32 v[2:3], v[0:1], v[4:5]
	v_and_b32_e32 v4, 0x3c3, v28
	v_cmp_eq_u32_e32 vcc, 64, v4
	s_waitcnt lgkmcnt(1)
	v_pk_add_f32 v[0:1], v[6:7], v[8:9]
	s_waitcnt lgkmcnt(0)
	v_add_f32_e32 v6, v10, v11
	s_barrier
	s_and_saveexec_b64 s[4:5], vcc
	s_cbranch_execz .LBB393_1048
; %bb.1047:
	s_ashr_i32 s21, s20, 31
	s_lshl_b64 s[6:7], s[20:21], 2
	s_getpc_b64 s[8:9]
	s_add_u32 s8, s8, llvm.amdgcn.dynlds.offset.table@rel32@lo+4
	s_addc_u32 s9, s9, llvm.amdgcn.dynlds.offset.table@rel32@hi+12
	s_add_u32 s6, s6, s8
	s_addc_u32 s7, s7, s9
	s_load_dword s6, s[6:7], 0x0
	s_waitcnt lgkmcnt(0)
	v_add_u32_e32 v4, s6, v21
	ds_write2_b32 v4, v2, v3 offset1:16
	ds_write2_b32 v4, v0, v1 offset0:32 offset1:48
	ds_write_b32 v4, v6 offset:256
.LBB393_1048:
	s_or_b64 exec, exec, s[4:5]
	v_cmp_gt_u32_e32 vcc, 64, v28
	s_waitcnt lgkmcnt(0)
	s_barrier
	s_mov_b64 s[6:7], exec
	s_and_b64 s[4:5], s[6:7], vcc
	v_accvgpr_read_b32 v7, a0
	v_accvgpr_read_b32 v8, a1
	s_mov_b64 exec, s[4:5]
	s_cbranch_execz .LBB393_1056
; %bb.1049:
	v_cmp_eq_u32_e64 s[4:5], 0, v20
	v_lshrrev_b32_e32 v4, 2, v28
	s_and_saveexec_b64 s[8:9], s[4:5]
	s_cbranch_execnz .LBB393_1080
; %bb.1050:
	s_or_b64 exec, exec, s[8:9]
	s_and_saveexec_b64 s[8:9], s[4:5]
	s_cbranch_execnz .LBB393_1081
.LBB393_1051:
	s_or_b64 exec, exec, s[8:9]
	s_and_saveexec_b64 s[8:9], s[4:5]
	s_cbranch_execnz .LBB393_1082
.LBB393_1052:
	s_or_b64 exec, exec, s[8:9]
	s_and_saveexec_b64 s[8:9], s[4:5]
	s_cbranch_execnz .LBB393_1083
.LBB393_1053:
	s_or_b64 exec, exec, s[8:9]
	s_and_saveexec_b64 s[8:9], s[4:5]
	s_cbranch_execz .LBB393_1055
.LBB393_1054:
	s_ashr_i32 s21, s20, 31
	s_lshl_b64 s[4:5], s[20:21], 2
	s_getpc_b64 s[10:11]
	s_add_u32 s10, s10, llvm.amdgcn.dynlds.offset.table@rel32@lo+4
	s_addc_u32 s11, s11, llvm.amdgcn.dynlds.offset.table@rel32@hi+12
	s_add_u32 s4, s4, s10
	s_addc_u32 s5, s5, s11
	s_load_dword s4, s[4:5], 0x0
	s_waitcnt lgkmcnt(0)
	v_lshl_add_u32 v4, v4, 2, s4
	ds_read_b32 v4, v4 offset:256
	s_waitcnt lgkmcnt(0)
	v_add_f32_e32 v6, v6, v4
.LBB393_1055:
	s_or_b64 exec, exec, s[8:9]
.LBB393_1056:
	s_or_b64 exec, exec, s[6:7]
	s_barrier
	s_and_b64 exec, exec, vcc
	s_cbranch_execz .LBB393_1079
; %bb.1057:
	v_cmp_eq_u32_e32 vcc, 0, v20
	s_and_b64 exec, exec, vcc
	s_cbranch_execz .LBB393_1079
; %bb.1058:
	s_mov_b32 s4, 0x7f800000
	v_and_b32_e32 v4, 0x7f800000, v2
	v_cmp_ne_u32_e32 vcc, s4, v4
                                        ; implicit-def: $vgpr4
	s_and_saveexec_b64 s[4:5], vcc
	s_xor_b64 s[4:5], exec, s[4:5]
; %bb.1059:
	v_bfe_u32 v4, v2, 16, 1
	s_movk_i32 s6, 0x7fff
	v_add3_u32 v4, v2, v4, s6
; %bb.1060:
	s_andn2_saveexec_b64 s[4:5], s[4:5]
; %bb.1061:
	v_mov_b32_e32 v4, 0
	v_or_b32_e32 v5, 0x10000, v2
	v_cmp_eq_u32_sdwa vcc, v2, v4 src0_sel:WORD_0 src1_sel:DWORD
	v_cndmask_b32_e32 v4, v5, v2, vcc
; %bb.1062:
	s_or_b64 exec, exec, s[4:5]
	s_mul_i32 s4, s23, s18
	s_mul_i32 s4, s4, s19
	s_mulk_i32 s4, 0x50
	s_mul_i32 s6, s22, s23
	s_mul_i32 s8, s14, 0x50
	s_ashr_i32 s5, s4, 31
	s_ashr_i32 s7, s6, 31
	s_ashr_i32 s9, s8, 31
	s_lshl_b64 s[4:5], s[4:5], 1
	s_lshl_b64 s[6:7], s[6:7], 1
	;; [unrolled: 1-line block ×3, first 2 shown]
	s_add_u32 s6, s8, s6
	s_addc_u32 s7, s9, s7
	s_add_u32 s4, s6, s4
	s_addc_u32 s5, s7, s5
	v_mov_b32_e32 v2, s5
	v_add_co_u32_e32 v5, vcc, s4, v8
	v_addc_co_u32_e32 v2, vcc, v2, v7, vcc
	v_lshrrev_b32_e32 v7, 1, v28
	v_and_b32_e32 v7, 0x1fe, v7
	v_add_co_u32_e32 v8, vcc, v5, v7
	v_addc_co_u32_e32 v9, vcc, 0, v2, vcc
	s_mov_b32 s4, 0x7f800000
	v_and_b32_e32 v2, 0x7f800000, v3
	v_cmp_ne_u32_e32 vcc, s4, v2
	flat_store_short_d16_hi v[8:9], v4
                                        ; implicit-def: $vgpr2
	s_and_saveexec_b64 s[4:5], vcc
	s_xor_b64 s[4:5], exec, s[4:5]
; %bb.1063:
	v_bfe_u32 v2, v3, 16, 1
	s_movk_i32 s6, 0x7fff
	v_add3_u32 v2, v3, v2, s6
; %bb.1064:
	s_andn2_saveexec_b64 s[4:5], s[4:5]
; %bb.1065:
	v_mov_b32_e32 v2, 0
	v_or_b32_e32 v4, 0x10000, v3
	v_cmp_eq_u32_sdwa vcc, v3, v2 src0_sel:WORD_0 src1_sel:DWORD
	v_cndmask_b32_e32 v2, v4, v3, vcc
; %bb.1066:
	s_or_b64 exec, exec, s[4:5]
	flat_store_short_d16_hi v[8:9], v2 offset:32
	s_mov_b32 s4, 0x7f800000
	v_and_b32_e32 v2, 0x7f800000, v0
	v_cmp_ne_u32_e32 vcc, s4, v2
                                        ; implicit-def: $vgpr2
	s_and_saveexec_b64 s[4:5], vcc
	s_xor_b64 s[4:5], exec, s[4:5]
; %bb.1067:
	v_bfe_u32 v2, v0, 16, 1
	s_movk_i32 s6, 0x7fff
	v_add3_u32 v2, v0, v2, s6
; %bb.1068:
	s_andn2_saveexec_b64 s[4:5], s[4:5]
; %bb.1069:
	v_mov_b32_e32 v2, 0
	v_or_b32_e32 v3, 0x10000, v0
	v_cmp_eq_u32_sdwa vcc, v0, v2 src0_sel:WORD_0 src1_sel:DWORD
	v_cndmask_b32_e32 v2, v3, v0, vcc
; %bb.1070:
	s_or_b64 exec, exec, s[4:5]
	s_mov_b32 s4, 0x7f800000
	v_and_b32_e32 v0, 0x7f800000, v1
	v_cmp_ne_u32_e32 vcc, s4, v0
	flat_store_short_d16_hi v[8:9], v2 offset:64
                                        ; implicit-def: $vgpr0
	s_and_saveexec_b64 s[4:5], vcc
	s_xor_b64 s[4:5], exec, s[4:5]
; %bb.1071:
	v_bfe_u32 v0, v1, 16, 1
	s_movk_i32 s6, 0x7fff
	v_add3_u32 v0, v1, v0, s6
; %bb.1072:
	s_andn2_saveexec_b64 s[4:5], s[4:5]
; %bb.1073:
	v_mov_b32_e32 v0, 0
	v_or_b32_e32 v2, 0x10000, v1
	v_cmp_eq_u32_sdwa vcc, v1, v0 src0_sel:WORD_0 src1_sel:DWORD
	v_cndmask_b32_e32 v0, v2, v1, vcc
; %bb.1074:
	s_or_b64 exec, exec, s[4:5]
	flat_store_short_d16_hi v[8:9], v0 offset:96
	s_mov_b32 s4, 0x7f800000
	v_and_b32_e32 v0, 0x7f800000, v6
	v_cmp_ne_u32_e32 vcc, s4, v0
                                        ; implicit-def: $vgpr0
	s_and_saveexec_b64 s[4:5], vcc
	s_xor_b64 s[4:5], exec, s[4:5]
; %bb.1075:
	v_bfe_u32 v0, v6, 16, 1
	s_movk_i32 s6, 0x7fff
	v_add3_u32 v0, v6, v0, s6
                                        ; implicit-def: $vgpr2_vgpr3_vgpr4_vgpr5_vgpr6
; %bb.1076:
	s_andn2_saveexec_b64 s[4:5], s[4:5]
; %bb.1077:
	v_mov_b32_e32 v0, 0
	v_or_b32_e32 v1, 0x10000, v6
	v_cmp_eq_u32_sdwa vcc, v6, v0 src0_sel:WORD_0 src1_sel:DWORD
	v_cndmask_b32_e32 v0, v1, v6, vcc
; %bb.1078:
	s_or_b64 exec, exec, s[4:5]
	flat_store_short_d16_hi v[8:9], v0 offset:128
.LBB393_1079:
	s_or_b64 exec, exec, s[16:17]
	buffer_load_dword a63, off, s[0:3], s32 ; 4-byte Folded Reload
	buffer_load_dword a62, off, s[0:3], s32 offset:4 ; 4-byte Folded Reload
	buffer_load_dword a61, off, s[0:3], s32 offset:8 ; 4-byte Folded Reload
	;; [unrolled: 1-line block ×46, first 2 shown]
	v_readlane_b32 s30, v63, 7
	v_readlane_b32 s31, v63, 8
	;; [unrolled: 1-line block ×9, first 2 shown]
	s_or_saveexec_b64 s[4:5], -1
	buffer_load_dword v63, off, s[0:3], s32 offset:200 ; 4-byte Folded Reload
	s_mov_b64 exec, s[4:5]
	s_waitcnt vmcnt(0) lgkmcnt(0)
	s_setpc_b64 s[30:31]
.LBB393_1080:
	s_ashr_i32 s21, s20, 31
	s_lshl_b64 s[10:11], s[20:21], 2
	s_getpc_b64 s[12:13]
	s_add_u32 s12, s12, llvm.amdgcn.dynlds.offset.table@rel32@lo+4
	s_addc_u32 s13, s13, llvm.amdgcn.dynlds.offset.table@rel32@hi+12
	s_add_u32 s10, s10, s12
	s_addc_u32 s11, s11, s13
	s_load_dword s10, s[10:11], 0x0
	s_waitcnt lgkmcnt(0)
	v_lshl_add_u32 v5, v4, 2, s10
	ds_read_b32 v5, v5
	s_waitcnt lgkmcnt(0)
	v_add_f32_e32 v2, v2, v5
	s_or_b64 exec, exec, s[8:9]
	s_and_saveexec_b64 s[8:9], s[4:5]
	s_cbranch_execz .LBB393_1051
.LBB393_1081:
	s_ashr_i32 s21, s20, 31
	s_lshl_b64 s[10:11], s[20:21], 2
	s_getpc_b64 s[12:13]
	s_add_u32 s12, s12, llvm.amdgcn.dynlds.offset.table@rel32@lo+4
	s_addc_u32 s13, s13, llvm.amdgcn.dynlds.offset.table@rel32@hi+12
	s_add_u32 s10, s10, s12
	s_addc_u32 s11, s11, s13
	s_load_dword s10, s[10:11], 0x0
	s_waitcnt lgkmcnt(0)
	v_lshl_add_u32 v5, v4, 2, s10
	ds_read_b32 v5, v5 offset:64
	s_waitcnt lgkmcnt(0)
	v_add_f32_e32 v3, v3, v5
	s_or_b64 exec, exec, s[8:9]
	s_and_saveexec_b64 s[8:9], s[4:5]
	s_cbranch_execz .LBB393_1052
.LBB393_1082:
	s_ashr_i32 s21, s20, 31
	s_lshl_b64 s[10:11], s[20:21], 2
	s_getpc_b64 s[12:13]
	s_add_u32 s12, s12, llvm.amdgcn.dynlds.offset.table@rel32@lo+4
	s_addc_u32 s13, s13, llvm.amdgcn.dynlds.offset.table@rel32@hi+12
	s_add_u32 s10, s10, s12
	s_addc_u32 s11, s11, s13
	s_load_dword s10, s[10:11], 0x0
	s_waitcnt lgkmcnt(0)
	v_lshl_add_u32 v5, v4, 2, s10
	ds_read_b32 v5, v5 offset:128
	s_waitcnt lgkmcnt(0)
	v_add_f32_e32 v0, v0, v5
	s_or_b64 exec, exec, s[8:9]
	s_and_saveexec_b64 s[8:9], s[4:5]
	s_cbranch_execz .LBB393_1053
.LBB393_1083:
	s_ashr_i32 s21, s20, 31
	s_lshl_b64 s[10:11], s[20:21], 2
	s_getpc_b64 s[12:13]
	s_add_u32 s12, s12, llvm.amdgcn.dynlds.offset.table@rel32@lo+4
	s_addc_u32 s13, s13, llvm.amdgcn.dynlds.offset.table@rel32@hi+12
	s_add_u32 s10, s10, s12
	s_addc_u32 s11, s11, s13
	s_load_dword s10, s[10:11], 0x0
	s_waitcnt lgkmcnt(0)
	v_lshl_add_u32 v5, v4, 2, s10
	ds_read_b32 v5, v5 offset:192
	s_waitcnt lgkmcnt(0)
	v_add_f32_e32 v1, v1, v5
	s_or_b64 exec, exec, s[8:9]
	s_and_saveexec_b64 s[8:9], s[4:5]
	s_cbranch_execnz .LBB393_1054
	s_branch .LBB393_1055
.Lfunc_end393:
	.size	_ZN4vllm22paged_attention_kernelI14__hip_bfloat16hLi80ELi32ELi128ELNS_18Fp8KVCacheDataTypeE1ELb0ELi512EEEvPfS3_PT_PKS4_PKT0_SA_ifPKiSC_iPKfiiiSE_SE_iiiii, .Lfunc_end393-_ZN4vllm22paged_attention_kernelI14__hip_bfloat16hLi80ELi32ELi128ELNS_18Fp8KVCacheDataTypeE1ELb0ELi512EEEvPfS3_PT_PKS4_PKT0_SA_ifPKiSC_iPKfiiiSE_SE_iiiii
                                        ; -- End function
	.section	.AMDGPU.csdata,"",@progbits
; Function info:
; codeLenInByte = 33416
; NumSgprs: 45
; NumVgprs: 64
; NumAgprs: 64
; TotalNumVgprs: 128
; ScratchSize: 208
; MemoryBound: 0
	.section	.text._ZN4vllm25paged_attention_v2_kernelI14__hip_bfloat16hLi80ELi32ELi128ELNS_18Fp8KVCacheDataTypeE1ELb0ELi512EEEvPfS3_PT_PKS4_PKT0_SA_ifPKiSC_iPKfiiiSE_SE_iiiii,"axG",@progbits,_ZN4vllm25paged_attention_v2_kernelI14__hip_bfloat16hLi80ELi32ELi128ELNS_18Fp8KVCacheDataTypeE1ELb0ELi512EEEvPfS3_PT_PKS4_PKT0_SA_ifPKiSC_iPKfiiiSE_SE_iiiii,comdat
	.protected	_ZN4vllm25paged_attention_v2_kernelI14__hip_bfloat16hLi80ELi32ELi128ELNS_18Fp8KVCacheDataTypeE1ELb0ELi512EEEvPfS3_PT_PKS4_PKT0_SA_ifPKiSC_iPKfiiiSE_SE_iiiii ; -- Begin function _ZN4vllm25paged_attention_v2_kernelI14__hip_bfloat16hLi80ELi32ELi128ELNS_18Fp8KVCacheDataTypeE1ELb0ELi512EEEvPfS3_PT_PKS4_PKT0_SA_ifPKiSC_iPKfiiiSE_SE_iiiii
	.globl	_ZN4vllm25paged_attention_v2_kernelI14__hip_bfloat16hLi80ELi32ELi128ELNS_18Fp8KVCacheDataTypeE1ELb0ELi512EEEvPfS3_PT_PKS4_PKT0_SA_ifPKiSC_iPKfiiiSE_SE_iiiii
	.p2align	8
	.type	_ZN4vllm25paged_attention_v2_kernelI14__hip_bfloat16hLi80ELi32ELi128ELNS_18Fp8KVCacheDataTypeE1ELb0ELi512EEEvPfS3_PT_PKS4_PKT0_SA_ifPKiSC_iPKfiiiSE_SE_iiiii,@function
_ZN4vllm25paged_attention_v2_kernelI14__hip_bfloat16hLi80ELi32ELi128ELNS_18Fp8KVCacheDataTypeE1ELb0ELi512EEEvPfS3_PT_PKS4_PKT0_SA_ifPKiSC_iPKfiiiSE_SE_iiiii: ; @_ZN4vllm25paged_attention_v2_kernelI14__hip_bfloat16hLi80ELi32ELi128ELNS_18Fp8KVCacheDataTypeE1ELb0ELi512EEEvPfS3_PT_PKS4_PKT0_SA_ifPKiSC_iPKfiiiSE_SE_iiiii
; %bb.0:
	s_add_u32 flat_scratch_lo, s6, s11
	s_addc_u32 flat_scratch_hi, s7, 0
	s_add_u32 s0, s0, s11
	s_load_dwordx8 s[24:31], s[4:5], 0x0
	s_load_dwordx8 s[16:23], s[4:5], 0x20
	s_load_dwordx2 s[6:7], s[4:5], 0x40
	s_load_dwordx2 s[34:35], s[4:5], 0x50
	s_load_dword s11, s[4:5], 0x48
	s_load_dwordx8 s[36:43], s[4:5], 0x58
	s_addc_u32 s1, s1, 0
	s_mov_b32 s12, s8
	s_add_u32 s8, s4, 0x90
	s_mov_b32 s13, s9
	s_addc_u32 s9, s5, 0
	s_mov_b32 s14, s10
	s_mov_b32 s15, 24
	v_mov_b32_e32 v31, v0
	s_waitcnt lgkmcnt(0)
	v_mov_b32_e32 v0, s24
	v_mov_b32_e32 v1, s25
	;; [unrolled: 1-line block ×28, first 2 shown]
	s_mov_b32 s32, 0
	s_getpc_b64 s[4:5]
	s_add_u32 s4, s4, _ZN4vllm22paged_attention_kernelI14__hip_bfloat16hLi80ELi32ELi128ELNS_18Fp8KVCacheDataTypeE1ELb0ELi512EEEvPfS3_PT_PKS4_PKT0_SA_ifPKiSC_iPKfiiiSE_SE_iiiii@rel32@lo+4
	s_addc_u32 s5, s5, _ZN4vllm22paged_attention_kernelI14__hip_bfloat16hLi80ELi32ELi128ELNS_18Fp8KVCacheDataTypeE1ELb0ELi512EEEvPfS3_PT_PKS4_PKT0_SA_ifPKiSC_iPKfiiiSE_SE_iiiii@rel32@hi+12
	s_swappc_b64 s[30:31], s[4:5]
	s_endpgm
	.section	.rodata,"a",@progbits
	.p2align	6, 0x0
	.amdhsa_kernel _ZN4vllm25paged_attention_v2_kernelI14__hip_bfloat16hLi80ELi32ELi128ELNS_18Fp8KVCacheDataTypeE1ELb0ELi512EEEvPfS3_PT_PKS4_PKT0_SA_ifPKiSC_iPKfiiiSE_SE_iiiii
		.amdhsa_group_segment_fixed_size 176
		.amdhsa_private_segment_fixed_size 208
		.amdhsa_kernarg_size 400
		.amdhsa_user_sgpr_count 8
		.amdhsa_user_sgpr_private_segment_buffer 1
		.amdhsa_user_sgpr_dispatch_ptr 0
		.amdhsa_user_sgpr_queue_ptr 0
		.amdhsa_user_sgpr_kernarg_segment_ptr 1
		.amdhsa_user_sgpr_dispatch_id 0
		.amdhsa_user_sgpr_flat_scratch_init 1
		.amdhsa_user_sgpr_kernarg_preload_length 0
		.amdhsa_user_sgpr_kernarg_preload_offset 0
		.amdhsa_user_sgpr_private_segment_size 0
		.amdhsa_uses_dynamic_stack 0
		.amdhsa_system_sgpr_private_segment_wavefront_offset 1
		.amdhsa_system_sgpr_workgroup_id_x 1
		.amdhsa_system_sgpr_workgroup_id_y 1
		.amdhsa_system_sgpr_workgroup_id_z 1
		.amdhsa_system_sgpr_workgroup_info 0
		.amdhsa_system_vgpr_workitem_id 0
		.amdhsa_next_free_vgpr 128
		.amdhsa_next_free_sgpr 44
		.amdhsa_accum_offset 64
		.amdhsa_reserve_vcc 1
		.amdhsa_reserve_flat_scratch 1
		.amdhsa_float_round_mode_32 0
		.amdhsa_float_round_mode_16_64 0
		.amdhsa_float_denorm_mode_32 3
		.amdhsa_float_denorm_mode_16_64 3
		.amdhsa_dx10_clamp 1
		.amdhsa_ieee_mode 1
		.amdhsa_fp16_overflow 0
		.amdhsa_tg_split 0
		.amdhsa_exception_fp_ieee_invalid_op 0
		.amdhsa_exception_fp_denorm_src 0
		.amdhsa_exception_fp_ieee_div_zero 0
		.amdhsa_exception_fp_ieee_overflow 0
		.amdhsa_exception_fp_ieee_underflow 0
		.amdhsa_exception_fp_ieee_inexact 0
		.amdhsa_exception_int_div_zero 0
	.end_amdhsa_kernel
	.section	.text._ZN4vllm25paged_attention_v2_kernelI14__hip_bfloat16hLi80ELi32ELi128ELNS_18Fp8KVCacheDataTypeE1ELb0ELi512EEEvPfS3_PT_PKS4_PKT0_SA_ifPKiSC_iPKfiiiSE_SE_iiiii,"axG",@progbits,_ZN4vllm25paged_attention_v2_kernelI14__hip_bfloat16hLi80ELi32ELi128ELNS_18Fp8KVCacheDataTypeE1ELb0ELi512EEEvPfS3_PT_PKS4_PKT0_SA_ifPKiSC_iPKfiiiSE_SE_iiiii,comdat
.Lfunc_end394:
	.size	_ZN4vllm25paged_attention_v2_kernelI14__hip_bfloat16hLi80ELi32ELi128ELNS_18Fp8KVCacheDataTypeE1ELb0ELi512EEEvPfS3_PT_PKS4_PKT0_SA_ifPKiSC_iPKfiiiSE_SE_iiiii, .Lfunc_end394-_ZN4vllm25paged_attention_v2_kernelI14__hip_bfloat16hLi80ELi32ELi128ELNS_18Fp8KVCacheDataTypeE1ELb0ELi512EEEvPfS3_PT_PKS4_PKT0_SA_ifPKiSC_iPKfiiiSE_SE_iiiii
                                        ; -- End function
	.section	.AMDGPU.csdata,"",@progbits
; Kernel info:
; codeLenInByte = 244
; NumSgprs: 50
; NumVgprs: 64
; NumAgprs: 64
; TotalNumVgprs: 128
; ScratchSize: 208
; MemoryBound: 0
; FloatMode: 240
; IeeeMode: 1
; LDSByteSize: 176 bytes/workgroup (compile time only)
; SGPRBlocks: 6
; VGPRBlocks: 15
; NumSGPRsForWavesPerEU: 50
; NumVGPRsForWavesPerEU: 128
; AccumOffset: 64
; Occupancy: 4
; WaveLimiterHint : 1
; COMPUTE_PGM_RSRC2:SCRATCH_EN: 1
; COMPUTE_PGM_RSRC2:USER_SGPR: 8
; COMPUTE_PGM_RSRC2:TRAP_HANDLER: 0
; COMPUTE_PGM_RSRC2:TGID_X_EN: 1
; COMPUTE_PGM_RSRC2:TGID_Y_EN: 1
; COMPUTE_PGM_RSRC2:TGID_Z_EN: 1
; COMPUTE_PGM_RSRC2:TIDIG_COMP_CNT: 0
; COMPUTE_PGM_RSRC3_GFX90A:ACCUM_OFFSET: 15
; COMPUTE_PGM_RSRC3_GFX90A:TG_SPLIT: 0
	.text
	.p2align	2                               ; -- Begin function _ZN4vllm22paged_attention_kernelI14__hip_bfloat16hLi96ELi32ELi128ELNS_18Fp8KVCacheDataTypeE1ELb0ELi512EEEvPfS3_PT_PKS4_PKT0_SA_ifPKiSC_iPKfiiiSE_SE_iiiii
	.type	_ZN4vllm22paged_attention_kernelI14__hip_bfloat16hLi96ELi32ELi128ELNS_18Fp8KVCacheDataTypeE1ELb0ELi512EEEvPfS3_PT_PKS4_PKT0_SA_ifPKiSC_iPKfiiiSE_SE_iiiii,@function
_ZN4vllm22paged_attention_kernelI14__hip_bfloat16hLi96ELi32ELi128ELNS_18Fp8KVCacheDataTypeE1ELb0ELi512EEEvPfS3_PT_PKS4_PKT0_SA_ifPKiSC_iPKfiiiSE_SE_iiiii: ; @_ZN4vllm22paged_attention_kernelI14__hip_bfloat16hLi96ELi32ELi128ELNS_18Fp8KVCacheDataTypeE1ELb0ELi512EEEvPfS3_PT_PKS4_PKT0_SA_ifPKiSC_iPKfiiiSE_SE_iiiii
; %bb.0:
	s_waitcnt vmcnt(0) expcnt(0) lgkmcnt(0)
	s_or_saveexec_b64 s[4:5], -1
	buffer_store_dword v63, off, s[0:3], s32 offset:260 ; 4-byte Folded Spill
	s_mov_b64 exec, s[4:5]
	buffer_store_dword v40, off, s[0:3], s32 offset:184 ; 4-byte Folded Spill
	buffer_store_dword v41, off, s[0:3], s32 offset:180 ; 4-byte Folded Spill
	;; [unrolled: 1-line block ×46, first 2 shown]
	buffer_store_dword a63, off, s[0:3], s32 ; 4-byte Folded Spill
	v_writelane_b32 v63, s34, 0
	v_writelane_b32 v63, s35, 1
	;; [unrolled: 1-line block ×9, first 2 shown]
	s_mov_b32 s18, s13
	s_ashr_i32 s19, s13, 31
	v_accvgpr_write_b32 a22, v24
	s_lshl_b64 s[4:5], s[18:19], 2
	v_accvgpr_write_b32 a23, v25
	v_mov_b32_e32 v25, v1
	v_mov_b32_e32 v33, v0
	;; [unrolled: 1-line block ×3, first 2 shown]
	v_add_co_u32_e32 v0, vcc, s4, v16
	buffer_store_dword v5, off, s[0:3], s32 offset:200 ; 4-byte Folded Spill
	buffer_store_dword v4, off, s[0:3], s32 offset:204 ; 4-byte Folded Spill
	v_addc_co_u32_e32 v1, vcc, v17, v1, vcc
	flat_load_dword v32, v[0:1]
	s_lshl_b32 s36, s14, 9
	v_accvgpr_write_b32 a4, v22
	v_mov_b32_e32 v29, v20
	v_mov_b32_e32 v28, v19
	;; [unrolled: 1-line block ×3, first 2 shown]
	v_accvgpr_write_b32 a24, v13
	v_mov_b32_e32 v34, v3
	v_mov_b32_e32 v35, v2
	s_waitcnt vmcnt(0) lgkmcnt(0)
	v_cmp_lt_i32_e32 vcc, s36, v32
	s_and_saveexec_b64 s[16:17], vcc
	s_cbranch_execz .LBB395_1278
; %bb.1:
	v_sub_u32_e32 v0, 0, v12
	v_max_i32_e32 v0, v12, v0
	v_cvt_f32_u32_e32 v1, v0
	s_load_dword s4, s[8:9], 0x10
	s_load_dword s6, s[8:9], 0x0
	v_sub_u32_e32 v3, 0, v0
	s_mov_b32 s20, s15
	v_rcp_iflag_f32_e32 v1, v1
	s_waitcnt lgkmcnt(0)
	s_lshr_b32 s4, s4, 16
	s_cmp_lg_u32 s4, 0
	s_cselect_b64 s[4:5], -1, 0
	v_mul_f32_e32 v1, 0x4f7ffffe, v1
	v_cvt_u32_f32_e32 v1, v1
	s_cmp_lg_u64 s[4:5], 0
	s_addc_u32 s19, s6, 0
	s_abs_i32 s4, s19
	v_mul_lo_u32 v3, v3, v1
	v_mul_hi_u32 v3, v1, v3
	v_add_u32_e32 v1, v1, v3
	v_mul_hi_u32 v1, s4, v1
	v_mul_lo_u32 v3, v1, v0
	v_sub_u32_e32 v3, s4, v3
	v_add_u32_e32 v4, 1, v1
	v_cmp_ge_u32_e32 vcc, v3, v0
	v_cndmask_b32_e32 v1, v1, v4, vcc
	v_sub_u32_e32 v4, v3, v0
	v_cndmask_b32_e32 v3, v3, v4, vcc
	v_xor_b32_e32 v2, s19, v12
	v_add_u32_e32 v4, 1, v1
	v_cmp_ge_u32_e32 vcc, v3, v0
	v_ashrrev_i32_e32 v2, 31, v2
	v_cndmask_b32_e32 v0, v1, v4, vcc
	v_xor_b32_e32 v0, v0, v2
	v_sub_u32_e32 v0, v0, v2
	v_sub_u32_e32 v1, 0, v0
	v_max_i32_e32 v1, v0, v1
	v_cvt_f32_u32_e32 v2, v1
	v_sub_u32_e32 v3, 0, v1
	s_abs_i32 s6, s12
	v_cmp_ne_u64_e32 vcc, 0, v[28:29]
	v_rcp_iflag_f32_e32 v2, v2
	v_mul_f32_e32 v2, 0x4f7ffffe, v2
	v_cvt_u32_f32_e32 v2, v2
	v_mul_lo_u32 v3, v3, v2
	v_mul_hi_u32 v3, v2, v3
	v_add_u32_e32 v2, v2, v3
	v_mad_u64_u32 v[16:17], s[4:5], s6, v2, 0
	v_mov_b32_e32 v2, 0
	buffer_store_dword v2, off, s[0:3], s32 offset:192 ; 4-byte Folded Spill
	s_and_saveexec_b64 s[4:5], vcc
	s_cbranch_execz .LBB395_3
; %bb.2:
	s_ashr_i32 s13, s12, 31
	s_lshl_b64 s[10:11], s[12:13], 2
	v_mov_b32_e32 v3, s11
	v_add_co_u32_e32 v2, vcc, s10, v28
	v_addc_co_u32_e32 v3, vcc, v29, v3, vcc
	flat_load_dword v2, v[2:3]
	s_waitcnt vmcnt(0) lgkmcnt(0)
	buffer_store_dword v2, off, s[0:3], s32 offset:192 ; 4-byte Folded Spill
.LBB395_3:
	s_or_b64 exec, exec, s[4:5]
	v_and_b32_e32 v14, 0x3ff, v31
	s_ashr_i32 s7, s12, 31
	v_ashrrev_i32_e32 v2, 31, v0
	v_and_b32_e32 v0, 1, v14
	s_movk_i32 s10, 0x60
	s_mul_i32 s22, s12, 0x60
	v_cmp_gt_u32_e32 vcc, 24, v14
	v_lshlrev_b32_e32 v31, 3, v14
	s_and_saveexec_b64 s[4:5], vcc
	s_cbranch_execz .LBB395_5
; %bb.4:
	v_mul_lo_u32 v4, s18, v21
	v_ashrrev_i32_e32 v5, 31, v4
	v_lshlrev_b64 v[4:5], 1, v[4:5]
	v_add_co_u32_e32 v3, vcc, v6, v4
	s_ashr_i32 s23, s22, 31
	v_addc_co_u32_e32 v4, vcc, v7, v5, vcc
	s_lshl_b64 s[24:25], s[22:23], 1
	v_mov_b32_e32 v5, s25
	v_add_co_u32_e32 v3, vcc, s24, v3
	v_addc_co_u32_e32 v5, vcc, v4, v5, vcc
	v_add_co_u32_e32 v4, vcc, v3, v31
	v_addc_co_u32_e32 v5, vcc, 0, v5, vcc
	flat_load_dwordx2 v[4:5], v[4:5]
	v_lshlrev_b32_e32 v3, 2, v14
	v_and_b32_e32 v3, 0xff8, v3
	v_mad_u32_u24 v3, v0, s10, v3
	s_waitcnt vmcnt(0) lgkmcnt(0)
	ds_write_b64 v3, v[4:5]
.LBB395_5:
	s_or_b64 exec, exec, s[4:5]
	v_add_u32_e32 v3, 31, v32
	v_ashrrev_i32_e32 v4, 31, v3
	v_lshrrev_b32_e32 v4, 27, v4
	v_add_u32_e32 v3, v3, v4
	v_ashrrev_i32_e32 v37, 5, v3
	v_mul_lo_u32 v3, v17, v1
	v_sub_u32_e32 v3, s6, v3
	v_add_u32_e32 v4, 1, v17
	v_cmp_ge_u32_e32 vcc, v3, v1
	v_sub_u32_e32 v5, v3, v1
	v_cndmask_b32_e32 v4, v17, v4, vcc
	v_cndmask_b32_e32 v3, v3, v5, vcc
	s_lshl_b32 s15, s14, 4
	v_add_u32_e32 v5, 1, v4
	v_cmp_ge_u32_e32 vcc, v3, v1
	s_add_i32 s4, s15, 16
	v_lshrrev_b32_e32 v36, 6, v14
	v_xor_b32_e32 v2, s7, v2
	v_cndmask_b32_e32 v1, v4, v5, vcc
	v_min_i32_e32 v12, s4, v37
	v_xor_b32_e32 v1, v1, v2
	v_mul_lo_u32 v6, s18, v18
	v_or_b32_e32 v16, s15, v36
	v_sub_u32_e32 v2, v1, v2
	v_ashrrev_i32_e32 v7, 31, v6
	v_cmp_lt_i32_e64 s[4:5], v16, v12
	v_accvgpr_write_b32 a3, v12
	v_cmp_ge_i32_e32 vcc, v16, v12
	v_mbcnt_lo_u32_b32 v1, -1, 0
	s_waitcnt lgkmcnt(0)
	s_barrier
	s_waitcnt lgkmcnt(0)
                                        ; implicit-def: $sgpr21
                                        ; implicit-def: $vgpr12
                                        ; implicit-def: $vgpr13
	s_and_saveexec_b64 s[6:7], vcc
	s_xor_b64 s[6:7], exec, s[6:7]
; %bb.6:
	v_mbcnt_hi_u32_b32 v12, -1, v1
	v_and_b32_e32 v0, 64, v12
	v_add_u32_e32 v13, 64, v0
	s_mov_b32 s21, 0xff7fffff
                                        ; implicit-def: $vgpr0
                                        ; kill: killed $vgpr0
                                        ; implicit-def: $agpr24
                                        ; implicit-def: $agpr22
                                        ; implicit-def: $vgpr8
                                        ; implicit-def: $vgpr9
                                        ; implicit-def: $vgpr0
                                        ; implicit-def: $vgpr1
; %bb.7:
	s_or_saveexec_b64 s[10:11], s[6:7]
	s_load_dword s23, s[8:9], 0x14
	s_load_dword s13, s[8:9], 0x8
	v_mul_lo_u32 v48, v2, v23
	v_mov_b32_e32 v3, s21
	v_ashrrev_i32_e32 v17, 31, v16
	v_ashrrev_i32_e32 v49, 31, v48
	v_lshlrev_b64 v[38:39], 2, v[6:7]
	buffer_store_dword v14, off, s[0:3], s32 offset:196 ; 4-byte Folded Spill
	s_xor_b64 exec, exec, s[10:11]
	s_cbranch_execz .LBB395_493
; %bb.8:
	buffer_store_dword v37, off, s[0:3], s32 offset:208 ; 4-byte Folded Spill
	buffer_store_dword v31, off, s[0:3], s32 offset:212 ; 4-byte Folded Spill
	buffer_store_dword v35, off, s[0:3], s32 offset:244 ; 4-byte Folded Spill
	buffer_store_dword v34, off, s[0:3], s32 offset:248 ; 4-byte Folded Spill
	buffer_store_dword v33, off, s[0:3], s32 offset:252 ; 4-byte Folded Spill
	buffer_store_dword v25, off, s[0:3], s32 offset:256 ; 4-byte Folded Spill
	v_mul_u32_u24_e32 v6, 0x60, v0
	v_accvgpr_write_b32 a14, v10
	v_accvgpr_write_b32 a7, v11
	ds_read_b128 v[2:5], v6
	ds_read_b128 v[10:13], v6 offset:16
	ds_read_b128 v[18:21], v6 offset:32
	;; [unrolled: 1-line block ×3, first 2 shown]
	buffer_store_dword v48, off, s[0:3], s32 offset:216 ; 4-byte Folded Spill
	s_waitcnt lgkmcnt(0)
	v_lshlrev_b32_e32 v7, 16, v2
	v_and_b32_e32 v2, 0xffff0000, v2
	v_accvgpr_write_b32 a28, v2
	v_lshlrev_b32_e32 v2, 16, v3
	v_accvgpr_write_b32 a29, v2
	v_and_b32_e32 v2, 0xffff0000, v3
	v_accvgpr_write_b32 a30, v2
	v_lshlrev_b32_e32 v2, 16, v4
	v_accvgpr_write_b32 a31, v2
	;; [unrolled: 4-line block ×14, first 2 shown]
	ds_read_b128 v[2:5], v6 offset:64
	ds_read_b128 v[10:13], v6 offset:80
	buffer_store_dword v49, off, s[0:3], s32 offset:220 ; 4-byte Folded Spill
	s_ashr_i32 s21, s20, 31
	v_accvgpr_write_b32 a27, v7
	s_waitcnt lgkmcnt(1)
	v_lshlrev_b32_e32 v6, 16, v2
	v_and_b32_e32 v2, 0xffff0000, v2
	v_accvgpr_write_b32 a60, v2
	v_lshlrev_b32_e32 v2, 16, v3
	v_accvgpr_write_b32 a61, v2
	v_and_b32_e32 v2, 0xffff0000, v3
	v_accvgpr_write_b32 a62, v2
	v_lshlrev_b32_e32 v2, 16, v4
	v_accvgpr_write_b32 a63, v2
	;; [unrolled: 4-line block ×3, first 2 shown]
	v_and_b32_e32 v2, 0xffff0000, v5
	v_accvgpr_write_b32 a20, v2
	s_waitcnt lgkmcnt(0)
	v_lshlrev_b32_e32 v2, 16, v10
	v_accvgpr_write_b32 a21, v2
	v_and_b32_e32 v2, 0xffff0000, v10
	v_accvgpr_write_b32 a18, v2
	v_lshlrev_b32_e32 v2, 16, v11
	v_accvgpr_write_b32 a19, v2
	v_and_b32_e32 v2, 0xffff0000, v11
	v_accvgpr_write_b32 a26, v2
	;; [unrolled: 4-line block ×4, first 2 shown]
	v_add_co_u32_e32 v2, vcc, v8, v48
	v_bfe_u32 v4, v14, 1, 5
	v_addc_co_u32_e32 v3, vcc, v9, v49, vcc
	v_lshlrev_b32_e32 v5, 4, v4
	v_add_co_u32_e32 v2, vcc, v2, v5
	v_addc_co_u32_e32 v3, vcc, 0, v3, vcc
	v_accvgpr_write_b32 a13, v3
	v_accvgpr_write_b32 a12, v2
	v_lshlrev_b64 v[2:3], 2, v[16:17]
	v_add_co_u32_e32 v2, vcc, v38, v2
	buffer_store_dword v38, off, s[0:3], s32 offset:224 ; 4-byte Folded Spill
	s_nop 0
	buffer_store_dword v39, off, s[0:3], s32 offset:228 ; 4-byte Folded Spill
	v_and_b32_e32 v7, 0xffff0000, v24
	s_lshl_b64 s[8:9], s[20:21], 2
	v_accvgpr_write_b32 a56, v7
	v_lshlrev_b32_e32 v7, 16, v25
	s_getpc_b64 s[24:25]
	s_add_u32 s24, s24, llvm.amdgcn.dynlds.offset.table@rel32@lo+4
	s_addc_u32 s25, s25, llvm.amdgcn.dynlds.offset.table@rel32@hi+12
	v_accvgpr_write_b32 a8, v26
	v_accvgpr_write_b32 a57, v7
	v_and_b32_e32 v7, 0xffff0000, v25
	s_add_u32 s24, s8, s24
	v_accvgpr_write_b32 a9, v27
	v_accvgpr_write_b32 a58, v7
	;; [unrolled: 1-line block ×5, first 2 shown]
	s_addc_u32 s25, s9, s25
	s_mov_b64 s[26:27], 0
	s_movk_i32 s21, 0x80
	s_movk_i32 s37, 0x7f
	s_mov_b32 s38, 0x7f800000
	s_movk_i32 s39, 0x7fff
	s_mov_b32 s40, 0xffffff
	v_mov_b32_e32 v55, 0
	v_bfrev_b32_e32 v40, 60
	v_mov_b32_e32 v41, v16
	buffer_store_dword v36, off, s[0:3], s32 offset:240 ; 4-byte Folded Spill
	v_addc_co_u32_e32 v3, vcc, v39, v3, vcc
	v_add_co_u32_e32 v18, vcc, v30, v2
	v_mbcnt_hi_u32_b32 v2, -1, v1
	v_and_b32_e32 v1, 64, v2
	v_addc_co_u32_e32 v19, vcc, v15, v3, vcc
	v_add_u32_e32 v3, 64, v1
	v_xor_b32_e32 v1, 1, v2
	v_cmp_lt_i32_e32 vcc, v1, v3
	v_cndmask_b32_e32 v1, v2, v1, vcc
	v_lshlrev_b32_e32 v1, 2, v1
	v_accvgpr_write_b32 a1, v1
	buffer_load_dword v1, off, s[0:3], s32 offset:192 ; 4-byte Folded Reload
	v_cmp_eq_u32_e32 vcc, 0, v0
	v_lshlrev_b32_e32 v0, 2, v0
	v_accvgpr_write_b32 a10, v0
	v_sub_u32_e32 v0, 1, v32
	v_accvgpr_write_b32 a11, v0
	v_mov_b32_e32 v0, 0xff7fffff
	buffer_store_dword v3, off, s[0:3], s32 offset:232 ; 4-byte Folded Spill
	buffer_store_dword v2, off, s[0:3], s32 offset:236 ; 4-byte Folded Spill
	;; [unrolled: 1-line block ×3, first 2 shown]
	s_waitcnt vmcnt(3)
	v_cmp_neq_f32_e64 s[6:7], 0, v1
	v_lshlrev_b32_e32 v1, 5, v36
	v_add3_u32 v53, s36, v1, v4
	v_lshlrev_b32_e32 v1, 2, v4
	v_lshl_or_b32 v54, v36, 7, v1
	s_branch .LBB395_10
.LBB395_9:                              ;   in Loop: Header=BB395_10 Depth=1
	s_or_b64 exec, exec, s[28:29]
	v_add_co_u32_e64 v18, s[8:9], 8, v18
	v_add_u32_e32 v41, 2, v41
	v_addc_co_u32_e64 v19, s[8:9], 0, v19, s[8:9]
	v_accvgpr_read_b32 v0, a3
	v_cmp_ge_i32_e64 s[8:9], v41, v0
	v_add_u32_e32 v53, 64, v53
	s_or_b64 s[26:27], s[8:9], s[26:27]
	v_add_u32_e32 v54, 0x100, v54
	s_andn2_b64 exec, exec, s[26:27]
	s_cbranch_execz .LBB395_492
.LBB395_10:                             ; =>This Inner Loop Header: Depth=1
	flat_load_dword v0, v[18:19]
	v_accvgpr_read_b32 v4, a12
	v_accvgpr_read_b32 v2, a4
	;; [unrolled: 1-line block ×3, first 2 shown]
	s_waitcnt vmcnt(0) lgkmcnt(0)
	v_mad_i64_i32 v[0:1], s[8:9], v0, v2, v[4:5]
	v_accvgpr_read_b32 v2, a10
	v_add_co_u32_e64 v20, s[8:9], v0, v2
	v_addc_co_u32_e64 v21, s[8:9], 0, v1, s[8:9]
	v_accvgpr_read_b32 v0, a22
	flat_load_dword v28, v[20:21]
	v_accvgpr_read_b32 v1, a23
	flat_load_dword v43, v[0:1]
	v_mov_b32_e32 v0, 0
	s_waitcnt vmcnt(0) lgkmcnt(0)
	v_cmp_ne_u16_sdwa s[8:9], v28, v55 src0_sel:BYTE_0 src1_sel:DWORD
	s_and_saveexec_b64 s[28:29], s[8:9]
	s_cbranch_execz .LBB395_16
; %bb.11:                               ;   in Loop: Header=BB395_10 Depth=1
	v_cmp_ne_u16_sdwa s[8:9], v28, s21 src0_sel:BYTE_0 src1_sel:DWORD
	v_bfrev_b32_e32 v0, 1
	s_and_saveexec_b64 s[30:31], s[8:9]
	s_cbranch_execz .LBB395_15
; %bb.12:                               ;   in Loop: Header=BB395_10 Depth=1
	v_and_b32_e32 v1, 0x7f, v28
	v_cmp_ne_u32_e64 s[8:9], s37, v1
	v_mov_b32_e32 v0, 0x7f800001
	s_and_saveexec_b64 s[34:35], s[8:9]
	s_cbranch_execz .LBB395_14
; %bb.13:                               ;   in Loop: Header=BB395_10 Depth=1
	v_and_b32_e32 v0, 7, v28
	v_ffbh_u32_e32 v2, v0
	v_min_u32_e32 v5, 32, v2
	v_subrev_u32_e32 v2, 28, v5
	v_lshlrev_b64 v[2:3], v2, v[28:29]
	v_lshrrev_b32_e32 v4, 3, v1
	v_sub_u32_e32 v3, 29, v5
	v_and_b32_e32 v2, 7, v2
	v_cmp_gt_u32_e64 s[8:9], 8, v1
	v_cndmask_b32_e64 v1, v4, v3, s[8:9]
	v_cndmask_b32_e64 v0, v0, v2, s[8:9]
	v_lshlrev_b32_e32 v2, 24, v28
	v_lshlrev_b32_e32 v0, 20, v0
	v_and_b32_e32 v2, 0x80000000, v2
	v_lshl_add_u32 v1, v1, 23, v40
	v_or3_b32 v0, v2, v1, v0
.LBB395_14:                             ;   in Loop: Header=BB395_10 Depth=1
	s_or_b64 exec, exec, s[34:35]
.LBB395_15:                             ;   in Loop: Header=BB395_10 Depth=1
	s_or_b64 exec, exec, s[30:31]
.LBB395_16:                             ;   in Loop: Header=BB395_10 Depth=1
	s_or_b64 exec, exec, s[28:29]
	v_mul_f32_e32 v0, v43, v0
	v_and_b32_e32 v1, 0x7f800000, v0
	v_cmp_ne_u32_e64 s[8:9], s38, v1
                                        ; implicit-def: $vgpr42
	s_and_saveexec_b64 s[28:29], s[8:9]
	s_xor_b64 s[8:9], exec, s[28:29]
; %bb.17:                               ;   in Loop: Header=BB395_10 Depth=1
	v_bfe_u32 v1, v0, 16, 1
	v_add3_u32 v42, v0, v1, s39
                                        ; implicit-def: $vgpr0
; %bb.18:                               ;   in Loop: Header=BB395_10 Depth=1
	s_andn2_saveexec_b64 s[28:29], s[8:9]
; %bb.19:                               ;   in Loop: Header=BB395_10 Depth=1
	v_or_b32_e32 v1, 0x10000, v0
	v_cmp_eq_u32_sdwa s[8:9], v0, v55 src0_sel:WORD_0 src1_sel:DWORD
	v_cndmask_b32_e64 v42, v1, v0, s[8:9]
; %bb.20:                               ;   in Loop: Header=BB395_10 Depth=1
	s_or_b64 exec, exec, s[28:29]
	v_lshrrev_b16_e32 v30, 8, v28
	v_cmp_ne_u16_e64 s[8:9], 0, v30
	v_mov_b32_e32 v0, 0
	s_and_saveexec_b64 s[28:29], s[8:9]
	s_cbranch_execz .LBB395_26
; %bb.21:                               ;   in Loop: Header=BB395_10 Depth=1
	v_cmp_ne_u16_e64 s[8:9], s21, v30
	v_bfrev_b32_e32 v0, 1
	s_and_saveexec_b64 s[30:31], s[8:9]
	s_cbranch_execz .LBB395_25
; %bb.22:                               ;   in Loop: Header=BB395_10 Depth=1
	v_and_b32_e32 v1, 0x7f, v30
	v_cmp_ne_u32_e64 s[8:9], s37, v1
	v_mov_b32_e32 v0, 0x7f800001
	s_and_saveexec_b64 s[34:35], s[8:9]
	s_cbranch_execz .LBB395_24
; %bb.23:                               ;   in Loop: Header=BB395_10 Depth=1
	v_and_b32_e32 v0, 7, v30
	v_ffbh_u32_e32 v2, v0
	v_min_u32_e32 v5, 32, v2
	v_subrev_u32_e32 v2, 28, v5
	v_lshlrev_b64 v[2:3], v2, v[30:31]
	v_lshrrev_b32_e32 v4, 3, v1
	v_sub_u32_e32 v3, 29, v5
	v_and_b32_e32 v2, 7, v2
	v_cmp_gt_u32_e64 s[8:9], 8, v1
	v_cndmask_b32_e64 v1, v4, v3, s[8:9]
	v_cndmask_b32_e64 v0, v0, v2, s[8:9]
	v_lshlrev_b32_e32 v2, 16, v28
	v_lshlrev_b32_e32 v0, 20, v0
	v_and_b32_e32 v2, 0x80000000, v2
	v_lshl_add_u32 v1, v1, 23, v40
	v_or3_b32 v0, v2, v1, v0
.LBB395_24:                             ;   in Loop: Header=BB395_10 Depth=1
	s_or_b64 exec, exec, s[34:35]
.LBB395_25:                             ;   in Loop: Header=BB395_10 Depth=1
	s_or_b64 exec, exec, s[30:31]
.LBB395_26:                             ;   in Loop: Header=BB395_10 Depth=1
	s_or_b64 exec, exec, s[28:29]
	v_mul_f32_e32 v0, v43, v0
	v_and_b32_e32 v1, 0x7f800000, v0
	v_cmp_ne_u32_e64 s[8:9], s38, v1
                                        ; implicit-def: $vgpr44
	s_and_saveexec_b64 s[28:29], s[8:9]
	s_xor_b64 s[8:9], exec, s[28:29]
; %bb.27:                               ;   in Loop: Header=BB395_10 Depth=1
	v_bfe_u32 v1, v0, 16, 1
	v_add3_u32 v44, v0, v1, s39
                                        ; implicit-def: $vgpr0
; %bb.28:                               ;   in Loop: Header=BB395_10 Depth=1
	s_andn2_saveexec_b64 s[28:29], s[8:9]
; %bb.29:                               ;   in Loop: Header=BB395_10 Depth=1
	v_or_b32_e32 v1, 0x10000, v0
	v_cmp_eq_u32_sdwa s[8:9], v0, v55 src0_sel:WORD_0 src1_sel:DWORD
	v_cndmask_b32_e64 v44, v1, v0, s[8:9]
; %bb.30:                               ;   in Loop: Header=BB395_10 Depth=1
	s_or_b64 exec, exec, s[28:29]
	v_lshrrev_b32_e32 v30, 16, v28
	v_cmp_ne_u16_sdwa s[8:9], v30, v55 src0_sel:BYTE_0 src1_sel:DWORD
	v_mov_b32_e32 v0, 0
	s_and_saveexec_b64 s[28:29], s[8:9]
	s_cbranch_execz .LBB395_36
; %bb.31:                               ;   in Loop: Header=BB395_10 Depth=1
	v_cmp_ne_u16_sdwa s[8:9], v30, s21 src0_sel:BYTE_0 src1_sel:DWORD
	v_bfrev_b32_e32 v0, 1
	s_and_saveexec_b64 s[30:31], s[8:9]
	s_cbranch_execz .LBB395_35
; %bb.32:                               ;   in Loop: Header=BB395_10 Depth=1
	v_bfe_u32 v1, v28, 16, 7
	v_cmp_ne_u32_e64 s[8:9], s37, v1
	v_mov_b32_e32 v0, 0x7f800001
	s_and_saveexec_b64 s[34:35], s[8:9]
	s_cbranch_execz .LBB395_34
; %bb.33:                               ;   in Loop: Header=BB395_10 Depth=1
	v_and_b32_e32 v0, 7, v30
	v_ffbh_u32_e32 v2, v0
	v_min_u32_e32 v5, 32, v2
	v_subrev_u32_e32 v2, 28, v5
	v_lshlrev_b64 v[2:3], v2, v[30:31]
	v_lshrrev_b32_e32 v4, 3, v1
	v_sub_u32_e32 v3, 29, v5
	v_and_b32_e32 v2, 7, v2
	v_cmp_gt_u32_e64 s[8:9], 8, v1
	v_cndmask_b32_e64 v1, v4, v3, s[8:9]
	v_cndmask_b32_e64 v0, v0, v2, s[8:9]
	v_lshlrev_b32_e32 v2, 24, v30
	v_lshlrev_b32_e32 v0, 20, v0
	v_and_b32_e32 v2, 0x80000000, v2
	v_lshl_add_u32 v1, v1, 23, v40
	v_or3_b32 v0, v2, v1, v0
.LBB395_34:                             ;   in Loop: Header=BB395_10 Depth=1
	s_or_b64 exec, exec, s[34:35]
.LBB395_35:                             ;   in Loop: Header=BB395_10 Depth=1
	s_or_b64 exec, exec, s[30:31]
.LBB395_36:                             ;   in Loop: Header=BB395_10 Depth=1
	s_or_b64 exec, exec, s[28:29]
	v_mul_f32_e32 v0, v43, v0
	v_and_b32_e32 v1, 0x7f800000, v0
	v_cmp_ne_u32_e64 s[8:9], s38, v1
                                        ; implicit-def: $vgpr45
	s_and_saveexec_b64 s[28:29], s[8:9]
	s_xor_b64 s[8:9], exec, s[28:29]
; %bb.37:                               ;   in Loop: Header=BB395_10 Depth=1
	v_bfe_u32 v1, v0, 16, 1
	v_add3_u32 v45, v0, v1, s39
                                        ; implicit-def: $vgpr0
; %bb.38:                               ;   in Loop: Header=BB395_10 Depth=1
	s_andn2_saveexec_b64 s[28:29], s[8:9]
; %bb.39:                               ;   in Loop: Header=BB395_10 Depth=1
	v_or_b32_e32 v1, 0x10000, v0
	v_cmp_eq_u32_sdwa s[8:9], v0, v55 src0_sel:WORD_0 src1_sel:DWORD
	v_cndmask_b32_e64 v45, v1, v0, s[8:9]
; %bb.40:                               ;   in Loop: Header=BB395_10 Depth=1
	s_or_b64 exec, exec, s[28:29]
	v_cmp_lt_u32_e64 s[8:9], s40, v28
	v_mov_b32_e32 v0, 0
	s_and_saveexec_b64 s[28:29], s[8:9]
	s_cbranch_execz .LBB395_46
; %bb.41:                               ;   in Loop: Header=BB395_10 Depth=1
	v_lshrrev_b32_e32 v30, 24, v28
	v_cmp_ne_u32_e64 s[8:9], s21, v30
	v_bfrev_b32_e32 v0, 1
	s_and_saveexec_b64 s[30:31], s[8:9]
	s_cbranch_execz .LBB395_45
; %bb.42:                               ;   in Loop: Header=BB395_10 Depth=1
	v_bfe_u32 v1, v28, 24, 7
	v_cmp_ne_u32_e64 s[8:9], s37, v1
	v_mov_b32_e32 v0, 0x7f800001
	s_and_saveexec_b64 s[34:35], s[8:9]
	s_cbranch_execz .LBB395_44
; %bb.43:                               ;   in Loop: Header=BB395_10 Depth=1
	v_and_b32_e32 v0, 7, v30
	v_ffbh_u32_e32 v2, v0
	v_min_u32_e32 v5, 32, v2
	v_subrev_u32_e32 v2, 28, v5
	v_lshlrev_b64 v[2:3], v2, v[30:31]
	v_lshrrev_b32_e32 v4, 3, v1
	v_sub_u32_e32 v3, 29, v5
	v_and_b32_e32 v2, 7, v2
	v_cmp_gt_u32_e64 s[8:9], 8, v1
	v_cndmask_b32_e64 v1, v4, v3, s[8:9]
	v_cndmask_b32_e64 v0, v0, v2, s[8:9]
	v_lshlrev_b32_e32 v2, 24, v30
	v_lshlrev_b32_e32 v0, 20, v0
	v_and_b32_e32 v2, 0x80000000, v2
	v_lshl_add_u32 v1, v1, 23, v40
	v_or3_b32 v0, v2, v1, v0
.LBB395_44:                             ;   in Loop: Header=BB395_10 Depth=1
	s_or_b64 exec, exec, s[34:35]
.LBB395_45:                             ;   in Loop: Header=BB395_10 Depth=1
	s_or_b64 exec, exec, s[30:31]
.LBB395_46:                             ;   in Loop: Header=BB395_10 Depth=1
	s_or_b64 exec, exec, s[28:29]
	v_mul_f32_e32 v0, v43, v0
	v_and_b32_e32 v1, 0x7f800000, v0
	v_cmp_ne_u32_e64 s[8:9], s38, v1
                                        ; implicit-def: $vgpr46
	s_and_saveexec_b64 s[28:29], s[8:9]
	s_xor_b64 s[8:9], exec, s[28:29]
; %bb.47:                               ;   in Loop: Header=BB395_10 Depth=1
	v_bfe_u32 v1, v0, 16, 1
	v_add3_u32 v46, v0, v1, s39
                                        ; implicit-def: $vgpr0
; %bb.48:                               ;   in Loop: Header=BB395_10 Depth=1
	s_andn2_saveexec_b64 s[28:29], s[8:9]
; %bb.49:                               ;   in Loop: Header=BB395_10 Depth=1
	v_or_b32_e32 v1, 0x10000, v0
	v_cmp_eq_u32_sdwa s[8:9], v0, v55 src0_sel:WORD_0 src1_sel:DWORD
	v_cndmask_b32_e64 v46, v1, v0, s[8:9]
; %bb.50:                               ;   in Loop: Header=BB395_10 Depth=1
	s_or_b64 exec, exec, s[28:29]
	flat_load_dword v28, v[20:21] offset:8
	v_mov_b32_e32 v0, 0
	s_waitcnt vmcnt(0) lgkmcnt(0)
	v_cmp_ne_u16_sdwa s[8:9], v28, v55 src0_sel:BYTE_0 src1_sel:DWORD
	s_and_saveexec_b64 s[28:29], s[8:9]
	s_cbranch_execz .LBB395_56
; %bb.51:                               ;   in Loop: Header=BB395_10 Depth=1
	v_cmp_ne_u16_sdwa s[8:9], v28, s21 src0_sel:BYTE_0 src1_sel:DWORD
	v_bfrev_b32_e32 v0, 1
	s_and_saveexec_b64 s[30:31], s[8:9]
	s_cbranch_execz .LBB395_55
; %bb.52:                               ;   in Loop: Header=BB395_10 Depth=1
	v_and_b32_e32 v1, 0x7f, v28
	v_cmp_ne_u32_e64 s[8:9], s37, v1
	v_mov_b32_e32 v0, 0x7f800001
	s_and_saveexec_b64 s[34:35], s[8:9]
	s_cbranch_execz .LBB395_54
; %bb.53:                               ;   in Loop: Header=BB395_10 Depth=1
	v_and_b32_e32 v0, 7, v28
	v_ffbh_u32_e32 v2, v0
	v_min_u32_e32 v5, 32, v2
	v_subrev_u32_e32 v2, 28, v5
	v_lshlrev_b64 v[2:3], v2, v[28:29]
	v_lshrrev_b32_e32 v4, 3, v1
	v_sub_u32_e32 v3, 29, v5
	v_and_b32_e32 v2, 7, v2
	v_cmp_gt_u32_e64 s[8:9], 8, v1
	v_cndmask_b32_e64 v1, v4, v3, s[8:9]
	v_cndmask_b32_e64 v0, v0, v2, s[8:9]
	v_lshlrev_b32_e32 v2, 24, v28
	v_lshlrev_b32_e32 v0, 20, v0
	v_and_b32_e32 v2, 0x80000000, v2
	v_lshl_add_u32 v1, v1, 23, v40
	v_or3_b32 v0, v2, v1, v0
.LBB395_54:                             ;   in Loop: Header=BB395_10 Depth=1
	s_or_b64 exec, exec, s[34:35]
.LBB395_55:                             ;   in Loop: Header=BB395_10 Depth=1
	s_or_b64 exec, exec, s[30:31]
.LBB395_56:                             ;   in Loop: Header=BB395_10 Depth=1
	s_or_b64 exec, exec, s[28:29]
	v_mul_f32_e32 v0, v43, v0
	v_and_b32_e32 v1, 0x7f800000, v0
	v_cmp_ne_u32_e64 s[8:9], s38, v1
                                        ; implicit-def: $vgpr47
	s_and_saveexec_b64 s[28:29], s[8:9]
	s_xor_b64 s[8:9], exec, s[28:29]
; %bb.57:                               ;   in Loop: Header=BB395_10 Depth=1
	v_bfe_u32 v1, v0, 16, 1
	v_add3_u32 v47, v0, v1, s39
                                        ; implicit-def: $vgpr0
; %bb.58:                               ;   in Loop: Header=BB395_10 Depth=1
	s_andn2_saveexec_b64 s[28:29], s[8:9]
; %bb.59:                               ;   in Loop: Header=BB395_10 Depth=1
	v_or_b32_e32 v1, 0x10000, v0
	v_cmp_eq_u32_sdwa s[8:9], v0, v55 src0_sel:WORD_0 src1_sel:DWORD
	v_cndmask_b32_e64 v47, v1, v0, s[8:9]
; %bb.60:                               ;   in Loop: Header=BB395_10 Depth=1
	s_or_b64 exec, exec, s[28:29]
	v_lshrrev_b16_e32 v30, 8, v28
	v_cmp_ne_u16_e64 s[8:9], 0, v30
	v_mov_b32_e32 v0, 0
	s_and_saveexec_b64 s[28:29], s[8:9]
	s_cbranch_execz .LBB395_66
; %bb.61:                               ;   in Loop: Header=BB395_10 Depth=1
	v_cmp_ne_u16_e64 s[8:9], s21, v30
	v_bfrev_b32_e32 v0, 1
	s_and_saveexec_b64 s[30:31], s[8:9]
	s_cbranch_execz .LBB395_65
; %bb.62:                               ;   in Loop: Header=BB395_10 Depth=1
	v_and_b32_e32 v1, 0x7f, v30
	v_cmp_ne_u32_e64 s[8:9], s37, v1
	v_mov_b32_e32 v0, 0x7f800001
	s_and_saveexec_b64 s[34:35], s[8:9]
	s_cbranch_execz .LBB395_64
; %bb.63:                               ;   in Loop: Header=BB395_10 Depth=1
	v_and_b32_e32 v0, 7, v30
	v_ffbh_u32_e32 v2, v0
	v_min_u32_e32 v5, 32, v2
	v_subrev_u32_e32 v2, 28, v5
	v_lshlrev_b64 v[2:3], v2, v[30:31]
	v_lshrrev_b32_e32 v4, 3, v1
	v_sub_u32_e32 v3, 29, v5
	v_and_b32_e32 v2, 7, v2
	v_cmp_gt_u32_e64 s[8:9], 8, v1
	v_cndmask_b32_e64 v1, v4, v3, s[8:9]
	v_cndmask_b32_e64 v0, v0, v2, s[8:9]
	v_lshlrev_b32_e32 v2, 16, v28
	v_lshlrev_b32_e32 v0, 20, v0
	v_and_b32_e32 v2, 0x80000000, v2
	v_lshl_add_u32 v1, v1, 23, v40
	v_or3_b32 v0, v2, v1, v0
.LBB395_64:                             ;   in Loop: Header=BB395_10 Depth=1
	s_or_b64 exec, exec, s[34:35]
.LBB395_65:                             ;   in Loop: Header=BB395_10 Depth=1
	s_or_b64 exec, exec, s[30:31]
.LBB395_66:                             ;   in Loop: Header=BB395_10 Depth=1
	s_or_b64 exec, exec, s[28:29]
	v_mul_f32_e32 v0, v43, v0
	v_and_b32_e32 v1, 0x7f800000, v0
	v_cmp_ne_u32_e64 s[8:9], s38, v1
                                        ; implicit-def: $vgpr56
	s_and_saveexec_b64 s[28:29], s[8:9]
	s_xor_b64 s[8:9], exec, s[28:29]
; %bb.67:                               ;   in Loop: Header=BB395_10 Depth=1
	v_bfe_u32 v1, v0, 16, 1
	v_add3_u32 v56, v0, v1, s39
                                        ; implicit-def: $vgpr0
; %bb.68:                               ;   in Loop: Header=BB395_10 Depth=1
	s_andn2_saveexec_b64 s[28:29], s[8:9]
; %bb.69:                               ;   in Loop: Header=BB395_10 Depth=1
	v_or_b32_e32 v1, 0x10000, v0
	v_cmp_eq_u32_sdwa s[8:9], v0, v55 src0_sel:WORD_0 src1_sel:DWORD
	v_cndmask_b32_e64 v56, v1, v0, s[8:9]
; %bb.70:                               ;   in Loop: Header=BB395_10 Depth=1
	s_or_b64 exec, exec, s[28:29]
	v_lshrrev_b32_e32 v30, 16, v28
	v_cmp_ne_u16_sdwa s[8:9], v30, v55 src0_sel:BYTE_0 src1_sel:DWORD
	v_mov_b32_e32 v0, 0
	s_and_saveexec_b64 s[28:29], s[8:9]
	s_cbranch_execz .LBB395_76
; %bb.71:                               ;   in Loop: Header=BB395_10 Depth=1
	v_cmp_ne_u16_sdwa s[8:9], v30, s21 src0_sel:BYTE_0 src1_sel:DWORD
	v_bfrev_b32_e32 v0, 1
	s_and_saveexec_b64 s[30:31], s[8:9]
	s_cbranch_execz .LBB395_75
; %bb.72:                               ;   in Loop: Header=BB395_10 Depth=1
	v_bfe_u32 v1, v28, 16, 7
	v_cmp_ne_u32_e64 s[8:9], s37, v1
	v_mov_b32_e32 v0, 0x7f800001
	s_and_saveexec_b64 s[34:35], s[8:9]
	s_cbranch_execz .LBB395_74
; %bb.73:                               ;   in Loop: Header=BB395_10 Depth=1
	v_and_b32_e32 v0, 7, v30
	v_ffbh_u32_e32 v2, v0
	v_min_u32_e32 v5, 32, v2
	v_subrev_u32_e32 v2, 28, v5
	v_lshlrev_b64 v[2:3], v2, v[30:31]
	v_lshrrev_b32_e32 v4, 3, v1
	v_sub_u32_e32 v3, 29, v5
	v_and_b32_e32 v2, 7, v2
	v_cmp_gt_u32_e64 s[8:9], 8, v1
	v_cndmask_b32_e64 v1, v4, v3, s[8:9]
	v_cndmask_b32_e64 v0, v0, v2, s[8:9]
	v_lshlrev_b32_e32 v2, 24, v30
	v_lshlrev_b32_e32 v0, 20, v0
	v_and_b32_e32 v2, 0x80000000, v2
	v_lshl_add_u32 v1, v1, 23, v40
	v_or3_b32 v0, v2, v1, v0
.LBB395_74:                             ;   in Loop: Header=BB395_10 Depth=1
	s_or_b64 exec, exec, s[34:35]
.LBB395_75:                             ;   in Loop: Header=BB395_10 Depth=1
	s_or_b64 exec, exec, s[30:31]
.LBB395_76:                             ;   in Loop: Header=BB395_10 Depth=1
	s_or_b64 exec, exec, s[28:29]
	v_mul_f32_e32 v0, v43, v0
	v_and_b32_e32 v1, 0x7f800000, v0
	v_cmp_ne_u32_e64 s[8:9], s38, v1
                                        ; implicit-def: $vgpr57
	s_and_saveexec_b64 s[28:29], s[8:9]
	s_xor_b64 s[8:9], exec, s[28:29]
; %bb.77:                               ;   in Loop: Header=BB395_10 Depth=1
	v_bfe_u32 v1, v0, 16, 1
	v_add3_u32 v57, v0, v1, s39
                                        ; implicit-def: $vgpr0
; %bb.78:                               ;   in Loop: Header=BB395_10 Depth=1
	s_andn2_saveexec_b64 s[28:29], s[8:9]
; %bb.79:                               ;   in Loop: Header=BB395_10 Depth=1
	v_or_b32_e32 v1, 0x10000, v0
	v_cmp_eq_u32_sdwa s[8:9], v0, v55 src0_sel:WORD_0 src1_sel:DWORD
	v_cndmask_b32_e64 v57, v1, v0, s[8:9]
; %bb.80:                               ;   in Loop: Header=BB395_10 Depth=1
	s_or_b64 exec, exec, s[28:29]
	v_cmp_lt_u32_e64 s[8:9], s40, v28
	v_mov_b32_e32 v0, 0
	s_and_saveexec_b64 s[28:29], s[8:9]
	s_cbranch_execz .LBB395_86
; %bb.81:                               ;   in Loop: Header=BB395_10 Depth=1
	v_lshrrev_b32_e32 v30, 24, v28
	v_cmp_ne_u32_e64 s[8:9], s21, v30
	v_bfrev_b32_e32 v0, 1
	s_and_saveexec_b64 s[30:31], s[8:9]
	s_cbranch_execz .LBB395_85
; %bb.82:                               ;   in Loop: Header=BB395_10 Depth=1
	v_bfe_u32 v1, v28, 24, 7
	v_cmp_ne_u32_e64 s[8:9], s37, v1
	v_mov_b32_e32 v0, 0x7f800001
	s_and_saveexec_b64 s[34:35], s[8:9]
	s_cbranch_execz .LBB395_84
; %bb.83:                               ;   in Loop: Header=BB395_10 Depth=1
	v_and_b32_e32 v0, 7, v30
	v_ffbh_u32_e32 v2, v0
	v_min_u32_e32 v5, 32, v2
	v_subrev_u32_e32 v2, 28, v5
	v_lshlrev_b64 v[2:3], v2, v[30:31]
	v_lshrrev_b32_e32 v4, 3, v1
	v_sub_u32_e32 v3, 29, v5
	v_and_b32_e32 v2, 7, v2
	v_cmp_gt_u32_e64 s[8:9], 8, v1
	v_cndmask_b32_e64 v1, v4, v3, s[8:9]
	v_cndmask_b32_e64 v0, v0, v2, s[8:9]
	v_lshlrev_b32_e32 v2, 24, v30
	v_lshlrev_b32_e32 v0, 20, v0
	v_and_b32_e32 v2, 0x80000000, v2
	v_lshl_add_u32 v1, v1, 23, v40
	v_or3_b32 v0, v2, v1, v0
.LBB395_84:                             ;   in Loop: Header=BB395_10 Depth=1
	s_or_b64 exec, exec, s[34:35]
.LBB395_85:                             ;   in Loop: Header=BB395_10 Depth=1
	s_or_b64 exec, exec, s[30:31]
.LBB395_86:                             ;   in Loop: Header=BB395_10 Depth=1
	s_or_b64 exec, exec, s[28:29]
	v_mul_f32_e32 v0, v43, v0
	v_and_b32_e32 v1, 0x7f800000, v0
	v_cmp_ne_u32_e64 s[8:9], s38, v1
                                        ; implicit-def: $vgpr58
	s_and_saveexec_b64 s[28:29], s[8:9]
	s_xor_b64 s[8:9], exec, s[28:29]
; %bb.87:                               ;   in Loop: Header=BB395_10 Depth=1
	v_bfe_u32 v1, v0, 16, 1
	v_add3_u32 v58, v0, v1, s39
                                        ; implicit-def: $vgpr0
; %bb.88:                               ;   in Loop: Header=BB395_10 Depth=1
	s_andn2_saveexec_b64 s[28:29], s[8:9]
; %bb.89:                               ;   in Loop: Header=BB395_10 Depth=1
	v_or_b32_e32 v1, 0x10000, v0
	v_cmp_eq_u32_sdwa s[8:9], v0, v55 src0_sel:WORD_0 src1_sel:DWORD
	v_cndmask_b32_e64 v58, v1, v0, s[8:9]
; %bb.90:                               ;   in Loop: Header=BB395_10 Depth=1
	s_or_b64 exec, exec, s[28:29]
	flat_load_dword v28, v[20:21] offset:512
	v_mov_b32_e32 v0, 0
	s_waitcnt vmcnt(0) lgkmcnt(0)
	v_cmp_ne_u16_sdwa s[8:9], v28, v55 src0_sel:BYTE_0 src1_sel:DWORD
	s_and_saveexec_b64 s[28:29], s[8:9]
	s_cbranch_execz .LBB395_96
; %bb.91:                               ;   in Loop: Header=BB395_10 Depth=1
	v_cmp_ne_u16_sdwa s[8:9], v28, s21 src0_sel:BYTE_0 src1_sel:DWORD
	v_bfrev_b32_e32 v0, 1
	s_and_saveexec_b64 s[30:31], s[8:9]
	s_cbranch_execz .LBB395_95
; %bb.92:                               ;   in Loop: Header=BB395_10 Depth=1
	v_and_b32_e32 v1, 0x7f, v28
	v_cmp_ne_u32_e64 s[8:9], s37, v1
	v_mov_b32_e32 v0, 0x7f800001
	s_and_saveexec_b64 s[34:35], s[8:9]
	s_cbranch_execz .LBB395_94
; %bb.93:                               ;   in Loop: Header=BB395_10 Depth=1
	v_and_b32_e32 v0, 7, v28
	v_ffbh_u32_e32 v2, v0
	v_min_u32_e32 v5, 32, v2
	v_subrev_u32_e32 v2, 28, v5
	v_lshlrev_b64 v[2:3], v2, v[28:29]
	v_lshrrev_b32_e32 v4, 3, v1
	v_sub_u32_e32 v3, 29, v5
	v_and_b32_e32 v2, 7, v2
	v_cmp_gt_u32_e64 s[8:9], 8, v1
	v_cndmask_b32_e64 v1, v4, v3, s[8:9]
	v_cndmask_b32_e64 v0, v0, v2, s[8:9]
	v_lshlrev_b32_e32 v2, 24, v28
	v_lshlrev_b32_e32 v0, 20, v0
	v_and_b32_e32 v2, 0x80000000, v2
	v_lshl_add_u32 v1, v1, 23, v40
	v_or3_b32 v0, v2, v1, v0
.LBB395_94:                             ;   in Loop: Header=BB395_10 Depth=1
	s_or_b64 exec, exec, s[34:35]
.LBB395_95:                             ;   in Loop: Header=BB395_10 Depth=1
	s_or_b64 exec, exec, s[30:31]
.LBB395_96:                             ;   in Loop: Header=BB395_10 Depth=1
	s_or_b64 exec, exec, s[28:29]
	v_mul_f32_e32 v0, v43, v0
	v_and_b32_e32 v1, 0x7f800000, v0
	v_cmp_ne_u32_e64 s[8:9], s38, v1
                                        ; implicit-def: $vgpr59
	s_and_saveexec_b64 s[28:29], s[8:9]
	s_xor_b64 s[8:9], exec, s[28:29]
; %bb.97:                               ;   in Loop: Header=BB395_10 Depth=1
	v_bfe_u32 v1, v0, 16, 1
	v_add3_u32 v59, v0, v1, s39
                                        ; implicit-def: $vgpr0
; %bb.98:                               ;   in Loop: Header=BB395_10 Depth=1
	s_andn2_saveexec_b64 s[28:29], s[8:9]
; %bb.99:                               ;   in Loop: Header=BB395_10 Depth=1
	v_or_b32_e32 v1, 0x10000, v0
	v_cmp_eq_u32_sdwa s[8:9], v0, v55 src0_sel:WORD_0 src1_sel:DWORD
	v_cndmask_b32_e64 v59, v1, v0, s[8:9]
; %bb.100:                              ;   in Loop: Header=BB395_10 Depth=1
	s_or_b64 exec, exec, s[28:29]
	v_lshrrev_b16_e32 v30, 8, v28
	v_cmp_ne_u16_e64 s[8:9], 0, v30
	v_mov_b32_e32 v0, 0
	s_and_saveexec_b64 s[28:29], s[8:9]
	s_cbranch_execz .LBB395_106
; %bb.101:                              ;   in Loop: Header=BB395_10 Depth=1
	v_cmp_ne_u16_e64 s[8:9], s21, v30
	v_bfrev_b32_e32 v0, 1
	s_and_saveexec_b64 s[30:31], s[8:9]
	s_cbranch_execz .LBB395_105
; %bb.102:                              ;   in Loop: Header=BB395_10 Depth=1
	v_and_b32_e32 v1, 0x7f, v30
	v_cmp_ne_u32_e64 s[8:9], s37, v1
	v_mov_b32_e32 v0, 0x7f800001
	s_and_saveexec_b64 s[34:35], s[8:9]
	s_cbranch_execz .LBB395_104
; %bb.103:                              ;   in Loop: Header=BB395_10 Depth=1
	v_and_b32_e32 v0, 7, v30
	v_ffbh_u32_e32 v2, v0
	v_min_u32_e32 v5, 32, v2
	v_subrev_u32_e32 v2, 28, v5
	v_lshlrev_b64 v[2:3], v2, v[30:31]
	v_lshrrev_b32_e32 v4, 3, v1
	v_sub_u32_e32 v3, 29, v5
	v_and_b32_e32 v2, 7, v2
	v_cmp_gt_u32_e64 s[8:9], 8, v1
	v_cndmask_b32_e64 v1, v4, v3, s[8:9]
	v_cndmask_b32_e64 v0, v0, v2, s[8:9]
	v_lshlrev_b32_e32 v2, 16, v28
	v_lshlrev_b32_e32 v0, 20, v0
	v_and_b32_e32 v2, 0x80000000, v2
	v_lshl_add_u32 v1, v1, 23, v40
	v_or3_b32 v0, v2, v1, v0
.LBB395_104:                            ;   in Loop: Header=BB395_10 Depth=1
	s_or_b64 exec, exec, s[34:35]
.LBB395_105:                            ;   in Loop: Header=BB395_10 Depth=1
	s_or_b64 exec, exec, s[30:31]
.LBB395_106:                            ;   in Loop: Header=BB395_10 Depth=1
	s_or_b64 exec, exec, s[28:29]
	v_mul_f32_e32 v0, v43, v0
	v_and_b32_e32 v1, 0x7f800000, v0
	v_cmp_ne_u32_e64 s[8:9], s38, v1
                                        ; implicit-def: $vgpr60
	s_and_saveexec_b64 s[28:29], s[8:9]
	s_xor_b64 s[8:9], exec, s[28:29]
; %bb.107:                              ;   in Loop: Header=BB395_10 Depth=1
	v_bfe_u32 v1, v0, 16, 1
	v_add3_u32 v60, v0, v1, s39
                                        ; implicit-def: $vgpr0
; %bb.108:                              ;   in Loop: Header=BB395_10 Depth=1
	s_andn2_saveexec_b64 s[28:29], s[8:9]
; %bb.109:                              ;   in Loop: Header=BB395_10 Depth=1
	v_or_b32_e32 v1, 0x10000, v0
	v_cmp_eq_u32_sdwa s[8:9], v0, v55 src0_sel:WORD_0 src1_sel:DWORD
	v_cndmask_b32_e64 v60, v1, v0, s[8:9]
; %bb.110:                              ;   in Loop: Header=BB395_10 Depth=1
	s_or_b64 exec, exec, s[28:29]
	v_lshrrev_b32_e32 v30, 16, v28
	v_cmp_ne_u16_sdwa s[8:9], v30, v55 src0_sel:BYTE_0 src1_sel:DWORD
	v_mov_b32_e32 v0, 0
	s_and_saveexec_b64 s[28:29], s[8:9]
	s_cbranch_execz .LBB395_116
; %bb.111:                              ;   in Loop: Header=BB395_10 Depth=1
	v_cmp_ne_u16_sdwa s[8:9], v30, s21 src0_sel:BYTE_0 src1_sel:DWORD
	v_bfrev_b32_e32 v0, 1
	s_and_saveexec_b64 s[30:31], s[8:9]
	s_cbranch_execz .LBB395_115
; %bb.112:                              ;   in Loop: Header=BB395_10 Depth=1
	v_bfe_u32 v1, v28, 16, 7
	v_cmp_ne_u32_e64 s[8:9], s37, v1
	v_mov_b32_e32 v0, 0x7f800001
	s_and_saveexec_b64 s[34:35], s[8:9]
	s_cbranch_execz .LBB395_114
; %bb.113:                              ;   in Loop: Header=BB395_10 Depth=1
	v_and_b32_e32 v0, 7, v30
	v_ffbh_u32_e32 v2, v0
	v_min_u32_e32 v5, 32, v2
	v_subrev_u32_e32 v2, 28, v5
	v_lshlrev_b64 v[2:3], v2, v[30:31]
	v_lshrrev_b32_e32 v4, 3, v1
	v_sub_u32_e32 v3, 29, v5
	v_and_b32_e32 v2, 7, v2
	v_cmp_gt_u32_e64 s[8:9], 8, v1
	v_cndmask_b32_e64 v1, v4, v3, s[8:9]
	v_cndmask_b32_e64 v0, v0, v2, s[8:9]
	v_lshlrev_b32_e32 v2, 24, v30
	v_lshlrev_b32_e32 v0, 20, v0
	v_and_b32_e32 v2, 0x80000000, v2
	v_lshl_add_u32 v1, v1, 23, v40
	v_or3_b32 v0, v2, v1, v0
.LBB395_114:                            ;   in Loop: Header=BB395_10 Depth=1
	s_or_b64 exec, exec, s[34:35]
.LBB395_115:                            ;   in Loop: Header=BB395_10 Depth=1
	s_or_b64 exec, exec, s[30:31]
.LBB395_116:                            ;   in Loop: Header=BB395_10 Depth=1
	s_or_b64 exec, exec, s[28:29]
	v_mul_f32_e32 v0, v43, v0
	v_and_b32_e32 v1, 0x7f800000, v0
	v_cmp_ne_u32_e64 s[8:9], s38, v1
                                        ; implicit-def: $vgpr61
	s_and_saveexec_b64 s[28:29], s[8:9]
	s_xor_b64 s[8:9], exec, s[28:29]
; %bb.117:                              ;   in Loop: Header=BB395_10 Depth=1
	v_bfe_u32 v1, v0, 16, 1
	v_add3_u32 v61, v0, v1, s39
                                        ; implicit-def: $vgpr0
; %bb.118:                              ;   in Loop: Header=BB395_10 Depth=1
	s_andn2_saveexec_b64 s[28:29], s[8:9]
; %bb.119:                              ;   in Loop: Header=BB395_10 Depth=1
	v_or_b32_e32 v1, 0x10000, v0
	v_cmp_eq_u32_sdwa s[8:9], v0, v55 src0_sel:WORD_0 src1_sel:DWORD
	v_cndmask_b32_e64 v61, v1, v0, s[8:9]
; %bb.120:                              ;   in Loop: Header=BB395_10 Depth=1
	s_or_b64 exec, exec, s[28:29]
	v_cmp_lt_u32_e64 s[8:9], s40, v28
	v_mov_b32_e32 v0, 0
	s_and_saveexec_b64 s[28:29], s[8:9]
	s_cbranch_execz .LBB395_126
; %bb.121:                              ;   in Loop: Header=BB395_10 Depth=1
	v_lshrrev_b32_e32 v30, 24, v28
	v_cmp_ne_u32_e64 s[8:9], s21, v30
	v_bfrev_b32_e32 v0, 1
	s_and_saveexec_b64 s[30:31], s[8:9]
	s_cbranch_execz .LBB395_125
; %bb.122:                              ;   in Loop: Header=BB395_10 Depth=1
	v_bfe_u32 v1, v28, 24, 7
	v_cmp_ne_u32_e64 s[8:9], s37, v1
	v_mov_b32_e32 v0, 0x7f800001
	s_and_saveexec_b64 s[34:35], s[8:9]
	s_cbranch_execz .LBB395_124
; %bb.123:                              ;   in Loop: Header=BB395_10 Depth=1
	v_and_b32_e32 v0, 7, v30
	v_ffbh_u32_e32 v2, v0
	v_min_u32_e32 v5, 32, v2
	v_subrev_u32_e32 v2, 28, v5
	v_lshlrev_b64 v[2:3], v2, v[30:31]
	v_lshrrev_b32_e32 v4, 3, v1
	v_sub_u32_e32 v3, 29, v5
	v_and_b32_e32 v2, 7, v2
	v_cmp_gt_u32_e64 s[8:9], 8, v1
	v_cndmask_b32_e64 v1, v4, v3, s[8:9]
	v_cndmask_b32_e64 v0, v0, v2, s[8:9]
	v_lshlrev_b32_e32 v2, 24, v30
	v_lshlrev_b32_e32 v0, 20, v0
	v_and_b32_e32 v2, 0x80000000, v2
	v_lshl_add_u32 v1, v1, 23, v40
	v_or3_b32 v0, v2, v1, v0
.LBB395_124:                            ;   in Loop: Header=BB395_10 Depth=1
	s_or_b64 exec, exec, s[34:35]
.LBB395_125:                            ;   in Loop: Header=BB395_10 Depth=1
	s_or_b64 exec, exec, s[30:31]
.LBB395_126:                            ;   in Loop: Header=BB395_10 Depth=1
	s_or_b64 exec, exec, s[28:29]
	v_mul_f32_e32 v0, v43, v0
	v_and_b32_e32 v1, 0x7f800000, v0
	v_cmp_ne_u32_e64 s[8:9], s38, v1
                                        ; implicit-def: $vgpr62
	s_and_saveexec_b64 s[28:29], s[8:9]
	s_xor_b64 s[8:9], exec, s[28:29]
; %bb.127:                              ;   in Loop: Header=BB395_10 Depth=1
	v_bfe_u32 v1, v0, 16, 1
	v_add3_u32 v62, v0, v1, s39
                                        ; implicit-def: $vgpr0
; %bb.128:                              ;   in Loop: Header=BB395_10 Depth=1
	s_andn2_saveexec_b64 s[28:29], s[8:9]
; %bb.129:                              ;   in Loop: Header=BB395_10 Depth=1
	v_or_b32_e32 v1, 0x10000, v0
	v_cmp_eq_u32_sdwa s[8:9], v0, v55 src0_sel:WORD_0 src1_sel:DWORD
	v_cndmask_b32_e64 v62, v1, v0, s[8:9]
; %bb.130:                              ;   in Loop: Header=BB395_10 Depth=1
	s_or_b64 exec, exec, s[28:29]
	flat_load_dword v28, v[20:21] offset:520
	v_mov_b32_e32 v0, 0
	s_waitcnt vmcnt(0) lgkmcnt(0)
	v_cmp_ne_u16_sdwa s[8:9], v28, v55 src0_sel:BYTE_0 src1_sel:DWORD
	s_and_saveexec_b64 s[28:29], s[8:9]
	s_cbranch_execz .LBB395_136
; %bb.131:                              ;   in Loop: Header=BB395_10 Depth=1
	v_cmp_ne_u16_sdwa s[8:9], v28, s21 src0_sel:BYTE_0 src1_sel:DWORD
	v_bfrev_b32_e32 v0, 1
	s_and_saveexec_b64 s[30:31], s[8:9]
	s_cbranch_execz .LBB395_135
; %bb.132:                              ;   in Loop: Header=BB395_10 Depth=1
	v_and_b32_e32 v1, 0x7f, v28
	v_cmp_ne_u32_e64 s[8:9], s37, v1
	v_mov_b32_e32 v0, 0x7f800001
	s_and_saveexec_b64 s[34:35], s[8:9]
	s_cbranch_execz .LBB395_134
; %bb.133:                              ;   in Loop: Header=BB395_10 Depth=1
	v_and_b32_e32 v0, 7, v28
	v_ffbh_u32_e32 v2, v0
	v_min_u32_e32 v5, 32, v2
	v_subrev_u32_e32 v2, 28, v5
	v_lshlrev_b64 v[2:3], v2, v[28:29]
	v_lshrrev_b32_e32 v4, 3, v1
	v_sub_u32_e32 v3, 29, v5
	v_and_b32_e32 v2, 7, v2
	v_cmp_gt_u32_e64 s[8:9], 8, v1
	v_cndmask_b32_e64 v1, v4, v3, s[8:9]
	v_cndmask_b32_e64 v0, v0, v2, s[8:9]
	v_lshlrev_b32_e32 v2, 24, v28
	v_lshlrev_b32_e32 v0, 20, v0
	v_and_b32_e32 v2, 0x80000000, v2
	v_lshl_add_u32 v1, v1, 23, v40
	v_or3_b32 v0, v2, v1, v0
.LBB395_134:                            ;   in Loop: Header=BB395_10 Depth=1
	s_or_b64 exec, exec, s[34:35]
.LBB395_135:                            ;   in Loop: Header=BB395_10 Depth=1
	s_or_b64 exec, exec, s[30:31]
.LBB395_136:                            ;   in Loop: Header=BB395_10 Depth=1
	s_or_b64 exec, exec, s[28:29]
	v_mul_f32_e32 v0, v43, v0
	v_and_b32_e32 v1, 0x7f800000, v0
	v_cmp_ne_u32_e64 s[8:9], s38, v1
                                        ; implicit-def: $vgpr38
	s_and_saveexec_b64 s[28:29], s[8:9]
	s_xor_b64 s[8:9], exec, s[28:29]
; %bb.137:                              ;   in Loop: Header=BB395_10 Depth=1
	v_bfe_u32 v1, v0, 16, 1
	v_add3_u32 v38, v0, v1, s39
                                        ; implicit-def: $vgpr0
; %bb.138:                              ;   in Loop: Header=BB395_10 Depth=1
	s_andn2_saveexec_b64 s[28:29], s[8:9]
; %bb.139:                              ;   in Loop: Header=BB395_10 Depth=1
	v_or_b32_e32 v1, 0x10000, v0
	v_cmp_eq_u32_sdwa s[8:9], v0, v55 src0_sel:WORD_0 src1_sel:DWORD
	v_cndmask_b32_e64 v38, v1, v0, s[8:9]
; %bb.140:                              ;   in Loop: Header=BB395_10 Depth=1
	s_or_b64 exec, exec, s[28:29]
	v_lshrrev_b16_e32 v30, 8, v28
	v_cmp_ne_u16_e64 s[8:9], 0, v30
	v_mov_b32_e32 v0, 0
	s_and_saveexec_b64 s[28:29], s[8:9]
	s_cbranch_execz .LBB395_146
; %bb.141:                              ;   in Loop: Header=BB395_10 Depth=1
	v_cmp_ne_u16_e64 s[8:9], s21, v30
	v_bfrev_b32_e32 v0, 1
	s_and_saveexec_b64 s[30:31], s[8:9]
	s_cbranch_execz .LBB395_145
; %bb.142:                              ;   in Loop: Header=BB395_10 Depth=1
	v_and_b32_e32 v1, 0x7f, v30
	v_cmp_ne_u32_e64 s[8:9], s37, v1
	v_mov_b32_e32 v0, 0x7f800001
	s_and_saveexec_b64 s[34:35], s[8:9]
	s_cbranch_execz .LBB395_144
; %bb.143:                              ;   in Loop: Header=BB395_10 Depth=1
	v_and_b32_e32 v0, 7, v30
	v_ffbh_u32_e32 v2, v0
	v_min_u32_e32 v5, 32, v2
	v_subrev_u32_e32 v2, 28, v5
	v_lshlrev_b64 v[2:3], v2, v[30:31]
	v_lshrrev_b32_e32 v4, 3, v1
	v_sub_u32_e32 v3, 29, v5
	v_and_b32_e32 v2, 7, v2
	v_cmp_gt_u32_e64 s[8:9], 8, v1
	v_cndmask_b32_e64 v1, v4, v3, s[8:9]
	v_cndmask_b32_e64 v0, v0, v2, s[8:9]
	v_lshlrev_b32_e32 v2, 16, v28
	v_lshlrev_b32_e32 v0, 20, v0
	v_and_b32_e32 v2, 0x80000000, v2
	v_lshl_add_u32 v1, v1, 23, v40
	v_or3_b32 v0, v2, v1, v0
.LBB395_144:                            ;   in Loop: Header=BB395_10 Depth=1
	s_or_b64 exec, exec, s[34:35]
.LBB395_145:                            ;   in Loop: Header=BB395_10 Depth=1
	s_or_b64 exec, exec, s[30:31]
.LBB395_146:                            ;   in Loop: Header=BB395_10 Depth=1
	s_or_b64 exec, exec, s[28:29]
	v_mul_f32_e32 v0, v43, v0
	v_and_b32_e32 v1, 0x7f800000, v0
	v_cmp_ne_u32_e64 s[8:9], s38, v1
                                        ; implicit-def: $vgpr5
	s_and_saveexec_b64 s[28:29], s[8:9]
	s_xor_b64 s[8:9], exec, s[28:29]
; %bb.147:                              ;   in Loop: Header=BB395_10 Depth=1
	v_bfe_u32 v1, v0, 16, 1
	v_add3_u32 v5, v0, v1, s39
                                        ; implicit-def: $vgpr0
; %bb.148:                              ;   in Loop: Header=BB395_10 Depth=1
	s_andn2_saveexec_b64 s[28:29], s[8:9]
; %bb.149:                              ;   in Loop: Header=BB395_10 Depth=1
	v_or_b32_e32 v1, 0x10000, v0
	v_cmp_eq_u32_sdwa s[8:9], v0, v55 src0_sel:WORD_0 src1_sel:DWORD
	v_cndmask_b32_e64 v5, v1, v0, s[8:9]
; %bb.150:                              ;   in Loop: Header=BB395_10 Depth=1
	s_or_b64 exec, exec, s[28:29]
	v_lshrrev_b32_e32 v30, 16, v28
	v_cmp_ne_u16_sdwa s[8:9], v30, v55 src0_sel:BYTE_0 src1_sel:DWORD
	v_mov_b32_e32 v0, 0
	s_and_saveexec_b64 s[28:29], s[8:9]
	s_cbranch_execz .LBB395_156
; %bb.151:                              ;   in Loop: Header=BB395_10 Depth=1
	v_cmp_ne_u16_sdwa s[8:9], v30, s21 src0_sel:BYTE_0 src1_sel:DWORD
	v_bfrev_b32_e32 v0, 1
	s_and_saveexec_b64 s[30:31], s[8:9]
	s_cbranch_execz .LBB395_155
; %bb.152:                              ;   in Loop: Header=BB395_10 Depth=1
	v_bfe_u32 v1, v28, 16, 7
	v_cmp_ne_u32_e64 s[8:9], s37, v1
	v_mov_b32_e32 v0, 0x7f800001
	s_and_saveexec_b64 s[34:35], s[8:9]
	s_cbranch_execz .LBB395_154
; %bb.153:                              ;   in Loop: Header=BB395_10 Depth=1
	v_and_b32_e32 v0, 7, v30
	v_ffbh_u32_e32 v2, v0
	v_min_u32_e32 v6, 32, v2
	v_subrev_u32_e32 v2, 28, v6
	v_lshlrev_b64 v[2:3], v2, v[30:31]
	v_lshrrev_b32_e32 v4, 3, v1
	v_sub_u32_e32 v3, 29, v6
	v_and_b32_e32 v2, 7, v2
	v_cmp_gt_u32_e64 s[8:9], 8, v1
	v_cndmask_b32_e64 v1, v4, v3, s[8:9]
	v_cndmask_b32_e64 v0, v0, v2, s[8:9]
	v_lshlrev_b32_e32 v2, 24, v30
	v_lshlrev_b32_e32 v0, 20, v0
	v_and_b32_e32 v2, 0x80000000, v2
	v_lshl_add_u32 v1, v1, 23, v40
	v_or3_b32 v0, v2, v1, v0
.LBB395_154:                            ;   in Loop: Header=BB395_10 Depth=1
	s_or_b64 exec, exec, s[34:35]
.LBB395_155:                            ;   in Loop: Header=BB395_10 Depth=1
	s_or_b64 exec, exec, s[30:31]
.LBB395_156:                            ;   in Loop: Header=BB395_10 Depth=1
	s_or_b64 exec, exec, s[28:29]
	v_mul_f32_e32 v0, v43, v0
	v_and_b32_e32 v1, 0x7f800000, v0
	v_cmp_ne_u32_e64 s[8:9], s38, v1
                                        ; implicit-def: $vgpr4
	s_and_saveexec_b64 s[28:29], s[8:9]
	s_xor_b64 s[8:9], exec, s[28:29]
; %bb.157:                              ;   in Loop: Header=BB395_10 Depth=1
	v_bfe_u32 v1, v0, 16, 1
	v_add3_u32 v4, v0, v1, s39
                                        ; implicit-def: $vgpr0
; %bb.158:                              ;   in Loop: Header=BB395_10 Depth=1
	s_andn2_saveexec_b64 s[28:29], s[8:9]
; %bb.159:                              ;   in Loop: Header=BB395_10 Depth=1
	v_or_b32_e32 v1, 0x10000, v0
	v_cmp_eq_u32_sdwa s[8:9], v0, v55 src0_sel:WORD_0 src1_sel:DWORD
	v_cndmask_b32_e64 v4, v1, v0, s[8:9]
; %bb.160:                              ;   in Loop: Header=BB395_10 Depth=1
	s_or_b64 exec, exec, s[28:29]
	v_cmp_lt_u32_e64 s[8:9], s40, v28
	v_mov_b32_e32 v0, 0
	s_and_saveexec_b64 s[28:29], s[8:9]
	s_cbranch_execz .LBB395_166
; %bb.161:                              ;   in Loop: Header=BB395_10 Depth=1
	v_lshrrev_b32_e32 v30, 24, v28
	v_cmp_ne_u32_e64 s[8:9], s21, v30
	v_bfrev_b32_e32 v0, 1
	s_and_saveexec_b64 s[30:31], s[8:9]
	s_cbranch_execz .LBB395_165
; %bb.162:                              ;   in Loop: Header=BB395_10 Depth=1
	v_bfe_u32 v1, v28, 24, 7
	v_cmp_ne_u32_e64 s[8:9], s37, v1
	v_mov_b32_e32 v0, 0x7f800001
	s_and_saveexec_b64 s[34:35], s[8:9]
	s_cbranch_execz .LBB395_164
; %bb.163:                              ;   in Loop: Header=BB395_10 Depth=1
	v_and_b32_e32 v0, 7, v30
	v_ffbh_u32_e32 v2, v0
	v_min_u32_e32 v7, 32, v2
	v_subrev_u32_e32 v2, 28, v7
	v_lshlrev_b64 v[2:3], v2, v[30:31]
	v_lshrrev_b32_e32 v6, 3, v1
	v_sub_u32_e32 v3, 29, v7
	v_and_b32_e32 v2, 7, v2
	v_cmp_gt_u32_e64 s[8:9], 8, v1
	v_cndmask_b32_e64 v1, v6, v3, s[8:9]
	v_cndmask_b32_e64 v0, v0, v2, s[8:9]
	v_lshlrev_b32_e32 v2, 24, v30
	v_lshlrev_b32_e32 v0, 20, v0
	v_and_b32_e32 v2, 0x80000000, v2
	v_lshl_add_u32 v1, v1, 23, v40
	v_or3_b32 v0, v2, v1, v0
.LBB395_164:                            ;   in Loop: Header=BB395_10 Depth=1
	s_or_b64 exec, exec, s[34:35]
.LBB395_165:                            ;   in Loop: Header=BB395_10 Depth=1
	s_or_b64 exec, exec, s[30:31]
.LBB395_166:                            ;   in Loop: Header=BB395_10 Depth=1
	s_or_b64 exec, exec, s[28:29]
	v_mul_f32_e32 v0, v43, v0
	v_and_b32_e32 v1, 0x7f800000, v0
	v_cmp_ne_u32_e64 s[8:9], s38, v1
                                        ; implicit-def: $vgpr34
	s_and_saveexec_b64 s[28:29], s[8:9]
	s_xor_b64 s[8:9], exec, s[28:29]
; %bb.167:                              ;   in Loop: Header=BB395_10 Depth=1
	v_bfe_u32 v1, v0, 16, 1
	v_add3_u32 v34, v0, v1, s39
                                        ; implicit-def: $vgpr0
; %bb.168:                              ;   in Loop: Header=BB395_10 Depth=1
	s_andn2_saveexec_b64 s[28:29], s[8:9]
; %bb.169:                              ;   in Loop: Header=BB395_10 Depth=1
	v_or_b32_e32 v1, 0x10000, v0
	v_cmp_eq_u32_sdwa s[8:9], v0, v55 src0_sel:WORD_0 src1_sel:DWORD
	v_cndmask_b32_e64 v34, v1, v0, s[8:9]
; %bb.170:                              ;   in Loop: Header=BB395_10 Depth=1
	s_or_b64 exec, exec, s[28:29]
	flat_load_dword v28, v[20:21] offset:1024
	v_mov_b32_e32 v0, 0
	s_waitcnt vmcnt(0) lgkmcnt(0)
	v_cmp_ne_u16_sdwa s[8:9], v28, v55 src0_sel:BYTE_0 src1_sel:DWORD
	s_and_saveexec_b64 s[28:29], s[8:9]
	s_cbranch_execz .LBB395_176
; %bb.171:                              ;   in Loop: Header=BB395_10 Depth=1
	v_cmp_ne_u16_sdwa s[8:9], v28, s21 src0_sel:BYTE_0 src1_sel:DWORD
	v_bfrev_b32_e32 v0, 1
	s_and_saveexec_b64 s[30:31], s[8:9]
	s_cbranch_execz .LBB395_175
; %bb.172:                              ;   in Loop: Header=BB395_10 Depth=1
	v_and_b32_e32 v1, 0x7f, v28
	v_cmp_ne_u32_e64 s[8:9], s37, v1
	v_mov_b32_e32 v0, 0x7f800001
	s_and_saveexec_b64 s[34:35], s[8:9]
	s_cbranch_execz .LBB395_174
; %bb.173:                              ;   in Loop: Header=BB395_10 Depth=1
	v_and_b32_e32 v0, 7, v28
	v_ffbh_u32_e32 v2, v0
	v_min_u32_e32 v7, 32, v2
	v_subrev_u32_e32 v2, 28, v7
	v_lshlrev_b64 v[2:3], v2, v[28:29]
	v_lshrrev_b32_e32 v6, 3, v1
	v_sub_u32_e32 v3, 29, v7
	v_and_b32_e32 v2, 7, v2
	v_cmp_gt_u32_e64 s[8:9], 8, v1
	v_cndmask_b32_e64 v1, v6, v3, s[8:9]
	v_cndmask_b32_e64 v0, v0, v2, s[8:9]
	v_lshlrev_b32_e32 v2, 24, v28
	v_lshlrev_b32_e32 v0, 20, v0
	v_and_b32_e32 v2, 0x80000000, v2
	v_lshl_add_u32 v1, v1, 23, v40
	v_or3_b32 v0, v2, v1, v0
.LBB395_174:                            ;   in Loop: Header=BB395_10 Depth=1
	s_or_b64 exec, exec, s[34:35]
.LBB395_175:                            ;   in Loop: Header=BB395_10 Depth=1
	s_or_b64 exec, exec, s[30:31]
.LBB395_176:                            ;   in Loop: Header=BB395_10 Depth=1
	s_or_b64 exec, exec, s[28:29]
	v_mul_f32_e32 v0, v43, v0
	v_and_b32_e32 v1, 0x7f800000, v0
	v_cmp_ne_u32_e64 s[8:9], s38, v1
                                        ; implicit-def: $vgpr36
	s_and_saveexec_b64 s[28:29], s[8:9]
	s_xor_b64 s[8:9], exec, s[28:29]
; %bb.177:                              ;   in Loop: Header=BB395_10 Depth=1
	v_bfe_u32 v1, v0, 16, 1
	v_add3_u32 v36, v0, v1, s39
                                        ; implicit-def: $vgpr0
; %bb.178:                              ;   in Loop: Header=BB395_10 Depth=1
	s_andn2_saveexec_b64 s[28:29], s[8:9]
; %bb.179:                              ;   in Loop: Header=BB395_10 Depth=1
	v_or_b32_e32 v1, 0x10000, v0
	v_cmp_eq_u32_sdwa s[8:9], v0, v55 src0_sel:WORD_0 src1_sel:DWORD
	v_cndmask_b32_e64 v36, v1, v0, s[8:9]
; %bb.180:                              ;   in Loop: Header=BB395_10 Depth=1
	s_or_b64 exec, exec, s[28:29]
	v_lshrrev_b16_e32 v30, 8, v28
	v_cmp_ne_u16_e64 s[8:9], 0, v30
	v_mov_b32_e32 v0, 0
	s_and_saveexec_b64 s[28:29], s[8:9]
	s_cbranch_execz .LBB395_186
; %bb.181:                              ;   in Loop: Header=BB395_10 Depth=1
	v_cmp_ne_u16_e64 s[8:9], s21, v30
	v_bfrev_b32_e32 v0, 1
	s_and_saveexec_b64 s[30:31], s[8:9]
	s_cbranch_execz .LBB395_185
; %bb.182:                              ;   in Loop: Header=BB395_10 Depth=1
	v_and_b32_e32 v1, 0x7f, v30
	v_cmp_ne_u32_e64 s[8:9], s37, v1
	v_mov_b32_e32 v0, 0x7f800001
	s_and_saveexec_b64 s[34:35], s[8:9]
	s_cbranch_execz .LBB395_184
; %bb.183:                              ;   in Loop: Header=BB395_10 Depth=1
	v_and_b32_e32 v0, 7, v30
	v_ffbh_u32_e32 v2, v0
	v_min_u32_e32 v7, 32, v2
	v_subrev_u32_e32 v2, 28, v7
	v_lshlrev_b64 v[2:3], v2, v[30:31]
	v_lshrrev_b32_e32 v6, 3, v1
	v_sub_u32_e32 v3, 29, v7
	v_and_b32_e32 v2, 7, v2
	v_cmp_gt_u32_e64 s[8:9], 8, v1
	v_cndmask_b32_e64 v1, v6, v3, s[8:9]
	v_cndmask_b32_e64 v0, v0, v2, s[8:9]
	v_lshlrev_b32_e32 v2, 16, v28
	v_lshlrev_b32_e32 v0, 20, v0
	v_and_b32_e32 v2, 0x80000000, v2
	v_lshl_add_u32 v1, v1, 23, v40
	v_or3_b32 v0, v2, v1, v0
.LBB395_184:                            ;   in Loop: Header=BB395_10 Depth=1
	s_or_b64 exec, exec, s[34:35]
.LBB395_185:                            ;   in Loop: Header=BB395_10 Depth=1
	s_or_b64 exec, exec, s[30:31]
.LBB395_186:                            ;   in Loop: Header=BB395_10 Depth=1
	s_or_b64 exec, exec, s[28:29]
	v_mul_f32_e32 v0, v43, v0
	v_and_b32_e32 v1, 0x7f800000, v0
	v_cmp_ne_u32_e64 s[8:9], s38, v1
                                        ; implicit-def: $vgpr6
	s_and_saveexec_b64 s[28:29], s[8:9]
	s_xor_b64 s[8:9], exec, s[28:29]
; %bb.187:                              ;   in Loop: Header=BB395_10 Depth=1
	v_bfe_u32 v1, v0, 16, 1
	v_add3_u32 v6, v0, v1, s39
                                        ; implicit-def: $vgpr0
; %bb.188:                              ;   in Loop: Header=BB395_10 Depth=1
	s_andn2_saveexec_b64 s[28:29], s[8:9]
; %bb.189:                              ;   in Loop: Header=BB395_10 Depth=1
	v_or_b32_e32 v1, 0x10000, v0
	v_cmp_eq_u32_sdwa s[8:9], v0, v55 src0_sel:WORD_0 src1_sel:DWORD
	v_cndmask_b32_e64 v6, v1, v0, s[8:9]
; %bb.190:                              ;   in Loop: Header=BB395_10 Depth=1
	s_or_b64 exec, exec, s[28:29]
	v_lshrrev_b32_e32 v30, 16, v28
	v_cmp_ne_u16_sdwa s[8:9], v30, v55 src0_sel:BYTE_0 src1_sel:DWORD
	v_mov_b32_e32 v0, 0
	s_and_saveexec_b64 s[28:29], s[8:9]
	s_cbranch_execz .LBB395_196
; %bb.191:                              ;   in Loop: Header=BB395_10 Depth=1
	v_cmp_ne_u16_sdwa s[8:9], v30, s21 src0_sel:BYTE_0 src1_sel:DWORD
	v_bfrev_b32_e32 v0, 1
	s_and_saveexec_b64 s[30:31], s[8:9]
	s_cbranch_execz .LBB395_195
; %bb.192:                              ;   in Loop: Header=BB395_10 Depth=1
	v_bfe_u32 v1, v28, 16, 7
	v_cmp_ne_u32_e64 s[8:9], s37, v1
	v_mov_b32_e32 v0, 0x7f800001
	s_and_saveexec_b64 s[34:35], s[8:9]
	s_cbranch_execz .LBB395_194
; %bb.193:                              ;   in Loop: Header=BB395_10 Depth=1
	v_and_b32_e32 v0, 7, v30
	v_ffbh_u32_e32 v2, v0
	v_min_u32_e32 v8, 32, v2
	v_subrev_u32_e32 v2, 28, v8
	v_lshlrev_b64 v[2:3], v2, v[30:31]
	v_lshrrev_b32_e32 v7, 3, v1
	v_sub_u32_e32 v3, 29, v8
	v_and_b32_e32 v2, 7, v2
	v_cmp_gt_u32_e64 s[8:9], 8, v1
	v_cndmask_b32_e64 v1, v7, v3, s[8:9]
	v_cndmask_b32_e64 v0, v0, v2, s[8:9]
	v_lshlrev_b32_e32 v2, 24, v30
	v_lshlrev_b32_e32 v0, 20, v0
	v_and_b32_e32 v2, 0x80000000, v2
	v_lshl_add_u32 v1, v1, 23, v40
	v_or3_b32 v0, v2, v1, v0
.LBB395_194:                            ;   in Loop: Header=BB395_10 Depth=1
	s_or_b64 exec, exec, s[34:35]
.LBB395_195:                            ;   in Loop: Header=BB395_10 Depth=1
	s_or_b64 exec, exec, s[30:31]
.LBB395_196:                            ;   in Loop: Header=BB395_10 Depth=1
	s_or_b64 exec, exec, s[28:29]
	v_mul_f32_e32 v0, v43, v0
	v_and_b32_e32 v1, 0x7f800000, v0
	v_cmp_ne_u32_e64 s[8:9], s38, v1
                                        ; implicit-def: $vgpr7
	s_and_saveexec_b64 s[28:29], s[8:9]
	s_xor_b64 s[8:9], exec, s[28:29]
; %bb.197:                              ;   in Loop: Header=BB395_10 Depth=1
	v_bfe_u32 v1, v0, 16, 1
	v_add3_u32 v7, v0, v1, s39
                                        ; implicit-def: $vgpr0
; %bb.198:                              ;   in Loop: Header=BB395_10 Depth=1
	s_andn2_saveexec_b64 s[28:29], s[8:9]
; %bb.199:                              ;   in Loop: Header=BB395_10 Depth=1
	v_or_b32_e32 v1, 0x10000, v0
	v_cmp_eq_u32_sdwa s[8:9], v0, v55 src0_sel:WORD_0 src1_sel:DWORD
	v_cndmask_b32_e64 v7, v1, v0, s[8:9]
; %bb.200:                              ;   in Loop: Header=BB395_10 Depth=1
	s_or_b64 exec, exec, s[28:29]
	v_cmp_lt_u32_e64 s[8:9], s40, v28
	v_mov_b32_e32 v0, 0
	s_and_saveexec_b64 s[28:29], s[8:9]
	s_cbranch_execz .LBB395_206
; %bb.201:                              ;   in Loop: Header=BB395_10 Depth=1
	v_lshrrev_b32_e32 v30, 24, v28
	v_cmp_ne_u32_e64 s[8:9], s21, v30
	v_bfrev_b32_e32 v0, 1
	s_and_saveexec_b64 s[30:31], s[8:9]
	s_cbranch_execz .LBB395_205
; %bb.202:                              ;   in Loop: Header=BB395_10 Depth=1
	v_bfe_u32 v1, v28, 24, 7
	v_cmp_ne_u32_e64 s[8:9], s37, v1
	v_mov_b32_e32 v0, 0x7f800001
	s_and_saveexec_b64 s[34:35], s[8:9]
	s_cbranch_execz .LBB395_204
; %bb.203:                              ;   in Loop: Header=BB395_10 Depth=1
	v_and_b32_e32 v0, 7, v30
	v_ffbh_u32_e32 v2, v0
	v_min_u32_e32 v9, 32, v2
	v_subrev_u32_e32 v2, 28, v9
	v_lshlrev_b64 v[2:3], v2, v[30:31]
	v_lshrrev_b32_e32 v8, 3, v1
	v_sub_u32_e32 v3, 29, v9
	v_and_b32_e32 v2, 7, v2
	v_cmp_gt_u32_e64 s[8:9], 8, v1
	v_cndmask_b32_e64 v1, v8, v3, s[8:9]
	v_cndmask_b32_e64 v0, v0, v2, s[8:9]
	v_lshlrev_b32_e32 v2, 24, v30
	v_lshlrev_b32_e32 v0, 20, v0
	v_and_b32_e32 v2, 0x80000000, v2
	v_lshl_add_u32 v1, v1, 23, v40
	v_or3_b32 v0, v2, v1, v0
.LBB395_204:                            ;   in Loop: Header=BB395_10 Depth=1
	s_or_b64 exec, exec, s[34:35]
.LBB395_205:                            ;   in Loop: Header=BB395_10 Depth=1
	s_or_b64 exec, exec, s[30:31]
.LBB395_206:                            ;   in Loop: Header=BB395_10 Depth=1
	s_or_b64 exec, exec, s[28:29]
	v_mul_f32_e32 v0, v43, v0
	v_and_b32_e32 v1, 0x7f800000, v0
	v_cmp_ne_u32_e64 s[8:9], s38, v1
                                        ; implicit-def: $vgpr37
	s_and_saveexec_b64 s[28:29], s[8:9]
	s_xor_b64 s[8:9], exec, s[28:29]
; %bb.207:                              ;   in Loop: Header=BB395_10 Depth=1
	v_bfe_u32 v1, v0, 16, 1
	v_add3_u32 v37, v0, v1, s39
                                        ; implicit-def: $vgpr0
; %bb.208:                              ;   in Loop: Header=BB395_10 Depth=1
	s_andn2_saveexec_b64 s[28:29], s[8:9]
; %bb.209:                              ;   in Loop: Header=BB395_10 Depth=1
	v_or_b32_e32 v1, 0x10000, v0
	v_cmp_eq_u32_sdwa s[8:9], v0, v55 src0_sel:WORD_0 src1_sel:DWORD
	v_cndmask_b32_e64 v37, v1, v0, s[8:9]
; %bb.210:                              ;   in Loop: Header=BB395_10 Depth=1
	s_or_b64 exec, exec, s[28:29]
	flat_load_dword v28, v[20:21] offset:1032
	v_mov_b32_e32 v0, 0
	s_waitcnt vmcnt(0) lgkmcnt(0)
	v_cmp_ne_u16_sdwa s[8:9], v28, v55 src0_sel:BYTE_0 src1_sel:DWORD
	s_and_saveexec_b64 s[28:29], s[8:9]
	s_cbranch_execz .LBB395_216
; %bb.211:                              ;   in Loop: Header=BB395_10 Depth=1
	v_cmp_ne_u16_sdwa s[8:9], v28, s21 src0_sel:BYTE_0 src1_sel:DWORD
	v_bfrev_b32_e32 v0, 1
	s_and_saveexec_b64 s[30:31], s[8:9]
	s_cbranch_execz .LBB395_215
; %bb.212:                              ;   in Loop: Header=BB395_10 Depth=1
	v_and_b32_e32 v1, 0x7f, v28
	v_cmp_ne_u32_e64 s[8:9], s37, v1
	v_mov_b32_e32 v0, 0x7f800001
	s_and_saveexec_b64 s[34:35], s[8:9]
	s_cbranch_execz .LBB395_214
; %bb.213:                              ;   in Loop: Header=BB395_10 Depth=1
	v_and_b32_e32 v0, 7, v28
	v_ffbh_u32_e32 v2, v0
	v_min_u32_e32 v9, 32, v2
	v_subrev_u32_e32 v2, 28, v9
	v_lshlrev_b64 v[2:3], v2, v[28:29]
	v_lshrrev_b32_e32 v8, 3, v1
	v_sub_u32_e32 v3, 29, v9
	v_and_b32_e32 v2, 7, v2
	v_cmp_gt_u32_e64 s[8:9], 8, v1
	v_cndmask_b32_e64 v1, v8, v3, s[8:9]
	v_cndmask_b32_e64 v0, v0, v2, s[8:9]
	v_lshlrev_b32_e32 v2, 24, v28
	v_lshlrev_b32_e32 v0, 20, v0
	v_and_b32_e32 v2, 0x80000000, v2
	v_lshl_add_u32 v1, v1, 23, v40
	v_or3_b32 v0, v2, v1, v0
.LBB395_214:                            ;   in Loop: Header=BB395_10 Depth=1
	s_or_b64 exec, exec, s[34:35]
.LBB395_215:                            ;   in Loop: Header=BB395_10 Depth=1
	s_or_b64 exec, exec, s[30:31]
.LBB395_216:                            ;   in Loop: Header=BB395_10 Depth=1
	s_or_b64 exec, exec, s[28:29]
	v_mul_f32_e32 v0, v43, v0
	v_and_b32_e32 v1, 0x7f800000, v0
	v_cmp_ne_u32_e64 s[8:9], s38, v1
                                        ; implicit-def: $vgpr35
	s_and_saveexec_b64 s[28:29], s[8:9]
	s_xor_b64 s[8:9], exec, s[28:29]
; %bb.217:                              ;   in Loop: Header=BB395_10 Depth=1
	v_bfe_u32 v1, v0, 16, 1
	v_add3_u32 v35, v0, v1, s39
                                        ; implicit-def: $vgpr0
; %bb.218:                              ;   in Loop: Header=BB395_10 Depth=1
	s_andn2_saveexec_b64 s[28:29], s[8:9]
; %bb.219:                              ;   in Loop: Header=BB395_10 Depth=1
	v_or_b32_e32 v1, 0x10000, v0
	v_cmp_eq_u32_sdwa s[8:9], v0, v55 src0_sel:WORD_0 src1_sel:DWORD
	v_cndmask_b32_e64 v35, v1, v0, s[8:9]
; %bb.220:                              ;   in Loop: Header=BB395_10 Depth=1
	s_or_b64 exec, exec, s[28:29]
	v_lshrrev_b16_e32 v30, 8, v28
	v_cmp_ne_u16_e64 s[8:9], 0, v30
	v_mov_b32_e32 v0, 0
	s_and_saveexec_b64 s[28:29], s[8:9]
	s_cbranch_execz .LBB395_226
; %bb.221:                              ;   in Loop: Header=BB395_10 Depth=1
	v_cmp_ne_u16_e64 s[8:9], s21, v30
	v_bfrev_b32_e32 v0, 1
	s_and_saveexec_b64 s[30:31], s[8:9]
	s_cbranch_execz .LBB395_225
; %bb.222:                              ;   in Loop: Header=BB395_10 Depth=1
	v_and_b32_e32 v1, 0x7f, v30
	v_cmp_ne_u32_e64 s[8:9], s37, v1
	v_mov_b32_e32 v0, 0x7f800001
	s_and_saveexec_b64 s[34:35], s[8:9]
	s_cbranch_execz .LBB395_224
; %bb.223:                              ;   in Loop: Header=BB395_10 Depth=1
	v_and_b32_e32 v0, 7, v30
	v_ffbh_u32_e32 v2, v0
	v_min_u32_e32 v9, 32, v2
	v_subrev_u32_e32 v2, 28, v9
	v_lshlrev_b64 v[2:3], v2, v[30:31]
	v_lshrrev_b32_e32 v8, 3, v1
	v_sub_u32_e32 v3, 29, v9
	v_and_b32_e32 v2, 7, v2
	v_cmp_gt_u32_e64 s[8:9], 8, v1
	v_cndmask_b32_e64 v1, v8, v3, s[8:9]
	v_cndmask_b32_e64 v0, v0, v2, s[8:9]
	v_lshlrev_b32_e32 v2, 16, v28
	v_lshlrev_b32_e32 v0, 20, v0
	v_and_b32_e32 v2, 0x80000000, v2
	v_lshl_add_u32 v1, v1, 23, v40
	v_or3_b32 v0, v2, v1, v0
.LBB395_224:                            ;   in Loop: Header=BB395_10 Depth=1
	s_or_b64 exec, exec, s[34:35]
.LBB395_225:                            ;   in Loop: Header=BB395_10 Depth=1
	s_or_b64 exec, exec, s[30:31]
.LBB395_226:                            ;   in Loop: Header=BB395_10 Depth=1
	s_or_b64 exec, exec, s[28:29]
	v_mul_f32_e32 v0, v43, v0
	v_and_b32_e32 v1, 0x7f800000, v0
	v_cmp_ne_u32_e64 s[8:9], s38, v1
                                        ; implicit-def: $vgpr11
	s_and_saveexec_b64 s[28:29], s[8:9]
	s_xor_b64 s[8:9], exec, s[28:29]
; %bb.227:                              ;   in Loop: Header=BB395_10 Depth=1
	v_bfe_u32 v1, v0, 16, 1
	v_add3_u32 v11, v0, v1, s39
                                        ; implicit-def: $vgpr0
; %bb.228:                              ;   in Loop: Header=BB395_10 Depth=1
	s_andn2_saveexec_b64 s[28:29], s[8:9]
; %bb.229:                              ;   in Loop: Header=BB395_10 Depth=1
	v_or_b32_e32 v1, 0x10000, v0
	v_cmp_eq_u32_sdwa s[8:9], v0, v55 src0_sel:WORD_0 src1_sel:DWORD
	v_cndmask_b32_e64 v11, v1, v0, s[8:9]
; %bb.230:                              ;   in Loop: Header=BB395_10 Depth=1
	s_or_b64 exec, exec, s[28:29]
	v_lshrrev_b32_e32 v30, 16, v28
	v_cmp_ne_u16_sdwa s[8:9], v30, v55 src0_sel:BYTE_0 src1_sel:DWORD
	v_mov_b32_e32 v0, 0
	s_and_saveexec_b64 s[28:29], s[8:9]
	s_cbranch_execz .LBB395_236
; %bb.231:                              ;   in Loop: Header=BB395_10 Depth=1
	v_cmp_ne_u16_sdwa s[8:9], v30, s21 src0_sel:BYTE_0 src1_sel:DWORD
	v_bfrev_b32_e32 v0, 1
	s_and_saveexec_b64 s[30:31], s[8:9]
	s_cbranch_execz .LBB395_235
; %bb.232:                              ;   in Loop: Header=BB395_10 Depth=1
	v_bfe_u32 v1, v28, 16, 7
	v_cmp_ne_u32_e64 s[8:9], s37, v1
	v_mov_b32_e32 v0, 0x7f800001
	s_and_saveexec_b64 s[34:35], s[8:9]
	s_cbranch_execz .LBB395_234
; %bb.233:                              ;   in Loop: Header=BB395_10 Depth=1
	v_and_b32_e32 v0, 7, v30
	v_ffbh_u32_e32 v2, v0
	v_min_u32_e32 v9, 32, v2
	v_subrev_u32_e32 v2, 28, v9
	v_lshlrev_b64 v[2:3], v2, v[30:31]
	v_lshrrev_b32_e32 v8, 3, v1
	v_sub_u32_e32 v3, 29, v9
	v_and_b32_e32 v2, 7, v2
	v_cmp_gt_u32_e64 s[8:9], 8, v1
	v_cndmask_b32_e64 v1, v8, v3, s[8:9]
	v_cndmask_b32_e64 v0, v0, v2, s[8:9]
	v_lshlrev_b32_e32 v2, 24, v30
	v_lshlrev_b32_e32 v0, 20, v0
	v_and_b32_e32 v2, 0x80000000, v2
	v_lshl_add_u32 v1, v1, 23, v40
	v_or3_b32 v0, v2, v1, v0
.LBB395_234:                            ;   in Loop: Header=BB395_10 Depth=1
	s_or_b64 exec, exec, s[34:35]
.LBB395_235:                            ;   in Loop: Header=BB395_10 Depth=1
	s_or_b64 exec, exec, s[30:31]
.LBB395_236:                            ;   in Loop: Header=BB395_10 Depth=1
	s_or_b64 exec, exec, s[28:29]
	v_mul_f32_e32 v0, v43, v0
	v_and_b32_e32 v1, 0x7f800000, v0
	v_cmp_ne_u32_e64 s[8:9], s38, v1
                                        ; implicit-def: $vgpr10
	s_and_saveexec_b64 s[28:29], s[8:9]
	s_xor_b64 s[8:9], exec, s[28:29]
; %bb.237:                              ;   in Loop: Header=BB395_10 Depth=1
	v_bfe_u32 v1, v0, 16, 1
	v_add3_u32 v10, v0, v1, s39
                                        ; implicit-def: $vgpr0
; %bb.238:                              ;   in Loop: Header=BB395_10 Depth=1
	s_andn2_saveexec_b64 s[28:29], s[8:9]
; %bb.239:                              ;   in Loop: Header=BB395_10 Depth=1
	v_or_b32_e32 v1, 0x10000, v0
	v_cmp_eq_u32_sdwa s[8:9], v0, v55 src0_sel:WORD_0 src1_sel:DWORD
	v_cndmask_b32_e64 v10, v1, v0, s[8:9]
; %bb.240:                              ;   in Loop: Header=BB395_10 Depth=1
	s_or_b64 exec, exec, s[28:29]
	v_cmp_lt_u32_e64 s[8:9], s40, v28
	v_mov_b32_e32 v0, 0
	s_and_saveexec_b64 s[28:29], s[8:9]
	s_cbranch_execz .LBB395_246
; %bb.241:                              ;   in Loop: Header=BB395_10 Depth=1
	v_lshrrev_b32_e32 v30, 24, v28
	v_cmp_ne_u32_e64 s[8:9], s21, v30
	v_bfrev_b32_e32 v0, 1
	s_and_saveexec_b64 s[30:31], s[8:9]
	s_cbranch_execz .LBB395_245
; %bb.242:                              ;   in Loop: Header=BB395_10 Depth=1
	v_bfe_u32 v1, v28, 24, 7
	v_cmp_ne_u32_e64 s[8:9], s37, v1
	v_mov_b32_e32 v0, 0x7f800001
	s_and_saveexec_b64 s[34:35], s[8:9]
	s_cbranch_execz .LBB395_244
; %bb.243:                              ;   in Loop: Header=BB395_10 Depth=1
	v_and_b32_e32 v0, 7, v30
	v_ffbh_u32_e32 v2, v0
	v_min_u32_e32 v9, 32, v2
	v_subrev_u32_e32 v2, 28, v9
	v_lshlrev_b64 v[2:3], v2, v[30:31]
	v_lshrrev_b32_e32 v8, 3, v1
	v_sub_u32_e32 v3, 29, v9
	v_and_b32_e32 v2, 7, v2
	v_cmp_gt_u32_e64 s[8:9], 8, v1
	v_cndmask_b32_e64 v1, v8, v3, s[8:9]
	v_cndmask_b32_e64 v0, v0, v2, s[8:9]
	v_lshlrev_b32_e32 v2, 24, v30
	v_lshlrev_b32_e32 v0, 20, v0
	v_and_b32_e32 v2, 0x80000000, v2
	v_lshl_add_u32 v1, v1, 23, v40
	v_or3_b32 v0, v2, v1, v0
.LBB395_244:                            ;   in Loop: Header=BB395_10 Depth=1
	s_or_b64 exec, exec, s[34:35]
.LBB395_245:                            ;   in Loop: Header=BB395_10 Depth=1
	s_or_b64 exec, exec, s[30:31]
.LBB395_246:                            ;   in Loop: Header=BB395_10 Depth=1
	s_or_b64 exec, exec, s[28:29]
	v_mul_f32_e32 v0, v43, v0
	v_and_b32_e32 v1, 0x7f800000, v0
	v_cmp_ne_u32_e64 s[8:9], s38, v1
                                        ; implicit-def: $vgpr1
	s_and_saveexec_b64 s[28:29], s[8:9]
	s_xor_b64 s[8:9], exec, s[28:29]
; %bb.247:                              ;   in Loop: Header=BB395_10 Depth=1
	v_bfe_u32 v1, v0, 16, 1
	v_add3_u32 v1, v0, v1, s39
                                        ; implicit-def: $vgpr0
; %bb.248:                              ;   in Loop: Header=BB395_10 Depth=1
	s_andn2_saveexec_b64 s[28:29], s[8:9]
; %bb.249:                              ;   in Loop: Header=BB395_10 Depth=1
	v_or_b32_e32 v1, 0x10000, v0
	v_cmp_eq_u32_sdwa s[8:9], v0, v55 src0_sel:WORD_0 src1_sel:DWORD
	v_cndmask_b32_e64 v1, v1, v0, s[8:9]
; %bb.250:                              ;   in Loop: Header=BB395_10 Depth=1
	s_or_b64 exec, exec, s[28:29]
	flat_load_dword v28, v[20:21] offset:1536
	v_mov_b32_e32 v0, 0
	s_waitcnt vmcnt(0) lgkmcnt(0)
	v_cmp_ne_u16_sdwa s[8:9], v28, v55 src0_sel:BYTE_0 src1_sel:DWORD
	s_and_saveexec_b64 s[28:29], s[8:9]
	s_cbranch_execz .LBB395_256
; %bb.251:                              ;   in Loop: Header=BB395_10 Depth=1
	v_cmp_ne_u16_sdwa s[8:9], v28, s21 src0_sel:BYTE_0 src1_sel:DWORD
	v_bfrev_b32_e32 v0, 1
	s_and_saveexec_b64 s[30:31], s[8:9]
	s_cbranch_execz .LBB395_255
; %bb.252:                              ;   in Loop: Header=BB395_10 Depth=1
	v_and_b32_e32 v2, 0x7f, v28
	v_cmp_ne_u32_e64 s[8:9], s37, v2
	v_mov_b32_e32 v0, 0x7f800001
	s_and_saveexec_b64 s[34:35], s[8:9]
	s_cbranch_execz .LBB395_254
; %bb.253:                              ;   in Loop: Header=BB395_10 Depth=1
	v_and_b32_e32 v0, 7, v28
	v_ffbh_u32_e32 v8, v0
	v_min_u32_e32 v12, 32, v8
	v_subrev_u32_e32 v8, 28, v12
	v_lshlrev_b64 v[8:9], v8, v[28:29]
	v_lshrrev_b32_e32 v3, 3, v2
	v_sub_u32_e32 v9, 29, v12
	v_and_b32_e32 v8, 7, v8
	v_cmp_gt_u32_e64 s[8:9], 8, v2
	v_cndmask_b32_e64 v2, v3, v9, s[8:9]
	v_cndmask_b32_e64 v0, v0, v8, s[8:9]
	v_lshlrev_b32_e32 v3, 24, v28
	v_lshlrev_b32_e32 v0, 20, v0
	v_and_b32_e32 v3, 0x80000000, v3
	v_lshl_add_u32 v2, v2, 23, v40
	v_or3_b32 v0, v3, v2, v0
.LBB395_254:                            ;   in Loop: Header=BB395_10 Depth=1
	s_or_b64 exec, exec, s[34:35]
.LBB395_255:                            ;   in Loop: Header=BB395_10 Depth=1
	s_or_b64 exec, exec, s[30:31]
.LBB395_256:                            ;   in Loop: Header=BB395_10 Depth=1
	s_or_b64 exec, exec, s[28:29]
	v_mul_f32_e32 v0, v43, v0
	v_and_b32_e32 v2, 0x7f800000, v0
	v_cmp_ne_u32_e64 s[8:9], s38, v2
                                        ; implicit-def: $vgpr22
	s_and_saveexec_b64 s[28:29], s[8:9]
	s_xor_b64 s[8:9], exec, s[28:29]
; %bb.257:                              ;   in Loop: Header=BB395_10 Depth=1
	v_bfe_u32 v2, v0, 16, 1
	v_add3_u32 v22, v0, v2, s39
                                        ; implicit-def: $vgpr0
; %bb.258:                              ;   in Loop: Header=BB395_10 Depth=1
	s_andn2_saveexec_b64 s[28:29], s[8:9]
; %bb.259:                              ;   in Loop: Header=BB395_10 Depth=1
	v_or_b32_e32 v2, 0x10000, v0
	v_cmp_eq_u32_sdwa s[8:9], v0, v55 src0_sel:WORD_0 src1_sel:DWORD
	v_cndmask_b32_e64 v22, v2, v0, s[8:9]
; %bb.260:                              ;   in Loop: Header=BB395_10 Depth=1
	s_or_b64 exec, exec, s[28:29]
	v_lshrrev_b16_e32 v30, 8, v28
	v_cmp_ne_u16_e64 s[8:9], 0, v30
	v_mov_b32_e32 v0, 0
	s_and_saveexec_b64 s[28:29], s[8:9]
	s_cbranch_execz .LBB395_266
; %bb.261:                              ;   in Loop: Header=BB395_10 Depth=1
	v_cmp_ne_u16_e64 s[8:9], s21, v30
	v_bfrev_b32_e32 v0, 1
	s_and_saveexec_b64 s[30:31], s[8:9]
	s_cbranch_execz .LBB395_265
; %bb.262:                              ;   in Loop: Header=BB395_10 Depth=1
	v_and_b32_e32 v2, 0x7f, v30
	v_cmp_ne_u32_e64 s[8:9], s37, v2
	v_mov_b32_e32 v0, 0x7f800001
	s_and_saveexec_b64 s[34:35], s[8:9]
	s_cbranch_execz .LBB395_264
; %bb.263:                              ;   in Loop: Header=BB395_10 Depth=1
	v_and_b32_e32 v0, 7, v30
	v_lshrrev_b32_e32 v8, 3, v2
	v_cmp_gt_u32_e64 s[8:9], 8, v2
	v_ffbh_u32_e32 v2, v0
	v_min_u32_e32 v9, 32, v2
	v_subrev_u32_e32 v2, 28, v9
	v_lshlrev_b64 v[2:3], v2, v[30:31]
	v_sub_u32_e32 v3, 29, v9
	v_and_b32_e32 v2, 7, v2
	v_cndmask_b32_e64 v3, v8, v3, s[8:9]
	v_cndmask_b32_e64 v0, v0, v2, s[8:9]
	v_lshlrev_b32_e32 v2, 16, v28
	v_lshlrev_b32_e32 v0, 20, v0
	v_and_b32_e32 v2, 0x80000000, v2
	v_lshl_add_u32 v3, v3, 23, v40
	v_or3_b32 v0, v2, v3, v0
.LBB395_264:                            ;   in Loop: Header=BB395_10 Depth=1
	s_or_b64 exec, exec, s[34:35]
.LBB395_265:                            ;   in Loop: Header=BB395_10 Depth=1
	s_or_b64 exec, exec, s[30:31]
.LBB395_266:                            ;   in Loop: Header=BB395_10 Depth=1
	s_or_b64 exec, exec, s[28:29]
	v_mul_f32_e32 v2, v43, v0
	v_and_b32_e32 v0, 0x7f800000, v2
	v_cmp_ne_u32_e64 s[8:9], s38, v0
                                        ; implicit-def: $vgpr0
	s_and_saveexec_b64 s[28:29], s[8:9]
	s_xor_b64 s[8:9], exec, s[28:29]
; %bb.267:                              ;   in Loop: Header=BB395_10 Depth=1
	v_bfe_u32 v0, v2, 16, 1
	v_add3_u32 v0, v2, v0, s39
                                        ; implicit-def: $vgpr2
; %bb.268:                              ;   in Loop: Header=BB395_10 Depth=1
	s_andn2_saveexec_b64 s[28:29], s[8:9]
; %bb.269:                              ;   in Loop: Header=BB395_10 Depth=1
	v_or_b32_e32 v0, 0x10000, v2
	v_cmp_eq_u32_sdwa s[8:9], v2, v55 src0_sel:WORD_0 src1_sel:DWORD
	v_cndmask_b32_e64 v0, v0, v2, s[8:9]
; %bb.270:                              ;   in Loop: Header=BB395_10 Depth=1
	s_or_b64 exec, exec, s[28:29]
	v_lshrrev_b32_e32 v30, 16, v28
	v_cmp_ne_u16_sdwa s[8:9], v30, v55 src0_sel:BYTE_0 src1_sel:DWORD
	v_mov_b32_e32 v2, 0
	s_and_saveexec_b64 s[28:29], s[8:9]
	s_cbranch_execz .LBB395_276
; %bb.271:                              ;   in Loop: Header=BB395_10 Depth=1
	v_cmp_ne_u16_sdwa s[8:9], v30, s21 src0_sel:BYTE_0 src1_sel:DWORD
	v_bfrev_b32_e32 v2, 1
	s_and_saveexec_b64 s[30:31], s[8:9]
	s_cbranch_execz .LBB395_275
; %bb.272:                              ;   in Loop: Header=BB395_10 Depth=1
	v_bfe_u32 v3, v28, 16, 7
	v_cmp_ne_u32_e64 s[8:9], s37, v3
	v_mov_b32_e32 v2, 0x7f800001
	s_and_saveexec_b64 s[34:35], s[8:9]
	s_cbranch_execz .LBB395_274
; %bb.273:                              ;   in Loop: Header=BB395_10 Depth=1
	v_and_b32_e32 v8, 7, v30
	v_ffbh_u32_e32 v2, v8
	v_min_u32_e32 v12, 32, v2
	v_subrev_u32_e32 v2, 28, v12
	v_lshrrev_b32_e32 v9, 3, v3
	v_cmp_gt_u32_e64 s[8:9], 8, v3
	v_lshlrev_b64 v[2:3], v2, v[30:31]
	v_sub_u32_e32 v3, 29, v12
	v_and_b32_e32 v2, 7, v2
	v_cndmask_b32_e64 v3, v9, v3, s[8:9]
	v_cndmask_b32_e64 v2, v8, v2, s[8:9]
	v_lshlrev_b32_e32 v8, 24, v30
	v_lshlrev_b32_e32 v2, 20, v2
	v_and_b32_e32 v8, 0x80000000, v8
	v_lshl_add_u32 v3, v3, 23, v40
	v_or3_b32 v2, v8, v3, v2
.LBB395_274:                            ;   in Loop: Header=BB395_10 Depth=1
	s_or_b64 exec, exec, s[34:35]
.LBB395_275:                            ;   in Loop: Header=BB395_10 Depth=1
	s_or_b64 exec, exec, s[30:31]
.LBB395_276:                            ;   in Loop: Header=BB395_10 Depth=1
	s_or_b64 exec, exec, s[28:29]
	v_mul_f32_e32 v2, v43, v2
	v_and_b32_e32 v3, 0x7f800000, v2
	v_cmp_ne_u32_e64 s[8:9], s38, v3
                                        ; implicit-def: $vgpr3
	s_and_saveexec_b64 s[28:29], s[8:9]
	s_xor_b64 s[8:9], exec, s[28:29]
; %bb.277:                              ;   in Loop: Header=BB395_10 Depth=1
	v_bfe_u32 v3, v2, 16, 1
	v_add3_u32 v3, v2, v3, s39
                                        ; implicit-def: $vgpr2
; %bb.278:                              ;   in Loop: Header=BB395_10 Depth=1
	s_andn2_saveexec_b64 s[28:29], s[8:9]
; %bb.279:                              ;   in Loop: Header=BB395_10 Depth=1
	v_or_b32_e32 v3, 0x10000, v2
	v_cmp_eq_u32_sdwa s[8:9], v2, v55 src0_sel:WORD_0 src1_sel:DWORD
	v_cndmask_b32_e64 v3, v3, v2, s[8:9]
; %bb.280:                              ;   in Loop: Header=BB395_10 Depth=1
	s_or_b64 exec, exec, s[28:29]
	v_cmp_lt_u32_e64 s[8:9], s40, v28
	v_mov_b32_e32 v2, 0
	s_and_saveexec_b64 s[28:29], s[8:9]
	s_cbranch_execz .LBB395_286
; %bb.281:                              ;   in Loop: Header=BB395_10 Depth=1
	v_lshrrev_b32_e32 v30, 24, v28
	v_cmp_ne_u32_e64 s[8:9], s21, v30
	v_bfrev_b32_e32 v2, 1
	s_and_saveexec_b64 s[30:31], s[8:9]
	s_cbranch_execz .LBB395_285
; %bb.282:                              ;   in Loop: Header=BB395_10 Depth=1
	v_bfe_u32 v8, v28, 24, 7
	v_cmp_ne_u32_e64 s[8:9], s37, v8
	v_mov_b32_e32 v2, 0x7f800001
	s_and_saveexec_b64 s[34:35], s[8:9]
	s_cbranch_execz .LBB395_284
; %bb.283:                              ;   in Loop: Header=BB395_10 Depth=1
	v_and_b32_e32 v2, 7, v30
	v_lshrrev_b32_e32 v12, 3, v8
	v_cmp_gt_u32_e64 s[8:9], 8, v8
	v_ffbh_u32_e32 v8, v2
	v_min_u32_e32 v13, 32, v8
	v_subrev_u32_e32 v8, 28, v13
	v_lshlrev_b64 v[8:9], v8, v[30:31]
	v_sub_u32_e32 v9, 29, v13
	v_and_b32_e32 v8, 7, v8
	v_cndmask_b32_e64 v9, v12, v9, s[8:9]
	v_cndmask_b32_e64 v2, v2, v8, s[8:9]
	v_lshlrev_b32_e32 v8, 24, v30
	v_lshlrev_b32_e32 v2, 20, v2
	v_and_b32_e32 v8, 0x80000000, v8
	v_lshl_add_u32 v9, v9, 23, v40
	v_or3_b32 v2, v8, v9, v2
.LBB395_284:                            ;   in Loop: Header=BB395_10 Depth=1
	s_or_b64 exec, exec, s[34:35]
.LBB395_285:                            ;   in Loop: Header=BB395_10 Depth=1
	s_or_b64 exec, exec, s[30:31]
.LBB395_286:                            ;   in Loop: Header=BB395_10 Depth=1
	s_or_b64 exec, exec, s[28:29]
	v_mul_f32_e32 v8, v43, v2
	v_and_b32_e32 v2, 0x7f800000, v8
	v_cmp_ne_u32_e64 s[8:9], s38, v2
                                        ; implicit-def: $vgpr2
	s_and_saveexec_b64 s[28:29], s[8:9]
	s_xor_b64 s[8:9], exec, s[28:29]
; %bb.287:                              ;   in Loop: Header=BB395_10 Depth=1
	v_bfe_u32 v2, v8, 16, 1
	v_add3_u32 v2, v8, v2, s39
                                        ; implicit-def: $vgpr8
; %bb.288:                              ;   in Loop: Header=BB395_10 Depth=1
	s_andn2_saveexec_b64 s[28:29], s[8:9]
; %bb.289:                              ;   in Loop: Header=BB395_10 Depth=1
	v_or_b32_e32 v2, 0x10000, v8
	v_cmp_eq_u32_sdwa s[8:9], v8, v55 src0_sel:WORD_0 src1_sel:DWORD
	v_cndmask_b32_e64 v2, v2, v8, s[8:9]
; %bb.290:                              ;   in Loop: Header=BB395_10 Depth=1
	s_or_b64 exec, exec, s[28:29]
	flat_load_dword v28, v[20:21] offset:1544
	v_mov_b32_e32 v8, 0
	s_waitcnt vmcnt(0) lgkmcnt(0)
	v_cmp_ne_u16_sdwa s[8:9], v28, v55 src0_sel:BYTE_0 src1_sel:DWORD
	s_and_saveexec_b64 s[28:29], s[8:9]
	s_cbranch_execz .LBB395_296
; %bb.291:                              ;   in Loop: Header=BB395_10 Depth=1
	v_cmp_ne_u16_sdwa s[8:9], v28, s21 src0_sel:BYTE_0 src1_sel:DWORD
	v_bfrev_b32_e32 v8, 1
	s_and_saveexec_b64 s[30:31], s[8:9]
	s_cbranch_execz .LBB395_295
; %bb.292:                              ;   in Loop: Header=BB395_10 Depth=1
	v_and_b32_e32 v9, 0x7f, v28
	v_cmp_ne_u32_e64 s[8:9], s37, v9
	v_mov_b32_e32 v8, 0x7f800001
	s_and_saveexec_b64 s[34:35], s[8:9]
	s_cbranch_execz .LBB395_294
; %bb.293:                              ;   in Loop: Header=BB395_10 Depth=1
	v_and_b32_e32 v12, 7, v28
	v_ffbh_u32_e32 v8, v12
	v_min_u32_e32 v14, 32, v8
	v_subrev_u32_e32 v8, 28, v14
	v_lshrrev_b32_e32 v13, 3, v9
	v_cmp_gt_u32_e64 s[8:9], 8, v9
	v_lshlrev_b64 v[8:9], v8, v[28:29]
	v_sub_u32_e32 v9, 29, v14
	v_and_b32_e32 v8, 7, v8
	v_cndmask_b32_e64 v9, v13, v9, s[8:9]
	v_cndmask_b32_e64 v8, v12, v8, s[8:9]
	v_lshlrev_b32_e32 v12, 24, v28
	v_lshlrev_b32_e32 v8, 20, v8
	v_and_b32_e32 v12, 0x80000000, v12
	v_lshl_add_u32 v9, v9, 23, v40
	v_or3_b32 v8, v12, v9, v8
.LBB395_294:                            ;   in Loop: Header=BB395_10 Depth=1
	s_or_b64 exec, exec, s[34:35]
.LBB395_295:                            ;   in Loop: Header=BB395_10 Depth=1
	s_or_b64 exec, exec, s[30:31]
.LBB395_296:                            ;   in Loop: Header=BB395_10 Depth=1
	s_or_b64 exec, exec, s[28:29]
	v_mul_f32_e32 v8, v43, v8
	v_and_b32_e32 v9, 0x7f800000, v8
	v_cmp_ne_u32_e64 s[8:9], s38, v9
                                        ; implicit-def: $vgpr29
	s_and_saveexec_b64 s[28:29], s[8:9]
	s_xor_b64 s[8:9], exec, s[28:29]
; %bb.297:                              ;   in Loop: Header=BB395_10 Depth=1
	v_bfe_u32 v9, v8, 16, 1
	v_add3_u32 v29, v8, v9, s39
                                        ; implicit-def: $vgpr8
; %bb.298:                              ;   in Loop: Header=BB395_10 Depth=1
	s_andn2_saveexec_b64 s[28:29], s[8:9]
; %bb.299:                              ;   in Loop: Header=BB395_10 Depth=1
	v_or_b32_e32 v9, 0x10000, v8
	v_cmp_eq_u32_sdwa s[8:9], v8, v55 src0_sel:WORD_0 src1_sel:DWORD
	v_cndmask_b32_e64 v29, v9, v8, s[8:9]
; %bb.300:                              ;   in Loop: Header=BB395_10 Depth=1
	s_or_b64 exec, exec, s[28:29]
	v_lshrrev_b16_e32 v30, 8, v28
	v_cmp_ne_u16_e64 s[8:9], 0, v30
	v_mov_b32_e32 v8, 0
	s_and_saveexec_b64 s[28:29], s[8:9]
	s_cbranch_execz .LBB395_306
; %bb.301:                              ;   in Loop: Header=BB395_10 Depth=1
	v_cmp_ne_u16_e64 s[8:9], s21, v30
	v_bfrev_b32_e32 v8, 1
	s_and_saveexec_b64 s[30:31], s[8:9]
	s_cbranch_execz .LBB395_305
; %bb.302:                              ;   in Loop: Header=BB395_10 Depth=1
	v_and_b32_e32 v9, 0x7f, v30
	v_cmp_ne_u32_e64 s[8:9], s37, v9
	v_mov_b32_e32 v8, 0x7f800001
	s_and_saveexec_b64 s[34:35], s[8:9]
	s_cbranch_execz .LBB395_304
; %bb.303:                              ;   in Loop: Header=BB395_10 Depth=1
	v_and_b32_e32 v12, 7, v30
	v_ffbh_u32_e32 v8, v12
	v_min_u32_e32 v14, 32, v8
	v_subrev_u32_e32 v8, 28, v14
	v_lshrrev_b32_e32 v13, 3, v9
	v_cmp_gt_u32_e64 s[8:9], 8, v9
	v_lshlrev_b64 v[8:9], v8, v[30:31]
	v_sub_u32_e32 v9, 29, v14
	v_and_b32_e32 v8, 7, v8
	v_cndmask_b32_e64 v9, v13, v9, s[8:9]
	v_cndmask_b32_e64 v8, v12, v8, s[8:9]
	v_lshlrev_b32_e32 v12, 16, v28
	v_lshlrev_b32_e32 v8, 20, v8
	v_and_b32_e32 v12, 0x80000000, v12
	v_lshl_add_u32 v9, v9, 23, v40
	v_or3_b32 v8, v12, v9, v8
.LBB395_304:                            ;   in Loop: Header=BB395_10 Depth=1
	s_or_b64 exec, exec, s[34:35]
.LBB395_305:                            ;   in Loop: Header=BB395_10 Depth=1
	s_or_b64 exec, exec, s[30:31]
.LBB395_306:                            ;   in Loop: Header=BB395_10 Depth=1
	s_or_b64 exec, exec, s[28:29]
	v_mul_f32_e32 v8, v43, v8
	v_and_b32_e32 v9, 0x7f800000, v8
	v_cmp_ne_u32_e64 s[8:9], s38, v9
                                        ; implicit-def: $vgpr31
	s_and_saveexec_b64 s[28:29], s[8:9]
	s_xor_b64 s[8:9], exec, s[28:29]
; %bb.307:                              ;   in Loop: Header=BB395_10 Depth=1
	v_bfe_u32 v9, v8, 16, 1
	v_add3_u32 v31, v8, v9, s39
                                        ; implicit-def: $vgpr8
; %bb.308:                              ;   in Loop: Header=BB395_10 Depth=1
	s_andn2_saveexec_b64 s[28:29], s[8:9]
; %bb.309:                              ;   in Loop: Header=BB395_10 Depth=1
	v_or_b32_e32 v9, 0x10000, v8
	v_cmp_eq_u32_sdwa s[8:9], v8, v55 src0_sel:WORD_0 src1_sel:DWORD
	v_cndmask_b32_e64 v31, v9, v8, s[8:9]
; %bb.310:                              ;   in Loop: Header=BB395_10 Depth=1
	s_or_b64 exec, exec, s[28:29]
	v_lshrrev_b32_e32 v30, 16, v28
	v_cmp_ne_u16_sdwa s[8:9], v30, v55 src0_sel:BYTE_0 src1_sel:DWORD
	v_mov_b32_e32 v8, 0
	s_and_saveexec_b64 s[28:29], s[8:9]
	s_cbranch_execz .LBB395_316
; %bb.311:                              ;   in Loop: Header=BB395_10 Depth=1
	v_cmp_ne_u16_sdwa s[8:9], v30, s21 src0_sel:BYTE_0 src1_sel:DWORD
	v_bfrev_b32_e32 v8, 1
	s_and_saveexec_b64 s[30:31], s[8:9]
	s_cbranch_execz .LBB395_315
; %bb.312:                              ;   in Loop: Header=BB395_10 Depth=1
	v_bfe_u32 v9, v28, 16, 7
	v_cmp_ne_u32_e64 s[8:9], s37, v9
	v_mov_b32_e32 v8, 0x7f800001
	s_and_saveexec_b64 s[34:35], s[8:9]
	s_cbranch_execz .LBB395_314
; %bb.313:                              ;   in Loop: Header=BB395_10 Depth=1
	v_and_b32_e32 v12, 7, v30
	v_ffbh_u32_e32 v8, v12
	v_min_u32_e32 v14, 32, v8
	v_subrev_u32_e32 v8, 28, v14
	v_lshrrev_b32_e32 v13, 3, v9
	v_cmp_gt_u32_e64 s[8:9], 8, v9
	v_lshlrev_b64 v[8:9], v8, v[30:31]
	v_sub_u32_e32 v9, 29, v14
	v_and_b32_e32 v8, 7, v8
	v_cndmask_b32_e64 v9, v13, v9, s[8:9]
	v_cndmask_b32_e64 v8, v12, v8, s[8:9]
	v_lshlrev_b32_e32 v12, 24, v30
	v_lshlrev_b32_e32 v8, 20, v8
	v_and_b32_e32 v12, 0x80000000, v12
	v_lshl_add_u32 v9, v9, 23, v40
	v_or3_b32 v8, v12, v9, v8
.LBB395_314:                            ;   in Loop: Header=BB395_10 Depth=1
	s_or_b64 exec, exec, s[34:35]
.LBB395_315:                            ;   in Loop: Header=BB395_10 Depth=1
	s_or_b64 exec, exec, s[30:31]
.LBB395_316:                            ;   in Loop: Header=BB395_10 Depth=1
	s_or_b64 exec, exec, s[28:29]
	v_mul_f32_e32 v8, v43, v8
	v_and_b32_e32 v9, 0x7f800000, v8
	v_cmp_ne_u32_e64 s[8:9], s38, v9
                                        ; implicit-def: $vgpr26
	s_and_saveexec_b64 s[28:29], s[8:9]
	s_xor_b64 s[8:9], exec, s[28:29]
; %bb.317:                              ;   in Loop: Header=BB395_10 Depth=1
	v_bfe_u32 v9, v8, 16, 1
	v_add3_u32 v26, v8, v9, s39
                                        ; implicit-def: $vgpr8
; %bb.318:                              ;   in Loop: Header=BB395_10 Depth=1
	s_andn2_saveexec_b64 s[28:29], s[8:9]
; %bb.319:                              ;   in Loop: Header=BB395_10 Depth=1
	v_or_b32_e32 v9, 0x10000, v8
	v_cmp_eq_u32_sdwa s[8:9], v8, v55 src0_sel:WORD_0 src1_sel:DWORD
	v_cndmask_b32_e64 v26, v9, v8, s[8:9]
; %bb.320:                              ;   in Loop: Header=BB395_10 Depth=1
	s_or_b64 exec, exec, s[28:29]
	v_cmp_lt_u32_e64 s[8:9], s40, v28
	v_mov_b32_e32 v8, 0
	s_and_saveexec_b64 s[28:29], s[8:9]
	s_cbranch_execz .LBB395_326
; %bb.321:                              ;   in Loop: Header=BB395_10 Depth=1
	v_lshrrev_b32_e32 v30, 24, v28
	v_cmp_ne_u32_e64 s[8:9], s21, v30
	v_bfrev_b32_e32 v8, 1
	s_and_saveexec_b64 s[30:31], s[8:9]
	s_cbranch_execz .LBB395_325
; %bb.322:                              ;   in Loop: Header=BB395_10 Depth=1
	v_bfe_u32 v9, v28, 24, 7
	v_cmp_ne_u32_e64 s[8:9], s37, v9
	v_mov_b32_e32 v8, 0x7f800001
	s_and_saveexec_b64 s[34:35], s[8:9]
	s_cbranch_execz .LBB395_324
; %bb.323:                              ;   in Loop: Header=BB395_10 Depth=1
	v_and_b32_e32 v12, 7, v30
	v_ffbh_u32_e32 v8, v12
	v_min_u32_e32 v14, 32, v8
	v_subrev_u32_e32 v8, 28, v14
	v_lshrrev_b32_e32 v13, 3, v9
	v_cmp_gt_u32_e64 s[8:9], 8, v9
	v_lshlrev_b64 v[8:9], v8, v[30:31]
	v_sub_u32_e32 v9, 29, v14
	v_and_b32_e32 v8, 7, v8
	v_cndmask_b32_e64 v9, v13, v9, s[8:9]
	v_cndmask_b32_e64 v8, v12, v8, s[8:9]
	v_lshlrev_b32_e32 v12, 24, v30
	v_lshlrev_b32_e32 v8, 20, v8
	v_and_b32_e32 v12, 0x80000000, v12
	v_lshl_add_u32 v9, v9, 23, v40
	v_or3_b32 v8, v12, v9, v8
.LBB395_324:                            ;   in Loop: Header=BB395_10 Depth=1
	s_or_b64 exec, exec, s[34:35]
.LBB395_325:                            ;   in Loop: Header=BB395_10 Depth=1
	s_or_b64 exec, exec, s[30:31]
.LBB395_326:                            ;   in Loop: Header=BB395_10 Depth=1
	s_or_b64 exec, exec, s[28:29]
	v_mul_f32_e32 v8, v43, v8
	v_and_b32_e32 v9, 0x7f800000, v8
	v_cmp_ne_u32_e64 s[8:9], s38, v9
                                        ; implicit-def: $vgpr27
	s_and_saveexec_b64 s[28:29], s[8:9]
	s_xor_b64 s[8:9], exec, s[28:29]
; %bb.327:                              ;   in Loop: Header=BB395_10 Depth=1
	v_bfe_u32 v9, v8, 16, 1
	v_add3_u32 v27, v8, v9, s39
                                        ; implicit-def: $vgpr8
; %bb.328:                              ;   in Loop: Header=BB395_10 Depth=1
	s_andn2_saveexec_b64 s[28:29], s[8:9]
; %bb.329:                              ;   in Loop: Header=BB395_10 Depth=1
	v_or_b32_e32 v9, 0x10000, v8
	v_cmp_eq_u32_sdwa s[8:9], v8, v55 src0_sel:WORD_0 src1_sel:DWORD
	v_cndmask_b32_e64 v27, v9, v8, s[8:9]
; %bb.330:                              ;   in Loop: Header=BB395_10 Depth=1
	s_or_b64 exec, exec, s[28:29]
	flat_load_dword v28, v[20:21] offset:2048
	v_mov_b32_e32 v8, 0
	s_waitcnt vmcnt(0) lgkmcnt(0)
	v_cmp_ne_u16_sdwa s[8:9], v28, v55 src0_sel:BYTE_0 src1_sel:DWORD
	s_and_saveexec_b64 s[28:29], s[8:9]
	s_cbranch_execz .LBB395_336
; %bb.331:                              ;   in Loop: Header=BB395_10 Depth=1
	v_cmp_ne_u16_sdwa s[8:9], v28, s21 src0_sel:BYTE_0 src1_sel:DWORD
	v_bfrev_b32_e32 v8, 1
	s_and_saveexec_b64 s[30:31], s[8:9]
	s_cbranch_execz .LBB395_335
; %bb.332:                              ;   in Loop: Header=BB395_10 Depth=1
	v_and_b32_e32 v9, 0x7f, v28
	v_cmp_ne_u32_e64 s[8:9], s37, v9
	v_mov_b32_e32 v8, 0x7f800001
	s_and_saveexec_b64 s[34:35], s[8:9]
	s_cbranch_execz .LBB395_334
; %bb.333:                              ;   in Loop: Header=BB395_10 Depth=1
	v_and_b32_e32 v12, 7, v28
	v_ffbh_u32_e32 v8, v12
	v_min_u32_e32 v14, 32, v8
	v_subrev_u32_e32 v8, 28, v14
	v_lshrrev_b32_e32 v13, 3, v9
	v_cmp_gt_u32_e64 s[8:9], 8, v9
	v_lshlrev_b64 v[8:9], v8, v[28:29]
	v_sub_u32_e32 v9, 29, v14
	v_and_b32_e32 v8, 7, v8
	v_cndmask_b32_e64 v9, v13, v9, s[8:9]
	v_cndmask_b32_e64 v8, v12, v8, s[8:9]
	v_lshlrev_b32_e32 v12, 24, v28
	v_lshlrev_b32_e32 v8, 20, v8
	v_and_b32_e32 v12, 0x80000000, v12
	v_lshl_add_u32 v9, v9, 23, v40
	v_or3_b32 v8, v12, v9, v8
.LBB395_334:                            ;   in Loop: Header=BB395_10 Depth=1
	s_or_b64 exec, exec, s[34:35]
.LBB395_335:                            ;   in Loop: Header=BB395_10 Depth=1
	s_or_b64 exec, exec, s[30:31]
.LBB395_336:                            ;   in Loop: Header=BB395_10 Depth=1
	s_or_b64 exec, exec, s[28:29]
	v_mul_f32_e32 v8, v43, v8
	v_and_b32_e32 v9, 0x7f800000, v8
	v_cmp_ne_u32_e64 s[8:9], s38, v9
                                        ; implicit-def: $vgpr48
	s_and_saveexec_b64 s[28:29], s[8:9]
	s_xor_b64 s[8:9], exec, s[28:29]
; %bb.337:                              ;   in Loop: Header=BB395_10 Depth=1
	v_bfe_u32 v9, v8, 16, 1
	v_add3_u32 v48, v8, v9, s39
                                        ; implicit-def: $vgpr8
; %bb.338:                              ;   in Loop: Header=BB395_10 Depth=1
	s_andn2_saveexec_b64 s[28:29], s[8:9]
; %bb.339:                              ;   in Loop: Header=BB395_10 Depth=1
	v_or_b32_e32 v9, 0x10000, v8
	v_cmp_eq_u32_sdwa s[8:9], v8, v55 src0_sel:WORD_0 src1_sel:DWORD
	v_cndmask_b32_e64 v48, v9, v8, s[8:9]
; %bb.340:                              ;   in Loop: Header=BB395_10 Depth=1
	s_or_b64 exec, exec, s[28:29]
	v_lshrrev_b16_e32 v30, 8, v28
	v_cmp_ne_u16_e64 s[8:9], 0, v30
	v_mov_b32_e32 v8, 0
	s_and_saveexec_b64 s[28:29], s[8:9]
	s_cbranch_execz .LBB395_346
; %bb.341:                              ;   in Loop: Header=BB395_10 Depth=1
	v_cmp_ne_u16_e64 s[8:9], s21, v30
	v_bfrev_b32_e32 v8, 1
	s_and_saveexec_b64 s[30:31], s[8:9]
	s_cbranch_execz .LBB395_345
; %bb.342:                              ;   in Loop: Header=BB395_10 Depth=1
	v_and_b32_e32 v9, 0x7f, v30
	v_cmp_ne_u32_e64 s[8:9], s37, v9
	v_mov_b32_e32 v8, 0x7f800001
	s_and_saveexec_b64 s[34:35], s[8:9]
	s_cbranch_execz .LBB395_344
; %bb.343:                              ;   in Loop: Header=BB395_10 Depth=1
	v_and_b32_e32 v12, 7, v30
	v_ffbh_u32_e32 v8, v12
	v_min_u32_e32 v14, 32, v8
	v_subrev_u32_e32 v8, 28, v14
	v_lshrrev_b32_e32 v13, 3, v9
	v_cmp_gt_u32_e64 s[8:9], 8, v9
	v_lshlrev_b64 v[8:9], v8, v[30:31]
	v_sub_u32_e32 v9, 29, v14
	v_and_b32_e32 v8, 7, v8
	v_cndmask_b32_e64 v9, v13, v9, s[8:9]
	v_cndmask_b32_e64 v8, v12, v8, s[8:9]
	v_lshlrev_b32_e32 v12, 16, v28
	v_lshlrev_b32_e32 v8, 20, v8
	v_and_b32_e32 v12, 0x80000000, v12
	v_lshl_add_u32 v9, v9, 23, v40
	v_or3_b32 v8, v12, v9, v8
.LBB395_344:                            ;   in Loop: Header=BB395_10 Depth=1
	s_or_b64 exec, exec, s[34:35]
.LBB395_345:                            ;   in Loop: Header=BB395_10 Depth=1
	s_or_b64 exec, exec, s[30:31]
.LBB395_346:                            ;   in Loop: Header=BB395_10 Depth=1
	s_or_b64 exec, exec, s[28:29]
	v_mul_f32_e32 v8, v43, v8
	v_and_b32_e32 v9, 0x7f800000, v8
	v_cmp_ne_u32_e64 s[8:9], s38, v9
                                        ; implicit-def: $vgpr15
	s_and_saveexec_b64 s[28:29], s[8:9]
	s_xor_b64 s[8:9], exec, s[28:29]
; %bb.347:                              ;   in Loop: Header=BB395_10 Depth=1
	v_bfe_u32 v9, v8, 16, 1
	v_add3_u32 v15, v8, v9, s39
                                        ; implicit-def: $vgpr8
; %bb.348:                              ;   in Loop: Header=BB395_10 Depth=1
	s_andn2_saveexec_b64 s[28:29], s[8:9]
; %bb.349:                              ;   in Loop: Header=BB395_10 Depth=1
	v_or_b32_e32 v9, 0x10000, v8
	v_cmp_eq_u32_sdwa s[8:9], v8, v55 src0_sel:WORD_0 src1_sel:DWORD
	v_cndmask_b32_e64 v15, v9, v8, s[8:9]
; %bb.350:                              ;   in Loop: Header=BB395_10 Depth=1
	s_or_b64 exec, exec, s[28:29]
	v_lshrrev_b32_e32 v30, 16, v28
	v_cmp_ne_u16_sdwa s[8:9], v30, v55 src0_sel:BYTE_0 src1_sel:DWORD
	v_mov_b32_e32 v8, 0
	s_and_saveexec_b64 s[28:29], s[8:9]
	s_cbranch_execz .LBB395_356
; %bb.351:                              ;   in Loop: Header=BB395_10 Depth=1
	v_cmp_ne_u16_sdwa s[8:9], v30, s21 src0_sel:BYTE_0 src1_sel:DWORD
	v_bfrev_b32_e32 v8, 1
	s_and_saveexec_b64 s[30:31], s[8:9]
	s_cbranch_execz .LBB395_355
; %bb.352:                              ;   in Loop: Header=BB395_10 Depth=1
	v_bfe_u32 v9, v28, 16, 7
	v_cmp_ne_u32_e64 s[8:9], s37, v9
	v_mov_b32_e32 v8, 0x7f800001
	s_and_saveexec_b64 s[34:35], s[8:9]
	s_cbranch_execz .LBB395_354
; %bb.353:                              ;   in Loop: Header=BB395_10 Depth=1
	v_and_b32_e32 v12, 7, v30
	v_ffbh_u32_e32 v8, v12
	v_min_u32_e32 v14, 32, v8
	v_subrev_u32_e32 v8, 28, v14
	v_lshrrev_b32_e32 v13, 3, v9
	v_cmp_gt_u32_e64 s[8:9], 8, v9
	v_lshlrev_b64 v[8:9], v8, v[30:31]
	v_sub_u32_e32 v9, 29, v14
	v_and_b32_e32 v8, 7, v8
	v_cndmask_b32_e64 v9, v13, v9, s[8:9]
	v_cndmask_b32_e64 v8, v12, v8, s[8:9]
	v_lshlrev_b32_e32 v12, 24, v30
	v_lshlrev_b32_e32 v8, 20, v8
	v_and_b32_e32 v12, 0x80000000, v12
	v_lshl_add_u32 v9, v9, 23, v40
	v_or3_b32 v8, v12, v9, v8
.LBB395_354:                            ;   in Loop: Header=BB395_10 Depth=1
	s_or_b64 exec, exec, s[34:35]
.LBB395_355:                            ;   in Loop: Header=BB395_10 Depth=1
	s_or_b64 exec, exec, s[30:31]
.LBB395_356:                            ;   in Loop: Header=BB395_10 Depth=1
	s_or_b64 exec, exec, s[28:29]
	v_mul_f32_e32 v8, v43, v8
	v_and_b32_e32 v9, 0x7f800000, v8
	v_cmp_ne_u32_e64 s[8:9], s38, v9
                                        ; implicit-def: $vgpr14
	s_and_saveexec_b64 s[28:29], s[8:9]
	s_xor_b64 s[8:9], exec, s[28:29]
; %bb.357:                              ;   in Loop: Header=BB395_10 Depth=1
	v_bfe_u32 v9, v8, 16, 1
	v_add3_u32 v14, v8, v9, s39
                                        ; implicit-def: $vgpr8
; %bb.358:                              ;   in Loop: Header=BB395_10 Depth=1
	s_andn2_saveexec_b64 s[28:29], s[8:9]
; %bb.359:                              ;   in Loop: Header=BB395_10 Depth=1
	v_or_b32_e32 v9, 0x10000, v8
	v_cmp_eq_u32_sdwa s[8:9], v8, v55 src0_sel:WORD_0 src1_sel:DWORD
	v_cndmask_b32_e64 v14, v9, v8, s[8:9]
; %bb.360:                              ;   in Loop: Header=BB395_10 Depth=1
	s_or_b64 exec, exec, s[28:29]
	v_cmp_lt_u32_e64 s[8:9], s40, v28
	v_mov_b32_e32 v8, 0
	s_and_saveexec_b64 s[28:29], s[8:9]
	s_cbranch_execz .LBB395_366
; %bb.361:                              ;   in Loop: Header=BB395_10 Depth=1
	v_lshrrev_b32_e32 v30, 24, v28
	v_cmp_ne_u32_e64 s[8:9], s21, v30
	v_bfrev_b32_e32 v8, 1
	s_and_saveexec_b64 s[30:31], s[8:9]
	s_cbranch_execz .LBB395_365
; %bb.362:                              ;   in Loop: Header=BB395_10 Depth=1
	v_bfe_u32 v9, v28, 24, 7
	v_cmp_ne_u32_e64 s[8:9], s37, v9
	v_mov_b32_e32 v8, 0x7f800001
	s_and_saveexec_b64 s[34:35], s[8:9]
	s_cbranch_execz .LBB395_364
; %bb.363:                              ;   in Loop: Header=BB395_10 Depth=1
	v_and_b32_e32 v12, 7, v30
	v_ffbh_u32_e32 v8, v12
	v_min_u32_e32 v23, 32, v8
	v_subrev_u32_e32 v8, 28, v23
	v_lshrrev_b32_e32 v13, 3, v9
	v_cmp_gt_u32_e64 s[8:9], 8, v9
	v_lshlrev_b64 v[8:9], v8, v[30:31]
	v_sub_u32_e32 v9, 29, v23
	v_and_b32_e32 v8, 7, v8
	v_cndmask_b32_e64 v9, v13, v9, s[8:9]
	v_cndmask_b32_e64 v8, v12, v8, s[8:9]
	v_lshlrev_b32_e32 v12, 24, v30
	v_lshlrev_b32_e32 v8, 20, v8
	v_and_b32_e32 v12, 0x80000000, v12
	v_lshl_add_u32 v9, v9, 23, v40
	v_or3_b32 v8, v12, v9, v8
.LBB395_364:                            ;   in Loop: Header=BB395_10 Depth=1
	s_or_b64 exec, exec, s[34:35]
.LBB395_365:                            ;   in Loop: Header=BB395_10 Depth=1
	s_or_b64 exec, exec, s[30:31]
.LBB395_366:                            ;   in Loop: Header=BB395_10 Depth=1
	s_or_b64 exec, exec, s[28:29]
	v_mul_f32_e32 v8, v43, v8
	v_and_b32_e32 v9, 0x7f800000, v8
	v_cmp_ne_u32_e64 s[8:9], s38, v9
                                        ; implicit-def: $vgpr23
	s_and_saveexec_b64 s[28:29], s[8:9]
	s_xor_b64 s[8:9], exec, s[28:29]
; %bb.367:                              ;   in Loop: Header=BB395_10 Depth=1
	v_bfe_u32 v9, v8, 16, 1
	v_add3_u32 v23, v8, v9, s39
                                        ; implicit-def: $vgpr8
; %bb.368:                              ;   in Loop: Header=BB395_10 Depth=1
	s_andn2_saveexec_b64 s[28:29], s[8:9]
; %bb.369:                              ;   in Loop: Header=BB395_10 Depth=1
	v_or_b32_e32 v9, 0x10000, v8
	v_cmp_eq_u32_sdwa s[8:9], v8, v55 src0_sel:WORD_0 src1_sel:DWORD
	v_cndmask_b32_e64 v23, v9, v8, s[8:9]
; %bb.370:                              ;   in Loop: Header=BB395_10 Depth=1
	s_or_b64 exec, exec, s[28:29]
	flat_load_dword v28, v[20:21] offset:2056
	v_mov_b32_e32 v8, 0
	s_waitcnt vmcnt(0) lgkmcnt(0)
	v_cmp_ne_u16_sdwa s[8:9], v28, v55 src0_sel:BYTE_0 src1_sel:DWORD
	s_and_saveexec_b64 s[28:29], s[8:9]
	s_cbranch_execz .LBB395_376
; %bb.371:                              ;   in Loop: Header=BB395_10 Depth=1
	v_cmp_ne_u16_sdwa s[8:9], v28, s21 src0_sel:BYTE_0 src1_sel:DWORD
	v_bfrev_b32_e32 v8, 1
	s_and_saveexec_b64 s[30:31], s[8:9]
	s_cbranch_execz .LBB395_375
; %bb.372:                              ;   in Loop: Header=BB395_10 Depth=1
	v_and_b32_e32 v9, 0x7f, v28
	v_cmp_ne_u32_e64 s[8:9], s37, v9
	v_mov_b32_e32 v8, 0x7f800001
	s_and_saveexec_b64 s[34:35], s[8:9]
	s_cbranch_execz .LBB395_374
; %bb.373:                              ;   in Loop: Header=BB395_10 Depth=1
	v_and_b32_e32 v12, 7, v28
	v_ffbh_u32_e32 v8, v12
	v_min_u32_e32 v24, 32, v8
	v_subrev_u32_e32 v8, 28, v24
	v_lshrrev_b32_e32 v13, 3, v9
	v_cmp_gt_u32_e64 s[8:9], 8, v9
	v_lshlrev_b64 v[8:9], v8, v[28:29]
	v_sub_u32_e32 v9, 29, v24
	v_and_b32_e32 v8, 7, v8
	v_cndmask_b32_e64 v9, v13, v9, s[8:9]
	v_cndmask_b32_e64 v8, v12, v8, s[8:9]
	v_lshlrev_b32_e32 v12, 24, v28
	v_lshlrev_b32_e32 v8, 20, v8
	v_and_b32_e32 v12, 0x80000000, v12
	v_lshl_add_u32 v9, v9, 23, v40
	v_or3_b32 v8, v12, v9, v8
.LBB395_374:                            ;   in Loop: Header=BB395_10 Depth=1
	s_or_b64 exec, exec, s[34:35]
.LBB395_375:                            ;   in Loop: Header=BB395_10 Depth=1
	s_or_b64 exec, exec, s[30:31]
.LBB395_376:                            ;   in Loop: Header=BB395_10 Depth=1
	s_or_b64 exec, exec, s[28:29]
	v_mul_f32_e32 v8, v43, v8
	v_and_b32_e32 v9, 0x7f800000, v8
	v_cmp_ne_u32_e64 s[8:9], s38, v9
                                        ; implicit-def: $vgpr49
	s_and_saveexec_b64 s[28:29], s[8:9]
	s_xor_b64 s[8:9], exec, s[28:29]
; %bb.377:                              ;   in Loop: Header=BB395_10 Depth=1
	v_bfe_u32 v9, v8, 16, 1
	v_add3_u32 v49, v8, v9, s39
                                        ; implicit-def: $vgpr8
; %bb.378:                              ;   in Loop: Header=BB395_10 Depth=1
	s_andn2_saveexec_b64 s[28:29], s[8:9]
; %bb.379:                              ;   in Loop: Header=BB395_10 Depth=1
	v_or_b32_e32 v9, 0x10000, v8
	v_cmp_eq_u32_sdwa s[8:9], v8, v55 src0_sel:WORD_0 src1_sel:DWORD
	v_cndmask_b32_e64 v49, v9, v8, s[8:9]
; %bb.380:                              ;   in Loop: Header=BB395_10 Depth=1
	s_or_b64 exec, exec, s[28:29]
	v_lshrrev_b16_e32 v30, 8, v28
	v_cmp_ne_u16_e64 s[8:9], 0, v30
	v_mov_b32_e32 v8, 0
	s_and_saveexec_b64 s[28:29], s[8:9]
	s_cbranch_execz .LBB395_386
; %bb.381:                              ;   in Loop: Header=BB395_10 Depth=1
	v_cmp_ne_u16_e64 s[8:9], s21, v30
	v_bfrev_b32_e32 v8, 1
	s_and_saveexec_b64 s[30:31], s[8:9]
	s_cbranch_execz .LBB395_385
; %bb.382:                              ;   in Loop: Header=BB395_10 Depth=1
	v_and_b32_e32 v9, 0x7f, v30
	v_cmp_ne_u32_e64 s[8:9], s37, v9
	v_mov_b32_e32 v8, 0x7f800001
	s_and_saveexec_b64 s[34:35], s[8:9]
	s_cbranch_execz .LBB395_384
; %bb.383:                              ;   in Loop: Header=BB395_10 Depth=1
	v_and_b32_e32 v12, 7, v30
	v_ffbh_u32_e32 v8, v12
	v_min_u32_e32 v24, 32, v8
	v_subrev_u32_e32 v8, 28, v24
	v_lshrrev_b32_e32 v13, 3, v9
	v_cmp_gt_u32_e64 s[8:9], 8, v9
	v_lshlrev_b64 v[8:9], v8, v[30:31]
	v_sub_u32_e32 v9, 29, v24
	v_and_b32_e32 v8, 7, v8
	v_cndmask_b32_e64 v9, v13, v9, s[8:9]
	v_cndmask_b32_e64 v8, v12, v8, s[8:9]
	v_lshlrev_b32_e32 v12, 16, v28
	v_lshlrev_b32_e32 v8, 20, v8
	v_and_b32_e32 v12, 0x80000000, v12
	v_lshl_add_u32 v9, v9, 23, v40
	v_or3_b32 v8, v12, v9, v8
.LBB395_384:                            ;   in Loop: Header=BB395_10 Depth=1
	s_or_b64 exec, exec, s[34:35]
.LBB395_385:                            ;   in Loop: Header=BB395_10 Depth=1
	s_or_b64 exec, exec, s[30:31]
.LBB395_386:                            ;   in Loop: Header=BB395_10 Depth=1
	s_or_b64 exec, exec, s[28:29]
	v_mul_f32_e32 v8, v43, v8
	v_and_b32_e32 v9, 0x7f800000, v8
	v_cmp_ne_u32_e64 s[8:9], s38, v9
                                        ; implicit-def: $vgpr50
	s_and_saveexec_b64 s[28:29], s[8:9]
	s_xor_b64 s[8:9], exec, s[28:29]
; %bb.387:                              ;   in Loop: Header=BB395_10 Depth=1
	v_bfe_u32 v9, v8, 16, 1
	v_add3_u32 v50, v8, v9, s39
                                        ; implicit-def: $vgpr8
; %bb.388:                              ;   in Loop: Header=BB395_10 Depth=1
	s_andn2_saveexec_b64 s[28:29], s[8:9]
; %bb.389:                              ;   in Loop: Header=BB395_10 Depth=1
	v_or_b32_e32 v9, 0x10000, v8
	v_cmp_eq_u32_sdwa s[8:9], v8, v55 src0_sel:WORD_0 src1_sel:DWORD
	v_cndmask_b32_e64 v50, v9, v8, s[8:9]
; %bb.390:                              ;   in Loop: Header=BB395_10 Depth=1
	s_or_b64 exec, exec, s[28:29]
	v_lshrrev_b32_e32 v30, 16, v28
	v_cmp_ne_u16_sdwa s[8:9], v30, v55 src0_sel:BYTE_0 src1_sel:DWORD
	v_mov_b32_e32 v8, 0
	s_and_saveexec_b64 s[28:29], s[8:9]
	s_cbranch_execz .LBB395_396
; %bb.391:                              ;   in Loop: Header=BB395_10 Depth=1
	v_cmp_ne_u16_sdwa s[8:9], v30, s21 src0_sel:BYTE_0 src1_sel:DWORD
	v_bfrev_b32_e32 v8, 1
	s_and_saveexec_b64 s[30:31], s[8:9]
	s_cbranch_execz .LBB395_395
; %bb.392:                              ;   in Loop: Header=BB395_10 Depth=1
	v_bfe_u32 v9, v28, 16, 7
	v_cmp_ne_u32_e64 s[8:9], s37, v9
	v_mov_b32_e32 v8, 0x7f800001
	s_and_saveexec_b64 s[34:35], s[8:9]
	s_cbranch_execz .LBB395_394
; %bb.393:                              ;   in Loop: Header=BB395_10 Depth=1
	v_and_b32_e32 v12, 7, v30
	v_ffbh_u32_e32 v8, v12
	v_min_u32_e32 v24, 32, v8
	v_subrev_u32_e32 v8, 28, v24
	v_lshrrev_b32_e32 v13, 3, v9
	v_cmp_gt_u32_e64 s[8:9], 8, v9
	v_lshlrev_b64 v[8:9], v8, v[30:31]
	v_sub_u32_e32 v9, 29, v24
	v_and_b32_e32 v8, 7, v8
	v_cndmask_b32_e64 v9, v13, v9, s[8:9]
	v_cndmask_b32_e64 v8, v12, v8, s[8:9]
	v_lshlrev_b32_e32 v12, 24, v30
	v_lshlrev_b32_e32 v8, 20, v8
	v_and_b32_e32 v12, 0x80000000, v12
	v_lshl_add_u32 v9, v9, 23, v40
	v_or3_b32 v8, v12, v9, v8
.LBB395_394:                            ;   in Loop: Header=BB395_10 Depth=1
	s_or_b64 exec, exec, s[34:35]
.LBB395_395:                            ;   in Loop: Header=BB395_10 Depth=1
	s_or_b64 exec, exec, s[30:31]
.LBB395_396:                            ;   in Loop: Header=BB395_10 Depth=1
	s_or_b64 exec, exec, s[28:29]
	v_mul_f32_e32 v8, v43, v8
	v_and_b32_e32 v9, 0x7f800000, v8
	v_cmp_ne_u32_e64 s[8:9], s38, v9
                                        ; implicit-def: $vgpr52
	s_and_saveexec_b64 s[28:29], s[8:9]
	s_xor_b64 s[8:9], exec, s[28:29]
; %bb.397:                              ;   in Loop: Header=BB395_10 Depth=1
	v_bfe_u32 v9, v8, 16, 1
	v_add3_u32 v52, v8, v9, s39
                                        ; implicit-def: $vgpr8
; %bb.398:                              ;   in Loop: Header=BB395_10 Depth=1
	s_andn2_saveexec_b64 s[28:29], s[8:9]
; %bb.399:                              ;   in Loop: Header=BB395_10 Depth=1
	v_or_b32_e32 v9, 0x10000, v8
	v_cmp_eq_u32_sdwa s[8:9], v8, v55 src0_sel:WORD_0 src1_sel:DWORD
	v_cndmask_b32_e64 v52, v9, v8, s[8:9]
; %bb.400:                              ;   in Loop: Header=BB395_10 Depth=1
	s_or_b64 exec, exec, s[28:29]
	v_cmp_lt_u32_e64 s[8:9], s40, v28
	v_mov_b32_e32 v8, 0
	s_and_saveexec_b64 s[28:29], s[8:9]
	s_cbranch_execz .LBB395_406
; %bb.401:                              ;   in Loop: Header=BB395_10 Depth=1
	v_lshrrev_b32_e32 v30, 24, v28
	v_cmp_ne_u32_e64 s[8:9], s21, v30
	v_bfrev_b32_e32 v8, 1
	s_and_saveexec_b64 s[30:31], s[8:9]
	s_cbranch_execz .LBB395_405
; %bb.402:                              ;   in Loop: Header=BB395_10 Depth=1
	v_bfe_u32 v9, v28, 24, 7
	v_cmp_ne_u32_e64 s[8:9], s37, v9
	v_mov_b32_e32 v8, 0x7f800001
	s_and_saveexec_b64 s[34:35], s[8:9]
	s_cbranch_execz .LBB395_404
; %bb.403:                              ;   in Loop: Header=BB395_10 Depth=1
	v_and_b32_e32 v12, 7, v30
	v_ffbh_u32_e32 v8, v12
	v_min_u32_e32 v24, 32, v8
	v_subrev_u32_e32 v8, 28, v24
	v_lshrrev_b32_e32 v13, 3, v9
	v_cmp_gt_u32_e64 s[8:9], 8, v9
	v_lshlrev_b64 v[8:9], v8, v[30:31]
	v_sub_u32_e32 v9, 29, v24
	v_and_b32_e32 v8, 7, v8
	v_cndmask_b32_e64 v9, v13, v9, s[8:9]
	v_cndmask_b32_e64 v8, v12, v8, s[8:9]
	v_lshlrev_b32_e32 v12, 24, v30
	v_lshlrev_b32_e32 v8, 20, v8
	v_and_b32_e32 v12, 0x80000000, v12
	v_lshl_add_u32 v9, v9, 23, v40
	v_or3_b32 v8, v12, v9, v8
.LBB395_404:                            ;   in Loop: Header=BB395_10 Depth=1
	s_or_b64 exec, exec, s[34:35]
.LBB395_405:                            ;   in Loop: Header=BB395_10 Depth=1
	s_or_b64 exec, exec, s[30:31]
.LBB395_406:                            ;   in Loop: Header=BB395_10 Depth=1
	s_or_b64 exec, exec, s[28:29]
	v_mul_f32_e32 v8, v43, v8
	v_and_b32_e32 v9, 0x7f800000, v8
	v_cmp_ne_u32_e64 s[8:9], s38, v9
                                        ; implicit-def: $vgpr12
	s_and_saveexec_b64 s[28:29], s[8:9]
	s_xor_b64 s[8:9], exec, s[28:29]
; %bb.407:                              ;   in Loop: Header=BB395_10 Depth=1
	v_bfe_u32 v9, v8, 16, 1
	v_add3_u32 v12, v8, v9, s39
                                        ; implicit-def: $vgpr8
; %bb.408:                              ;   in Loop: Header=BB395_10 Depth=1
	s_andn2_saveexec_b64 s[28:29], s[8:9]
; %bb.409:                              ;   in Loop: Header=BB395_10 Depth=1
	v_or_b32_e32 v9, 0x10000, v8
	v_cmp_eq_u32_sdwa s[8:9], v8, v55 src0_sel:WORD_0 src1_sel:DWORD
	v_cndmask_b32_e64 v12, v9, v8, s[8:9]
; %bb.410:                              ;   in Loop: Header=BB395_10 Depth=1
	s_or_b64 exec, exec, s[28:29]
	flat_load_dword v28, v[20:21] offset:2560
	v_mov_b32_e32 v8, 0
	s_waitcnt vmcnt(0) lgkmcnt(0)
	v_cmp_ne_u16_sdwa s[8:9], v28, v55 src0_sel:BYTE_0 src1_sel:DWORD
	s_and_saveexec_b64 s[28:29], s[8:9]
	s_cbranch_execz .LBB395_416
; %bb.411:                              ;   in Loop: Header=BB395_10 Depth=1
	v_cmp_ne_u16_sdwa s[8:9], v28, s21 src0_sel:BYTE_0 src1_sel:DWORD
	v_bfrev_b32_e32 v8, 1
	s_and_saveexec_b64 s[30:31], s[8:9]
	s_cbranch_execz .LBB395_415
; %bb.412:                              ;   in Loop: Header=BB395_10 Depth=1
	v_and_b32_e32 v9, 0x7f, v28
	v_cmp_ne_u32_e64 s[8:9], s37, v9
	v_mov_b32_e32 v8, 0x7f800001
	s_and_saveexec_b64 s[34:35], s[8:9]
	s_cbranch_execz .LBB395_414
; %bb.413:                              ;   in Loop: Header=BB395_10 Depth=1
	v_and_b32_e32 v13, 7, v28
	v_ffbh_u32_e32 v8, v13
	v_min_u32_e32 v25, 32, v8
	v_subrev_u32_e32 v8, 28, v25
	v_lshrrev_b32_e32 v24, 3, v9
	v_cmp_gt_u32_e64 s[8:9], 8, v9
	v_lshlrev_b64 v[8:9], v8, v[28:29]
	v_sub_u32_e32 v9, 29, v25
	v_and_b32_e32 v8, 7, v8
	v_cndmask_b32_e64 v9, v24, v9, s[8:9]
	v_cndmask_b32_e64 v8, v13, v8, s[8:9]
	v_lshlrev_b32_e32 v13, 24, v28
	v_lshlrev_b32_e32 v8, 20, v8
	v_and_b32_e32 v13, 0x80000000, v13
	v_lshl_add_u32 v9, v9, 23, v40
	v_or3_b32 v8, v13, v9, v8
.LBB395_414:                            ;   in Loop: Header=BB395_10 Depth=1
	s_or_b64 exec, exec, s[34:35]
.LBB395_415:                            ;   in Loop: Header=BB395_10 Depth=1
	s_or_b64 exec, exec, s[30:31]
.LBB395_416:                            ;   in Loop: Header=BB395_10 Depth=1
	s_or_b64 exec, exec, s[28:29]
	v_mul_f32_e32 v8, v43, v8
	v_and_b32_e32 v9, 0x7f800000, v8
	v_cmp_ne_u32_e64 s[8:9], s38, v9
                                        ; implicit-def: $vgpr33
	s_and_saveexec_b64 s[28:29], s[8:9]
	s_xor_b64 s[8:9], exec, s[28:29]
; %bb.417:                              ;   in Loop: Header=BB395_10 Depth=1
	v_bfe_u32 v9, v8, 16, 1
	v_add3_u32 v33, v8, v9, s39
                                        ; implicit-def: $vgpr8
; %bb.418:                              ;   in Loop: Header=BB395_10 Depth=1
	s_andn2_saveexec_b64 s[28:29], s[8:9]
; %bb.419:                              ;   in Loop: Header=BB395_10 Depth=1
	v_or_b32_e32 v9, 0x10000, v8
	v_cmp_eq_u32_sdwa s[8:9], v8, v55 src0_sel:WORD_0 src1_sel:DWORD
	v_cndmask_b32_e64 v33, v9, v8, s[8:9]
; %bb.420:                              ;   in Loop: Header=BB395_10 Depth=1
	s_or_b64 exec, exec, s[28:29]
	v_lshrrev_b16_e32 v30, 8, v28
	v_cmp_ne_u16_e64 s[8:9], 0, v30
	v_mov_b32_e32 v8, 0
	s_and_saveexec_b64 s[28:29], s[8:9]
	s_cbranch_execz .LBB395_426
; %bb.421:                              ;   in Loop: Header=BB395_10 Depth=1
	v_cmp_ne_u16_e64 s[8:9], s21, v30
	v_bfrev_b32_e32 v8, 1
	s_and_saveexec_b64 s[30:31], s[8:9]
	s_cbranch_execz .LBB395_425
; %bb.422:                              ;   in Loop: Header=BB395_10 Depth=1
	v_and_b32_e32 v9, 0x7f, v30
	v_cmp_ne_u32_e64 s[8:9], s37, v9
	v_mov_b32_e32 v8, 0x7f800001
	s_and_saveexec_b64 s[34:35], s[8:9]
	s_cbranch_execz .LBB395_424
; %bb.423:                              ;   in Loop: Header=BB395_10 Depth=1
	v_and_b32_e32 v13, 7, v30
	v_ffbh_u32_e32 v8, v13
	v_min_u32_e32 v25, 32, v8
	v_subrev_u32_e32 v8, 28, v25
	v_lshrrev_b32_e32 v24, 3, v9
	v_cmp_gt_u32_e64 s[8:9], 8, v9
	v_lshlrev_b64 v[8:9], v8, v[30:31]
	v_sub_u32_e32 v9, 29, v25
	v_and_b32_e32 v8, 7, v8
	v_cndmask_b32_e64 v9, v24, v9, s[8:9]
	v_cndmask_b32_e64 v8, v13, v8, s[8:9]
	v_lshlrev_b32_e32 v13, 16, v28
	v_lshlrev_b32_e32 v8, 20, v8
	v_and_b32_e32 v13, 0x80000000, v13
	v_lshl_add_u32 v9, v9, 23, v40
	v_or3_b32 v8, v13, v9, v8
.LBB395_424:                            ;   in Loop: Header=BB395_10 Depth=1
	s_or_b64 exec, exec, s[34:35]
.LBB395_425:                            ;   in Loop: Header=BB395_10 Depth=1
	s_or_b64 exec, exec, s[30:31]
.LBB395_426:                            ;   in Loop: Header=BB395_10 Depth=1
	s_or_b64 exec, exec, s[28:29]
	v_mul_f32_e32 v8, v43, v8
	v_and_b32_e32 v9, 0x7f800000, v8
	v_cmp_ne_u32_e64 s[8:9], s38, v9
                                        ; implicit-def: $vgpr13
	s_and_saveexec_b64 s[28:29], s[8:9]
	s_xor_b64 s[8:9], exec, s[28:29]
; %bb.427:                              ;   in Loop: Header=BB395_10 Depth=1
	v_bfe_u32 v9, v8, 16, 1
	v_add3_u32 v13, v8, v9, s39
                                        ; implicit-def: $vgpr8
; %bb.428:                              ;   in Loop: Header=BB395_10 Depth=1
	s_andn2_saveexec_b64 s[28:29], s[8:9]
; %bb.429:                              ;   in Loop: Header=BB395_10 Depth=1
	v_or_b32_e32 v9, 0x10000, v8
	v_cmp_eq_u32_sdwa s[8:9], v8, v55 src0_sel:WORD_0 src1_sel:DWORD
	v_cndmask_b32_e64 v13, v9, v8, s[8:9]
; %bb.430:                              ;   in Loop: Header=BB395_10 Depth=1
	s_or_b64 exec, exec, s[28:29]
	v_lshrrev_b32_e32 v30, 16, v28
	v_cmp_ne_u16_sdwa s[8:9], v30, v55 src0_sel:BYTE_0 src1_sel:DWORD
	v_mov_b32_e32 v8, 0
	s_and_saveexec_b64 s[28:29], s[8:9]
	s_cbranch_execz .LBB395_436
; %bb.431:                              ;   in Loop: Header=BB395_10 Depth=1
	v_cmp_ne_u16_sdwa s[8:9], v30, s21 src0_sel:BYTE_0 src1_sel:DWORD
	v_bfrev_b32_e32 v8, 1
	s_and_saveexec_b64 s[30:31], s[8:9]
	s_cbranch_execz .LBB395_435
; %bb.432:                              ;   in Loop: Header=BB395_10 Depth=1
	v_bfe_u32 v9, v28, 16, 7
	v_cmp_ne_u32_e64 s[8:9], s37, v9
	v_mov_b32_e32 v8, 0x7f800001
	s_and_saveexec_b64 s[34:35], s[8:9]
	s_cbranch_execz .LBB395_434
; %bb.433:                              ;   in Loop: Header=BB395_10 Depth=1
	v_and_b32_e32 v24, 7, v30
	v_ffbh_u32_e32 v8, v24
	v_min_u32_e32 v39, 32, v8
	v_subrev_u32_e32 v8, 28, v39
	v_lshrrev_b32_e32 v25, 3, v9
	v_cmp_gt_u32_e64 s[8:9], 8, v9
	v_lshlrev_b64 v[8:9], v8, v[30:31]
	v_sub_u32_e32 v9, 29, v39
	v_and_b32_e32 v8, 7, v8
	v_cndmask_b32_e64 v9, v25, v9, s[8:9]
	v_cndmask_b32_e64 v8, v24, v8, s[8:9]
	v_lshlrev_b32_e32 v24, 24, v30
	v_lshlrev_b32_e32 v8, 20, v8
	v_and_b32_e32 v24, 0x80000000, v24
	v_lshl_add_u32 v9, v9, 23, v40
	v_or3_b32 v8, v24, v9, v8
.LBB395_434:                            ;   in Loop: Header=BB395_10 Depth=1
	s_or_b64 exec, exec, s[34:35]
.LBB395_435:                            ;   in Loop: Header=BB395_10 Depth=1
	s_or_b64 exec, exec, s[30:31]
.LBB395_436:                            ;   in Loop: Header=BB395_10 Depth=1
	s_or_b64 exec, exec, s[28:29]
	v_mul_f32_e32 v8, v43, v8
	v_and_b32_e32 v9, 0x7f800000, v8
	v_cmp_ne_u32_e64 s[8:9], s38, v9
                                        ; implicit-def: $vgpr39
	s_and_saveexec_b64 s[28:29], s[8:9]
	s_xor_b64 s[8:9], exec, s[28:29]
; %bb.437:                              ;   in Loop: Header=BB395_10 Depth=1
	v_bfe_u32 v9, v8, 16, 1
	v_add3_u32 v39, v8, v9, s39
                                        ; implicit-def: $vgpr8
; %bb.438:                              ;   in Loop: Header=BB395_10 Depth=1
	s_andn2_saveexec_b64 s[28:29], s[8:9]
; %bb.439:                              ;   in Loop: Header=BB395_10 Depth=1
	v_or_b32_e32 v9, 0x10000, v8
	v_cmp_eq_u32_sdwa s[8:9], v8, v55 src0_sel:WORD_0 src1_sel:DWORD
	v_cndmask_b32_e64 v39, v9, v8, s[8:9]
; %bb.440:                              ;   in Loop: Header=BB395_10 Depth=1
	s_or_b64 exec, exec, s[28:29]
	v_cmp_lt_u32_e64 s[8:9], s40, v28
	v_mov_b32_e32 v8, 0
	s_and_saveexec_b64 s[28:29], s[8:9]
	s_cbranch_execz .LBB395_446
; %bb.441:                              ;   in Loop: Header=BB395_10 Depth=1
	v_lshrrev_b32_e32 v30, 24, v28
	v_cmp_ne_u32_e64 s[8:9], s21, v30
	v_bfrev_b32_e32 v8, 1
	s_and_saveexec_b64 s[30:31], s[8:9]
	s_cbranch_execz .LBB395_445
; %bb.442:                              ;   in Loop: Header=BB395_10 Depth=1
	v_bfe_u32 v9, v28, 24, 7
	v_cmp_ne_u32_e64 s[8:9], s37, v9
	v_mov_b32_e32 v8, 0x7f800001
	s_and_saveexec_b64 s[34:35], s[8:9]
	s_cbranch_execz .LBB395_444
; %bb.443:                              ;   in Loop: Header=BB395_10 Depth=1
	v_and_b32_e32 v24, 7, v30
	v_ffbh_u32_e32 v8, v24
	v_min_u32_e32 v28, 32, v8
	v_subrev_u32_e32 v8, 28, v28
	v_lshrrev_b32_e32 v25, 3, v9
	v_cmp_gt_u32_e64 s[8:9], 8, v9
	v_lshlrev_b64 v[8:9], v8, v[30:31]
	v_sub_u32_e32 v9, 29, v28
	v_and_b32_e32 v8, 7, v8
	v_cndmask_b32_e64 v9, v25, v9, s[8:9]
	v_cndmask_b32_e64 v8, v24, v8, s[8:9]
	v_lshlrev_b32_e32 v24, 24, v30
	v_lshlrev_b32_e32 v8, 20, v8
	v_and_b32_e32 v24, 0x80000000, v24
	v_lshl_add_u32 v9, v9, 23, v40
	v_or3_b32 v8, v24, v9, v8
.LBB395_444:                            ;   in Loop: Header=BB395_10 Depth=1
	s_or_b64 exec, exec, s[34:35]
.LBB395_445:                            ;   in Loop: Header=BB395_10 Depth=1
	s_or_b64 exec, exec, s[30:31]
.LBB395_446:                            ;   in Loop: Header=BB395_10 Depth=1
	s_or_b64 exec, exec, s[28:29]
	v_mul_f32_e32 v8, v43, v8
	v_and_b32_e32 v9, 0x7f800000, v8
	v_cmp_ne_u32_e64 s[8:9], s38, v9
                                        ; implicit-def: $vgpr30
	s_and_saveexec_b64 s[28:29], s[8:9]
	s_xor_b64 s[8:9], exec, s[28:29]
; %bb.447:                              ;   in Loop: Header=BB395_10 Depth=1
	v_bfe_u32 v9, v8, 16, 1
	v_add3_u32 v30, v8, v9, s39
                                        ; implicit-def: $vgpr8
; %bb.448:                              ;   in Loop: Header=BB395_10 Depth=1
	s_andn2_saveexec_b64 s[28:29], s[8:9]
; %bb.449:                              ;   in Loop: Header=BB395_10 Depth=1
	v_or_b32_e32 v9, 0x10000, v8
	v_cmp_eq_u32_sdwa s[8:9], v8, v55 src0_sel:WORD_0 src1_sel:DWORD
	v_cndmask_b32_e64 v30, v9, v8, s[8:9]
; %bb.450:                              ;   in Loop: Header=BB395_10 Depth=1
	s_or_b64 exec, exec, s[28:29]
	flat_load_dword v20, v[20:21] offset:2568
	v_mov_b32_e32 v8, 0
	s_waitcnt vmcnt(0) lgkmcnt(0)
	v_cmp_ne_u16_sdwa s[8:9], v20, v55 src0_sel:BYTE_0 src1_sel:DWORD
	s_and_saveexec_b64 s[28:29], s[8:9]
	s_cbranch_execz .LBB395_456
; %bb.451:                              ;   in Loop: Header=BB395_10 Depth=1
	v_cmp_ne_u16_sdwa s[8:9], v20, s21 src0_sel:BYTE_0 src1_sel:DWORD
	v_bfrev_b32_e32 v8, 1
	s_and_saveexec_b64 s[30:31], s[8:9]
	s_cbranch_execz .LBB395_455
; %bb.452:                              ;   in Loop: Header=BB395_10 Depth=1
	v_and_b32_e32 v9, 0x7f, v20
	v_cmp_ne_u32_e64 s[8:9], s37, v9
	v_mov_b32_e32 v8, 0x7f800001
	s_and_saveexec_b64 s[34:35], s[8:9]
	s_cbranch_execz .LBB395_454
; %bb.453:                              ;   in Loop: Header=BB395_10 Depth=1
	v_and_b32_e32 v21, 7, v20
	v_ffbh_u32_e32 v8, v21
	v_min_u32_e32 v25, 32, v8
	v_subrev_u32_e32 v8, 28, v25
	v_lshrrev_b32_e32 v24, 3, v9
	v_cmp_gt_u32_e64 s[8:9], 8, v9
	v_lshlrev_b64 v[8:9], v8, v[20:21]
	v_sub_u32_e32 v9, 29, v25
	v_and_b32_e32 v8, 7, v8
	v_cndmask_b32_e64 v9, v24, v9, s[8:9]
	v_cndmask_b32_e64 v8, v21, v8, s[8:9]
	v_lshlrev_b32_e32 v21, 24, v20
	v_lshlrev_b32_e32 v8, 20, v8
	v_and_b32_e32 v21, 0x80000000, v21
	v_lshl_add_u32 v9, v9, 23, v40
	v_or3_b32 v8, v21, v9, v8
.LBB395_454:                            ;   in Loop: Header=BB395_10 Depth=1
	s_or_b64 exec, exec, s[34:35]
.LBB395_455:                            ;   in Loop: Header=BB395_10 Depth=1
	s_or_b64 exec, exec, s[30:31]
.LBB395_456:                            ;   in Loop: Header=BB395_10 Depth=1
	s_or_b64 exec, exec, s[28:29]
	v_mul_f32_e32 v8, v43, v8
	v_and_b32_e32 v9, 0x7f800000, v8
	v_cmp_ne_u32_e64 s[8:9], s38, v9
                                        ; implicit-def: $vgpr21
	s_and_saveexec_b64 s[28:29], s[8:9]
	s_xor_b64 s[8:9], exec, s[28:29]
; %bb.457:                              ;   in Loop: Header=BB395_10 Depth=1
	v_bfe_u32 v9, v8, 16, 1
	v_add3_u32 v21, v8, v9, s39
                                        ; implicit-def: $vgpr8
; %bb.458:                              ;   in Loop: Header=BB395_10 Depth=1
	s_andn2_saveexec_b64 s[28:29], s[8:9]
; %bb.459:                              ;   in Loop: Header=BB395_10 Depth=1
	v_or_b32_e32 v9, 0x10000, v8
	v_cmp_eq_u32_sdwa s[8:9], v8, v55 src0_sel:WORD_0 src1_sel:DWORD
	v_cndmask_b32_e64 v21, v9, v8, s[8:9]
; %bb.460:                              ;   in Loop: Header=BB395_10 Depth=1
	s_or_b64 exec, exec, s[28:29]
	v_lshrrev_b16_e32 v28, 8, v20
	v_cmp_ne_u16_e64 s[8:9], 0, v28
	v_mov_b32_e32 v8, 0
	s_and_saveexec_b64 s[28:29], s[8:9]
	s_cbranch_execz .LBB395_466
; %bb.461:                              ;   in Loop: Header=BB395_10 Depth=1
	v_cmp_ne_u16_e64 s[8:9], s21, v28
	v_bfrev_b32_e32 v8, 1
	s_and_saveexec_b64 s[30:31], s[8:9]
	s_cbranch_execz .LBB395_465
; %bb.462:                              ;   in Loop: Header=BB395_10 Depth=1
	v_and_b32_e32 v9, 0x7f, v28
	v_cmp_ne_u32_e64 s[8:9], s37, v9
	v_mov_b32_e32 v8, 0x7f800001
	s_and_saveexec_b64 s[34:35], s[8:9]
	s_cbranch_execz .LBB395_464
; %bb.463:                              ;   in Loop: Header=BB395_10 Depth=1
	v_and_b32_e32 v24, 7, v28
	v_ffbh_u32_e32 v8, v24
	v_min_u32_e32 v51, 32, v8
	v_subrev_u32_e32 v8, 28, v51
	v_lshrrev_b32_e32 v25, 3, v9
	v_cmp_gt_u32_e64 s[8:9], 8, v9
	v_lshlrev_b64 v[8:9], v8, v[28:29]
	v_sub_u32_e32 v9, 29, v51
	v_and_b32_e32 v8, 7, v8
	v_cndmask_b32_e64 v9, v25, v9, s[8:9]
	v_cndmask_b32_e64 v8, v24, v8, s[8:9]
	v_lshlrev_b32_e32 v24, 16, v20
	v_lshlrev_b32_e32 v8, 20, v8
	v_and_b32_e32 v24, 0x80000000, v24
	v_lshl_add_u32 v9, v9, 23, v40
	v_or3_b32 v8, v24, v9, v8
.LBB395_464:                            ;   in Loop: Header=BB395_10 Depth=1
	s_or_b64 exec, exec, s[34:35]
.LBB395_465:                            ;   in Loop: Header=BB395_10 Depth=1
	s_or_b64 exec, exec, s[30:31]
.LBB395_466:                            ;   in Loop: Header=BB395_10 Depth=1
	s_or_b64 exec, exec, s[28:29]
	v_mul_f32_e32 v9, v43, v8
	v_and_b32_e32 v8, 0x7f800000, v9
	v_cmp_ne_u32_e64 s[8:9], s38, v8
                                        ; implicit-def: $vgpr8
	s_and_saveexec_b64 s[28:29], s[8:9]
	s_xor_b64 s[8:9], exec, s[28:29]
; %bb.467:                              ;   in Loop: Header=BB395_10 Depth=1
	v_bfe_u32 v8, v9, 16, 1
	v_add3_u32 v8, v9, v8, s39
                                        ; implicit-def: $vgpr9
; %bb.468:                              ;   in Loop: Header=BB395_10 Depth=1
	s_andn2_saveexec_b64 s[28:29], s[8:9]
; %bb.469:                              ;   in Loop: Header=BB395_10 Depth=1
	v_or_b32_e32 v8, 0x10000, v9
	v_cmp_eq_u32_sdwa s[8:9], v9, v55 src0_sel:WORD_0 src1_sel:DWORD
	v_cndmask_b32_e64 v8, v8, v9, s[8:9]
; %bb.470:                              ;   in Loop: Header=BB395_10 Depth=1
	s_or_b64 exec, exec, s[28:29]
	v_lshrrev_b32_e32 v28, 16, v20
	v_cmp_ne_u16_sdwa s[8:9], v28, v55 src0_sel:BYTE_0 src1_sel:DWORD
	v_mov_b32_e32 v9, 0
	s_and_saveexec_b64 s[28:29], s[8:9]
	s_cbranch_execz .LBB395_476
; %bb.471:                              ;   in Loop: Header=BB395_10 Depth=1
	v_cmp_ne_u16_sdwa s[8:9], v28, s21 src0_sel:BYTE_0 src1_sel:DWORD
	v_bfrev_b32_e32 v9, 1
	s_and_saveexec_b64 s[30:31], s[8:9]
	s_cbranch_execz .LBB395_475
; %bb.472:                              ;   in Loop: Header=BB395_10 Depth=1
	v_bfe_u32 v25, v20, 16, 7
	v_cmp_ne_u32_e64 s[8:9], s37, v25
	v_mov_b32_e32 v9, 0x7f800001
	s_and_saveexec_b64 s[34:35], s[8:9]
	s_cbranch_execz .LBB395_474
; %bb.473:                              ;   in Loop: Header=BB395_10 Depth=1
	v_and_b32_e32 v9, 7, v28
	v_ffbh_u32_e32 v24, v9
	v_min_u32_e32 v40, 32, v24
	v_subrev_u32_e32 v24, 28, v40
	v_lshrrev_b32_e32 v51, 3, v25
	v_cmp_gt_u32_e64 s[8:9], 8, v25
	v_lshlrev_b64 v[24:25], v24, v[28:29]
	v_sub_u32_e32 v25, 29, v40
	v_and_b32_e32 v24, 7, v24
	v_bfrev_b32_e32 v40, 60
	v_cndmask_b32_e64 v25, v51, v25, s[8:9]
	v_cndmask_b32_e64 v9, v9, v24, s[8:9]
	v_lshlrev_b32_e32 v24, 24, v28
	v_lshlrev_b32_e32 v9, 20, v9
	v_and_b32_e32 v24, 0x80000000, v24
	v_lshl_add_u32 v25, v25, 23, v40
	v_or3_b32 v9, v24, v25, v9
.LBB395_474:                            ;   in Loop: Header=BB395_10 Depth=1
	s_or_b64 exec, exec, s[34:35]
.LBB395_475:                            ;   in Loop: Header=BB395_10 Depth=1
	s_or_b64 exec, exec, s[30:31]
.LBB395_476:                            ;   in Loop: Header=BB395_10 Depth=1
	s_or_b64 exec, exec, s[28:29]
	v_mul_f32_e32 v25, v43, v9
	v_and_b32_e32 v9, 0x7f800000, v25
	v_cmp_ne_u32_e64 s[8:9], s38, v9
                                        ; implicit-def: $vgpr9
	s_and_saveexec_b64 s[28:29], s[8:9]
	s_xor_b64 s[8:9], exec, s[28:29]
; %bb.477:                              ;   in Loop: Header=BB395_10 Depth=1
	v_bfe_u32 v9, v25, 16, 1
	v_add3_u32 v9, v25, v9, s39
                                        ; implicit-def: $vgpr25
; %bb.478:                              ;   in Loop: Header=BB395_10 Depth=1
	s_andn2_saveexec_b64 s[28:29], s[8:9]
; %bb.479:                              ;   in Loop: Header=BB395_10 Depth=1
	v_or_b32_e32 v9, 0x10000, v25
	v_cmp_eq_u32_sdwa s[8:9], v25, v55 src0_sel:WORD_0 src1_sel:DWORD
	v_cndmask_b32_e64 v9, v9, v25, s[8:9]
; %bb.480:                              ;   in Loop: Header=BB395_10 Depth=1
	s_or_b64 exec, exec, s[28:29]
	v_cmp_lt_u32_e64 s[8:9], s40, v20
	v_mov_b32_e32 v51, 0
	s_and_saveexec_b64 s[28:29], s[8:9]
	s_cbranch_execz .LBB395_486
; %bb.481:                              ;   in Loop: Header=BB395_10 Depth=1
	v_lshrrev_b32_e32 v28, 24, v20
	v_cmp_ne_u32_e64 s[8:9], s21, v28
	v_bfrev_b32_e32 v51, 1
	s_and_saveexec_b64 s[30:31], s[8:9]
	s_cbranch_execz .LBB395_485
; %bb.482:                              ;   in Loop: Header=BB395_10 Depth=1
	v_bfe_u32 v20, v20, 24, 7
	v_cmp_ne_u32_e64 s[8:9], s37, v20
	v_mov_b32_e32 v51, 0x7f800001
	s_and_saveexec_b64 s[34:35], s[8:9]
	s_cbranch_execz .LBB395_484
; %bb.483:                              ;   in Loop: Header=BB395_10 Depth=1
	v_and_b32_e32 v51, 7, v28
	v_lshrrev_b32_e32 v40, 3, v20
	v_cmp_gt_u32_e64 s[8:9], 8, v20
	v_ffbh_u32_e32 v20, v51
	v_min_u32_e32 v20, 32, v20
	v_subrev_u32_e32 v24, 28, v20
	v_lshlrev_b64 v[24:25], v24, v[28:29]
	v_sub_u32_e32 v20, 29, v20
	v_and_b32_e32 v24, 7, v24
	v_cndmask_b32_e64 v20, v40, v20, s[8:9]
	v_bfrev_b32_e32 v40, 60
	v_cndmask_b32_e64 v24, v51, v24, s[8:9]
	v_lshlrev_b32_e32 v25, 24, v28
	v_lshlrev_b32_e32 v24, 20, v24
	v_and_b32_e32 v25, 0x80000000, v25
	v_lshl_add_u32 v20, v20, 23, v40
	v_or3_b32 v51, v25, v20, v24
.LBB395_484:                            ;   in Loop: Header=BB395_10 Depth=1
	s_or_b64 exec, exec, s[34:35]
.LBB395_485:                            ;   in Loop: Header=BB395_10 Depth=1
	s_or_b64 exec, exec, s[30:31]
.LBB395_486:                            ;   in Loop: Header=BB395_10 Depth=1
	s_or_b64 exec, exec, s[28:29]
	v_mul_f32_e32 v25, v43, v51
	v_and_b32_e32 v20, 0x7f800000, v25
	v_cmp_ne_u32_e64 s[8:9], s38, v20
                                        ; implicit-def: $vgpr20
	s_and_saveexec_b64 s[28:29], s[8:9]
	s_xor_b64 s[8:9], exec, s[28:29]
; %bb.487:                              ;   in Loop: Header=BB395_10 Depth=1
	v_bfe_u32 v20, v25, 16, 1
	v_add3_u32 v20, v25, v20, s39
                                        ; implicit-def: $vgpr25
; %bb.488:                              ;   in Loop: Header=BB395_10 Depth=1
	s_andn2_saveexec_b64 s[28:29], s[8:9]
; %bb.489:                              ;   in Loop: Header=BB395_10 Depth=1
	v_or_b32_e32 v20, 0x10000, v25
	v_cmp_eq_u32_sdwa s[8:9], v25, v55 src0_sel:WORD_0 src1_sel:DWORD
	v_cndmask_b32_e64 v20, v20, v25, s[8:9]
; %bb.490:                              ;   in Loop: Header=BB395_10 Depth=1
	s_or_b64 exec, exec, s[28:29]
	v_and_b32_e32 v24, 0xffff0000, v47
	v_accvgpr_read_b32 v28, a31
	v_and_b32_e32 v25, 0xffff0000, v42
	v_mul_f32_e32 v28, v28, v24
	v_accvgpr_read_b32 v24, a27
	v_fmac_f32_e32 v28, v24, v25
	v_and_b32_e32 v24, 0xffff0000, v56
	v_accvgpr_read_b32 v51, a32
	v_and_b32_e32 v25, 0xffff0000, v44
	v_mul_f32_e32 v42, v51, v24
	v_accvgpr_read_b32 v24, a28
	v_fmac_f32_e32 v42, v24, v25
	v_and_b32_e32 v24, 0xffff0000, v57
	v_accvgpr_read_b32 v51, a33
	v_and_b32_e32 v25, 0xffff0000, v45
	v_mul_f32_e32 v43, v51, v24
	v_accvgpr_read_b32 v24, a29
	v_fmac_f32_e32 v43, v24, v25
	v_and_b32_e32 v24, 0xffff0000, v58
	v_accvgpr_read_b32 v51, a34
	v_and_b32_e32 v25, 0xffff0000, v46
	v_mul_f32_e32 v44, v51, v24
	v_accvgpr_read_b32 v24, a30
	v_fmac_f32_e32 v44, v24, v25
	v_and_b32_e32 v24, 0xffff0000, v59
	v_accvgpr_read_b32 v25, a35
	v_fmac_f32_e32 v28, v25, v24
	v_and_b32_e32 v24, 0xffff0000, v60
	v_accvgpr_read_b32 v25, a36
	v_fmac_f32_e32 v42, v25, v24
	;; [unrolled: 3-line block ×30, first 2 shown]
	v_and_b32_e32 v0, 0xffff0000, v52
	v_accvgpr_read_b32 v1, a15
	v_and_b32_e32 v4, 0xffff0000, v13
	v_accvgpr_read_b32 v7, a18
	v_fmac_f32_e32 v43, v1, v0
	v_and_b32_e32 v0, 0xffff0000, v12
	v_accvgpr_read_b32 v1, a20
	v_and_b32_e32 v2, 0xffff0000, v39
	v_fmac_f32_e32 v42, v7, v4
	v_accvgpr_read_b32 v4, a19
	v_fmac_f32_e32 v44, v1, v0
	v_and_b32_e32 v0, 0xffff0000, v33
	v_accvgpr_read_b32 v1, a21
	v_and_b32_e32 v3, 0xffff0000, v30
	v_fmac_f32_e32 v43, v4, v2
	v_accvgpr_read_b32 v2, a26
	v_fmac_f32_e32 v28, v1, v0
	v_and_b32_e32 v1, 0xffff0000, v21
	v_fmac_f32_e32 v44, v2, v3
	v_accvgpr_read_b32 v2, a25
	v_and_b32_e32 v0, 0xffff0000, v8
	v_fmac_f32_e32 v28, v2, v1
	v_accvgpr_read_b32 v1, a16
	;; [unrolled: 3-line block ×4, first 2 shown]
	v_fmac_f32_e32 v44, v0, v6
	v_add_f32_e32 v0, v28, v42
	v_add_f32_e32 v0, v0, v43
	;; [unrolled: 1-line block ×3, first 2 shown]
	v_accvgpr_read_b32 v1, a1
	ds_bpermute_b32 v1, v1, v0
	s_and_saveexec_b64 s[28:29], vcc
	s_cbranch_execz .LBB395_9
; %bb.491:                              ;   in Loop: Header=BB395_10 Depth=1
	s_waitcnt lgkmcnt(0)
	v_add_f32_e32 v0, v0, v1
	buffer_load_dword v1, off, s[0:3], s32 offset:192 ; 4-byte Folded Reload
	v_accvgpr_read_b32 v2, a11
	v_add_u32_e32 v2, v2, v53
	v_cvt_f32_i32_e32 v2, v2
	s_load_dword s8, s[24:25], 0x0
	v_accvgpr_read_b32 v3, a24
	s_waitcnt vmcnt(0)
	v_mul_f32_e32 v1, v1, v2
	v_cndmask_b32_e64 v1, 0, v1, s[6:7]
	s_waitcnt lgkmcnt(0)
	v_add_u32_e32 v2, s8, v54
	v_fmac_f32_e32 v1, v0, v3
	v_cmp_lt_i32_e64 s[8:9], v53, v32
	v_cndmask_b32_e64 v0, 0, v1, s[8:9]
	ds_write_b32 v2, v0
	buffer_load_dword v2, off, s[0:3], s32 offset:188 ; 4-byte Folded Reload
	s_waitcnt vmcnt(0)
	v_max_f32_e32 v0, v2, v2
	v_max_f32_e32 v0, v0, v1
	v_cndmask_b32_e64 v2, v2, v0, s[8:9]
	buffer_store_dword v2, off, s[0:3], s32 offset:188 ; 4-byte Folded Spill
	s_branch .LBB395_9
.LBB395_492:
	s_or_b64 exec, exec, s[26:27]
	buffer_load_dword v14, off, s[0:3], s32 offset:196 ; 4-byte Folded Reload
	buffer_load_dword v25, off, s[0:3], s32 offset:256 ; 4-byte Folded Reload
	buffer_load_dword v33, off, s[0:3], s32 offset:252 ; 4-byte Folded Reload
	buffer_load_dword v34, off, s[0:3], s32 offset:248 ; 4-byte Folded Reload
	buffer_load_dword v35, off, s[0:3], s32 offset:244 ; 4-byte Folded Reload
	buffer_load_dword v31, off, s[0:3], s32 offset:212 ; 4-byte Folded Reload
	buffer_load_dword v36, off, s[0:3], s32 offset:240 ; 4-byte Folded Reload
	buffer_load_dword v37, off, s[0:3], s32 offset:208 ; 4-byte Folded Reload
	buffer_load_dword v38, off, s[0:3], s32 offset:224 ; 4-byte Folded Reload
	buffer_load_dword v39, off, s[0:3], s32 offset:228 ; 4-byte Folded Reload
	buffer_load_dword v48, off, s[0:3], s32 offset:216 ; 4-byte Folded Reload
	buffer_load_dword v49, off, s[0:3], s32 offset:220 ; 4-byte Folded Reload
	buffer_load_dword v12, off, s[0:3], s32 offset:236 ; 4-byte Folded Reload
	buffer_load_dword v13, off, s[0:3], s32 offset:232 ; 4-byte Folded Reload
	buffer_load_dword v3, off, s[0:3], s32 offset:188 ; 4-byte Folded Reload
	v_accvgpr_read_b32 v27, a9
	v_accvgpr_read_b32 v15, a5
	;; [unrolled: 1-line block ×6, first 2 shown]
.LBB395_493:
	s_or_b64 exec, exec, s[10:11]
	s_waitcnt vmcnt(2)
	v_xor_b32_e32 v0, 32, v12
	s_waitcnt vmcnt(1)
	v_cmp_lt_i32_e32 vcc, v0, v13
	v_cndmask_b32_e32 v0, v12, v0, vcc
	v_lshlrev_b32_e32 v2, 2, v0
	s_waitcnt vmcnt(0)
	ds_bpermute_b32 v0, v2, v3
	s_waitcnt lgkmcnt(0)
	v_max_f32_e32 v1, v3, v3
	v_xor_b32_e32 v3, 16, v12
	v_cmp_lt_i32_e32 vcc, v3, v13
	v_xor_b32_e32 v4, 8, v12
	v_max_f32_e32 v0, v0, v0
	v_max_f32_e32 v0, v1, v0
	v_cndmask_b32_e32 v1, v12, v3, vcc
	v_lshlrev_b32_e32 v3, 2, v1
	ds_bpermute_b32 v1, v3, v0
	v_cmp_lt_i32_e32 vcc, v4, v13
	v_xor_b32_e32 v5, 4, v12
	v_xor_b32_e32 v6, 2, v12
	v_and_b32_e32 v22, 63, v14
	s_waitcnt lgkmcnt(0)
	v_max_f32_e32 v1, v1, v1
	v_max_f32_e32 v0, v0, v1
	v_cndmask_b32_e32 v1, v12, v4, vcc
	v_lshlrev_b32_e32 v4, 2, v1
	ds_bpermute_b32 v1, v4, v0
	v_cmp_lt_i32_e32 vcc, v5, v13
	s_lshr_b32 s23, s23, 16
	s_waitcnt lgkmcnt(0)
	v_max_f32_e32 v1, v1, v1
	v_max_f32_e32 v0, v0, v1
	v_cndmask_b32_e32 v1, v12, v5, vcc
	v_lshlrev_b32_e32 v5, 2, v1
	ds_bpermute_b32 v1, v5, v0
	v_cmp_lt_i32_e32 vcc, v6, v13
	s_waitcnt lgkmcnt(0)
	v_max_f32_e32 v1, v1, v1
	v_max_f32_e32 v0, v0, v1
	v_cndmask_b32_e32 v1, v12, v6, vcc
	v_lshlrev_b32_e32 v23, 2, v1
	ds_bpermute_b32 v1, v23, v0
	v_cmp_eq_u32_e32 vcc, 0, v22
	v_lshlrev_b32_e32 v6, 2, v36
	s_and_saveexec_b64 s[6:7], vcc
	s_cbranch_execz .LBB395_495
; %bb.494:
	s_waitcnt lgkmcnt(0)
	v_max_f32_e32 v1, v1, v1
	v_max_f32_e32 v0, v0, v0
	;; [unrolled: 1-line block ×3, first 2 shown]
	ds_write_b32 v6, v0 offset:192
.LBB395_495:
	s_or_b64 exec, exec, s[6:7]
	v_cmp_gt_u32_e64 s[6:7], 2, v22
	v_mov_b32_e32 v0, 0xff7fffff
	v_lshlrev_b32_e32 v7, 2, v22
	s_waitcnt lgkmcnt(0)
	s_barrier
	s_and_saveexec_b64 s[8:9], s[6:7]
	s_cbranch_execz .LBB395_497
; %bb.496:
	ds_read_b32 v0, v7 offset:192
.LBB395_497:
	s_or_b64 exec, exec, s[8:9]
	v_xor_b32_e32 v1, 1, v12
	v_cmp_lt_i32_e64 s[8:9], v1, v13
	v_cndmask_b32_e64 v1, v12, v1, s[8:9]
	v_lshlrev_b32_e32 v24, 2, v1
	s_waitcnt lgkmcnt(0)
	ds_bpermute_b32 v1, v24, v0
	v_accvgpr_read_b32 v8, a3
	v_max_f32_e32 v0, v0, v0
	v_subrev_u32_e32 v8, s15, v8
	v_lshl_add_u32 v9, v8, 5, s36
	s_waitcnt lgkmcnt(0)
	v_max_f32_e32 v1, v1, v1
	v_max_f32_e32 v0, v0, v1
	v_lshlrev_b32_e32 v1, 2, v12
	v_and_b32_e32 v8, 0xffffff00, v1
	ds_bpermute_b32 v0, v8, v0
	v_min_i32_e32 v9, v9, v32
	v_subrev_u32_e32 v1, s36, v9
	v_cmp_lt_i32_e64 s[8:9], v14, v1
	v_mov_b32_e32 v19, 0
	s_and_saveexec_b64 s[24:25], s[8:9]
	s_cbranch_execz .LBB395_501
; %bb.498:
	s_ashr_i32 s21, s20, 31
	s_lshl_b64 s[10:11], s[20:21], 2
	s_getpc_b64 s[26:27]
	s_add_u32 s26, s26, llvm.amdgcn.dynlds.offset.table@rel32@lo+4
	s_addc_u32 s27, s27, llvm.amdgcn.dynlds.offset.table@rel32@hi+12
	s_add_u32 s10, s10, s26
	s_addc_u32 s11, s11, s27
	s_load_dword s10, s[10:11], 0x0
	s_mov_b64 s[26:27], 0
	v_mov_b32_e32 v19, 0
	v_mov_b32_e32 v12, v14
	s_waitcnt lgkmcnt(0)
	v_lshl_add_u32 v18, v14, 2, s10
.LBB395_499:                            ; =>This Inner Loop Header: Depth=1
	ds_read_b32 v13, v18
	v_add_u32_e32 v12, 0x80, v12
	v_cmp_ge_i32_e64 s[10:11], v12, v1
	s_or_b64 s[26:27], s[10:11], s[26:27]
	s_waitcnt lgkmcnt(0)
	v_sub_f32_e32 v13, v13, v0
	v_mul_f32_e32 v13, 0x3fb8aa3b, v13
	v_exp_f32_e32 v13, v13
	ds_write_b32 v18, v13
	v_add_f32_e32 v19, v19, v13
	v_add_u32_e32 v18, 0x200, v18
	s_andn2_b64 exec, exec, s[26:27]
	s_cbranch_execnz .LBB395_499
; %bb.500:
	s_or_b64 exec, exec, s[26:27]
.LBB395_501:
	s_or_b64 exec, exec, s[24:25]
	ds_bpermute_b32 v2, v2, v19
	s_waitcnt lgkmcnt(0)
	v_add_f32_e32 v2, v19, v2
	ds_bpermute_b32 v3, v3, v2
	s_waitcnt lgkmcnt(0)
	v_add_f32_e32 v2, v2, v3
	;; [unrolled: 3-line block ×6, first 2 shown]
	s_and_saveexec_b64 s[10:11], vcc
	s_cbranch_execz .LBB395_503
; %bb.502:
	ds_write_b32 v6, v2 offset:200
.LBB395_503:
	s_or_b64 exec, exec, s[10:11]
	s_waitcnt lgkmcnt(0)
	s_barrier
	s_and_saveexec_b64 s[10:11], s[6:7]
	s_cbranch_execz .LBB395_505
; %bb.504:
	ds_read_b32 v2, v7 offset:200
.LBB395_505:
	s_or_b64 exec, exec, s[10:11]
	s_waitcnt lgkmcnt(0)
	ds_bpermute_b32 v3, v24, v2
	s_waitcnt lgkmcnt(0)
	v_add_f32_e32 v2, v2, v3
	ds_bpermute_b32 v2, v8, v2
	s_and_saveexec_b64 s[6:7], s[8:9]
	s_cbranch_execz .LBB395_518
; %bb.506:
	s_waitcnt lgkmcnt(0)
	v_add_f32_e32 v3, 0x358637bd, v2
	v_div_scale_f32 v4, s[8:9], v3, v3, 1.0
	v_rcp_f32_e32 v5, v4
	v_div_scale_f32 v6, vcc, 1.0, v3, 1.0
	s_movk_i32 s8, 0x7f
	v_fma_f32 v7, -v4, v5, 1.0
	v_fmac_f32_e32 v5, v7, v5
	v_mul_f32_e32 v7, v6, v5
	v_fma_f32 v8, -v4, v7, v6
	v_fmac_f32_e32 v7, v8, v5
	v_fma_f32 v4, -v4, v7, v6
	v_div_fmas_f32 v4, v4, v5, v7
	v_div_fixup_f32 v8, v4, v3, 1.0
	v_xad_u32 v3, v14, -1, v9
	v_subrev_u32_e32 v4, s36, v3
	v_cmp_lt_u32_e32 vcc, s8, v4
	s_mov_b64 s[10:11], -1
	v_mov_b32_e32 v3, v14
	s_and_saveexec_b64 s[8:9], vcc
	s_cbranch_execz .LBB395_515
; %bb.507:
	v_lshrrev_b32_e32 v3, 7, v4
	v_add_u32_e32 v5, -1, v3
	v_lshrrev_b32_e32 v4, 1, v5
	v_mov_b32_e32 v9, v8
	v_add_u32_e32 v4, 1, v4
	v_cmp_lt_u32_e32 vcc, 13, v5
	v_mov_b32_e32 v7, 0
	s_and_saveexec_b64 s[10:11], vcc
	s_cbranch_execz .LBB395_511
; %bb.508:
	s_ashr_i32 s21, s20, 31
	s_lshl_b64 s[24:25], s[20:21], 2
	s_getpc_b64 s[26:27]
	s_add_u32 s26, s26, llvm.amdgcn.dynlds.offset.table@rel32@lo+4
	s_addc_u32 s27, s27, llvm.amdgcn.dynlds.offset.table@rel32@hi+12
	s_add_u32 s24, s24, s26
	s_addc_u32 s25, s25, s27
	s_load_dword s21, s[24:25], 0x0
	v_and_b32_e32 v5, -8, v4
	s_mov_b32 s15, 0
	s_mov_b64 s[24:25], 0
	s_waitcnt lgkmcnt(0)
	v_lshl_add_u32 v6, v14, 2, s21
.LBB395_509:                            ; =>This Inner Loop Header: Depth=1
	ds_read2st64_b32 v[28:29], v6 offset1:2
	ds_read2st64_b32 v[12:13], v6 offset0:4 offset1:6
	ds_read2st64_b32 v[20:21], v6 offset0:8 offset1:10
	;; [unrolled: 1-line block ×3, first 2 shown]
	v_add_u32_e32 v5, -8, v5
	s_waitcnt lgkmcnt(3)
	v_pk_mul_f32 v[28:29], v[8:9], v[28:29]
	s_waitcnt lgkmcnt(2)
	v_pk_mul_f32 v[12:13], v[8:9], v[12:13]
	ds_write2st64_b32 v6, v28, v29 offset1:2
	ds_write2st64_b32 v6, v12, v13 offset0:4 offset1:6
	ds_read2st64_b32 v[12:13], v6 offset0:16 offset1:18
	s_waitcnt lgkmcnt(4)
	v_pk_mul_f32 v[20:21], v[8:9], v[20:21]
	s_waitcnt lgkmcnt(3)
	v_pk_mul_f32 v[18:19], v[8:9], v[18:19]
	ds_write2st64_b32 v6, v20, v21 offset0:8 offset1:10
	ds_write2st64_b32 v6, v18, v19 offset0:12 offset1:14
	s_waitcnt lgkmcnt(2)
	v_pk_mul_f32 v[12:13], v[8:9], v[12:13]
	ds_read2st64_b32 v[20:21], v6 offset0:20 offset1:22
	ds_read2st64_b32 v[18:19], v6 offset0:24 offset1:26
	ds_write2st64_b32 v6, v12, v13 offset0:16 offset1:18
	ds_read2st64_b32 v[12:13], v6 offset0:28 offset1:30
	s_add_i32 s15, s15, 16
	s_waitcnt lgkmcnt(3)
	v_pk_mul_f32 v[20:21], v[8:9], v[20:21]
	s_waitcnt lgkmcnt(2)
	v_pk_mul_f32 v[18:19], v[8:9], v[18:19]
	v_cmp_eq_u32_e32 vcc, 0, v5
	s_waitcnt lgkmcnt(0)
	v_pk_mul_f32 v[12:13], v[8:9], v[12:13]
	ds_write2st64_b32 v6, v20, v21 offset0:20 offset1:22
	ds_write2st64_b32 v6, v18, v19 offset0:24 offset1:26
	;; [unrolled: 1-line block ×3, first 2 shown]
	v_add_u32_e32 v6, 0x2000, v6
	s_or_b64 s[24:25], vcc, s[24:25]
	v_mov_b32_e32 v7, s15
	s_andn2_b64 exec, exec, s[24:25]
	s_cbranch_execnz .LBB395_509
; %bb.510:
	s_or_b64 exec, exec, s[24:25]
	buffer_load_dword v14, off, s[0:3], s32 offset:196 ; 4-byte Folded Reload
.LBB395_511:
	s_or_b64 exec, exec, s[10:11]
	v_and_b32_e32 v4, 7, v4
	v_cmp_ne_u32_e32 vcc, 0, v4
	s_and_saveexec_b64 s[10:11], vcc
	s_cbranch_execz .LBB395_514
; %bb.512:
	s_ashr_i32 s21, s20, 31
	s_lshl_b64 s[24:25], s[20:21], 2
	s_getpc_b64 s[26:27]
	s_add_u32 s26, s26, llvm.amdgcn.dynlds.offset.table@rel32@lo+4
	s_addc_u32 s27, s27, llvm.amdgcn.dynlds.offset.table@rel32@hi+12
	s_add_u32 s24, s24, s26
	s_addc_u32 s25, s25, s27
	s_load_dword s15, s[24:25], 0x0
	v_lshlrev_b32_e32 v5, 9, v7
	s_waitcnt vmcnt(0)
	v_lshlrev_b32_e32 v6, 2, v14
	s_mov_b64 s[24:25], 0
	s_waitcnt lgkmcnt(0)
	v_add3_u32 v5, v5, v6, s15
.LBB395_513:                            ; =>This Inner Loop Header: Depth=1
	ds_read2st64_b32 v[6:7], v5 offset1:2
	v_add_u32_e32 v4, -1, v4
	v_cmp_eq_u32_e32 vcc, 0, v4
	s_or_b64 s[24:25], vcc, s[24:25]
	s_waitcnt lgkmcnt(0)
	v_pk_mul_f32 v[6:7], v[8:9], v[6:7]
	ds_write2st64_b32 v5, v6, v7 offset1:2
	v_add_u32_e32 v5, 0x400, v5
	s_andn2_b64 exec, exec, s[24:25]
	s_cbranch_execnz .LBB395_513
.LBB395_514:
	s_or_b64 exec, exec, s[10:11]
	v_add_u32_e32 v4, 1, v3
	v_and_b32_e32 v5, 0x3fffffe, v4
	v_cmp_ne_u32_e32 vcc, v4, v5
	s_waitcnt vmcnt(0)
	v_lshl_add_u32 v3, v5, 7, v14
	s_orn2_b64 s[10:11], vcc, exec
.LBB395_515:
	s_or_b64 exec, exec, s[8:9]
	s_and_b64 exec, exec, s[10:11]
	s_cbranch_execz .LBB395_518
; %bb.516:
	s_ashr_i32 s21, s20, 31
	s_lshl_b64 s[8:9], s[20:21], 2
	s_getpc_b64 s[10:11]
	s_add_u32 s10, s10, llvm.amdgcn.dynlds.offset.table@rel32@lo+4
	s_addc_u32 s11, s11, llvm.amdgcn.dynlds.offset.table@rel32@hi+12
	s_add_u32 s8, s8, s10
	s_addc_u32 s9, s9, s11
	s_load_dword s8, s[8:9], 0x0
	s_waitcnt lgkmcnt(0)
	v_lshl_add_u32 v4, v3, 2, s8
	s_mov_b64 s[8:9], 0
.LBB395_517:                            ; =>This Inner Loop Header: Depth=1
	ds_read_b32 v5, v4
	v_add_u32_e32 v3, 0x80, v3
	v_cmp_ge_i32_e32 vcc, v3, v1
	s_or_b64 s[8:9], vcc, s[8:9]
	s_waitcnt lgkmcnt(0)
	v_mul_f32_e32 v5, v8, v5
	ds_write_b32 v4, v5
	v_add_u32_e32 v4, 0x200, v4
	s_andn2_b64 exec, exec, s[8:9]
	s_cbranch_execnz .LBB395_517
.LBB395_518:
	s_or_b64 exec, exec, s[6:7]
	v_cmp_ne_u16_e64 s[6:7], s23, 0
	s_cmp_lg_u64 s[6:7], 0
	s_addc_u32 s23, s13, 0
	v_cmp_eq_u32_e32 vcc, 0, v14
	s_waitcnt lgkmcnt(0)
	s_barrier
	s_and_saveexec_b64 s[6:7], vcc
	s_cbranch_execz .LBB395_520
; %bb.519:
	s_mul_i32 s8, s23, s18
	s_mul_i32 s8, s8, s19
	;; [unrolled: 1-line block ×3, first 2 shown]
	s_ashr_i32 s9, s8, 31
	s_ashr_i32 s11, s10, 31
	;; [unrolled: 1-line block ×3, first 2 shown]
	s_lshl_b64 s[8:9], s[8:9], 2
	s_lshl_b64 s[10:11], s[10:11], 2
	;; [unrolled: 1-line block ×3, first 2 shown]
	s_add_u32 s10, s12, s10
	s_addc_u32 s11, s13, s11
	s_add_u32 s8, s10, s8
	s_addc_u32 s9, s11, s9
	v_mov_b32_e32 v1, s9
	v_add_co_u32_e32 v4, vcc, s8, v35
	v_addc_co_u32_e32 v5, vcc, v1, v34, vcc
	flat_store_dword v[4:5], v0
	v_add_co_u32_e32 v0, vcc, s8, v33
	v_addc_co_u32_e32 v1, vcc, v1, v25, vcc
	flat_store_dword v[0:1], v2
.LBB395_520:
	s_or_b64 exec, exec, s[6:7]
	v_mov_b32_e32 v13, 0
	v_and_b32_e32 v25, 3, v14
	v_mov_b32_e32 v12, 0
	v_mov_b32_e32 v19, 0
	;; [unrolled: 1-line block ×5, first 2 shown]
	s_and_saveexec_b64 s[6:7], s[4:5]
	s_cbranch_execz .LBB395_1240
; %bb.521:
	flat_load_dword v26, v[26:27]
	v_add_co_u32_e32 v0, vcc, v10, v48
	v_add_u32_e32 v3, -1, v37
	s_ashr_i32 s21, s20, 31
	v_addc_co_u32_e32 v1, vcc, v11, v49, vcc
	v_accvgpr_write_b32 a9, v3
	v_and_b32_e32 v3, 0x1f8, v31
	s_lshl_b64 s[4:5], s[20:21], 2
	v_add_co_u32_e32 v0, vcc, v0, v3
	s_getpc_b64 s[8:9]
	s_add_u32 s8, s8, llvm.amdgcn.dynlds.offset.table@rel32@lo+4
	s_addc_u32 s9, s9, llvm.amdgcn.dynlds.offset.table@rel32@hi+12
	v_addc_co_u32_e32 v1, vcc, 0, v1, vcc
	s_add_u32 s4, s4, s8
	v_accvgpr_write_b32 a11, v1
	s_addc_u32 s5, s5, s9
	v_accvgpr_write_b32 a10, v0
	v_lshlrev_b64 v[0:1], 2, v[16:17]
	s_load_dword s4, s[4:5], 0x0
	v_add_co_u32_e32 v0, vcc, v38, v0
	v_addc_co_u32_e32 v1, vcc, v39, v1, vcc
	v_and_b32_e32 v2, 24, v31
	v_add_co_u32_e32 v14, vcc, v30, v0
	v_lshl_add_u32 v0, v36, 5, s36
	v_add3_u32 v17, v0, v2, 7
	v_lshlrev_b32_e32 v0, 5, v25
	s_mov_b32 s8, -1
	v_lshl_or_b32 v0, v36, 7, v0
	v_accvgpr_write_b32 a7, v24
	v_accvgpr_write_b32 a6, v23
	;; [unrolled: 1-line block ×3, first 2 shown]
	s_mov_b32 s9, 0xffffff
	v_mov_b32_e32 v11, 0
	v_addc_co_u32_e32 v15, vcc, v15, v1, vcc
	v_accvgpr_write_b32 a8, v25
	s_waitcnt lgkmcnt(0)
	v_add_u32_e32 v34, s4, v0
	s_mov_b64 s[10:11], 0
	s_mov_b32 s15, 0x7f800000
	s_movk_i32 s21, 0x7fff
	s_movk_i32 s28, 0x80
	;; [unrolled: 1-line block ×3, first 2 shown]
	v_bfrev_b32_e32 v56, 60
	v_mov_b32_e32 v20, 0
	v_mov_b32_e32 v21, 0
	;; [unrolled: 1-line block ×6, first 2 shown]
	s_branch .LBB395_523
.LBB395_522:                            ;   in Loop: Header=BB395_523 Depth=1
	s_or_b64 exec, exec, s[4:5]
	v_accvgpr_read_b32 v29, a15
	v_and_b32_e32 v55, 0xffff0000, v29
	v_accvgpr_read_b32 v29, a13
	v_and_b32_e32 v54, 0xffff0000, v29
	;; [unrolled: 2-line block ×3, first 2 shown]
	v_and_b32_e32 v40, 0xffff0000, v57
	v_accvgpr_read_b32 v29, a19
	v_pk_add_f32 v[54:55], v[40:41], v[54:55]
	v_and_b32_e32 v41, 0xffff0000, v29
	v_accvgpr_read_b32 v29, a17
	v_and_b32_e32 v40, 0xffff0000, v29
	v_accvgpr_read_b32 v29, a18
	v_and_b32_e32 v43, 0xffff0000, v29
	v_accvgpr_read_b32 v29, a16
	v_and_b32_e32 v42, 0xffff0000, v29
	v_pk_add_f32 v[40:41], v[42:43], v[40:41]
	v_add_f32_e32 v29, v54, v55
	v_add_f32_e32 v29, v29, v40
	;; [unrolled: 1-line block ×4, first 2 shown]
	v_accvgpr_read_b32 v29, a29
	v_and_b32_e32 v54, 0xffff0000, v29
	v_accvgpr_read_b32 v29, a28
	v_and_b32_e32 v40, 0xffff0000, v29
	;; [unrolled: 2-line block ×6, first 2 shown]
	v_and_b32_e32 v55, 0xffff0000, v59
	v_and_b32_e32 v41, 0xffff0000, v58
	v_pk_add_f32 v[42:43], v[44:45], v[42:43]
	v_pk_add_f32 v[54:55], v[40:41], v[54:55]
	v_add_f32_e32 v29, v42, v43
	v_add_f32_e32 v29, v29, v54
	;; [unrolled: 1-line block ×3, first 2 shown]
	v_and_b32_e32 v55, 0xffff0000, v33
	v_and_b32_e32 v54, 0xffff0000, v61
	;; [unrolled: 1-line block ×4, first 2 shown]
	v_add_f32_e32 v21, v21, v29
	v_and_b32_e32 v29, 0xffff0000, v4
	v_and_b32_e32 v28, 0xffff0000, v28
	;; [unrolled: 1-line block ×4, first 2 shown]
	v_pk_add_f32 v[54:55], v[40:41], v[54:55]
	v_pk_add_f32 v[28:29], v[30:31], v[28:29]
	v_add_f32_e32 v4, v54, v55
	v_add_f32_e32 v4, v4, v28
	v_and_b32_e32 v23, 0xffff0000, v22
	v_and_b32_e32 v22, 0xffff0000, v25
	v_and_b32_e32 v25, 0xffff0000, v7
	v_and_b32_e32 v24, 0xffff0000, v24
	v_add_f32_e32 v4, v4, v29
	v_and_b32_e32 v29, 0xffff0000, v37
	v_and_b32_e32 v28, 0xffff0000, v9
	;; [unrolled: 1-line block ×4, first 2 shown]
	v_pk_add_f32 v[22:23], v[24:25], v[22:23]
	v_add_f32_e32 v18, v18, v4
	v_pk_add_f32 v[8:9], v[8:9], v[28:29]
	v_add_f32_e32 v4, v22, v23
	v_add_f32_e32 v4, v4, v8
	v_and_b32_e32 v7, 0xffff0000, v39
	v_and_b32_e32 v6, 0xffff0000, v6
	;; [unrolled: 1-line block ×4, first 2 shown]
	v_add_f32_e32 v4, v4, v9
	v_and_b32_e32 v9, 0xffff0000, v51
	v_and_b32_e32 v8, 0xffff0000, v49
	;; [unrolled: 1-line block ×4, first 2 shown]
	v_pk_add_f32 v[6:7], v[24:25], v[6:7]
	v_pk_add_f32 v[8:9], v[22:23], v[8:9]
	v_add_f32_e32 v3, v6, v7
	v_add_f32_e32 v3, v3, v8
	;; [unrolled: 1-line block ×3, first 2 shown]
	v_and_b32_e32 v9, 0xffff0000, v10
	v_and_b32_e32 v8, 0xffff0000, v1
	;; [unrolled: 1-line block ×4, first 2 shown]
	v_add_f32_e32 v19, v19, v4
	v_and_b32_e32 v5, 0xffff0000, v5
	v_and_b32_e32 v4, 0xffff0000, v27
	;; [unrolled: 1-line block ×4, first 2 shown]
	v_pk_add_f32 v[0:1], v[0:1], v[8:9]
	v_add_f32_e32 v12, v12, v3
	v_pk_add_f32 v[2:3], v[6:7], v[4:5]
	v_add_f32_e32 v0, v0, v1
	v_add_f32_e32 v0, v0, v2
	;; [unrolled: 1-line block ×3, first 2 shown]
	v_add_co_u32_e32 v14, vcc, 8, v14
	v_add_f32_e32 v13, v13, v0
	v_add_u32_e32 v16, 2, v16
	v_addc_co_u32_e32 v15, vcc, 0, v15, vcc
	v_accvgpr_read_b32 v0, a3
	v_cmp_ge_i32_e32 vcc, v16, v0
	v_add_u32_e32 v17, 64, v17
	s_or_b64 s[10:11], vcc, s[10:11]
	v_add_u32_e32 v34, 0x100, v34
	s_andn2_b64 exec, exec, s[10:11]
	s_cbranch_execz .LBB395_1239
.LBB395_523:                            ; =>This Inner Loop Header: Depth=1
	flat_load_dword v10, v[14:15]
	ds_read2_b64 v[6:9], v34 offset1:1
	ds_read2_b64 v[0:3], v34 offset0:2 offset1:3
                                        ; implicit-def: $vgpr25
	s_waitcnt lgkmcnt(0)
	v_and_b32_e32 v4, 0x7f800000, v6
	v_cmp_ne_u32_e32 vcc, s15, v4
	s_and_saveexec_b64 s[4:5], vcc
	s_xor_b64 s[4:5], exec, s[4:5]
; %bb.524:                              ;   in Loop: Header=BB395_523 Depth=1
	v_bfe_u32 v4, v6, 16, 1
	v_add3_u32 v25, v6, v4, s21
; %bb.525:                              ;   in Loop: Header=BB395_523 Depth=1
	s_andn2_saveexec_b64 s[4:5], s[4:5]
; %bb.526:                              ;   in Loop: Header=BB395_523 Depth=1
	v_or_b32_e32 v4, 0x10000, v6
	v_cmp_eq_u32_sdwa vcc, v6, v11 src0_sel:WORD_0 src1_sel:DWORD
	v_cndmask_b32_e32 v25, v4, v6, vcc
; %bb.527:                              ;   in Loop: Header=BB395_523 Depth=1
	s_or_b64 exec, exec, s[4:5]
	v_and_b32_e32 v4, 0x7f800000, v7
	v_cmp_ne_u32_e32 vcc, s15, v4
                                        ; implicit-def: $vgpr24
	s_and_saveexec_b64 s[4:5], vcc
	s_xor_b64 s[4:5], exec, s[4:5]
; %bb.528:                              ;   in Loop: Header=BB395_523 Depth=1
	v_bfe_u32 v4, v7, 16, 1
	v_add3_u32 v24, v7, v4, s21
; %bb.529:                              ;   in Loop: Header=BB395_523 Depth=1
	s_andn2_saveexec_b64 s[4:5], s[4:5]
; %bb.530:                              ;   in Loop: Header=BB395_523 Depth=1
	v_or_b32_e32 v4, 0x10000, v7
	v_cmp_eq_u32_sdwa vcc, v7, v11 src0_sel:WORD_0 src1_sel:DWORD
	v_cndmask_b32_e32 v24, v4, v7, vcc
; %bb.531:                              ;   in Loop: Header=BB395_523 Depth=1
	s_or_b64 exec, exec, s[4:5]
	v_and_b32_e32 v4, 0x7f800000, v8
	v_cmp_ne_u32_e32 vcc, s15, v4
                                        ; implicit-def: $vgpr23
	s_and_saveexec_b64 s[4:5], vcc
	s_xor_b64 s[4:5], exec, s[4:5]
; %bb.532:                              ;   in Loop: Header=BB395_523 Depth=1
	v_bfe_u32 v4, v8, 16, 1
	v_add3_u32 v23, v8, v4, s21
; %bb.533:                              ;   in Loop: Header=BB395_523 Depth=1
	s_andn2_saveexec_b64 s[4:5], s[4:5]
; %bb.534:                              ;   in Loop: Header=BB395_523 Depth=1
	v_or_b32_e32 v4, 0x10000, v8
	v_cmp_eq_u32_sdwa vcc, v8, v11 src0_sel:WORD_0 src1_sel:DWORD
	v_cndmask_b32_e32 v23, v4, v8, vcc
; %bb.535:                              ;   in Loop: Header=BB395_523 Depth=1
	s_or_b64 exec, exec, s[4:5]
	v_and_b32_e32 v4, 0x7f800000, v9
	v_cmp_ne_u32_e32 vcc, s15, v4
                                        ; implicit-def: $vgpr22
	s_and_saveexec_b64 s[4:5], vcc
	s_xor_b64 s[4:5], exec, s[4:5]
; %bb.536:                              ;   in Loop: Header=BB395_523 Depth=1
	v_bfe_u32 v4, v9, 16, 1
	v_add3_u32 v22, v9, v4, s21
                                        ; implicit-def: $vgpr6_vgpr7_vgpr8_vgpr9
; %bb.537:                              ;   in Loop: Header=BB395_523 Depth=1
	s_andn2_saveexec_b64 s[4:5], s[4:5]
; %bb.538:                              ;   in Loop: Header=BB395_523 Depth=1
	v_or_b32_e32 v4, 0x10000, v9
	v_cmp_eq_u32_sdwa vcc, v9, v11 src0_sel:WORD_0 src1_sel:DWORD
	v_cndmask_b32_e32 v22, v4, v9, vcc
; %bb.539:                              ;   in Loop: Header=BB395_523 Depth=1
	s_or_b64 exec, exec, s[4:5]
	v_and_b32_e32 v4, 0x7f800000, v0
	v_cmp_ne_u32_e32 vcc, s15, v4
                                        ; implicit-def: $vgpr8
	s_and_saveexec_b64 s[4:5], vcc
	s_xor_b64 s[4:5], exec, s[4:5]
; %bb.540:                              ;   in Loop: Header=BB395_523 Depth=1
	v_bfe_u32 v4, v0, 16, 1
	v_add3_u32 v8, v0, v4, s21
; %bb.541:                              ;   in Loop: Header=BB395_523 Depth=1
	s_andn2_saveexec_b64 s[4:5], s[4:5]
; %bb.542:                              ;   in Loop: Header=BB395_523 Depth=1
	v_or_b32_e32 v4, 0x10000, v0
	v_cmp_eq_u32_sdwa vcc, v0, v11 src0_sel:WORD_0 src1_sel:DWORD
	v_cndmask_b32_e32 v8, v4, v0, vcc
; %bb.543:                              ;   in Loop: Header=BB395_523 Depth=1
	s_or_b64 exec, exec, s[4:5]
	v_and_b32_e32 v0, 0x7f800000, v1
	v_cmp_ne_u32_e32 vcc, s15, v0
                                        ; implicit-def: $vgpr7
	s_and_saveexec_b64 s[4:5], vcc
	s_xor_b64 s[4:5], exec, s[4:5]
; %bb.544:                              ;   in Loop: Header=BB395_523 Depth=1
	v_bfe_u32 v0, v1, 16, 1
	v_add3_u32 v7, v1, v0, s21
; %bb.545:                              ;   in Loop: Header=BB395_523 Depth=1
	s_andn2_saveexec_b64 s[4:5], s[4:5]
; %bb.546:                              ;   in Loop: Header=BB395_523 Depth=1
	v_or_b32_e32 v0, 0x10000, v1
	v_cmp_eq_u32_sdwa vcc, v1, v11 src0_sel:WORD_0 src1_sel:DWORD
	v_cndmask_b32_e32 v7, v0, v1, vcc
; %bb.547:                              ;   in Loop: Header=BB395_523 Depth=1
	s_or_b64 exec, exec, s[4:5]
	v_and_b32_e32 v0, 0x7f800000, v2
	v_cmp_ne_u32_e32 vcc, s15, v0
                                        ; implicit-def: $vgpr5
	s_and_saveexec_b64 s[4:5], vcc
	s_xor_b64 s[4:5], exec, s[4:5]
; %bb.548:                              ;   in Loop: Header=BB395_523 Depth=1
	v_bfe_u32 v0, v2, 16, 1
	v_add3_u32 v5, v2, v0, s21
; %bb.549:                              ;   in Loop: Header=BB395_523 Depth=1
	s_andn2_saveexec_b64 s[4:5], s[4:5]
; %bb.550:                              ;   in Loop: Header=BB395_523 Depth=1
	v_or_b32_e32 v0, 0x10000, v2
	v_cmp_eq_u32_sdwa vcc, v2, v11 src0_sel:WORD_0 src1_sel:DWORD
	v_cndmask_b32_e32 v5, v0, v2, vcc
; %bb.551:                              ;   in Loop: Header=BB395_523 Depth=1
	s_or_b64 exec, exec, s[4:5]
	v_and_b32_e32 v0, 0x7f800000, v3
	v_cmp_ne_u32_e32 vcc, s15, v0
                                        ; implicit-def: $vgpr4
	s_and_saveexec_b64 s[4:5], vcc
	s_xor_b64 s[4:5], exec, s[4:5]
; %bb.552:                              ;   in Loop: Header=BB395_523 Depth=1
	v_bfe_u32 v0, v3, 16, 1
	v_add3_u32 v4, v3, v0, s21
                                        ; implicit-def: $vgpr0_vgpr1_vgpr2_vgpr3
; %bb.553:                              ;   in Loop: Header=BB395_523 Depth=1
	s_andn2_saveexec_b64 s[4:5], s[4:5]
; %bb.554:                              ;   in Loop: Header=BB395_523 Depth=1
	v_or_b32_e32 v0, 0x10000, v3
	v_cmp_eq_u32_sdwa vcc, v3, v11 src0_sel:WORD_0 src1_sel:DWORD
	v_cndmask_b32_e32 v4, v0, v3, vcc
; %bb.555:                              ;   in Loop: Header=BB395_523 Depth=1
	s_or_b64 exec, exec, s[4:5]
	v_accvgpr_read_b32 v2, a10
	v_accvgpr_read_b32 v0, a4
	;; [unrolled: 1-line block ×3, first 2 shown]
	s_waitcnt vmcnt(0)
	v_mad_i64_i32 v[0:1], s[4:5], v10, v0, v[2:3]
	flat_load_dwordx2 v[2:3], v[0:1]
	v_mov_b32_e32 v6, 0
	s_waitcnt vmcnt(0) lgkmcnt(0)
	v_cmp_ne_u16_sdwa s[12:13], v2, v11 src0_sel:BYTE_0 src1_sel:DWORD
	s_and_saveexec_b64 s[4:5], s[12:13]
	s_cbranch_execz .LBB395_561
; %bb.556:                              ;   in Loop: Header=BB395_523 Depth=1
	v_cmp_ne_u16_sdwa s[24:25], v2, s28 src0_sel:BYTE_0 src1_sel:DWORD
	v_bfrev_b32_e32 v6, 1
	s_and_saveexec_b64 s[12:13], s[24:25]
	s_cbranch_execz .LBB395_560
; %bb.557:                              ;   in Loop: Header=BB395_523 Depth=1
	v_and_b32_e32 v9, 0x7f, v2
	v_cmp_ne_u32_e32 vcc, s29, v9
	v_mov_b32_e32 v6, 0x7f800001
	s_and_saveexec_b64 s[24:25], vcc
	s_cbranch_execz .LBB395_559
; %bb.558:                              ;   in Loop: Header=BB395_523 Depth=1
	v_and_b32_e32 v6, 7, v2
	v_ffbh_u32_e32 v6, v6
	v_min_u32_e32 v6, 32, v6
	v_subrev_u32_e32 v27, 28, v6
	v_cmp_gt_u32_e32 vcc, 8, v9
	v_lshrrev_b32_e32 v10, 3, v9
	v_cndmask_b32_e32 v9, 0, v27, vcc
	v_sub_u32_e32 v6, 29, v6
	v_lshlrev_b64 v[28:29], v9, v[2:3]
	v_cndmask_b32_e32 v6, v10, v6, vcc
	v_lshlrev_b32_e32 v9, 20, v28
	v_lshlrev_b32_e32 v10, 24, v2
	v_and_b32_e32 v9, 0x700000, v9
	v_and_b32_e32 v10, 0x80000000, v10
	v_lshl_add_u32 v6, v6, 23, v56
	v_or3_b32 v6, v10, v6, v9
.LBB395_559:                            ;   in Loop: Header=BB395_523 Depth=1
	s_or_b64 exec, exec, s[24:25]
.LBB395_560:                            ;   in Loop: Header=BB395_523 Depth=1
	s_or_b64 exec, exec, s[12:13]
.LBB395_561:                            ;   in Loop: Header=BB395_523 Depth=1
	s_or_b64 exec, exec, s[4:5]
	v_mul_f32_e32 v6, v26, v6
	v_and_b32_e32 v9, 0x7f800000, v6
	v_cmp_ne_u32_e32 vcc, s15, v9
                                        ; implicit-def: $vgpr9
	s_and_saveexec_b64 s[4:5], vcc
	s_xor_b64 s[4:5], exec, s[4:5]
; %bb.562:                              ;   in Loop: Header=BB395_523 Depth=1
	v_bfe_u32 v9, v6, 16, 1
	v_add3_u32 v9, v6, v9, s21
                                        ; implicit-def: $vgpr6
; %bb.563:                              ;   in Loop: Header=BB395_523 Depth=1
	s_andn2_saveexec_b64 s[4:5], s[4:5]
; %bb.564:                              ;   in Loop: Header=BB395_523 Depth=1
	v_or_b32_e32 v9, 0x10000, v6
	v_cmp_eq_u32_sdwa vcc, v6, v11 src0_sel:WORD_0 src1_sel:DWORD
	v_cndmask_b32_e32 v9, v9, v6, vcc
; %bb.565:                              ;   in Loop: Header=BB395_523 Depth=1
	s_or_b64 exec, exec, s[4:5]
	v_lshrrev_b16_e32 v6, 8, v2
	v_cmp_ne_u16_e32 vcc, 0, v6
	v_mov_b32_e32 v10, 0
	s_and_saveexec_b64 s[4:5], vcc
	s_cbranch_execz .LBB395_571
; %bb.566:                              ;   in Loop: Header=BB395_523 Depth=1
	v_cmp_ne_u16_e32 vcc, s28, v6
	v_bfrev_b32_e32 v10, 1
	s_and_saveexec_b64 s[12:13], vcc
	s_cbranch_execz .LBB395_570
; %bb.567:                              ;   in Loop: Header=BB395_523 Depth=1
	v_and_b32_e32 v27, 0x7f, v6
	v_cmp_ne_u32_e32 vcc, s29, v27
	v_mov_b32_e32 v10, 0x7f800001
	s_and_saveexec_b64 s[24:25], vcc
	s_cbranch_execz .LBB395_569
; %bb.568:                              ;   in Loop: Header=BB395_523 Depth=1
	v_and_b32_e32 v10, 7, v6
	v_ffbh_u32_e32 v28, v10
	v_min_u32_e32 v31, 32, v28
	v_subrev_u32_e32 v28, 28, v31
	v_lshlrev_b64 v[28:29], v28, v[6:7]
	v_lshrrev_b32_e32 v30, 3, v27
	v_sub_u32_e32 v6, 29, v31
	v_and_b32_e32 v28, 7, v28
	v_cmp_gt_u32_e32 vcc, 8, v27
	v_cndmask_b32_e32 v6, v30, v6, vcc
	v_cndmask_b32_e32 v10, v10, v28, vcc
	v_lshlrev_b32_e32 v27, 16, v2
	v_lshlrev_b32_e32 v10, 20, v10
	v_and_b32_e32 v27, 0x80000000, v27
	v_lshl_add_u32 v6, v6, 23, v56
	v_or3_b32 v10, v27, v6, v10
.LBB395_569:                            ;   in Loop: Header=BB395_523 Depth=1
	s_or_b64 exec, exec, s[24:25]
.LBB395_570:                            ;   in Loop: Header=BB395_523 Depth=1
	s_or_b64 exec, exec, s[12:13]
.LBB395_571:                            ;   in Loop: Header=BB395_523 Depth=1
	s_or_b64 exec, exec, s[4:5]
	v_mul_f32_e32 v6, v26, v10
	v_and_b32_e32 v10, 0x7f800000, v6
	v_cmp_ne_u32_e32 vcc, s15, v10
                                        ; implicit-def: $vgpr27
	s_and_saveexec_b64 s[4:5], vcc
	s_xor_b64 s[4:5], exec, s[4:5]
; %bb.572:                              ;   in Loop: Header=BB395_523 Depth=1
	v_bfe_u32 v10, v6, 16, 1
	v_add3_u32 v27, v6, v10, s21
                                        ; implicit-def: $vgpr6
; %bb.573:                              ;   in Loop: Header=BB395_523 Depth=1
	s_andn2_saveexec_b64 s[4:5], s[4:5]
; %bb.574:                              ;   in Loop: Header=BB395_523 Depth=1
	v_or_b32_e32 v10, 0x10000, v6
	v_cmp_eq_u32_sdwa vcc, v6, v11 src0_sel:WORD_0 src1_sel:DWORD
	v_cndmask_b32_e32 v27, v10, v6, vcc
; %bb.575:                              ;   in Loop: Header=BB395_523 Depth=1
	s_or_b64 exec, exec, s[4:5]
	v_lshrrev_b32_e32 v6, 16, v2
	v_cmp_ne_u16_sdwa s[12:13], v6, v11 src0_sel:BYTE_0 src1_sel:DWORD
	v_mov_b32_e32 v10, 0
	s_and_saveexec_b64 s[4:5], s[12:13]
	s_cbranch_execz .LBB395_581
; %bb.576:                              ;   in Loop: Header=BB395_523 Depth=1
	v_cmp_ne_u16_sdwa s[24:25], v6, s28 src0_sel:BYTE_0 src1_sel:DWORD
	v_bfrev_b32_e32 v10, 1
	s_and_saveexec_b64 s[12:13], s[24:25]
	s_cbranch_execz .LBB395_580
; %bb.577:                              ;   in Loop: Header=BB395_523 Depth=1
	v_bfe_u32 v28, v2, 16, 7
	v_cmp_ne_u32_e32 vcc, s29, v28
	v_mov_b32_e32 v10, 0x7f800001
	s_and_saveexec_b64 s[24:25], vcc
	s_cbranch_execz .LBB395_579
; %bb.578:                              ;   in Loop: Header=BB395_523 Depth=1
	v_and_b32_e32 v10, 7, v6
	v_ffbh_u32_e32 v30, v10
	v_min_u32_e32 v33, 32, v30
	v_subrev_u32_e32 v30, 28, v33
	v_lshlrev_b64 v[30:31], v30, v[6:7]
	v_lshrrev_b32_e32 v29, 3, v28
	v_sub_u32_e32 v31, 29, v33
	v_and_b32_e32 v30, 7, v30
	v_cmp_gt_u32_e32 vcc, 8, v28
	v_cndmask_b32_e32 v28, v29, v31, vcc
	v_cndmask_b32_e32 v10, v10, v30, vcc
	v_lshlrev_b32_e32 v6, 24, v6
	v_lshlrev_b32_e32 v10, 20, v10
	v_and_b32_e32 v6, 0x80000000, v6
	v_lshl_add_u32 v28, v28, 23, v56
	v_or3_b32 v10, v6, v28, v10
.LBB395_579:                            ;   in Loop: Header=BB395_523 Depth=1
	s_or_b64 exec, exec, s[24:25]
.LBB395_580:                            ;   in Loop: Header=BB395_523 Depth=1
	s_or_b64 exec, exec, s[12:13]
.LBB395_581:                            ;   in Loop: Header=BB395_523 Depth=1
	s_or_b64 exec, exec, s[4:5]
	v_mul_f32_e32 v6, v26, v10
	v_and_b32_e32 v10, 0x7f800000, v6
	v_cmp_ne_u32_e32 vcc, s15, v10
                                        ; implicit-def: $vgpr28
	s_and_saveexec_b64 s[4:5], vcc
	s_xor_b64 s[4:5], exec, s[4:5]
; %bb.582:                              ;   in Loop: Header=BB395_523 Depth=1
	v_bfe_u32 v10, v6, 16, 1
	v_add3_u32 v28, v6, v10, s21
                                        ; implicit-def: $vgpr6
; %bb.583:                              ;   in Loop: Header=BB395_523 Depth=1
	s_andn2_saveexec_b64 s[4:5], s[4:5]
; %bb.584:                              ;   in Loop: Header=BB395_523 Depth=1
	v_or_b32_e32 v10, 0x10000, v6
	v_cmp_eq_u32_sdwa vcc, v6, v11 src0_sel:WORD_0 src1_sel:DWORD
	v_cndmask_b32_e32 v28, v10, v6, vcc
; %bb.585:                              ;   in Loop: Header=BB395_523 Depth=1
	s_or_b64 exec, exec, s[4:5]
	v_cmp_lt_u32_e32 vcc, s9, v2
	v_mov_b32_e32 v10, 0
	s_and_saveexec_b64 s[4:5], vcc
	s_cbranch_execz .LBB395_591
; %bb.586:                              ;   in Loop: Header=BB395_523 Depth=1
	v_lshrrev_b32_e32 v6, 24, v2
	v_cmp_ne_u32_e32 vcc, s28, v6
	v_bfrev_b32_e32 v10, 1
	s_and_saveexec_b64 s[12:13], vcc
	s_cbranch_execz .LBB395_590
; %bb.587:                              ;   in Loop: Header=BB395_523 Depth=1
	v_bfe_u32 v29, v2, 24, 7
	v_cmp_ne_u32_e32 vcc, s29, v29
	v_mov_b32_e32 v10, 0x7f800001
	s_and_saveexec_b64 s[24:25], vcc
	s_cbranch_execz .LBB395_589
; %bb.588:                              ;   in Loop: Header=BB395_523 Depth=1
	v_and_b32_e32 v10, 7, v6
	v_ffbh_u32_e32 v30, v10
	v_min_u32_e32 v35, 32, v30
	v_subrev_u32_e32 v30, 28, v35
	v_lshlrev_b64 v[30:31], v30, v[6:7]
	v_lshrrev_b32_e32 v33, 3, v29
	v_sub_u32_e32 v31, 29, v35
	v_and_b32_e32 v30, 7, v30
	v_cmp_gt_u32_e32 vcc, 8, v29
	v_cndmask_b32_e32 v29, v33, v31, vcc
	v_cndmask_b32_e32 v10, v10, v30, vcc
	v_lshlrev_b32_e32 v6, 24, v6
	v_lshlrev_b32_e32 v10, 20, v10
	v_and_b32_e32 v6, 0x80000000, v6
	v_lshl_add_u32 v29, v29, 23, v56
	v_or3_b32 v10, v6, v29, v10
.LBB395_589:                            ;   in Loop: Header=BB395_523 Depth=1
	s_or_b64 exec, exec, s[24:25]
.LBB395_590:                            ;   in Loop: Header=BB395_523 Depth=1
	s_or_b64 exec, exec, s[12:13]
.LBB395_591:                            ;   in Loop: Header=BB395_523 Depth=1
	s_or_b64 exec, exec, s[4:5]
	v_mul_f32_e32 v6, v26, v10
	v_and_b32_e32 v10, 0x7f800000, v6
	v_cmp_ne_u32_e32 vcc, s15, v10
                                        ; implicit-def: $vgpr29
	s_and_saveexec_b64 s[4:5], vcc
	s_xor_b64 s[4:5], exec, s[4:5]
; %bb.592:                              ;   in Loop: Header=BB395_523 Depth=1
	v_bfe_u32 v10, v6, 16, 1
	v_add3_u32 v29, v6, v10, s21
                                        ; implicit-def: $vgpr6
; %bb.593:                              ;   in Loop: Header=BB395_523 Depth=1
	s_andn2_saveexec_b64 s[4:5], s[4:5]
; %bb.594:                              ;   in Loop: Header=BB395_523 Depth=1
	v_or_b32_e32 v10, 0x10000, v6
	v_cmp_eq_u32_sdwa vcc, v6, v11 src0_sel:WORD_0 src1_sel:DWORD
	v_cndmask_b32_e32 v29, v10, v6, vcc
; %bb.595:                              ;   in Loop: Header=BB395_523 Depth=1
	s_or_b64 exec, exec, s[4:5]
	v_mov_b32_e32 v10, v3
	v_cmp_ne_u16_sdwa s[12:13], v3, v11 src0_sel:BYTE_0 src1_sel:DWORD
	v_mov_b32_e32 v6, 0
	s_and_saveexec_b64 s[4:5], s[12:13]
	s_cbranch_execz .LBB395_601
; %bb.596:                              ;   in Loop: Header=BB395_523 Depth=1
	v_cmp_ne_u16_sdwa s[24:25], v3, s28 src0_sel:BYTE_0 src1_sel:DWORD
	v_bfrev_b32_e32 v6, 1
	s_and_saveexec_b64 s[12:13], s[24:25]
	s_cbranch_execz .LBB395_600
; %bb.597:                              ;   in Loop: Header=BB395_523 Depth=1
	v_and_b32_e32 v30, 0x7f, v3
	v_cmp_ne_u32_e32 vcc, s29, v30
	v_mov_b32_e32 v6, 0x7f800001
	s_and_saveexec_b64 s[24:25], vcc
	s_cbranch_execz .LBB395_599
; %bb.598:                              ;   in Loop: Header=BB395_523 Depth=1
	v_and_b32_e32 v6, 7, v3
	v_ffbh_u32_e32 v6, v6
	v_min_u32_e32 v6, 32, v6
	v_subrev_u32_e32 v33, 28, v6
	v_cmp_gt_u32_e32 vcc, 8, v30
	v_lshrrev_b32_e32 v31, 3, v30
	v_sub_u32_e32 v6, 29, v6
	v_cndmask_b32_e32 v30, 0, v33, vcc
	v_cndmask_b32_e32 v6, v31, v6, vcc
	v_lshlrev_b64 v[30:31], v30, v[10:11]
	v_lshlrev_b32_e32 v30, 20, v30
	v_lshlrev_b32_e32 v31, 24, v10
	v_and_b32_e32 v30, 0x700000, v30
	v_and_b32_e32 v31, 0x80000000, v31
	v_lshl_add_u32 v6, v6, 23, v56
	v_or3_b32 v6, v31, v6, v30
.LBB395_599:                            ;   in Loop: Header=BB395_523 Depth=1
	s_or_b64 exec, exec, s[24:25]
.LBB395_600:                            ;   in Loop: Header=BB395_523 Depth=1
	s_or_b64 exec, exec, s[12:13]
.LBB395_601:                            ;   in Loop: Header=BB395_523 Depth=1
	s_or_b64 exec, exec, s[4:5]
	v_mul_f32_e32 v6, v26, v6
	v_and_b32_e32 v30, 0x7f800000, v6
	v_cmp_ne_u32_e32 vcc, s15, v30
                                        ; implicit-def: $vgpr30
	s_and_saveexec_b64 s[4:5], vcc
	s_xor_b64 s[4:5], exec, s[4:5]
; %bb.602:                              ;   in Loop: Header=BB395_523 Depth=1
	v_bfe_u32 v30, v6, 16, 1
	v_add3_u32 v30, v6, v30, s21
                                        ; implicit-def: $vgpr6
; %bb.603:                              ;   in Loop: Header=BB395_523 Depth=1
	s_andn2_saveexec_b64 s[4:5], s[4:5]
; %bb.604:                              ;   in Loop: Header=BB395_523 Depth=1
	v_or_b32_e32 v30, 0x10000, v6
	v_cmp_eq_u32_sdwa vcc, v6, v11 src0_sel:WORD_0 src1_sel:DWORD
	v_cndmask_b32_e32 v30, v30, v6, vcc
; %bb.605:                              ;   in Loop: Header=BB395_523 Depth=1
	s_or_b64 exec, exec, s[4:5]
	v_lshrrev_b16_e32 v6, 8, v10
	v_cmp_ne_u16_e32 vcc, 0, v6
	v_mov_b32_e32 v31, 0
	s_and_saveexec_b64 s[4:5], vcc
	s_cbranch_execz .LBB395_611
; %bb.606:                              ;   in Loop: Header=BB395_523 Depth=1
	v_cmp_ne_u16_e32 vcc, s28, v6
	v_bfrev_b32_e32 v31, 1
	s_and_saveexec_b64 s[12:13], vcc
	s_cbranch_execz .LBB395_610
; %bb.607:                              ;   in Loop: Header=BB395_523 Depth=1
	v_and_b32_e32 v33, 0x7f, v6
	v_cmp_ne_u32_e32 vcc, s29, v33
	v_mov_b32_e32 v31, 0x7f800001
	s_and_saveexec_b64 s[24:25], vcc
	s_cbranch_execz .LBB395_609
; %bb.608:                              ;   in Loop: Header=BB395_523 Depth=1
	v_and_b32_e32 v31, 7, v6
	v_ffbh_u32_e32 v36, v31
	v_min_u32_e32 v38, 32, v36
	v_subrev_u32_e32 v36, 28, v38
	v_lshlrev_b64 v[36:37], v36, v[6:7]
	v_lshrrev_b32_e32 v35, 3, v33
	v_sub_u32_e32 v6, 29, v38
	v_and_b32_e32 v36, 7, v36
	v_cmp_gt_u32_e32 vcc, 8, v33
	v_cndmask_b32_e32 v6, v35, v6, vcc
	v_cndmask_b32_e32 v31, v31, v36, vcc
	v_lshlrev_b32_e32 v10, 16, v10
	v_lshlrev_b32_e32 v31, 20, v31
	v_and_b32_e32 v10, 0x80000000, v10
	v_lshl_add_u32 v6, v6, 23, v56
	v_or3_b32 v31, v10, v6, v31
.LBB395_609:                            ;   in Loop: Header=BB395_523 Depth=1
	s_or_b64 exec, exec, s[24:25]
.LBB395_610:                            ;   in Loop: Header=BB395_523 Depth=1
	s_or_b64 exec, exec, s[12:13]
.LBB395_611:                            ;   in Loop: Header=BB395_523 Depth=1
	s_or_b64 exec, exec, s[4:5]
	v_mul_f32_e32 v6, v26, v31
	v_and_b32_e32 v10, 0x7f800000, v6
	v_cmp_ne_u32_e32 vcc, s15, v10
                                        ; implicit-def: $vgpr10
	s_and_saveexec_b64 s[4:5], vcc
	s_xor_b64 s[4:5], exec, s[4:5]
; %bb.612:                              ;   in Loop: Header=BB395_523 Depth=1
	v_bfe_u32 v10, v6, 16, 1
	v_add3_u32 v10, v6, v10, s21
                                        ; implicit-def: $vgpr6
; %bb.613:                              ;   in Loop: Header=BB395_523 Depth=1
	s_andn2_saveexec_b64 s[4:5], s[4:5]
; %bb.614:                              ;   in Loop: Header=BB395_523 Depth=1
	v_or_b32_e32 v10, 0x10000, v6
	v_cmp_eq_u32_sdwa vcc, v6, v11 src0_sel:WORD_0 src1_sel:DWORD
	v_cndmask_b32_e32 v10, v10, v6, vcc
; %bb.615:                              ;   in Loop: Header=BB395_523 Depth=1
	s_or_b64 exec, exec, s[4:5]
	v_lshrrev_b32_e32 v6, 16, v3
	v_cmp_ne_u16_sdwa s[12:13], v6, v11 src0_sel:BYTE_0 src1_sel:DWORD
	v_mov_b32_e32 v31, 0
	s_and_saveexec_b64 s[4:5], s[12:13]
	s_cbranch_execz .LBB395_621
; %bb.616:                              ;   in Loop: Header=BB395_523 Depth=1
	v_cmp_ne_u16_sdwa s[24:25], v6, s28 src0_sel:BYTE_0 src1_sel:DWORD
	v_bfrev_b32_e32 v31, 1
	s_and_saveexec_b64 s[12:13], s[24:25]
	s_cbranch_execz .LBB395_620
; %bb.617:                              ;   in Loop: Header=BB395_523 Depth=1
	v_bfe_u32 v33, v3, 16, 7
	v_cmp_ne_u32_e32 vcc, s29, v33
	v_mov_b32_e32 v31, 0x7f800001
	s_and_saveexec_b64 s[24:25], vcc
	s_cbranch_execz .LBB395_619
; %bb.618:                              ;   in Loop: Header=BB395_523 Depth=1
	v_and_b32_e32 v31, 7, v6
	v_ffbh_u32_e32 v36, v31
	v_min_u32_e32 v38, 32, v36
	v_subrev_u32_e32 v36, 28, v38
	v_lshlrev_b64 v[36:37], v36, v[6:7]
	v_lshrrev_b32_e32 v35, 3, v33
	v_sub_u32_e32 v37, 29, v38
	v_and_b32_e32 v36, 7, v36
	v_cmp_gt_u32_e32 vcc, 8, v33
	v_cndmask_b32_e32 v33, v35, v37, vcc
	v_cndmask_b32_e32 v31, v31, v36, vcc
	v_lshlrev_b32_e32 v6, 24, v6
	v_lshlrev_b32_e32 v31, 20, v31
	v_and_b32_e32 v6, 0x80000000, v6
	v_lshl_add_u32 v33, v33, 23, v56
	v_or3_b32 v31, v6, v33, v31
.LBB395_619:                            ;   in Loop: Header=BB395_523 Depth=1
	s_or_b64 exec, exec, s[24:25]
.LBB395_620:                            ;   in Loop: Header=BB395_523 Depth=1
	s_or_b64 exec, exec, s[12:13]
.LBB395_621:                            ;   in Loop: Header=BB395_523 Depth=1
	s_or_b64 exec, exec, s[4:5]
	v_mul_f32_e32 v6, v26, v31
	v_and_b32_e32 v31, 0x7f800000, v6
	v_cmp_ne_u32_e32 vcc, s15, v31
                                        ; implicit-def: $vgpr31
	s_and_saveexec_b64 s[4:5], vcc
	s_xor_b64 s[4:5], exec, s[4:5]
; %bb.622:                              ;   in Loop: Header=BB395_523 Depth=1
	v_bfe_u32 v31, v6, 16, 1
	v_add3_u32 v31, v6, v31, s21
                                        ; implicit-def: $vgpr6
; %bb.623:                              ;   in Loop: Header=BB395_523 Depth=1
	s_andn2_saveexec_b64 s[4:5], s[4:5]
; %bb.624:                              ;   in Loop: Header=BB395_523 Depth=1
	v_or_b32_e32 v31, 0x10000, v6
	v_cmp_eq_u32_sdwa vcc, v6, v11 src0_sel:WORD_0 src1_sel:DWORD
	v_cndmask_b32_e32 v31, v31, v6, vcc
; %bb.625:                              ;   in Loop: Header=BB395_523 Depth=1
	s_or_b64 exec, exec, s[4:5]
	v_cmp_lt_u64_e32 vcc, s[8:9], v[2:3]
	v_mov_b32_e32 v6, 0
	s_and_saveexec_b64 s[4:5], vcc
	s_cbranch_execz .LBB395_631
; %bb.626:                              ;   in Loop: Header=BB395_523 Depth=1
	v_lshrrev_b32_e32 v2, 24, v3
	v_cmp_ne_u32_e32 vcc, s28, v2
	v_bfrev_b32_e32 v6, 1
	s_and_saveexec_b64 s[12:13], vcc
	s_cbranch_execz .LBB395_630
; %bb.627:                              ;   in Loop: Header=BB395_523 Depth=1
	v_bfe_u32 v3, v3, 24, 7
	v_cmp_ne_u32_e32 vcc, s29, v3
	v_mov_b32_e32 v6, 0x7f800001
	s_and_saveexec_b64 s[24:25], vcc
	s_cbranch_execz .LBB395_629
; %bb.628:                              ;   in Loop: Header=BB395_523 Depth=1
	v_and_b32_e32 v6, 7, v2
	v_ffbh_u32_e32 v35, v6
	v_min_u32_e32 v35, 32, v35
	v_subrev_u32_e32 v36, 28, v35
	v_lshlrev_b64 v[36:37], v36, v[2:3]
	v_lshrrev_b32_e32 v33, 3, v3
	v_sub_u32_e32 v35, 29, v35
	v_and_b32_e32 v36, 7, v36
	v_cmp_gt_u32_e32 vcc, 8, v3
	v_cndmask_b32_e32 v3, v33, v35, vcc
	v_cndmask_b32_e32 v6, v6, v36, vcc
	v_lshlrev_b32_e32 v2, 24, v2
	v_lshlrev_b32_e32 v6, 20, v6
	v_and_b32_e32 v2, 0x80000000, v2
	v_lshl_add_u32 v3, v3, 23, v56
	v_or3_b32 v6, v2, v3, v6
.LBB395_629:                            ;   in Loop: Header=BB395_523 Depth=1
	s_or_b64 exec, exec, s[24:25]
.LBB395_630:                            ;   in Loop: Header=BB395_523 Depth=1
	s_or_b64 exec, exec, s[12:13]
.LBB395_631:                            ;   in Loop: Header=BB395_523 Depth=1
	s_or_b64 exec, exec, s[4:5]
	v_mul_f32_e32 v3, v26, v6
	v_and_b32_e32 v2, 0x7f800000, v3
	v_cmp_ne_u32_e32 vcc, s15, v2
                                        ; implicit-def: $vgpr2
	s_and_saveexec_b64 s[4:5], vcc
	s_xor_b64 s[4:5], exec, s[4:5]
; %bb.632:                              ;   in Loop: Header=BB395_523 Depth=1
	v_bfe_u32 v2, v3, 16, 1
	v_add3_u32 v2, v3, v2, s21
                                        ; implicit-def: $vgpr3
; %bb.633:                              ;   in Loop: Header=BB395_523 Depth=1
	s_andn2_saveexec_b64 s[4:5], s[4:5]
; %bb.634:                              ;   in Loop: Header=BB395_523 Depth=1
	v_or_b32_e32 v2, 0x10000, v3
	v_cmp_eq_u32_sdwa vcc, v3, v11 src0_sel:WORD_0 src1_sel:DWORD
	v_cndmask_b32_e32 v2, v2, v3, vcc
; %bb.635:                              ;   in Loop: Header=BB395_523 Depth=1
	s_or_b64 exec, exec, s[4:5]
	v_lshrrev_b32_e32 v6, 16, v10
	v_lshrrev_b32_e32 v10, 16, v30
	v_add_u32_e32 v30, -6, v17
	v_accvgpr_write_b32 a26, v30
	v_add_u32_e32 v30, -5, v17
	v_accvgpr_write_b32 a25, v30
	;; [unrolled: 2-line block ×4, first 2 shown]
	v_add_u32_e32 v30, -2, v17
	v_accvgpr_read_b32 v3, a9
	v_add_u32_e32 v33, -7, v17
	v_accvgpr_write_b32 a22, v30
	v_add_u32_e32 v30, -1, v17
	v_cmp_eq_u32_e32 vcc, v3, v16
	v_lshrrev_b32_e32 v29, 16, v29
	v_lshrrev_b32_e32 v28, 16, v28
	;; [unrolled: 1-line block ×5, first 2 shown]
	v_mov_b32_e32 v31, v33
	v_lshrrev_b32_e32 v2, 16, v2
	v_accvgpr_write_b32 a21, v30
	s_and_saveexec_b64 s[12:13], vcc
	s_cbranch_execz .LBB395_637
; %bb.636:                              ;   in Loop: Header=BB395_523 Depth=1
	v_cmp_lt_i32_e64 s[4:5], v31, v32
	v_accvgpr_read_b32 v30, a26
	v_cndmask_b32_e64 v9, 0, v9, s[4:5]
	v_cmp_lt_i32_e64 s[4:5], v30, v32
	v_accvgpr_read_b32 v30, a25
	v_cndmask_b32_e64 v27, 0, v27, s[4:5]
	;; [unrolled: 3-line block ×6, first 2 shown]
	v_cmp_lt_i32_e64 s[4:5], v30, v32
	v_cndmask_b32_e64 v3, 0, v3, s[4:5]
	v_cmp_lt_i32_e64 s[4:5], v17, v32
	v_cndmask_b32_e64 v2, 0, v2, s[4:5]
.LBB395_637:                            ;   in Loop: Header=BB395_523 Depth=1
	s_or_b64 exec, exec, s[12:13]
	v_and_b32_e32 v40, 0xffff0000, v25
	v_lshlrev_b32_e32 v9, 16, v9
	v_mul_f32_e32 v9, v40, v9
	v_and_b32_e32 v25, 0x7f800000, v9
	v_cmp_ne_u32_e64 s[4:5], s15, v25
                                        ; implicit-def: $vgpr57
	s_and_saveexec_b64 s[12:13], s[4:5]
	s_xor_b64 s[4:5], exec, s[12:13]
; %bb.638:                              ;   in Loop: Header=BB395_523 Depth=1
	v_bfe_u32 v25, v9, 16, 1
	v_add3_u32 v57, v9, v25, s21
                                        ; implicit-def: $vgpr9
; %bb.639:                              ;   in Loop: Header=BB395_523 Depth=1
	s_andn2_saveexec_b64 s[12:13], s[4:5]
; %bb.640:                              ;   in Loop: Header=BB395_523 Depth=1
	v_or_b32_e32 v25, 0x10000, v9
	v_cmp_eq_u32_sdwa s[4:5], v9, v11 src0_sel:WORD_0 src1_sel:DWORD
	v_cndmask_b32_e64 v57, v25, v9, s[4:5]
; %bb.641:                              ;   in Loop: Header=BB395_523 Depth=1
	s_or_b64 exec, exec, s[12:13]
	v_and_b32_e32 v41, 0xffff0000, v24
	v_lshlrev_b32_e32 v9, 16, v27
	v_mul_f32_e32 v9, v41, v9
	v_and_b32_e32 v24, 0x7f800000, v9
	v_cmp_ne_u32_e64 s[4:5], s15, v24
                                        ; implicit-def: $agpr13
	s_and_saveexec_b64 s[12:13], s[4:5]
	s_xor_b64 s[4:5], exec, s[12:13]
; %bb.642:                              ;   in Loop: Header=BB395_523 Depth=1
	v_bfe_u32 v24, v9, 16, 1
	v_add3_u32 v9, v9, v24, s21
	v_accvgpr_write_b32 a13, v9
                                        ; implicit-def: $vgpr9
; %bb.643:                              ;   in Loop: Header=BB395_523 Depth=1
	s_andn2_saveexec_b64 s[12:13], s[4:5]
; %bb.644:                              ;   in Loop: Header=BB395_523 Depth=1
	v_or_b32_e32 v24, 0x10000, v9
	v_cmp_eq_u32_sdwa s[4:5], v9, v11 src0_sel:WORD_0 src1_sel:DWORD
	v_cndmask_b32_e64 v9, v24, v9, s[4:5]
	v_accvgpr_write_b32 a13, v9
; %bb.645:                              ;   in Loop: Header=BB395_523 Depth=1
	s_or_b64 exec, exec, s[12:13]
	v_and_b32_e32 v42, 0xffff0000, v23
	v_lshlrev_b32_e32 v9, 16, v28
	v_mul_f32_e32 v9, v42, v9
	v_and_b32_e32 v23, 0x7f800000, v9
	v_cmp_ne_u32_e64 s[4:5], s15, v23
                                        ; implicit-def: $agpr14
	s_and_saveexec_b64 s[12:13], s[4:5]
	s_xor_b64 s[4:5], exec, s[12:13]
; %bb.646:                              ;   in Loop: Header=BB395_523 Depth=1
	v_bfe_u32 v23, v9, 16, 1
	v_add3_u32 v9, v9, v23, s21
	v_accvgpr_write_b32 a14, v9
                                        ; implicit-def: $vgpr9
; %bb.647:                              ;   in Loop: Header=BB395_523 Depth=1
	s_andn2_saveexec_b64 s[12:13], s[4:5]
; %bb.648:                              ;   in Loop: Header=BB395_523 Depth=1
	v_or_b32_e32 v23, 0x10000, v9
	v_cmp_eq_u32_sdwa s[4:5], v9, v11 src0_sel:WORD_0 src1_sel:DWORD
	v_cndmask_b32_e64 v9, v23, v9, s[4:5]
	v_accvgpr_write_b32 a14, v9
; %bb.649:                              ;   in Loop: Header=BB395_523 Depth=1
	s_or_b64 exec, exec, s[12:13]
	v_and_b32_e32 v43, 0xffff0000, v22
	v_lshlrev_b32_e32 v9, 16, v29
	v_mul_f32_e32 v9, v43, v9
	v_and_b32_e32 v22, 0x7f800000, v9
	v_cmp_ne_u32_e64 s[4:5], s15, v22
                                        ; implicit-def: $agpr15
	s_and_saveexec_b64 s[12:13], s[4:5]
	s_xor_b64 s[4:5], exec, s[12:13]
; %bb.650:                              ;   in Loop: Header=BB395_523 Depth=1
	v_bfe_u32 v22, v9, 16, 1
	v_add3_u32 v9, v9, v22, s21
	v_accvgpr_write_b32 a15, v9
                                        ; implicit-def: $vgpr9
; %bb.651:                              ;   in Loop: Header=BB395_523 Depth=1
	s_andn2_saveexec_b64 s[12:13], s[4:5]
; %bb.652:                              ;   in Loop: Header=BB395_523 Depth=1
	v_or_b32_e32 v22, 0x10000, v9
	v_cmp_eq_u32_sdwa s[4:5], v9, v11 src0_sel:WORD_0 src1_sel:DWORD
	v_cndmask_b32_e64 v9, v22, v9, s[4:5]
	v_accvgpr_write_b32 a15, v9
; %bb.653:                              ;   in Loop: Header=BB395_523 Depth=1
	s_or_b64 exec, exec, s[12:13]
	v_and_b32_e32 v44, 0xffff0000, v8
	v_lshlrev_b32_e32 v8, 16, v10
	v_mul_f32_e32 v8, v44, v8
	v_and_b32_e32 v9, 0x7f800000, v8
	v_cmp_ne_u32_e64 s[4:5], s15, v9
                                        ; implicit-def: $agpr16
	s_and_saveexec_b64 s[12:13], s[4:5]
	s_xor_b64 s[4:5], exec, s[12:13]
; %bb.654:                              ;   in Loop: Header=BB395_523 Depth=1
	v_bfe_u32 v9, v8, 16, 1
	v_add3_u32 v8, v8, v9, s21
	v_accvgpr_write_b32 a16, v8
                                        ; implicit-def: $vgpr8
; %bb.655:                              ;   in Loop: Header=BB395_523 Depth=1
	s_andn2_saveexec_b64 s[12:13], s[4:5]
; %bb.656:                              ;   in Loop: Header=BB395_523 Depth=1
	v_or_b32_e32 v9, 0x10000, v8
	v_cmp_eq_u32_sdwa s[4:5], v8, v11 src0_sel:WORD_0 src1_sel:DWORD
	v_cndmask_b32_e64 v8, v9, v8, s[4:5]
	v_accvgpr_write_b32 a16, v8
; %bb.657:                              ;   in Loop: Header=BB395_523 Depth=1
	s_or_b64 exec, exec, s[12:13]
	v_and_b32_e32 v45, 0xffff0000, v7
	v_lshlrev_b32_e32 v6, 16, v6
	v_mul_f32_e32 v6, v45, v6
	v_and_b32_e32 v7, 0x7f800000, v6
	v_cmp_ne_u32_e64 s[4:5], s15, v7
                                        ; implicit-def: $agpr17
	s_and_saveexec_b64 s[12:13], s[4:5]
	s_xor_b64 s[4:5], exec, s[12:13]
; %bb.658:                              ;   in Loop: Header=BB395_523 Depth=1
	v_bfe_u32 v7, v6, 16, 1
	v_add3_u32 v6, v6, v7, s21
	v_accvgpr_write_b32 a17, v6
                                        ; implicit-def: $vgpr6
; %bb.659:                              ;   in Loop: Header=BB395_523 Depth=1
	s_andn2_saveexec_b64 s[12:13], s[4:5]
; %bb.660:                              ;   in Loop: Header=BB395_523 Depth=1
	v_or_b32_e32 v7, 0x10000, v6
	v_cmp_eq_u32_sdwa s[4:5], v6, v11 src0_sel:WORD_0 src1_sel:DWORD
	v_cndmask_b32_e64 v6, v7, v6, s[4:5]
	v_accvgpr_write_b32 a17, v6
; %bb.661:                              ;   in Loop: Header=BB395_523 Depth=1
	s_or_b64 exec, exec, s[12:13]
	v_and_b32_e32 v46, 0xffff0000, v5
	v_lshlrev_b32_e32 v3, 16, v3
	v_mul_f32_e32 v3, v46, v3
	v_and_b32_e32 v5, 0x7f800000, v3
	v_cmp_ne_u32_e64 s[4:5], s15, v5
                                        ; implicit-def: $agpr18
	s_and_saveexec_b64 s[12:13], s[4:5]
	s_xor_b64 s[4:5], exec, s[12:13]
; %bb.662:                              ;   in Loop: Header=BB395_523 Depth=1
	v_bfe_u32 v5, v3, 16, 1
	v_add3_u32 v3, v3, v5, s21
	v_accvgpr_write_b32 a18, v3
                                        ; implicit-def: $vgpr3
; %bb.663:                              ;   in Loop: Header=BB395_523 Depth=1
	s_andn2_saveexec_b64 s[12:13], s[4:5]
; %bb.664:                              ;   in Loop: Header=BB395_523 Depth=1
	v_or_b32_e32 v5, 0x10000, v3
	v_cmp_eq_u32_sdwa s[4:5], v3, v11 src0_sel:WORD_0 src1_sel:DWORD
	v_cndmask_b32_e64 v3, v5, v3, s[4:5]
	v_accvgpr_write_b32 a18, v3
; %bb.665:                              ;   in Loop: Header=BB395_523 Depth=1
	s_or_b64 exec, exec, s[12:13]
	v_and_b32_e32 v47, 0xffff0000, v4
	v_lshlrev_b32_e32 v2, 16, v2
	v_mul_f32_e32 v2, v47, v2
	v_and_b32_e32 v3, 0x7f800000, v2
	v_cmp_ne_u32_e64 s[4:5], s15, v3
                                        ; implicit-def: $agpr19
	s_and_saveexec_b64 s[12:13], s[4:5]
	s_xor_b64 s[4:5], exec, s[12:13]
; %bb.666:                              ;   in Loop: Header=BB395_523 Depth=1
	v_bfe_u32 v3, v2, 16, 1
	v_add3_u32 v2, v2, v3, s21
	v_accvgpr_write_b32 a19, v2
                                        ; implicit-def: $vgpr2
; %bb.667:                              ;   in Loop: Header=BB395_523 Depth=1
	s_andn2_saveexec_b64 s[12:13], s[4:5]
; %bb.668:                              ;   in Loop: Header=BB395_523 Depth=1
	v_or_b32_e32 v3, 0x10000, v2
	v_cmp_eq_u32_sdwa s[4:5], v2, v11 src0_sel:WORD_0 src1_sel:DWORD
	v_cndmask_b32_e64 v2, v3, v2, s[4:5]
	v_accvgpr_write_b32 a19, v2
; %bb.669:                              ;   in Loop: Header=BB395_523 Depth=1
	s_or_b64 exec, exec, s[12:13]
	flat_load_dwordx2 v[2:3], v[0:1] offset:512
	v_mov_b32_e32 v4, 0
	s_waitcnt vmcnt(0) lgkmcnt(0)
	v_cmp_ne_u16_sdwa s[4:5], v2, v11 src0_sel:BYTE_0 src1_sel:DWORD
	s_and_saveexec_b64 s[12:13], s[4:5]
	s_cbranch_execz .LBB395_675
; %bb.670:                              ;   in Loop: Header=BB395_523 Depth=1
	v_cmp_ne_u16_sdwa s[4:5], v2, s28 src0_sel:BYTE_0 src1_sel:DWORD
	v_bfrev_b32_e32 v4, 1
	s_and_saveexec_b64 s[24:25], s[4:5]
	s_cbranch_execz .LBB395_674
; %bb.671:                              ;   in Loop: Header=BB395_523 Depth=1
	v_and_b32_e32 v5, 0x7f, v2
	v_cmp_ne_u32_e64 s[4:5], s29, v5
	v_mov_b32_e32 v4, 0x7f800001
	s_and_saveexec_b64 s[26:27], s[4:5]
	s_cbranch_execz .LBB395_673
; %bb.672:                              ;   in Loop: Header=BB395_523 Depth=1
	v_and_b32_e32 v4, 7, v2
	v_ffbh_u32_e32 v4, v4
	v_min_u32_e32 v4, 32, v4
	v_lshrrev_b32_e32 v6, 3, v5
	v_subrev_u32_e32 v7, 28, v4
	v_sub_u32_e32 v4, 29, v4
	v_cmp_gt_u32_e64 s[4:5], 8, v5
	v_cndmask_b32_e64 v6, v6, v4, s[4:5]
	v_cndmask_b32_e64 v4, 0, v7, s[4:5]
	v_lshlrev_b64 v[4:5], v4, v[2:3]
	v_lshlrev_b32_e32 v4, 20, v4
	v_lshlrev_b32_e32 v5, 24, v2
	v_and_b32_e32 v4, 0x700000, v4
	v_and_b32_e32 v5, 0x80000000, v5
	v_lshl_add_u32 v6, v6, 23, v56
	v_or3_b32 v4, v5, v6, v4
.LBB395_673:                            ;   in Loop: Header=BB395_523 Depth=1
	s_or_b64 exec, exec, s[26:27]
.LBB395_674:                            ;   in Loop: Header=BB395_523 Depth=1
	s_or_b64 exec, exec, s[24:25]
.LBB395_675:                            ;   in Loop: Header=BB395_523 Depth=1
	s_or_b64 exec, exec, s[12:13]
	v_mul_f32_e32 v5, v26, v4
	v_and_b32_e32 v4, 0x7f800000, v5
	v_cmp_ne_u32_e64 s[4:5], s15, v4
                                        ; implicit-def: $vgpr4
	s_and_saveexec_b64 s[12:13], s[4:5]
	s_xor_b64 s[4:5], exec, s[12:13]
; %bb.676:                              ;   in Loop: Header=BB395_523 Depth=1
	v_bfe_u32 v4, v5, 16, 1
	v_add3_u32 v4, v5, v4, s21
                                        ; implicit-def: $vgpr5
; %bb.677:                              ;   in Loop: Header=BB395_523 Depth=1
	s_andn2_saveexec_b64 s[12:13], s[4:5]
; %bb.678:                              ;   in Loop: Header=BB395_523 Depth=1
	v_or_b32_e32 v4, 0x10000, v5
	v_cmp_eq_u32_sdwa s[4:5], v5, v11 src0_sel:WORD_0 src1_sel:DWORD
	v_cndmask_b32_e64 v4, v4, v5, s[4:5]
; %bb.679:                              ;   in Loop: Header=BB395_523 Depth=1
	s_or_b64 exec, exec, s[12:13]
	v_lshrrev_b16_e32 v6, 8, v2
	v_cmp_ne_u16_e64 s[4:5], 0, v6
	v_mov_b32_e32 v5, 0
	s_and_saveexec_b64 s[12:13], s[4:5]
	s_cbranch_execz .LBB395_685
; %bb.680:                              ;   in Loop: Header=BB395_523 Depth=1
	v_cmp_ne_u16_e64 s[4:5], s28, v6
	v_bfrev_b32_e32 v5, 1
	s_and_saveexec_b64 s[24:25], s[4:5]
	s_cbranch_execz .LBB395_684
; %bb.681:                              ;   in Loop: Header=BB395_523 Depth=1
	v_and_b32_e32 v7, 0x7f, v6
	v_cmp_ne_u32_e64 s[4:5], s29, v7
	v_mov_b32_e32 v5, 0x7f800001
	s_and_saveexec_b64 s[26:27], s[4:5]
	s_cbranch_execz .LBB395_683
; %bb.682:                              ;   in Loop: Header=BB395_523 Depth=1
	v_and_b32_e32 v5, 7, v6
	v_ffbh_u32_e32 v8, v5
	v_min_u32_e32 v22, 32, v8
	v_subrev_u32_e32 v8, 28, v22
	v_lshlrev_b64 v[8:9], v8, v[6:7]
	v_lshrrev_b32_e32 v10, 3, v7
	v_sub_u32_e32 v6, 29, v22
	v_and_b32_e32 v8, 7, v8
	v_cmp_gt_u32_e64 s[4:5], 8, v7
	v_cndmask_b32_e64 v6, v10, v6, s[4:5]
	v_cndmask_b32_e64 v5, v5, v8, s[4:5]
	v_lshlrev_b32_e32 v7, 16, v2
	v_lshlrev_b32_e32 v5, 20, v5
	v_and_b32_e32 v7, 0x80000000, v7
	v_lshl_add_u32 v6, v6, 23, v56
	v_or3_b32 v5, v7, v6, v5
.LBB395_683:                            ;   in Loop: Header=BB395_523 Depth=1
	s_or_b64 exec, exec, s[26:27]
.LBB395_684:                            ;   in Loop: Header=BB395_523 Depth=1
	s_or_b64 exec, exec, s[24:25]
.LBB395_685:                            ;   in Loop: Header=BB395_523 Depth=1
	s_or_b64 exec, exec, s[12:13]
	v_mul_f32_e32 v6, v26, v5
	v_and_b32_e32 v5, 0x7f800000, v6
	v_cmp_ne_u32_e64 s[4:5], s15, v5
                                        ; implicit-def: $vgpr5
	s_and_saveexec_b64 s[12:13], s[4:5]
	s_xor_b64 s[4:5], exec, s[12:13]
; %bb.686:                              ;   in Loop: Header=BB395_523 Depth=1
	v_bfe_u32 v5, v6, 16, 1
	v_add3_u32 v5, v6, v5, s21
                                        ; implicit-def: $vgpr6
; %bb.687:                              ;   in Loop: Header=BB395_523 Depth=1
	s_andn2_saveexec_b64 s[12:13], s[4:5]
; %bb.688:                              ;   in Loop: Header=BB395_523 Depth=1
	v_or_b32_e32 v5, 0x10000, v6
	v_cmp_eq_u32_sdwa s[4:5], v6, v11 src0_sel:WORD_0 src1_sel:DWORD
	v_cndmask_b32_e64 v5, v5, v6, s[4:5]
; %bb.689:                              ;   in Loop: Header=BB395_523 Depth=1
	s_or_b64 exec, exec, s[12:13]
	v_lshrrev_b32_e32 v6, 16, v2
	v_cmp_ne_u16_sdwa s[4:5], v6, v11 src0_sel:BYTE_0 src1_sel:DWORD
	v_mov_b32_e32 v7, 0
	s_and_saveexec_b64 s[12:13], s[4:5]
	s_cbranch_execz .LBB395_695
; %bb.690:                              ;   in Loop: Header=BB395_523 Depth=1
	v_cmp_ne_u16_sdwa s[4:5], v6, s28 src0_sel:BYTE_0 src1_sel:DWORD
	v_bfrev_b32_e32 v7, 1
	s_and_saveexec_b64 s[24:25], s[4:5]
	s_cbranch_execz .LBB395_694
; %bb.691:                              ;   in Loop: Header=BB395_523 Depth=1
	v_bfe_u32 v8, v2, 16, 7
	v_cmp_ne_u32_e64 s[4:5], s29, v8
	v_mov_b32_e32 v7, 0x7f800001
	s_and_saveexec_b64 s[26:27], s[4:5]
	s_cbranch_execz .LBB395_693
; %bb.692:                              ;   in Loop: Header=BB395_523 Depth=1
	v_and_b32_e32 v7, 7, v6
	v_ffbh_u32_e32 v10, v7
	v_min_u32_e32 v10, 32, v10
	v_subrev_u32_e32 v22, 28, v10
	v_lshlrev_b64 v[22:23], v22, v[6:7]
	v_lshrrev_b32_e32 v9, 3, v8
	v_sub_u32_e32 v10, 29, v10
	v_and_b32_e32 v22, 7, v22
	v_cmp_gt_u32_e64 s[4:5], 8, v8
	v_cndmask_b32_e64 v8, v9, v10, s[4:5]
	v_cndmask_b32_e64 v7, v7, v22, s[4:5]
	v_lshlrev_b32_e32 v6, 24, v6
	v_lshlrev_b32_e32 v7, 20, v7
	v_and_b32_e32 v6, 0x80000000, v6
	v_lshl_add_u32 v8, v8, 23, v56
	v_or3_b32 v7, v6, v8, v7
.LBB395_693:                            ;   in Loop: Header=BB395_523 Depth=1
	s_or_b64 exec, exec, s[26:27]
.LBB395_694:                            ;   in Loop: Header=BB395_523 Depth=1
	s_or_b64 exec, exec, s[24:25]
.LBB395_695:                            ;   in Loop: Header=BB395_523 Depth=1
	s_or_b64 exec, exec, s[12:13]
	v_mul_f32_e32 v6, v26, v7
	v_and_b32_e32 v7, 0x7f800000, v6
	v_cmp_ne_u32_e64 s[4:5], s15, v7
                                        ; implicit-def: $vgpr7
	s_and_saveexec_b64 s[12:13], s[4:5]
	s_xor_b64 s[4:5], exec, s[12:13]
; %bb.696:                              ;   in Loop: Header=BB395_523 Depth=1
	v_bfe_u32 v7, v6, 16, 1
	v_add3_u32 v7, v6, v7, s21
                                        ; implicit-def: $vgpr6
; %bb.697:                              ;   in Loop: Header=BB395_523 Depth=1
	s_andn2_saveexec_b64 s[12:13], s[4:5]
; %bb.698:                              ;   in Loop: Header=BB395_523 Depth=1
	v_or_b32_e32 v7, 0x10000, v6
	v_cmp_eq_u32_sdwa s[4:5], v6, v11 src0_sel:WORD_0 src1_sel:DWORD
	v_cndmask_b32_e64 v7, v7, v6, s[4:5]
; %bb.699:                              ;   in Loop: Header=BB395_523 Depth=1
	s_or_b64 exec, exec, s[12:13]
	v_cmp_lt_u32_e64 s[4:5], s9, v2
	v_mov_b32_e32 v8, 0
	s_and_saveexec_b64 s[12:13], s[4:5]
	s_cbranch_execz .LBB395_705
; %bb.700:                              ;   in Loop: Header=BB395_523 Depth=1
	v_lshrrev_b32_e32 v6, 24, v2
	v_cmp_ne_u32_e64 s[4:5], s28, v6
	v_bfrev_b32_e32 v8, 1
	s_and_saveexec_b64 s[24:25], s[4:5]
	s_cbranch_execz .LBB395_704
; %bb.701:                              ;   in Loop: Header=BB395_523 Depth=1
	v_bfe_u32 v9, v2, 24, 7
	v_cmp_ne_u32_e64 s[4:5], s29, v9
	v_mov_b32_e32 v8, 0x7f800001
	s_and_saveexec_b64 s[26:27], s[4:5]
	s_cbranch_execz .LBB395_703
; %bb.702:                              ;   in Loop: Header=BB395_523 Depth=1
	v_and_b32_e32 v8, 7, v6
	v_ffbh_u32_e32 v22, v8
	v_min_u32_e32 v24, 32, v22
	v_subrev_u32_e32 v22, 28, v24
	v_lshlrev_b64 v[22:23], v22, v[6:7]
	v_lshrrev_b32_e32 v10, 3, v9
	v_sub_u32_e32 v23, 29, v24
	v_and_b32_e32 v22, 7, v22
	v_cmp_gt_u32_e64 s[4:5], 8, v9
	v_cndmask_b32_e64 v9, v10, v23, s[4:5]
	v_cndmask_b32_e64 v8, v8, v22, s[4:5]
	v_lshlrev_b32_e32 v6, 24, v6
	v_lshlrev_b32_e32 v8, 20, v8
	v_and_b32_e32 v6, 0x80000000, v6
	v_lshl_add_u32 v9, v9, 23, v56
	v_or3_b32 v8, v6, v9, v8
.LBB395_703:                            ;   in Loop: Header=BB395_523 Depth=1
	s_or_b64 exec, exec, s[26:27]
.LBB395_704:                            ;   in Loop: Header=BB395_523 Depth=1
	s_or_b64 exec, exec, s[24:25]
.LBB395_705:                            ;   in Loop: Header=BB395_523 Depth=1
	s_or_b64 exec, exec, s[12:13]
	v_mul_f32_e32 v6, v26, v8
	v_and_b32_e32 v8, 0x7f800000, v6
	v_cmp_ne_u32_e64 s[4:5], s15, v8
                                        ; implicit-def: $vgpr8
	s_and_saveexec_b64 s[12:13], s[4:5]
	s_xor_b64 s[4:5], exec, s[12:13]
; %bb.706:                              ;   in Loop: Header=BB395_523 Depth=1
	v_bfe_u32 v8, v6, 16, 1
	v_add3_u32 v8, v6, v8, s21
                                        ; implicit-def: $vgpr6
; %bb.707:                              ;   in Loop: Header=BB395_523 Depth=1
	s_andn2_saveexec_b64 s[12:13], s[4:5]
; %bb.708:                              ;   in Loop: Header=BB395_523 Depth=1
	v_or_b32_e32 v8, 0x10000, v6
	v_cmp_eq_u32_sdwa s[4:5], v6, v11 src0_sel:WORD_0 src1_sel:DWORD
	v_cndmask_b32_e64 v8, v8, v6, s[4:5]
; %bb.709:                              ;   in Loop: Header=BB395_523 Depth=1
	s_or_b64 exec, exec, s[12:13]
	v_mov_b32_e32 v10, v3
	v_cmp_ne_u16_sdwa s[4:5], v3, v11 src0_sel:BYTE_0 src1_sel:DWORD
	v_mov_b32_e32 v6, 0
	s_and_saveexec_b64 s[12:13], s[4:5]
	s_cbranch_execz .LBB395_715
; %bb.710:                              ;   in Loop: Header=BB395_523 Depth=1
	v_cmp_ne_u16_sdwa s[4:5], v3, s28 src0_sel:BYTE_0 src1_sel:DWORD
	v_bfrev_b32_e32 v6, 1
	s_and_saveexec_b64 s[24:25], s[4:5]
	s_cbranch_execz .LBB395_714
; %bb.711:                              ;   in Loop: Header=BB395_523 Depth=1
	v_and_b32_e32 v9, 0x7f, v3
	v_cmp_ne_u32_e64 s[4:5], s29, v9
	v_mov_b32_e32 v6, 0x7f800001
	s_and_saveexec_b64 s[26:27], s[4:5]
	s_cbranch_execz .LBB395_713
; %bb.712:                              ;   in Loop: Header=BB395_523 Depth=1
	v_and_b32_e32 v6, 7, v3
	v_ffbh_u32_e32 v6, v6
	v_min_u32_e32 v6, 32, v6
	v_subrev_u32_e32 v23, 28, v6
	v_cmp_gt_u32_e64 s[4:5], 8, v9
	v_lshrrev_b32_e32 v22, 3, v9
	v_sub_u32_e32 v6, 29, v6
	v_cndmask_b32_e64 v9, 0, v23, s[4:5]
	v_cndmask_b32_e64 v6, v22, v6, s[4:5]
	v_lshlrev_b64 v[22:23], v9, v[10:11]
	v_lshlrev_b32_e32 v9, 20, v22
	v_lshlrev_b32_e32 v22, 24, v10
	v_and_b32_e32 v9, 0x700000, v9
	v_and_b32_e32 v22, 0x80000000, v22
	v_lshl_add_u32 v6, v6, 23, v56
	v_or3_b32 v6, v22, v6, v9
.LBB395_713:                            ;   in Loop: Header=BB395_523 Depth=1
	s_or_b64 exec, exec, s[26:27]
.LBB395_714:                            ;   in Loop: Header=BB395_523 Depth=1
	s_or_b64 exec, exec, s[24:25]
.LBB395_715:                            ;   in Loop: Header=BB395_523 Depth=1
	s_or_b64 exec, exec, s[12:13]
	v_mul_f32_e32 v6, v26, v6
	v_and_b32_e32 v9, 0x7f800000, v6
	v_cmp_ne_u32_e64 s[4:5], s15, v9
                                        ; implicit-def: $vgpr9
	s_and_saveexec_b64 s[12:13], s[4:5]
	s_xor_b64 s[4:5], exec, s[12:13]
; %bb.716:                              ;   in Loop: Header=BB395_523 Depth=1
	v_bfe_u32 v9, v6, 16, 1
	v_add3_u32 v9, v6, v9, s21
                                        ; implicit-def: $vgpr6
; %bb.717:                              ;   in Loop: Header=BB395_523 Depth=1
	s_andn2_saveexec_b64 s[12:13], s[4:5]
; %bb.718:                              ;   in Loop: Header=BB395_523 Depth=1
	v_or_b32_e32 v9, 0x10000, v6
	v_cmp_eq_u32_sdwa s[4:5], v6, v11 src0_sel:WORD_0 src1_sel:DWORD
	v_cndmask_b32_e64 v9, v9, v6, s[4:5]
; %bb.719:                              ;   in Loop: Header=BB395_523 Depth=1
	s_or_b64 exec, exec, s[12:13]
	v_lshrrev_b16_e32 v6, 8, v10
	v_cmp_ne_u16_e64 s[4:5], 0, v6
	v_mov_b32_e32 v22, 0
	s_and_saveexec_b64 s[12:13], s[4:5]
	s_cbranch_execz .LBB395_725
; %bb.720:                              ;   in Loop: Header=BB395_523 Depth=1
	v_cmp_ne_u16_e64 s[4:5], s28, v6
	v_bfrev_b32_e32 v22, 1
	s_and_saveexec_b64 s[24:25], s[4:5]
	s_cbranch_execz .LBB395_724
; %bb.721:                              ;   in Loop: Header=BB395_523 Depth=1
	v_and_b32_e32 v23, 0x7f, v6
	v_cmp_ne_u32_e64 s[4:5], s29, v23
	v_mov_b32_e32 v22, 0x7f800001
	s_and_saveexec_b64 s[26:27], s[4:5]
	s_cbranch_execz .LBB395_723
; %bb.722:                              ;   in Loop: Header=BB395_523 Depth=1
	v_and_b32_e32 v22, 7, v6
	v_ffbh_u32_e32 v24, v22
	v_min_u32_e32 v28, 32, v24
	v_subrev_u32_e32 v24, 28, v28
	v_lshlrev_b64 v[24:25], v24, v[6:7]
	v_lshrrev_b32_e32 v27, 3, v23
	v_sub_u32_e32 v6, 29, v28
	v_and_b32_e32 v24, 7, v24
	v_cmp_gt_u32_e64 s[4:5], 8, v23
	v_cndmask_b32_e64 v6, v27, v6, s[4:5]
	v_cndmask_b32_e64 v22, v22, v24, s[4:5]
	v_lshlrev_b32_e32 v10, 16, v10
	v_lshlrev_b32_e32 v22, 20, v22
	v_and_b32_e32 v10, 0x80000000, v10
	v_lshl_add_u32 v6, v6, 23, v56
	v_or3_b32 v22, v10, v6, v22
.LBB395_723:                            ;   in Loop: Header=BB395_523 Depth=1
	s_or_b64 exec, exec, s[26:27]
.LBB395_724:                            ;   in Loop: Header=BB395_523 Depth=1
	s_or_b64 exec, exec, s[24:25]
.LBB395_725:                            ;   in Loop: Header=BB395_523 Depth=1
	s_or_b64 exec, exec, s[12:13]
	v_mul_f32_e32 v6, v26, v22
	v_and_b32_e32 v10, 0x7f800000, v6
	v_cmp_ne_u32_e64 s[4:5], s15, v10
                                        ; implicit-def: $vgpr10
	s_and_saveexec_b64 s[12:13], s[4:5]
	s_xor_b64 s[4:5], exec, s[12:13]
; %bb.726:                              ;   in Loop: Header=BB395_523 Depth=1
	v_bfe_u32 v10, v6, 16, 1
	v_add3_u32 v10, v6, v10, s21
                                        ; implicit-def: $vgpr6
; %bb.727:                              ;   in Loop: Header=BB395_523 Depth=1
	s_andn2_saveexec_b64 s[12:13], s[4:5]
; %bb.728:                              ;   in Loop: Header=BB395_523 Depth=1
	v_or_b32_e32 v10, 0x10000, v6
	v_cmp_eq_u32_sdwa s[4:5], v6, v11 src0_sel:WORD_0 src1_sel:DWORD
	v_cndmask_b32_e64 v10, v10, v6, s[4:5]
; %bb.729:                              ;   in Loop: Header=BB395_523 Depth=1
	s_or_b64 exec, exec, s[12:13]
	v_lshrrev_b32_e32 v6, 16, v3
	v_cmp_ne_u16_sdwa s[4:5], v6, v11 src0_sel:BYTE_0 src1_sel:DWORD
	v_mov_b32_e32 v22, 0
	s_and_saveexec_b64 s[12:13], s[4:5]
	s_cbranch_execz .LBB395_735
; %bb.730:                              ;   in Loop: Header=BB395_523 Depth=1
	v_cmp_ne_u16_sdwa s[4:5], v6, s28 src0_sel:BYTE_0 src1_sel:DWORD
	v_bfrev_b32_e32 v22, 1
	s_and_saveexec_b64 s[24:25], s[4:5]
	s_cbranch_execz .LBB395_734
; %bb.731:                              ;   in Loop: Header=BB395_523 Depth=1
	v_bfe_u32 v23, v3, 16, 7
	v_cmp_ne_u32_e64 s[4:5], s29, v23
	v_mov_b32_e32 v22, 0x7f800001
	s_and_saveexec_b64 s[26:27], s[4:5]
	s_cbranch_execz .LBB395_733
; %bb.732:                              ;   in Loop: Header=BB395_523 Depth=1
	v_and_b32_e32 v22, 7, v6
	v_ffbh_u32_e32 v24, v22
	v_min_u32_e32 v28, 32, v24
	v_subrev_u32_e32 v24, 28, v28
	v_lshlrev_b64 v[24:25], v24, v[6:7]
	v_lshrrev_b32_e32 v27, 3, v23
	v_sub_u32_e32 v25, 29, v28
	v_and_b32_e32 v24, 7, v24
	v_cmp_gt_u32_e64 s[4:5], 8, v23
	v_cndmask_b32_e64 v23, v27, v25, s[4:5]
	v_cndmask_b32_e64 v22, v22, v24, s[4:5]
	v_lshlrev_b32_e32 v6, 24, v6
	v_lshlrev_b32_e32 v22, 20, v22
	v_and_b32_e32 v6, 0x80000000, v6
	v_lshl_add_u32 v23, v23, 23, v56
	v_or3_b32 v22, v6, v23, v22
.LBB395_733:                            ;   in Loop: Header=BB395_523 Depth=1
	s_or_b64 exec, exec, s[26:27]
.LBB395_734:                            ;   in Loop: Header=BB395_523 Depth=1
	s_or_b64 exec, exec, s[24:25]
.LBB395_735:                            ;   in Loop: Header=BB395_523 Depth=1
	s_or_b64 exec, exec, s[12:13]
	v_mul_f32_e32 v6, v26, v22
	v_and_b32_e32 v22, 0x7f800000, v6
	v_cmp_ne_u32_e64 s[4:5], s15, v22
                                        ; implicit-def: $vgpr22
	s_and_saveexec_b64 s[12:13], s[4:5]
	s_xor_b64 s[4:5], exec, s[12:13]
; %bb.736:                              ;   in Loop: Header=BB395_523 Depth=1
	v_bfe_u32 v22, v6, 16, 1
	v_add3_u32 v22, v6, v22, s21
                                        ; implicit-def: $vgpr6
; %bb.737:                              ;   in Loop: Header=BB395_523 Depth=1
	s_andn2_saveexec_b64 s[12:13], s[4:5]
; %bb.738:                              ;   in Loop: Header=BB395_523 Depth=1
	v_or_b32_e32 v22, 0x10000, v6
	v_cmp_eq_u32_sdwa s[4:5], v6, v11 src0_sel:WORD_0 src1_sel:DWORD
	v_cndmask_b32_e64 v22, v22, v6, s[4:5]
; %bb.739:                              ;   in Loop: Header=BB395_523 Depth=1
	s_or_b64 exec, exec, s[12:13]
	v_cmp_lt_u64_e64 s[4:5], s[8:9], v[2:3]
	v_mov_b32_e32 v6, 0
	s_and_saveexec_b64 s[12:13], s[4:5]
	s_cbranch_execz .LBB395_745
; %bb.740:                              ;   in Loop: Header=BB395_523 Depth=1
	v_lshrrev_b32_e32 v2, 24, v3
	v_cmp_ne_u32_e64 s[4:5], s28, v2
	v_bfrev_b32_e32 v6, 1
	s_and_saveexec_b64 s[24:25], s[4:5]
	s_cbranch_execz .LBB395_744
; %bb.741:                              ;   in Loop: Header=BB395_523 Depth=1
	v_bfe_u32 v3, v3, 24, 7
	v_cmp_ne_u32_e64 s[4:5], s29, v3
	v_mov_b32_e32 v6, 0x7f800001
	s_and_saveexec_b64 s[26:27], s[4:5]
	s_cbranch_execz .LBB395_743
; %bb.742:                              ;   in Loop: Header=BB395_523 Depth=1
	v_and_b32_e32 v6, 7, v2
	v_ffbh_u32_e32 v24, v6
	v_min_u32_e32 v27, 32, v24
	v_subrev_u32_e32 v24, 28, v27
	v_lshlrev_b64 v[24:25], v24, v[2:3]
	v_lshrrev_b32_e32 v23, 3, v3
	v_sub_u32_e32 v25, 29, v27
	v_and_b32_e32 v24, 7, v24
	v_cmp_gt_u32_e64 s[4:5], 8, v3
	v_cndmask_b32_e64 v3, v23, v25, s[4:5]
	v_cndmask_b32_e64 v6, v6, v24, s[4:5]
	v_lshlrev_b32_e32 v2, 24, v2
	v_lshlrev_b32_e32 v6, 20, v6
	v_and_b32_e32 v2, 0x80000000, v2
	v_lshl_add_u32 v3, v3, 23, v56
	v_or3_b32 v6, v2, v3, v6
.LBB395_743:                            ;   in Loop: Header=BB395_523 Depth=1
	s_or_b64 exec, exec, s[26:27]
.LBB395_744:                            ;   in Loop: Header=BB395_523 Depth=1
	s_or_b64 exec, exec, s[24:25]
.LBB395_745:                            ;   in Loop: Header=BB395_523 Depth=1
	s_or_b64 exec, exec, s[12:13]
	v_mul_f32_e32 v3, v26, v6
	v_and_b32_e32 v2, 0x7f800000, v3
	v_cmp_ne_u32_e64 s[4:5], s15, v2
                                        ; implicit-def: $vgpr2
	s_and_saveexec_b64 s[12:13], s[4:5]
	s_xor_b64 s[4:5], exec, s[12:13]
; %bb.746:                              ;   in Loop: Header=BB395_523 Depth=1
	v_bfe_u32 v2, v3, 16, 1
	v_add3_u32 v2, v3, v2, s21
                                        ; implicit-def: $vgpr3
; %bb.747:                              ;   in Loop: Header=BB395_523 Depth=1
	s_andn2_saveexec_b64 s[12:13], s[4:5]
; %bb.748:                              ;   in Loop: Header=BB395_523 Depth=1
	v_or_b32_e32 v2, 0x10000, v3
	v_cmp_eq_u32_sdwa s[4:5], v3, v11 src0_sel:WORD_0 src1_sel:DWORD
	v_cndmask_b32_e64 v2, v2, v3, s[4:5]
; %bb.749:                              ;   in Loop: Header=BB395_523 Depth=1
	s_or_b64 exec, exec, s[12:13]
	v_lshrrev_b32_e32 v6, 16, v10
	v_lshrrev_b32_e32 v9, 16, v9
	;; [unrolled: 1-line block ×8, first 2 shown]
	s_and_saveexec_b64 s[12:13], vcc
	s_cbranch_execz .LBB395_751
; %bb.750:                              ;   in Loop: Header=BB395_523 Depth=1
	v_cmp_lt_i32_e64 s[4:5], v31, v32
	v_accvgpr_read_b32 v10, a26
	v_cndmask_b32_e64 v4, 0, v4, s[4:5]
	v_cmp_lt_i32_e64 s[4:5], v10, v32
	v_accvgpr_read_b32 v10, a25
	v_cndmask_b32_e64 v5, 0, v5, s[4:5]
	;; [unrolled: 3-line block ×6, first 2 shown]
	v_cmp_lt_i32_e64 s[4:5], v10, v32
	v_cndmask_b32_e64 v3, 0, v3, s[4:5]
	v_cmp_lt_i32_e64 s[4:5], v17, v32
	v_cndmask_b32_e64 v2, 0, v2, s[4:5]
.LBB395_751:                            ;   in Loop: Header=BB395_523 Depth=1
	s_or_b64 exec, exec, s[12:13]
	v_lshlrev_b32_e32 v4, 16, v4
	v_mul_f32_e32 v4, v40, v4
	v_and_b32_e32 v10, 0x7f800000, v4
	v_cmp_ne_u32_e64 s[4:5], s15, v10
                                        ; implicit-def: $agpr0
	s_and_saveexec_b64 s[12:13], s[4:5]
	s_xor_b64 s[4:5], exec, s[12:13]
; %bb.752:                              ;   in Loop: Header=BB395_523 Depth=1
	v_bfe_u32 v10, v4, 16, 1
	v_add3_u32 v4, v4, v10, s21
	v_accvgpr_write_b32 a0, v4
                                        ; implicit-def: $vgpr4
; %bb.753:                              ;   in Loop: Header=BB395_523 Depth=1
	s_andn2_saveexec_b64 s[12:13], s[4:5]
; %bb.754:                              ;   in Loop: Header=BB395_523 Depth=1
	v_or_b32_e32 v10, 0x10000, v4
	v_cmp_eq_u32_sdwa s[4:5], v4, v11 src0_sel:WORD_0 src1_sel:DWORD
	v_cndmask_b32_e64 v4, v10, v4, s[4:5]
	v_accvgpr_write_b32 a0, v4
; %bb.755:                              ;   in Loop: Header=BB395_523 Depth=1
	s_or_b64 exec, exec, s[12:13]
	v_lshlrev_b32_e32 v4, 16, v5
	v_mul_f32_e32 v4, v41, v4
	v_and_b32_e32 v5, 0x7f800000, v4
	v_cmp_ne_u32_e64 s[4:5], s15, v5
                                        ; implicit-def: $agpr1
	s_and_saveexec_b64 s[12:13], s[4:5]
	s_xor_b64 s[4:5], exec, s[12:13]
; %bb.756:                              ;   in Loop: Header=BB395_523 Depth=1
	v_bfe_u32 v5, v4, 16, 1
	v_add3_u32 v4, v4, v5, s21
	v_accvgpr_write_b32 a1, v4
                                        ; implicit-def: $vgpr4
; %bb.757:                              ;   in Loop: Header=BB395_523 Depth=1
	s_andn2_saveexec_b64 s[12:13], s[4:5]
; %bb.758:                              ;   in Loop: Header=BB395_523 Depth=1
	v_or_b32_e32 v5, 0x10000, v4
	v_cmp_eq_u32_sdwa s[4:5], v4, v11 src0_sel:WORD_0 src1_sel:DWORD
	v_cndmask_b32_e64 v4, v5, v4, s[4:5]
	v_accvgpr_write_b32 a1, v4
; %bb.759:                              ;   in Loop: Header=BB395_523 Depth=1
	s_or_b64 exec, exec, s[12:13]
	v_lshlrev_b32_e32 v4, 16, v7
	v_mul_f32_e32 v4, v42, v4
	v_and_b32_e32 v5, 0x7f800000, v4
	v_cmp_ne_u32_e64 s[4:5], s15, v5
                                        ; implicit-def: $agpr2
	s_and_saveexec_b64 s[12:13], s[4:5]
	s_xor_b64 s[4:5], exec, s[12:13]
; %bb.760:                              ;   in Loop: Header=BB395_523 Depth=1
	v_bfe_u32 v5, v4, 16, 1
	v_add3_u32 v4, v4, v5, s21
	v_accvgpr_write_b32 a2, v4
                                        ; implicit-def: $vgpr4
; %bb.761:                              ;   in Loop: Header=BB395_523 Depth=1
	s_andn2_saveexec_b64 s[12:13], s[4:5]
; %bb.762:                              ;   in Loop: Header=BB395_523 Depth=1
	v_or_b32_e32 v5, 0x10000, v4
	v_cmp_eq_u32_sdwa s[4:5], v4, v11 src0_sel:WORD_0 src1_sel:DWORD
	v_cndmask_b32_e64 v4, v5, v4, s[4:5]
	v_accvgpr_write_b32 a2, v4
; %bb.763:                              ;   in Loop: Header=BB395_523 Depth=1
	s_or_b64 exec, exec, s[12:13]
	v_lshlrev_b32_e32 v4, 16, v8
	v_mul_f32_e32 v4, v43, v4
	v_and_b32_e32 v5, 0x7f800000, v4
	v_cmp_ne_u32_e64 s[4:5], s15, v5
                                        ; implicit-def: $agpr27
	s_and_saveexec_b64 s[12:13], s[4:5]
	s_xor_b64 s[4:5], exec, s[12:13]
; %bb.764:                              ;   in Loop: Header=BB395_523 Depth=1
	v_bfe_u32 v5, v4, 16, 1
	v_add3_u32 v4, v4, v5, s21
	v_accvgpr_write_b32 a27, v4
                                        ; implicit-def: $vgpr4
; %bb.765:                              ;   in Loop: Header=BB395_523 Depth=1
	s_andn2_saveexec_b64 s[12:13], s[4:5]
; %bb.766:                              ;   in Loop: Header=BB395_523 Depth=1
	v_or_b32_e32 v5, 0x10000, v4
	v_cmp_eq_u32_sdwa s[4:5], v4, v11 src0_sel:WORD_0 src1_sel:DWORD
	v_cndmask_b32_e64 v4, v5, v4, s[4:5]
	v_accvgpr_write_b32 a27, v4
; %bb.767:                              ;   in Loop: Header=BB395_523 Depth=1
	s_or_b64 exec, exec, s[12:13]
	v_lshlrev_b32_e32 v4, 16, v9
	v_mul_f32_e32 v4, v44, v4
	v_and_b32_e32 v5, 0x7f800000, v4
	v_cmp_ne_u32_e64 s[4:5], s15, v5
                                        ; implicit-def: $agpr28
	s_and_saveexec_b64 s[12:13], s[4:5]
	s_xor_b64 s[4:5], exec, s[12:13]
; %bb.768:                              ;   in Loop: Header=BB395_523 Depth=1
	v_bfe_u32 v5, v4, 16, 1
	v_add3_u32 v4, v4, v5, s21
	v_accvgpr_write_b32 a28, v4
                                        ; implicit-def: $vgpr4
; %bb.769:                              ;   in Loop: Header=BB395_523 Depth=1
	s_andn2_saveexec_b64 s[12:13], s[4:5]
; %bb.770:                              ;   in Loop: Header=BB395_523 Depth=1
	v_or_b32_e32 v5, 0x10000, v4
	v_cmp_eq_u32_sdwa s[4:5], v4, v11 src0_sel:WORD_0 src1_sel:DWORD
	v_cndmask_b32_e64 v4, v5, v4, s[4:5]
	v_accvgpr_write_b32 a28, v4
; %bb.771:                              ;   in Loop: Header=BB395_523 Depth=1
	s_or_b64 exec, exec, s[12:13]
	v_lshlrev_b32_e32 v4, 16, v6
	v_mul_f32_e32 v4, v45, v4
	v_and_b32_e32 v5, 0x7f800000, v4
	v_cmp_ne_u32_e64 s[4:5], s15, v5
                                        ; implicit-def: $agpr29
	s_and_saveexec_b64 s[12:13], s[4:5]
	s_xor_b64 s[4:5], exec, s[12:13]
; %bb.772:                              ;   in Loop: Header=BB395_523 Depth=1
	v_bfe_u32 v5, v4, 16, 1
	v_add3_u32 v4, v4, v5, s21
	v_accvgpr_write_b32 a29, v4
                                        ; implicit-def: $vgpr4
; %bb.773:                              ;   in Loop: Header=BB395_523 Depth=1
	s_andn2_saveexec_b64 s[12:13], s[4:5]
; %bb.774:                              ;   in Loop: Header=BB395_523 Depth=1
	v_or_b32_e32 v5, 0x10000, v4
	v_cmp_eq_u32_sdwa s[4:5], v4, v11 src0_sel:WORD_0 src1_sel:DWORD
	v_cndmask_b32_e64 v4, v5, v4, s[4:5]
	v_accvgpr_write_b32 a29, v4
; %bb.775:                              ;   in Loop: Header=BB395_523 Depth=1
	s_or_b64 exec, exec, s[12:13]
	v_lshlrev_b32_e32 v3, 16, v3
	v_mul_f32_e32 v3, v46, v3
	v_and_b32_e32 v4, 0x7f800000, v3
	v_cmp_ne_u32_e64 s[4:5], s15, v4
                                        ; implicit-def: $vgpr58
	s_and_saveexec_b64 s[12:13], s[4:5]
	s_xor_b64 s[4:5], exec, s[12:13]
; %bb.776:                              ;   in Loop: Header=BB395_523 Depth=1
	v_bfe_u32 v4, v3, 16, 1
	v_add3_u32 v58, v3, v4, s21
                                        ; implicit-def: $vgpr3
; %bb.777:                              ;   in Loop: Header=BB395_523 Depth=1
	s_andn2_saveexec_b64 s[12:13], s[4:5]
; %bb.778:                              ;   in Loop: Header=BB395_523 Depth=1
	v_or_b32_e32 v4, 0x10000, v3
	v_cmp_eq_u32_sdwa s[4:5], v3, v11 src0_sel:WORD_0 src1_sel:DWORD
	v_cndmask_b32_e64 v58, v4, v3, s[4:5]
; %bb.779:                              ;   in Loop: Header=BB395_523 Depth=1
	s_or_b64 exec, exec, s[12:13]
	v_lshlrev_b32_e32 v2, 16, v2
	v_mul_f32_e32 v2, v47, v2
	v_and_b32_e32 v3, 0x7f800000, v2
	v_cmp_ne_u32_e64 s[4:5], s15, v3
                                        ; implicit-def: $vgpr59
	s_and_saveexec_b64 s[12:13], s[4:5]
	s_xor_b64 s[4:5], exec, s[12:13]
; %bb.780:                              ;   in Loop: Header=BB395_523 Depth=1
	v_bfe_u32 v3, v2, 16, 1
	v_add3_u32 v59, v2, v3, s21
                                        ; implicit-def: $vgpr2
; %bb.781:                              ;   in Loop: Header=BB395_523 Depth=1
	s_andn2_saveexec_b64 s[12:13], s[4:5]
; %bb.782:                              ;   in Loop: Header=BB395_523 Depth=1
	v_or_b32_e32 v3, 0x10000, v2
	v_cmp_eq_u32_sdwa s[4:5], v2, v11 src0_sel:WORD_0 src1_sel:DWORD
	v_cndmask_b32_e64 v59, v3, v2, s[4:5]
; %bb.783:                              ;   in Loop: Header=BB395_523 Depth=1
	s_or_b64 exec, exec, s[12:13]
	flat_load_dwordx2 v[2:3], v[0:1] offset:1024
	v_mov_b32_e32 v4, 0
	s_waitcnt vmcnt(0) lgkmcnt(0)
	v_cmp_ne_u16_sdwa s[4:5], v2, v11 src0_sel:BYTE_0 src1_sel:DWORD
	s_and_saveexec_b64 s[12:13], s[4:5]
	s_cbranch_execz .LBB395_789
; %bb.784:                              ;   in Loop: Header=BB395_523 Depth=1
	v_cmp_ne_u16_sdwa s[4:5], v2, s28 src0_sel:BYTE_0 src1_sel:DWORD
	v_bfrev_b32_e32 v4, 1
	s_and_saveexec_b64 s[24:25], s[4:5]
	s_cbranch_execz .LBB395_788
; %bb.785:                              ;   in Loop: Header=BB395_523 Depth=1
	v_and_b32_e32 v5, 0x7f, v2
	v_cmp_ne_u32_e64 s[4:5], s29, v5
	v_mov_b32_e32 v4, 0x7f800001
	s_and_saveexec_b64 s[26:27], s[4:5]
	s_cbranch_execz .LBB395_787
; %bb.786:                              ;   in Loop: Header=BB395_523 Depth=1
	v_and_b32_e32 v4, 7, v2
	v_ffbh_u32_e32 v4, v4
	v_min_u32_e32 v4, 32, v4
	v_lshrrev_b32_e32 v6, 3, v5
	v_subrev_u32_e32 v7, 28, v4
	v_sub_u32_e32 v4, 29, v4
	v_cmp_gt_u32_e64 s[4:5], 8, v5
	v_cndmask_b32_e64 v6, v6, v4, s[4:5]
	v_cndmask_b32_e64 v4, 0, v7, s[4:5]
	v_lshlrev_b64 v[4:5], v4, v[2:3]
	v_lshlrev_b32_e32 v4, 20, v4
	v_lshlrev_b32_e32 v5, 24, v2
	v_and_b32_e32 v4, 0x700000, v4
	v_and_b32_e32 v5, 0x80000000, v5
	v_lshl_add_u32 v6, v6, 23, v56
	v_or3_b32 v4, v5, v6, v4
.LBB395_787:                            ;   in Loop: Header=BB395_523 Depth=1
	s_or_b64 exec, exec, s[26:27]
.LBB395_788:                            ;   in Loop: Header=BB395_523 Depth=1
	s_or_b64 exec, exec, s[24:25]
.LBB395_789:                            ;   in Loop: Header=BB395_523 Depth=1
	s_or_b64 exec, exec, s[12:13]
	v_mul_f32_e32 v5, v26, v4
	v_and_b32_e32 v4, 0x7f800000, v5
	v_cmp_ne_u32_e64 s[4:5], s15, v4
                                        ; implicit-def: $vgpr4
	s_and_saveexec_b64 s[12:13], s[4:5]
	s_xor_b64 s[4:5], exec, s[12:13]
; %bb.790:                              ;   in Loop: Header=BB395_523 Depth=1
	v_bfe_u32 v4, v5, 16, 1
	v_add3_u32 v4, v5, v4, s21
                                        ; implicit-def: $vgpr5
; %bb.791:                              ;   in Loop: Header=BB395_523 Depth=1
	s_andn2_saveexec_b64 s[12:13], s[4:5]
; %bb.792:                              ;   in Loop: Header=BB395_523 Depth=1
	v_or_b32_e32 v4, 0x10000, v5
	v_cmp_eq_u32_sdwa s[4:5], v5, v11 src0_sel:WORD_0 src1_sel:DWORD
	v_cndmask_b32_e64 v4, v4, v5, s[4:5]
; %bb.793:                              ;   in Loop: Header=BB395_523 Depth=1
	s_or_b64 exec, exec, s[12:13]
	v_lshrrev_b16_e32 v6, 8, v2
	v_cmp_ne_u16_e64 s[4:5], 0, v6
	v_mov_b32_e32 v5, 0
	s_and_saveexec_b64 s[12:13], s[4:5]
	s_cbranch_execz .LBB395_799
; %bb.794:                              ;   in Loop: Header=BB395_523 Depth=1
	v_cmp_ne_u16_e64 s[4:5], s28, v6
	v_bfrev_b32_e32 v5, 1
	s_and_saveexec_b64 s[24:25], s[4:5]
	s_cbranch_execz .LBB395_798
; %bb.795:                              ;   in Loop: Header=BB395_523 Depth=1
	v_and_b32_e32 v7, 0x7f, v6
	v_cmp_ne_u32_e64 s[4:5], s29, v7
	v_mov_b32_e32 v5, 0x7f800001
	s_and_saveexec_b64 s[26:27], s[4:5]
	s_cbranch_execz .LBB395_797
; %bb.796:                              ;   in Loop: Header=BB395_523 Depth=1
	v_and_b32_e32 v5, 7, v6
	v_ffbh_u32_e32 v8, v5
	v_min_u32_e32 v22, 32, v8
	v_subrev_u32_e32 v8, 28, v22
	v_lshlrev_b64 v[8:9], v8, v[6:7]
	v_lshrrev_b32_e32 v10, 3, v7
	v_sub_u32_e32 v6, 29, v22
	v_and_b32_e32 v8, 7, v8
	v_cmp_gt_u32_e64 s[4:5], 8, v7
	v_cndmask_b32_e64 v6, v10, v6, s[4:5]
	v_cndmask_b32_e64 v5, v5, v8, s[4:5]
	v_lshlrev_b32_e32 v7, 16, v2
	v_lshlrev_b32_e32 v5, 20, v5
	v_and_b32_e32 v7, 0x80000000, v7
	v_lshl_add_u32 v6, v6, 23, v56
	v_or3_b32 v5, v7, v6, v5
.LBB395_797:                            ;   in Loop: Header=BB395_523 Depth=1
	s_or_b64 exec, exec, s[26:27]
.LBB395_798:                            ;   in Loop: Header=BB395_523 Depth=1
	s_or_b64 exec, exec, s[24:25]
.LBB395_799:                            ;   in Loop: Header=BB395_523 Depth=1
	s_or_b64 exec, exec, s[12:13]
	v_mul_f32_e32 v5, v26, v5
	v_and_b32_e32 v6, 0x7f800000, v5
	v_cmp_ne_u32_e64 s[4:5], s15, v6
                                        ; implicit-def: $vgpr7
	s_and_saveexec_b64 s[12:13], s[4:5]
	s_xor_b64 s[4:5], exec, s[12:13]
; %bb.800:                              ;   in Loop: Header=BB395_523 Depth=1
	v_bfe_u32 v6, v5, 16, 1
	v_add3_u32 v7, v5, v6, s21
                                        ; implicit-def: $vgpr5
; %bb.801:                              ;   in Loop: Header=BB395_523 Depth=1
	s_andn2_saveexec_b64 s[12:13], s[4:5]
; %bb.802:                              ;   in Loop: Header=BB395_523 Depth=1
	v_or_b32_e32 v6, 0x10000, v5
	v_cmp_eq_u32_sdwa s[4:5], v5, v11 src0_sel:WORD_0 src1_sel:DWORD
	v_cndmask_b32_e64 v7, v6, v5, s[4:5]
; %bb.803:                              ;   in Loop: Header=BB395_523 Depth=1
	s_or_b64 exec, exec, s[12:13]
	v_lshrrev_b32_e32 v6, 16, v2
	v_cmp_ne_u16_sdwa s[4:5], v6, v11 src0_sel:BYTE_0 src1_sel:DWORD
	v_mov_b32_e32 v5, 0
	s_and_saveexec_b64 s[12:13], s[4:5]
	s_cbranch_execz .LBB395_809
; %bb.804:                              ;   in Loop: Header=BB395_523 Depth=1
	v_cmp_ne_u16_sdwa s[4:5], v6, s28 src0_sel:BYTE_0 src1_sel:DWORD
	v_bfrev_b32_e32 v5, 1
	s_and_saveexec_b64 s[24:25], s[4:5]
	s_cbranch_execz .LBB395_808
; %bb.805:                              ;   in Loop: Header=BB395_523 Depth=1
	v_bfe_u32 v8, v2, 16, 7
	v_cmp_ne_u32_e64 s[4:5], s29, v8
	v_mov_b32_e32 v5, 0x7f800001
	s_and_saveexec_b64 s[26:27], s[4:5]
	s_cbranch_execz .LBB395_807
; %bb.806:                              ;   in Loop: Header=BB395_523 Depth=1
	v_and_b32_e32 v5, 7, v6
	v_ffbh_u32_e32 v10, v5
	v_min_u32_e32 v10, 32, v10
	v_subrev_u32_e32 v22, 28, v10
	v_lshlrev_b64 v[22:23], v22, v[6:7]
	v_lshrrev_b32_e32 v9, 3, v8
	v_sub_u32_e32 v10, 29, v10
	v_and_b32_e32 v22, 7, v22
	v_cmp_gt_u32_e64 s[4:5], 8, v8
	v_cndmask_b32_e64 v8, v9, v10, s[4:5]
	v_cndmask_b32_e64 v5, v5, v22, s[4:5]
	v_lshlrev_b32_e32 v6, 24, v6
	v_lshlrev_b32_e32 v5, 20, v5
	v_and_b32_e32 v6, 0x80000000, v6
	v_lshl_add_u32 v8, v8, 23, v56
	v_or3_b32 v5, v6, v8, v5
.LBB395_807:                            ;   in Loop: Header=BB395_523 Depth=1
	s_or_b64 exec, exec, s[26:27]
.LBB395_808:                            ;   in Loop: Header=BB395_523 Depth=1
	s_or_b64 exec, exec, s[24:25]
.LBB395_809:                            ;   in Loop: Header=BB395_523 Depth=1
	s_or_b64 exec, exec, s[12:13]
	v_mul_f32_e32 v5, v26, v5
	v_and_b32_e32 v6, 0x7f800000, v5
	v_cmp_ne_u32_e64 s[4:5], s15, v6
                                        ; implicit-def: $vgpr8
	s_and_saveexec_b64 s[12:13], s[4:5]
	s_xor_b64 s[4:5], exec, s[12:13]
; %bb.810:                              ;   in Loop: Header=BB395_523 Depth=1
	v_bfe_u32 v6, v5, 16, 1
	v_add3_u32 v8, v5, v6, s21
                                        ; implicit-def: $vgpr5
; %bb.811:                              ;   in Loop: Header=BB395_523 Depth=1
	s_andn2_saveexec_b64 s[12:13], s[4:5]
; %bb.812:                              ;   in Loop: Header=BB395_523 Depth=1
	v_or_b32_e32 v6, 0x10000, v5
	v_cmp_eq_u32_sdwa s[4:5], v5, v11 src0_sel:WORD_0 src1_sel:DWORD
	v_cndmask_b32_e64 v8, v6, v5, s[4:5]
; %bb.813:                              ;   in Loop: Header=BB395_523 Depth=1
	s_or_b64 exec, exec, s[12:13]
	v_cmp_lt_u32_e64 s[4:5], s9, v2
	v_mov_b32_e32 v5, 0
	s_and_saveexec_b64 s[12:13], s[4:5]
	s_cbranch_execz .LBB395_819
; %bb.814:                              ;   in Loop: Header=BB395_523 Depth=1
	v_lshrrev_b32_e32 v6, 24, v2
	v_cmp_ne_u32_e64 s[4:5], s28, v6
	v_bfrev_b32_e32 v5, 1
	s_and_saveexec_b64 s[24:25], s[4:5]
	s_cbranch_execz .LBB395_818
; %bb.815:                              ;   in Loop: Header=BB395_523 Depth=1
	v_bfe_u32 v9, v2, 24, 7
	v_cmp_ne_u32_e64 s[4:5], s29, v9
	v_mov_b32_e32 v5, 0x7f800001
	s_and_saveexec_b64 s[26:27], s[4:5]
	s_cbranch_execz .LBB395_817
; %bb.816:                              ;   in Loop: Header=BB395_523 Depth=1
	v_and_b32_e32 v5, 7, v6
	v_ffbh_u32_e32 v22, v5
	v_min_u32_e32 v24, 32, v22
	v_subrev_u32_e32 v22, 28, v24
	v_lshlrev_b64 v[22:23], v22, v[6:7]
	v_lshrrev_b32_e32 v10, 3, v9
	v_sub_u32_e32 v23, 29, v24
	v_and_b32_e32 v22, 7, v22
	v_cmp_gt_u32_e64 s[4:5], 8, v9
	v_cndmask_b32_e64 v9, v10, v23, s[4:5]
	v_cndmask_b32_e64 v5, v5, v22, s[4:5]
	v_lshlrev_b32_e32 v6, 24, v6
	v_lshlrev_b32_e32 v5, 20, v5
	v_and_b32_e32 v6, 0x80000000, v6
	v_lshl_add_u32 v9, v9, 23, v56
	v_or3_b32 v5, v6, v9, v5
.LBB395_817:                            ;   in Loop: Header=BB395_523 Depth=1
	s_or_b64 exec, exec, s[26:27]
.LBB395_818:                            ;   in Loop: Header=BB395_523 Depth=1
	s_or_b64 exec, exec, s[24:25]
.LBB395_819:                            ;   in Loop: Header=BB395_523 Depth=1
	s_or_b64 exec, exec, s[12:13]
	v_mul_f32_e32 v5, v26, v5
	v_and_b32_e32 v6, 0x7f800000, v5
	v_cmp_ne_u32_e64 s[4:5], s15, v6
                                        ; implicit-def: $vgpr9
	s_and_saveexec_b64 s[12:13], s[4:5]
	s_xor_b64 s[4:5], exec, s[12:13]
; %bb.820:                              ;   in Loop: Header=BB395_523 Depth=1
	v_bfe_u32 v6, v5, 16, 1
	v_add3_u32 v9, v5, v6, s21
                                        ; implicit-def: $vgpr5
; %bb.821:                              ;   in Loop: Header=BB395_523 Depth=1
	s_andn2_saveexec_b64 s[12:13], s[4:5]
; %bb.822:                              ;   in Loop: Header=BB395_523 Depth=1
	v_or_b32_e32 v6, 0x10000, v5
	v_cmp_eq_u32_sdwa s[4:5], v5, v11 src0_sel:WORD_0 src1_sel:DWORD
	v_cndmask_b32_e64 v9, v6, v5, s[4:5]
; %bb.823:                              ;   in Loop: Header=BB395_523 Depth=1
	s_or_b64 exec, exec, s[12:13]
	v_mov_b32_e32 v10, v3
	v_cmp_ne_u16_sdwa s[4:5], v3, v11 src0_sel:BYTE_0 src1_sel:DWORD
	v_mov_b32_e32 v5, 0
	s_and_saveexec_b64 s[12:13], s[4:5]
	s_cbranch_execz .LBB395_829
; %bb.824:                              ;   in Loop: Header=BB395_523 Depth=1
	v_cmp_ne_u16_sdwa s[4:5], v3, s28 src0_sel:BYTE_0 src1_sel:DWORD
	v_bfrev_b32_e32 v5, 1
	s_and_saveexec_b64 s[24:25], s[4:5]
	s_cbranch_execz .LBB395_828
; %bb.825:                              ;   in Loop: Header=BB395_523 Depth=1
	v_and_b32_e32 v6, 0x7f, v3
	v_cmp_ne_u32_e64 s[4:5], s29, v6
	v_mov_b32_e32 v5, 0x7f800001
	s_and_saveexec_b64 s[26:27], s[4:5]
	s_cbranch_execz .LBB395_827
; %bb.826:                              ;   in Loop: Header=BB395_523 Depth=1
	v_and_b32_e32 v5, 7, v3
	v_ffbh_u32_e32 v5, v5
	v_min_u32_e32 v5, 32, v5
	v_subrev_u32_e32 v23, 28, v5
	v_cmp_gt_u32_e64 s[4:5], 8, v6
	v_lshrrev_b32_e32 v22, 3, v6
	v_sub_u32_e32 v5, 29, v5
	v_cndmask_b32_e64 v6, 0, v23, s[4:5]
	v_cndmask_b32_e64 v5, v22, v5, s[4:5]
	v_lshlrev_b64 v[22:23], v6, v[10:11]
	v_lshlrev_b32_e32 v6, 20, v22
	v_lshlrev_b32_e32 v22, 24, v10
	v_and_b32_e32 v6, 0x700000, v6
	v_and_b32_e32 v22, 0x80000000, v22
	v_lshl_add_u32 v5, v5, 23, v56
	v_or3_b32 v5, v22, v5, v6
.LBB395_827:                            ;   in Loop: Header=BB395_523 Depth=1
	s_or_b64 exec, exec, s[26:27]
.LBB395_828:                            ;   in Loop: Header=BB395_523 Depth=1
	s_or_b64 exec, exec, s[24:25]
.LBB395_829:                            ;   in Loop: Header=BB395_523 Depth=1
	s_or_b64 exec, exec, s[12:13]
	v_mul_f32_e32 v5, v26, v5
	v_and_b32_e32 v6, 0x7f800000, v5
	v_cmp_ne_u32_e64 s[4:5], s15, v6
                                        ; implicit-def: $vgpr22
	s_and_saveexec_b64 s[12:13], s[4:5]
	s_xor_b64 s[4:5], exec, s[12:13]
; %bb.830:                              ;   in Loop: Header=BB395_523 Depth=1
	v_bfe_u32 v6, v5, 16, 1
	v_add3_u32 v22, v5, v6, s21
                                        ; implicit-def: $vgpr5
; %bb.831:                              ;   in Loop: Header=BB395_523 Depth=1
	s_andn2_saveexec_b64 s[12:13], s[4:5]
; %bb.832:                              ;   in Loop: Header=BB395_523 Depth=1
	v_or_b32_e32 v6, 0x10000, v5
	v_cmp_eq_u32_sdwa s[4:5], v5, v11 src0_sel:WORD_0 src1_sel:DWORD
	v_cndmask_b32_e64 v22, v6, v5, s[4:5]
; %bb.833:                              ;   in Loop: Header=BB395_523 Depth=1
	s_or_b64 exec, exec, s[12:13]
	v_lshrrev_b16_e32 v6, 8, v10
	v_cmp_ne_u16_e64 s[4:5], 0, v6
	v_mov_b32_e32 v5, 0
	s_and_saveexec_b64 s[12:13], s[4:5]
	s_cbranch_execz .LBB395_839
; %bb.834:                              ;   in Loop: Header=BB395_523 Depth=1
	v_cmp_ne_u16_e64 s[4:5], s28, v6
	v_bfrev_b32_e32 v5, 1
	s_and_saveexec_b64 s[24:25], s[4:5]
	s_cbranch_execz .LBB395_838
; %bb.835:                              ;   in Loop: Header=BB395_523 Depth=1
	v_and_b32_e32 v23, 0x7f, v6
	v_cmp_ne_u32_e64 s[4:5], s29, v23
	v_mov_b32_e32 v5, 0x7f800001
	s_and_saveexec_b64 s[26:27], s[4:5]
	s_cbranch_execz .LBB395_837
; %bb.836:                              ;   in Loop: Header=BB395_523 Depth=1
	v_and_b32_e32 v5, 7, v6
	v_ffbh_u32_e32 v24, v5
	v_min_u32_e32 v28, 32, v24
	v_subrev_u32_e32 v24, 28, v28
	v_lshlrev_b64 v[24:25], v24, v[6:7]
	v_lshrrev_b32_e32 v27, 3, v23
	v_sub_u32_e32 v6, 29, v28
	v_and_b32_e32 v24, 7, v24
	v_cmp_gt_u32_e64 s[4:5], 8, v23
	v_cndmask_b32_e64 v6, v27, v6, s[4:5]
	v_cndmask_b32_e64 v5, v5, v24, s[4:5]
	v_lshlrev_b32_e32 v10, 16, v10
	v_lshlrev_b32_e32 v5, 20, v5
	v_and_b32_e32 v10, 0x80000000, v10
	v_lshl_add_u32 v6, v6, 23, v56
	v_or3_b32 v5, v10, v6, v5
.LBB395_837:                            ;   in Loop: Header=BB395_523 Depth=1
	s_or_b64 exec, exec, s[26:27]
.LBB395_838:                            ;   in Loop: Header=BB395_523 Depth=1
	s_or_b64 exec, exec, s[24:25]
.LBB395_839:                            ;   in Loop: Header=BB395_523 Depth=1
	s_or_b64 exec, exec, s[12:13]
	v_mul_f32_e32 v6, v26, v5
	v_and_b32_e32 v5, 0x7f800000, v6
	v_cmp_ne_u32_e64 s[4:5], s15, v5
                                        ; implicit-def: $vgpr5
	s_and_saveexec_b64 s[12:13], s[4:5]
	s_xor_b64 s[4:5], exec, s[12:13]
; %bb.840:                              ;   in Loop: Header=BB395_523 Depth=1
	v_bfe_u32 v5, v6, 16, 1
	v_add3_u32 v5, v6, v5, s21
                                        ; implicit-def: $vgpr6
; %bb.841:                              ;   in Loop: Header=BB395_523 Depth=1
	s_andn2_saveexec_b64 s[12:13], s[4:5]
; %bb.842:                              ;   in Loop: Header=BB395_523 Depth=1
	v_or_b32_e32 v5, 0x10000, v6
	v_cmp_eq_u32_sdwa s[4:5], v6, v11 src0_sel:WORD_0 src1_sel:DWORD
	v_cndmask_b32_e64 v5, v5, v6, s[4:5]
; %bb.843:                              ;   in Loop: Header=BB395_523 Depth=1
	s_or_b64 exec, exec, s[12:13]
	v_lshrrev_b32_e32 v6, 16, v3
	v_cmp_ne_u16_sdwa s[4:5], v6, v11 src0_sel:BYTE_0 src1_sel:DWORD
	v_mov_b32_e32 v10, 0
	s_and_saveexec_b64 s[12:13], s[4:5]
	s_cbranch_execz .LBB395_849
; %bb.844:                              ;   in Loop: Header=BB395_523 Depth=1
	v_cmp_ne_u16_sdwa s[4:5], v6, s28 src0_sel:BYTE_0 src1_sel:DWORD
	v_bfrev_b32_e32 v10, 1
	s_and_saveexec_b64 s[24:25], s[4:5]
	s_cbranch_execz .LBB395_848
; %bb.845:                              ;   in Loop: Header=BB395_523 Depth=1
	v_bfe_u32 v23, v3, 16, 7
	v_cmp_ne_u32_e64 s[4:5], s29, v23
	v_mov_b32_e32 v10, 0x7f800001
	s_and_saveexec_b64 s[26:27], s[4:5]
	s_cbranch_execz .LBB395_847
; %bb.846:                              ;   in Loop: Header=BB395_523 Depth=1
	v_and_b32_e32 v10, 7, v6
	v_ffbh_u32_e32 v24, v10
	v_min_u32_e32 v28, 32, v24
	v_subrev_u32_e32 v24, 28, v28
	v_lshlrev_b64 v[24:25], v24, v[6:7]
	v_lshrrev_b32_e32 v27, 3, v23
	v_sub_u32_e32 v25, 29, v28
	v_and_b32_e32 v24, 7, v24
	v_cmp_gt_u32_e64 s[4:5], 8, v23
	v_cndmask_b32_e64 v23, v27, v25, s[4:5]
	v_cndmask_b32_e64 v10, v10, v24, s[4:5]
	v_lshlrev_b32_e32 v6, 24, v6
	v_lshlrev_b32_e32 v10, 20, v10
	v_and_b32_e32 v6, 0x80000000, v6
	v_lshl_add_u32 v23, v23, 23, v56
	v_or3_b32 v10, v6, v23, v10
.LBB395_847:                            ;   in Loop: Header=BB395_523 Depth=1
	s_or_b64 exec, exec, s[26:27]
.LBB395_848:                            ;   in Loop: Header=BB395_523 Depth=1
	s_or_b64 exec, exec, s[24:25]
.LBB395_849:                            ;   in Loop: Header=BB395_523 Depth=1
	s_or_b64 exec, exec, s[12:13]
	v_mul_f32_e32 v6, v26, v10
	v_and_b32_e32 v10, 0x7f800000, v6
	v_cmp_ne_u32_e64 s[4:5], s15, v10
                                        ; implicit-def: $vgpr10
	s_and_saveexec_b64 s[12:13], s[4:5]
	s_xor_b64 s[4:5], exec, s[12:13]
; %bb.850:                              ;   in Loop: Header=BB395_523 Depth=1
	v_bfe_u32 v10, v6, 16, 1
	v_add3_u32 v10, v6, v10, s21
                                        ; implicit-def: $vgpr6
; %bb.851:                              ;   in Loop: Header=BB395_523 Depth=1
	s_andn2_saveexec_b64 s[12:13], s[4:5]
; %bb.852:                              ;   in Loop: Header=BB395_523 Depth=1
	v_or_b32_e32 v10, 0x10000, v6
	v_cmp_eq_u32_sdwa s[4:5], v6, v11 src0_sel:WORD_0 src1_sel:DWORD
	v_cndmask_b32_e64 v10, v10, v6, s[4:5]
; %bb.853:                              ;   in Loop: Header=BB395_523 Depth=1
	s_or_b64 exec, exec, s[12:13]
	v_cmp_lt_u64_e64 s[4:5], s[8:9], v[2:3]
	v_mov_b32_e32 v6, 0
	s_and_saveexec_b64 s[12:13], s[4:5]
	s_cbranch_execz .LBB395_859
; %bb.854:                              ;   in Loop: Header=BB395_523 Depth=1
	v_lshrrev_b32_e32 v2, 24, v3
	v_cmp_ne_u32_e64 s[4:5], s28, v2
	v_bfrev_b32_e32 v6, 1
	s_and_saveexec_b64 s[24:25], s[4:5]
	s_cbranch_execz .LBB395_858
; %bb.855:                              ;   in Loop: Header=BB395_523 Depth=1
	v_bfe_u32 v3, v3, 24, 7
	v_cmp_ne_u32_e64 s[4:5], s29, v3
	v_mov_b32_e32 v6, 0x7f800001
	s_and_saveexec_b64 s[26:27], s[4:5]
	s_cbranch_execz .LBB395_857
; %bb.856:                              ;   in Loop: Header=BB395_523 Depth=1
	v_and_b32_e32 v6, 7, v2
	v_ffbh_u32_e32 v24, v6
	v_min_u32_e32 v27, 32, v24
	v_subrev_u32_e32 v24, 28, v27
	v_lshlrev_b64 v[24:25], v24, v[2:3]
	v_lshrrev_b32_e32 v23, 3, v3
	v_sub_u32_e32 v25, 29, v27
	v_and_b32_e32 v24, 7, v24
	v_cmp_gt_u32_e64 s[4:5], 8, v3
	v_cndmask_b32_e64 v3, v23, v25, s[4:5]
	v_cndmask_b32_e64 v6, v6, v24, s[4:5]
	v_lshlrev_b32_e32 v2, 24, v2
	v_lshlrev_b32_e32 v6, 20, v6
	v_and_b32_e32 v2, 0x80000000, v2
	v_lshl_add_u32 v3, v3, 23, v56
	v_or3_b32 v6, v2, v3, v6
.LBB395_857:                            ;   in Loop: Header=BB395_523 Depth=1
	s_or_b64 exec, exec, s[26:27]
.LBB395_858:                            ;   in Loop: Header=BB395_523 Depth=1
	s_or_b64 exec, exec, s[24:25]
.LBB395_859:                            ;   in Loop: Header=BB395_523 Depth=1
	s_or_b64 exec, exec, s[12:13]
	v_mul_f32_e32 v3, v26, v6
	v_and_b32_e32 v2, 0x7f800000, v3
	v_cmp_ne_u32_e64 s[4:5], s15, v2
                                        ; implicit-def: $vgpr2
	s_and_saveexec_b64 s[12:13], s[4:5]
	s_xor_b64 s[4:5], exec, s[12:13]
; %bb.860:                              ;   in Loop: Header=BB395_523 Depth=1
	v_bfe_u32 v2, v3, 16, 1
	v_add3_u32 v2, v3, v2, s21
                                        ; implicit-def: $vgpr3
; %bb.861:                              ;   in Loop: Header=BB395_523 Depth=1
	s_andn2_saveexec_b64 s[12:13], s[4:5]
; %bb.862:                              ;   in Loop: Header=BB395_523 Depth=1
	v_or_b32_e32 v2, 0x10000, v3
	v_cmp_eq_u32_sdwa s[4:5], v3, v11 src0_sel:WORD_0 src1_sel:DWORD
	v_cndmask_b32_e64 v2, v2, v3, s[4:5]
; %bb.863:                              ;   in Loop: Header=BB395_523 Depth=1
	s_or_b64 exec, exec, s[12:13]
	v_lshrrev_b32_e32 v5, 16, v5
	v_lshrrev_b32_e32 v6, 16, v22
	;; [unrolled: 1-line block ×8, first 2 shown]
	s_and_saveexec_b64 s[12:13], vcc
	s_cbranch_execz .LBB395_865
; %bb.864:                              ;   in Loop: Header=BB395_523 Depth=1
	v_cmp_lt_i32_e64 s[4:5], v31, v32
	v_accvgpr_read_b32 v10, a26
	v_cndmask_b32_e64 v4, 0, v4, s[4:5]
	v_cmp_lt_i32_e64 s[4:5], v10, v32
	v_accvgpr_read_b32 v10, a25
	v_cndmask_b32_e64 v7, 0, v7, s[4:5]
	;; [unrolled: 3-line block ×6, first 2 shown]
	v_cmp_lt_i32_e64 s[4:5], v10, v32
	v_cndmask_b32_e64 v3, 0, v3, s[4:5]
	v_cmp_lt_i32_e64 s[4:5], v17, v32
	v_cndmask_b32_e64 v2, 0, v2, s[4:5]
.LBB395_865:                            ;   in Loop: Header=BB395_523 Depth=1
	s_or_b64 exec, exec, s[12:13]
	v_lshlrev_b32_e32 v4, 16, v4
	v_mul_f32_e32 v4, v40, v4
	v_and_b32_e32 v10, 0x7f800000, v4
	v_cmp_ne_u32_e64 s[4:5], s15, v10
                                        ; implicit-def: $vgpr60
	s_and_saveexec_b64 s[12:13], s[4:5]
	s_xor_b64 s[4:5], exec, s[12:13]
; %bb.866:                              ;   in Loop: Header=BB395_523 Depth=1
	v_bfe_u32 v10, v4, 16, 1
	v_add3_u32 v60, v4, v10, s21
                                        ; implicit-def: $vgpr4
; %bb.867:                              ;   in Loop: Header=BB395_523 Depth=1
	s_andn2_saveexec_b64 s[12:13], s[4:5]
; %bb.868:                              ;   in Loop: Header=BB395_523 Depth=1
	v_or_b32_e32 v10, 0x10000, v4
	v_cmp_eq_u32_sdwa s[4:5], v4, v11 src0_sel:WORD_0 src1_sel:DWORD
	v_cndmask_b32_e64 v60, v10, v4, s[4:5]
; %bb.869:                              ;   in Loop: Header=BB395_523 Depth=1
	s_or_b64 exec, exec, s[12:13]
	v_lshlrev_b32_e32 v4, 16, v7
	v_mul_f32_e32 v4, v41, v4
	v_and_b32_e32 v7, 0x7f800000, v4
	v_cmp_ne_u32_e64 s[4:5], s15, v7
                                        ; implicit-def: $vgpr61
	s_and_saveexec_b64 s[12:13], s[4:5]
	s_xor_b64 s[4:5], exec, s[12:13]
; %bb.870:                              ;   in Loop: Header=BB395_523 Depth=1
	v_bfe_u32 v7, v4, 16, 1
	v_add3_u32 v61, v4, v7, s21
                                        ; implicit-def: $vgpr4
; %bb.871:                              ;   in Loop: Header=BB395_523 Depth=1
	s_andn2_saveexec_b64 s[12:13], s[4:5]
; %bb.872:                              ;   in Loop: Header=BB395_523 Depth=1
	v_or_b32_e32 v7, 0x10000, v4
	v_cmp_eq_u32_sdwa s[4:5], v4, v11 src0_sel:WORD_0 src1_sel:DWORD
	v_cndmask_b32_e64 v61, v7, v4, s[4:5]
; %bb.873:                              ;   in Loop: Header=BB395_523 Depth=1
	s_or_b64 exec, exec, s[12:13]
	v_lshlrev_b32_e32 v4, 16, v8
	v_mul_f32_e32 v4, v42, v4
	v_and_b32_e32 v7, 0x7f800000, v4
	v_cmp_ne_u32_e64 s[4:5], s15, v7
                                        ; implicit-def: $vgpr62
	s_and_saveexec_b64 s[12:13], s[4:5]
	s_xor_b64 s[4:5], exec, s[12:13]
; %bb.874:                              ;   in Loop: Header=BB395_523 Depth=1
	v_bfe_u32 v7, v4, 16, 1
	v_add3_u32 v62, v4, v7, s21
                                        ; implicit-def: $vgpr4
; %bb.875:                              ;   in Loop: Header=BB395_523 Depth=1
	s_andn2_saveexec_b64 s[12:13], s[4:5]
; %bb.876:                              ;   in Loop: Header=BB395_523 Depth=1
	v_or_b32_e32 v7, 0x10000, v4
	v_cmp_eq_u32_sdwa s[4:5], v4, v11 src0_sel:WORD_0 src1_sel:DWORD
	v_cndmask_b32_e64 v62, v7, v4, s[4:5]
; %bb.877:                              ;   in Loop: Header=BB395_523 Depth=1
	s_or_b64 exec, exec, s[12:13]
	v_lshlrev_b32_e32 v4, 16, v9
	v_mul_f32_e32 v4, v43, v4
	v_and_b32_e32 v7, 0x7f800000, v4
	v_cmp_ne_u32_e64 s[4:5], s15, v7
                                        ; implicit-def: $vgpr33
	s_and_saveexec_b64 s[12:13], s[4:5]
	s_xor_b64 s[4:5], exec, s[12:13]
; %bb.878:                              ;   in Loop: Header=BB395_523 Depth=1
	v_bfe_u32 v7, v4, 16, 1
	v_add3_u32 v33, v4, v7, s21
                                        ; implicit-def: $vgpr4
; %bb.879:                              ;   in Loop: Header=BB395_523 Depth=1
	s_andn2_saveexec_b64 s[12:13], s[4:5]
; %bb.880:                              ;   in Loop: Header=BB395_523 Depth=1
	v_or_b32_e32 v7, 0x10000, v4
	v_cmp_eq_u32_sdwa s[4:5], v4, v11 src0_sel:WORD_0 src1_sel:DWORD
	v_cndmask_b32_e64 v33, v7, v4, s[4:5]
; %bb.881:                              ;   in Loop: Header=BB395_523 Depth=1
	s_or_b64 exec, exec, s[12:13]
	v_lshlrev_b32_e32 v4, 16, v6
	v_mul_f32_e32 v4, v44, v4
	v_and_b32_e32 v6, 0x7f800000, v4
	v_cmp_ne_u32_e64 s[4:5], s15, v6
                                        ; implicit-def: $vgpr23
	s_and_saveexec_b64 s[12:13], s[4:5]
	s_xor_b64 s[4:5], exec, s[12:13]
; %bb.882:                              ;   in Loop: Header=BB395_523 Depth=1
	v_bfe_u32 v6, v4, 16, 1
	v_add3_u32 v23, v4, v6, s21
                                        ; implicit-def: $vgpr4
; %bb.883:                              ;   in Loop: Header=BB395_523 Depth=1
	s_andn2_saveexec_b64 s[12:13], s[4:5]
; %bb.884:                              ;   in Loop: Header=BB395_523 Depth=1
	v_or_b32_e32 v6, 0x10000, v4
	v_cmp_eq_u32_sdwa s[4:5], v4, v11 src0_sel:WORD_0 src1_sel:DWORD
	v_cndmask_b32_e64 v23, v6, v4, s[4:5]
; %bb.885:                              ;   in Loop: Header=BB395_523 Depth=1
	s_or_b64 exec, exec, s[12:13]
	v_lshlrev_b32_e32 v4, 16, v5
	v_mul_f32_e32 v4, v45, v4
	v_and_b32_e32 v5, 0x7f800000, v4
	v_cmp_ne_u32_e64 s[4:5], s15, v5
                                        ; implicit-def: $vgpr28
	s_and_saveexec_b64 s[12:13], s[4:5]
	s_xor_b64 s[4:5], exec, s[12:13]
; %bb.886:                              ;   in Loop: Header=BB395_523 Depth=1
	v_bfe_u32 v5, v4, 16, 1
	v_add3_u32 v28, v4, v5, s21
                                        ; implicit-def: $vgpr4
; %bb.887:                              ;   in Loop: Header=BB395_523 Depth=1
	s_andn2_saveexec_b64 s[12:13], s[4:5]
; %bb.888:                              ;   in Loop: Header=BB395_523 Depth=1
	v_or_b32_e32 v5, 0x10000, v4
	v_cmp_eq_u32_sdwa s[4:5], v4, v11 src0_sel:WORD_0 src1_sel:DWORD
	v_cndmask_b32_e64 v28, v5, v4, s[4:5]
; %bb.889:                              ;   in Loop: Header=BB395_523 Depth=1
	s_or_b64 exec, exec, s[12:13]
	v_lshlrev_b32_e32 v3, 16, v3
	v_mul_f32_e32 v3, v46, v3
	v_and_b32_e32 v4, 0x7f800000, v3
	v_cmp_ne_u32_e64 s[4:5], s15, v4
                                        ; implicit-def: $vgpr30
	s_and_saveexec_b64 s[12:13], s[4:5]
	s_xor_b64 s[4:5], exec, s[12:13]
; %bb.890:                              ;   in Loop: Header=BB395_523 Depth=1
	v_bfe_u32 v4, v3, 16, 1
	v_add3_u32 v30, v3, v4, s21
                                        ; implicit-def: $vgpr3
; %bb.891:                              ;   in Loop: Header=BB395_523 Depth=1
	s_andn2_saveexec_b64 s[12:13], s[4:5]
; %bb.892:                              ;   in Loop: Header=BB395_523 Depth=1
	v_or_b32_e32 v4, 0x10000, v3
	v_cmp_eq_u32_sdwa s[4:5], v3, v11 src0_sel:WORD_0 src1_sel:DWORD
	v_cndmask_b32_e64 v30, v4, v3, s[4:5]
; %bb.893:                              ;   in Loop: Header=BB395_523 Depth=1
	s_or_b64 exec, exec, s[12:13]
	v_lshlrev_b32_e32 v2, 16, v2
	v_mul_f32_e32 v2, v47, v2
	v_and_b32_e32 v3, 0x7f800000, v2
	v_cmp_ne_u32_e64 s[4:5], s15, v3
                                        ; implicit-def: $vgpr4
	s_and_saveexec_b64 s[12:13], s[4:5]
	s_xor_b64 s[4:5], exec, s[12:13]
; %bb.894:                              ;   in Loop: Header=BB395_523 Depth=1
	v_bfe_u32 v3, v2, 16, 1
	v_add3_u32 v4, v2, v3, s21
                                        ; implicit-def: $vgpr2
; %bb.895:                              ;   in Loop: Header=BB395_523 Depth=1
	s_andn2_saveexec_b64 s[12:13], s[4:5]
; %bb.896:                              ;   in Loop: Header=BB395_523 Depth=1
	v_or_b32_e32 v3, 0x10000, v2
	v_cmp_eq_u32_sdwa s[4:5], v2, v11 src0_sel:WORD_0 src1_sel:DWORD
	v_cndmask_b32_e64 v4, v3, v2, s[4:5]
; %bb.897:                              ;   in Loop: Header=BB395_523 Depth=1
	s_or_b64 exec, exec, s[12:13]
	flat_load_dwordx2 v[2:3], v[0:1] offset:1536
	v_mov_b32_e32 v5, 0
	s_waitcnt vmcnt(0) lgkmcnt(0)
	v_cmp_ne_u16_sdwa s[4:5], v2, v11 src0_sel:BYTE_0 src1_sel:DWORD
	s_and_saveexec_b64 s[12:13], s[4:5]
	s_cbranch_execz .LBB395_903
; %bb.898:                              ;   in Loop: Header=BB395_523 Depth=1
	v_cmp_ne_u16_sdwa s[4:5], v2, s28 src0_sel:BYTE_0 src1_sel:DWORD
	v_bfrev_b32_e32 v5, 1
	s_and_saveexec_b64 s[24:25], s[4:5]
	s_cbranch_execz .LBB395_902
; %bb.899:                              ;   in Loop: Header=BB395_523 Depth=1
	v_and_b32_e32 v6, 0x7f, v2
	v_cmp_ne_u32_e64 s[4:5], s29, v6
	v_mov_b32_e32 v5, 0x7f800001
	s_and_saveexec_b64 s[26:27], s[4:5]
	s_cbranch_execz .LBB395_901
; %bb.900:                              ;   in Loop: Header=BB395_523 Depth=1
	v_and_b32_e32 v5, 7, v2
	v_ffbh_u32_e32 v5, v5
	v_min_u32_e32 v5, 32, v5
	v_subrev_u32_e32 v8, 28, v5
	v_cmp_gt_u32_e64 s[4:5], 8, v6
	v_lshrrev_b32_e32 v7, 3, v6
	v_sub_u32_e32 v5, 29, v5
	v_cndmask_b32_e64 v6, 0, v8, s[4:5]
	v_cndmask_b32_e64 v5, v7, v5, s[4:5]
	v_lshlrev_b64 v[6:7], v6, v[2:3]
	v_lshlrev_b32_e32 v6, 20, v6
	v_lshlrev_b32_e32 v7, 24, v2
	v_and_b32_e32 v6, 0x700000, v6
	v_and_b32_e32 v7, 0x80000000, v7
	v_lshl_add_u32 v5, v5, 23, v56
	v_or3_b32 v5, v7, v5, v6
.LBB395_901:                            ;   in Loop: Header=BB395_523 Depth=1
	s_or_b64 exec, exec, s[26:27]
.LBB395_902:                            ;   in Loop: Header=BB395_523 Depth=1
	s_or_b64 exec, exec, s[24:25]
.LBB395_903:                            ;   in Loop: Header=BB395_523 Depth=1
	s_or_b64 exec, exec, s[12:13]
	v_mul_f32_e32 v5, v26, v5
	v_and_b32_e32 v6, 0x7f800000, v5
	v_cmp_ne_u32_e64 s[4:5], s15, v6
                                        ; implicit-def: $vgpr7
	s_and_saveexec_b64 s[12:13], s[4:5]
	s_xor_b64 s[4:5], exec, s[12:13]
; %bb.904:                              ;   in Loop: Header=BB395_523 Depth=1
	v_bfe_u32 v6, v5, 16, 1
	v_add3_u32 v7, v5, v6, s21
                                        ; implicit-def: $vgpr5
; %bb.905:                              ;   in Loop: Header=BB395_523 Depth=1
	s_andn2_saveexec_b64 s[12:13], s[4:5]
; %bb.906:                              ;   in Loop: Header=BB395_523 Depth=1
	v_or_b32_e32 v6, 0x10000, v5
	v_cmp_eq_u32_sdwa s[4:5], v5, v11 src0_sel:WORD_0 src1_sel:DWORD
	v_cndmask_b32_e64 v7, v6, v5, s[4:5]
; %bb.907:                              ;   in Loop: Header=BB395_523 Depth=1
	s_or_b64 exec, exec, s[12:13]
	v_lshrrev_b16_e32 v6, 8, v2
	v_cmp_ne_u16_e64 s[4:5], 0, v6
	v_mov_b32_e32 v5, 0
	s_and_saveexec_b64 s[12:13], s[4:5]
	s_cbranch_execz .LBB395_913
; %bb.908:                              ;   in Loop: Header=BB395_523 Depth=1
	v_cmp_ne_u16_e64 s[4:5], s28, v6
	v_bfrev_b32_e32 v5, 1
	s_and_saveexec_b64 s[24:25], s[4:5]
	s_cbranch_execz .LBB395_912
; %bb.909:                              ;   in Loop: Header=BB395_523 Depth=1
	v_and_b32_e32 v8, 0x7f, v6
	v_cmp_ne_u32_e64 s[4:5], s29, v8
	v_mov_b32_e32 v5, 0x7f800001
	s_and_saveexec_b64 s[26:27], s[4:5]
	s_cbranch_execz .LBB395_911
; %bb.910:                              ;   in Loop: Header=BB395_523 Depth=1
	v_and_b32_e32 v5, 7, v6
	v_ffbh_u32_e32 v10, v5
	v_min_u32_e32 v10, 32, v10
	v_subrev_u32_e32 v22, 28, v10
	v_lshlrev_b64 v[24:25], v22, v[6:7]
	v_lshrrev_b32_e32 v9, 3, v8
	v_sub_u32_e32 v6, 29, v10
	v_and_b32_e32 v10, 7, v24
	v_cmp_gt_u32_e64 s[4:5], 8, v8
	v_cndmask_b32_e64 v6, v9, v6, s[4:5]
	v_cndmask_b32_e64 v5, v5, v10, s[4:5]
	v_lshlrev_b32_e32 v8, 16, v2
	v_lshlrev_b32_e32 v5, 20, v5
	v_and_b32_e32 v8, 0x80000000, v8
	v_lshl_add_u32 v6, v6, 23, v56
	v_or3_b32 v5, v8, v6, v5
.LBB395_911:                            ;   in Loop: Header=BB395_523 Depth=1
	s_or_b64 exec, exec, s[26:27]
.LBB395_912:                            ;   in Loop: Header=BB395_523 Depth=1
	s_or_b64 exec, exec, s[24:25]
.LBB395_913:                            ;   in Loop: Header=BB395_523 Depth=1
	s_or_b64 exec, exec, s[12:13]
	v_mul_f32_e32 v5, v26, v5
	v_and_b32_e32 v6, 0x7f800000, v5
	v_cmp_ne_u32_e64 s[4:5], s15, v6
                                        ; implicit-def: $vgpr8
	s_and_saveexec_b64 s[12:13], s[4:5]
	s_xor_b64 s[4:5], exec, s[12:13]
; %bb.914:                              ;   in Loop: Header=BB395_523 Depth=1
	v_bfe_u32 v6, v5, 16, 1
	v_add3_u32 v8, v5, v6, s21
                                        ; implicit-def: $vgpr5
; %bb.915:                              ;   in Loop: Header=BB395_523 Depth=1
	s_andn2_saveexec_b64 s[12:13], s[4:5]
; %bb.916:                              ;   in Loop: Header=BB395_523 Depth=1
	v_or_b32_e32 v6, 0x10000, v5
	v_cmp_eq_u32_sdwa s[4:5], v5, v11 src0_sel:WORD_0 src1_sel:DWORD
	v_cndmask_b32_e64 v8, v6, v5, s[4:5]
; %bb.917:                              ;   in Loop: Header=BB395_523 Depth=1
	s_or_b64 exec, exec, s[12:13]
	v_lshrrev_b32_e32 v6, 16, v2
	v_cmp_ne_u16_sdwa s[4:5], v6, v11 src0_sel:BYTE_0 src1_sel:DWORD
	v_mov_b32_e32 v5, 0
	s_and_saveexec_b64 s[12:13], s[4:5]
	s_cbranch_execz .LBB395_923
; %bb.918:                              ;   in Loop: Header=BB395_523 Depth=1
	v_cmp_ne_u16_sdwa s[4:5], v6, s28 src0_sel:BYTE_0 src1_sel:DWORD
	v_bfrev_b32_e32 v5, 1
	s_and_saveexec_b64 s[24:25], s[4:5]
	s_cbranch_execz .LBB395_922
; %bb.919:                              ;   in Loop: Header=BB395_523 Depth=1
	v_bfe_u32 v9, v2, 16, 7
	v_cmp_ne_u32_e64 s[4:5], s29, v9
	v_mov_b32_e32 v5, 0x7f800001
	s_and_saveexec_b64 s[26:27], s[4:5]
	s_cbranch_execz .LBB395_921
; %bb.920:                              ;   in Loop: Header=BB395_523 Depth=1
	v_and_b32_e32 v5, 7, v6
	v_ffbh_u32_e32 v22, v5
	v_min_u32_e32 v22, 32, v22
	v_subrev_u32_e32 v24, 28, v22
	v_lshlrev_b64 v[24:25], v24, v[6:7]
	v_lshrrev_b32_e32 v10, 3, v9
	v_sub_u32_e32 v22, 29, v22
	v_and_b32_e32 v24, 7, v24
	v_cmp_gt_u32_e64 s[4:5], 8, v9
	v_cndmask_b32_e64 v9, v10, v22, s[4:5]
	v_cndmask_b32_e64 v5, v5, v24, s[4:5]
	v_lshlrev_b32_e32 v6, 24, v6
	v_lshlrev_b32_e32 v5, 20, v5
	v_and_b32_e32 v6, 0x80000000, v6
	v_lshl_add_u32 v9, v9, 23, v56
	v_or3_b32 v5, v6, v9, v5
.LBB395_921:                            ;   in Loop: Header=BB395_523 Depth=1
	s_or_b64 exec, exec, s[26:27]
.LBB395_922:                            ;   in Loop: Header=BB395_523 Depth=1
	s_or_b64 exec, exec, s[24:25]
.LBB395_923:                            ;   in Loop: Header=BB395_523 Depth=1
	s_or_b64 exec, exec, s[12:13]
	v_mul_f32_e32 v5, v26, v5
	v_and_b32_e32 v6, 0x7f800000, v5
	v_cmp_ne_u32_e64 s[4:5], s15, v6
                                        ; implicit-def: $vgpr9
	s_and_saveexec_b64 s[12:13], s[4:5]
	s_xor_b64 s[4:5], exec, s[12:13]
; %bb.924:                              ;   in Loop: Header=BB395_523 Depth=1
	v_bfe_u32 v6, v5, 16, 1
	v_add3_u32 v9, v5, v6, s21
                                        ; implicit-def: $vgpr5
; %bb.925:                              ;   in Loop: Header=BB395_523 Depth=1
	s_andn2_saveexec_b64 s[12:13], s[4:5]
; %bb.926:                              ;   in Loop: Header=BB395_523 Depth=1
	v_or_b32_e32 v6, 0x10000, v5
	v_cmp_eq_u32_sdwa s[4:5], v5, v11 src0_sel:WORD_0 src1_sel:DWORD
	v_cndmask_b32_e64 v9, v6, v5, s[4:5]
; %bb.927:                              ;   in Loop: Header=BB395_523 Depth=1
	s_or_b64 exec, exec, s[12:13]
	v_cmp_lt_u32_e64 s[4:5], s9, v2
	v_mov_b32_e32 v5, 0
	s_and_saveexec_b64 s[12:13], s[4:5]
	s_cbranch_execz .LBB395_933
; %bb.928:                              ;   in Loop: Header=BB395_523 Depth=1
	v_lshrrev_b32_e32 v6, 24, v2
	v_cmp_ne_u32_e64 s[4:5], s28, v6
	v_bfrev_b32_e32 v5, 1
	s_and_saveexec_b64 s[24:25], s[4:5]
	s_cbranch_execz .LBB395_932
; %bb.929:                              ;   in Loop: Header=BB395_523 Depth=1
	v_bfe_u32 v10, v2, 24, 7
	v_cmp_ne_u32_e64 s[4:5], s29, v10
	v_mov_b32_e32 v5, 0x7f800001
	s_and_saveexec_b64 s[26:27], s[4:5]
	s_cbranch_execz .LBB395_931
; %bb.930:                              ;   in Loop: Header=BB395_523 Depth=1
	v_and_b32_e32 v5, 7, v6
	v_ffbh_u32_e32 v24, v5
	v_min_u32_e32 v27, 32, v24
	v_subrev_u32_e32 v24, 28, v27
	v_lshlrev_b64 v[24:25], v24, v[6:7]
	v_lshrrev_b32_e32 v22, 3, v10
	v_sub_u32_e32 v25, 29, v27
	v_and_b32_e32 v24, 7, v24
	v_cmp_gt_u32_e64 s[4:5], 8, v10
	v_cndmask_b32_e64 v10, v22, v25, s[4:5]
	v_cndmask_b32_e64 v5, v5, v24, s[4:5]
	v_lshlrev_b32_e32 v6, 24, v6
	v_lshlrev_b32_e32 v5, 20, v5
	v_and_b32_e32 v6, 0x80000000, v6
	v_lshl_add_u32 v10, v10, 23, v56
	v_or3_b32 v5, v6, v10, v5
.LBB395_931:                            ;   in Loop: Header=BB395_523 Depth=1
	s_or_b64 exec, exec, s[26:27]
.LBB395_932:                            ;   in Loop: Header=BB395_523 Depth=1
	s_or_b64 exec, exec, s[24:25]
.LBB395_933:                            ;   in Loop: Header=BB395_523 Depth=1
	s_or_b64 exec, exec, s[12:13]
	v_mul_f32_e32 v5, v26, v5
	v_and_b32_e32 v6, 0x7f800000, v5
	v_cmp_ne_u32_e64 s[4:5], s15, v6
                                        ; implicit-def: $vgpr22
	s_and_saveexec_b64 s[12:13], s[4:5]
	s_xor_b64 s[4:5], exec, s[12:13]
; %bb.934:                              ;   in Loop: Header=BB395_523 Depth=1
	v_bfe_u32 v6, v5, 16, 1
	v_add3_u32 v22, v5, v6, s21
                                        ; implicit-def: $vgpr5
; %bb.935:                              ;   in Loop: Header=BB395_523 Depth=1
	s_andn2_saveexec_b64 s[12:13], s[4:5]
; %bb.936:                              ;   in Loop: Header=BB395_523 Depth=1
	v_or_b32_e32 v6, 0x10000, v5
	v_cmp_eq_u32_sdwa s[4:5], v5, v11 src0_sel:WORD_0 src1_sel:DWORD
	v_cndmask_b32_e64 v22, v6, v5, s[4:5]
; %bb.937:                              ;   in Loop: Header=BB395_523 Depth=1
	s_or_b64 exec, exec, s[12:13]
	v_mov_b32_e32 v10, v3
	v_cmp_ne_u16_sdwa s[4:5], v3, v11 src0_sel:BYTE_0 src1_sel:DWORD
	v_mov_b32_e32 v5, 0
	s_and_saveexec_b64 s[12:13], s[4:5]
	s_cbranch_execz .LBB395_943
; %bb.938:                              ;   in Loop: Header=BB395_523 Depth=1
	v_cmp_ne_u16_sdwa s[4:5], v3, s28 src0_sel:BYTE_0 src1_sel:DWORD
	v_bfrev_b32_e32 v5, 1
	s_and_saveexec_b64 s[24:25], s[4:5]
	s_cbranch_execz .LBB395_942
; %bb.939:                              ;   in Loop: Header=BB395_523 Depth=1
	v_and_b32_e32 v6, 0x7f, v3
	v_cmp_ne_u32_e64 s[4:5], s29, v6
	v_mov_b32_e32 v5, 0x7f800001
	s_and_saveexec_b64 s[26:27], s[4:5]
	s_cbranch_execz .LBB395_941
; %bb.940:                              ;   in Loop: Header=BB395_523 Depth=1
	v_and_b32_e32 v5, 7, v3
	v_ffbh_u32_e32 v5, v5
	v_min_u32_e32 v5, 32, v5
	v_subrev_u32_e32 v25, 28, v5
	v_cmp_gt_u32_e64 s[4:5], 8, v6
	v_lshrrev_b32_e32 v24, 3, v6
	v_sub_u32_e32 v5, 29, v5
	v_cndmask_b32_e64 v6, 0, v25, s[4:5]
	v_cndmask_b32_e64 v5, v24, v5, s[4:5]
	v_lshlrev_b64 v[24:25], v6, v[10:11]
	v_lshlrev_b32_e32 v6, 20, v24
	v_lshlrev_b32_e32 v24, 24, v10
	v_and_b32_e32 v6, 0x700000, v6
	v_and_b32_e32 v24, 0x80000000, v24
	v_lshl_add_u32 v5, v5, 23, v56
	v_or3_b32 v5, v24, v5, v6
.LBB395_941:                            ;   in Loop: Header=BB395_523 Depth=1
	s_or_b64 exec, exec, s[26:27]
.LBB395_942:                            ;   in Loop: Header=BB395_523 Depth=1
	s_or_b64 exec, exec, s[24:25]
.LBB395_943:                            ;   in Loop: Header=BB395_523 Depth=1
	s_or_b64 exec, exec, s[12:13]
	v_mul_f32_e32 v5, v26, v5
	v_and_b32_e32 v6, 0x7f800000, v5
	v_cmp_ne_u32_e64 s[4:5], s15, v6
                                        ; implicit-def: $vgpr24
	s_and_saveexec_b64 s[12:13], s[4:5]
	s_xor_b64 s[4:5], exec, s[12:13]
; %bb.944:                              ;   in Loop: Header=BB395_523 Depth=1
	v_bfe_u32 v6, v5, 16, 1
	v_add3_u32 v24, v5, v6, s21
                                        ; implicit-def: $vgpr5
; %bb.945:                              ;   in Loop: Header=BB395_523 Depth=1
	s_andn2_saveexec_b64 s[12:13], s[4:5]
; %bb.946:                              ;   in Loop: Header=BB395_523 Depth=1
	v_or_b32_e32 v6, 0x10000, v5
	v_cmp_eq_u32_sdwa s[4:5], v5, v11 src0_sel:WORD_0 src1_sel:DWORD
	v_cndmask_b32_e64 v24, v6, v5, s[4:5]
; %bb.947:                              ;   in Loop: Header=BB395_523 Depth=1
	s_or_b64 exec, exec, s[12:13]
	v_lshrrev_b16_e32 v6, 8, v10
	v_cmp_ne_u16_e64 s[4:5], 0, v6
	v_mov_b32_e32 v5, 0
	s_and_saveexec_b64 s[12:13], s[4:5]
	s_cbranch_execz .LBB395_953
; %bb.948:                              ;   in Loop: Header=BB395_523 Depth=1
	v_cmp_ne_u16_e64 s[4:5], s28, v6
	v_bfrev_b32_e32 v5, 1
	s_and_saveexec_b64 s[24:25], s[4:5]
	s_cbranch_execz .LBB395_952
; %bb.949:                              ;   in Loop: Header=BB395_523 Depth=1
	v_and_b32_e32 v25, 0x7f, v6
	v_cmp_ne_u32_e64 s[4:5], s29, v25
	v_mov_b32_e32 v5, 0x7f800001
	s_and_saveexec_b64 s[26:27], s[4:5]
	s_cbranch_execz .LBB395_951
; %bb.950:                              ;   in Loop: Header=BB395_523 Depth=1
	v_and_b32_e32 v5, 7, v6
	v_ffbh_u32_e32 v29, v5
	v_min_u32_e32 v29, 32, v29
	v_subrev_u32_e32 v35, 28, v29
	v_lshlrev_b64 v[36:37], v35, v[6:7]
	v_lshrrev_b32_e32 v27, 3, v25
	v_sub_u32_e32 v6, 29, v29
	v_and_b32_e32 v29, 7, v36
	v_cmp_gt_u32_e64 s[4:5], 8, v25
	v_cndmask_b32_e64 v6, v27, v6, s[4:5]
	v_cndmask_b32_e64 v5, v5, v29, s[4:5]
	v_lshlrev_b32_e32 v10, 16, v10
	v_lshlrev_b32_e32 v5, 20, v5
	v_and_b32_e32 v10, 0x80000000, v10
	v_lshl_add_u32 v6, v6, 23, v56
	v_or3_b32 v5, v10, v6, v5
.LBB395_951:                            ;   in Loop: Header=BB395_523 Depth=1
	s_or_b64 exec, exec, s[26:27]
.LBB395_952:                            ;   in Loop: Header=BB395_523 Depth=1
	s_or_b64 exec, exec, s[24:25]
.LBB395_953:                            ;   in Loop: Header=BB395_523 Depth=1
	s_or_b64 exec, exec, s[12:13]
	v_mul_f32_e32 v6, v26, v5
	v_and_b32_e32 v5, 0x7f800000, v6
	v_cmp_ne_u32_e64 s[4:5], s15, v5
                                        ; implicit-def: $vgpr5
	s_and_saveexec_b64 s[12:13], s[4:5]
	s_xor_b64 s[4:5], exec, s[12:13]
; %bb.954:                              ;   in Loop: Header=BB395_523 Depth=1
	v_bfe_u32 v5, v6, 16, 1
	v_add3_u32 v5, v6, v5, s21
                                        ; implicit-def: $vgpr6
; %bb.955:                              ;   in Loop: Header=BB395_523 Depth=1
	s_andn2_saveexec_b64 s[12:13], s[4:5]
; %bb.956:                              ;   in Loop: Header=BB395_523 Depth=1
	v_or_b32_e32 v5, 0x10000, v6
	v_cmp_eq_u32_sdwa s[4:5], v6, v11 src0_sel:WORD_0 src1_sel:DWORD
	v_cndmask_b32_e64 v5, v5, v6, s[4:5]
; %bb.957:                              ;   in Loop: Header=BB395_523 Depth=1
	s_or_b64 exec, exec, s[12:13]
	v_lshrrev_b32_e32 v6, 16, v3
	v_cmp_ne_u16_sdwa s[4:5], v6, v11 src0_sel:BYTE_0 src1_sel:DWORD
	v_mov_b32_e32 v10, 0
	s_and_saveexec_b64 s[12:13], s[4:5]
	s_cbranch_execz .LBB395_963
; %bb.958:                              ;   in Loop: Header=BB395_523 Depth=1
	v_cmp_ne_u16_sdwa s[4:5], v6, s28 src0_sel:BYTE_0 src1_sel:DWORD
	v_bfrev_b32_e32 v10, 1
	s_and_saveexec_b64 s[24:25], s[4:5]
	s_cbranch_execz .LBB395_962
; %bb.959:                              ;   in Loop: Header=BB395_523 Depth=1
	v_bfe_u32 v25, v3, 16, 7
	v_cmp_ne_u32_e64 s[4:5], s29, v25
	v_mov_b32_e32 v10, 0x7f800001
	s_and_saveexec_b64 s[26:27], s[4:5]
	s_cbranch_execz .LBB395_961
; %bb.960:                              ;   in Loop: Header=BB395_523 Depth=1
	v_and_b32_e32 v10, 7, v6
	v_ffbh_u32_e32 v29, v10
	v_min_u32_e32 v29, 32, v29
	v_subrev_u32_e32 v35, 28, v29
	v_lshlrev_b64 v[36:37], v35, v[6:7]
	v_lshrrev_b32_e32 v27, 3, v25
	v_sub_u32_e32 v29, 29, v29
	v_and_b32_e32 v35, 7, v36
	v_cmp_gt_u32_e64 s[4:5], 8, v25
	v_cndmask_b32_e64 v25, v27, v29, s[4:5]
	v_cndmask_b32_e64 v10, v10, v35, s[4:5]
	v_lshlrev_b32_e32 v6, 24, v6
	v_lshlrev_b32_e32 v10, 20, v10
	v_and_b32_e32 v6, 0x80000000, v6
	v_lshl_add_u32 v25, v25, 23, v56
	v_or3_b32 v10, v6, v25, v10
.LBB395_961:                            ;   in Loop: Header=BB395_523 Depth=1
	s_or_b64 exec, exec, s[26:27]
.LBB395_962:                            ;   in Loop: Header=BB395_523 Depth=1
	s_or_b64 exec, exec, s[24:25]
.LBB395_963:                            ;   in Loop: Header=BB395_523 Depth=1
	s_or_b64 exec, exec, s[12:13]
	v_mul_f32_e32 v6, v26, v10
	v_and_b32_e32 v10, 0x7f800000, v6
	v_cmp_ne_u32_e64 s[4:5], s15, v10
                                        ; implicit-def: $vgpr25
	s_and_saveexec_b64 s[12:13], s[4:5]
	s_xor_b64 s[4:5], exec, s[12:13]
; %bb.964:                              ;   in Loop: Header=BB395_523 Depth=1
	v_bfe_u32 v10, v6, 16, 1
	v_add3_u32 v25, v6, v10, s21
                                        ; implicit-def: $vgpr6
; %bb.965:                              ;   in Loop: Header=BB395_523 Depth=1
	s_andn2_saveexec_b64 s[12:13], s[4:5]
; %bb.966:                              ;   in Loop: Header=BB395_523 Depth=1
	v_or_b32_e32 v10, 0x10000, v6
	v_cmp_eq_u32_sdwa s[4:5], v6, v11 src0_sel:WORD_0 src1_sel:DWORD
	v_cndmask_b32_e64 v25, v10, v6, s[4:5]
; %bb.967:                              ;   in Loop: Header=BB395_523 Depth=1
	s_or_b64 exec, exec, s[12:13]
	v_cmp_lt_u64_e64 s[4:5], s[8:9], v[2:3]
	v_mov_b32_e32 v6, 0
	s_and_saveexec_b64 s[12:13], s[4:5]
	s_cbranch_execz .LBB395_973
; %bb.968:                              ;   in Loop: Header=BB395_523 Depth=1
	v_lshrrev_b32_e32 v2, 24, v3
	v_cmp_ne_u32_e64 s[4:5], s28, v2
	v_bfrev_b32_e32 v6, 1
	s_and_saveexec_b64 s[24:25], s[4:5]
	s_cbranch_execz .LBB395_972
; %bb.969:                              ;   in Loop: Header=BB395_523 Depth=1
	v_bfe_u32 v3, v3, 24, 7
	v_cmp_ne_u32_e64 s[4:5], s29, v3
	v_mov_b32_e32 v6, 0x7f800001
	s_and_saveexec_b64 s[26:27], s[4:5]
	s_cbranch_execz .LBB395_971
; %bb.970:                              ;   in Loop: Header=BB395_523 Depth=1
	v_and_b32_e32 v6, 7, v2
	v_ffbh_u32_e32 v27, v6
	v_min_u32_e32 v27, 32, v27
	v_subrev_u32_e32 v29, 28, v27
	v_lshlrev_b64 v[36:37], v29, v[2:3]
	v_lshrrev_b32_e32 v10, 3, v3
	v_sub_u32_e32 v27, 29, v27
	v_and_b32_e32 v29, 7, v36
	v_cmp_gt_u32_e64 s[4:5], 8, v3
	v_cndmask_b32_e64 v3, v10, v27, s[4:5]
	v_cndmask_b32_e64 v6, v6, v29, s[4:5]
	v_lshlrev_b32_e32 v2, 24, v2
	v_lshlrev_b32_e32 v6, 20, v6
	v_and_b32_e32 v2, 0x80000000, v2
	v_lshl_add_u32 v3, v3, 23, v56
	v_or3_b32 v6, v2, v3, v6
.LBB395_971:                            ;   in Loop: Header=BB395_523 Depth=1
	s_or_b64 exec, exec, s[26:27]
.LBB395_972:                            ;   in Loop: Header=BB395_523 Depth=1
	s_or_b64 exec, exec, s[24:25]
.LBB395_973:                            ;   in Loop: Header=BB395_523 Depth=1
	s_or_b64 exec, exec, s[12:13]
	v_mul_f32_e32 v3, v26, v6
	v_and_b32_e32 v2, 0x7f800000, v3
	v_cmp_ne_u32_e64 s[4:5], s15, v2
                                        ; implicit-def: $vgpr2
	s_and_saveexec_b64 s[12:13], s[4:5]
	s_xor_b64 s[4:5], exec, s[12:13]
; %bb.974:                              ;   in Loop: Header=BB395_523 Depth=1
	v_bfe_u32 v2, v3, 16, 1
	v_add3_u32 v2, v3, v2, s21
                                        ; implicit-def: $vgpr3
; %bb.975:                              ;   in Loop: Header=BB395_523 Depth=1
	s_andn2_saveexec_b64 s[12:13], s[4:5]
; %bb.976:                              ;   in Loop: Header=BB395_523 Depth=1
	v_or_b32_e32 v2, 0x10000, v3
	v_cmp_eq_u32_sdwa s[4:5], v3, v11 src0_sel:WORD_0 src1_sel:DWORD
	v_cndmask_b32_e64 v2, v2, v3, s[4:5]
; %bb.977:                              ;   in Loop: Header=BB395_523 Depth=1
	s_or_b64 exec, exec, s[12:13]
	v_lshrrev_b32_e32 v5, 16, v5
	v_lshrrev_b32_e32 v6, 16, v24
	;; [unrolled: 1-line block ×8, first 2 shown]
	s_and_saveexec_b64 s[12:13], vcc
	s_cbranch_execz .LBB395_979
; %bb.978:                              ;   in Loop: Header=BB395_523 Depth=1
	v_cmp_lt_i32_e64 s[4:5], v31, v32
	v_accvgpr_read_b32 v22, a26
	v_cndmask_b32_e64 v7, 0, v7, s[4:5]
	v_cmp_lt_i32_e64 s[4:5], v22, v32
	v_accvgpr_read_b32 v22, a25
	v_cndmask_b32_e64 v8, 0, v8, s[4:5]
	;; [unrolled: 3-line block ×6, first 2 shown]
	v_cmp_lt_i32_e64 s[4:5], v22, v32
	v_cndmask_b32_e64 v3, 0, v3, s[4:5]
	v_cmp_lt_i32_e64 s[4:5], v17, v32
	v_cndmask_b32_e64 v2, 0, v2, s[4:5]
.LBB395_979:                            ;   in Loop: Header=BB395_523 Depth=1
	s_or_b64 exec, exec, s[12:13]
	v_lshlrev_b32_e32 v7, 16, v7
	v_mul_f32_e32 v7, v40, v7
	v_and_b32_e32 v22, 0x7f800000, v7
	v_cmp_ne_u32_e64 s[4:5], s15, v22
                                        ; implicit-def: $vgpr24
	s_and_saveexec_b64 s[12:13], s[4:5]
	s_xor_b64 s[4:5], exec, s[12:13]
; %bb.980:                              ;   in Loop: Header=BB395_523 Depth=1
	v_bfe_u32 v22, v7, 16, 1
	v_add3_u32 v24, v7, v22, s21
                                        ; implicit-def: $vgpr7
; %bb.981:                              ;   in Loop: Header=BB395_523 Depth=1
	s_andn2_saveexec_b64 s[12:13], s[4:5]
; %bb.982:                              ;   in Loop: Header=BB395_523 Depth=1
	v_or_b32_e32 v22, 0x10000, v7
	v_cmp_eq_u32_sdwa s[4:5], v7, v11 src0_sel:WORD_0 src1_sel:DWORD
	v_cndmask_b32_e64 v24, v22, v7, s[4:5]
; %bb.983:                              ;   in Loop: Header=BB395_523 Depth=1
	s_or_b64 exec, exec, s[12:13]
	v_lshlrev_b32_e32 v7, 16, v8
	v_mul_f32_e32 v7, v41, v7
	v_and_b32_e32 v8, 0x7f800000, v7
	v_cmp_ne_u32_e64 s[4:5], s15, v8
                                        ; implicit-def: $vgpr25
	s_and_saveexec_b64 s[12:13], s[4:5]
	s_xor_b64 s[4:5], exec, s[12:13]
; %bb.984:                              ;   in Loop: Header=BB395_523 Depth=1
	v_bfe_u32 v8, v7, 16, 1
	v_add3_u32 v25, v7, v8, s21
                                        ; implicit-def: $vgpr7
; %bb.985:                              ;   in Loop: Header=BB395_523 Depth=1
	s_andn2_saveexec_b64 s[12:13], s[4:5]
; %bb.986:                              ;   in Loop: Header=BB395_523 Depth=1
	v_or_b32_e32 v8, 0x10000, v7
	v_cmp_eq_u32_sdwa s[4:5], v7, v11 src0_sel:WORD_0 src1_sel:DWORD
	v_cndmask_b32_e64 v25, v8, v7, s[4:5]
; %bb.987:                              ;   in Loop: Header=BB395_523 Depth=1
	s_or_b64 exec, exec, s[12:13]
	v_lshlrev_b32_e32 v7, 16, v9
	v_mul_f32_e32 v8, v42, v7
	v_and_b32_e32 v7, 0x7f800000, v8
	v_cmp_ne_u32_e64 s[4:5], s15, v7
                                        ; implicit-def: $vgpr7
	s_and_saveexec_b64 s[12:13], s[4:5]
	s_xor_b64 s[4:5], exec, s[12:13]
; %bb.988:                              ;   in Loop: Header=BB395_523 Depth=1
	v_bfe_u32 v7, v8, 16, 1
	v_add3_u32 v7, v8, v7, s21
                                        ; implicit-def: $vgpr8
; %bb.989:                              ;   in Loop: Header=BB395_523 Depth=1
	s_andn2_saveexec_b64 s[12:13], s[4:5]
; %bb.990:                              ;   in Loop: Header=BB395_523 Depth=1
	v_or_b32_e32 v7, 0x10000, v8
	v_cmp_eq_u32_sdwa s[4:5], v8, v11 src0_sel:WORD_0 src1_sel:DWORD
	v_cndmask_b32_e64 v7, v7, v8, s[4:5]
; %bb.991:                              ;   in Loop: Header=BB395_523 Depth=1
	s_or_b64 exec, exec, s[12:13]
	v_lshlrev_b32_e32 v8, 16, v10
	v_mul_f32_e32 v8, v43, v8
	v_and_b32_e32 v9, 0x7f800000, v8
	v_cmp_ne_u32_e64 s[4:5], s15, v9
                                        ; implicit-def: $vgpr22
	s_and_saveexec_b64 s[12:13], s[4:5]
	s_xor_b64 s[4:5], exec, s[12:13]
; %bb.992:                              ;   in Loop: Header=BB395_523 Depth=1
	v_bfe_u32 v9, v8, 16, 1
	v_add3_u32 v22, v8, v9, s21
                                        ; implicit-def: $vgpr8
; %bb.993:                              ;   in Loop: Header=BB395_523 Depth=1
	s_andn2_saveexec_b64 s[12:13], s[4:5]
; %bb.994:                              ;   in Loop: Header=BB395_523 Depth=1
	v_or_b32_e32 v9, 0x10000, v8
	v_cmp_eq_u32_sdwa s[4:5], v8, v11 src0_sel:WORD_0 src1_sel:DWORD
	v_cndmask_b32_e64 v22, v9, v8, s[4:5]
; %bb.995:                              ;   in Loop: Header=BB395_523 Depth=1
	s_or_b64 exec, exec, s[12:13]
	v_lshlrev_b32_e32 v6, 16, v6
	v_mul_f32_e32 v6, v44, v6
	v_and_b32_e32 v8, 0x7f800000, v6
	v_cmp_ne_u32_e64 s[4:5], s15, v8
                                        ; implicit-def: $vgpr8
	s_and_saveexec_b64 s[12:13], s[4:5]
	s_xor_b64 s[4:5], exec, s[12:13]
; %bb.996:                              ;   in Loop: Header=BB395_523 Depth=1
	v_bfe_u32 v8, v6, 16, 1
	v_add3_u32 v8, v6, v8, s21
                                        ; implicit-def: $vgpr6
; %bb.997:                              ;   in Loop: Header=BB395_523 Depth=1
	s_andn2_saveexec_b64 s[12:13], s[4:5]
; %bb.998:                              ;   in Loop: Header=BB395_523 Depth=1
	v_or_b32_e32 v8, 0x10000, v6
	v_cmp_eq_u32_sdwa s[4:5], v6, v11 src0_sel:WORD_0 src1_sel:DWORD
	v_cndmask_b32_e64 v8, v8, v6, s[4:5]
; %bb.999:                              ;   in Loop: Header=BB395_523 Depth=1
	s_or_b64 exec, exec, s[12:13]
	v_lshlrev_b32_e32 v5, 16, v5
	v_mul_f32_e32 v5, v45, v5
	v_and_b32_e32 v6, 0x7f800000, v5
	v_cmp_ne_u32_e64 s[4:5], s15, v6
                                        ; implicit-def: $vgpr9
	s_and_saveexec_b64 s[12:13], s[4:5]
	s_xor_b64 s[4:5], exec, s[12:13]
; %bb.1000:                             ;   in Loop: Header=BB395_523 Depth=1
	v_bfe_u32 v6, v5, 16, 1
	v_add3_u32 v9, v5, v6, s21
                                        ; implicit-def: $vgpr5
; %bb.1001:                             ;   in Loop: Header=BB395_523 Depth=1
	s_andn2_saveexec_b64 s[12:13], s[4:5]
; %bb.1002:                             ;   in Loop: Header=BB395_523 Depth=1
	v_or_b32_e32 v6, 0x10000, v5
	v_cmp_eq_u32_sdwa s[4:5], v5, v11 src0_sel:WORD_0 src1_sel:DWORD
	v_cndmask_b32_e64 v9, v6, v5, s[4:5]
; %bb.1003:                             ;   in Loop: Header=BB395_523 Depth=1
	s_or_b64 exec, exec, s[12:13]
	v_lshlrev_b32_e32 v3, 16, v3
	v_mul_f32_e32 v3, v46, v3
	v_and_b32_e32 v5, 0x7f800000, v3
	v_cmp_ne_u32_e64 s[4:5], s15, v5
                                        ; implicit-def: $vgpr36
	s_and_saveexec_b64 s[12:13], s[4:5]
	s_xor_b64 s[4:5], exec, s[12:13]
; %bb.1004:                             ;   in Loop: Header=BB395_523 Depth=1
	v_bfe_u32 v5, v3, 16, 1
	v_add3_u32 v36, v3, v5, s21
                                        ; implicit-def: $vgpr3
; %bb.1005:                             ;   in Loop: Header=BB395_523 Depth=1
	s_andn2_saveexec_b64 s[12:13], s[4:5]
; %bb.1006:                             ;   in Loop: Header=BB395_523 Depth=1
	v_or_b32_e32 v5, 0x10000, v3
	v_cmp_eq_u32_sdwa s[4:5], v3, v11 src0_sel:WORD_0 src1_sel:DWORD
	v_cndmask_b32_e64 v36, v5, v3, s[4:5]
; %bb.1007:                             ;   in Loop: Header=BB395_523 Depth=1
	s_or_b64 exec, exec, s[12:13]
	v_lshlrev_b32_e32 v2, 16, v2
	v_mul_f32_e32 v2, v47, v2
	v_and_b32_e32 v3, 0x7f800000, v2
	v_cmp_ne_u32_e64 s[4:5], s15, v3
                                        ; implicit-def: $vgpr37
	s_and_saveexec_b64 s[12:13], s[4:5]
	s_xor_b64 s[4:5], exec, s[12:13]
; %bb.1008:                             ;   in Loop: Header=BB395_523 Depth=1
	v_bfe_u32 v3, v2, 16, 1
	v_add3_u32 v37, v2, v3, s21
                                        ; implicit-def: $vgpr2
; %bb.1009:                             ;   in Loop: Header=BB395_523 Depth=1
	s_andn2_saveexec_b64 s[12:13], s[4:5]
; %bb.1010:                             ;   in Loop: Header=BB395_523 Depth=1
	v_or_b32_e32 v3, 0x10000, v2
	v_cmp_eq_u32_sdwa s[4:5], v2, v11 src0_sel:WORD_0 src1_sel:DWORD
	v_cndmask_b32_e64 v37, v3, v2, s[4:5]
; %bb.1011:                             ;   in Loop: Header=BB395_523 Depth=1
	s_or_b64 exec, exec, s[12:13]
	flat_load_dwordx2 v[2:3], v[0:1] offset:2048
	v_mov_b32_e32 v5, 0
	s_waitcnt vmcnt(0) lgkmcnt(0)
	v_cmp_ne_u16_sdwa s[4:5], v2, v11 src0_sel:BYTE_0 src1_sel:DWORD
	s_and_saveexec_b64 s[12:13], s[4:5]
	s_cbranch_execz .LBB395_1017
; %bb.1012:                             ;   in Loop: Header=BB395_523 Depth=1
	v_cmp_ne_u16_sdwa s[4:5], v2, s28 src0_sel:BYTE_0 src1_sel:DWORD
	v_bfrev_b32_e32 v5, 1
	s_and_saveexec_b64 s[24:25], s[4:5]
	s_cbranch_execz .LBB395_1016
; %bb.1013:                             ;   in Loop: Header=BB395_523 Depth=1
	v_and_b32_e32 v6, 0x7f, v2
	v_cmp_ne_u32_e64 s[4:5], s29, v6
	v_mov_b32_e32 v5, 0x7f800001
	s_and_saveexec_b64 s[26:27], s[4:5]
	s_cbranch_execz .LBB395_1015
; %bb.1014:                             ;   in Loop: Header=BB395_523 Depth=1
	v_and_b32_e32 v5, 7, v2
	v_ffbh_u32_e32 v5, v5
	v_min_u32_e32 v5, 32, v5
	v_subrev_u32_e32 v27, 28, v5
	v_cmp_gt_u32_e64 s[4:5], 8, v6
	v_lshrrev_b32_e32 v10, 3, v6
	v_cndmask_b32_e64 v6, 0, v27, s[4:5]
	v_sub_u32_e32 v5, 29, v5
	v_lshlrev_b64 v[38:39], v6, v[2:3]
	v_cndmask_b32_e64 v5, v10, v5, s[4:5]
	v_lshlrev_b32_e32 v6, 20, v38
	v_lshlrev_b32_e32 v10, 24, v2
	v_and_b32_e32 v6, 0x700000, v6
	v_and_b32_e32 v10, 0x80000000, v10
	v_lshl_add_u32 v5, v5, 23, v56
	v_or3_b32 v5, v10, v5, v6
.LBB395_1015:                           ;   in Loop: Header=BB395_523 Depth=1
	s_or_b64 exec, exec, s[26:27]
.LBB395_1016:                           ;   in Loop: Header=BB395_523 Depth=1
	s_or_b64 exec, exec, s[24:25]
.LBB395_1017:                           ;   in Loop: Header=BB395_523 Depth=1
	s_or_b64 exec, exec, s[12:13]
	v_mul_f32_e32 v5, v26, v5
	v_and_b32_e32 v6, 0x7f800000, v5
	v_cmp_ne_u32_e64 s[4:5], s15, v6
                                        ; implicit-def: $vgpr38
	s_and_saveexec_b64 s[12:13], s[4:5]
	s_xor_b64 s[4:5], exec, s[12:13]
; %bb.1018:                             ;   in Loop: Header=BB395_523 Depth=1
	v_bfe_u32 v6, v5, 16, 1
	v_add3_u32 v38, v5, v6, s21
                                        ; implicit-def: $vgpr5
; %bb.1019:                             ;   in Loop: Header=BB395_523 Depth=1
	s_andn2_saveexec_b64 s[12:13], s[4:5]
; %bb.1020:                             ;   in Loop: Header=BB395_523 Depth=1
	v_or_b32_e32 v6, 0x10000, v5
	v_cmp_eq_u32_sdwa s[4:5], v5, v11 src0_sel:WORD_0 src1_sel:DWORD
	v_cndmask_b32_e64 v38, v6, v5, s[4:5]
; %bb.1021:                             ;   in Loop: Header=BB395_523 Depth=1
	s_or_b64 exec, exec, s[12:13]
	v_lshrrev_b16_e32 v6, 8, v2
	v_cmp_ne_u16_e64 s[4:5], 0, v6
	v_mov_b32_e32 v5, 0
	s_and_saveexec_b64 s[12:13], s[4:5]
	s_cbranch_execz .LBB395_1027
; %bb.1022:                             ;   in Loop: Header=BB395_523 Depth=1
	v_cmp_ne_u16_e64 s[4:5], s28, v6
	v_bfrev_b32_e32 v5, 1
	s_and_saveexec_b64 s[24:25], s[4:5]
	s_cbranch_execz .LBB395_1026
; %bb.1023:                             ;   in Loop: Header=BB395_523 Depth=1
	v_and_b32_e32 v10, 0x7f, v6
	v_cmp_ne_u32_e64 s[4:5], s29, v10
	v_mov_b32_e32 v5, 0x7f800001
	s_and_saveexec_b64 s[26:27], s[4:5]
	s_cbranch_execz .LBB395_1025
; %bb.1024:                             ;   in Loop: Header=BB395_523 Depth=1
	v_and_b32_e32 v5, 7, v6
	v_ffbh_u32_e32 v29, v5
	v_min_u32_e32 v29, 32, v29
	v_subrev_u32_e32 v35, 28, v29
	v_lshlrev_b64 v[48:49], v35, v[6:7]
	v_lshrrev_b32_e32 v27, 3, v10
	v_sub_u32_e32 v6, 29, v29
	v_and_b32_e32 v29, 7, v48
	v_cmp_gt_u32_e64 s[4:5], 8, v10
	v_cndmask_b32_e64 v6, v27, v6, s[4:5]
	v_cndmask_b32_e64 v5, v5, v29, s[4:5]
	v_lshlrev_b32_e32 v10, 16, v2
	v_lshlrev_b32_e32 v5, 20, v5
	v_and_b32_e32 v10, 0x80000000, v10
	v_lshl_add_u32 v6, v6, 23, v56
	v_or3_b32 v5, v10, v6, v5
.LBB395_1025:                           ;   in Loop: Header=BB395_523 Depth=1
	s_or_b64 exec, exec, s[26:27]
.LBB395_1026:                           ;   in Loop: Header=BB395_523 Depth=1
	s_or_b64 exec, exec, s[24:25]
.LBB395_1027:                           ;   in Loop: Header=BB395_523 Depth=1
	s_or_b64 exec, exec, s[12:13]
	v_mul_f32_e32 v5, v26, v5
	v_and_b32_e32 v6, 0x7f800000, v5
	v_cmp_ne_u32_e64 s[4:5], s15, v6
                                        ; implicit-def: $vgpr39
	s_and_saveexec_b64 s[12:13], s[4:5]
	s_xor_b64 s[4:5], exec, s[12:13]
; %bb.1028:                             ;   in Loop: Header=BB395_523 Depth=1
	v_bfe_u32 v6, v5, 16, 1
	v_add3_u32 v39, v5, v6, s21
                                        ; implicit-def: $vgpr5
; %bb.1029:                             ;   in Loop: Header=BB395_523 Depth=1
	s_andn2_saveexec_b64 s[12:13], s[4:5]
; %bb.1030:                             ;   in Loop: Header=BB395_523 Depth=1
	v_or_b32_e32 v6, 0x10000, v5
	v_cmp_eq_u32_sdwa s[4:5], v5, v11 src0_sel:WORD_0 src1_sel:DWORD
	v_cndmask_b32_e64 v39, v6, v5, s[4:5]
; %bb.1031:                             ;   in Loop: Header=BB395_523 Depth=1
	s_or_b64 exec, exec, s[12:13]
	v_lshrrev_b32_e32 v6, 16, v2
	v_cmp_ne_u16_sdwa s[4:5], v6, v11 src0_sel:BYTE_0 src1_sel:DWORD
	v_mov_b32_e32 v5, 0
	s_and_saveexec_b64 s[12:13], s[4:5]
	s_cbranch_execz .LBB395_1037
; %bb.1032:                             ;   in Loop: Header=BB395_523 Depth=1
	v_cmp_ne_u16_sdwa s[4:5], v6, s28 src0_sel:BYTE_0 src1_sel:DWORD
	v_bfrev_b32_e32 v5, 1
	s_and_saveexec_b64 s[24:25], s[4:5]
	s_cbranch_execz .LBB395_1036
; %bb.1033:                             ;   in Loop: Header=BB395_523 Depth=1
	v_bfe_u32 v10, v2, 16, 7
	v_cmp_ne_u32_e64 s[4:5], s29, v10
	v_mov_b32_e32 v5, 0x7f800001
	s_and_saveexec_b64 s[26:27], s[4:5]
	s_cbranch_execz .LBB395_1035
; %bb.1034:                             ;   in Loop: Header=BB395_523 Depth=1
	v_and_b32_e32 v5, 7, v6
	v_ffbh_u32_e32 v29, v5
	v_min_u32_e32 v29, 32, v29
	v_subrev_u32_e32 v35, 28, v29
	v_lshlrev_b64 v[48:49], v35, v[6:7]
	v_lshrrev_b32_e32 v27, 3, v10
	v_sub_u32_e32 v29, 29, v29
	v_and_b32_e32 v35, 7, v48
	v_cmp_gt_u32_e64 s[4:5], 8, v10
	v_cndmask_b32_e64 v10, v27, v29, s[4:5]
	v_cndmask_b32_e64 v5, v5, v35, s[4:5]
	v_lshlrev_b32_e32 v6, 24, v6
	v_lshlrev_b32_e32 v5, 20, v5
	v_and_b32_e32 v6, 0x80000000, v6
	v_lshl_add_u32 v10, v10, 23, v56
	v_or3_b32 v5, v6, v10, v5
.LBB395_1035:                           ;   in Loop: Header=BB395_523 Depth=1
	s_or_b64 exec, exec, s[26:27]
.LBB395_1036:                           ;   in Loop: Header=BB395_523 Depth=1
	s_or_b64 exec, exec, s[24:25]
.LBB395_1037:                           ;   in Loop: Header=BB395_523 Depth=1
	s_or_b64 exec, exec, s[12:13]
	v_mul_f32_e32 v5, v26, v5
	v_and_b32_e32 v6, 0x7f800000, v5
	v_cmp_ne_u32_e64 s[4:5], s15, v6
                                        ; implicit-def: $vgpr48
	s_and_saveexec_b64 s[12:13], s[4:5]
	s_xor_b64 s[4:5], exec, s[12:13]
; %bb.1038:                             ;   in Loop: Header=BB395_523 Depth=1
	v_bfe_u32 v6, v5, 16, 1
	v_add3_u32 v48, v5, v6, s21
                                        ; implicit-def: $vgpr5
; %bb.1039:                             ;   in Loop: Header=BB395_523 Depth=1
	s_andn2_saveexec_b64 s[12:13], s[4:5]
; %bb.1040:                             ;   in Loop: Header=BB395_523 Depth=1
	v_or_b32_e32 v6, 0x10000, v5
	v_cmp_eq_u32_sdwa s[4:5], v5, v11 src0_sel:WORD_0 src1_sel:DWORD
	v_cndmask_b32_e64 v48, v6, v5, s[4:5]
; %bb.1041:                             ;   in Loop: Header=BB395_523 Depth=1
	s_or_b64 exec, exec, s[12:13]
	v_cmp_lt_u32_e64 s[4:5], s9, v2
	v_mov_b32_e32 v5, 0
	s_and_saveexec_b64 s[12:13], s[4:5]
	s_cbranch_execz .LBB395_1047
; %bb.1042:                             ;   in Loop: Header=BB395_523 Depth=1
	v_lshrrev_b32_e32 v6, 24, v2
	v_cmp_ne_u32_e64 s[4:5], s28, v6
	v_bfrev_b32_e32 v5, 1
	s_and_saveexec_b64 s[24:25], s[4:5]
	s_cbranch_execz .LBB395_1046
; %bb.1043:                             ;   in Loop: Header=BB395_523 Depth=1
	v_bfe_u32 v10, v2, 24, 7
	v_cmp_ne_u32_e64 s[4:5], s29, v10
	v_mov_b32_e32 v5, 0x7f800001
	s_and_saveexec_b64 s[26:27], s[4:5]
	s_cbranch_execz .LBB395_1045
; %bb.1044:                             ;   in Loop: Header=BB395_523 Depth=1
	v_and_b32_e32 v5, 7, v6
	v_ffbh_u32_e32 v29, v5
	v_min_u32_e32 v29, 32, v29
	v_subrev_u32_e32 v35, 28, v29
	v_lshlrev_b64 v[50:51], v35, v[6:7]
	v_lshrrev_b32_e32 v27, 3, v10
	v_sub_u32_e32 v29, 29, v29
	v_and_b32_e32 v35, 7, v50
	v_cmp_gt_u32_e64 s[4:5], 8, v10
	v_cndmask_b32_e64 v10, v27, v29, s[4:5]
	v_cndmask_b32_e64 v5, v5, v35, s[4:5]
	v_lshlrev_b32_e32 v6, 24, v6
	v_lshlrev_b32_e32 v5, 20, v5
	v_and_b32_e32 v6, 0x80000000, v6
	v_lshl_add_u32 v10, v10, 23, v56
	v_or3_b32 v5, v6, v10, v5
.LBB395_1045:                           ;   in Loop: Header=BB395_523 Depth=1
	s_or_b64 exec, exec, s[26:27]
.LBB395_1046:                           ;   in Loop: Header=BB395_523 Depth=1
	s_or_b64 exec, exec, s[24:25]
.LBB395_1047:                           ;   in Loop: Header=BB395_523 Depth=1
	s_or_b64 exec, exec, s[12:13]
	v_mul_f32_e32 v5, v26, v5
	v_and_b32_e32 v6, 0x7f800000, v5
	v_cmp_ne_u32_e64 s[4:5], s15, v6
                                        ; implicit-def: $vgpr49
	s_and_saveexec_b64 s[12:13], s[4:5]
	s_xor_b64 s[4:5], exec, s[12:13]
; %bb.1048:                             ;   in Loop: Header=BB395_523 Depth=1
	v_bfe_u32 v6, v5, 16, 1
	v_add3_u32 v49, v5, v6, s21
                                        ; implicit-def: $vgpr5
; %bb.1049:                             ;   in Loop: Header=BB395_523 Depth=1
	s_andn2_saveexec_b64 s[12:13], s[4:5]
; %bb.1050:                             ;   in Loop: Header=BB395_523 Depth=1
	v_or_b32_e32 v6, 0x10000, v5
	v_cmp_eq_u32_sdwa s[4:5], v5, v11 src0_sel:WORD_0 src1_sel:DWORD
	v_cndmask_b32_e64 v49, v6, v5, s[4:5]
; %bb.1051:                             ;   in Loop: Header=BB395_523 Depth=1
	s_or_b64 exec, exec, s[12:13]
	v_mov_b32_e32 v10, v3
	v_cmp_ne_u16_sdwa s[4:5], v3, v11 src0_sel:BYTE_0 src1_sel:DWORD
	v_mov_b32_e32 v5, 0
	s_and_saveexec_b64 s[12:13], s[4:5]
	s_cbranch_execz .LBB395_1057
; %bb.1052:                             ;   in Loop: Header=BB395_523 Depth=1
	v_cmp_ne_u16_sdwa s[4:5], v3, s28 src0_sel:BYTE_0 src1_sel:DWORD
	v_bfrev_b32_e32 v5, 1
	s_and_saveexec_b64 s[24:25], s[4:5]
	s_cbranch_execz .LBB395_1056
; %bb.1053:                             ;   in Loop: Header=BB395_523 Depth=1
	v_and_b32_e32 v6, 0x7f, v3
	v_cmp_ne_u32_e64 s[4:5], s29, v6
	v_mov_b32_e32 v5, 0x7f800001
	s_and_saveexec_b64 s[26:27], s[4:5]
	s_cbranch_execz .LBB395_1055
; %bb.1054:                             ;   in Loop: Header=BB395_523 Depth=1
	v_and_b32_e32 v5, 7, v3
	v_ffbh_u32_e32 v5, v5
	v_min_u32_e32 v5, 32, v5
	v_subrev_u32_e32 v29, 28, v5
	v_cmp_gt_u32_e64 s[4:5], 8, v6
	v_lshrrev_b32_e32 v27, 3, v6
	v_cndmask_b32_e64 v6, 0, v29, s[4:5]
	v_sub_u32_e32 v5, 29, v5
	v_lshlrev_b64 v[50:51], v6, v[10:11]
	v_cndmask_b32_e64 v5, v27, v5, s[4:5]
	v_lshlrev_b32_e32 v6, 20, v50
	v_lshlrev_b32_e32 v27, 24, v10
	v_and_b32_e32 v6, 0x700000, v6
	v_and_b32_e32 v27, 0x80000000, v27
	v_lshl_add_u32 v5, v5, 23, v56
	v_or3_b32 v5, v27, v5, v6
.LBB395_1055:                           ;   in Loop: Header=BB395_523 Depth=1
	s_or_b64 exec, exec, s[26:27]
.LBB395_1056:                           ;   in Loop: Header=BB395_523 Depth=1
	s_or_b64 exec, exec, s[24:25]
.LBB395_1057:                           ;   in Loop: Header=BB395_523 Depth=1
	s_or_b64 exec, exec, s[12:13]
	v_mul_f32_e32 v5, v26, v5
	v_and_b32_e32 v6, 0x7f800000, v5
	v_cmp_ne_u32_e64 s[4:5], s15, v6
                                        ; implicit-def: $vgpr50
	s_and_saveexec_b64 s[12:13], s[4:5]
	s_xor_b64 s[4:5], exec, s[12:13]
; %bb.1058:                             ;   in Loop: Header=BB395_523 Depth=1
	v_bfe_u32 v6, v5, 16, 1
	v_add3_u32 v50, v5, v6, s21
                                        ; implicit-def: $vgpr5
; %bb.1059:                             ;   in Loop: Header=BB395_523 Depth=1
	s_andn2_saveexec_b64 s[12:13], s[4:5]
; %bb.1060:                             ;   in Loop: Header=BB395_523 Depth=1
	v_or_b32_e32 v6, 0x10000, v5
	v_cmp_eq_u32_sdwa s[4:5], v5, v11 src0_sel:WORD_0 src1_sel:DWORD
	v_cndmask_b32_e64 v50, v6, v5, s[4:5]
; %bb.1061:                             ;   in Loop: Header=BB395_523 Depth=1
	s_or_b64 exec, exec, s[12:13]
	v_lshrrev_b16_e32 v6, 8, v10
	v_cmp_ne_u16_e64 s[4:5], 0, v6
	v_mov_b32_e32 v5, 0
	s_and_saveexec_b64 s[12:13], s[4:5]
	s_cbranch_execz .LBB395_1067
; %bb.1062:                             ;   in Loop: Header=BB395_523 Depth=1
	v_cmp_ne_u16_e64 s[4:5], s28, v6
	v_bfrev_b32_e32 v5, 1
	s_and_saveexec_b64 s[24:25], s[4:5]
	s_cbranch_execz .LBB395_1066
; %bb.1063:                             ;   in Loop: Header=BB395_523 Depth=1
	v_and_b32_e32 v27, 0x7f, v6
	v_cmp_ne_u32_e64 s[4:5], s29, v27
	v_mov_b32_e32 v5, 0x7f800001
	s_and_saveexec_b64 s[26:27], s[4:5]
	s_cbranch_execz .LBB395_1065
; %bb.1064:                             ;   in Loop: Header=BB395_523 Depth=1
	v_and_b32_e32 v5, 7, v6
	v_ffbh_u32_e32 v35, v5
	v_min_u32_e32 v35, 32, v35
	v_subrev_u32_e32 v51, 28, v35
	v_lshlrev_b64 v[52:53], v51, v[6:7]
	v_lshrrev_b32_e32 v29, 3, v27
	v_sub_u32_e32 v6, 29, v35
	v_and_b32_e32 v35, 7, v52
	v_cmp_gt_u32_e64 s[4:5], 8, v27
	v_cndmask_b32_e64 v6, v29, v6, s[4:5]
	v_cndmask_b32_e64 v5, v5, v35, s[4:5]
	v_lshlrev_b32_e32 v10, 16, v10
	v_lshlrev_b32_e32 v5, 20, v5
	v_and_b32_e32 v10, 0x80000000, v10
	v_lshl_add_u32 v6, v6, 23, v56
	v_or3_b32 v5, v10, v6, v5
.LBB395_1065:                           ;   in Loop: Header=BB395_523 Depth=1
	s_or_b64 exec, exec, s[26:27]
.LBB395_1066:                           ;   in Loop: Header=BB395_523 Depth=1
	s_or_b64 exec, exec, s[24:25]
.LBB395_1067:                           ;   in Loop: Header=BB395_523 Depth=1
	s_or_b64 exec, exec, s[12:13]
	v_mul_f32_e32 v6, v26, v5
	v_and_b32_e32 v5, 0x7f800000, v6
	v_cmp_ne_u32_e64 s[4:5], s15, v5
                                        ; implicit-def: $vgpr5
	s_and_saveexec_b64 s[12:13], s[4:5]
	s_xor_b64 s[4:5], exec, s[12:13]
; %bb.1068:                             ;   in Loop: Header=BB395_523 Depth=1
	v_bfe_u32 v5, v6, 16, 1
	v_add3_u32 v5, v6, v5, s21
                                        ; implicit-def: $vgpr6
; %bb.1069:                             ;   in Loop: Header=BB395_523 Depth=1
	s_andn2_saveexec_b64 s[12:13], s[4:5]
; %bb.1070:                             ;   in Loop: Header=BB395_523 Depth=1
	v_or_b32_e32 v5, 0x10000, v6
	v_cmp_eq_u32_sdwa s[4:5], v6, v11 src0_sel:WORD_0 src1_sel:DWORD
	v_cndmask_b32_e64 v5, v5, v6, s[4:5]
; %bb.1071:                             ;   in Loop: Header=BB395_523 Depth=1
	s_or_b64 exec, exec, s[12:13]
	v_lshrrev_b32_e32 v6, 16, v3
	v_cmp_ne_u16_sdwa s[4:5], v6, v11 src0_sel:BYTE_0 src1_sel:DWORD
	v_mov_b32_e32 v10, 0
	s_and_saveexec_b64 s[12:13], s[4:5]
	s_cbranch_execz .LBB395_1077
; %bb.1072:                             ;   in Loop: Header=BB395_523 Depth=1
	v_cmp_ne_u16_sdwa s[4:5], v6, s28 src0_sel:BYTE_0 src1_sel:DWORD
	v_bfrev_b32_e32 v10, 1
	s_and_saveexec_b64 s[24:25], s[4:5]
	s_cbranch_execz .LBB395_1076
; %bb.1073:                             ;   in Loop: Header=BB395_523 Depth=1
	v_bfe_u32 v27, v3, 16, 7
	v_cmp_ne_u32_e64 s[4:5], s29, v27
	v_mov_b32_e32 v10, 0x7f800001
	s_and_saveexec_b64 s[26:27], s[4:5]
	s_cbranch_execz .LBB395_1075
; %bb.1074:                             ;   in Loop: Header=BB395_523 Depth=1
	v_and_b32_e32 v10, 7, v6
	v_ffbh_u32_e32 v35, v10
	v_min_u32_e32 v35, 32, v35
	v_subrev_u32_e32 v51, 28, v35
	v_lshlrev_b64 v[52:53], v51, v[6:7]
	v_lshrrev_b32_e32 v29, 3, v27
	v_sub_u32_e32 v35, 29, v35
	v_and_b32_e32 v51, 7, v52
	v_cmp_gt_u32_e64 s[4:5], 8, v27
	v_cndmask_b32_e64 v27, v29, v35, s[4:5]
	v_cndmask_b32_e64 v10, v10, v51, s[4:5]
	v_lshlrev_b32_e32 v6, 24, v6
	v_lshlrev_b32_e32 v10, 20, v10
	v_and_b32_e32 v6, 0x80000000, v6
	v_lshl_add_u32 v27, v27, 23, v56
	v_or3_b32 v10, v6, v27, v10
.LBB395_1075:                           ;   in Loop: Header=BB395_523 Depth=1
	s_or_b64 exec, exec, s[26:27]
.LBB395_1076:                           ;   in Loop: Header=BB395_523 Depth=1
	s_or_b64 exec, exec, s[24:25]
.LBB395_1077:                           ;   in Loop: Header=BB395_523 Depth=1
	s_or_b64 exec, exec, s[12:13]
	v_mul_f32_e32 v10, v26, v10
	v_and_b32_e32 v6, 0x7f800000, v10
	v_cmp_ne_u32_e64 s[4:5], s15, v6
                                        ; implicit-def: $vgpr6
	s_and_saveexec_b64 s[12:13], s[4:5]
	s_xor_b64 s[4:5], exec, s[12:13]
; %bb.1078:                             ;   in Loop: Header=BB395_523 Depth=1
	v_bfe_u32 v6, v10, 16, 1
	v_add3_u32 v6, v10, v6, s21
                                        ; implicit-def: $vgpr10
; %bb.1079:                             ;   in Loop: Header=BB395_523 Depth=1
	s_andn2_saveexec_b64 s[12:13], s[4:5]
; %bb.1080:                             ;   in Loop: Header=BB395_523 Depth=1
	v_or_b32_e32 v6, 0x10000, v10
	v_cmp_eq_u32_sdwa s[4:5], v10, v11 src0_sel:WORD_0 src1_sel:DWORD
	v_cndmask_b32_e64 v6, v6, v10, s[4:5]
; %bb.1081:                             ;   in Loop: Header=BB395_523 Depth=1
	s_or_b64 exec, exec, s[12:13]
	v_cmp_lt_u64_e64 s[4:5], s[8:9], v[2:3]
	v_mov_b32_e32 v10, 0
	s_and_saveexec_b64 s[12:13], s[4:5]
	s_cbranch_execz .LBB395_1087
; %bb.1082:                             ;   in Loop: Header=BB395_523 Depth=1
	v_lshrrev_b32_e32 v2, 24, v3
	v_cmp_ne_u32_e64 s[4:5], s28, v2
	v_bfrev_b32_e32 v10, 1
	s_and_saveexec_b64 s[24:25], s[4:5]
	s_cbranch_execz .LBB395_1086
; %bb.1083:                             ;   in Loop: Header=BB395_523 Depth=1
	v_bfe_u32 v3, v3, 24, 7
	v_cmp_ne_u32_e64 s[4:5], s29, v3
	v_mov_b32_e32 v10, 0x7f800001
	s_and_saveexec_b64 s[26:27], s[4:5]
	s_cbranch_execz .LBB395_1085
; %bb.1084:                             ;   in Loop: Header=BB395_523 Depth=1
	v_and_b32_e32 v10, 7, v2
	v_ffbh_u32_e32 v29, v10
	v_min_u32_e32 v29, 32, v29
	v_subrev_u32_e32 v35, 28, v29
	v_lshlrev_b64 v[52:53], v35, v[2:3]
	v_lshrrev_b32_e32 v27, 3, v3
	v_sub_u32_e32 v29, 29, v29
	v_and_b32_e32 v35, 7, v52
	v_cmp_gt_u32_e64 s[4:5], 8, v3
	v_cndmask_b32_e64 v3, v27, v29, s[4:5]
	v_cndmask_b32_e64 v10, v10, v35, s[4:5]
	v_lshlrev_b32_e32 v2, 24, v2
	v_lshlrev_b32_e32 v10, 20, v10
	v_and_b32_e32 v2, 0x80000000, v2
	v_lshl_add_u32 v3, v3, 23, v56
	v_or3_b32 v10, v2, v3, v10
.LBB395_1085:                           ;   in Loop: Header=BB395_523 Depth=1
	s_or_b64 exec, exec, s[26:27]
.LBB395_1086:                           ;   in Loop: Header=BB395_523 Depth=1
	s_or_b64 exec, exec, s[24:25]
.LBB395_1087:                           ;   in Loop: Header=BB395_523 Depth=1
	s_or_b64 exec, exec, s[12:13]
	v_mul_f32_e32 v3, v26, v10
	v_and_b32_e32 v2, 0x7f800000, v3
	v_cmp_ne_u32_e64 s[4:5], s15, v2
                                        ; implicit-def: $vgpr2
	s_and_saveexec_b64 s[12:13], s[4:5]
	s_xor_b64 s[4:5], exec, s[12:13]
; %bb.1088:                             ;   in Loop: Header=BB395_523 Depth=1
	v_bfe_u32 v2, v3, 16, 1
	v_add3_u32 v2, v3, v2, s21
                                        ; implicit-def: $vgpr3
; %bb.1089:                             ;   in Loop: Header=BB395_523 Depth=1
	s_andn2_saveexec_b64 s[12:13], s[4:5]
; %bb.1090:                             ;   in Loop: Header=BB395_523 Depth=1
	v_or_b32_e32 v2, 0x10000, v3
	v_cmp_eq_u32_sdwa s[4:5], v3, v11 src0_sel:WORD_0 src1_sel:DWORD
	v_cndmask_b32_e64 v2, v2, v3, s[4:5]
; %bb.1091:                             ;   in Loop: Header=BB395_523 Depth=1
	s_or_b64 exec, exec, s[12:13]
	v_lshrrev_b32_e32 v10, 16, v5
	v_lshrrev_b32_e32 v27, 16, v50
	;; [unrolled: 1-line block ×8, first 2 shown]
	s_and_saveexec_b64 s[12:13], vcc
	s_cbranch_execz .LBB395_1093
; %bb.1092:                             ;   in Loop: Header=BB395_523 Depth=1
	v_cmp_lt_i32_e64 s[4:5], v31, v32
	v_accvgpr_read_b32 v6, a26
	v_cndmask_b32_e64 v3, 0, v3, s[4:5]
	v_cmp_lt_i32_e64 s[4:5], v6, v32
	v_accvgpr_read_b32 v6, a25
	v_cndmask_b32_e64 v39, 0, v39, s[4:5]
	;; [unrolled: 3-line block ×6, first 2 shown]
	v_cmp_lt_i32_e64 s[4:5], v6, v32
	v_cndmask_b32_e64 v5, 0, v5, s[4:5]
	v_cmp_lt_i32_e64 s[4:5], v17, v32
	v_cndmask_b32_e64 v2, 0, v2, s[4:5]
.LBB395_1093:                           ;   in Loop: Header=BB395_523 Depth=1
	s_or_b64 exec, exec, s[12:13]
	v_lshlrev_b32_e32 v3, 16, v3
	v_mul_f32_e32 v6, v40, v3
	v_and_b32_e32 v3, 0x7f800000, v6
	v_cmp_ne_u32_e64 s[4:5], s15, v3
                                        ; implicit-def: $vgpr3
	s_and_saveexec_b64 s[12:13], s[4:5]
	s_xor_b64 s[4:5], exec, s[12:13]
; %bb.1094:                             ;   in Loop: Header=BB395_523 Depth=1
	v_bfe_u32 v3, v6, 16, 1
	v_add3_u32 v3, v6, v3, s21
                                        ; implicit-def: $vgpr6
; %bb.1095:                             ;   in Loop: Header=BB395_523 Depth=1
	s_andn2_saveexec_b64 s[12:13], s[4:5]
; %bb.1096:                             ;   in Loop: Header=BB395_523 Depth=1
	v_or_b32_e32 v3, 0x10000, v6
	v_cmp_eq_u32_sdwa s[4:5], v6, v11 src0_sel:WORD_0 src1_sel:DWORD
	v_cndmask_b32_e64 v3, v3, v6, s[4:5]
; %bb.1097:                             ;   in Loop: Header=BB395_523 Depth=1
	s_or_b64 exec, exec, s[12:13]
	v_lshlrev_b32_e32 v6, 16, v39
	v_mul_f32_e32 v29, v41, v6
	v_and_b32_e32 v6, 0x7f800000, v29
	v_cmp_ne_u32_e64 s[4:5], s15, v6
                                        ; implicit-def: $vgpr6
	s_and_saveexec_b64 s[12:13], s[4:5]
	s_xor_b64 s[4:5], exec, s[12:13]
; %bb.1098:                             ;   in Loop: Header=BB395_523 Depth=1
	v_bfe_u32 v6, v29, 16, 1
	v_add3_u32 v6, v29, v6, s21
                                        ; implicit-def: $vgpr29
; %bb.1099:                             ;   in Loop: Header=BB395_523 Depth=1
	s_andn2_saveexec_b64 s[12:13], s[4:5]
; %bb.1100:                             ;   in Loop: Header=BB395_523 Depth=1
	v_or_b32_e32 v6, 0x10000, v29
	v_cmp_eq_u32_sdwa s[4:5], v29, v11 src0_sel:WORD_0 src1_sel:DWORD
	v_cndmask_b32_e64 v6, v6, v29, s[4:5]
; %bb.1101:                             ;   in Loop: Header=BB395_523 Depth=1
	s_or_b64 exec, exec, s[12:13]
	v_lshlrev_b32_e32 v29, 16, v48
	v_mul_f32_e32 v29, v42, v29
	v_and_b32_e32 v38, 0x7f800000, v29
	v_cmp_ne_u32_e64 s[4:5], s15, v38
                                        ; implicit-def: $vgpr38
	s_and_saveexec_b64 s[12:13], s[4:5]
	s_xor_b64 s[4:5], exec, s[12:13]
; %bb.1102:                             ;   in Loop: Header=BB395_523 Depth=1
	v_bfe_u32 v38, v29, 16, 1
	v_add3_u32 v38, v29, v38, s21
                                        ; implicit-def: $vgpr29
; %bb.1103:                             ;   in Loop: Header=BB395_523 Depth=1
	s_andn2_saveexec_b64 s[12:13], s[4:5]
; %bb.1104:                             ;   in Loop: Header=BB395_523 Depth=1
	v_or_b32_e32 v38, 0x10000, v29
	v_cmp_eq_u32_sdwa s[4:5], v29, v11 src0_sel:WORD_0 src1_sel:DWORD
	v_cndmask_b32_e64 v38, v38, v29, s[4:5]
; %bb.1105:                             ;   in Loop: Header=BB395_523 Depth=1
	s_or_b64 exec, exec, s[12:13]
	v_lshlrev_b32_e32 v29, 16, v35
	v_mul_f32_e32 v29, v43, v29
	v_and_b32_e32 v35, 0x7f800000, v29
	v_cmp_ne_u32_e64 s[4:5], s15, v35
                                        ; implicit-def: $vgpr39
	s_and_saveexec_b64 s[12:13], s[4:5]
	s_xor_b64 s[4:5], exec, s[12:13]
; %bb.1106:                             ;   in Loop: Header=BB395_523 Depth=1
	v_bfe_u32 v35, v29, 16, 1
	v_add3_u32 v39, v29, v35, s21
                                        ; implicit-def: $vgpr29
; %bb.1107:                             ;   in Loop: Header=BB395_523 Depth=1
	s_andn2_saveexec_b64 s[12:13], s[4:5]
; %bb.1108:                             ;   in Loop: Header=BB395_523 Depth=1
	v_or_b32_e32 v35, 0x10000, v29
	v_cmp_eq_u32_sdwa s[4:5], v29, v11 src0_sel:WORD_0 src1_sel:DWORD
	v_cndmask_b32_e64 v39, v35, v29, s[4:5]
; %bb.1109:                             ;   in Loop: Header=BB395_523 Depth=1
	s_or_b64 exec, exec, s[12:13]
	v_lshlrev_b32_e32 v27, 16, v27
	v_mul_f32_e32 v27, v44, v27
	v_and_b32_e32 v29, 0x7f800000, v27
	v_cmp_ne_u32_e64 s[4:5], s15, v29
                                        ; implicit-def: $vgpr48
	s_and_saveexec_b64 s[12:13], s[4:5]
	s_xor_b64 s[4:5], exec, s[12:13]
; %bb.1110:                             ;   in Loop: Header=BB395_523 Depth=1
	v_bfe_u32 v29, v27, 16, 1
	v_add3_u32 v48, v27, v29, s21
                                        ; implicit-def: $vgpr27
; %bb.1111:                             ;   in Loop: Header=BB395_523 Depth=1
	s_andn2_saveexec_b64 s[12:13], s[4:5]
; %bb.1112:                             ;   in Loop: Header=BB395_523 Depth=1
	v_or_b32_e32 v29, 0x10000, v27
	v_cmp_eq_u32_sdwa s[4:5], v27, v11 src0_sel:WORD_0 src1_sel:DWORD
	v_cndmask_b32_e64 v48, v29, v27, s[4:5]
; %bb.1113:                             ;   in Loop: Header=BB395_523 Depth=1
	s_or_b64 exec, exec, s[12:13]
	v_lshlrev_b32_e32 v10, 16, v10
	v_mul_f32_e32 v10, v45, v10
	v_and_b32_e32 v27, 0x7f800000, v10
	v_cmp_ne_u32_e64 s[4:5], s15, v27
                                        ; implicit-def: $vgpr49
	s_and_saveexec_b64 s[12:13], s[4:5]
	s_xor_b64 s[4:5], exec, s[12:13]
; %bb.1114:                             ;   in Loop: Header=BB395_523 Depth=1
	v_bfe_u32 v27, v10, 16, 1
	v_add3_u32 v49, v10, v27, s21
                                        ; implicit-def: $vgpr10
; %bb.1115:                             ;   in Loop: Header=BB395_523 Depth=1
	s_andn2_saveexec_b64 s[12:13], s[4:5]
; %bb.1116:                             ;   in Loop: Header=BB395_523 Depth=1
	v_or_b32_e32 v27, 0x10000, v10
	v_cmp_eq_u32_sdwa s[4:5], v10, v11 src0_sel:WORD_0 src1_sel:DWORD
	v_cndmask_b32_e64 v49, v27, v10, s[4:5]
; %bb.1117:                             ;   in Loop: Header=BB395_523 Depth=1
	s_or_b64 exec, exec, s[12:13]
	v_lshlrev_b32_e32 v5, 16, v5
	v_mul_f32_e32 v5, v46, v5
	v_and_b32_e32 v10, 0x7f800000, v5
	v_cmp_ne_u32_e64 s[4:5], s15, v10
                                        ; implicit-def: $vgpr50
	s_and_saveexec_b64 s[12:13], s[4:5]
	s_xor_b64 s[4:5], exec, s[12:13]
; %bb.1118:                             ;   in Loop: Header=BB395_523 Depth=1
	v_bfe_u32 v10, v5, 16, 1
	v_add3_u32 v50, v5, v10, s21
                                        ; implicit-def: $vgpr5
; %bb.1119:                             ;   in Loop: Header=BB395_523 Depth=1
	s_andn2_saveexec_b64 s[12:13], s[4:5]
; %bb.1120:                             ;   in Loop: Header=BB395_523 Depth=1
	v_or_b32_e32 v10, 0x10000, v5
	v_cmp_eq_u32_sdwa s[4:5], v5, v11 src0_sel:WORD_0 src1_sel:DWORD
	v_cndmask_b32_e64 v50, v10, v5, s[4:5]
; %bb.1121:                             ;   in Loop: Header=BB395_523 Depth=1
	s_or_b64 exec, exec, s[12:13]
	v_lshlrev_b32_e32 v2, 16, v2
	v_mul_f32_e32 v2, v47, v2
	v_and_b32_e32 v5, 0x7f800000, v2
	v_cmp_ne_u32_e64 s[4:5], s15, v5
                                        ; implicit-def: $vgpr51
	s_and_saveexec_b64 s[12:13], s[4:5]
	s_xor_b64 s[4:5], exec, s[12:13]
; %bb.1122:                             ;   in Loop: Header=BB395_523 Depth=1
	v_bfe_u32 v5, v2, 16, 1
	v_add3_u32 v51, v2, v5, s21
                                        ; implicit-def: $vgpr2
; %bb.1123:                             ;   in Loop: Header=BB395_523 Depth=1
	s_andn2_saveexec_b64 s[12:13], s[4:5]
; %bb.1124:                             ;   in Loop: Header=BB395_523 Depth=1
	v_or_b32_e32 v5, 0x10000, v2
	v_cmp_eq_u32_sdwa s[4:5], v2, v11 src0_sel:WORD_0 src1_sel:DWORD
	v_cndmask_b32_e64 v51, v5, v2, s[4:5]
; %bb.1125:                             ;   in Loop: Header=BB395_523 Depth=1
	s_or_b64 exec, exec, s[12:13]
	flat_load_dwordx2 v[0:1], v[0:1] offset:2560
	v_mov_b32_e32 v2, 0
	s_waitcnt vmcnt(0) lgkmcnt(0)
	v_cmp_ne_u16_sdwa s[4:5], v0, v11 src0_sel:BYTE_0 src1_sel:DWORD
	s_and_saveexec_b64 s[12:13], s[4:5]
	s_cbranch_execz .LBB395_1131
; %bb.1126:                             ;   in Loop: Header=BB395_523 Depth=1
	v_cmp_ne_u16_sdwa s[4:5], v0, s28 src0_sel:BYTE_0 src1_sel:DWORD
	v_bfrev_b32_e32 v2, 1
	s_and_saveexec_b64 s[24:25], s[4:5]
	s_cbranch_execz .LBB395_1130
; %bb.1127:                             ;   in Loop: Header=BB395_523 Depth=1
	v_and_b32_e32 v5, 0x7f, v0
	v_cmp_ne_u32_e64 s[4:5], s29, v5
	v_mov_b32_e32 v2, 0x7f800001
	s_and_saveexec_b64 s[26:27], s[4:5]
	s_cbranch_execz .LBB395_1129
; %bb.1128:                             ;   in Loop: Header=BB395_523 Depth=1
	v_and_b32_e32 v2, 7, v0
	v_ffbh_u32_e32 v2, v2
	v_min_u32_e32 v2, 32, v2
	v_subrev_u32_e32 v27, 28, v2
	v_cmp_gt_u32_e64 s[4:5], 8, v5
	v_lshrrev_b32_e32 v10, 3, v5
	v_cndmask_b32_e64 v5, 0, v27, s[4:5]
	v_sub_u32_e32 v2, 29, v2
	v_lshlrev_b64 v[52:53], v5, v[0:1]
	v_cndmask_b32_e64 v2, v10, v2, s[4:5]
	v_lshlrev_b32_e32 v5, 20, v52
	v_lshlrev_b32_e32 v10, 24, v0
	v_and_b32_e32 v5, 0x700000, v5
	v_and_b32_e32 v10, 0x80000000, v10
	v_lshl_add_u32 v2, v2, 23, v56
	v_or3_b32 v2, v10, v2, v5
.LBB395_1129:                           ;   in Loop: Header=BB395_523 Depth=1
	s_or_b64 exec, exec, s[26:27]
.LBB395_1130:                           ;   in Loop: Header=BB395_523 Depth=1
	s_or_b64 exec, exec, s[24:25]
.LBB395_1131:                           ;   in Loop: Header=BB395_523 Depth=1
	s_or_b64 exec, exec, s[12:13]
	v_mul_f32_e32 v2, v26, v2
	v_and_b32_e32 v5, 0x7f800000, v2
	v_cmp_ne_u32_e64 s[4:5], s15, v5
                                        ; implicit-def: $vgpr52
	s_and_saveexec_b64 s[12:13], s[4:5]
	s_xor_b64 s[4:5], exec, s[12:13]
; %bb.1132:                             ;   in Loop: Header=BB395_523 Depth=1
	v_bfe_u32 v5, v2, 16, 1
	v_add3_u32 v52, v2, v5, s21
                                        ; implicit-def: $vgpr2
; %bb.1133:                             ;   in Loop: Header=BB395_523 Depth=1
	s_andn2_saveexec_b64 s[12:13], s[4:5]
; %bb.1134:                             ;   in Loop: Header=BB395_523 Depth=1
	v_or_b32_e32 v5, 0x10000, v2
	v_cmp_eq_u32_sdwa s[4:5], v2, v11 src0_sel:WORD_0 src1_sel:DWORD
	v_cndmask_b32_e64 v52, v5, v2, s[4:5]
; %bb.1135:                             ;   in Loop: Header=BB395_523 Depth=1
	s_or_b64 exec, exec, s[12:13]
	v_lshrrev_b16_e32 v2, 8, v0
	v_cmp_ne_u16_e64 s[4:5], 0, v2
	v_mov_b32_e32 v5, 0
	s_and_saveexec_b64 s[12:13], s[4:5]
	s_cbranch_execz .LBB395_1141
; %bb.1136:                             ;   in Loop: Header=BB395_523 Depth=1
	v_cmp_ne_u16_e64 s[4:5], s28, v2
	v_bfrev_b32_e32 v5, 1
	s_and_saveexec_b64 s[24:25], s[4:5]
	s_cbranch_execz .LBB395_1140
; %bb.1137:                             ;   in Loop: Header=BB395_523 Depth=1
	v_and_b32_e32 v10, 0x7f, v2
	v_cmp_ne_u32_e64 s[4:5], s29, v10
	v_mov_b32_e32 v5, 0x7f800001
	s_and_saveexec_b64 s[26:27], s[4:5]
	s_cbranch_execz .LBB395_1139
; %bb.1138:                             ;   in Loop: Header=BB395_523 Depth=1
	v_and_b32_e32 v5, 7, v2
	v_ffbh_u32_e32 v29, v5
	v_min_u32_e32 v29, 32, v29
	v_subrev_u32_e32 v35, 28, v29
	v_lshlrev_b64 v[54:55], v35, v[2:3]
	v_lshrrev_b32_e32 v27, 3, v10
	v_sub_u32_e32 v2, 29, v29
	v_and_b32_e32 v29, 7, v54
	v_cmp_gt_u32_e64 s[4:5], 8, v10
	v_cndmask_b32_e64 v2, v27, v2, s[4:5]
	v_cndmask_b32_e64 v5, v5, v29, s[4:5]
	v_lshlrev_b32_e32 v10, 16, v0
	v_lshlrev_b32_e32 v5, 20, v5
	v_and_b32_e32 v10, 0x80000000, v10
	v_lshl_add_u32 v2, v2, 23, v56
	v_or3_b32 v5, v10, v2, v5
.LBB395_1139:                           ;   in Loop: Header=BB395_523 Depth=1
	s_or_b64 exec, exec, s[26:27]
.LBB395_1140:                           ;   in Loop: Header=BB395_523 Depth=1
	s_or_b64 exec, exec, s[24:25]
.LBB395_1141:                           ;   in Loop: Header=BB395_523 Depth=1
	s_or_b64 exec, exec, s[12:13]
	v_mul_f32_e32 v2, v26, v5
	v_and_b32_e32 v5, 0x7f800000, v2
	v_cmp_ne_u32_e64 s[4:5], s15, v5
                                        ; implicit-def: $vgpr53
	s_and_saveexec_b64 s[12:13], s[4:5]
	s_xor_b64 s[4:5], exec, s[12:13]
; %bb.1142:                             ;   in Loop: Header=BB395_523 Depth=1
	v_bfe_u32 v5, v2, 16, 1
	v_add3_u32 v53, v2, v5, s21
                                        ; implicit-def: $vgpr2
; %bb.1143:                             ;   in Loop: Header=BB395_523 Depth=1
	s_andn2_saveexec_b64 s[12:13], s[4:5]
; %bb.1144:                             ;   in Loop: Header=BB395_523 Depth=1
	v_or_b32_e32 v5, 0x10000, v2
	v_cmp_eq_u32_sdwa s[4:5], v2, v11 src0_sel:WORD_0 src1_sel:DWORD
	v_cndmask_b32_e64 v53, v5, v2, s[4:5]
; %bb.1145:                             ;   in Loop: Header=BB395_523 Depth=1
	s_or_b64 exec, exec, s[12:13]
	v_lshrrev_b32_e32 v2, 16, v0
	v_cmp_ne_u16_sdwa s[4:5], v2, v11 src0_sel:BYTE_0 src1_sel:DWORD
	v_mov_b32_e32 v5, 0
	s_and_saveexec_b64 s[12:13], s[4:5]
	s_cbranch_execz .LBB395_1151
; %bb.1146:                             ;   in Loop: Header=BB395_523 Depth=1
	v_cmp_ne_u16_sdwa s[4:5], v2, s28 src0_sel:BYTE_0 src1_sel:DWORD
	v_bfrev_b32_e32 v5, 1
	s_and_saveexec_b64 s[24:25], s[4:5]
	s_cbranch_execz .LBB395_1150
; %bb.1147:                             ;   in Loop: Header=BB395_523 Depth=1
	v_bfe_u32 v10, v0, 16, 7
	v_cmp_ne_u32_e64 s[4:5], s29, v10
	v_mov_b32_e32 v5, 0x7f800001
	s_and_saveexec_b64 s[26:27], s[4:5]
	s_cbranch_execz .LBB395_1149
; %bb.1148:                             ;   in Loop: Header=BB395_523 Depth=1
	v_and_b32_e32 v5, 7, v2
	v_ffbh_u32_e32 v29, v5
	v_min_u32_e32 v29, 32, v29
	v_subrev_u32_e32 v35, 28, v29
	v_lshlrev_b64 v[54:55], v35, v[2:3]
	v_lshrrev_b32_e32 v27, 3, v10
	v_sub_u32_e32 v29, 29, v29
	v_and_b32_e32 v35, 7, v54
	v_cmp_gt_u32_e64 s[4:5], 8, v10
	v_cndmask_b32_e64 v10, v27, v29, s[4:5]
	v_cndmask_b32_e64 v5, v5, v35, s[4:5]
	v_lshlrev_b32_e32 v2, 24, v2
	v_lshlrev_b32_e32 v5, 20, v5
	v_and_b32_e32 v2, 0x80000000, v2
	v_lshl_add_u32 v10, v10, 23, v56
	v_or3_b32 v5, v2, v10, v5
.LBB395_1149:                           ;   in Loop: Header=BB395_523 Depth=1
	s_or_b64 exec, exec, s[26:27]
.LBB395_1150:                           ;   in Loop: Header=BB395_523 Depth=1
	s_or_b64 exec, exec, s[24:25]
.LBB395_1151:                           ;   in Loop: Header=BB395_523 Depth=1
	s_or_b64 exec, exec, s[12:13]
	v_mul_f32_e32 v2, v26, v5
	v_and_b32_e32 v5, 0x7f800000, v2
	v_cmp_ne_u32_e64 s[4:5], s15, v5
                                        ; implicit-def: $vgpr54
	s_and_saveexec_b64 s[12:13], s[4:5]
	s_xor_b64 s[4:5], exec, s[12:13]
; %bb.1152:                             ;   in Loop: Header=BB395_523 Depth=1
	v_bfe_u32 v5, v2, 16, 1
	v_add3_u32 v54, v2, v5, s21
                                        ; implicit-def: $vgpr2
; %bb.1153:                             ;   in Loop: Header=BB395_523 Depth=1
	s_andn2_saveexec_b64 s[12:13], s[4:5]
; %bb.1154:                             ;   in Loop: Header=BB395_523 Depth=1
	v_or_b32_e32 v5, 0x10000, v2
	v_cmp_eq_u32_sdwa s[4:5], v2, v11 src0_sel:WORD_0 src1_sel:DWORD
	v_cndmask_b32_e64 v54, v5, v2, s[4:5]
; %bb.1155:                             ;   in Loop: Header=BB395_523 Depth=1
	s_or_b64 exec, exec, s[12:13]
	v_cmp_lt_u32_e64 s[4:5], s9, v0
	v_mov_b32_e32 v5, 0
	s_and_saveexec_b64 s[12:13], s[4:5]
	s_cbranch_execz .LBB395_1161
; %bb.1156:                             ;   in Loop: Header=BB395_523 Depth=1
	v_lshrrev_b32_e32 v2, 24, v0
	v_cmp_ne_u32_e64 s[4:5], s28, v2
	v_bfrev_b32_e32 v5, 1
	s_and_saveexec_b64 s[24:25], s[4:5]
	s_cbranch_execz .LBB395_1160
; %bb.1157:                             ;   in Loop: Header=BB395_523 Depth=1
	v_bfe_u32 v10, v0, 24, 7
	v_cmp_ne_u32_e64 s[4:5], s29, v10
	v_mov_b32_e32 v5, 0x7f800001
	s_and_saveexec_b64 s[26:27], s[4:5]
	s_cbranch_execz .LBB395_1159
; %bb.1158:                             ;   in Loop: Header=BB395_523 Depth=1
	v_and_b32_e32 v5, 7, v2
	v_ffbh_u32_e32 v29, v5
	v_min_u32_e32 v29, 32, v29
	v_subrev_u32_e32 v35, 28, v29
	v_mov_b32_e32 v55, v31
	v_mov_b32_e32 v31, v57
	v_lshlrev_b64 v[56:57], v35, v[2:3]
	v_lshrrev_b32_e32 v27, 3, v10
	v_sub_u32_e32 v29, 29, v29
	v_and_b32_e32 v35, 7, v56
	v_cmp_gt_u32_e64 s[4:5], 8, v10
	v_bfrev_b32_e32 v56, 60
	v_cndmask_b32_e64 v10, v27, v29, s[4:5]
	v_cndmask_b32_e64 v5, v5, v35, s[4:5]
	v_lshlrev_b32_e32 v2, 24, v2
	v_lshlrev_b32_e32 v5, 20, v5
	v_and_b32_e32 v2, 0x80000000, v2
	v_lshl_add_u32 v10, v10, 23, v56
	v_mov_b32_e32 v57, v31
	v_mov_b32_e32 v31, v55
	v_or3_b32 v5, v2, v10, v5
.LBB395_1159:                           ;   in Loop: Header=BB395_523 Depth=1
	s_or_b64 exec, exec, s[26:27]
.LBB395_1160:                           ;   in Loop: Header=BB395_523 Depth=1
	s_or_b64 exec, exec, s[24:25]
.LBB395_1161:                           ;   in Loop: Header=BB395_523 Depth=1
	s_or_b64 exec, exec, s[12:13]
	v_mul_f32_e32 v2, v26, v5
	v_and_b32_e32 v5, 0x7f800000, v2
	v_cmp_ne_u32_e64 s[4:5], s15, v5
                                        ; implicit-def: $vgpr55
	s_and_saveexec_b64 s[12:13], s[4:5]
	s_xor_b64 s[4:5], exec, s[12:13]
; %bb.1162:                             ;   in Loop: Header=BB395_523 Depth=1
	v_bfe_u32 v5, v2, 16, 1
	v_add3_u32 v55, v2, v5, s21
                                        ; implicit-def: $vgpr2
; %bb.1163:                             ;   in Loop: Header=BB395_523 Depth=1
	s_andn2_saveexec_b64 s[12:13], s[4:5]
; %bb.1164:                             ;   in Loop: Header=BB395_523 Depth=1
	v_or_b32_e32 v5, 0x10000, v2
	v_cmp_eq_u32_sdwa s[4:5], v2, v11 src0_sel:WORD_0 src1_sel:DWORD
	v_cndmask_b32_e64 v55, v5, v2, s[4:5]
; %bb.1165:                             ;   in Loop: Header=BB395_523 Depth=1
	s_or_b64 exec, exec, s[12:13]
	v_mov_b32_e32 v10, v1
	v_cmp_ne_u16_sdwa s[4:5], v1, v11 src0_sel:BYTE_0 src1_sel:DWORD
	v_mov_b32_e32 v2, 0
	s_and_saveexec_b64 s[12:13], s[4:5]
	s_cbranch_execz .LBB395_1171
; %bb.1166:                             ;   in Loop: Header=BB395_523 Depth=1
	v_cmp_ne_u16_sdwa s[4:5], v1, s28 src0_sel:BYTE_0 src1_sel:DWORD
	v_bfrev_b32_e32 v2, 1
	s_and_saveexec_b64 s[24:25], s[4:5]
	s_cbranch_execz .LBB395_1170
; %bb.1167:                             ;   in Loop: Header=BB395_523 Depth=1
	v_and_b32_e32 v5, 0x7f, v1
	v_cmp_ne_u32_e64 s[4:5], s29, v5
	v_mov_b32_e32 v2, 0x7f800001
	s_and_saveexec_b64 s[26:27], s[4:5]
	s_cbranch_execz .LBB395_1169
; %bb.1168:                             ;   in Loop: Header=BB395_523 Depth=1
	v_and_b32_e32 v2, 7, v1
	v_ffbh_u32_e32 v2, v2
	v_min_u32_e32 v2, 32, v2
	v_subrev_u32_e32 v29, 28, v2
	v_cmp_gt_u32_e64 s[4:5], 8, v5
	v_lshrrev_b32_e32 v27, 3, v5
	v_sub_u32_e32 v2, 29, v2
	v_cndmask_b32_e64 v5, 0, v29, s[4:5]
	v_cndmask_b32_e64 v2, v27, v2, s[4:5]
	v_mov_b32_e32 v27, v57
	v_lshlrev_b64 v[56:57], v5, v[10:11]
	v_mov_b32_e32 v57, v27
	v_lshlrev_b32_e32 v5, 20, v56
	v_bfrev_b32_e32 v56, 60
	v_lshlrev_b32_e32 v27, 24, v10
	v_and_b32_e32 v5, 0x700000, v5
	v_and_b32_e32 v27, 0x80000000, v27
	v_lshl_add_u32 v2, v2, 23, v56
	v_or3_b32 v2, v27, v2, v5
.LBB395_1169:                           ;   in Loop: Header=BB395_523 Depth=1
	s_or_b64 exec, exec, s[26:27]
.LBB395_1170:                           ;   in Loop: Header=BB395_523 Depth=1
	s_or_b64 exec, exec, s[24:25]
.LBB395_1171:                           ;   in Loop: Header=BB395_523 Depth=1
	s_or_b64 exec, exec, s[12:13]
	v_mul_f32_e32 v2, v26, v2
	v_and_b32_e32 v5, 0x7f800000, v2
	v_cmp_ne_u32_e64 s[4:5], s15, v5
                                        ; implicit-def: $vgpr5
	s_and_saveexec_b64 s[12:13], s[4:5]
	s_xor_b64 s[4:5], exec, s[12:13]
; %bb.1172:                             ;   in Loop: Header=BB395_523 Depth=1
	v_bfe_u32 v5, v2, 16, 1
	v_add3_u32 v5, v2, v5, s21
                                        ; implicit-def: $vgpr2
; %bb.1173:                             ;   in Loop: Header=BB395_523 Depth=1
	s_andn2_saveexec_b64 s[12:13], s[4:5]
; %bb.1174:                             ;   in Loop: Header=BB395_523 Depth=1
	v_or_b32_e32 v5, 0x10000, v2
	v_cmp_eq_u32_sdwa s[4:5], v2, v11 src0_sel:WORD_0 src1_sel:DWORD
	v_cndmask_b32_e64 v5, v5, v2, s[4:5]
; %bb.1175:                             ;   in Loop: Header=BB395_523 Depth=1
	s_or_b64 exec, exec, s[12:13]
	v_lshrrev_b16_e32 v2, 8, v10
	v_cmp_ne_u16_e64 s[4:5], 0, v2
	v_mov_b32_e32 v27, 0
	s_and_saveexec_b64 s[12:13], s[4:5]
	s_cbranch_execz .LBB395_1181
; %bb.1176:                             ;   in Loop: Header=BB395_523 Depth=1
	v_cmp_ne_u16_e64 s[4:5], s28, v2
	v_bfrev_b32_e32 v27, 1
	s_and_saveexec_b64 s[24:25], s[4:5]
	s_cbranch_execz .LBB395_1180
; %bb.1177:                             ;   in Loop: Header=BB395_523 Depth=1
	v_and_b32_e32 v29, 0x7f, v2
	v_cmp_ne_u32_e64 s[4:5], s29, v29
	v_mov_b32_e32 v27, 0x7f800001
	s_and_saveexec_b64 s[26:27], s[4:5]
	s_cbranch_execz .LBB395_1179
; %bb.1178:                             ;   in Loop: Header=BB395_523 Depth=1
	v_and_b32_e32 v27, 7, v2
	v_ffbh_u32_e32 v56, v27
	v_accvgpr_write_b32 a20, v31
	v_min_u32_e32 v31, 32, v56
	v_subrev_u32_e32 v56, 28, v31
	v_accvgpr_write_b32 a12, v57
	v_lshlrev_b64 v[56:57], v56, v[2:3]
	v_lshrrev_b32_e32 v35, 3, v29
	v_sub_u32_e32 v2, 29, v31
	v_and_b32_e32 v31, 7, v56
	v_cmp_gt_u32_e64 s[4:5], 8, v29
	v_bfrev_b32_e32 v56, 60
	v_cndmask_b32_e64 v2, v35, v2, s[4:5]
	v_cndmask_b32_e64 v27, v27, v31, s[4:5]
	v_lshlrev_b32_e32 v10, 16, v10
	v_lshlrev_b32_e32 v27, 20, v27
	v_and_b32_e32 v10, 0x80000000, v10
	v_lshl_add_u32 v2, v2, 23, v56
	v_accvgpr_read_b32 v57, a12
	v_accvgpr_read_b32 v31, a20
	v_or3_b32 v27, v10, v2, v27
.LBB395_1179:                           ;   in Loop: Header=BB395_523 Depth=1
	s_or_b64 exec, exec, s[26:27]
.LBB395_1180:                           ;   in Loop: Header=BB395_523 Depth=1
	s_or_b64 exec, exec, s[24:25]
.LBB395_1181:                           ;   in Loop: Header=BB395_523 Depth=1
	s_or_b64 exec, exec, s[12:13]
	v_mul_f32_e32 v2, v26, v27
	v_and_b32_e32 v10, 0x7f800000, v2
	v_cmp_ne_u32_e64 s[4:5], s15, v10
                                        ; implicit-def: $vgpr10
	s_and_saveexec_b64 s[12:13], s[4:5]
	s_xor_b64 s[4:5], exec, s[12:13]
; %bb.1182:                             ;   in Loop: Header=BB395_523 Depth=1
	v_bfe_u32 v10, v2, 16, 1
	v_add3_u32 v10, v2, v10, s21
                                        ; implicit-def: $vgpr2
; %bb.1183:                             ;   in Loop: Header=BB395_523 Depth=1
	s_andn2_saveexec_b64 s[12:13], s[4:5]
; %bb.1184:                             ;   in Loop: Header=BB395_523 Depth=1
	v_or_b32_e32 v10, 0x10000, v2
	v_cmp_eq_u32_sdwa s[4:5], v2, v11 src0_sel:WORD_0 src1_sel:DWORD
	v_cndmask_b32_e64 v10, v10, v2, s[4:5]
; %bb.1185:                             ;   in Loop: Header=BB395_523 Depth=1
	s_or_b64 exec, exec, s[12:13]
	v_lshrrev_b32_e32 v2, 16, v1
	v_cmp_ne_u16_sdwa s[4:5], v2, v11 src0_sel:BYTE_0 src1_sel:DWORD
	v_mov_b32_e32 v27, 0
	s_and_saveexec_b64 s[12:13], s[4:5]
	s_cbranch_execz .LBB395_1191
; %bb.1186:                             ;   in Loop: Header=BB395_523 Depth=1
	v_cmp_ne_u16_sdwa s[4:5], v2, s28 src0_sel:BYTE_0 src1_sel:DWORD
	v_bfrev_b32_e32 v27, 1
	s_and_saveexec_b64 s[24:25], s[4:5]
	s_cbranch_execz .LBB395_1190
; %bb.1187:                             ;   in Loop: Header=BB395_523 Depth=1
	v_bfe_u32 v29, v1, 16, 7
	v_cmp_ne_u32_e64 s[4:5], s29, v29
	v_mov_b32_e32 v27, 0x7f800001
	s_and_saveexec_b64 s[26:27], s[4:5]
	s_cbranch_execz .LBB395_1189
; %bb.1188:                             ;   in Loop: Header=BB395_523 Depth=1
	v_and_b32_e32 v27, 7, v2
	v_ffbh_u32_e32 v35, v27
	v_min_u32_e32 v35, 32, v35
	v_subrev_u32_e32 v56, 28, v35
	v_accvgpr_write_b32 a12, v57
	v_lshlrev_b64 v[56:57], v56, v[2:3]
	v_accvgpr_write_b32 a20, v31
	v_lshrrev_b32_e32 v31, 3, v29
	v_sub_u32_e32 v35, 29, v35
	v_and_b32_e32 v56, 7, v56
	v_cmp_gt_u32_e64 s[4:5], 8, v29
	v_cndmask_b32_e64 v29, v31, v35, s[4:5]
	v_cndmask_b32_e64 v27, v27, v56, s[4:5]
	v_bfrev_b32_e32 v56, 60
	v_lshlrev_b32_e32 v2, 24, v2
	v_lshlrev_b32_e32 v27, 20, v27
	v_and_b32_e32 v2, 0x80000000, v2
	v_lshl_add_u32 v29, v29, 23, v56
	v_accvgpr_read_b32 v57, a12
	v_accvgpr_read_b32 v31, a20
	v_or3_b32 v27, v2, v29, v27
.LBB395_1189:                           ;   in Loop: Header=BB395_523 Depth=1
	s_or_b64 exec, exec, s[26:27]
.LBB395_1190:                           ;   in Loop: Header=BB395_523 Depth=1
	s_or_b64 exec, exec, s[24:25]
.LBB395_1191:                           ;   in Loop: Header=BB395_523 Depth=1
	s_or_b64 exec, exec, s[12:13]
	v_mul_f32_e32 v27, v26, v27
	v_and_b32_e32 v2, 0x7f800000, v27
	v_cmp_ne_u32_e64 s[4:5], s15, v2
                                        ; implicit-def: $vgpr2
	s_and_saveexec_b64 s[12:13], s[4:5]
	s_xor_b64 s[4:5], exec, s[12:13]
; %bb.1192:                             ;   in Loop: Header=BB395_523 Depth=1
	v_bfe_u32 v2, v27, 16, 1
	v_add3_u32 v2, v27, v2, s21
                                        ; implicit-def: $vgpr27
; %bb.1193:                             ;   in Loop: Header=BB395_523 Depth=1
	s_andn2_saveexec_b64 s[12:13], s[4:5]
; %bb.1194:                             ;   in Loop: Header=BB395_523 Depth=1
	v_or_b32_e32 v2, 0x10000, v27
	v_cmp_eq_u32_sdwa s[4:5], v27, v11 src0_sel:WORD_0 src1_sel:DWORD
	v_cndmask_b32_e64 v2, v2, v27, s[4:5]
; %bb.1195:                             ;   in Loop: Header=BB395_523 Depth=1
	s_or_b64 exec, exec, s[12:13]
	v_cmp_lt_u64_e64 s[4:5], s[8:9], v[0:1]
	v_mov_b32_e32 v27, 0
	s_and_saveexec_b64 s[12:13], s[4:5]
	s_cbranch_execz .LBB395_1201
; %bb.1196:                             ;   in Loop: Header=BB395_523 Depth=1
	v_lshrrev_b32_e32 v0, 24, v1
	v_cmp_ne_u32_e64 s[4:5], s28, v0
	v_bfrev_b32_e32 v27, 1
	s_and_saveexec_b64 s[24:25], s[4:5]
	s_cbranch_execz .LBB395_1200
; %bb.1197:                             ;   in Loop: Header=BB395_523 Depth=1
	v_bfe_u32 v1, v1, 24, 7
	v_cmp_ne_u32_e64 s[4:5], s29, v1
	v_mov_b32_e32 v27, 0x7f800001
	s_and_saveexec_b64 s[26:27], s[4:5]
	s_cbranch_execz .LBB395_1199
; %bb.1198:                             ;   in Loop: Header=BB395_523 Depth=1
	v_and_b32_e32 v27, 7, v0
	v_accvgpr_write_b32 a20, v31
	v_ffbh_u32_e32 v31, v27
	v_min_u32_e32 v31, 32, v31
	v_subrev_u32_e32 v35, 28, v31
	v_accvgpr_write_b32 a12, v57
	v_lshlrev_b64 v[56:57], v35, v[0:1]
	v_lshrrev_b32_e32 v29, 3, v1
	v_sub_u32_e32 v31, 29, v31
	v_and_b32_e32 v35, 7, v56
	v_cmp_gt_u32_e64 s[4:5], 8, v1
	v_bfrev_b32_e32 v56, 60
	v_cndmask_b32_e64 v1, v29, v31, s[4:5]
	v_cndmask_b32_e64 v27, v27, v35, s[4:5]
	v_lshlrev_b32_e32 v0, 24, v0
	v_lshlrev_b32_e32 v27, 20, v27
	v_and_b32_e32 v0, 0x80000000, v0
	v_lshl_add_u32 v1, v1, 23, v56
	v_accvgpr_read_b32 v57, a12
	v_accvgpr_read_b32 v31, a20
	v_or3_b32 v27, v0, v1, v27
.LBB395_1199:                           ;   in Loop: Header=BB395_523 Depth=1
	s_or_b64 exec, exec, s[26:27]
.LBB395_1200:                           ;   in Loop: Header=BB395_523 Depth=1
	s_or_b64 exec, exec, s[24:25]
.LBB395_1201:                           ;   in Loop: Header=BB395_523 Depth=1
	s_or_b64 exec, exec, s[12:13]
	v_mul_f32_e32 v0, v26, v27
	v_and_b32_e32 v1, 0x7f800000, v0
	v_cmp_ne_u32_e64 s[4:5], s15, v1
                                        ; implicit-def: $vgpr29
	s_and_saveexec_b64 s[12:13], s[4:5]
	s_xor_b64 s[4:5], exec, s[12:13]
; %bb.1202:                             ;   in Loop: Header=BB395_523 Depth=1
	v_bfe_u32 v1, v0, 16, 1
	v_add3_u32 v29, v0, v1, s21
                                        ; implicit-def: $vgpr0
; %bb.1203:                             ;   in Loop: Header=BB395_523 Depth=1
	s_andn2_saveexec_b64 s[12:13], s[4:5]
; %bb.1204:                             ;   in Loop: Header=BB395_523 Depth=1
	v_or_b32_e32 v1, 0x10000, v0
	v_cmp_eq_u32_sdwa s[4:5], v0, v11 src0_sel:WORD_0 src1_sel:DWORD
	v_cndmask_b32_e64 v29, v1, v0, s[4:5]
; %bb.1205:                             ;   in Loop: Header=BB395_523 Depth=1
	s_or_b64 exec, exec, s[12:13]
	v_lshrrev_b32_e32 v27, 16, v10
	v_lshrrev_b32_e32 v35, 16, v5
	;; [unrolled: 1-line block ×8, first 2 shown]
	s_and_saveexec_b64 s[4:5], vcc
	s_cbranch_execz .LBB395_1207
; %bb.1206:                             ;   in Loop: Header=BB395_523 Depth=1
	v_cmp_lt_i32_e32 vcc, v31, v32
	v_accvgpr_read_b32 v2, a26
	v_cndmask_b32_e32 v0, 0, v0, vcc
	v_cmp_lt_i32_e32 vcc, v2, v32
	v_accvgpr_read_b32 v2, a25
	v_cndmask_b32_e32 v1, 0, v1, vcc
	v_cmp_lt_i32_e32 vcc, v2, v32
	v_accvgpr_read_b32 v2, a24
	v_cndmask_b32_e32 v54, 0, v54, vcc
	v_cmp_lt_i32_e32 vcc, v2, v32
	v_accvgpr_read_b32 v2, a23
	v_cndmask_b32_e32 v10, 0, v10, vcc
	v_cmp_lt_i32_e32 vcc, v2, v32
	v_accvgpr_read_b32 v2, a22
	v_cndmask_b32_e32 v35, 0, v35, vcc
	v_cmp_lt_i32_e32 vcc, v2, v32
	v_accvgpr_read_b32 v2, a21
	v_cndmask_b32_e32 v27, 0, v27, vcc
	v_cmp_lt_i32_e32 vcc, v2, v32
	v_cndmask_b32_e32 v52, 0, v52, vcc
	v_cmp_lt_i32_e32 vcc, v17, v32
	v_cndmask_b32_e32 v5, 0, v5, vcc
.LBB395_1207:                           ;   in Loop: Header=BB395_523 Depth=1
	s_or_b64 exec, exec, s[4:5]
	v_lshlrev_b32_e32 v0, 16, v0
	v_mul_f32_e32 v2, v40, v0
	v_and_b32_e32 v0, 0x7f800000, v2
	v_cmp_ne_u32_e32 vcc, s15, v0
                                        ; implicit-def: $vgpr0
	s_and_saveexec_b64 s[4:5], vcc
	s_xor_b64 s[4:5], exec, s[4:5]
; %bb.1208:                             ;   in Loop: Header=BB395_523 Depth=1
	v_bfe_u32 v0, v2, 16, 1
	v_add3_u32 v0, v2, v0, s21
                                        ; implicit-def: $vgpr2
; %bb.1209:                             ;   in Loop: Header=BB395_523 Depth=1
	s_andn2_saveexec_b64 s[4:5], s[4:5]
; %bb.1210:                             ;   in Loop: Header=BB395_523 Depth=1
	v_or_b32_e32 v0, 0x10000, v2
	v_cmp_eq_u32_sdwa vcc, v2, v11 src0_sel:WORD_0 src1_sel:DWORD
	v_cndmask_b32_e32 v0, v0, v2, vcc
; %bb.1211:                             ;   in Loop: Header=BB395_523 Depth=1
	s_or_b64 exec, exec, s[4:5]
	v_lshlrev_b32_e32 v1, 16, v1
	v_mul_f32_e32 v2, v41, v1
	v_and_b32_e32 v1, 0x7f800000, v2
	v_cmp_ne_u32_e32 vcc, s15, v1
                                        ; implicit-def: $vgpr1
	s_and_saveexec_b64 s[4:5], vcc
	s_xor_b64 s[4:5], exec, s[4:5]
; %bb.1212:                             ;   in Loop: Header=BB395_523 Depth=1
	v_bfe_u32 v1, v2, 16, 1
	v_add3_u32 v1, v2, v1, s21
                                        ; implicit-def: $vgpr2
; %bb.1213:                             ;   in Loop: Header=BB395_523 Depth=1
	s_andn2_saveexec_b64 s[4:5], s[4:5]
; %bb.1214:                             ;   in Loop: Header=BB395_523 Depth=1
	v_or_b32_e32 v1, 0x10000, v2
	v_cmp_eq_u32_sdwa vcc, v2, v11 src0_sel:WORD_0 src1_sel:DWORD
	v_cndmask_b32_e32 v1, v1, v2, vcc
; %bb.1215:                             ;   in Loop: Header=BB395_523 Depth=1
	s_or_b64 exec, exec, s[4:5]
	v_lshlrev_b32_e32 v2, 16, v54
	v_mul_f32_e32 v29, v42, v2
	v_and_b32_e32 v2, 0x7f800000, v29
	v_cmp_ne_u32_e32 vcc, s15, v2
                                        ; implicit-def: $vgpr2
	s_and_saveexec_b64 s[4:5], vcc
	s_xor_b64 s[4:5], exec, s[4:5]
; %bb.1216:                             ;   in Loop: Header=BB395_523 Depth=1
	v_bfe_u32 v2, v29, 16, 1
	v_add3_u32 v2, v29, v2, s21
                                        ; implicit-def: $vgpr29
; %bb.1217:                             ;   in Loop: Header=BB395_523 Depth=1
	s_andn2_saveexec_b64 s[4:5], s[4:5]
; %bb.1218:                             ;   in Loop: Header=BB395_523 Depth=1
	v_or_b32_e32 v2, 0x10000, v29
	v_cmp_eq_u32_sdwa vcc, v29, v11 src0_sel:WORD_0 src1_sel:DWORD
	v_cndmask_b32_e32 v2, v2, v29, vcc
; %bb.1219:                             ;   in Loop: Header=BB395_523 Depth=1
	s_or_b64 exec, exec, s[4:5]
	v_lshlrev_b32_e32 v10, 16, v10
	v_mul_f32_e32 v29, v43, v10
	v_and_b32_e32 v10, 0x7f800000, v29
	v_cmp_ne_u32_e32 vcc, s15, v10
                                        ; implicit-def: $vgpr10
	s_and_saveexec_b64 s[4:5], vcc
	s_xor_b64 s[4:5], exec, s[4:5]
; %bb.1220:                             ;   in Loop: Header=BB395_523 Depth=1
	v_bfe_u32 v10, v29, 16, 1
	v_add3_u32 v10, v29, v10, s21
                                        ; implicit-def: $vgpr29
; %bb.1221:                             ;   in Loop: Header=BB395_523 Depth=1
	s_andn2_saveexec_b64 s[4:5], s[4:5]
; %bb.1222:                             ;   in Loop: Header=BB395_523 Depth=1
	v_or_b32_e32 v10, 0x10000, v29
	v_cmp_eq_u32_sdwa vcc, v29, v11 src0_sel:WORD_0 src1_sel:DWORD
	v_cndmask_b32_e32 v10, v10, v29, vcc
; %bb.1223:                             ;   in Loop: Header=BB395_523 Depth=1
	s_or_b64 exec, exec, s[4:5]
	v_lshlrev_b32_e32 v29, 16, v35
	v_mul_f32_e32 v29, v44, v29
	v_and_b32_e32 v31, 0x7f800000, v29
	v_cmp_ne_u32_e32 vcc, s15, v31
                                        ; implicit-def: $vgpr53
	s_and_saveexec_b64 s[4:5], vcc
	s_xor_b64 s[4:5], exec, s[4:5]
; %bb.1224:                             ;   in Loop: Header=BB395_523 Depth=1
	v_bfe_u32 v31, v29, 16, 1
	v_add3_u32 v53, v29, v31, s21
                                        ; implicit-def: $vgpr29
; %bb.1225:                             ;   in Loop: Header=BB395_523 Depth=1
	s_andn2_saveexec_b64 s[4:5], s[4:5]
; %bb.1226:                             ;   in Loop: Header=BB395_523 Depth=1
	v_or_b32_e32 v31, 0x10000, v29
	v_cmp_eq_u32_sdwa vcc, v29, v11 src0_sel:WORD_0 src1_sel:DWORD
	v_cndmask_b32_e32 v53, v31, v29, vcc
; %bb.1227:                             ;   in Loop: Header=BB395_523 Depth=1
	s_or_b64 exec, exec, s[4:5]
	v_lshlrev_b32_e32 v27, 16, v27
	v_mul_f32_e32 v29, v45, v27
	v_and_b32_e32 v27, 0x7f800000, v29
	v_cmp_ne_u32_e32 vcc, s15, v27
                                        ; implicit-def: $vgpr27
	s_and_saveexec_b64 s[4:5], vcc
	s_xor_b64 s[4:5], exec, s[4:5]
; %bb.1228:                             ;   in Loop: Header=BB395_523 Depth=1
	v_bfe_u32 v27, v29, 16, 1
	v_add3_u32 v27, v29, v27, s21
                                        ; implicit-def: $vgpr29
; %bb.1229:                             ;   in Loop: Header=BB395_523 Depth=1
	s_andn2_saveexec_b64 s[4:5], s[4:5]
; %bb.1230:                             ;   in Loop: Header=BB395_523 Depth=1
	v_or_b32_e32 v27, 0x10000, v29
	v_cmp_eq_u32_sdwa vcc, v29, v11 src0_sel:WORD_0 src1_sel:DWORD
	v_cndmask_b32_e32 v27, v27, v29, vcc
; %bb.1231:                             ;   in Loop: Header=BB395_523 Depth=1
	s_or_b64 exec, exec, s[4:5]
	v_lshlrev_b32_e32 v29, 16, v52
	v_mul_f32_e32 v29, v46, v29
	v_and_b32_e32 v31, 0x7f800000, v29
	v_cmp_ne_u32_e32 vcc, s15, v31
                                        ; implicit-def: $vgpr35
	s_and_saveexec_b64 s[4:5], vcc
	s_xor_b64 s[4:5], exec, s[4:5]
; %bb.1232:                             ;   in Loop: Header=BB395_523 Depth=1
	v_bfe_u32 v31, v29, 16, 1
	v_add3_u32 v35, v29, v31, s21
                                        ; implicit-def: $vgpr29
; %bb.1233:                             ;   in Loop: Header=BB395_523 Depth=1
	s_andn2_saveexec_b64 s[4:5], s[4:5]
; %bb.1234:                             ;   in Loop: Header=BB395_523 Depth=1
	v_or_b32_e32 v31, 0x10000, v29
	v_cmp_eq_u32_sdwa vcc, v29, v11 src0_sel:WORD_0 src1_sel:DWORD
	v_cndmask_b32_e32 v35, v31, v29, vcc
; %bb.1235:                             ;   in Loop: Header=BB395_523 Depth=1
	s_or_b64 exec, exec, s[4:5]
	v_lshlrev_b32_e32 v5, 16, v5
	v_mul_f32_e32 v29, v47, v5
	v_and_b32_e32 v5, 0x7f800000, v29
	v_cmp_ne_u32_e32 vcc, s15, v5
                                        ; implicit-def: $vgpr5
	s_and_saveexec_b64 s[4:5], vcc
	s_xor_b64 s[4:5], exec, s[4:5]
; %bb.1236:                             ;   in Loop: Header=BB395_523 Depth=1
	v_bfe_u32 v5, v29, 16, 1
	v_add3_u32 v5, v29, v5, s21
                                        ; implicit-def: $vgpr29
; %bb.1237:                             ;   in Loop: Header=BB395_523 Depth=1
	s_andn2_saveexec_b64 s[4:5], s[4:5]
	s_cbranch_execz .LBB395_522
; %bb.1238:                             ;   in Loop: Header=BB395_523 Depth=1
	v_or_b32_e32 v5, 0x10000, v29
	v_cmp_eq_u32_sdwa vcc, v29, v11 src0_sel:WORD_0 src1_sel:DWORD
	v_cndmask_b32_e32 v5, v5, v29, vcc
	s_branch .LBB395_522
.LBB395_1239:
	s_or_b64 exec, exec, s[10:11]
	v_accvgpr_read_b32 v22, a5
	v_accvgpr_read_b32 v23, a6
	;; [unrolled: 1-line block ×4, first 2 shown]
.LBB395_1240:
	s_or_b64 exec, exec, s[6:7]
	ds_bpermute_b32 v0, v23, v20
	ds_bpermute_b32 v1, v23, v21
	;; [unrolled: 1-line block ×4, first 2 shown]
	s_waitcnt lgkmcnt(0)
	s_barrier
	v_pk_add_f32 v[0:1], v[20:21], v[0:1]
	ds_bpermute_b32 v6, v24, v0
	v_pk_add_f32 v[8:9], v[18:19], v[2:3]
	ds_bpermute_b32 v7, v24, v1
	ds_bpermute_b32 v10, v24, v8
	;; [unrolled: 1-line block ×3, first 2 shown]
	s_waitcnt lgkmcnt(0)
	ds_bpermute_b32 v4, v23, v12
	v_pk_add_f32 v[2:3], v[0:1], v[6:7]
	ds_bpermute_b32 v5, v23, v13
	v_pk_add_f32 v[0:1], v[8:9], v[10:11]
	buffer_load_dword v9, off, s[0:3], s32 offset:196 ; 4-byte Folded Reload
	s_waitcnt lgkmcnt(0)
	v_pk_add_f32 v[4:5], v[12:13], v[4:5]
	ds_bpermute_b32 v12, v24, v4
	ds_bpermute_b32 v13, v24, v5
	s_waitcnt lgkmcnt(0)
	v_pk_add_f32 v[6:7], v[4:5], v[12:13]
	s_waitcnt vmcnt(0)
	v_and_b32_e32 v4, 0x3c3, v9
	v_cmp_eq_u32_e32 vcc, 64, v4
	s_and_saveexec_b64 s[4:5], vcc
	s_cbranch_execz .LBB395_1242
; %bb.1241:
	s_ashr_i32 s21, s20, 31
	s_lshl_b64 s[6:7], s[20:21], 2
	s_getpc_b64 s[8:9]
	s_add_u32 s8, s8, llvm.amdgcn.dynlds.offset.table@rel32@lo+4
	s_addc_u32 s9, s9, llvm.amdgcn.dynlds.offset.table@rel32@hi+12
	s_add_u32 s6, s6, s8
	s_addc_u32 s7, s7, s9
	s_load_dword s6, s[6:7], 0x0
	s_waitcnt lgkmcnt(0)
	v_add_u32_e32 v4, s6, v22
	ds_write2_b32 v4, v2, v3 offset1:16
	ds_write2_b32 v4, v0, v1 offset0:32 offset1:48
	ds_write2_b32 v4, v6, v7 offset0:64 offset1:80
.LBB395_1242:
	s_or_b64 exec, exec, s[4:5]
	v_cmp_gt_u32_e32 vcc, 64, v9
	s_waitcnt lgkmcnt(0)
	s_barrier
	s_and_saveexec_b64 s[6:7], vcc
	s_cbranch_execz .LBB395_1251
; %bb.1243:
	v_cmp_eq_u32_e64 s[4:5], 0, v25
	v_lshrrev_b32_e32 v4, 2, v9
	s_and_saveexec_b64 s[8:9], s[4:5]
	s_cbranch_execnz .LBB395_1279
; %bb.1244:
	s_or_b64 exec, exec, s[8:9]
	s_and_saveexec_b64 s[8:9], s[4:5]
	s_cbranch_execnz .LBB395_1280
.LBB395_1245:
	s_or_b64 exec, exec, s[8:9]
	s_and_saveexec_b64 s[8:9], s[4:5]
	s_cbranch_execnz .LBB395_1281
.LBB395_1246:
	s_or_b64 exec, exec, s[8:9]
	s_and_saveexec_b64 s[8:9], s[4:5]
	s_cbranch_execnz .LBB395_1282
.LBB395_1247:
	s_or_b64 exec, exec, s[8:9]
	s_and_saveexec_b64 s[8:9], s[4:5]
	s_cbranch_execnz .LBB395_1283
.LBB395_1248:
	s_or_b64 exec, exec, s[8:9]
	s_and_saveexec_b64 s[8:9], s[4:5]
	s_cbranch_execz .LBB395_1250
.LBB395_1249:
	s_ashr_i32 s21, s20, 31
	s_lshl_b64 s[4:5], s[20:21], 2
	s_getpc_b64 s[10:11]
	s_add_u32 s10, s10, llvm.amdgcn.dynlds.offset.table@rel32@lo+4
	s_addc_u32 s11, s11, llvm.amdgcn.dynlds.offset.table@rel32@hi+12
	s_add_u32 s4, s4, s10
	s_addc_u32 s5, s5, s11
	s_load_dword s4, s[4:5], 0x0
	s_waitcnt lgkmcnt(0)
	v_lshl_add_u32 v4, v4, 2, s4
	ds_read_b32 v4, v4 offset:320
	s_waitcnt lgkmcnt(0)
	v_add_f32_e32 v7, v7, v4
.LBB395_1250:
	s_or_b64 exec, exec, s[8:9]
.LBB395_1251:
	s_or_b64 exec, exec, s[6:7]
	s_barrier
	s_and_b64 exec, exec, vcc
	s_cbranch_execz .LBB395_1278
; %bb.1252:
	v_cmp_eq_u32_e32 vcc, 0, v25
	s_and_b64 exec, exec, vcc
	s_cbranch_execz .LBB395_1278
; %bb.1253:
	s_mov_b32 s4, 0x7f800000
	v_and_b32_e32 v4, 0x7f800000, v2
	v_cmp_ne_u32_e32 vcc, s4, v4
                                        ; implicit-def: $vgpr4
	s_and_saveexec_b64 s[4:5], vcc
	s_xor_b64 s[4:5], exec, s[4:5]
; %bb.1254:
	v_bfe_u32 v4, v2, 16, 1
	s_movk_i32 s6, 0x7fff
	v_add3_u32 v4, v2, v4, s6
; %bb.1255:
	s_andn2_saveexec_b64 s[4:5], s[4:5]
; %bb.1256:
	v_mov_b32_e32 v4, 0
	v_or_b32_e32 v5, 0x10000, v2
	v_cmp_eq_u32_sdwa vcc, v2, v4 src0_sel:WORD_0 src1_sel:DWORD
	v_cndmask_b32_e32 v4, v5, v2, vcc
; %bb.1257:
	s_or_b64 exec, exec, s[4:5]
	buffer_load_dword v5, off, s[0:3], s32 offset:204 ; 4-byte Folded Reload
	buffer_load_dword v8, off, s[0:3], s32 offset:200 ; 4-byte Folded Reload
	s_mul_i32 s4, s23, s18
	s_mul_i32 s4, s4, s19
	s_mulk_i32 s4, 0x60
	s_mul_i32 s6, s22, s23
	s_mul_i32 s8, s14, 0x60
	s_ashr_i32 s5, s4, 31
	s_ashr_i32 s7, s6, 31
	;; [unrolled: 1-line block ×3, first 2 shown]
	s_lshl_b64 s[4:5], s[4:5], 1
	s_lshl_b64 s[6:7], s[6:7], 1
	;; [unrolled: 1-line block ×3, first 2 shown]
	s_add_u32 s6, s8, s6
	s_addc_u32 s7, s9, s7
	s_add_u32 s4, s6, s4
	s_addc_u32 s5, s7, s5
	v_mov_b32_e32 v2, s5
	s_waitcnt vmcnt(1)
	v_add_co_u32_e32 v5, vcc, s4, v5
	s_waitcnt vmcnt(0)
	v_addc_co_u32_e32 v2, vcc, v2, v8, vcc
	v_lshrrev_b32_e32 v8, 1, v9
	v_and_b32_e32 v8, 0x1fe, v8
	v_add_co_u32_e32 v8, vcc, v5, v8
	v_addc_co_u32_e32 v9, vcc, 0, v2, vcc
	s_mov_b32 s4, 0x7f800000
	v_and_b32_e32 v2, 0x7f800000, v3
	v_cmp_ne_u32_e32 vcc, s4, v2
	flat_store_short_d16_hi v[8:9], v4
                                        ; implicit-def: $vgpr2
	s_and_saveexec_b64 s[4:5], vcc
	s_xor_b64 s[4:5], exec, s[4:5]
; %bb.1258:
	v_bfe_u32 v2, v3, 16, 1
	s_movk_i32 s6, 0x7fff
	v_add3_u32 v2, v3, v2, s6
; %bb.1259:
	s_andn2_saveexec_b64 s[4:5], s[4:5]
; %bb.1260:
	v_mov_b32_e32 v2, 0
	v_or_b32_e32 v4, 0x10000, v3
	v_cmp_eq_u32_sdwa vcc, v3, v2 src0_sel:WORD_0 src1_sel:DWORD
	v_cndmask_b32_e32 v2, v4, v3, vcc
; %bb.1261:
	s_or_b64 exec, exec, s[4:5]
	flat_store_short_d16_hi v[8:9], v2 offset:32
	s_mov_b32 s4, 0x7f800000
	v_and_b32_e32 v2, 0x7f800000, v0
	v_cmp_ne_u32_e32 vcc, s4, v2
                                        ; implicit-def: $vgpr2
	s_and_saveexec_b64 s[4:5], vcc
	s_xor_b64 s[4:5], exec, s[4:5]
; %bb.1262:
	v_bfe_u32 v2, v0, 16, 1
	s_movk_i32 s6, 0x7fff
	v_add3_u32 v2, v0, v2, s6
; %bb.1263:
	s_andn2_saveexec_b64 s[4:5], s[4:5]
; %bb.1264:
	v_mov_b32_e32 v2, 0
	v_or_b32_e32 v3, 0x10000, v0
	v_cmp_eq_u32_sdwa vcc, v0, v2 src0_sel:WORD_0 src1_sel:DWORD
	v_cndmask_b32_e32 v2, v3, v0, vcc
; %bb.1265:
	s_or_b64 exec, exec, s[4:5]
	s_mov_b32 s4, 0x7f800000
	v_and_b32_e32 v0, 0x7f800000, v1
	v_cmp_ne_u32_e32 vcc, s4, v0
	flat_store_short_d16_hi v[8:9], v2 offset:64
                                        ; implicit-def: $vgpr0
	s_and_saveexec_b64 s[4:5], vcc
	s_xor_b64 s[4:5], exec, s[4:5]
; %bb.1266:
	v_bfe_u32 v0, v1, 16, 1
	s_movk_i32 s6, 0x7fff
	v_add3_u32 v0, v1, v0, s6
; %bb.1267:
	s_andn2_saveexec_b64 s[4:5], s[4:5]
; %bb.1268:
	v_mov_b32_e32 v0, 0
	v_or_b32_e32 v2, 0x10000, v1
	v_cmp_eq_u32_sdwa vcc, v1, v0 src0_sel:WORD_0 src1_sel:DWORD
	v_cndmask_b32_e32 v0, v2, v1, vcc
; %bb.1269:
	s_or_b64 exec, exec, s[4:5]
	flat_store_short_d16_hi v[8:9], v0 offset:96
	s_mov_b32 s4, 0x7f800000
	v_and_b32_e32 v0, 0x7f800000, v6
	v_cmp_ne_u32_e32 vcc, s4, v0
                                        ; implicit-def: $vgpr0
	s_and_saveexec_b64 s[4:5], vcc
	s_xor_b64 s[4:5], exec, s[4:5]
; %bb.1270:
	v_bfe_u32 v0, v6, 16, 1
	s_movk_i32 s6, 0x7fff
	v_add3_u32 v0, v6, v0, s6
; %bb.1271:
	s_andn2_saveexec_b64 s[4:5], s[4:5]
; %bb.1272:
	v_mov_b32_e32 v0, 0
	v_or_b32_e32 v1, 0x10000, v6
	v_cmp_eq_u32_sdwa vcc, v6, v0 src0_sel:WORD_0 src1_sel:DWORD
	v_cndmask_b32_e32 v0, v1, v6, vcc
; %bb.1273:
	s_or_b64 exec, exec, s[4:5]
	flat_store_short_d16_hi v[8:9], v0 offset:128
	s_mov_b32 s4, 0x7f800000
	v_and_b32_e32 v0, 0x7f800000, v7
	v_cmp_ne_u32_e32 vcc, s4, v0
                                        ; implicit-def: $vgpr0
	s_and_saveexec_b64 s[4:5], vcc
	s_xor_b64 s[4:5], exec, s[4:5]
; %bb.1274:
	v_bfe_u32 v0, v7, 16, 1
	s_movk_i32 s6, 0x7fff
	v_add3_u32 v0, v7, v0, s6
                                        ; implicit-def: $vgpr2_vgpr3_vgpr4_vgpr5_vgpr6_vgpr7
; %bb.1275:
	s_andn2_saveexec_b64 s[4:5], s[4:5]
; %bb.1276:
	v_mov_b32_e32 v0, 0
	v_or_b32_e32 v1, 0x10000, v7
	v_cmp_eq_u32_sdwa vcc, v7, v0 src0_sel:WORD_0 src1_sel:DWORD
	v_cndmask_b32_e32 v0, v1, v7, vcc
; %bb.1277:
	s_or_b64 exec, exec, s[4:5]
	flat_store_short_d16_hi v[8:9], v0 offset:160
.LBB395_1278:
	s_or_b64 exec, exec, s[16:17]
	buffer_load_dword a63, off, s[0:3], s32 ; 4-byte Folded Reload
	buffer_load_dword a62, off, s[0:3], s32 offset:4 ; 4-byte Folded Reload
	buffer_load_dword a61, off, s[0:3], s32 offset:8 ; 4-byte Folded Reload
	;; [unrolled: 1-line block ×46, first 2 shown]
	v_readlane_b32 s30, v63, 7
	v_readlane_b32 s31, v63, 8
	;; [unrolled: 1-line block ×9, first 2 shown]
	s_or_saveexec_b64 s[4:5], -1
	buffer_load_dword v63, off, s[0:3], s32 offset:260 ; 4-byte Folded Reload
	s_mov_b64 exec, s[4:5]
	s_waitcnt vmcnt(0) lgkmcnt(0)
	s_setpc_b64 s[30:31]
.LBB395_1279:
	s_ashr_i32 s21, s20, 31
	s_lshl_b64 s[10:11], s[20:21], 2
	s_getpc_b64 s[12:13]
	s_add_u32 s12, s12, llvm.amdgcn.dynlds.offset.table@rel32@lo+4
	s_addc_u32 s13, s13, llvm.amdgcn.dynlds.offset.table@rel32@hi+12
	s_add_u32 s10, s10, s12
	s_addc_u32 s11, s11, s13
	s_load_dword s10, s[10:11], 0x0
	s_waitcnt lgkmcnt(0)
	v_lshl_add_u32 v5, v4, 2, s10
	ds_read_b32 v5, v5
	s_waitcnt lgkmcnt(0)
	v_add_f32_e32 v2, v2, v5
	s_or_b64 exec, exec, s[8:9]
	s_and_saveexec_b64 s[8:9], s[4:5]
	s_cbranch_execz .LBB395_1245
.LBB395_1280:
	s_ashr_i32 s21, s20, 31
	s_lshl_b64 s[10:11], s[20:21], 2
	s_getpc_b64 s[12:13]
	s_add_u32 s12, s12, llvm.amdgcn.dynlds.offset.table@rel32@lo+4
	s_addc_u32 s13, s13, llvm.amdgcn.dynlds.offset.table@rel32@hi+12
	s_add_u32 s10, s10, s12
	s_addc_u32 s11, s11, s13
	s_load_dword s10, s[10:11], 0x0
	s_waitcnt lgkmcnt(0)
	v_lshl_add_u32 v5, v4, 2, s10
	ds_read_b32 v5, v5 offset:64
	s_waitcnt lgkmcnt(0)
	v_add_f32_e32 v3, v3, v5
	s_or_b64 exec, exec, s[8:9]
	s_and_saveexec_b64 s[8:9], s[4:5]
	s_cbranch_execz .LBB395_1246
.LBB395_1281:
	s_ashr_i32 s21, s20, 31
	s_lshl_b64 s[10:11], s[20:21], 2
	s_getpc_b64 s[12:13]
	s_add_u32 s12, s12, llvm.amdgcn.dynlds.offset.table@rel32@lo+4
	s_addc_u32 s13, s13, llvm.amdgcn.dynlds.offset.table@rel32@hi+12
	s_add_u32 s10, s10, s12
	s_addc_u32 s11, s11, s13
	s_load_dword s10, s[10:11], 0x0
	s_waitcnt lgkmcnt(0)
	v_lshl_add_u32 v5, v4, 2, s10
	ds_read_b32 v5, v5 offset:128
	s_waitcnt lgkmcnt(0)
	v_add_f32_e32 v0, v0, v5
	s_or_b64 exec, exec, s[8:9]
	s_and_saveexec_b64 s[8:9], s[4:5]
	s_cbranch_execz .LBB395_1247
.LBB395_1282:
	s_ashr_i32 s21, s20, 31
	s_lshl_b64 s[10:11], s[20:21], 2
	s_getpc_b64 s[12:13]
	s_add_u32 s12, s12, llvm.amdgcn.dynlds.offset.table@rel32@lo+4
	s_addc_u32 s13, s13, llvm.amdgcn.dynlds.offset.table@rel32@hi+12
	s_add_u32 s10, s10, s12
	s_addc_u32 s11, s11, s13
	s_load_dword s10, s[10:11], 0x0
	s_waitcnt lgkmcnt(0)
	v_lshl_add_u32 v5, v4, 2, s10
	ds_read_b32 v5, v5 offset:192
	s_waitcnt lgkmcnt(0)
	v_add_f32_e32 v1, v1, v5
	s_or_b64 exec, exec, s[8:9]
	s_and_saveexec_b64 s[8:9], s[4:5]
	s_cbranch_execz .LBB395_1248
.LBB395_1283:
	s_ashr_i32 s21, s20, 31
	s_lshl_b64 s[10:11], s[20:21], 2
	s_getpc_b64 s[12:13]
	s_add_u32 s12, s12, llvm.amdgcn.dynlds.offset.table@rel32@lo+4
	s_addc_u32 s13, s13, llvm.amdgcn.dynlds.offset.table@rel32@hi+12
	s_add_u32 s10, s10, s12
	s_addc_u32 s11, s11, s13
	s_load_dword s10, s[10:11], 0x0
	s_waitcnt lgkmcnt(0)
	v_lshl_add_u32 v5, v4, 2, s10
	ds_read_b32 v5, v5 offset:256
	s_waitcnt lgkmcnt(0)
	v_add_f32_e32 v6, v6, v5
	s_or_b64 exec, exec, s[8:9]
	s_and_saveexec_b64 s[8:9], s[4:5]
	s_cbranch_execnz .LBB395_1249
	s_branch .LBB395_1250
.Lfunc_end395:
	.size	_ZN4vllm22paged_attention_kernelI14__hip_bfloat16hLi96ELi32ELi128ELNS_18Fp8KVCacheDataTypeE1ELb0ELi512EEEvPfS3_PT_PKS4_PKT0_SA_ifPKiSC_iPKfiiiSE_SE_iiiii, .Lfunc_end395-_ZN4vllm22paged_attention_kernelI14__hip_bfloat16hLi96ELi32ELi128ELNS_18Fp8KVCacheDataTypeE1ELb0ELi512EEEvPfS3_PT_PKS4_PKT0_SA_ifPKiSC_iPKfiiiSE_SE_iiiii
                                        ; -- End function
	.section	.AMDGPU.csdata,"",@progbits
; Function info:
; codeLenInByte = 39384
; NumSgprs: 45
; NumVgprs: 64
; NumAgprs: 64
; TotalNumVgprs: 128
; ScratchSize: 268
; MemoryBound: 0
	.section	.text._ZN4vllm25paged_attention_v2_kernelI14__hip_bfloat16hLi96ELi32ELi128ELNS_18Fp8KVCacheDataTypeE1ELb0ELi512EEEvPfS3_PT_PKS4_PKT0_SA_ifPKiSC_iPKfiiiSE_SE_iiiii,"axG",@progbits,_ZN4vllm25paged_attention_v2_kernelI14__hip_bfloat16hLi96ELi32ELi128ELNS_18Fp8KVCacheDataTypeE1ELb0ELi512EEEvPfS3_PT_PKS4_PKT0_SA_ifPKiSC_iPKfiiiSE_SE_iiiii,comdat
	.protected	_ZN4vllm25paged_attention_v2_kernelI14__hip_bfloat16hLi96ELi32ELi128ELNS_18Fp8KVCacheDataTypeE1ELb0ELi512EEEvPfS3_PT_PKS4_PKT0_SA_ifPKiSC_iPKfiiiSE_SE_iiiii ; -- Begin function _ZN4vllm25paged_attention_v2_kernelI14__hip_bfloat16hLi96ELi32ELi128ELNS_18Fp8KVCacheDataTypeE1ELb0ELi512EEEvPfS3_PT_PKS4_PKT0_SA_ifPKiSC_iPKfiiiSE_SE_iiiii
	.globl	_ZN4vllm25paged_attention_v2_kernelI14__hip_bfloat16hLi96ELi32ELi128ELNS_18Fp8KVCacheDataTypeE1ELb0ELi512EEEvPfS3_PT_PKS4_PKT0_SA_ifPKiSC_iPKfiiiSE_SE_iiiii
	.p2align	8
	.type	_ZN4vllm25paged_attention_v2_kernelI14__hip_bfloat16hLi96ELi32ELi128ELNS_18Fp8KVCacheDataTypeE1ELb0ELi512EEEvPfS3_PT_PKS4_PKT0_SA_ifPKiSC_iPKfiiiSE_SE_iiiii,@function
_ZN4vllm25paged_attention_v2_kernelI14__hip_bfloat16hLi96ELi32ELi128ELNS_18Fp8KVCacheDataTypeE1ELb0ELi512EEEvPfS3_PT_PKS4_PKT0_SA_ifPKiSC_iPKfiiiSE_SE_iiiii: ; @_ZN4vllm25paged_attention_v2_kernelI14__hip_bfloat16hLi96ELi32ELi128ELNS_18Fp8KVCacheDataTypeE1ELb0ELi512EEEvPfS3_PT_PKS4_PKT0_SA_ifPKiSC_iPKfiiiSE_SE_iiiii
; %bb.0:
	s_add_u32 flat_scratch_lo, s6, s11
	s_addc_u32 flat_scratch_hi, s7, 0
	s_add_u32 s0, s0, s11
	s_load_dwordx8 s[24:31], s[4:5], 0x0
	s_load_dwordx8 s[16:23], s[4:5], 0x20
	s_load_dwordx2 s[6:7], s[4:5], 0x40
	s_load_dwordx2 s[34:35], s[4:5], 0x50
	s_load_dword s11, s[4:5], 0x48
	s_load_dwordx8 s[36:43], s[4:5], 0x58
	s_addc_u32 s1, s1, 0
	s_mov_b32 s12, s8
	s_add_u32 s8, s4, 0x90
	s_mov_b32 s13, s9
	s_addc_u32 s9, s5, 0
	s_mov_b32 s14, s10
	s_mov_b32 s15, 26
	v_mov_b32_e32 v31, v0
	s_waitcnt lgkmcnt(0)
	v_mov_b32_e32 v0, s24
	v_mov_b32_e32 v1, s25
	;; [unrolled: 1-line block ×28, first 2 shown]
	s_mov_b32 s32, 0
	s_getpc_b64 s[4:5]
	s_add_u32 s4, s4, _ZN4vllm22paged_attention_kernelI14__hip_bfloat16hLi96ELi32ELi128ELNS_18Fp8KVCacheDataTypeE1ELb0ELi512EEEvPfS3_PT_PKS4_PKT0_SA_ifPKiSC_iPKfiiiSE_SE_iiiii@rel32@lo+4
	s_addc_u32 s5, s5, _ZN4vllm22paged_attention_kernelI14__hip_bfloat16hLi96ELi32ELi128ELNS_18Fp8KVCacheDataTypeE1ELb0ELi512EEEvPfS3_PT_PKS4_PKT0_SA_ifPKiSC_iPKfiiiSE_SE_iiiii@rel32@hi+12
	s_swappc_b64 s[30:31], s[4:5]
	s_endpgm
	.section	.rodata,"a",@progbits
	.p2align	6, 0x0
	.amdhsa_kernel _ZN4vllm25paged_attention_v2_kernelI14__hip_bfloat16hLi96ELi32ELi128ELNS_18Fp8KVCacheDataTypeE1ELb0ELi512EEEvPfS3_PT_PKS4_PKT0_SA_ifPKiSC_iPKfiiiSE_SE_iiiii
		.amdhsa_group_segment_fixed_size 208
		.amdhsa_private_segment_fixed_size 268
		.amdhsa_kernarg_size 400
		.amdhsa_user_sgpr_count 8
		.amdhsa_user_sgpr_private_segment_buffer 1
		.amdhsa_user_sgpr_dispatch_ptr 0
		.amdhsa_user_sgpr_queue_ptr 0
		.amdhsa_user_sgpr_kernarg_segment_ptr 1
		.amdhsa_user_sgpr_dispatch_id 0
		.amdhsa_user_sgpr_flat_scratch_init 1
		.amdhsa_user_sgpr_kernarg_preload_length 0
		.amdhsa_user_sgpr_kernarg_preload_offset 0
		.amdhsa_user_sgpr_private_segment_size 0
		.amdhsa_uses_dynamic_stack 0
		.amdhsa_system_sgpr_private_segment_wavefront_offset 1
		.amdhsa_system_sgpr_workgroup_id_x 1
		.amdhsa_system_sgpr_workgroup_id_y 1
		.amdhsa_system_sgpr_workgroup_id_z 1
		.amdhsa_system_sgpr_workgroup_info 0
		.amdhsa_system_vgpr_workitem_id 0
		.amdhsa_next_free_vgpr 128
		.amdhsa_next_free_sgpr 44
		.amdhsa_accum_offset 64
		.amdhsa_reserve_vcc 1
		.amdhsa_reserve_flat_scratch 1
		.amdhsa_float_round_mode_32 0
		.amdhsa_float_round_mode_16_64 0
		.amdhsa_float_denorm_mode_32 3
		.amdhsa_float_denorm_mode_16_64 3
		.amdhsa_dx10_clamp 1
		.amdhsa_ieee_mode 1
		.amdhsa_fp16_overflow 0
		.amdhsa_tg_split 0
		.amdhsa_exception_fp_ieee_invalid_op 0
		.amdhsa_exception_fp_denorm_src 0
		.amdhsa_exception_fp_ieee_div_zero 0
		.amdhsa_exception_fp_ieee_overflow 0
		.amdhsa_exception_fp_ieee_underflow 0
		.amdhsa_exception_fp_ieee_inexact 0
		.amdhsa_exception_int_div_zero 0
	.end_amdhsa_kernel
	.section	.text._ZN4vllm25paged_attention_v2_kernelI14__hip_bfloat16hLi96ELi32ELi128ELNS_18Fp8KVCacheDataTypeE1ELb0ELi512EEEvPfS3_PT_PKS4_PKT0_SA_ifPKiSC_iPKfiiiSE_SE_iiiii,"axG",@progbits,_ZN4vllm25paged_attention_v2_kernelI14__hip_bfloat16hLi96ELi32ELi128ELNS_18Fp8KVCacheDataTypeE1ELb0ELi512EEEvPfS3_PT_PKS4_PKT0_SA_ifPKiSC_iPKfiiiSE_SE_iiiii,comdat
.Lfunc_end396:
	.size	_ZN4vllm25paged_attention_v2_kernelI14__hip_bfloat16hLi96ELi32ELi128ELNS_18Fp8KVCacheDataTypeE1ELb0ELi512EEEvPfS3_PT_PKS4_PKT0_SA_ifPKiSC_iPKfiiiSE_SE_iiiii, .Lfunc_end396-_ZN4vllm25paged_attention_v2_kernelI14__hip_bfloat16hLi96ELi32ELi128ELNS_18Fp8KVCacheDataTypeE1ELb0ELi512EEEvPfS3_PT_PKS4_PKT0_SA_ifPKiSC_iPKfiiiSE_SE_iiiii
                                        ; -- End function
	.section	.AMDGPU.csdata,"",@progbits
; Kernel info:
; codeLenInByte = 244
; NumSgprs: 50
; NumVgprs: 64
; NumAgprs: 64
; TotalNumVgprs: 128
; ScratchSize: 268
; MemoryBound: 0
; FloatMode: 240
; IeeeMode: 1
; LDSByteSize: 208 bytes/workgroup (compile time only)
; SGPRBlocks: 6
; VGPRBlocks: 15
; NumSGPRsForWavesPerEU: 50
; NumVGPRsForWavesPerEU: 128
; AccumOffset: 64
; Occupancy: 4
; WaveLimiterHint : 1
; COMPUTE_PGM_RSRC2:SCRATCH_EN: 1
; COMPUTE_PGM_RSRC2:USER_SGPR: 8
; COMPUTE_PGM_RSRC2:TRAP_HANDLER: 0
; COMPUTE_PGM_RSRC2:TGID_X_EN: 1
; COMPUTE_PGM_RSRC2:TGID_Y_EN: 1
; COMPUTE_PGM_RSRC2:TGID_Z_EN: 1
; COMPUTE_PGM_RSRC2:TIDIG_COMP_CNT: 0
; COMPUTE_PGM_RSRC3_GFX90A:ACCUM_OFFSET: 15
; COMPUTE_PGM_RSRC3_GFX90A:TG_SPLIT: 0
	.text
	.p2align	2                               ; -- Begin function _ZN4vllm22paged_attention_kernelI14__hip_bfloat16hLi112ELi32ELi128ELNS_18Fp8KVCacheDataTypeE1ELb0ELi512EEEvPfS3_PT_PKS4_PKT0_SA_ifPKiSC_iPKfiiiSE_SE_iiiii
	.type	_ZN4vllm22paged_attention_kernelI14__hip_bfloat16hLi112ELi32ELi128ELNS_18Fp8KVCacheDataTypeE1ELb0ELi512EEEvPfS3_PT_PKS4_PKT0_SA_ifPKiSC_iPKfiiiSE_SE_iiiii,@function
_ZN4vllm22paged_attention_kernelI14__hip_bfloat16hLi112ELi32ELi128ELNS_18Fp8KVCacheDataTypeE1ELb0ELi512EEEvPfS3_PT_PKS4_PKT0_SA_ifPKiSC_iPKfiiiSE_SE_iiiii: ; @_ZN4vllm22paged_attention_kernelI14__hip_bfloat16hLi112ELi32ELi128ELNS_18Fp8KVCacheDataTypeE1ELb0ELi512EEEvPfS3_PT_PKS4_PKT0_SA_ifPKiSC_iPKfiiiSE_SE_iiiii
; %bb.0:
	s_waitcnt vmcnt(0) expcnt(0) lgkmcnt(0)
	s_or_saveexec_b64 s[4:5], -1
	buffer_store_dword v63, off, s[0:3], s32 offset:324 ; 4-byte Folded Spill
	s_mov_b64 exec, s[4:5]
	buffer_store_dword v40, off, s[0:3], s32 offset:184 ; 4-byte Folded Spill
	buffer_store_dword v41, off, s[0:3], s32 offset:180 ; 4-byte Folded Spill
	;; [unrolled: 1-line block ×46, first 2 shown]
	buffer_store_dword a63, off, s[0:3], s32 ; 4-byte Folded Spill
	v_writelane_b32 v63, s34, 0
	v_writelane_b32 v63, s35, 1
	v_writelane_b32 v63, s36, 2
	v_writelane_b32 v63, s37, 3
	v_writelane_b32 v63, s38, 4
	v_writelane_b32 v63, s39, 5
	v_writelane_b32 v63, s40, 6
	v_writelane_b32 v63, s30, 7
	v_writelane_b32 v63, s31, 8
	s_mov_b32 s18, s13
	s_ashr_i32 s19, s13, 31
	v_accvgpr_write_b32 a22, v24
	s_lshl_b64 s[4:5], s[18:19], 2
	v_accvgpr_write_b32 a23, v25
	v_mov_b32_e32 v25, v1
	v_mov_b32_e32 v33, v0
	;; [unrolled: 1-line block ×3, first 2 shown]
	v_add_co_u32_e32 v0, vcc, s4, v16
	buffer_store_dword v5, off, s[0:3], s32 offset:240 ; 4-byte Folded Spill
	buffer_store_dword v4, off, s[0:3], s32 offset:244 ; 4-byte Folded Spill
	v_addc_co_u32_e32 v1, vcc, v17, v1, vcc
	flat_load_dword v32, v[0:1]
	s_lshl_b32 s36, s14, 9
	v_accvgpr_write_b32 a4, v22
	v_mov_b32_e32 v29, v20
	v_mov_b32_e32 v28, v19
	;; [unrolled: 1-line block ×3, first 2 shown]
	v_accvgpr_write_b32 a24, v13
	v_mov_b32_e32 v34, v3
	v_mov_b32_e32 v35, v2
	s_waitcnt vmcnt(0) lgkmcnt(0)
	v_cmp_lt_i32_e32 vcc, s36, v32
	s_and_saveexec_b64 s[16:17], vcc
	s_cbranch_execz .LBB397_1477
; %bb.1:
	v_sub_u32_e32 v0, 0, v12
	v_max_i32_e32 v0, v12, v0
	v_cvt_f32_u32_e32 v1, v0
	s_load_dword s4, s[8:9], 0x10
	s_load_dword s6, s[8:9], 0x0
	v_sub_u32_e32 v3, 0, v0
	s_mov_b32 s20, s15
	v_rcp_iflag_f32_e32 v1, v1
	s_waitcnt lgkmcnt(0)
	s_lshr_b32 s4, s4, 16
	s_cmp_lg_u32 s4, 0
	s_cselect_b64 s[4:5], -1, 0
	v_mul_f32_e32 v1, 0x4f7ffffe, v1
	v_cvt_u32_f32_e32 v1, v1
	s_cmp_lg_u64 s[4:5], 0
	s_addc_u32 s19, s6, 0
	s_abs_i32 s4, s19
	v_mul_lo_u32 v3, v3, v1
	v_mul_hi_u32 v3, v1, v3
	v_add_u32_e32 v1, v1, v3
	v_mul_hi_u32 v1, s4, v1
	v_mul_lo_u32 v3, v1, v0
	v_sub_u32_e32 v3, s4, v3
	v_add_u32_e32 v4, 1, v1
	v_cmp_ge_u32_e32 vcc, v3, v0
	v_cndmask_b32_e32 v1, v1, v4, vcc
	v_sub_u32_e32 v4, v3, v0
	v_cndmask_b32_e32 v3, v3, v4, vcc
	v_xor_b32_e32 v2, s19, v12
	v_add_u32_e32 v4, 1, v1
	v_cmp_ge_u32_e32 vcc, v3, v0
	v_ashrrev_i32_e32 v2, 31, v2
	v_cndmask_b32_e32 v0, v1, v4, vcc
	v_xor_b32_e32 v0, v0, v2
	v_sub_u32_e32 v0, v0, v2
	v_sub_u32_e32 v1, 0, v0
	v_max_i32_e32 v1, v0, v1
	v_cvt_f32_u32_e32 v2, v1
	v_sub_u32_e32 v3, 0, v1
	s_abs_i32 s6, s12
	v_cmp_ne_u64_e32 vcc, 0, v[28:29]
	v_rcp_iflag_f32_e32 v2, v2
	v_mul_f32_e32 v2, 0x4f7ffffe, v2
	v_cvt_u32_f32_e32 v2, v2
	v_mul_lo_u32 v3, v3, v2
	v_mul_hi_u32 v3, v2, v3
	v_add_u32_e32 v2, v2, v3
	v_mad_u64_u32 v[16:17], s[4:5], s6, v2, 0
	v_mov_b32_e32 v2, 0
	buffer_store_dword v2, off, s[0:3], s32 offset:232 ; 4-byte Folded Spill
	s_and_saveexec_b64 s[4:5], vcc
	s_cbranch_execz .LBB397_3
; %bb.2:
	s_ashr_i32 s13, s12, 31
	s_lshl_b64 s[10:11], s[12:13], 2
	v_mov_b32_e32 v3, s11
	v_add_co_u32_e32 v2, vcc, s10, v28
	v_addc_co_u32_e32 v3, vcc, v29, v3, vcc
	flat_load_dword v2, v[2:3]
	s_waitcnt vmcnt(0) lgkmcnt(0)
	buffer_store_dword v2, off, s[0:3], s32 offset:232 ; 4-byte Folded Spill
.LBB397_3:
	s_or_b64 exec, exec, s[4:5]
	v_and_b32_e32 v14, 0x3ff, v31
	s_ashr_i32 s7, s12, 31
	v_ashrrev_i32_e32 v2, 31, v0
	v_and_b32_e32 v0, 1, v14
	s_movk_i32 s10, 0x70
	s_mul_i32 s22, s12, 0x70
	v_cmp_gt_u32_e32 vcc, 28, v14
	v_lshlrev_b32_e32 v31, 3, v14
	s_and_saveexec_b64 s[4:5], vcc
	s_cbranch_execz .LBB397_5
; %bb.4:
	v_mul_lo_u32 v4, s18, v21
	v_ashrrev_i32_e32 v5, 31, v4
	v_lshlrev_b64 v[4:5], 1, v[4:5]
	v_add_co_u32_e32 v3, vcc, v6, v4
	s_ashr_i32 s23, s22, 31
	v_addc_co_u32_e32 v4, vcc, v7, v5, vcc
	s_lshl_b64 s[24:25], s[22:23], 1
	v_mov_b32_e32 v5, s25
	v_add_co_u32_e32 v3, vcc, s24, v3
	v_addc_co_u32_e32 v5, vcc, v4, v5, vcc
	v_add_co_u32_e32 v4, vcc, v3, v31
	v_addc_co_u32_e32 v5, vcc, 0, v5, vcc
	flat_load_dwordx2 v[4:5], v[4:5]
	v_lshlrev_b32_e32 v3, 2, v14
	v_and_b32_e32 v3, 0xff8, v3
	v_mad_u32_u24 v3, v0, s10, v3
	s_waitcnt vmcnt(0) lgkmcnt(0)
	ds_write_b64 v3, v[4:5]
.LBB397_5:
	s_or_b64 exec, exec, s[4:5]
	v_add_u32_e32 v3, 31, v32
	v_ashrrev_i32_e32 v4, 31, v3
	v_lshrrev_b32_e32 v4, 27, v4
	v_add_u32_e32 v3, v3, v4
	v_ashrrev_i32_e32 v37, 5, v3
	v_mul_lo_u32 v3, v17, v1
	v_sub_u32_e32 v3, s6, v3
	v_add_u32_e32 v4, 1, v17
	v_cmp_ge_u32_e32 vcc, v3, v1
	v_sub_u32_e32 v5, v3, v1
	v_cndmask_b32_e32 v4, v17, v4, vcc
	v_cndmask_b32_e32 v3, v3, v5, vcc
	s_lshl_b32 s15, s14, 4
	v_add_u32_e32 v5, 1, v4
	v_cmp_ge_u32_e32 vcc, v3, v1
	s_add_i32 s4, s15, 16
	v_lshrrev_b32_e32 v36, 6, v14
	v_xor_b32_e32 v2, s7, v2
	v_cndmask_b32_e32 v1, v4, v5, vcc
	v_min_i32_e32 v12, s4, v37
	v_xor_b32_e32 v1, v1, v2
	v_mul_lo_u32 v6, s18, v18
	v_or_b32_e32 v16, s15, v36
	v_sub_u32_e32 v2, v1, v2
	v_ashrrev_i32_e32 v7, 31, v6
	v_cmp_lt_i32_e64 s[4:5], v16, v12
	v_cmp_ge_i32_e32 vcc, v16, v12
	v_mbcnt_lo_u32_b32 v1, -1, 0
	s_waitcnt lgkmcnt(0)
	s_barrier
	buffer_store_dword v12, off, s[0:3], s32 offset:188 ; 4-byte Folded Spill
                                        ; implicit-def: $sgpr21
                                        ; implicit-def: $vgpr12
                                        ; implicit-def: $vgpr18
	s_and_saveexec_b64 s[6:7], vcc
	s_xor_b64 s[6:7], exec, s[6:7]
; %bb.6:
	v_mbcnt_hi_u32_b32 v12, -1, v1
	v_and_b32_e32 v0, 64, v12
	v_add_u32_e32 v18, 64, v0
	s_mov_b32 s21, 0xff7fffff
                                        ; implicit-def: $vgpr0
                                        ; kill: killed $vgpr0
                                        ; implicit-def: $agpr24
                                        ; implicit-def: $agpr22
                                        ; implicit-def: $vgpr8
                                        ; implicit-def: $vgpr9
                                        ; implicit-def: $vgpr0
                                        ; implicit-def: $vgpr1
; %bb.7:
	s_or_saveexec_b64 s[10:11], s[6:7]
	s_load_dword s23, s[8:9], 0x14
	s_load_dword s13, s[8:9], 0x8
	v_mul_lo_u32 v48, v2, v23
	v_mov_b32_e32 v13, s21
	v_ashrrev_i32_e32 v17, 31, v16
	v_ashrrev_i32_e32 v49, 31, v48
	v_lshlrev_b64 v[38:39], 2, v[6:7]
	buffer_store_dword v14, off, s[0:3], s32 offset:236 ; 4-byte Folded Spill
	s_xor_b64 exec, exec, s[10:11]
	s_cbranch_execz .LBB397_573
; %bb.8:
	buffer_store_dword v37, off, s[0:3], s32 offset:248 ; 4-byte Folded Spill
	buffer_store_dword v31, off, s[0:3], s32 offset:252 ; 4-byte Folded Spill
	;; [unrolled: 1-line block ×9, first 2 shown]
	s_nop 0
	buffer_store_dword v27, off, s[0:3], s32 offset:312 ; 4-byte Folded Spill
	v_mul_u32_u24_e32 v6, 0x70, v0
	ds_read_b128 v[2:5], v6
	ds_read_b128 v[26:29], v6 offset:16
	ds_read_b128 v[18:21], v6 offset:32
	;; [unrolled: 1-line block ×3, first 2 shown]
	buffer_store_dword v48, off, s[0:3], s32 offset:256 ; 4-byte Folded Spill
	s_waitcnt lgkmcnt(0)
	v_lshlrev_b32_e32 v7, 16, v2
	v_and_b32_e32 v2, 0xffff0000, v2
	buffer_store_dword v2, off, s[0:3], s32 offset:200 ; 4-byte Folded Spill
	v_lshlrev_b32_e32 v2, 16, v3
	buffer_store_dword v2, off, s[0:3], s32 offset:204 ; 4-byte Folded Spill
	v_and_b32_e32 v2, 0xffff0000, v3
	buffer_store_dword v2, off, s[0:3], s32 offset:208 ; 4-byte Folded Spill
	v_lshlrev_b32_e32 v2, 16, v4
	buffer_store_dword v2, off, s[0:3], s32 offset:212 ; 4-byte Folded Spill
	v_and_b32_e32 v2, 0xffff0000, v4
	buffer_store_dword v2, off, s[0:3], s32 offset:216 ; 4-byte Folded Spill
	v_lshlrev_b32_e32 v2, 16, v5
	buffer_store_dword v2, off, s[0:3], s32 offset:220 ; 4-byte Folded Spill
	v_and_b32_e32 v2, 0xffff0000, v5
	buffer_store_dword v2, off, s[0:3], s32 offset:224 ; 4-byte Folded Spill
	v_lshlrev_b32_e32 v2, 16, v26
	buffer_store_dword v2, off, s[0:3], s32 offset:228 ; 4-byte Folded Spill
	v_and_b32_e32 v2, 0xffff0000, v26
	v_accvgpr_write_b32 a36, v2
	v_lshlrev_b32_e32 v2, 16, v27
	v_accvgpr_write_b32 a37, v2
	v_and_b32_e32 v2, 0xffff0000, v27
	v_accvgpr_write_b32 a38, v2
	v_lshlrev_b32_e32 v2, 16, v28
	v_accvgpr_write_b32 a39, v2
	;; [unrolled: 4-line block ×10, first 2 shown]
	ds_read_b128 v[2:5], v6 offset:64
	ds_read_b128 v[18:21], v6 offset:80
	buffer_store_dword v7, off, s[0:3], s32 offset:196 ; 4-byte Folded Spill
	v_and_b32_e32 v7, 0xffff0000, v24
	v_accvgpr_write_b32 a56, v7
	v_lshlrev_b32_e32 v7, 16, v25
	v_accvgpr_write_b32 a57, v7
	v_and_b32_e32 v7, 0xffff0000, v25
	v_accvgpr_write_b32 a58, v7
	s_waitcnt lgkmcnt(1)
	v_lshlrev_b32_e32 v7, 16, v2
	v_and_b32_e32 v2, 0xffff0000, v2
	v_accvgpr_write_b32 a60, v2
	v_lshlrev_b32_e32 v2, 16, v3
	v_accvgpr_write_b32 a61, v2
	v_and_b32_e32 v2, 0xffff0000, v3
	v_accvgpr_write_b32 a62, v2
	v_lshlrev_b32_e32 v2, 16, v4
	v_accvgpr_write_b32 a63, v2
	;; [unrolled: 4-line block ×3, first 2 shown]
	v_and_b32_e32 v2, 0xffff0000, v5
	v_accvgpr_write_b32 a20, v2
	s_waitcnt lgkmcnt(0)
	v_lshlrev_b32_e32 v2, 16, v18
	v_accvgpr_write_b32 a21, v2
	v_and_b32_e32 v2, 0xffff0000, v18
	v_accvgpr_write_b32 a18, v2
	v_lshlrev_b32_e32 v2, 16, v19
	v_accvgpr_write_b32 a19, v2
	v_and_b32_e32 v2, 0xffff0000, v19
	v_accvgpr_write_b32 a26, v2
	;; [unrolled: 4-line block ×4, first 2 shown]
	ds_read_b128 v[2:5], v6 offset:96
	buffer_store_dword v49, off, s[0:3], s32 offset:260 ; 4-byte Folded Spill
	s_ashr_i32 s21, s20, 31
	s_lshl_b64 s[8:9], s[20:21], 2
	s_getpc_b64 s[24:25]
	s_add_u32 s24, s24, llvm.amdgcn.dynlds.offset.table@rel32@lo+4
	s_addc_u32 s25, s25, llvm.amdgcn.dynlds.offset.table@rel32@hi+12
	s_waitcnt lgkmcnt(0)
	v_lshlrev_b32_e32 v6, 16, v2
	v_and_b32_e32 v2, 0xffff0000, v2
	v_accvgpr_write_b32 a13, v2
	v_lshlrev_b32_e32 v2, 16, v3
	v_accvgpr_write_b32 a14, v2
	v_and_b32_e32 v2, 0xffff0000, v3
	v_accvgpr_write_b32 a11, v2
	v_lshlrev_b32_e32 v2, 16, v4
	v_accvgpr_write_b32 a12, v2
	;; [unrolled: 4-line block ×3, first 2 shown]
	v_and_b32_e32 v2, 0xffff0000, v5
	v_accvgpr_write_b32 a8, v2
	v_add_co_u32_e32 v2, vcc, v8, v48
	v_bfe_u32 v4, v14, 1, 5
	v_addc_co_u32_e32 v3, vcc, v9, v49, vcc
	v_lshlrev_b32_e32 v5, 4, v4
	v_add_co_u32_e32 v2, vcc, v2, v5
	v_addc_co_u32_e32 v3, vcc, 0, v3, vcc
	v_accvgpr_write_b32 a29, v3
	v_accvgpr_write_b32 a28, v2
	v_lshlrev_b64 v[2:3], 2, v[16:17]
	v_add_co_u32_e32 v2, vcc, v38, v2
	buffer_store_dword v38, off, s[0:3], s32 offset:264 ; 4-byte Folded Spill
	s_nop 0
	buffer_store_dword v39, off, s[0:3], s32 offset:268 ; 4-byte Folded Spill
	s_add_u32 s24, s8, s24
	v_accvgpr_write_b32 a59, v7
	v_accvgpr_write_b32 a1, v6
	s_addc_u32 s25, s9, s25
	s_mov_b64 s[26:27], 0
	s_movk_i32 s21, 0x80
	s_movk_i32 s37, 0x7f
	s_mov_b32 s38, 0x7f800000
	s_movk_i32 s39, 0x7fff
	s_mov_b32 s40, 0xffffff
	v_mov_b32_e32 v47, 0
	v_bfrev_b32_e32 v56, 60
	v_mov_b32_e32 v57, v16
	buffer_store_dword v30, off, s[0:3], s32 offset:316 ; 4-byte Folded Spill
	buffer_store_dword v15, off, s[0:3], s32 offset:320 ; 4-byte Folded Spill
	;; [unrolled: 1-line block ×3, first 2 shown]
	v_addc_co_u32_e32 v3, vcc, v39, v3, vcc
	v_add_co_u32_e32 v18, vcc, v30, v2
	v_mbcnt_hi_u32_b32 v2, -1, v1
	v_and_b32_e32 v1, 64, v2
	v_addc_co_u32_e32 v19, vcc, v15, v3, vcc
	v_add_u32_e32 v3, 64, v1
	v_xor_b32_e32 v1, 1, v2
	v_cmp_lt_i32_e32 vcc, v1, v3
	v_cndmask_b32_e32 v1, v2, v1, vcc
	v_lshlrev_b32_e32 v1, 2, v1
	v_accvgpr_write_b32 a5, v1
	buffer_load_dword v1, off, s[0:3], s32 offset:232 ; 4-byte Folded Reload
	v_cmp_eq_u32_e32 vcc, 0, v0
	v_lshlrev_b32_e32 v0, 2, v0
	v_accvgpr_write_b32 a30, v0
	v_mov_b32_e32 v0, 0xff7fffff
	buffer_store_dword v3, off, s[0:3], s32 offset:272 ; 4-byte Folded Spill
	buffer_store_dword v2, off, s[0:3], s32 offset:276 ; 4-byte Folded Spill
	;; [unrolled: 1-line block ×3, first 2 shown]
	s_waitcnt vmcnt(3)
	v_cmp_neq_f32_e64 s[6:7], 0, v1
	v_lshlrev_b32_e32 v1, 5, v36
	v_add3_u32 v45, s36, v1, v4
	v_lshlrev_b32_e32 v1, 2, v4
	v_lshl_or_b32 v46, v36, 7, v1
	s_branch .LBB397_10
.LBB397_9:                              ;   in Loop: Header=BB397_10 Depth=1
	s_or_b64 exec, exec, s[28:29]
	buffer_load_dword v0, off, s[0:3], s32 offset:188 ; 4-byte Folded Reload
	v_add_co_u32_e64 v18, s[8:9], 8, v18
	v_add_u32_e32 v57, 2, v57
	v_addc_co_u32_e64 v19, s[8:9], 0, v19, s[8:9]
	v_add_u32_e32 v45, 64, v45
	v_add_u32_e32 v46, 0x100, v46
	s_waitcnt vmcnt(0)
	v_cmp_ge_i32_e64 s[8:9], v57, v0
	s_or_b64 s[26:27], s[8:9], s[26:27]
	s_andn2_b64 exec, exec, s[26:27]
	s_cbranch_execz .LBB397_572
.LBB397_10:                             ; =>This Inner Loop Header: Depth=1
	flat_load_dword v0, v[18:19]
	v_accvgpr_read_b32 v4, a28
	v_accvgpr_read_b32 v2, a4
	;; [unrolled: 1-line block ×3, first 2 shown]
	s_waitcnt vmcnt(0) lgkmcnt(0)
	v_mad_i64_i32 v[0:1], s[8:9], v0, v2, v[4:5]
	v_accvgpr_read_b32 v2, a30
	v_add_co_u32_e64 v20, s[8:9], v0, v2
	v_addc_co_u32_e64 v21, s[8:9], 0, v1, s[8:9]
	v_accvgpr_read_b32 v0, a22
	flat_load_dword v28, v[20:21]
	v_accvgpr_read_b32 v1, a23
	flat_load_dword v59, v[0:1]
	v_mov_b32_e32 v0, 0
	s_waitcnt vmcnt(0) lgkmcnt(0)
	v_cmp_ne_u16_sdwa s[8:9], v28, v47 src0_sel:BYTE_0 src1_sel:DWORD
	s_and_saveexec_b64 s[28:29], s[8:9]
	s_cbranch_execz .LBB397_16
; %bb.11:                               ;   in Loop: Header=BB397_10 Depth=1
	v_cmp_ne_u16_sdwa s[8:9], v28, s21 src0_sel:BYTE_0 src1_sel:DWORD
	v_bfrev_b32_e32 v0, 1
	s_and_saveexec_b64 s[30:31], s[8:9]
	s_cbranch_execz .LBB397_15
; %bb.12:                               ;   in Loop: Header=BB397_10 Depth=1
	v_and_b32_e32 v1, 0x7f, v28
	v_cmp_ne_u32_e64 s[8:9], s37, v1
	v_mov_b32_e32 v0, 0x7f800001
	s_and_saveexec_b64 s[34:35], s[8:9]
	s_cbranch_execz .LBB397_14
; %bb.13:                               ;   in Loop: Header=BB397_10 Depth=1
	v_and_b32_e32 v0, 7, v28
	v_ffbh_u32_e32 v2, v0
	v_min_u32_e32 v5, 32, v2
	v_subrev_u32_e32 v2, 28, v5
	v_lshlrev_b64 v[2:3], v2, v[28:29]
	v_lshrrev_b32_e32 v4, 3, v1
	v_sub_u32_e32 v3, 29, v5
	v_and_b32_e32 v2, 7, v2
	v_cmp_gt_u32_e64 s[8:9], 8, v1
	v_cndmask_b32_e64 v1, v4, v3, s[8:9]
	v_cndmask_b32_e64 v0, v0, v2, s[8:9]
	v_lshlrev_b32_e32 v2, 24, v28
	v_lshlrev_b32_e32 v0, 20, v0
	v_and_b32_e32 v2, 0x80000000, v2
	v_lshl_add_u32 v1, v1, 23, v56
	v_or3_b32 v0, v2, v1, v0
.LBB397_14:                             ;   in Loop: Header=BB397_10 Depth=1
	s_or_b64 exec, exec, s[34:35]
.LBB397_15:                             ;   in Loop: Header=BB397_10 Depth=1
	s_or_b64 exec, exec, s[30:31]
.LBB397_16:                             ;   in Loop: Header=BB397_10 Depth=1
	s_or_b64 exec, exec, s[28:29]
	v_mul_f32_e32 v0, v59, v0
	v_and_b32_e32 v1, 0x7f800000, v0
	v_cmp_ne_u32_e64 s[8:9], s38, v1
                                        ; implicit-def: $vgpr37
	s_and_saveexec_b64 s[28:29], s[8:9]
	s_xor_b64 s[8:9], exec, s[28:29]
; %bb.17:                               ;   in Loop: Header=BB397_10 Depth=1
	v_bfe_u32 v1, v0, 16, 1
	v_add3_u32 v37, v0, v1, s39
                                        ; implicit-def: $vgpr0
; %bb.18:                               ;   in Loop: Header=BB397_10 Depth=1
	s_andn2_saveexec_b64 s[28:29], s[8:9]
; %bb.19:                               ;   in Loop: Header=BB397_10 Depth=1
	v_or_b32_e32 v1, 0x10000, v0
	v_cmp_eq_u32_sdwa s[8:9], v0, v47 src0_sel:WORD_0 src1_sel:DWORD
	v_cndmask_b32_e64 v37, v1, v0, s[8:9]
; %bb.20:                               ;   in Loop: Header=BB397_10 Depth=1
	s_or_b64 exec, exec, s[28:29]
	v_lshrrev_b16_e32 v30, 8, v28
	v_cmp_ne_u16_e64 s[8:9], 0, v30
	v_mov_b32_e32 v0, 0
	s_and_saveexec_b64 s[28:29], s[8:9]
	s_cbranch_execz .LBB397_26
; %bb.21:                               ;   in Loop: Header=BB397_10 Depth=1
	v_cmp_ne_u16_e64 s[8:9], s21, v30
	v_bfrev_b32_e32 v0, 1
	s_and_saveexec_b64 s[30:31], s[8:9]
	s_cbranch_execz .LBB397_25
; %bb.22:                               ;   in Loop: Header=BB397_10 Depth=1
	v_and_b32_e32 v1, 0x7f, v30
	v_cmp_ne_u32_e64 s[8:9], s37, v1
	v_mov_b32_e32 v0, 0x7f800001
	s_and_saveexec_b64 s[34:35], s[8:9]
	s_cbranch_execz .LBB397_24
; %bb.23:                               ;   in Loop: Header=BB397_10 Depth=1
	v_and_b32_e32 v0, 7, v30
	v_ffbh_u32_e32 v2, v0
	v_min_u32_e32 v5, 32, v2
	v_subrev_u32_e32 v2, 28, v5
	v_lshlrev_b64 v[2:3], v2, v[30:31]
	v_lshrrev_b32_e32 v4, 3, v1
	v_sub_u32_e32 v3, 29, v5
	v_and_b32_e32 v2, 7, v2
	v_cmp_gt_u32_e64 s[8:9], 8, v1
	v_cndmask_b32_e64 v1, v4, v3, s[8:9]
	v_cndmask_b32_e64 v0, v0, v2, s[8:9]
	v_lshlrev_b32_e32 v2, 16, v28
	v_lshlrev_b32_e32 v0, 20, v0
	v_and_b32_e32 v2, 0x80000000, v2
	v_lshl_add_u32 v1, v1, 23, v56
	v_or3_b32 v0, v2, v1, v0
.LBB397_24:                             ;   in Loop: Header=BB397_10 Depth=1
	s_or_b64 exec, exec, s[34:35]
.LBB397_25:                             ;   in Loop: Header=BB397_10 Depth=1
	s_or_b64 exec, exec, s[30:31]
.LBB397_26:                             ;   in Loop: Header=BB397_10 Depth=1
	s_or_b64 exec, exec, s[28:29]
	v_mul_f32_e32 v0, v59, v0
	v_and_b32_e32 v1, 0x7f800000, v0
	v_cmp_ne_u32_e64 s[8:9], s38, v1
                                        ; implicit-def: $vgpr6
	s_and_saveexec_b64 s[28:29], s[8:9]
	s_xor_b64 s[8:9], exec, s[28:29]
; %bb.27:                               ;   in Loop: Header=BB397_10 Depth=1
	v_bfe_u32 v1, v0, 16, 1
	v_add3_u32 v6, v0, v1, s39
                                        ; implicit-def: $vgpr0
; %bb.28:                               ;   in Loop: Header=BB397_10 Depth=1
	s_andn2_saveexec_b64 s[28:29], s[8:9]
; %bb.29:                               ;   in Loop: Header=BB397_10 Depth=1
	v_or_b32_e32 v1, 0x10000, v0
	v_cmp_eq_u32_sdwa s[8:9], v0, v47 src0_sel:WORD_0 src1_sel:DWORD
	v_cndmask_b32_e64 v6, v1, v0, s[8:9]
; %bb.30:                               ;   in Loop: Header=BB397_10 Depth=1
	s_or_b64 exec, exec, s[28:29]
	v_lshrrev_b32_e32 v30, 16, v28
	v_cmp_ne_u16_sdwa s[8:9], v30, v47 src0_sel:BYTE_0 src1_sel:DWORD
	v_mov_b32_e32 v0, 0
	s_and_saveexec_b64 s[28:29], s[8:9]
	s_cbranch_execz .LBB397_36
; %bb.31:                               ;   in Loop: Header=BB397_10 Depth=1
	v_cmp_ne_u16_sdwa s[8:9], v30, s21 src0_sel:BYTE_0 src1_sel:DWORD
	v_bfrev_b32_e32 v0, 1
	s_and_saveexec_b64 s[30:31], s[8:9]
	s_cbranch_execz .LBB397_35
; %bb.32:                               ;   in Loop: Header=BB397_10 Depth=1
	v_bfe_u32 v1, v28, 16, 7
	v_cmp_ne_u32_e64 s[8:9], s37, v1
	v_mov_b32_e32 v0, 0x7f800001
	s_and_saveexec_b64 s[34:35], s[8:9]
	s_cbranch_execz .LBB397_34
; %bb.33:                               ;   in Loop: Header=BB397_10 Depth=1
	v_and_b32_e32 v0, 7, v30
	v_ffbh_u32_e32 v2, v0
	v_min_u32_e32 v5, 32, v2
	v_subrev_u32_e32 v2, 28, v5
	v_lshlrev_b64 v[2:3], v2, v[30:31]
	v_lshrrev_b32_e32 v4, 3, v1
	v_sub_u32_e32 v3, 29, v5
	v_and_b32_e32 v2, 7, v2
	v_cmp_gt_u32_e64 s[8:9], 8, v1
	v_cndmask_b32_e64 v1, v4, v3, s[8:9]
	v_cndmask_b32_e64 v0, v0, v2, s[8:9]
	v_lshlrev_b32_e32 v2, 24, v30
	v_lshlrev_b32_e32 v0, 20, v0
	v_and_b32_e32 v2, 0x80000000, v2
	v_lshl_add_u32 v1, v1, 23, v56
	v_or3_b32 v0, v2, v1, v0
.LBB397_34:                             ;   in Loop: Header=BB397_10 Depth=1
	s_or_b64 exec, exec, s[34:35]
.LBB397_35:                             ;   in Loop: Header=BB397_10 Depth=1
	s_or_b64 exec, exec, s[30:31]
.LBB397_36:                             ;   in Loop: Header=BB397_10 Depth=1
	s_or_b64 exec, exec, s[28:29]
	v_mul_f32_e32 v0, v59, v0
	v_and_b32_e32 v1, 0x7f800000, v0
	v_cmp_ne_u32_e64 s[8:9], s38, v1
                                        ; implicit-def: $vgpr13
	s_and_saveexec_b64 s[28:29], s[8:9]
	s_xor_b64 s[8:9], exec, s[28:29]
; %bb.37:                               ;   in Loop: Header=BB397_10 Depth=1
	v_bfe_u32 v1, v0, 16, 1
	v_add3_u32 v13, v0, v1, s39
                                        ; implicit-def: $vgpr0
; %bb.38:                               ;   in Loop: Header=BB397_10 Depth=1
	s_andn2_saveexec_b64 s[28:29], s[8:9]
; %bb.39:                               ;   in Loop: Header=BB397_10 Depth=1
	v_or_b32_e32 v1, 0x10000, v0
	v_cmp_eq_u32_sdwa s[8:9], v0, v47 src0_sel:WORD_0 src1_sel:DWORD
	v_cndmask_b32_e64 v13, v1, v0, s[8:9]
; %bb.40:                               ;   in Loop: Header=BB397_10 Depth=1
	s_or_b64 exec, exec, s[28:29]
	v_cmp_lt_u32_e64 s[8:9], s40, v28
	v_mov_b32_e32 v0, 0
	s_and_saveexec_b64 s[28:29], s[8:9]
	s_cbranch_execz .LBB397_46
; %bb.41:                               ;   in Loop: Header=BB397_10 Depth=1
	v_lshrrev_b32_e32 v30, 24, v28
	v_cmp_ne_u32_e64 s[8:9], s21, v30
	v_bfrev_b32_e32 v0, 1
	s_and_saveexec_b64 s[30:31], s[8:9]
	s_cbranch_execz .LBB397_45
; %bb.42:                               ;   in Loop: Header=BB397_10 Depth=1
	v_bfe_u32 v1, v28, 24, 7
	v_cmp_ne_u32_e64 s[8:9], s37, v1
	v_mov_b32_e32 v0, 0x7f800001
	s_and_saveexec_b64 s[34:35], s[8:9]
	s_cbranch_execz .LBB397_44
; %bb.43:                               ;   in Loop: Header=BB397_10 Depth=1
	v_and_b32_e32 v0, 7, v30
	v_ffbh_u32_e32 v2, v0
	v_min_u32_e32 v5, 32, v2
	v_subrev_u32_e32 v2, 28, v5
	v_lshlrev_b64 v[2:3], v2, v[30:31]
	v_lshrrev_b32_e32 v4, 3, v1
	v_sub_u32_e32 v3, 29, v5
	v_and_b32_e32 v2, 7, v2
	v_cmp_gt_u32_e64 s[8:9], 8, v1
	v_cndmask_b32_e64 v1, v4, v3, s[8:9]
	v_cndmask_b32_e64 v0, v0, v2, s[8:9]
	v_lshlrev_b32_e32 v2, 24, v30
	v_lshlrev_b32_e32 v0, 20, v0
	v_and_b32_e32 v2, 0x80000000, v2
	v_lshl_add_u32 v1, v1, 23, v56
	v_or3_b32 v0, v2, v1, v0
.LBB397_44:                             ;   in Loop: Header=BB397_10 Depth=1
	s_or_b64 exec, exec, s[34:35]
.LBB397_45:                             ;   in Loop: Header=BB397_10 Depth=1
	s_or_b64 exec, exec, s[30:31]
.LBB397_46:                             ;   in Loop: Header=BB397_10 Depth=1
	s_or_b64 exec, exec, s[28:29]
	v_mul_f32_e32 v0, v59, v0
	v_and_b32_e32 v1, 0x7f800000, v0
	v_cmp_ne_u32_e64 s[8:9], s38, v1
                                        ; implicit-def: $vgpr38
	s_and_saveexec_b64 s[28:29], s[8:9]
	s_xor_b64 s[8:9], exec, s[28:29]
; %bb.47:                               ;   in Loop: Header=BB397_10 Depth=1
	v_bfe_u32 v1, v0, 16, 1
	v_add3_u32 v38, v0, v1, s39
                                        ; implicit-def: $vgpr0
; %bb.48:                               ;   in Loop: Header=BB397_10 Depth=1
	s_andn2_saveexec_b64 s[28:29], s[8:9]
; %bb.49:                               ;   in Loop: Header=BB397_10 Depth=1
	v_or_b32_e32 v1, 0x10000, v0
	v_cmp_eq_u32_sdwa s[8:9], v0, v47 src0_sel:WORD_0 src1_sel:DWORD
	v_cndmask_b32_e64 v38, v1, v0, s[8:9]
; %bb.50:                               ;   in Loop: Header=BB397_10 Depth=1
	s_or_b64 exec, exec, s[28:29]
	flat_load_dword v28, v[20:21] offset:8
	v_mov_b32_e32 v0, 0
	s_waitcnt vmcnt(0) lgkmcnt(0)
	v_cmp_ne_u16_sdwa s[8:9], v28, v47 src0_sel:BYTE_0 src1_sel:DWORD
	s_and_saveexec_b64 s[28:29], s[8:9]
	s_cbranch_execz .LBB397_56
; %bb.51:                               ;   in Loop: Header=BB397_10 Depth=1
	v_cmp_ne_u16_sdwa s[8:9], v28, s21 src0_sel:BYTE_0 src1_sel:DWORD
	v_bfrev_b32_e32 v0, 1
	s_and_saveexec_b64 s[30:31], s[8:9]
	s_cbranch_execz .LBB397_55
; %bb.52:                               ;   in Loop: Header=BB397_10 Depth=1
	v_and_b32_e32 v1, 0x7f, v28
	v_cmp_ne_u32_e64 s[8:9], s37, v1
	v_mov_b32_e32 v0, 0x7f800001
	s_and_saveexec_b64 s[34:35], s[8:9]
	s_cbranch_execz .LBB397_54
; %bb.53:                               ;   in Loop: Header=BB397_10 Depth=1
	v_and_b32_e32 v0, 7, v28
	v_ffbh_u32_e32 v2, v0
	v_min_u32_e32 v5, 32, v2
	v_subrev_u32_e32 v2, 28, v5
	v_lshlrev_b64 v[2:3], v2, v[28:29]
	v_lshrrev_b32_e32 v4, 3, v1
	v_sub_u32_e32 v3, 29, v5
	v_and_b32_e32 v2, 7, v2
	v_cmp_gt_u32_e64 s[8:9], 8, v1
	v_cndmask_b32_e64 v1, v4, v3, s[8:9]
	v_cndmask_b32_e64 v0, v0, v2, s[8:9]
	v_lshlrev_b32_e32 v2, 24, v28
	v_lshlrev_b32_e32 v0, 20, v0
	v_and_b32_e32 v2, 0x80000000, v2
	v_lshl_add_u32 v1, v1, 23, v56
	v_or3_b32 v0, v2, v1, v0
.LBB397_54:                             ;   in Loop: Header=BB397_10 Depth=1
	s_or_b64 exec, exec, s[34:35]
.LBB397_55:                             ;   in Loop: Header=BB397_10 Depth=1
	s_or_b64 exec, exec, s[30:31]
.LBB397_56:                             ;   in Loop: Header=BB397_10 Depth=1
	s_or_b64 exec, exec, s[28:29]
	v_mul_f32_e32 v0, v59, v0
	v_and_b32_e32 v1, 0x7f800000, v0
	v_cmp_ne_u32_e64 s[8:9], s38, v1
                                        ; implicit-def: $vgpr36
	s_and_saveexec_b64 s[28:29], s[8:9]
	s_xor_b64 s[8:9], exec, s[28:29]
; %bb.57:                               ;   in Loop: Header=BB397_10 Depth=1
	v_bfe_u32 v1, v0, 16, 1
	v_add3_u32 v36, v0, v1, s39
                                        ; implicit-def: $vgpr0
; %bb.58:                               ;   in Loop: Header=BB397_10 Depth=1
	s_andn2_saveexec_b64 s[28:29], s[8:9]
; %bb.59:                               ;   in Loop: Header=BB397_10 Depth=1
	v_or_b32_e32 v1, 0x10000, v0
	v_cmp_eq_u32_sdwa s[8:9], v0, v47 src0_sel:WORD_0 src1_sel:DWORD
	v_cndmask_b32_e64 v36, v1, v0, s[8:9]
; %bb.60:                               ;   in Loop: Header=BB397_10 Depth=1
	s_or_b64 exec, exec, s[28:29]
	v_lshrrev_b16_e32 v30, 8, v28
	v_cmp_ne_u16_e64 s[8:9], 0, v30
	v_mov_b32_e32 v0, 0
	s_and_saveexec_b64 s[28:29], s[8:9]
	s_cbranch_execz .LBB397_66
; %bb.61:                               ;   in Loop: Header=BB397_10 Depth=1
	v_cmp_ne_u16_e64 s[8:9], s21, v30
	v_bfrev_b32_e32 v0, 1
	s_and_saveexec_b64 s[30:31], s[8:9]
	s_cbranch_execz .LBB397_65
; %bb.62:                               ;   in Loop: Header=BB397_10 Depth=1
	v_and_b32_e32 v1, 0x7f, v30
	v_cmp_ne_u32_e64 s[8:9], s37, v1
	v_mov_b32_e32 v0, 0x7f800001
	s_and_saveexec_b64 s[34:35], s[8:9]
	s_cbranch_execz .LBB397_64
; %bb.63:                               ;   in Loop: Header=BB397_10 Depth=1
	v_and_b32_e32 v0, 7, v30
	v_ffbh_u32_e32 v2, v0
	v_min_u32_e32 v5, 32, v2
	v_subrev_u32_e32 v2, 28, v5
	v_lshlrev_b64 v[2:3], v2, v[30:31]
	v_lshrrev_b32_e32 v4, 3, v1
	v_sub_u32_e32 v3, 29, v5
	v_and_b32_e32 v2, 7, v2
	v_cmp_gt_u32_e64 s[8:9], 8, v1
	v_cndmask_b32_e64 v1, v4, v3, s[8:9]
	v_cndmask_b32_e64 v0, v0, v2, s[8:9]
	v_lshlrev_b32_e32 v2, 16, v28
	v_lshlrev_b32_e32 v0, 20, v0
	v_and_b32_e32 v2, 0x80000000, v2
	v_lshl_add_u32 v1, v1, 23, v56
	v_or3_b32 v0, v2, v1, v0
.LBB397_64:                             ;   in Loop: Header=BB397_10 Depth=1
	s_or_b64 exec, exec, s[34:35]
.LBB397_65:                             ;   in Loop: Header=BB397_10 Depth=1
	s_or_b64 exec, exec, s[30:31]
.LBB397_66:                             ;   in Loop: Header=BB397_10 Depth=1
	s_or_b64 exec, exec, s[28:29]
	v_mul_f32_e32 v0, v59, v0
	v_and_b32_e32 v1, 0x7f800000, v0
	v_cmp_ne_u32_e64 s[8:9], s38, v1
                                        ; implicit-def: $vgpr11
	s_and_saveexec_b64 s[28:29], s[8:9]
	s_xor_b64 s[8:9], exec, s[28:29]
; %bb.67:                               ;   in Loop: Header=BB397_10 Depth=1
	v_bfe_u32 v1, v0, 16, 1
	v_add3_u32 v11, v0, v1, s39
                                        ; implicit-def: $vgpr0
; %bb.68:                               ;   in Loop: Header=BB397_10 Depth=1
	s_andn2_saveexec_b64 s[28:29], s[8:9]
; %bb.69:                               ;   in Loop: Header=BB397_10 Depth=1
	v_or_b32_e32 v1, 0x10000, v0
	v_cmp_eq_u32_sdwa s[8:9], v0, v47 src0_sel:WORD_0 src1_sel:DWORD
	v_cndmask_b32_e64 v11, v1, v0, s[8:9]
; %bb.70:                               ;   in Loop: Header=BB397_10 Depth=1
	s_or_b64 exec, exec, s[28:29]
	v_lshrrev_b32_e32 v30, 16, v28
	v_cmp_ne_u16_sdwa s[8:9], v30, v47 src0_sel:BYTE_0 src1_sel:DWORD
	v_mov_b32_e32 v0, 0
	s_and_saveexec_b64 s[28:29], s[8:9]
	s_cbranch_execz .LBB397_76
; %bb.71:                               ;   in Loop: Header=BB397_10 Depth=1
	v_cmp_ne_u16_sdwa s[8:9], v30, s21 src0_sel:BYTE_0 src1_sel:DWORD
	v_bfrev_b32_e32 v0, 1
	s_and_saveexec_b64 s[30:31], s[8:9]
	s_cbranch_execz .LBB397_75
; %bb.72:                               ;   in Loop: Header=BB397_10 Depth=1
	v_bfe_u32 v1, v28, 16, 7
	v_cmp_ne_u32_e64 s[8:9], s37, v1
	v_mov_b32_e32 v0, 0x7f800001
	s_and_saveexec_b64 s[34:35], s[8:9]
	s_cbranch_execz .LBB397_74
; %bb.73:                               ;   in Loop: Header=BB397_10 Depth=1
	v_and_b32_e32 v0, 7, v30
	v_ffbh_u32_e32 v2, v0
	v_min_u32_e32 v5, 32, v2
	v_subrev_u32_e32 v2, 28, v5
	v_lshlrev_b64 v[2:3], v2, v[30:31]
	v_lshrrev_b32_e32 v4, 3, v1
	v_sub_u32_e32 v3, 29, v5
	v_and_b32_e32 v2, 7, v2
	v_cmp_gt_u32_e64 s[8:9], 8, v1
	v_cndmask_b32_e64 v1, v4, v3, s[8:9]
	v_cndmask_b32_e64 v0, v0, v2, s[8:9]
	v_lshlrev_b32_e32 v2, 24, v30
	v_lshlrev_b32_e32 v0, 20, v0
	v_and_b32_e32 v2, 0x80000000, v2
	v_lshl_add_u32 v1, v1, 23, v56
	v_or3_b32 v0, v2, v1, v0
.LBB397_74:                             ;   in Loop: Header=BB397_10 Depth=1
	s_or_b64 exec, exec, s[34:35]
.LBB397_75:                             ;   in Loop: Header=BB397_10 Depth=1
	s_or_b64 exec, exec, s[30:31]
.LBB397_76:                             ;   in Loop: Header=BB397_10 Depth=1
	s_or_b64 exec, exec, s[28:29]
	v_mul_f32_e32 v0, v59, v0
	v_and_b32_e32 v1, 0x7f800000, v0
	v_cmp_ne_u32_e64 s[8:9], s38, v1
                                        ; implicit-def: $vgpr10
	s_and_saveexec_b64 s[28:29], s[8:9]
	s_xor_b64 s[8:9], exec, s[28:29]
; %bb.77:                               ;   in Loop: Header=BB397_10 Depth=1
	v_bfe_u32 v1, v0, 16, 1
	v_add3_u32 v10, v0, v1, s39
                                        ; implicit-def: $vgpr0
; %bb.78:                               ;   in Loop: Header=BB397_10 Depth=1
	s_andn2_saveexec_b64 s[28:29], s[8:9]
; %bb.79:                               ;   in Loop: Header=BB397_10 Depth=1
	v_or_b32_e32 v1, 0x10000, v0
	v_cmp_eq_u32_sdwa s[8:9], v0, v47 src0_sel:WORD_0 src1_sel:DWORD
	v_cndmask_b32_e64 v10, v1, v0, s[8:9]
; %bb.80:                               ;   in Loop: Header=BB397_10 Depth=1
	s_or_b64 exec, exec, s[28:29]
	v_cmp_lt_u32_e64 s[8:9], s40, v28
	v_mov_b32_e32 v0, 0
	s_and_saveexec_b64 s[28:29], s[8:9]
	s_cbranch_execz .LBB397_86
; %bb.81:                               ;   in Loop: Header=BB397_10 Depth=1
	v_lshrrev_b32_e32 v30, 24, v28
	v_cmp_ne_u32_e64 s[8:9], s21, v30
	v_bfrev_b32_e32 v0, 1
	s_and_saveexec_b64 s[30:31], s[8:9]
	s_cbranch_execz .LBB397_85
; %bb.82:                               ;   in Loop: Header=BB397_10 Depth=1
	v_bfe_u32 v1, v28, 24, 7
	v_cmp_ne_u32_e64 s[8:9], s37, v1
	v_mov_b32_e32 v0, 0x7f800001
	s_and_saveexec_b64 s[34:35], s[8:9]
	s_cbranch_execz .LBB397_84
; %bb.83:                               ;   in Loop: Header=BB397_10 Depth=1
	v_and_b32_e32 v0, 7, v30
	v_ffbh_u32_e32 v2, v0
	v_min_u32_e32 v5, 32, v2
	v_subrev_u32_e32 v2, 28, v5
	v_lshlrev_b64 v[2:3], v2, v[30:31]
	v_lshrrev_b32_e32 v4, 3, v1
	v_sub_u32_e32 v3, 29, v5
	v_and_b32_e32 v2, 7, v2
	v_cmp_gt_u32_e64 s[8:9], 8, v1
	v_cndmask_b32_e64 v1, v4, v3, s[8:9]
	v_cndmask_b32_e64 v0, v0, v2, s[8:9]
	v_lshlrev_b32_e32 v2, 24, v30
	v_lshlrev_b32_e32 v0, 20, v0
	v_and_b32_e32 v2, 0x80000000, v2
	v_lshl_add_u32 v1, v1, 23, v56
	v_or3_b32 v0, v2, v1, v0
.LBB397_84:                             ;   in Loop: Header=BB397_10 Depth=1
	s_or_b64 exec, exec, s[34:35]
.LBB397_85:                             ;   in Loop: Header=BB397_10 Depth=1
	s_or_b64 exec, exec, s[30:31]
.LBB397_86:                             ;   in Loop: Header=BB397_10 Depth=1
	s_or_b64 exec, exec, s[28:29]
	v_mul_f32_e32 v0, v59, v0
	v_and_b32_e32 v1, 0x7f800000, v0
	v_cmp_ne_u32_e64 s[8:9], s38, v1
                                        ; implicit-def: $agpr27
	s_and_saveexec_b64 s[28:29], s[8:9]
	s_xor_b64 s[8:9], exec, s[28:29]
; %bb.87:                               ;   in Loop: Header=BB397_10 Depth=1
	v_bfe_u32 v1, v0, 16, 1
	v_add3_u32 v0, v0, v1, s39
	v_accvgpr_write_b32 a27, v0
                                        ; implicit-def: $vgpr0
; %bb.88:                               ;   in Loop: Header=BB397_10 Depth=1
	s_andn2_saveexec_b64 s[28:29], s[8:9]
; %bb.89:                               ;   in Loop: Header=BB397_10 Depth=1
	v_or_b32_e32 v1, 0x10000, v0
	v_cmp_eq_u32_sdwa s[8:9], v0, v47 src0_sel:WORD_0 src1_sel:DWORD
	v_cndmask_b32_e64 v0, v1, v0, s[8:9]
	v_accvgpr_write_b32 a27, v0
; %bb.90:                               ;   in Loop: Header=BB397_10 Depth=1
	s_or_b64 exec, exec, s[28:29]
	flat_load_dword v28, v[20:21] offset:512
	v_mov_b32_e32 v0, 0
	s_waitcnt vmcnt(0) lgkmcnt(0)
	v_cmp_ne_u16_sdwa s[8:9], v28, v47 src0_sel:BYTE_0 src1_sel:DWORD
	s_and_saveexec_b64 s[28:29], s[8:9]
	s_cbranch_execz .LBB397_96
; %bb.91:                               ;   in Loop: Header=BB397_10 Depth=1
	v_cmp_ne_u16_sdwa s[8:9], v28, s21 src0_sel:BYTE_0 src1_sel:DWORD
	v_bfrev_b32_e32 v0, 1
	s_and_saveexec_b64 s[30:31], s[8:9]
	s_cbranch_execz .LBB397_95
; %bb.92:                               ;   in Loop: Header=BB397_10 Depth=1
	v_and_b32_e32 v1, 0x7f, v28
	v_cmp_ne_u32_e64 s[8:9], s37, v1
	v_mov_b32_e32 v0, 0x7f800001
	s_and_saveexec_b64 s[34:35], s[8:9]
	s_cbranch_execz .LBB397_94
; %bb.93:                               ;   in Loop: Header=BB397_10 Depth=1
	v_and_b32_e32 v0, 7, v28
	v_ffbh_u32_e32 v2, v0
	v_min_u32_e32 v5, 32, v2
	v_subrev_u32_e32 v2, 28, v5
	v_lshlrev_b64 v[2:3], v2, v[28:29]
	v_lshrrev_b32_e32 v4, 3, v1
	v_sub_u32_e32 v3, 29, v5
	v_and_b32_e32 v2, 7, v2
	v_cmp_gt_u32_e64 s[8:9], 8, v1
	v_cndmask_b32_e64 v1, v4, v3, s[8:9]
	v_cndmask_b32_e64 v0, v0, v2, s[8:9]
	v_lshlrev_b32_e32 v2, 24, v28
	v_lshlrev_b32_e32 v0, 20, v0
	v_and_b32_e32 v2, 0x80000000, v2
	v_lshl_add_u32 v1, v1, 23, v56
	v_or3_b32 v0, v2, v1, v0
.LBB397_94:                             ;   in Loop: Header=BB397_10 Depth=1
	s_or_b64 exec, exec, s[34:35]
.LBB397_95:                             ;   in Loop: Header=BB397_10 Depth=1
	s_or_b64 exec, exec, s[30:31]
.LBB397_96:                             ;   in Loop: Header=BB397_10 Depth=1
	s_or_b64 exec, exec, s[28:29]
	v_mul_f32_e32 v0, v59, v0
	v_and_b32_e32 v1, 0x7f800000, v0
	v_cmp_ne_u32_e64 s[8:9], s38, v1
                                        ; implicit-def: $agpr9
	s_and_saveexec_b64 s[28:29], s[8:9]
	s_xor_b64 s[8:9], exec, s[28:29]
; %bb.97:                               ;   in Loop: Header=BB397_10 Depth=1
	v_bfe_u32 v1, v0, 16, 1
	v_add3_u32 v0, v0, v1, s39
	v_accvgpr_write_b32 a9, v0
                                        ; implicit-def: $vgpr0
; %bb.98:                               ;   in Loop: Header=BB397_10 Depth=1
	s_andn2_saveexec_b64 s[28:29], s[8:9]
; %bb.99:                               ;   in Loop: Header=BB397_10 Depth=1
	v_or_b32_e32 v1, 0x10000, v0
	v_cmp_eq_u32_sdwa s[8:9], v0, v47 src0_sel:WORD_0 src1_sel:DWORD
	v_cndmask_b32_e64 v0, v1, v0, s[8:9]
	v_accvgpr_write_b32 a9, v0
; %bb.100:                              ;   in Loop: Header=BB397_10 Depth=1
	s_or_b64 exec, exec, s[28:29]
	v_lshrrev_b16_e32 v30, 8, v28
	v_cmp_ne_u16_e64 s[8:9], 0, v30
	v_mov_b32_e32 v0, 0
	s_and_saveexec_b64 s[28:29], s[8:9]
	s_cbranch_execz .LBB397_106
; %bb.101:                              ;   in Loop: Header=BB397_10 Depth=1
	v_cmp_ne_u16_e64 s[8:9], s21, v30
	v_bfrev_b32_e32 v0, 1
	s_and_saveexec_b64 s[30:31], s[8:9]
	s_cbranch_execz .LBB397_105
; %bb.102:                              ;   in Loop: Header=BB397_10 Depth=1
	v_and_b32_e32 v1, 0x7f, v30
	v_cmp_ne_u32_e64 s[8:9], s37, v1
	v_mov_b32_e32 v0, 0x7f800001
	s_and_saveexec_b64 s[34:35], s[8:9]
	s_cbranch_execz .LBB397_104
; %bb.103:                              ;   in Loop: Header=BB397_10 Depth=1
	v_and_b32_e32 v0, 7, v30
	v_ffbh_u32_e32 v2, v0
	v_min_u32_e32 v5, 32, v2
	v_subrev_u32_e32 v2, 28, v5
	v_lshlrev_b64 v[2:3], v2, v[30:31]
	v_lshrrev_b32_e32 v4, 3, v1
	v_sub_u32_e32 v3, 29, v5
	v_and_b32_e32 v2, 7, v2
	v_cmp_gt_u32_e64 s[8:9], 8, v1
	v_cndmask_b32_e64 v1, v4, v3, s[8:9]
	v_cndmask_b32_e64 v0, v0, v2, s[8:9]
	v_lshlrev_b32_e32 v2, 16, v28
	v_lshlrev_b32_e32 v0, 20, v0
	v_and_b32_e32 v2, 0x80000000, v2
	v_lshl_add_u32 v1, v1, 23, v56
	v_or3_b32 v0, v2, v1, v0
.LBB397_104:                            ;   in Loop: Header=BB397_10 Depth=1
	s_or_b64 exec, exec, s[34:35]
.LBB397_105:                            ;   in Loop: Header=BB397_10 Depth=1
	s_or_b64 exec, exec, s[30:31]
.LBB397_106:                            ;   in Loop: Header=BB397_10 Depth=1
	s_or_b64 exec, exec, s[28:29]
	v_mul_f32_e32 v0, v59, v0
	v_and_b32_e32 v1, 0x7f800000, v0
	v_cmp_ne_u32_e64 s[8:9], s38, v1
                                        ; implicit-def: $agpr6
	s_and_saveexec_b64 s[28:29], s[8:9]
	s_xor_b64 s[8:9], exec, s[28:29]
; %bb.107:                              ;   in Loop: Header=BB397_10 Depth=1
	v_bfe_u32 v1, v0, 16, 1
	v_add3_u32 v0, v0, v1, s39
	v_accvgpr_write_b32 a6, v0
                                        ; implicit-def: $vgpr0
; %bb.108:                              ;   in Loop: Header=BB397_10 Depth=1
	s_andn2_saveexec_b64 s[28:29], s[8:9]
; %bb.109:                              ;   in Loop: Header=BB397_10 Depth=1
	v_or_b32_e32 v1, 0x10000, v0
	v_cmp_eq_u32_sdwa s[8:9], v0, v47 src0_sel:WORD_0 src1_sel:DWORD
	v_cndmask_b32_e64 v0, v1, v0, s[8:9]
	v_accvgpr_write_b32 a6, v0
; %bb.110:                              ;   in Loop: Header=BB397_10 Depth=1
	s_or_b64 exec, exec, s[28:29]
	v_lshrrev_b32_e32 v30, 16, v28
	v_cmp_ne_u16_sdwa s[8:9], v30, v47 src0_sel:BYTE_0 src1_sel:DWORD
	v_mov_b32_e32 v0, 0
	s_and_saveexec_b64 s[28:29], s[8:9]
	s_cbranch_execz .LBB397_116
; %bb.111:                              ;   in Loop: Header=BB397_10 Depth=1
	v_cmp_ne_u16_sdwa s[8:9], v30, s21 src0_sel:BYTE_0 src1_sel:DWORD
	v_bfrev_b32_e32 v0, 1
	s_and_saveexec_b64 s[30:31], s[8:9]
	s_cbranch_execz .LBB397_115
; %bb.112:                              ;   in Loop: Header=BB397_10 Depth=1
	v_bfe_u32 v1, v28, 16, 7
	v_cmp_ne_u32_e64 s[8:9], s37, v1
	v_mov_b32_e32 v0, 0x7f800001
	s_and_saveexec_b64 s[34:35], s[8:9]
	s_cbranch_execz .LBB397_114
; %bb.113:                              ;   in Loop: Header=BB397_10 Depth=1
	v_and_b32_e32 v0, 7, v30
	v_ffbh_u32_e32 v2, v0
	v_min_u32_e32 v5, 32, v2
	v_subrev_u32_e32 v2, 28, v5
	v_lshlrev_b64 v[2:3], v2, v[30:31]
	v_lshrrev_b32_e32 v4, 3, v1
	v_sub_u32_e32 v3, 29, v5
	v_and_b32_e32 v2, 7, v2
	v_cmp_gt_u32_e64 s[8:9], 8, v1
	v_cndmask_b32_e64 v1, v4, v3, s[8:9]
	v_cndmask_b32_e64 v0, v0, v2, s[8:9]
	v_lshlrev_b32_e32 v2, 24, v30
	v_lshlrev_b32_e32 v0, 20, v0
	v_and_b32_e32 v2, 0x80000000, v2
	v_lshl_add_u32 v1, v1, 23, v56
	v_or3_b32 v0, v2, v1, v0
.LBB397_114:                            ;   in Loop: Header=BB397_10 Depth=1
	s_or_b64 exec, exec, s[34:35]
.LBB397_115:                            ;   in Loop: Header=BB397_10 Depth=1
	s_or_b64 exec, exec, s[30:31]
.LBB397_116:                            ;   in Loop: Header=BB397_10 Depth=1
	s_or_b64 exec, exec, s[28:29]
	v_mul_f32_e32 v0, v59, v0
	v_and_b32_e32 v1, 0x7f800000, v0
	v_cmp_ne_u32_e64 s[8:9], s38, v1
                                        ; implicit-def: $agpr31
	s_and_saveexec_b64 s[28:29], s[8:9]
	s_xor_b64 s[8:9], exec, s[28:29]
; %bb.117:                              ;   in Loop: Header=BB397_10 Depth=1
	v_bfe_u32 v1, v0, 16, 1
	v_add3_u32 v0, v0, v1, s39
	v_accvgpr_write_b32 a31, v0
                                        ; implicit-def: $vgpr0
; %bb.118:                              ;   in Loop: Header=BB397_10 Depth=1
	s_andn2_saveexec_b64 s[28:29], s[8:9]
; %bb.119:                              ;   in Loop: Header=BB397_10 Depth=1
	v_or_b32_e32 v1, 0x10000, v0
	v_cmp_eq_u32_sdwa s[8:9], v0, v47 src0_sel:WORD_0 src1_sel:DWORD
	v_cndmask_b32_e64 v0, v1, v0, s[8:9]
	v_accvgpr_write_b32 a31, v0
; %bb.120:                              ;   in Loop: Header=BB397_10 Depth=1
	s_or_b64 exec, exec, s[28:29]
	v_cmp_lt_u32_e64 s[8:9], s40, v28
	v_mov_b32_e32 v0, 0
	s_and_saveexec_b64 s[28:29], s[8:9]
	s_cbranch_execz .LBB397_126
; %bb.121:                              ;   in Loop: Header=BB397_10 Depth=1
	v_lshrrev_b32_e32 v30, 24, v28
	v_cmp_ne_u32_e64 s[8:9], s21, v30
	v_bfrev_b32_e32 v0, 1
	s_and_saveexec_b64 s[30:31], s[8:9]
	s_cbranch_execz .LBB397_125
; %bb.122:                              ;   in Loop: Header=BB397_10 Depth=1
	v_bfe_u32 v1, v28, 24, 7
	v_cmp_ne_u32_e64 s[8:9], s37, v1
	v_mov_b32_e32 v0, 0x7f800001
	s_and_saveexec_b64 s[34:35], s[8:9]
	s_cbranch_execz .LBB397_124
; %bb.123:                              ;   in Loop: Header=BB397_10 Depth=1
	v_and_b32_e32 v0, 7, v30
	v_ffbh_u32_e32 v2, v0
	v_min_u32_e32 v5, 32, v2
	v_subrev_u32_e32 v2, 28, v5
	v_lshlrev_b64 v[2:3], v2, v[30:31]
	v_lshrrev_b32_e32 v4, 3, v1
	v_sub_u32_e32 v3, 29, v5
	v_and_b32_e32 v2, 7, v2
	v_cmp_gt_u32_e64 s[8:9], 8, v1
	v_cndmask_b32_e64 v1, v4, v3, s[8:9]
	v_cndmask_b32_e64 v0, v0, v2, s[8:9]
	v_lshlrev_b32_e32 v2, 24, v30
	v_lshlrev_b32_e32 v0, 20, v0
	v_and_b32_e32 v2, 0x80000000, v2
	v_lshl_add_u32 v1, v1, 23, v56
	v_or3_b32 v0, v2, v1, v0
.LBB397_124:                            ;   in Loop: Header=BB397_10 Depth=1
	s_or_b64 exec, exec, s[34:35]
.LBB397_125:                            ;   in Loop: Header=BB397_10 Depth=1
	s_or_b64 exec, exec, s[30:31]
.LBB397_126:                            ;   in Loop: Header=BB397_10 Depth=1
	s_or_b64 exec, exec, s[28:29]
	v_mul_f32_e32 v0, v59, v0
	v_and_b32_e32 v1, 0x7f800000, v0
	v_cmp_ne_u32_e64 s[8:9], s38, v1
                                        ; implicit-def: $agpr3
	s_and_saveexec_b64 s[28:29], s[8:9]
	s_xor_b64 s[8:9], exec, s[28:29]
; %bb.127:                              ;   in Loop: Header=BB397_10 Depth=1
	v_bfe_u32 v1, v0, 16, 1
	v_add3_u32 v0, v0, v1, s39
	v_accvgpr_write_b32 a3, v0
                                        ; implicit-def: $vgpr0
; %bb.128:                              ;   in Loop: Header=BB397_10 Depth=1
	s_andn2_saveexec_b64 s[28:29], s[8:9]
; %bb.129:                              ;   in Loop: Header=BB397_10 Depth=1
	v_or_b32_e32 v1, 0x10000, v0
	v_cmp_eq_u32_sdwa s[8:9], v0, v47 src0_sel:WORD_0 src1_sel:DWORD
	v_cndmask_b32_e64 v0, v1, v0, s[8:9]
	v_accvgpr_write_b32 a3, v0
; %bb.130:                              ;   in Loop: Header=BB397_10 Depth=1
	s_or_b64 exec, exec, s[28:29]
	flat_load_dword v28, v[20:21] offset:520
	v_mov_b32_e32 v0, 0
	s_waitcnt vmcnt(0) lgkmcnt(0)
	v_cmp_ne_u16_sdwa s[8:9], v28, v47 src0_sel:BYTE_0 src1_sel:DWORD
	s_and_saveexec_b64 s[28:29], s[8:9]
	s_cbranch_execz .LBB397_136
; %bb.131:                              ;   in Loop: Header=BB397_10 Depth=1
	v_cmp_ne_u16_sdwa s[8:9], v28, s21 src0_sel:BYTE_0 src1_sel:DWORD
	v_bfrev_b32_e32 v0, 1
	s_and_saveexec_b64 s[30:31], s[8:9]
	s_cbranch_execz .LBB397_135
; %bb.132:                              ;   in Loop: Header=BB397_10 Depth=1
	v_and_b32_e32 v1, 0x7f, v28
	v_cmp_ne_u32_e64 s[8:9], s37, v1
	v_mov_b32_e32 v0, 0x7f800001
	s_and_saveexec_b64 s[34:35], s[8:9]
	s_cbranch_execz .LBB397_134
; %bb.133:                              ;   in Loop: Header=BB397_10 Depth=1
	v_and_b32_e32 v0, 7, v28
	v_ffbh_u32_e32 v2, v0
	v_min_u32_e32 v5, 32, v2
	v_subrev_u32_e32 v2, 28, v5
	v_lshlrev_b64 v[2:3], v2, v[28:29]
	v_lshrrev_b32_e32 v4, 3, v1
	v_sub_u32_e32 v3, 29, v5
	v_and_b32_e32 v2, 7, v2
	v_cmp_gt_u32_e64 s[8:9], 8, v1
	v_cndmask_b32_e64 v1, v4, v3, s[8:9]
	v_cndmask_b32_e64 v0, v0, v2, s[8:9]
	v_lshlrev_b32_e32 v2, 24, v28
	v_lshlrev_b32_e32 v0, 20, v0
	v_and_b32_e32 v2, 0x80000000, v2
	v_lshl_add_u32 v1, v1, 23, v56
	v_or3_b32 v0, v2, v1, v0
.LBB397_134:                            ;   in Loop: Header=BB397_10 Depth=1
	s_or_b64 exec, exec, s[34:35]
.LBB397_135:                            ;   in Loop: Header=BB397_10 Depth=1
	s_or_b64 exec, exec, s[30:31]
.LBB397_136:                            ;   in Loop: Header=BB397_10 Depth=1
	s_or_b64 exec, exec, s[28:29]
	v_mul_f32_e32 v0, v59, v0
	v_and_b32_e32 v1, 0x7f800000, v0
	v_cmp_ne_u32_e64 s[8:9], s38, v1
                                        ; implicit-def: $agpr32
	s_and_saveexec_b64 s[28:29], s[8:9]
	s_xor_b64 s[8:9], exec, s[28:29]
; %bb.137:                              ;   in Loop: Header=BB397_10 Depth=1
	v_bfe_u32 v1, v0, 16, 1
	v_add3_u32 v0, v0, v1, s39
	v_accvgpr_write_b32 a32, v0
                                        ; implicit-def: $vgpr0
; %bb.138:                              ;   in Loop: Header=BB397_10 Depth=1
	s_andn2_saveexec_b64 s[28:29], s[8:9]
; %bb.139:                              ;   in Loop: Header=BB397_10 Depth=1
	v_or_b32_e32 v1, 0x10000, v0
	v_cmp_eq_u32_sdwa s[8:9], v0, v47 src0_sel:WORD_0 src1_sel:DWORD
	v_cndmask_b32_e64 v0, v1, v0, s[8:9]
	v_accvgpr_write_b32 a32, v0
; %bb.140:                              ;   in Loop: Header=BB397_10 Depth=1
	s_or_b64 exec, exec, s[28:29]
	v_lshrrev_b16_e32 v30, 8, v28
	v_cmp_ne_u16_e64 s[8:9], 0, v30
	v_mov_b32_e32 v0, 0
	s_and_saveexec_b64 s[28:29], s[8:9]
	s_cbranch_execz .LBB397_146
; %bb.141:                              ;   in Loop: Header=BB397_10 Depth=1
	v_cmp_ne_u16_e64 s[8:9], s21, v30
	v_bfrev_b32_e32 v0, 1
	s_and_saveexec_b64 s[30:31], s[8:9]
	s_cbranch_execz .LBB397_145
; %bb.142:                              ;   in Loop: Header=BB397_10 Depth=1
	v_and_b32_e32 v1, 0x7f, v30
	v_cmp_ne_u32_e64 s[8:9], s37, v1
	v_mov_b32_e32 v0, 0x7f800001
	s_and_saveexec_b64 s[34:35], s[8:9]
	s_cbranch_execz .LBB397_144
; %bb.143:                              ;   in Loop: Header=BB397_10 Depth=1
	v_and_b32_e32 v0, 7, v30
	v_ffbh_u32_e32 v2, v0
	v_min_u32_e32 v5, 32, v2
	v_subrev_u32_e32 v2, 28, v5
	v_lshlrev_b64 v[2:3], v2, v[30:31]
	v_lshrrev_b32_e32 v4, 3, v1
	v_sub_u32_e32 v3, 29, v5
	v_and_b32_e32 v2, 7, v2
	v_cmp_gt_u32_e64 s[8:9], 8, v1
	v_cndmask_b32_e64 v1, v4, v3, s[8:9]
	v_cndmask_b32_e64 v0, v0, v2, s[8:9]
	v_lshlrev_b32_e32 v2, 16, v28
	v_lshlrev_b32_e32 v0, 20, v0
	v_and_b32_e32 v2, 0x80000000, v2
	v_lshl_add_u32 v1, v1, 23, v56
	v_or3_b32 v0, v2, v1, v0
.LBB397_144:                            ;   in Loop: Header=BB397_10 Depth=1
	s_or_b64 exec, exec, s[34:35]
.LBB397_145:                            ;   in Loop: Header=BB397_10 Depth=1
	s_or_b64 exec, exec, s[30:31]
.LBB397_146:                            ;   in Loop: Header=BB397_10 Depth=1
	s_or_b64 exec, exec, s[28:29]
	v_mul_f32_e32 v0, v59, v0
	v_and_b32_e32 v1, 0x7f800000, v0
	v_cmp_ne_u32_e64 s[8:9], s38, v1
                                        ; implicit-def: $agpr33
	s_and_saveexec_b64 s[28:29], s[8:9]
	s_xor_b64 s[8:9], exec, s[28:29]
; %bb.147:                              ;   in Loop: Header=BB397_10 Depth=1
	v_bfe_u32 v1, v0, 16, 1
	v_add3_u32 v0, v0, v1, s39
	v_accvgpr_write_b32 a33, v0
                                        ; implicit-def: $vgpr0
; %bb.148:                              ;   in Loop: Header=BB397_10 Depth=1
	s_andn2_saveexec_b64 s[28:29], s[8:9]
; %bb.149:                              ;   in Loop: Header=BB397_10 Depth=1
	v_or_b32_e32 v1, 0x10000, v0
	v_cmp_eq_u32_sdwa s[8:9], v0, v47 src0_sel:WORD_0 src1_sel:DWORD
	v_cndmask_b32_e64 v0, v1, v0, s[8:9]
	v_accvgpr_write_b32 a33, v0
; %bb.150:                              ;   in Loop: Header=BB397_10 Depth=1
	s_or_b64 exec, exec, s[28:29]
	v_lshrrev_b32_e32 v30, 16, v28
	v_cmp_ne_u16_sdwa s[8:9], v30, v47 src0_sel:BYTE_0 src1_sel:DWORD
	v_mov_b32_e32 v0, 0
	s_and_saveexec_b64 s[28:29], s[8:9]
	s_cbranch_execz .LBB397_156
; %bb.151:                              ;   in Loop: Header=BB397_10 Depth=1
	v_cmp_ne_u16_sdwa s[8:9], v30, s21 src0_sel:BYTE_0 src1_sel:DWORD
	v_bfrev_b32_e32 v0, 1
	s_and_saveexec_b64 s[30:31], s[8:9]
	s_cbranch_execz .LBB397_155
; %bb.152:                              ;   in Loop: Header=BB397_10 Depth=1
	v_bfe_u32 v1, v28, 16, 7
	v_cmp_ne_u32_e64 s[8:9], s37, v1
	v_mov_b32_e32 v0, 0x7f800001
	s_and_saveexec_b64 s[34:35], s[8:9]
	s_cbranch_execz .LBB397_154
; %bb.153:                              ;   in Loop: Header=BB397_10 Depth=1
	v_and_b32_e32 v0, 7, v30
	v_ffbh_u32_e32 v2, v0
	v_min_u32_e32 v5, 32, v2
	v_subrev_u32_e32 v2, 28, v5
	v_lshlrev_b64 v[2:3], v2, v[30:31]
	v_lshrrev_b32_e32 v4, 3, v1
	v_sub_u32_e32 v3, 29, v5
	v_and_b32_e32 v2, 7, v2
	v_cmp_gt_u32_e64 s[8:9], 8, v1
	v_cndmask_b32_e64 v1, v4, v3, s[8:9]
	v_cndmask_b32_e64 v0, v0, v2, s[8:9]
	v_lshlrev_b32_e32 v2, 24, v30
	v_lshlrev_b32_e32 v0, 20, v0
	v_and_b32_e32 v2, 0x80000000, v2
	v_lshl_add_u32 v1, v1, 23, v56
	v_or3_b32 v0, v2, v1, v0
.LBB397_154:                            ;   in Loop: Header=BB397_10 Depth=1
	s_or_b64 exec, exec, s[34:35]
.LBB397_155:                            ;   in Loop: Header=BB397_10 Depth=1
	s_or_b64 exec, exec, s[30:31]
.LBB397_156:                            ;   in Loop: Header=BB397_10 Depth=1
	s_or_b64 exec, exec, s[28:29]
	v_mul_f32_e32 v0, v59, v0
	v_and_b32_e32 v1, 0x7f800000, v0
	v_cmp_ne_u32_e64 s[8:9], s38, v1
                                        ; implicit-def: $agpr34
	s_and_saveexec_b64 s[28:29], s[8:9]
	s_xor_b64 s[8:9], exec, s[28:29]
; %bb.157:                              ;   in Loop: Header=BB397_10 Depth=1
	v_bfe_u32 v1, v0, 16, 1
	v_add3_u32 v0, v0, v1, s39
	v_accvgpr_write_b32 a34, v0
                                        ; implicit-def: $vgpr0
; %bb.158:                              ;   in Loop: Header=BB397_10 Depth=1
	s_andn2_saveexec_b64 s[28:29], s[8:9]
; %bb.159:                              ;   in Loop: Header=BB397_10 Depth=1
	v_or_b32_e32 v1, 0x10000, v0
	v_cmp_eq_u32_sdwa s[8:9], v0, v47 src0_sel:WORD_0 src1_sel:DWORD
	v_cndmask_b32_e64 v0, v1, v0, s[8:9]
	v_accvgpr_write_b32 a34, v0
; %bb.160:                              ;   in Loop: Header=BB397_10 Depth=1
	s_or_b64 exec, exec, s[28:29]
	v_cmp_lt_u32_e64 s[8:9], s40, v28
	v_mov_b32_e32 v0, 0
	s_and_saveexec_b64 s[28:29], s[8:9]
	s_cbranch_execz .LBB397_166
; %bb.161:                              ;   in Loop: Header=BB397_10 Depth=1
	v_lshrrev_b32_e32 v30, 24, v28
	v_cmp_ne_u32_e64 s[8:9], s21, v30
	v_bfrev_b32_e32 v0, 1
	s_and_saveexec_b64 s[30:31], s[8:9]
	s_cbranch_execz .LBB397_165
; %bb.162:                              ;   in Loop: Header=BB397_10 Depth=1
	v_bfe_u32 v1, v28, 24, 7
	v_cmp_ne_u32_e64 s[8:9], s37, v1
	v_mov_b32_e32 v0, 0x7f800001
	s_and_saveexec_b64 s[34:35], s[8:9]
	s_cbranch_execz .LBB397_164
; %bb.163:                              ;   in Loop: Header=BB397_10 Depth=1
	v_and_b32_e32 v0, 7, v30
	v_ffbh_u32_e32 v2, v0
	v_min_u32_e32 v5, 32, v2
	v_subrev_u32_e32 v2, 28, v5
	v_lshlrev_b64 v[2:3], v2, v[30:31]
	v_lshrrev_b32_e32 v4, 3, v1
	v_sub_u32_e32 v3, 29, v5
	v_and_b32_e32 v2, 7, v2
	v_cmp_gt_u32_e64 s[8:9], 8, v1
	v_cndmask_b32_e64 v1, v4, v3, s[8:9]
	v_cndmask_b32_e64 v0, v0, v2, s[8:9]
	v_lshlrev_b32_e32 v2, 24, v30
	v_lshlrev_b32_e32 v0, 20, v0
	v_and_b32_e32 v2, 0x80000000, v2
	v_lshl_add_u32 v1, v1, 23, v56
	v_or3_b32 v0, v2, v1, v0
.LBB397_164:                            ;   in Loop: Header=BB397_10 Depth=1
	s_or_b64 exec, exec, s[34:35]
.LBB397_165:                            ;   in Loop: Header=BB397_10 Depth=1
	s_or_b64 exec, exec, s[30:31]
.LBB397_166:                            ;   in Loop: Header=BB397_10 Depth=1
	s_or_b64 exec, exec, s[28:29]
	v_mul_f32_e32 v0, v59, v0
	v_and_b32_e32 v1, 0x7f800000, v0
	v_cmp_ne_u32_e64 s[8:9], s38, v1
                                        ; implicit-def: $agpr35
	s_and_saveexec_b64 s[28:29], s[8:9]
	s_xor_b64 s[8:9], exec, s[28:29]
; %bb.167:                              ;   in Loop: Header=BB397_10 Depth=1
	v_bfe_u32 v1, v0, 16, 1
	v_add3_u32 v0, v0, v1, s39
	v_accvgpr_write_b32 a35, v0
                                        ; implicit-def: $vgpr0
; %bb.168:                              ;   in Loop: Header=BB397_10 Depth=1
	s_andn2_saveexec_b64 s[28:29], s[8:9]
; %bb.169:                              ;   in Loop: Header=BB397_10 Depth=1
	v_or_b32_e32 v1, 0x10000, v0
	v_cmp_eq_u32_sdwa s[8:9], v0, v47 src0_sel:WORD_0 src1_sel:DWORD
	v_cndmask_b32_e64 v0, v1, v0, s[8:9]
	v_accvgpr_write_b32 a35, v0
; %bb.170:                              ;   in Loop: Header=BB397_10 Depth=1
	s_or_b64 exec, exec, s[28:29]
	flat_load_dword v28, v[20:21] offset:1024
	v_mov_b32_e32 v0, 0
	s_waitcnt vmcnt(0) lgkmcnt(0)
	v_cmp_ne_u16_sdwa s[8:9], v28, v47 src0_sel:BYTE_0 src1_sel:DWORD
	s_and_saveexec_b64 s[28:29], s[8:9]
	s_cbranch_execz .LBB397_176
; %bb.171:                              ;   in Loop: Header=BB397_10 Depth=1
	v_cmp_ne_u16_sdwa s[8:9], v28, s21 src0_sel:BYTE_0 src1_sel:DWORD
	v_bfrev_b32_e32 v0, 1
	s_and_saveexec_b64 s[30:31], s[8:9]
	s_cbranch_execz .LBB397_175
; %bb.172:                              ;   in Loop: Header=BB397_10 Depth=1
	v_and_b32_e32 v2, 0x7f, v28
	v_cmp_ne_u32_e64 s[8:9], s37, v2
	v_mov_b32_e32 v0, 0x7f800001
	s_and_saveexec_b64 s[34:35], s[8:9]
	s_cbranch_execz .LBB397_174
; %bb.173:                              ;   in Loop: Header=BB397_10 Depth=1
	v_and_b32_e32 v0, 7, v28
	v_ffbh_u32_e32 v4, v0
	v_min_u32_e32 v4, 32, v4
	v_subrev_u32_e32 v5, 28, v4
	v_lshlrev_b64 v[8:9], v5, v[28:29]
	v_lshrrev_b32_e32 v3, 3, v2
	v_sub_u32_e32 v4, 29, v4
	v_and_b32_e32 v5, 7, v8
	v_cmp_gt_u32_e64 s[8:9], 8, v2
	v_cndmask_b32_e64 v2, v3, v4, s[8:9]
	v_cndmask_b32_e64 v0, v0, v5, s[8:9]
	v_lshlrev_b32_e32 v3, 24, v28
	v_lshlrev_b32_e32 v0, 20, v0
	v_and_b32_e32 v3, 0x80000000, v3
	v_lshl_add_u32 v2, v2, 23, v56
	v_or3_b32 v0, v3, v2, v0
.LBB397_174:                            ;   in Loop: Header=BB397_10 Depth=1
	s_or_b64 exec, exec, s[34:35]
.LBB397_175:                            ;   in Loop: Header=BB397_10 Depth=1
	s_or_b64 exec, exec, s[30:31]
.LBB397_176:                            ;   in Loop: Header=BB397_10 Depth=1
	s_or_b64 exec, exec, s[28:29]
	v_mul_f32_e32 v2, v59, v0
	v_and_b32_e32 v0, 0x7f800000, v2
	v_cmp_ne_u32_e64 s[8:9], s38, v0
                                        ; implicit-def: $vgpr0
	s_and_saveexec_b64 s[28:29], s[8:9]
	s_xor_b64 s[8:9], exec, s[28:29]
; %bb.177:                              ;   in Loop: Header=BB397_10 Depth=1
	v_bfe_u32 v0, v2, 16, 1
	v_add3_u32 v0, v2, v0, s39
                                        ; implicit-def: $vgpr2
; %bb.178:                              ;   in Loop: Header=BB397_10 Depth=1
	s_andn2_saveexec_b64 s[28:29], s[8:9]
; %bb.179:                              ;   in Loop: Header=BB397_10 Depth=1
	v_or_b32_e32 v0, 0x10000, v2
	v_cmp_eq_u32_sdwa s[8:9], v2, v47 src0_sel:WORD_0 src1_sel:DWORD
	v_cndmask_b32_e64 v0, v0, v2, s[8:9]
; %bb.180:                              ;   in Loop: Header=BB397_10 Depth=1
	s_or_b64 exec, exec, s[28:29]
	v_lshrrev_b16_e32 v30, 8, v28
	v_cmp_ne_u16_e64 s[8:9], 0, v30
	v_mov_b32_e32 v2, 0
	s_and_saveexec_b64 s[28:29], s[8:9]
	s_cbranch_execz .LBB397_186
; %bb.181:                              ;   in Loop: Header=BB397_10 Depth=1
	v_cmp_ne_u16_e64 s[8:9], s21, v30
	v_bfrev_b32_e32 v2, 1
	s_and_saveexec_b64 s[30:31], s[8:9]
	s_cbranch_execz .LBB397_185
; %bb.182:                              ;   in Loop: Header=BB397_10 Depth=1
	v_and_b32_e32 v3, 0x7f, v30
	v_cmp_ne_u32_e64 s[8:9], s37, v3
	v_mov_b32_e32 v2, 0x7f800001
	s_and_saveexec_b64 s[34:35], s[8:9]
	s_cbranch_execz .LBB397_184
; %bb.183:                              ;   in Loop: Header=BB397_10 Depth=1
	v_and_b32_e32 v4, 7, v30
	v_ffbh_u32_e32 v2, v4
	v_min_u32_e32 v8, 32, v2
	v_subrev_u32_e32 v2, 28, v8
	v_lshrrev_b32_e32 v5, 3, v3
	v_cmp_gt_u32_e64 s[8:9], 8, v3
	v_lshlrev_b64 v[2:3], v2, v[30:31]
	v_sub_u32_e32 v3, 29, v8
	v_and_b32_e32 v2, 7, v2
	v_cndmask_b32_e64 v3, v5, v3, s[8:9]
	v_cndmask_b32_e64 v2, v4, v2, s[8:9]
	v_lshlrev_b32_e32 v4, 16, v28
	v_lshlrev_b32_e32 v2, 20, v2
	v_and_b32_e32 v4, 0x80000000, v4
	v_lshl_add_u32 v3, v3, 23, v56
	v_or3_b32 v2, v4, v3, v2
.LBB397_184:                            ;   in Loop: Header=BB397_10 Depth=1
	s_or_b64 exec, exec, s[34:35]
.LBB397_185:                            ;   in Loop: Header=BB397_10 Depth=1
	s_or_b64 exec, exec, s[30:31]
.LBB397_186:                            ;   in Loop: Header=BB397_10 Depth=1
	s_or_b64 exec, exec, s[28:29]
	v_mul_f32_e32 v2, v59, v2
	v_and_b32_e32 v3, 0x7f800000, v2
	v_cmp_ne_u32_e64 s[8:9], s38, v3
                                        ; implicit-def: $vgpr3
	s_and_saveexec_b64 s[28:29], s[8:9]
	s_xor_b64 s[8:9], exec, s[28:29]
; %bb.187:                              ;   in Loop: Header=BB397_10 Depth=1
	v_bfe_u32 v3, v2, 16, 1
	v_add3_u32 v3, v2, v3, s39
                                        ; implicit-def: $vgpr2
; %bb.188:                              ;   in Loop: Header=BB397_10 Depth=1
	s_andn2_saveexec_b64 s[28:29], s[8:9]
; %bb.189:                              ;   in Loop: Header=BB397_10 Depth=1
	v_or_b32_e32 v3, 0x10000, v2
	v_cmp_eq_u32_sdwa s[8:9], v2, v47 src0_sel:WORD_0 src1_sel:DWORD
	v_cndmask_b32_e64 v3, v3, v2, s[8:9]
; %bb.190:                              ;   in Loop: Header=BB397_10 Depth=1
	s_or_b64 exec, exec, s[28:29]
	v_lshrrev_b32_e32 v30, 16, v28
	v_cmp_ne_u16_sdwa s[8:9], v30, v47 src0_sel:BYTE_0 src1_sel:DWORD
	v_mov_b32_e32 v2, 0
	s_and_saveexec_b64 s[28:29], s[8:9]
	s_cbranch_execz .LBB397_196
; %bb.191:                              ;   in Loop: Header=BB397_10 Depth=1
	v_cmp_ne_u16_sdwa s[8:9], v30, s21 src0_sel:BYTE_0 src1_sel:DWORD
	v_bfrev_b32_e32 v2, 1
	s_and_saveexec_b64 s[30:31], s[8:9]
	s_cbranch_execz .LBB397_195
; %bb.192:                              ;   in Loop: Header=BB397_10 Depth=1
	v_bfe_u32 v5, v28, 16, 7
	v_cmp_ne_u32_e64 s[8:9], s37, v5
	v_mov_b32_e32 v2, 0x7f800001
	s_and_saveexec_b64 s[34:35], s[8:9]
	s_cbranch_execz .LBB397_194
; %bb.193:                              ;   in Loop: Header=BB397_10 Depth=1
	v_and_b32_e32 v2, 7, v30
	v_lshrrev_b32_e32 v4, 3, v5
	v_cmp_gt_u32_e64 s[8:9], 8, v5
	v_ffbh_u32_e32 v5, v2
	v_min_u32_e32 v5, 32, v5
	v_subrev_u32_e32 v8, 28, v5
	v_lshlrev_b64 v[8:9], v8, v[30:31]
	v_sub_u32_e32 v5, 29, v5
	v_and_b32_e32 v8, 7, v8
	v_cndmask_b32_e64 v4, v4, v5, s[8:9]
	v_cndmask_b32_e64 v2, v2, v8, s[8:9]
	v_lshlrev_b32_e32 v5, 24, v30
	v_lshlrev_b32_e32 v2, 20, v2
	v_and_b32_e32 v5, 0x80000000, v5
	v_lshl_add_u32 v4, v4, 23, v56
	v_or3_b32 v2, v5, v4, v2
.LBB397_194:                            ;   in Loop: Header=BB397_10 Depth=1
	s_or_b64 exec, exec, s[34:35]
.LBB397_195:                            ;   in Loop: Header=BB397_10 Depth=1
	s_or_b64 exec, exec, s[30:31]
.LBB397_196:                            ;   in Loop: Header=BB397_10 Depth=1
	s_or_b64 exec, exec, s[28:29]
	v_mul_f32_e32 v5, v59, v2
	v_and_b32_e32 v2, 0x7f800000, v5
	v_cmp_ne_u32_e64 s[8:9], s38, v2
                                        ; implicit-def: $vgpr2
	s_and_saveexec_b64 s[28:29], s[8:9]
	s_xor_b64 s[8:9], exec, s[28:29]
; %bb.197:                              ;   in Loop: Header=BB397_10 Depth=1
	v_bfe_u32 v2, v5, 16, 1
	v_add3_u32 v2, v5, v2, s39
                                        ; implicit-def: $vgpr5
; %bb.198:                              ;   in Loop: Header=BB397_10 Depth=1
	s_andn2_saveexec_b64 s[28:29], s[8:9]
; %bb.199:                              ;   in Loop: Header=BB397_10 Depth=1
	v_or_b32_e32 v2, 0x10000, v5
	v_cmp_eq_u32_sdwa s[8:9], v5, v47 src0_sel:WORD_0 src1_sel:DWORD
	v_cndmask_b32_e64 v2, v2, v5, s[8:9]
; %bb.200:                              ;   in Loop: Header=BB397_10 Depth=1
	s_or_b64 exec, exec, s[28:29]
	v_cmp_lt_u32_e64 s[8:9], s40, v28
	v_mov_b32_e32 v8, 0
	s_and_saveexec_b64 s[28:29], s[8:9]
	s_cbranch_execz .LBB397_206
; %bb.201:                              ;   in Loop: Header=BB397_10 Depth=1
	v_lshrrev_b32_e32 v30, 24, v28
	v_cmp_ne_u32_e64 s[8:9], s21, v30
	v_bfrev_b32_e32 v8, 1
	s_and_saveexec_b64 s[30:31], s[8:9]
	s_cbranch_execz .LBB397_205
; %bb.202:                              ;   in Loop: Header=BB397_10 Depth=1
	v_bfe_u32 v5, v28, 24, 7
	v_cmp_ne_u32_e64 s[8:9], s37, v5
	v_mov_b32_e32 v8, 0x7f800001
	s_and_saveexec_b64 s[34:35], s[8:9]
	s_cbranch_execz .LBB397_204
; %bb.203:                              ;   in Loop: Header=BB397_10 Depth=1
	v_and_b32_e32 v4, 7, v30
	v_lshrrev_b32_e32 v12, 3, v5
	v_cmp_gt_u32_e64 s[8:9], 8, v5
	v_ffbh_u32_e32 v5, v4
	v_min_u32_e32 v5, 32, v5
	v_subrev_u32_e32 v8, 28, v5
	v_lshlrev_b64 v[8:9], v8, v[30:31]
	v_sub_u32_e32 v5, 29, v5
	v_and_b32_e32 v8, 7, v8
	v_cndmask_b32_e64 v5, v12, v5, s[8:9]
	v_cndmask_b32_e64 v4, v4, v8, s[8:9]
	v_lshlrev_b32_e32 v8, 24, v30
	v_lshlrev_b32_e32 v4, 20, v4
	v_and_b32_e32 v8, 0x80000000, v8
	v_lshl_add_u32 v5, v5, 23, v56
	v_or3_b32 v8, v8, v5, v4
.LBB397_204:                            ;   in Loop: Header=BB397_10 Depth=1
	s_or_b64 exec, exec, s[34:35]
.LBB397_205:                            ;   in Loop: Header=BB397_10 Depth=1
	s_or_b64 exec, exec, s[30:31]
.LBB397_206:                            ;   in Loop: Header=BB397_10 Depth=1
	s_or_b64 exec, exec, s[28:29]
	v_mul_f32_e32 v5, v59, v8
	v_and_b32_e32 v4, 0x7f800000, v5
	v_cmp_ne_u32_e64 s[8:9], s38, v4
                                        ; implicit-def: $vgpr29
	s_and_saveexec_b64 s[28:29], s[8:9]
	s_xor_b64 s[8:9], exec, s[28:29]
; %bb.207:                              ;   in Loop: Header=BB397_10 Depth=1
	v_bfe_u32 v4, v5, 16, 1
	v_add3_u32 v29, v5, v4, s39
                                        ; implicit-def: $vgpr5
; %bb.208:                              ;   in Loop: Header=BB397_10 Depth=1
	s_andn2_saveexec_b64 s[28:29], s[8:9]
; %bb.209:                              ;   in Loop: Header=BB397_10 Depth=1
	v_or_b32_e32 v4, 0x10000, v5
	v_cmp_eq_u32_sdwa s[8:9], v5, v47 src0_sel:WORD_0 src1_sel:DWORD
	v_cndmask_b32_e64 v29, v4, v5, s[8:9]
; %bb.210:                              ;   in Loop: Header=BB397_10 Depth=1
	s_or_b64 exec, exec, s[28:29]
	flat_load_dword v28, v[20:21] offset:1032
	v_mov_b32_e32 v8, 0
	s_waitcnt vmcnt(0) lgkmcnt(0)
	v_cmp_ne_u16_sdwa s[8:9], v28, v47 src0_sel:BYTE_0 src1_sel:DWORD
	s_and_saveexec_b64 s[28:29], s[8:9]
	s_cbranch_execz .LBB397_216
; %bb.211:                              ;   in Loop: Header=BB397_10 Depth=1
	v_cmp_ne_u16_sdwa s[8:9], v28, s21 src0_sel:BYTE_0 src1_sel:DWORD
	v_bfrev_b32_e32 v8, 1
	s_and_saveexec_b64 s[30:31], s[8:9]
	s_cbranch_execz .LBB397_215
; %bb.212:                              ;   in Loop: Header=BB397_10 Depth=1
	v_and_b32_e32 v5, 0x7f, v28
	v_cmp_ne_u32_e64 s[8:9], s37, v5
	v_mov_b32_e32 v8, 0x7f800001
	s_and_saveexec_b64 s[34:35], s[8:9]
	s_cbranch_execz .LBB397_214
; %bb.213:                              ;   in Loop: Header=BB397_10 Depth=1
	v_and_b32_e32 v4, 7, v28
	v_lshrrev_b32_e32 v12, 3, v5
	v_cmp_gt_u32_e64 s[8:9], 8, v5
	v_ffbh_u32_e32 v5, v4
	v_min_u32_e32 v5, 32, v5
	v_subrev_u32_e32 v8, 28, v5
	v_lshlrev_b64 v[8:9], v8, v[28:29]
	v_sub_u32_e32 v5, 29, v5
	v_and_b32_e32 v8, 7, v8
	v_cndmask_b32_e64 v5, v12, v5, s[8:9]
	v_cndmask_b32_e64 v4, v4, v8, s[8:9]
	v_lshlrev_b32_e32 v8, 24, v28
	v_lshlrev_b32_e32 v4, 20, v4
	v_and_b32_e32 v8, 0x80000000, v8
	v_lshl_add_u32 v5, v5, 23, v56
	v_or3_b32 v8, v8, v5, v4
.LBB397_214:                            ;   in Loop: Header=BB397_10 Depth=1
	s_or_b64 exec, exec, s[34:35]
.LBB397_215:                            ;   in Loop: Header=BB397_10 Depth=1
	s_or_b64 exec, exec, s[30:31]
.LBB397_216:                            ;   in Loop: Header=BB397_10 Depth=1
	s_or_b64 exec, exec, s[28:29]
	v_mul_f32_e32 v5, v59, v8
	v_and_b32_e32 v4, 0x7f800000, v5
	v_cmp_ne_u32_e64 s[8:9], s38, v4
                                        ; implicit-def: $vgpr22
	s_and_saveexec_b64 s[28:29], s[8:9]
	s_xor_b64 s[8:9], exec, s[28:29]
; %bb.217:                              ;   in Loop: Header=BB397_10 Depth=1
	v_bfe_u32 v4, v5, 16, 1
	v_add3_u32 v22, v5, v4, s39
                                        ; implicit-def: $vgpr5
; %bb.218:                              ;   in Loop: Header=BB397_10 Depth=1
	s_andn2_saveexec_b64 s[28:29], s[8:9]
; %bb.219:                              ;   in Loop: Header=BB397_10 Depth=1
	v_or_b32_e32 v4, 0x10000, v5
	v_cmp_eq_u32_sdwa s[8:9], v5, v47 src0_sel:WORD_0 src1_sel:DWORD
	v_cndmask_b32_e64 v22, v4, v5, s[8:9]
; %bb.220:                              ;   in Loop: Header=BB397_10 Depth=1
	s_or_b64 exec, exec, s[28:29]
	v_lshrrev_b16_e32 v30, 8, v28
	v_cmp_ne_u16_e64 s[8:9], 0, v30
	v_mov_b32_e32 v8, 0
	s_and_saveexec_b64 s[28:29], s[8:9]
	s_cbranch_execz .LBB397_226
; %bb.221:                              ;   in Loop: Header=BB397_10 Depth=1
	v_cmp_ne_u16_e64 s[8:9], s21, v30
	v_bfrev_b32_e32 v8, 1
	s_and_saveexec_b64 s[30:31], s[8:9]
	s_cbranch_execz .LBB397_225
; %bb.222:                              ;   in Loop: Header=BB397_10 Depth=1
	v_and_b32_e32 v5, 0x7f, v30
	v_cmp_ne_u32_e64 s[8:9], s37, v5
	v_mov_b32_e32 v8, 0x7f800001
	s_and_saveexec_b64 s[34:35], s[8:9]
	s_cbranch_execz .LBB397_224
; %bb.223:                              ;   in Loop: Header=BB397_10 Depth=1
	v_and_b32_e32 v4, 7, v30
	v_lshrrev_b32_e32 v12, 3, v5
	v_cmp_gt_u32_e64 s[8:9], 8, v5
	v_ffbh_u32_e32 v5, v4
	v_min_u32_e32 v5, 32, v5
	v_subrev_u32_e32 v8, 28, v5
	v_lshlrev_b64 v[8:9], v8, v[30:31]
	v_sub_u32_e32 v5, 29, v5
	v_and_b32_e32 v8, 7, v8
	v_cndmask_b32_e64 v5, v12, v5, s[8:9]
	v_cndmask_b32_e64 v4, v4, v8, s[8:9]
	v_lshlrev_b32_e32 v8, 16, v28
	v_lshlrev_b32_e32 v4, 20, v4
	v_and_b32_e32 v8, 0x80000000, v8
	v_lshl_add_u32 v5, v5, 23, v56
	v_or3_b32 v8, v8, v5, v4
.LBB397_224:                            ;   in Loop: Header=BB397_10 Depth=1
	s_or_b64 exec, exec, s[34:35]
.LBB397_225:                            ;   in Loop: Header=BB397_10 Depth=1
	s_or_b64 exec, exec, s[30:31]
.LBB397_226:                            ;   in Loop: Header=BB397_10 Depth=1
	s_or_b64 exec, exec, s[28:29]
	v_mul_f32_e32 v5, v59, v8
	v_and_b32_e32 v4, 0x7f800000, v5
	v_cmp_ne_u32_e64 s[8:9], s38, v4
                                        ; implicit-def: $vgpr31
	s_and_saveexec_b64 s[28:29], s[8:9]
	s_xor_b64 s[8:9], exec, s[28:29]
; %bb.227:                              ;   in Loop: Header=BB397_10 Depth=1
	v_bfe_u32 v4, v5, 16, 1
	v_add3_u32 v31, v5, v4, s39
                                        ; implicit-def: $vgpr5
; %bb.228:                              ;   in Loop: Header=BB397_10 Depth=1
	s_andn2_saveexec_b64 s[28:29], s[8:9]
; %bb.229:                              ;   in Loop: Header=BB397_10 Depth=1
	v_or_b32_e32 v4, 0x10000, v5
	v_cmp_eq_u32_sdwa s[8:9], v5, v47 src0_sel:WORD_0 src1_sel:DWORD
	v_cndmask_b32_e64 v31, v4, v5, s[8:9]
; %bb.230:                              ;   in Loop: Header=BB397_10 Depth=1
	s_or_b64 exec, exec, s[28:29]
	v_lshrrev_b32_e32 v30, 16, v28
	v_cmp_ne_u16_sdwa s[8:9], v30, v47 src0_sel:BYTE_0 src1_sel:DWORD
	v_mov_b32_e32 v8, 0
	s_and_saveexec_b64 s[28:29], s[8:9]
	s_cbranch_execz .LBB397_236
; %bb.231:                              ;   in Loop: Header=BB397_10 Depth=1
	v_cmp_ne_u16_sdwa s[8:9], v30, s21 src0_sel:BYTE_0 src1_sel:DWORD
	v_bfrev_b32_e32 v8, 1
	s_and_saveexec_b64 s[30:31], s[8:9]
	s_cbranch_execz .LBB397_235
; %bb.232:                              ;   in Loop: Header=BB397_10 Depth=1
	v_bfe_u32 v5, v28, 16, 7
	v_cmp_ne_u32_e64 s[8:9], s37, v5
	v_mov_b32_e32 v8, 0x7f800001
	s_and_saveexec_b64 s[34:35], s[8:9]
	s_cbranch_execz .LBB397_234
; %bb.233:                              ;   in Loop: Header=BB397_10 Depth=1
	v_and_b32_e32 v4, 7, v30
	v_lshrrev_b32_e32 v12, 3, v5
	v_cmp_gt_u32_e64 s[8:9], 8, v5
	v_ffbh_u32_e32 v5, v4
	v_min_u32_e32 v5, 32, v5
	v_subrev_u32_e32 v8, 28, v5
	v_lshlrev_b64 v[8:9], v8, v[30:31]
	v_sub_u32_e32 v5, 29, v5
	v_and_b32_e32 v8, 7, v8
	v_cndmask_b32_e64 v5, v12, v5, s[8:9]
	v_cndmask_b32_e64 v4, v4, v8, s[8:9]
	v_lshlrev_b32_e32 v8, 24, v30
	v_lshlrev_b32_e32 v4, 20, v4
	v_and_b32_e32 v8, 0x80000000, v8
	v_lshl_add_u32 v5, v5, 23, v56
	v_or3_b32 v8, v8, v5, v4
.LBB397_234:                            ;   in Loop: Header=BB397_10 Depth=1
	s_or_b64 exec, exec, s[34:35]
.LBB397_235:                            ;   in Loop: Header=BB397_10 Depth=1
	s_or_b64 exec, exec, s[30:31]
.LBB397_236:                            ;   in Loop: Header=BB397_10 Depth=1
	s_or_b64 exec, exec, s[28:29]
	v_mul_f32_e32 v5, v59, v8
	v_and_b32_e32 v4, 0x7f800000, v5
	v_cmp_ne_u32_e64 s[8:9], s38, v4
                                        ; implicit-def: $vgpr26
	s_and_saveexec_b64 s[28:29], s[8:9]
	s_xor_b64 s[8:9], exec, s[28:29]
; %bb.237:                              ;   in Loop: Header=BB397_10 Depth=1
	v_bfe_u32 v4, v5, 16, 1
	v_add3_u32 v26, v5, v4, s39
                                        ; implicit-def: $vgpr5
; %bb.238:                              ;   in Loop: Header=BB397_10 Depth=1
	s_andn2_saveexec_b64 s[28:29], s[8:9]
; %bb.239:                              ;   in Loop: Header=BB397_10 Depth=1
	v_or_b32_e32 v4, 0x10000, v5
	v_cmp_eq_u32_sdwa s[8:9], v5, v47 src0_sel:WORD_0 src1_sel:DWORD
	v_cndmask_b32_e64 v26, v4, v5, s[8:9]
; %bb.240:                              ;   in Loop: Header=BB397_10 Depth=1
	s_or_b64 exec, exec, s[28:29]
	v_cmp_lt_u32_e64 s[8:9], s40, v28
	v_mov_b32_e32 v8, 0
	s_and_saveexec_b64 s[28:29], s[8:9]
	s_cbranch_execz .LBB397_246
; %bb.241:                              ;   in Loop: Header=BB397_10 Depth=1
	v_lshrrev_b32_e32 v30, 24, v28
	v_cmp_ne_u32_e64 s[8:9], s21, v30
	v_bfrev_b32_e32 v8, 1
	s_and_saveexec_b64 s[30:31], s[8:9]
	s_cbranch_execz .LBB397_245
; %bb.242:                              ;   in Loop: Header=BB397_10 Depth=1
	v_bfe_u32 v5, v28, 24, 7
	v_cmp_ne_u32_e64 s[8:9], s37, v5
	v_mov_b32_e32 v8, 0x7f800001
	s_and_saveexec_b64 s[34:35], s[8:9]
	s_cbranch_execz .LBB397_244
; %bb.243:                              ;   in Loop: Header=BB397_10 Depth=1
	v_and_b32_e32 v4, 7, v30
	v_lshrrev_b32_e32 v12, 3, v5
	v_cmp_gt_u32_e64 s[8:9], 8, v5
	v_ffbh_u32_e32 v5, v4
	v_min_u32_e32 v5, 32, v5
	v_subrev_u32_e32 v8, 28, v5
	v_lshlrev_b64 v[8:9], v8, v[30:31]
	v_sub_u32_e32 v5, 29, v5
	v_and_b32_e32 v8, 7, v8
	v_cndmask_b32_e64 v5, v12, v5, s[8:9]
	v_cndmask_b32_e64 v4, v4, v8, s[8:9]
	v_lshlrev_b32_e32 v8, 24, v30
	v_lshlrev_b32_e32 v4, 20, v4
	v_and_b32_e32 v8, 0x80000000, v8
	v_lshl_add_u32 v5, v5, 23, v56
	v_or3_b32 v8, v8, v5, v4
.LBB397_244:                            ;   in Loop: Header=BB397_10 Depth=1
	s_or_b64 exec, exec, s[34:35]
.LBB397_245:                            ;   in Loop: Header=BB397_10 Depth=1
	s_or_b64 exec, exec, s[30:31]
.LBB397_246:                            ;   in Loop: Header=BB397_10 Depth=1
	s_or_b64 exec, exec, s[28:29]
	v_mul_f32_e32 v5, v59, v8
	v_and_b32_e32 v4, 0x7f800000, v5
	v_cmp_ne_u32_e64 s[8:9], s38, v4
                                        ; implicit-def: $vgpr27
	s_and_saveexec_b64 s[28:29], s[8:9]
	s_xor_b64 s[8:9], exec, s[28:29]
; %bb.247:                              ;   in Loop: Header=BB397_10 Depth=1
	v_bfe_u32 v4, v5, 16, 1
	v_add3_u32 v27, v5, v4, s39
                                        ; implicit-def: $vgpr5
; %bb.248:                              ;   in Loop: Header=BB397_10 Depth=1
	s_andn2_saveexec_b64 s[28:29], s[8:9]
; %bb.249:                              ;   in Loop: Header=BB397_10 Depth=1
	v_or_b32_e32 v4, 0x10000, v5
	v_cmp_eq_u32_sdwa s[8:9], v5, v47 src0_sel:WORD_0 src1_sel:DWORD
	v_cndmask_b32_e64 v27, v4, v5, s[8:9]
; %bb.250:                              ;   in Loop: Header=BB397_10 Depth=1
	s_or_b64 exec, exec, s[28:29]
	flat_load_dword v28, v[20:21] offset:1536
	v_mov_b32_e32 v8, 0
	s_waitcnt vmcnt(0) lgkmcnt(0)
	v_cmp_ne_u16_sdwa s[8:9], v28, v47 src0_sel:BYTE_0 src1_sel:DWORD
	s_and_saveexec_b64 s[28:29], s[8:9]
	s_cbranch_execz .LBB397_256
; %bb.251:                              ;   in Loop: Header=BB397_10 Depth=1
	v_cmp_ne_u16_sdwa s[8:9], v28, s21 src0_sel:BYTE_0 src1_sel:DWORD
	v_bfrev_b32_e32 v8, 1
	s_and_saveexec_b64 s[30:31], s[8:9]
	s_cbranch_execz .LBB397_255
; %bb.252:                              ;   in Loop: Header=BB397_10 Depth=1
	v_and_b32_e32 v5, 0x7f, v28
	v_cmp_ne_u32_e64 s[8:9], s37, v5
	v_mov_b32_e32 v8, 0x7f800001
	s_and_saveexec_b64 s[34:35], s[8:9]
	s_cbranch_execz .LBB397_254
; %bb.253:                              ;   in Loop: Header=BB397_10 Depth=1
	v_and_b32_e32 v4, 7, v28
	v_lshrrev_b32_e32 v12, 3, v5
	v_cmp_gt_u32_e64 s[8:9], 8, v5
	v_ffbh_u32_e32 v5, v4
	v_min_u32_e32 v5, 32, v5
	v_subrev_u32_e32 v8, 28, v5
	v_lshlrev_b64 v[8:9], v8, v[28:29]
	v_sub_u32_e32 v5, 29, v5
	v_and_b32_e32 v8, 7, v8
	v_cndmask_b32_e64 v5, v12, v5, s[8:9]
	v_cndmask_b32_e64 v4, v4, v8, s[8:9]
	v_lshlrev_b32_e32 v8, 24, v28
	v_lshlrev_b32_e32 v4, 20, v4
	v_and_b32_e32 v8, 0x80000000, v8
	v_lshl_add_u32 v5, v5, 23, v56
	v_or3_b32 v8, v8, v5, v4
.LBB397_254:                            ;   in Loop: Header=BB397_10 Depth=1
	s_or_b64 exec, exec, s[34:35]
.LBB397_255:                            ;   in Loop: Header=BB397_10 Depth=1
	s_or_b64 exec, exec, s[30:31]
.LBB397_256:                            ;   in Loop: Header=BB397_10 Depth=1
	s_or_b64 exec, exec, s[28:29]
	v_mul_f32_e32 v5, v59, v8
	v_and_b32_e32 v4, 0x7f800000, v5
	v_cmp_ne_u32_e64 s[8:9], s38, v4
                                        ; implicit-def: $vgpr48
	s_and_saveexec_b64 s[28:29], s[8:9]
	s_xor_b64 s[8:9], exec, s[28:29]
; %bb.257:                              ;   in Loop: Header=BB397_10 Depth=1
	v_bfe_u32 v4, v5, 16, 1
	v_add3_u32 v48, v5, v4, s39
                                        ; implicit-def: $vgpr5
; %bb.258:                              ;   in Loop: Header=BB397_10 Depth=1
	s_andn2_saveexec_b64 s[28:29], s[8:9]
; %bb.259:                              ;   in Loop: Header=BB397_10 Depth=1
	v_or_b32_e32 v4, 0x10000, v5
	v_cmp_eq_u32_sdwa s[8:9], v5, v47 src0_sel:WORD_0 src1_sel:DWORD
	v_cndmask_b32_e64 v48, v4, v5, s[8:9]
; %bb.260:                              ;   in Loop: Header=BB397_10 Depth=1
	s_or_b64 exec, exec, s[28:29]
	v_lshrrev_b16_e32 v30, 8, v28
	v_cmp_ne_u16_e64 s[8:9], 0, v30
	v_mov_b32_e32 v8, 0
	s_and_saveexec_b64 s[28:29], s[8:9]
	s_cbranch_execz .LBB397_266
; %bb.261:                              ;   in Loop: Header=BB397_10 Depth=1
	v_cmp_ne_u16_e64 s[8:9], s21, v30
	v_bfrev_b32_e32 v8, 1
	s_and_saveexec_b64 s[30:31], s[8:9]
	s_cbranch_execz .LBB397_265
; %bb.262:                              ;   in Loop: Header=BB397_10 Depth=1
	v_and_b32_e32 v5, 0x7f, v30
	v_cmp_ne_u32_e64 s[8:9], s37, v5
	v_mov_b32_e32 v8, 0x7f800001
	s_and_saveexec_b64 s[34:35], s[8:9]
	s_cbranch_execz .LBB397_264
; %bb.263:                              ;   in Loop: Header=BB397_10 Depth=1
	v_and_b32_e32 v4, 7, v30
	v_lshrrev_b32_e32 v12, 3, v5
	v_cmp_gt_u32_e64 s[8:9], 8, v5
	v_ffbh_u32_e32 v5, v4
	v_min_u32_e32 v5, 32, v5
	v_subrev_u32_e32 v8, 28, v5
	v_lshlrev_b64 v[8:9], v8, v[30:31]
	v_sub_u32_e32 v5, 29, v5
	v_and_b32_e32 v8, 7, v8
	v_cndmask_b32_e64 v5, v12, v5, s[8:9]
	v_cndmask_b32_e64 v4, v4, v8, s[8:9]
	v_lshlrev_b32_e32 v8, 16, v28
	v_lshlrev_b32_e32 v4, 20, v4
	v_and_b32_e32 v8, 0x80000000, v8
	v_lshl_add_u32 v5, v5, 23, v56
	v_or3_b32 v8, v8, v5, v4
.LBB397_264:                            ;   in Loop: Header=BB397_10 Depth=1
	s_or_b64 exec, exec, s[34:35]
.LBB397_265:                            ;   in Loop: Header=BB397_10 Depth=1
	s_or_b64 exec, exec, s[30:31]
.LBB397_266:                            ;   in Loop: Header=BB397_10 Depth=1
	s_or_b64 exec, exec, s[28:29]
	v_mul_f32_e32 v5, v59, v8
	v_and_b32_e32 v4, 0x7f800000, v5
	v_cmp_ne_u32_e64 s[8:9], s38, v4
                                        ; implicit-def: $vgpr15
	s_and_saveexec_b64 s[28:29], s[8:9]
	s_xor_b64 s[8:9], exec, s[28:29]
; %bb.267:                              ;   in Loop: Header=BB397_10 Depth=1
	v_bfe_u32 v4, v5, 16, 1
	v_add3_u32 v15, v5, v4, s39
                                        ; implicit-def: $vgpr5
; %bb.268:                              ;   in Loop: Header=BB397_10 Depth=1
	s_andn2_saveexec_b64 s[28:29], s[8:9]
; %bb.269:                              ;   in Loop: Header=BB397_10 Depth=1
	v_or_b32_e32 v4, 0x10000, v5
	v_cmp_eq_u32_sdwa s[8:9], v5, v47 src0_sel:WORD_0 src1_sel:DWORD
	v_cndmask_b32_e64 v15, v4, v5, s[8:9]
; %bb.270:                              ;   in Loop: Header=BB397_10 Depth=1
	s_or_b64 exec, exec, s[28:29]
	v_lshrrev_b32_e32 v30, 16, v28
	v_cmp_ne_u16_sdwa s[8:9], v30, v47 src0_sel:BYTE_0 src1_sel:DWORD
	v_mov_b32_e32 v8, 0
	s_and_saveexec_b64 s[28:29], s[8:9]
	s_cbranch_execz .LBB397_276
; %bb.271:                              ;   in Loop: Header=BB397_10 Depth=1
	v_cmp_ne_u16_sdwa s[8:9], v30, s21 src0_sel:BYTE_0 src1_sel:DWORD
	v_bfrev_b32_e32 v8, 1
	s_and_saveexec_b64 s[30:31], s[8:9]
	s_cbranch_execz .LBB397_275
; %bb.272:                              ;   in Loop: Header=BB397_10 Depth=1
	v_bfe_u32 v5, v28, 16, 7
	v_cmp_ne_u32_e64 s[8:9], s37, v5
	v_mov_b32_e32 v8, 0x7f800001
	s_and_saveexec_b64 s[34:35], s[8:9]
	s_cbranch_execz .LBB397_274
; %bb.273:                              ;   in Loop: Header=BB397_10 Depth=1
	v_and_b32_e32 v4, 7, v30
	v_lshrrev_b32_e32 v12, 3, v5
	v_cmp_gt_u32_e64 s[8:9], 8, v5
	v_ffbh_u32_e32 v5, v4
	v_min_u32_e32 v5, 32, v5
	v_subrev_u32_e32 v8, 28, v5
	v_lshlrev_b64 v[8:9], v8, v[30:31]
	v_sub_u32_e32 v5, 29, v5
	v_and_b32_e32 v8, 7, v8
	v_cndmask_b32_e64 v5, v12, v5, s[8:9]
	v_cndmask_b32_e64 v4, v4, v8, s[8:9]
	v_lshlrev_b32_e32 v8, 24, v30
	v_lshlrev_b32_e32 v4, 20, v4
	v_and_b32_e32 v8, 0x80000000, v8
	v_lshl_add_u32 v5, v5, 23, v56
	v_or3_b32 v8, v8, v5, v4
.LBB397_274:                            ;   in Loop: Header=BB397_10 Depth=1
	s_or_b64 exec, exec, s[34:35]
.LBB397_275:                            ;   in Loop: Header=BB397_10 Depth=1
	s_or_b64 exec, exec, s[30:31]
.LBB397_276:                            ;   in Loop: Header=BB397_10 Depth=1
	s_or_b64 exec, exec, s[28:29]
	v_mul_f32_e32 v5, v59, v8
	v_and_b32_e32 v4, 0x7f800000, v5
	v_cmp_ne_u32_e64 s[8:9], s38, v4
                                        ; implicit-def: $vgpr14
	s_and_saveexec_b64 s[28:29], s[8:9]
	s_xor_b64 s[8:9], exec, s[28:29]
; %bb.277:                              ;   in Loop: Header=BB397_10 Depth=1
	v_bfe_u32 v4, v5, 16, 1
	v_add3_u32 v14, v5, v4, s39
                                        ; implicit-def: $vgpr5
; %bb.278:                              ;   in Loop: Header=BB397_10 Depth=1
	s_andn2_saveexec_b64 s[28:29], s[8:9]
; %bb.279:                              ;   in Loop: Header=BB397_10 Depth=1
	v_or_b32_e32 v4, 0x10000, v5
	v_cmp_eq_u32_sdwa s[8:9], v5, v47 src0_sel:WORD_0 src1_sel:DWORD
	v_cndmask_b32_e64 v14, v4, v5, s[8:9]
; %bb.280:                              ;   in Loop: Header=BB397_10 Depth=1
	s_or_b64 exec, exec, s[28:29]
	v_cmp_lt_u32_e64 s[8:9], s40, v28
	v_mov_b32_e32 v8, 0
	s_and_saveexec_b64 s[28:29], s[8:9]
	s_cbranch_execz .LBB397_286
; %bb.281:                              ;   in Loop: Header=BB397_10 Depth=1
	v_lshrrev_b32_e32 v30, 24, v28
	v_cmp_ne_u32_e64 s[8:9], s21, v30
	v_bfrev_b32_e32 v8, 1
	s_and_saveexec_b64 s[30:31], s[8:9]
	s_cbranch_execz .LBB397_285
; %bb.282:                              ;   in Loop: Header=BB397_10 Depth=1
	v_bfe_u32 v5, v28, 24, 7
	v_cmp_ne_u32_e64 s[8:9], s37, v5
	v_mov_b32_e32 v8, 0x7f800001
	s_and_saveexec_b64 s[34:35], s[8:9]
	s_cbranch_execz .LBB397_284
; %bb.283:                              ;   in Loop: Header=BB397_10 Depth=1
	v_and_b32_e32 v4, 7, v30
	v_lshrrev_b32_e32 v12, 3, v5
	v_cmp_gt_u32_e64 s[8:9], 8, v5
	v_ffbh_u32_e32 v5, v4
	v_min_u32_e32 v5, 32, v5
	v_subrev_u32_e32 v8, 28, v5
	v_lshlrev_b64 v[8:9], v8, v[30:31]
	v_sub_u32_e32 v5, 29, v5
	v_and_b32_e32 v8, 7, v8
	v_cndmask_b32_e64 v5, v12, v5, s[8:9]
	v_cndmask_b32_e64 v4, v4, v8, s[8:9]
	v_lshlrev_b32_e32 v8, 24, v30
	v_lshlrev_b32_e32 v4, 20, v4
	v_and_b32_e32 v8, 0x80000000, v8
	v_lshl_add_u32 v5, v5, 23, v56
	v_or3_b32 v8, v8, v5, v4
.LBB397_284:                            ;   in Loop: Header=BB397_10 Depth=1
	s_or_b64 exec, exec, s[34:35]
.LBB397_285:                            ;   in Loop: Header=BB397_10 Depth=1
	s_or_b64 exec, exec, s[30:31]
.LBB397_286:                            ;   in Loop: Header=BB397_10 Depth=1
	s_or_b64 exec, exec, s[28:29]
	v_mul_f32_e32 v5, v59, v8
	v_and_b32_e32 v4, 0x7f800000, v5
	v_cmp_ne_u32_e64 s[8:9], s38, v4
                                        ; implicit-def: $vgpr23
	s_and_saveexec_b64 s[28:29], s[8:9]
	s_xor_b64 s[8:9], exec, s[28:29]
; %bb.287:                              ;   in Loop: Header=BB397_10 Depth=1
	v_bfe_u32 v4, v5, 16, 1
	v_add3_u32 v23, v5, v4, s39
                                        ; implicit-def: $vgpr5
; %bb.288:                              ;   in Loop: Header=BB397_10 Depth=1
	s_andn2_saveexec_b64 s[28:29], s[8:9]
; %bb.289:                              ;   in Loop: Header=BB397_10 Depth=1
	v_or_b32_e32 v4, 0x10000, v5
	v_cmp_eq_u32_sdwa s[8:9], v5, v47 src0_sel:WORD_0 src1_sel:DWORD
	v_cndmask_b32_e64 v23, v4, v5, s[8:9]
; %bb.290:                              ;   in Loop: Header=BB397_10 Depth=1
	s_or_b64 exec, exec, s[28:29]
	flat_load_dword v28, v[20:21] offset:1544
	v_mov_b32_e32 v8, 0
	s_waitcnt vmcnt(0) lgkmcnt(0)
	v_cmp_ne_u16_sdwa s[8:9], v28, v47 src0_sel:BYTE_0 src1_sel:DWORD
	s_and_saveexec_b64 s[28:29], s[8:9]
	s_cbranch_execz .LBB397_296
; %bb.291:                              ;   in Loop: Header=BB397_10 Depth=1
	v_cmp_ne_u16_sdwa s[8:9], v28, s21 src0_sel:BYTE_0 src1_sel:DWORD
	v_bfrev_b32_e32 v8, 1
	s_and_saveexec_b64 s[30:31], s[8:9]
	s_cbranch_execz .LBB397_295
; %bb.292:                              ;   in Loop: Header=BB397_10 Depth=1
	v_and_b32_e32 v5, 0x7f, v28
	v_cmp_ne_u32_e64 s[8:9], s37, v5
	v_mov_b32_e32 v8, 0x7f800001
	s_and_saveexec_b64 s[34:35], s[8:9]
	s_cbranch_execz .LBB397_294
; %bb.293:                              ;   in Loop: Header=BB397_10 Depth=1
	v_and_b32_e32 v4, 7, v28
	v_lshrrev_b32_e32 v12, 3, v5
	v_cmp_gt_u32_e64 s[8:9], 8, v5
	v_ffbh_u32_e32 v5, v4
	v_min_u32_e32 v5, 32, v5
	v_subrev_u32_e32 v8, 28, v5
	v_lshlrev_b64 v[8:9], v8, v[28:29]
	v_sub_u32_e32 v5, 29, v5
	v_and_b32_e32 v8, 7, v8
	v_cndmask_b32_e64 v5, v12, v5, s[8:9]
	v_cndmask_b32_e64 v4, v4, v8, s[8:9]
	v_lshlrev_b32_e32 v8, 24, v28
	v_lshlrev_b32_e32 v4, 20, v4
	v_and_b32_e32 v8, 0x80000000, v8
	v_lshl_add_u32 v5, v5, 23, v56
	v_or3_b32 v8, v8, v5, v4
.LBB397_294:                            ;   in Loop: Header=BB397_10 Depth=1
	s_or_b64 exec, exec, s[34:35]
.LBB397_295:                            ;   in Loop: Header=BB397_10 Depth=1
	s_or_b64 exec, exec, s[30:31]
.LBB397_296:                            ;   in Loop: Header=BB397_10 Depth=1
	s_or_b64 exec, exec, s[28:29]
	v_mul_f32_e32 v5, v59, v8
	v_and_b32_e32 v4, 0x7f800000, v5
	v_cmp_ne_u32_e64 s[8:9], s38, v4
                                        ; implicit-def: $vgpr49
	s_and_saveexec_b64 s[28:29], s[8:9]
	s_xor_b64 s[8:9], exec, s[28:29]
; %bb.297:                              ;   in Loop: Header=BB397_10 Depth=1
	v_bfe_u32 v4, v5, 16, 1
	v_add3_u32 v49, v5, v4, s39
                                        ; implicit-def: $vgpr5
; %bb.298:                              ;   in Loop: Header=BB397_10 Depth=1
	s_andn2_saveexec_b64 s[28:29], s[8:9]
; %bb.299:                              ;   in Loop: Header=BB397_10 Depth=1
	v_or_b32_e32 v4, 0x10000, v5
	v_cmp_eq_u32_sdwa s[8:9], v5, v47 src0_sel:WORD_0 src1_sel:DWORD
	v_cndmask_b32_e64 v49, v4, v5, s[8:9]
; %bb.300:                              ;   in Loop: Header=BB397_10 Depth=1
	s_or_b64 exec, exec, s[28:29]
	v_lshrrev_b16_e32 v30, 8, v28
	v_cmp_ne_u16_e64 s[8:9], 0, v30
	v_mov_b32_e32 v8, 0
	s_and_saveexec_b64 s[28:29], s[8:9]
	s_cbranch_execz .LBB397_306
; %bb.301:                              ;   in Loop: Header=BB397_10 Depth=1
	v_cmp_ne_u16_e64 s[8:9], s21, v30
	v_bfrev_b32_e32 v8, 1
	s_and_saveexec_b64 s[30:31], s[8:9]
	s_cbranch_execz .LBB397_305
; %bb.302:                              ;   in Loop: Header=BB397_10 Depth=1
	v_and_b32_e32 v5, 0x7f, v30
	v_cmp_ne_u32_e64 s[8:9], s37, v5
	v_mov_b32_e32 v8, 0x7f800001
	s_and_saveexec_b64 s[34:35], s[8:9]
	s_cbranch_execz .LBB397_304
; %bb.303:                              ;   in Loop: Header=BB397_10 Depth=1
	v_and_b32_e32 v4, 7, v30
	v_lshrrev_b32_e32 v12, 3, v5
	v_cmp_gt_u32_e64 s[8:9], 8, v5
	v_ffbh_u32_e32 v5, v4
	v_min_u32_e32 v5, 32, v5
	v_subrev_u32_e32 v8, 28, v5
	v_lshlrev_b64 v[8:9], v8, v[30:31]
	v_sub_u32_e32 v5, 29, v5
	v_and_b32_e32 v8, 7, v8
	v_cndmask_b32_e64 v5, v12, v5, s[8:9]
	v_cndmask_b32_e64 v4, v4, v8, s[8:9]
	v_lshlrev_b32_e32 v8, 16, v28
	v_lshlrev_b32_e32 v4, 20, v4
	v_and_b32_e32 v8, 0x80000000, v8
	v_lshl_add_u32 v5, v5, 23, v56
	v_or3_b32 v8, v8, v5, v4
.LBB397_304:                            ;   in Loop: Header=BB397_10 Depth=1
	s_or_b64 exec, exec, s[34:35]
.LBB397_305:                            ;   in Loop: Header=BB397_10 Depth=1
	s_or_b64 exec, exec, s[30:31]
.LBB397_306:                            ;   in Loop: Header=BB397_10 Depth=1
	s_or_b64 exec, exec, s[28:29]
	v_mul_f32_e32 v5, v59, v8
	v_and_b32_e32 v4, 0x7f800000, v5
	v_cmp_ne_u32_e64 s[8:9], s38, v4
                                        ; implicit-def: $vgpr50
	s_and_saveexec_b64 s[28:29], s[8:9]
	s_xor_b64 s[8:9], exec, s[28:29]
; %bb.307:                              ;   in Loop: Header=BB397_10 Depth=1
	v_bfe_u32 v4, v5, 16, 1
	v_add3_u32 v50, v5, v4, s39
                                        ; implicit-def: $vgpr5
; %bb.308:                              ;   in Loop: Header=BB397_10 Depth=1
	s_andn2_saveexec_b64 s[28:29], s[8:9]
; %bb.309:                              ;   in Loop: Header=BB397_10 Depth=1
	v_or_b32_e32 v4, 0x10000, v5
	v_cmp_eq_u32_sdwa s[8:9], v5, v47 src0_sel:WORD_0 src1_sel:DWORD
	v_cndmask_b32_e64 v50, v4, v5, s[8:9]
; %bb.310:                              ;   in Loop: Header=BB397_10 Depth=1
	s_or_b64 exec, exec, s[28:29]
	v_lshrrev_b32_e32 v30, 16, v28
	v_cmp_ne_u16_sdwa s[8:9], v30, v47 src0_sel:BYTE_0 src1_sel:DWORD
	v_mov_b32_e32 v8, 0
	s_and_saveexec_b64 s[28:29], s[8:9]
	s_cbranch_execz .LBB397_316
; %bb.311:                              ;   in Loop: Header=BB397_10 Depth=1
	v_cmp_ne_u16_sdwa s[8:9], v30, s21 src0_sel:BYTE_0 src1_sel:DWORD
	v_bfrev_b32_e32 v8, 1
	s_and_saveexec_b64 s[30:31], s[8:9]
	s_cbranch_execz .LBB397_315
; %bb.312:                              ;   in Loop: Header=BB397_10 Depth=1
	v_bfe_u32 v5, v28, 16, 7
	v_cmp_ne_u32_e64 s[8:9], s37, v5
	v_mov_b32_e32 v8, 0x7f800001
	s_and_saveexec_b64 s[34:35], s[8:9]
	s_cbranch_execz .LBB397_314
; %bb.313:                              ;   in Loop: Header=BB397_10 Depth=1
	v_and_b32_e32 v4, 7, v30
	v_lshrrev_b32_e32 v12, 3, v5
	v_cmp_gt_u32_e64 s[8:9], 8, v5
	v_ffbh_u32_e32 v5, v4
	v_min_u32_e32 v5, 32, v5
	v_subrev_u32_e32 v8, 28, v5
	v_lshlrev_b64 v[8:9], v8, v[30:31]
	v_sub_u32_e32 v5, 29, v5
	v_and_b32_e32 v8, 7, v8
	v_cndmask_b32_e64 v5, v12, v5, s[8:9]
	v_cndmask_b32_e64 v4, v4, v8, s[8:9]
	v_lshlrev_b32_e32 v8, 24, v30
	v_lshlrev_b32_e32 v4, 20, v4
	v_and_b32_e32 v8, 0x80000000, v8
	v_lshl_add_u32 v5, v5, 23, v56
	v_or3_b32 v8, v8, v5, v4
.LBB397_314:                            ;   in Loop: Header=BB397_10 Depth=1
	s_or_b64 exec, exec, s[34:35]
.LBB397_315:                            ;   in Loop: Header=BB397_10 Depth=1
	s_or_b64 exec, exec, s[30:31]
.LBB397_316:                            ;   in Loop: Header=BB397_10 Depth=1
	s_or_b64 exec, exec, s[28:29]
	v_mul_f32_e32 v5, v59, v8
	v_and_b32_e32 v4, 0x7f800000, v5
	v_cmp_ne_u32_e64 s[8:9], s38, v4
                                        ; implicit-def: $vgpr51
	s_and_saveexec_b64 s[28:29], s[8:9]
	s_xor_b64 s[8:9], exec, s[28:29]
; %bb.317:                              ;   in Loop: Header=BB397_10 Depth=1
	v_bfe_u32 v4, v5, 16, 1
	v_add3_u32 v51, v5, v4, s39
                                        ; implicit-def: $vgpr5
; %bb.318:                              ;   in Loop: Header=BB397_10 Depth=1
	s_andn2_saveexec_b64 s[28:29], s[8:9]
; %bb.319:                              ;   in Loop: Header=BB397_10 Depth=1
	v_or_b32_e32 v4, 0x10000, v5
	v_cmp_eq_u32_sdwa s[8:9], v5, v47 src0_sel:WORD_0 src1_sel:DWORD
	v_cndmask_b32_e64 v51, v4, v5, s[8:9]
; %bb.320:                              ;   in Loop: Header=BB397_10 Depth=1
	s_or_b64 exec, exec, s[28:29]
	v_cmp_lt_u32_e64 s[8:9], s40, v28
	v_mov_b32_e32 v8, 0
	s_and_saveexec_b64 s[28:29], s[8:9]
	s_cbranch_execz .LBB397_326
; %bb.321:                              ;   in Loop: Header=BB397_10 Depth=1
	v_lshrrev_b32_e32 v30, 24, v28
	v_cmp_ne_u32_e64 s[8:9], s21, v30
	v_bfrev_b32_e32 v8, 1
	s_and_saveexec_b64 s[30:31], s[8:9]
	s_cbranch_execz .LBB397_325
; %bb.322:                              ;   in Loop: Header=BB397_10 Depth=1
	v_bfe_u32 v5, v28, 24, 7
	v_cmp_ne_u32_e64 s[8:9], s37, v5
	v_mov_b32_e32 v8, 0x7f800001
	s_and_saveexec_b64 s[34:35], s[8:9]
	s_cbranch_execz .LBB397_324
; %bb.323:                              ;   in Loop: Header=BB397_10 Depth=1
	v_and_b32_e32 v4, 7, v30
	v_lshrrev_b32_e32 v12, 3, v5
	v_cmp_gt_u32_e64 s[8:9], 8, v5
	v_ffbh_u32_e32 v5, v4
	v_min_u32_e32 v5, 32, v5
	v_subrev_u32_e32 v8, 28, v5
	v_lshlrev_b64 v[8:9], v8, v[30:31]
	v_sub_u32_e32 v5, 29, v5
	v_and_b32_e32 v8, 7, v8
	v_cndmask_b32_e64 v5, v12, v5, s[8:9]
	v_cndmask_b32_e64 v4, v4, v8, s[8:9]
	v_lshlrev_b32_e32 v8, 24, v30
	v_lshlrev_b32_e32 v4, 20, v4
	v_and_b32_e32 v8, 0x80000000, v8
	v_lshl_add_u32 v5, v5, 23, v56
	v_or3_b32 v8, v8, v5, v4
.LBB397_324:                            ;   in Loop: Header=BB397_10 Depth=1
	s_or_b64 exec, exec, s[34:35]
.LBB397_325:                            ;   in Loop: Header=BB397_10 Depth=1
	s_or_b64 exec, exec, s[30:31]
.LBB397_326:                            ;   in Loop: Header=BB397_10 Depth=1
	s_or_b64 exec, exec, s[28:29]
	v_mul_f32_e32 v5, v59, v8
	v_and_b32_e32 v4, 0x7f800000, v5
	v_cmp_ne_u32_e64 s[8:9], s38, v4
                                        ; implicit-def: $vgpr52
	s_and_saveexec_b64 s[28:29], s[8:9]
	s_xor_b64 s[8:9], exec, s[28:29]
; %bb.327:                              ;   in Loop: Header=BB397_10 Depth=1
	v_bfe_u32 v4, v5, 16, 1
	v_add3_u32 v52, v5, v4, s39
                                        ; implicit-def: $vgpr5
; %bb.328:                              ;   in Loop: Header=BB397_10 Depth=1
	s_andn2_saveexec_b64 s[28:29], s[8:9]
; %bb.329:                              ;   in Loop: Header=BB397_10 Depth=1
	v_or_b32_e32 v4, 0x10000, v5
	v_cmp_eq_u32_sdwa s[8:9], v5, v47 src0_sel:WORD_0 src1_sel:DWORD
	v_cndmask_b32_e64 v52, v4, v5, s[8:9]
; %bb.330:                              ;   in Loop: Header=BB397_10 Depth=1
	s_or_b64 exec, exec, s[28:29]
	flat_load_dword v28, v[20:21] offset:2048
	v_mov_b32_e32 v8, 0
	s_waitcnt vmcnt(0) lgkmcnt(0)
	v_cmp_ne_u16_sdwa s[8:9], v28, v47 src0_sel:BYTE_0 src1_sel:DWORD
	s_and_saveexec_b64 s[28:29], s[8:9]
	s_cbranch_execz .LBB397_336
; %bb.331:                              ;   in Loop: Header=BB397_10 Depth=1
	v_cmp_ne_u16_sdwa s[8:9], v28, s21 src0_sel:BYTE_0 src1_sel:DWORD
	v_bfrev_b32_e32 v8, 1
	s_and_saveexec_b64 s[30:31], s[8:9]
	s_cbranch_execz .LBB397_335
; %bb.332:                              ;   in Loop: Header=BB397_10 Depth=1
	v_and_b32_e32 v5, 0x7f, v28
	v_cmp_ne_u32_e64 s[8:9], s37, v5
	v_mov_b32_e32 v8, 0x7f800001
	s_and_saveexec_b64 s[34:35], s[8:9]
	s_cbranch_execz .LBB397_334
; %bb.333:                              ;   in Loop: Header=BB397_10 Depth=1
	v_and_b32_e32 v4, 7, v28
	v_lshrrev_b32_e32 v12, 3, v5
	v_cmp_gt_u32_e64 s[8:9], 8, v5
	v_ffbh_u32_e32 v5, v4
	v_min_u32_e32 v5, 32, v5
	v_subrev_u32_e32 v8, 28, v5
	v_lshlrev_b64 v[8:9], v8, v[28:29]
	v_sub_u32_e32 v5, 29, v5
	v_and_b32_e32 v8, 7, v8
	v_cndmask_b32_e64 v5, v12, v5, s[8:9]
	v_cndmask_b32_e64 v4, v4, v8, s[8:9]
	v_lshlrev_b32_e32 v8, 24, v28
	v_lshlrev_b32_e32 v4, 20, v4
	v_and_b32_e32 v8, 0x80000000, v8
	v_lshl_add_u32 v5, v5, 23, v56
	v_or3_b32 v8, v8, v5, v4
.LBB397_334:                            ;   in Loop: Header=BB397_10 Depth=1
	s_or_b64 exec, exec, s[34:35]
.LBB397_335:                            ;   in Loop: Header=BB397_10 Depth=1
	s_or_b64 exec, exec, s[30:31]
.LBB397_336:                            ;   in Loop: Header=BB397_10 Depth=1
	s_or_b64 exec, exec, s[28:29]
	v_mul_f32_e32 v5, v59, v8
	v_and_b32_e32 v4, 0x7f800000, v5
	v_cmp_ne_u32_e64 s[8:9], s38, v4
                                        ; implicit-def: $vgpr53
	s_and_saveexec_b64 s[28:29], s[8:9]
	s_xor_b64 s[8:9], exec, s[28:29]
; %bb.337:                              ;   in Loop: Header=BB397_10 Depth=1
	v_bfe_u32 v4, v5, 16, 1
	v_add3_u32 v53, v5, v4, s39
                                        ; implicit-def: $vgpr5
; %bb.338:                              ;   in Loop: Header=BB397_10 Depth=1
	s_andn2_saveexec_b64 s[28:29], s[8:9]
; %bb.339:                              ;   in Loop: Header=BB397_10 Depth=1
	v_or_b32_e32 v4, 0x10000, v5
	v_cmp_eq_u32_sdwa s[8:9], v5, v47 src0_sel:WORD_0 src1_sel:DWORD
	v_cndmask_b32_e64 v53, v4, v5, s[8:9]
; %bb.340:                              ;   in Loop: Header=BB397_10 Depth=1
	s_or_b64 exec, exec, s[28:29]
	v_lshrrev_b16_e32 v30, 8, v28
	v_cmp_ne_u16_e64 s[8:9], 0, v30
	v_mov_b32_e32 v8, 0
	s_and_saveexec_b64 s[28:29], s[8:9]
	s_cbranch_execz .LBB397_346
; %bb.341:                              ;   in Loop: Header=BB397_10 Depth=1
	v_cmp_ne_u16_e64 s[8:9], s21, v30
	v_bfrev_b32_e32 v8, 1
	s_and_saveexec_b64 s[30:31], s[8:9]
	s_cbranch_execz .LBB397_345
; %bb.342:                              ;   in Loop: Header=BB397_10 Depth=1
	v_and_b32_e32 v5, 0x7f, v30
	v_cmp_ne_u32_e64 s[8:9], s37, v5
	v_mov_b32_e32 v8, 0x7f800001
	s_and_saveexec_b64 s[34:35], s[8:9]
	s_cbranch_execz .LBB397_344
; %bb.343:                              ;   in Loop: Header=BB397_10 Depth=1
	v_and_b32_e32 v4, 7, v30
	v_lshrrev_b32_e32 v12, 3, v5
	v_cmp_gt_u32_e64 s[8:9], 8, v5
	v_ffbh_u32_e32 v5, v4
	v_min_u32_e32 v5, 32, v5
	v_subrev_u32_e32 v8, 28, v5
	v_lshlrev_b64 v[8:9], v8, v[30:31]
	v_sub_u32_e32 v5, 29, v5
	v_and_b32_e32 v8, 7, v8
	v_cndmask_b32_e64 v5, v12, v5, s[8:9]
	v_cndmask_b32_e64 v4, v4, v8, s[8:9]
	v_lshlrev_b32_e32 v8, 16, v28
	v_lshlrev_b32_e32 v4, 20, v4
	v_and_b32_e32 v8, 0x80000000, v8
	v_lshl_add_u32 v5, v5, 23, v56
	v_or3_b32 v8, v8, v5, v4
.LBB397_344:                            ;   in Loop: Header=BB397_10 Depth=1
	s_or_b64 exec, exec, s[34:35]
.LBB397_345:                            ;   in Loop: Header=BB397_10 Depth=1
	s_or_b64 exec, exec, s[30:31]
.LBB397_346:                            ;   in Loop: Header=BB397_10 Depth=1
	s_or_b64 exec, exec, s[28:29]
	v_mul_f32_e32 v5, v59, v8
	v_and_b32_e32 v4, 0x7f800000, v5
	v_cmp_ne_u32_e64 s[8:9], s38, v4
                                        ; implicit-def: $vgpr54
	s_and_saveexec_b64 s[28:29], s[8:9]
	s_xor_b64 s[8:9], exec, s[28:29]
; %bb.347:                              ;   in Loop: Header=BB397_10 Depth=1
	v_bfe_u32 v4, v5, 16, 1
	v_add3_u32 v54, v5, v4, s39
                                        ; implicit-def: $vgpr5
; %bb.348:                              ;   in Loop: Header=BB397_10 Depth=1
	s_andn2_saveexec_b64 s[28:29], s[8:9]
; %bb.349:                              ;   in Loop: Header=BB397_10 Depth=1
	v_or_b32_e32 v4, 0x10000, v5
	v_cmp_eq_u32_sdwa s[8:9], v5, v47 src0_sel:WORD_0 src1_sel:DWORD
	v_cndmask_b32_e64 v54, v4, v5, s[8:9]
; %bb.350:                              ;   in Loop: Header=BB397_10 Depth=1
	s_or_b64 exec, exec, s[28:29]
	v_lshrrev_b32_e32 v30, 16, v28
	v_cmp_ne_u16_sdwa s[8:9], v30, v47 src0_sel:BYTE_0 src1_sel:DWORD
	v_mov_b32_e32 v8, 0
	s_and_saveexec_b64 s[28:29], s[8:9]
	s_cbranch_execz .LBB397_356
; %bb.351:                              ;   in Loop: Header=BB397_10 Depth=1
	v_cmp_ne_u16_sdwa s[8:9], v30, s21 src0_sel:BYTE_0 src1_sel:DWORD
	v_bfrev_b32_e32 v8, 1
	s_and_saveexec_b64 s[30:31], s[8:9]
	s_cbranch_execz .LBB397_355
; %bb.352:                              ;   in Loop: Header=BB397_10 Depth=1
	v_bfe_u32 v5, v28, 16, 7
	v_cmp_ne_u32_e64 s[8:9], s37, v5
	v_mov_b32_e32 v8, 0x7f800001
	s_and_saveexec_b64 s[34:35], s[8:9]
	s_cbranch_execz .LBB397_354
; %bb.353:                              ;   in Loop: Header=BB397_10 Depth=1
	v_and_b32_e32 v4, 7, v30
	v_lshrrev_b32_e32 v12, 3, v5
	v_cmp_gt_u32_e64 s[8:9], 8, v5
	v_ffbh_u32_e32 v5, v4
	v_min_u32_e32 v5, 32, v5
	v_subrev_u32_e32 v8, 28, v5
	v_lshlrev_b64 v[8:9], v8, v[30:31]
	v_sub_u32_e32 v5, 29, v5
	v_and_b32_e32 v8, 7, v8
	v_cndmask_b32_e64 v5, v12, v5, s[8:9]
	v_cndmask_b32_e64 v4, v4, v8, s[8:9]
	v_lshlrev_b32_e32 v8, 24, v30
	v_lshlrev_b32_e32 v4, 20, v4
	v_and_b32_e32 v8, 0x80000000, v8
	v_lshl_add_u32 v5, v5, 23, v56
	v_or3_b32 v8, v8, v5, v4
.LBB397_354:                            ;   in Loop: Header=BB397_10 Depth=1
	s_or_b64 exec, exec, s[34:35]
.LBB397_355:                            ;   in Loop: Header=BB397_10 Depth=1
	s_or_b64 exec, exec, s[30:31]
.LBB397_356:                            ;   in Loop: Header=BB397_10 Depth=1
	s_or_b64 exec, exec, s[28:29]
	v_mul_f32_e32 v5, v59, v8
	v_and_b32_e32 v4, 0x7f800000, v5
	v_cmp_ne_u32_e64 s[8:9], s38, v4
                                        ; implicit-def: $vgpr55
	s_and_saveexec_b64 s[28:29], s[8:9]
	s_xor_b64 s[8:9], exec, s[28:29]
; %bb.357:                              ;   in Loop: Header=BB397_10 Depth=1
	v_bfe_u32 v4, v5, 16, 1
	v_add3_u32 v55, v5, v4, s39
                                        ; implicit-def: $vgpr5
; %bb.358:                              ;   in Loop: Header=BB397_10 Depth=1
	s_andn2_saveexec_b64 s[28:29], s[8:9]
; %bb.359:                              ;   in Loop: Header=BB397_10 Depth=1
	v_or_b32_e32 v4, 0x10000, v5
	v_cmp_eq_u32_sdwa s[8:9], v5, v47 src0_sel:WORD_0 src1_sel:DWORD
	v_cndmask_b32_e64 v55, v4, v5, s[8:9]
; %bb.360:                              ;   in Loop: Header=BB397_10 Depth=1
	s_or_b64 exec, exec, s[28:29]
	v_cmp_lt_u32_e64 s[8:9], s40, v28
	v_mov_b32_e32 v8, 0
	s_and_saveexec_b64 s[28:29], s[8:9]
	s_cbranch_execz .LBB397_366
; %bb.361:                              ;   in Loop: Header=BB397_10 Depth=1
	v_lshrrev_b32_e32 v30, 24, v28
	v_cmp_ne_u32_e64 s[8:9], s21, v30
	v_bfrev_b32_e32 v8, 1
	s_and_saveexec_b64 s[30:31], s[8:9]
	s_cbranch_execz .LBB397_365
; %bb.362:                              ;   in Loop: Header=BB397_10 Depth=1
	v_bfe_u32 v5, v28, 24, 7
	v_cmp_ne_u32_e64 s[8:9], s37, v5
	v_mov_b32_e32 v8, 0x7f800001
	s_and_saveexec_b64 s[34:35], s[8:9]
	s_cbranch_execz .LBB397_364
; %bb.363:                              ;   in Loop: Header=BB397_10 Depth=1
	v_and_b32_e32 v4, 7, v30
	v_lshrrev_b32_e32 v12, 3, v5
	v_cmp_gt_u32_e64 s[8:9], 8, v5
	v_ffbh_u32_e32 v5, v4
	v_min_u32_e32 v5, 32, v5
	v_subrev_u32_e32 v8, 28, v5
	v_lshlrev_b64 v[8:9], v8, v[30:31]
	v_sub_u32_e32 v5, 29, v5
	v_and_b32_e32 v8, 7, v8
	v_cndmask_b32_e64 v5, v12, v5, s[8:9]
	v_cndmask_b32_e64 v4, v4, v8, s[8:9]
	v_lshlrev_b32_e32 v8, 24, v30
	v_lshlrev_b32_e32 v4, 20, v4
	v_and_b32_e32 v8, 0x80000000, v8
	v_lshl_add_u32 v5, v5, 23, v56
	v_or3_b32 v8, v8, v5, v4
.LBB397_364:                            ;   in Loop: Header=BB397_10 Depth=1
	s_or_b64 exec, exec, s[34:35]
.LBB397_365:                            ;   in Loop: Header=BB397_10 Depth=1
	s_or_b64 exec, exec, s[30:31]
.LBB397_366:                            ;   in Loop: Header=BB397_10 Depth=1
	s_or_b64 exec, exec, s[28:29]
	v_mul_f32_e32 v5, v59, v8
	v_and_b32_e32 v4, 0x7f800000, v5
	v_cmp_ne_u32_e64 s[8:9], s38, v4
                                        ; implicit-def: $vgpr40
	s_and_saveexec_b64 s[28:29], s[8:9]
	s_xor_b64 s[8:9], exec, s[28:29]
; %bb.367:                              ;   in Loop: Header=BB397_10 Depth=1
	v_bfe_u32 v4, v5, 16, 1
	v_add3_u32 v40, v5, v4, s39
                                        ; implicit-def: $vgpr5
; %bb.368:                              ;   in Loop: Header=BB397_10 Depth=1
	s_andn2_saveexec_b64 s[28:29], s[8:9]
; %bb.369:                              ;   in Loop: Header=BB397_10 Depth=1
	v_or_b32_e32 v4, 0x10000, v5
	v_cmp_eq_u32_sdwa s[8:9], v5, v47 src0_sel:WORD_0 src1_sel:DWORD
	v_cndmask_b32_e64 v40, v4, v5, s[8:9]
; %bb.370:                              ;   in Loop: Header=BB397_10 Depth=1
	s_or_b64 exec, exec, s[28:29]
	flat_load_dword v28, v[20:21] offset:2056
	v_mov_b32_e32 v8, 0
	s_waitcnt vmcnt(0) lgkmcnt(0)
	v_cmp_ne_u16_sdwa s[8:9], v28, v47 src0_sel:BYTE_0 src1_sel:DWORD
	s_and_saveexec_b64 s[28:29], s[8:9]
	s_cbranch_execz .LBB397_376
; %bb.371:                              ;   in Loop: Header=BB397_10 Depth=1
	v_cmp_ne_u16_sdwa s[8:9], v28, s21 src0_sel:BYTE_0 src1_sel:DWORD
	v_bfrev_b32_e32 v8, 1
	s_and_saveexec_b64 s[30:31], s[8:9]
	s_cbranch_execz .LBB397_375
; %bb.372:                              ;   in Loop: Header=BB397_10 Depth=1
	v_and_b32_e32 v5, 0x7f, v28
	v_cmp_ne_u32_e64 s[8:9], s37, v5
	v_mov_b32_e32 v8, 0x7f800001
	s_and_saveexec_b64 s[34:35], s[8:9]
	s_cbranch_execz .LBB397_374
; %bb.373:                              ;   in Loop: Header=BB397_10 Depth=1
	v_and_b32_e32 v4, 7, v28
	v_lshrrev_b32_e32 v12, 3, v5
	v_cmp_gt_u32_e64 s[8:9], 8, v5
	v_ffbh_u32_e32 v5, v4
	v_min_u32_e32 v5, 32, v5
	v_subrev_u32_e32 v8, 28, v5
	v_lshlrev_b64 v[8:9], v8, v[28:29]
	v_sub_u32_e32 v5, 29, v5
	v_and_b32_e32 v8, 7, v8
	v_cndmask_b32_e64 v5, v12, v5, s[8:9]
	v_cndmask_b32_e64 v4, v4, v8, s[8:9]
	v_lshlrev_b32_e32 v8, 24, v28
	v_lshlrev_b32_e32 v4, 20, v4
	v_and_b32_e32 v8, 0x80000000, v8
	v_lshl_add_u32 v5, v5, 23, v56
	v_or3_b32 v8, v8, v5, v4
.LBB397_374:                            ;   in Loop: Header=BB397_10 Depth=1
	s_or_b64 exec, exec, s[34:35]
.LBB397_375:                            ;   in Loop: Header=BB397_10 Depth=1
	s_or_b64 exec, exec, s[30:31]
.LBB397_376:                            ;   in Loop: Header=BB397_10 Depth=1
	s_or_b64 exec, exec, s[28:29]
	v_mul_f32_e32 v5, v59, v8
	v_and_b32_e32 v4, 0x7f800000, v5
	v_cmp_ne_u32_e64 s[8:9], s38, v4
                                        ; implicit-def: $vgpr41
	s_and_saveexec_b64 s[28:29], s[8:9]
	s_xor_b64 s[8:9], exec, s[28:29]
; %bb.377:                              ;   in Loop: Header=BB397_10 Depth=1
	v_bfe_u32 v4, v5, 16, 1
	v_add3_u32 v41, v5, v4, s39
                                        ; implicit-def: $vgpr5
; %bb.378:                              ;   in Loop: Header=BB397_10 Depth=1
	s_andn2_saveexec_b64 s[28:29], s[8:9]
; %bb.379:                              ;   in Loop: Header=BB397_10 Depth=1
	v_or_b32_e32 v4, 0x10000, v5
	v_cmp_eq_u32_sdwa s[8:9], v5, v47 src0_sel:WORD_0 src1_sel:DWORD
	v_cndmask_b32_e64 v41, v4, v5, s[8:9]
; %bb.380:                              ;   in Loop: Header=BB397_10 Depth=1
	s_or_b64 exec, exec, s[28:29]
	v_lshrrev_b16_e32 v30, 8, v28
	v_cmp_ne_u16_e64 s[8:9], 0, v30
	v_mov_b32_e32 v8, 0
	s_and_saveexec_b64 s[28:29], s[8:9]
	s_cbranch_execz .LBB397_386
; %bb.381:                              ;   in Loop: Header=BB397_10 Depth=1
	v_cmp_ne_u16_e64 s[8:9], s21, v30
	v_bfrev_b32_e32 v8, 1
	s_and_saveexec_b64 s[30:31], s[8:9]
	s_cbranch_execz .LBB397_385
; %bb.382:                              ;   in Loop: Header=BB397_10 Depth=1
	v_and_b32_e32 v5, 0x7f, v30
	v_cmp_ne_u32_e64 s[8:9], s37, v5
	v_mov_b32_e32 v8, 0x7f800001
	s_and_saveexec_b64 s[34:35], s[8:9]
	s_cbranch_execz .LBB397_384
; %bb.383:                              ;   in Loop: Header=BB397_10 Depth=1
	v_and_b32_e32 v4, 7, v30
	v_lshrrev_b32_e32 v12, 3, v5
	v_cmp_gt_u32_e64 s[8:9], 8, v5
	v_ffbh_u32_e32 v5, v4
	v_min_u32_e32 v5, 32, v5
	v_subrev_u32_e32 v8, 28, v5
	v_lshlrev_b64 v[8:9], v8, v[30:31]
	v_sub_u32_e32 v5, 29, v5
	v_and_b32_e32 v8, 7, v8
	v_cndmask_b32_e64 v5, v12, v5, s[8:9]
	v_cndmask_b32_e64 v4, v4, v8, s[8:9]
	v_lshlrev_b32_e32 v8, 16, v28
	v_lshlrev_b32_e32 v4, 20, v4
	v_and_b32_e32 v8, 0x80000000, v8
	v_lshl_add_u32 v5, v5, 23, v56
	v_or3_b32 v8, v8, v5, v4
.LBB397_384:                            ;   in Loop: Header=BB397_10 Depth=1
	s_or_b64 exec, exec, s[34:35]
.LBB397_385:                            ;   in Loop: Header=BB397_10 Depth=1
	s_or_b64 exec, exec, s[30:31]
.LBB397_386:                            ;   in Loop: Header=BB397_10 Depth=1
	s_or_b64 exec, exec, s[28:29]
	v_mul_f32_e32 v5, v59, v8
	v_and_b32_e32 v4, 0x7f800000, v5
	v_cmp_ne_u32_e64 s[8:9], s38, v4
                                        ; implicit-def: $vgpr42
	s_and_saveexec_b64 s[28:29], s[8:9]
	s_xor_b64 s[8:9], exec, s[28:29]
; %bb.387:                              ;   in Loop: Header=BB397_10 Depth=1
	v_bfe_u32 v4, v5, 16, 1
	v_add3_u32 v42, v5, v4, s39
                                        ; implicit-def: $vgpr5
; %bb.388:                              ;   in Loop: Header=BB397_10 Depth=1
	s_andn2_saveexec_b64 s[28:29], s[8:9]
; %bb.389:                              ;   in Loop: Header=BB397_10 Depth=1
	v_or_b32_e32 v4, 0x10000, v5
	v_cmp_eq_u32_sdwa s[8:9], v5, v47 src0_sel:WORD_0 src1_sel:DWORD
	v_cndmask_b32_e64 v42, v4, v5, s[8:9]
; %bb.390:                              ;   in Loop: Header=BB397_10 Depth=1
	s_or_b64 exec, exec, s[28:29]
	v_lshrrev_b32_e32 v30, 16, v28
	v_cmp_ne_u16_sdwa s[8:9], v30, v47 src0_sel:BYTE_0 src1_sel:DWORD
	v_mov_b32_e32 v8, 0
	s_and_saveexec_b64 s[28:29], s[8:9]
	s_cbranch_execz .LBB397_396
; %bb.391:                              ;   in Loop: Header=BB397_10 Depth=1
	v_cmp_ne_u16_sdwa s[8:9], v30, s21 src0_sel:BYTE_0 src1_sel:DWORD
	v_bfrev_b32_e32 v8, 1
	s_and_saveexec_b64 s[30:31], s[8:9]
	s_cbranch_execz .LBB397_395
; %bb.392:                              ;   in Loop: Header=BB397_10 Depth=1
	v_bfe_u32 v5, v28, 16, 7
	v_cmp_ne_u32_e64 s[8:9], s37, v5
	v_mov_b32_e32 v8, 0x7f800001
	s_and_saveexec_b64 s[34:35], s[8:9]
	s_cbranch_execz .LBB397_394
; %bb.393:                              ;   in Loop: Header=BB397_10 Depth=1
	v_and_b32_e32 v4, 7, v30
	v_lshrrev_b32_e32 v12, 3, v5
	v_cmp_gt_u32_e64 s[8:9], 8, v5
	v_ffbh_u32_e32 v5, v4
	v_min_u32_e32 v5, 32, v5
	v_subrev_u32_e32 v8, 28, v5
	v_lshlrev_b64 v[8:9], v8, v[30:31]
	v_sub_u32_e32 v5, 29, v5
	v_and_b32_e32 v8, 7, v8
	v_cndmask_b32_e64 v5, v12, v5, s[8:9]
	v_cndmask_b32_e64 v4, v4, v8, s[8:9]
	v_lshlrev_b32_e32 v8, 24, v30
	v_lshlrev_b32_e32 v4, 20, v4
	v_and_b32_e32 v8, 0x80000000, v8
	v_lshl_add_u32 v5, v5, 23, v56
	v_or3_b32 v8, v8, v5, v4
.LBB397_394:                            ;   in Loop: Header=BB397_10 Depth=1
	s_or_b64 exec, exec, s[34:35]
.LBB397_395:                            ;   in Loop: Header=BB397_10 Depth=1
	s_or_b64 exec, exec, s[30:31]
.LBB397_396:                            ;   in Loop: Header=BB397_10 Depth=1
	s_or_b64 exec, exec, s[28:29]
	v_mul_f32_e32 v5, v59, v8
	v_and_b32_e32 v4, 0x7f800000, v5
	v_cmp_ne_u32_e64 s[8:9], s38, v4
                                        ; implicit-def: $vgpr44
	s_and_saveexec_b64 s[28:29], s[8:9]
	s_xor_b64 s[8:9], exec, s[28:29]
; %bb.397:                              ;   in Loop: Header=BB397_10 Depth=1
	v_bfe_u32 v4, v5, 16, 1
	v_add3_u32 v44, v5, v4, s39
                                        ; implicit-def: $vgpr5
; %bb.398:                              ;   in Loop: Header=BB397_10 Depth=1
	s_andn2_saveexec_b64 s[28:29], s[8:9]
; %bb.399:                              ;   in Loop: Header=BB397_10 Depth=1
	v_or_b32_e32 v4, 0x10000, v5
	v_cmp_eq_u32_sdwa s[8:9], v5, v47 src0_sel:WORD_0 src1_sel:DWORD
	v_cndmask_b32_e64 v44, v4, v5, s[8:9]
; %bb.400:                              ;   in Loop: Header=BB397_10 Depth=1
	s_or_b64 exec, exec, s[28:29]
	v_cmp_lt_u32_e64 s[8:9], s40, v28
	v_mov_b32_e32 v8, 0
	s_and_saveexec_b64 s[28:29], s[8:9]
	s_cbranch_execz .LBB397_406
; %bb.401:                              ;   in Loop: Header=BB397_10 Depth=1
	v_lshrrev_b32_e32 v30, 24, v28
	v_cmp_ne_u32_e64 s[8:9], s21, v30
	v_bfrev_b32_e32 v8, 1
	s_and_saveexec_b64 s[30:31], s[8:9]
	s_cbranch_execz .LBB397_405
; %bb.402:                              ;   in Loop: Header=BB397_10 Depth=1
	v_bfe_u32 v5, v28, 24, 7
	v_cmp_ne_u32_e64 s[8:9], s37, v5
	v_mov_b32_e32 v8, 0x7f800001
	s_and_saveexec_b64 s[34:35], s[8:9]
	s_cbranch_execz .LBB397_404
; %bb.403:                              ;   in Loop: Header=BB397_10 Depth=1
	v_and_b32_e32 v4, 7, v30
	v_lshrrev_b32_e32 v12, 3, v5
	v_cmp_gt_u32_e64 s[8:9], 8, v5
	v_ffbh_u32_e32 v5, v4
	v_min_u32_e32 v5, 32, v5
	v_subrev_u32_e32 v8, 28, v5
	v_lshlrev_b64 v[8:9], v8, v[30:31]
	v_sub_u32_e32 v5, 29, v5
	v_and_b32_e32 v8, 7, v8
	v_cndmask_b32_e64 v5, v12, v5, s[8:9]
	v_cndmask_b32_e64 v4, v4, v8, s[8:9]
	v_lshlrev_b32_e32 v8, 24, v30
	v_lshlrev_b32_e32 v4, 20, v4
	v_and_b32_e32 v8, 0x80000000, v8
	v_lshl_add_u32 v5, v5, 23, v56
	v_or3_b32 v8, v8, v5, v4
.LBB397_404:                            ;   in Loop: Header=BB397_10 Depth=1
	s_or_b64 exec, exec, s[34:35]
.LBB397_405:                            ;   in Loop: Header=BB397_10 Depth=1
	s_or_b64 exec, exec, s[30:31]
.LBB397_406:                            ;   in Loop: Header=BB397_10 Depth=1
	s_or_b64 exec, exec, s[28:29]
	v_mul_f32_e32 v5, v59, v8
	v_and_b32_e32 v4, 0x7f800000, v5
	v_cmp_ne_u32_e64 s[8:9], s38, v4
                                        ; implicit-def: $vgpr12
	s_and_saveexec_b64 s[28:29], s[8:9]
	s_xor_b64 s[8:9], exec, s[28:29]
; %bb.407:                              ;   in Loop: Header=BB397_10 Depth=1
	v_bfe_u32 v4, v5, 16, 1
	v_add3_u32 v12, v5, v4, s39
                                        ; implicit-def: $vgpr5
; %bb.408:                              ;   in Loop: Header=BB397_10 Depth=1
	s_andn2_saveexec_b64 s[28:29], s[8:9]
; %bb.409:                              ;   in Loop: Header=BB397_10 Depth=1
	v_or_b32_e32 v4, 0x10000, v5
	v_cmp_eq_u32_sdwa s[8:9], v5, v47 src0_sel:WORD_0 src1_sel:DWORD
	v_cndmask_b32_e64 v12, v4, v5, s[8:9]
; %bb.410:                              ;   in Loop: Header=BB397_10 Depth=1
	s_or_b64 exec, exec, s[28:29]
	flat_load_dword v28, v[20:21] offset:2560
	v_mov_b32_e32 v8, 0
	s_waitcnt vmcnt(0) lgkmcnt(0)
	v_cmp_ne_u16_sdwa s[8:9], v28, v47 src0_sel:BYTE_0 src1_sel:DWORD
	s_and_saveexec_b64 s[28:29], s[8:9]
	s_cbranch_execz .LBB397_416
; %bb.411:                              ;   in Loop: Header=BB397_10 Depth=1
	v_cmp_ne_u16_sdwa s[8:9], v28, s21 src0_sel:BYTE_0 src1_sel:DWORD
	v_bfrev_b32_e32 v8, 1
	s_and_saveexec_b64 s[30:31], s[8:9]
	s_cbranch_execz .LBB397_415
; %bb.412:                              ;   in Loop: Header=BB397_10 Depth=1
	v_and_b32_e32 v5, 0x7f, v28
	v_cmp_ne_u32_e64 s[8:9], s37, v5
	v_mov_b32_e32 v8, 0x7f800001
	s_and_saveexec_b64 s[34:35], s[8:9]
	s_cbranch_execz .LBB397_414
; %bb.413:                              ;   in Loop: Header=BB397_10 Depth=1
	v_and_b32_e32 v4, 7, v28
	v_lshrrev_b32_e32 v7, 3, v5
	v_cmp_gt_u32_e64 s[8:9], 8, v5
	v_ffbh_u32_e32 v5, v4
	v_min_u32_e32 v5, 32, v5
	v_subrev_u32_e32 v8, 28, v5
	v_lshlrev_b64 v[8:9], v8, v[28:29]
	v_sub_u32_e32 v5, 29, v5
	v_and_b32_e32 v8, 7, v8
	v_cndmask_b32_e64 v5, v7, v5, s[8:9]
	v_cndmask_b32_e64 v4, v4, v8, s[8:9]
	v_lshlrev_b32_e32 v8, 24, v28
	v_lshlrev_b32_e32 v4, 20, v4
	v_and_b32_e32 v8, 0x80000000, v8
	v_lshl_add_u32 v5, v5, 23, v56
	v_or3_b32 v8, v8, v5, v4
.LBB397_414:                            ;   in Loop: Header=BB397_10 Depth=1
	s_or_b64 exec, exec, s[34:35]
.LBB397_415:                            ;   in Loop: Header=BB397_10 Depth=1
	s_or_b64 exec, exec, s[30:31]
.LBB397_416:                            ;   in Loop: Header=BB397_10 Depth=1
	s_or_b64 exec, exec, s[28:29]
	v_mul_f32_e32 v5, v59, v8
	v_and_b32_e32 v4, 0x7f800000, v5
	v_cmp_ne_u32_e64 s[8:9], s38, v4
                                        ; implicit-def: $vgpr33
	s_and_saveexec_b64 s[28:29], s[8:9]
	s_xor_b64 s[8:9], exec, s[28:29]
; %bb.417:                              ;   in Loop: Header=BB397_10 Depth=1
	v_bfe_u32 v4, v5, 16, 1
	v_add3_u32 v33, v5, v4, s39
                                        ; implicit-def: $vgpr5
; %bb.418:                              ;   in Loop: Header=BB397_10 Depth=1
	s_andn2_saveexec_b64 s[28:29], s[8:9]
; %bb.419:                              ;   in Loop: Header=BB397_10 Depth=1
	v_or_b32_e32 v4, 0x10000, v5
	v_cmp_eq_u32_sdwa s[8:9], v5, v47 src0_sel:WORD_0 src1_sel:DWORD
	v_cndmask_b32_e64 v33, v4, v5, s[8:9]
; %bb.420:                              ;   in Loop: Header=BB397_10 Depth=1
	s_or_b64 exec, exec, s[28:29]
	v_lshrrev_b16_e32 v30, 8, v28
	v_cmp_ne_u16_e64 s[8:9], 0, v30
	v_mov_b32_e32 v8, 0
	s_and_saveexec_b64 s[28:29], s[8:9]
	s_cbranch_execz .LBB397_426
; %bb.421:                              ;   in Loop: Header=BB397_10 Depth=1
	v_cmp_ne_u16_e64 s[8:9], s21, v30
	v_bfrev_b32_e32 v8, 1
	s_and_saveexec_b64 s[30:31], s[8:9]
	s_cbranch_execz .LBB397_425
; %bb.422:                              ;   in Loop: Header=BB397_10 Depth=1
	v_and_b32_e32 v5, 0x7f, v30
	v_cmp_ne_u32_e64 s[8:9], s37, v5
	v_mov_b32_e32 v8, 0x7f800001
	s_and_saveexec_b64 s[34:35], s[8:9]
	s_cbranch_execz .LBB397_424
; %bb.423:                              ;   in Loop: Header=BB397_10 Depth=1
	v_and_b32_e32 v4, 7, v30
	v_lshrrev_b32_e32 v7, 3, v5
	v_cmp_gt_u32_e64 s[8:9], 8, v5
	v_ffbh_u32_e32 v5, v4
	v_min_u32_e32 v5, 32, v5
	v_subrev_u32_e32 v8, 28, v5
	v_lshlrev_b64 v[8:9], v8, v[30:31]
	v_sub_u32_e32 v5, 29, v5
	v_and_b32_e32 v8, 7, v8
	v_cndmask_b32_e64 v5, v7, v5, s[8:9]
	v_cndmask_b32_e64 v4, v4, v8, s[8:9]
	v_lshlrev_b32_e32 v8, 16, v28
	v_lshlrev_b32_e32 v4, 20, v4
	v_and_b32_e32 v8, 0x80000000, v8
	v_lshl_add_u32 v5, v5, 23, v56
	v_or3_b32 v8, v8, v5, v4
.LBB397_424:                            ;   in Loop: Header=BB397_10 Depth=1
	s_or_b64 exec, exec, s[34:35]
.LBB397_425:                            ;   in Loop: Header=BB397_10 Depth=1
	s_or_b64 exec, exec, s[30:31]
.LBB397_426:                            ;   in Loop: Header=BB397_10 Depth=1
	s_or_b64 exec, exec, s[28:29]
	v_mul_f32_e32 v5, v59, v8
	v_and_b32_e32 v4, 0x7f800000, v5
	v_cmp_ne_u32_e64 s[8:9], s38, v4
                                        ; implicit-def: $vgpr7
	s_and_saveexec_b64 s[28:29], s[8:9]
	s_xor_b64 s[8:9], exec, s[28:29]
; %bb.427:                              ;   in Loop: Header=BB397_10 Depth=1
	v_bfe_u32 v4, v5, 16, 1
	v_add3_u32 v7, v5, v4, s39
                                        ; implicit-def: $vgpr5
; %bb.428:                              ;   in Loop: Header=BB397_10 Depth=1
	s_andn2_saveexec_b64 s[28:29], s[8:9]
; %bb.429:                              ;   in Loop: Header=BB397_10 Depth=1
	v_or_b32_e32 v4, 0x10000, v5
	v_cmp_eq_u32_sdwa s[8:9], v5, v47 src0_sel:WORD_0 src1_sel:DWORD
	v_cndmask_b32_e64 v7, v4, v5, s[8:9]
; %bb.430:                              ;   in Loop: Header=BB397_10 Depth=1
	s_or_b64 exec, exec, s[28:29]
	v_lshrrev_b32_e32 v30, 16, v28
	v_cmp_ne_u16_sdwa s[8:9], v30, v47 src0_sel:BYTE_0 src1_sel:DWORD
	v_mov_b32_e32 v8, 0
	s_and_saveexec_b64 s[28:29], s[8:9]
	s_cbranch_execz .LBB397_436
; %bb.431:                              ;   in Loop: Header=BB397_10 Depth=1
	v_cmp_ne_u16_sdwa s[8:9], v30, s21 src0_sel:BYTE_0 src1_sel:DWORD
	v_bfrev_b32_e32 v8, 1
	s_and_saveexec_b64 s[30:31], s[8:9]
	s_cbranch_execz .LBB397_435
; %bb.432:                              ;   in Loop: Header=BB397_10 Depth=1
	v_bfe_u32 v5, v28, 16, 7
	v_cmp_ne_u32_e64 s[8:9], s37, v5
	v_mov_b32_e32 v8, 0x7f800001
	s_and_saveexec_b64 s[34:35], s[8:9]
	s_cbranch_execz .LBB397_434
; %bb.433:                              ;   in Loop: Header=BB397_10 Depth=1
	v_and_b32_e32 v4, 7, v30
	v_lshrrev_b32_e32 v24, 3, v5
	v_cmp_gt_u32_e64 s[8:9], 8, v5
	v_ffbh_u32_e32 v5, v4
	v_min_u32_e32 v5, 32, v5
	v_subrev_u32_e32 v8, 28, v5
	v_lshlrev_b64 v[8:9], v8, v[30:31]
	v_sub_u32_e32 v5, 29, v5
	v_and_b32_e32 v8, 7, v8
	v_cndmask_b32_e64 v5, v24, v5, s[8:9]
	v_cndmask_b32_e64 v4, v4, v8, s[8:9]
	v_lshlrev_b32_e32 v8, 24, v30
	v_lshlrev_b32_e32 v4, 20, v4
	v_and_b32_e32 v8, 0x80000000, v8
	v_lshl_add_u32 v5, v5, 23, v56
	v_or3_b32 v8, v8, v5, v4
.LBB397_434:                            ;   in Loop: Header=BB397_10 Depth=1
	s_or_b64 exec, exec, s[34:35]
.LBB397_435:                            ;   in Loop: Header=BB397_10 Depth=1
	s_or_b64 exec, exec, s[30:31]
.LBB397_436:                            ;   in Loop: Header=BB397_10 Depth=1
	s_or_b64 exec, exec, s[28:29]
	v_mul_f32_e32 v5, v59, v8
	v_and_b32_e32 v4, 0x7f800000, v5
	v_cmp_ne_u32_e64 s[8:9], s38, v4
                                        ; implicit-def: $vgpr34
	s_and_saveexec_b64 s[28:29], s[8:9]
	s_xor_b64 s[8:9], exec, s[28:29]
; %bb.437:                              ;   in Loop: Header=BB397_10 Depth=1
	v_bfe_u32 v4, v5, 16, 1
	v_add3_u32 v34, v5, v4, s39
                                        ; implicit-def: $vgpr5
; %bb.438:                              ;   in Loop: Header=BB397_10 Depth=1
	s_andn2_saveexec_b64 s[28:29], s[8:9]
; %bb.439:                              ;   in Loop: Header=BB397_10 Depth=1
	v_or_b32_e32 v4, 0x10000, v5
	v_cmp_eq_u32_sdwa s[8:9], v5, v47 src0_sel:WORD_0 src1_sel:DWORD
	v_cndmask_b32_e64 v34, v4, v5, s[8:9]
; %bb.440:                              ;   in Loop: Header=BB397_10 Depth=1
	s_or_b64 exec, exec, s[28:29]
	v_cmp_lt_u32_e64 s[8:9], s40, v28
	v_mov_b32_e32 v8, 0
	s_and_saveexec_b64 s[28:29], s[8:9]
	s_cbranch_execz .LBB397_446
; %bb.441:                              ;   in Loop: Header=BB397_10 Depth=1
	v_lshrrev_b32_e32 v30, 24, v28
	v_cmp_ne_u32_e64 s[8:9], s21, v30
	v_bfrev_b32_e32 v8, 1
	s_and_saveexec_b64 s[30:31], s[8:9]
	s_cbranch_execz .LBB397_445
; %bb.442:                              ;   in Loop: Header=BB397_10 Depth=1
	v_bfe_u32 v5, v28, 24, 7
	v_cmp_ne_u32_e64 s[8:9], s37, v5
	v_mov_b32_e32 v8, 0x7f800001
	s_and_saveexec_b64 s[34:35], s[8:9]
	s_cbranch_execz .LBB397_444
; %bb.443:                              ;   in Loop: Header=BB397_10 Depth=1
	v_and_b32_e32 v4, 7, v30
	v_lshrrev_b32_e32 v24, 3, v5
	v_cmp_gt_u32_e64 s[8:9], 8, v5
	v_ffbh_u32_e32 v5, v4
	v_min_u32_e32 v5, 32, v5
	v_subrev_u32_e32 v8, 28, v5
	v_lshlrev_b64 v[8:9], v8, v[30:31]
	v_sub_u32_e32 v5, 29, v5
	v_and_b32_e32 v8, 7, v8
	v_cndmask_b32_e64 v5, v24, v5, s[8:9]
	v_cndmask_b32_e64 v4, v4, v8, s[8:9]
	v_lshlrev_b32_e32 v8, 24, v30
	v_lshlrev_b32_e32 v4, 20, v4
	v_and_b32_e32 v8, 0x80000000, v8
	v_lshl_add_u32 v5, v5, 23, v56
	v_or3_b32 v8, v8, v5, v4
.LBB397_444:                            ;   in Loop: Header=BB397_10 Depth=1
	s_or_b64 exec, exec, s[34:35]
.LBB397_445:                            ;   in Loop: Header=BB397_10 Depth=1
	s_or_b64 exec, exec, s[30:31]
.LBB397_446:                            ;   in Loop: Header=BB397_10 Depth=1
	s_or_b64 exec, exec, s[28:29]
	v_mul_f32_e32 v5, v59, v8
	v_and_b32_e32 v4, 0x7f800000, v5
	v_cmp_ne_u32_e64 s[8:9], s38, v4
                                        ; implicit-def: $vgpr8
	s_and_saveexec_b64 s[28:29], s[8:9]
	s_xor_b64 s[8:9], exec, s[28:29]
; %bb.447:                              ;   in Loop: Header=BB397_10 Depth=1
	v_bfe_u32 v4, v5, 16, 1
	v_add3_u32 v8, v5, v4, s39
                                        ; implicit-def: $vgpr5
; %bb.448:                              ;   in Loop: Header=BB397_10 Depth=1
	s_andn2_saveexec_b64 s[28:29], s[8:9]
; %bb.449:                              ;   in Loop: Header=BB397_10 Depth=1
	v_or_b32_e32 v4, 0x10000, v5
	v_cmp_eq_u32_sdwa s[8:9], v5, v47 src0_sel:WORD_0 src1_sel:DWORD
	v_cndmask_b32_e64 v8, v4, v5, s[8:9]
; %bb.450:                              ;   in Loop: Header=BB397_10 Depth=1
	s_or_b64 exec, exec, s[28:29]
	flat_load_dword v28, v[20:21] offset:2568
	v_mov_b32_e32 v9, 0
	s_waitcnt vmcnt(0) lgkmcnt(0)
	v_cmp_ne_u16_sdwa s[8:9], v28, v47 src0_sel:BYTE_0 src1_sel:DWORD
	s_and_saveexec_b64 s[28:29], s[8:9]
	s_cbranch_execz .LBB397_456
; %bb.451:                              ;   in Loop: Header=BB397_10 Depth=1
	v_cmp_ne_u16_sdwa s[8:9], v28, s21 src0_sel:BYTE_0 src1_sel:DWORD
	v_bfrev_b32_e32 v9, 1
	s_and_saveexec_b64 s[30:31], s[8:9]
	s_cbranch_execz .LBB397_455
; %bb.452:                              ;   in Loop: Header=BB397_10 Depth=1
	v_and_b32_e32 v5, 0x7f, v28
	v_cmp_ne_u32_e64 s[8:9], s37, v5
	v_mov_b32_e32 v9, 0x7f800001
	s_and_saveexec_b64 s[34:35], s[8:9]
	s_cbranch_execz .LBB397_454
; %bb.453:                              ;   in Loop: Header=BB397_10 Depth=1
	v_and_b32_e32 v4, 7, v28
	v_lshrrev_b32_e32 v9, 3, v5
	v_cmp_gt_u32_e64 s[8:9], 8, v5
	v_ffbh_u32_e32 v5, v4
	v_min_u32_e32 v5, 32, v5
	v_subrev_u32_e32 v24, 28, v5
	v_lshlrev_b64 v[24:25], v24, v[28:29]
	v_sub_u32_e32 v5, 29, v5
	v_and_b32_e32 v24, 7, v24
	v_cndmask_b32_e64 v5, v9, v5, s[8:9]
	v_cndmask_b32_e64 v4, v4, v24, s[8:9]
	v_lshlrev_b32_e32 v9, 24, v28
	v_lshlrev_b32_e32 v4, 20, v4
	v_and_b32_e32 v9, 0x80000000, v9
	v_lshl_add_u32 v5, v5, 23, v56
	v_or3_b32 v9, v9, v5, v4
.LBB397_454:                            ;   in Loop: Header=BB397_10 Depth=1
	s_or_b64 exec, exec, s[34:35]
.LBB397_455:                            ;   in Loop: Header=BB397_10 Depth=1
	s_or_b64 exec, exec, s[30:31]
.LBB397_456:                            ;   in Loop: Header=BB397_10 Depth=1
	s_or_b64 exec, exec, s[28:29]
	v_mul_f32_e32 v5, v59, v9
	v_and_b32_e32 v4, 0x7f800000, v5
	v_cmp_ne_u32_e64 s[8:9], s38, v4
                                        ; implicit-def: $vgpr9
	s_and_saveexec_b64 s[28:29], s[8:9]
	s_xor_b64 s[8:9], exec, s[28:29]
; %bb.457:                              ;   in Loop: Header=BB397_10 Depth=1
	v_bfe_u32 v4, v5, 16, 1
	v_add3_u32 v9, v5, v4, s39
                                        ; implicit-def: $vgpr5
; %bb.458:                              ;   in Loop: Header=BB397_10 Depth=1
	s_andn2_saveexec_b64 s[28:29], s[8:9]
; %bb.459:                              ;   in Loop: Header=BB397_10 Depth=1
	v_or_b32_e32 v4, 0x10000, v5
	v_cmp_eq_u32_sdwa s[8:9], v5, v47 src0_sel:WORD_0 src1_sel:DWORD
	v_cndmask_b32_e64 v9, v4, v5, s[8:9]
; %bb.460:                              ;   in Loop: Header=BB397_10 Depth=1
	s_or_b64 exec, exec, s[28:29]
	v_lshrrev_b16_e32 v30, 8, v28
	v_cmp_ne_u16_e64 s[8:9], 0, v30
	v_mov_b32_e32 v24, 0
	s_and_saveexec_b64 s[28:29], s[8:9]
	s_cbranch_execz .LBB397_466
; %bb.461:                              ;   in Loop: Header=BB397_10 Depth=1
	v_cmp_ne_u16_e64 s[8:9], s21, v30
	v_bfrev_b32_e32 v24, 1
	s_and_saveexec_b64 s[30:31], s[8:9]
	s_cbranch_execz .LBB397_465
; %bb.462:                              ;   in Loop: Header=BB397_10 Depth=1
	v_and_b32_e32 v5, 0x7f, v30
	v_cmp_ne_u32_e64 s[8:9], s37, v5
	v_mov_b32_e32 v24, 0x7f800001
	s_and_saveexec_b64 s[34:35], s[8:9]
	s_cbranch_execz .LBB397_464
; %bb.463:                              ;   in Loop: Header=BB397_10 Depth=1
	v_and_b32_e32 v4, 7, v30
	v_lshrrev_b32_e32 v39, 3, v5
	v_cmp_gt_u32_e64 s[8:9], 8, v5
	v_ffbh_u32_e32 v5, v4
	v_min_u32_e32 v5, 32, v5
	v_subrev_u32_e32 v24, 28, v5
	v_lshlrev_b64 v[24:25], v24, v[30:31]
	v_sub_u32_e32 v5, 29, v5
	v_and_b32_e32 v24, 7, v24
	v_cndmask_b32_e64 v5, v39, v5, s[8:9]
	v_cndmask_b32_e64 v4, v4, v24, s[8:9]
	v_lshlrev_b32_e32 v24, 16, v28
	v_lshlrev_b32_e32 v4, 20, v4
	v_and_b32_e32 v24, 0x80000000, v24
	v_lshl_add_u32 v5, v5, 23, v56
	v_or3_b32 v24, v24, v5, v4
.LBB397_464:                            ;   in Loop: Header=BB397_10 Depth=1
	s_or_b64 exec, exec, s[34:35]
.LBB397_465:                            ;   in Loop: Header=BB397_10 Depth=1
	s_or_b64 exec, exec, s[30:31]
.LBB397_466:                            ;   in Loop: Header=BB397_10 Depth=1
	s_or_b64 exec, exec, s[28:29]
	v_mul_f32_e32 v5, v59, v24
	v_and_b32_e32 v4, 0x7f800000, v5
	v_cmp_ne_u32_e64 s[8:9], s38, v4
                                        ; implicit-def: $vgpr43
	s_and_saveexec_b64 s[28:29], s[8:9]
	s_xor_b64 s[8:9], exec, s[28:29]
; %bb.467:                              ;   in Loop: Header=BB397_10 Depth=1
	v_bfe_u32 v4, v5, 16, 1
	v_add3_u32 v43, v5, v4, s39
                                        ; implicit-def: $vgpr5
; %bb.468:                              ;   in Loop: Header=BB397_10 Depth=1
	s_andn2_saveexec_b64 s[28:29], s[8:9]
; %bb.469:                              ;   in Loop: Header=BB397_10 Depth=1
	v_or_b32_e32 v4, 0x10000, v5
	v_cmp_eq_u32_sdwa s[8:9], v5, v47 src0_sel:WORD_0 src1_sel:DWORD
	v_cndmask_b32_e64 v43, v4, v5, s[8:9]
; %bb.470:                              ;   in Loop: Header=BB397_10 Depth=1
	s_or_b64 exec, exec, s[28:29]
	v_lshrrev_b32_e32 v30, 16, v28
	v_cmp_ne_u16_sdwa s[8:9], v30, v47 src0_sel:BYTE_0 src1_sel:DWORD
	v_mov_b32_e32 v24, 0
	s_and_saveexec_b64 s[28:29], s[8:9]
	s_cbranch_execz .LBB397_476
; %bb.471:                              ;   in Loop: Header=BB397_10 Depth=1
	v_cmp_ne_u16_sdwa s[8:9], v30, s21 src0_sel:BYTE_0 src1_sel:DWORD
	v_bfrev_b32_e32 v24, 1
	s_and_saveexec_b64 s[30:31], s[8:9]
	s_cbranch_execz .LBB397_475
; %bb.472:                              ;   in Loop: Header=BB397_10 Depth=1
	v_bfe_u32 v5, v28, 16, 7
	v_cmp_ne_u32_e64 s[8:9], s37, v5
	v_mov_b32_e32 v24, 0x7f800001
	s_and_saveexec_b64 s[34:35], s[8:9]
	s_cbranch_execz .LBB397_474
; %bb.473:                              ;   in Loop: Header=BB397_10 Depth=1
	v_and_b32_e32 v4, 7, v30
	v_lshrrev_b32_e32 v39, 3, v5
	v_cmp_gt_u32_e64 s[8:9], 8, v5
	v_ffbh_u32_e32 v5, v4
	v_min_u32_e32 v5, 32, v5
	v_subrev_u32_e32 v24, 28, v5
	v_lshlrev_b64 v[24:25], v24, v[30:31]
	v_sub_u32_e32 v5, 29, v5
	v_and_b32_e32 v24, 7, v24
	v_cndmask_b32_e64 v5, v39, v5, s[8:9]
	v_cndmask_b32_e64 v4, v4, v24, s[8:9]
	v_lshlrev_b32_e32 v24, 24, v30
	v_lshlrev_b32_e32 v4, 20, v4
	v_and_b32_e32 v24, 0x80000000, v24
	v_lshl_add_u32 v5, v5, 23, v56
	v_or3_b32 v24, v24, v5, v4
.LBB397_474:                            ;   in Loop: Header=BB397_10 Depth=1
	s_or_b64 exec, exec, s[34:35]
.LBB397_475:                            ;   in Loop: Header=BB397_10 Depth=1
	s_or_b64 exec, exec, s[30:31]
.LBB397_476:                            ;   in Loop: Header=BB397_10 Depth=1
	s_or_b64 exec, exec, s[28:29]
	v_mul_f32_e32 v5, v59, v24
	v_and_b32_e32 v4, 0x7f800000, v5
	v_cmp_ne_u32_e64 s[8:9], s38, v4
                                        ; implicit-def: $vgpr25
	s_and_saveexec_b64 s[28:29], s[8:9]
	s_xor_b64 s[8:9], exec, s[28:29]
; %bb.477:                              ;   in Loop: Header=BB397_10 Depth=1
	v_bfe_u32 v4, v5, 16, 1
	v_add3_u32 v25, v5, v4, s39
                                        ; implicit-def: $vgpr5
; %bb.478:                              ;   in Loop: Header=BB397_10 Depth=1
	s_andn2_saveexec_b64 s[28:29], s[8:9]
; %bb.479:                              ;   in Loop: Header=BB397_10 Depth=1
	v_or_b32_e32 v4, 0x10000, v5
	v_cmp_eq_u32_sdwa s[8:9], v5, v47 src0_sel:WORD_0 src1_sel:DWORD
	v_cndmask_b32_e64 v25, v4, v5, s[8:9]
; %bb.480:                              ;   in Loop: Header=BB397_10 Depth=1
	s_or_b64 exec, exec, s[28:29]
	v_cmp_lt_u32_e64 s[8:9], s40, v28
	v_mov_b32_e32 v24, 0
	s_and_saveexec_b64 s[28:29], s[8:9]
	s_cbranch_execz .LBB397_486
; %bb.481:                              ;   in Loop: Header=BB397_10 Depth=1
	v_lshrrev_b32_e32 v30, 24, v28
	v_cmp_ne_u32_e64 s[8:9], s21, v30
	v_bfrev_b32_e32 v24, 1
	s_and_saveexec_b64 s[30:31], s[8:9]
	s_cbranch_execz .LBB397_485
; %bb.482:                              ;   in Loop: Header=BB397_10 Depth=1
	v_bfe_u32 v5, v28, 24, 7
	v_cmp_ne_u32_e64 s[8:9], s37, v5
	v_mov_b32_e32 v24, 0x7f800001
	s_and_saveexec_b64 s[34:35], s[8:9]
	s_cbranch_execz .LBB397_484
; %bb.483:                              ;   in Loop: Header=BB397_10 Depth=1
	v_and_b32_e32 v4, 7, v30
	v_lshrrev_b32_e32 v24, 3, v5
	v_cmp_gt_u32_e64 s[8:9], 8, v5
	v_ffbh_u32_e32 v5, v4
	v_min_u32_e32 v5, 32, v5
	v_subrev_u32_e32 v28, 28, v5
	v_lshlrev_b64 v[60:61], v28, v[30:31]
	v_sub_u32_e32 v5, 29, v5
	v_and_b32_e32 v28, 7, v60
	v_cndmask_b32_e64 v5, v24, v5, s[8:9]
	v_cndmask_b32_e64 v4, v4, v28, s[8:9]
	v_lshlrev_b32_e32 v24, 24, v30
	v_lshlrev_b32_e32 v4, 20, v4
	v_and_b32_e32 v24, 0x80000000, v24
	v_lshl_add_u32 v5, v5, 23, v56
	v_or3_b32 v24, v24, v5, v4
.LBB397_484:                            ;   in Loop: Header=BB397_10 Depth=1
	s_or_b64 exec, exec, s[34:35]
.LBB397_485:                            ;   in Loop: Header=BB397_10 Depth=1
	s_or_b64 exec, exec, s[30:31]
.LBB397_486:                            ;   in Loop: Header=BB397_10 Depth=1
	s_or_b64 exec, exec, s[28:29]
	v_mul_f32_e32 v5, v59, v24
	v_and_b32_e32 v4, 0x7f800000, v5
	v_cmp_ne_u32_e64 s[8:9], s38, v4
                                        ; implicit-def: $vgpr24
	s_and_saveexec_b64 s[28:29], s[8:9]
	s_xor_b64 s[8:9], exec, s[28:29]
; %bb.487:                              ;   in Loop: Header=BB397_10 Depth=1
	v_bfe_u32 v4, v5, 16, 1
	v_add3_u32 v24, v5, v4, s39
                                        ; implicit-def: $vgpr5
; %bb.488:                              ;   in Loop: Header=BB397_10 Depth=1
	s_andn2_saveexec_b64 s[28:29], s[8:9]
; %bb.489:                              ;   in Loop: Header=BB397_10 Depth=1
	v_or_b32_e32 v4, 0x10000, v5
	v_cmp_eq_u32_sdwa s[8:9], v5, v47 src0_sel:WORD_0 src1_sel:DWORD
	v_cndmask_b32_e64 v24, v4, v5, s[8:9]
; %bb.490:                              ;   in Loop: Header=BB397_10 Depth=1
	s_or_b64 exec, exec, s[28:29]
	flat_load_dword v28, v[20:21] offset:3072
	v_mov_b32_e32 v30, 0
	s_waitcnt vmcnt(0) lgkmcnt(0)
	v_cmp_ne_u16_sdwa s[8:9], v28, v47 src0_sel:BYTE_0 src1_sel:DWORD
	s_and_saveexec_b64 s[28:29], s[8:9]
	s_cbranch_execz .LBB397_496
; %bb.491:                              ;   in Loop: Header=BB397_10 Depth=1
	v_cmp_ne_u16_sdwa s[8:9], v28, s21 src0_sel:BYTE_0 src1_sel:DWORD
	v_bfrev_b32_e32 v30, 1
	s_and_saveexec_b64 s[30:31], s[8:9]
	s_cbranch_execz .LBB397_495
; %bb.492:                              ;   in Loop: Header=BB397_10 Depth=1
	v_and_b32_e32 v5, 0x7f, v28
	v_cmp_ne_u32_e64 s[8:9], s37, v5
	v_mov_b32_e32 v30, 0x7f800001
	s_and_saveexec_b64 s[34:35], s[8:9]
	s_cbranch_execz .LBB397_494
; %bb.493:                              ;   in Loop: Header=BB397_10 Depth=1
	v_and_b32_e32 v4, 7, v28
	v_lshrrev_b32_e32 v30, 3, v5
	v_cmp_gt_u32_e64 s[8:9], 8, v5
	v_ffbh_u32_e32 v5, v4
	v_min_u32_e32 v5, 32, v5
	v_subrev_u32_e32 v39, 28, v5
	v_lshlrev_b64 v[60:61], v39, v[28:29]
	v_sub_u32_e32 v5, 29, v5
	v_and_b32_e32 v39, 7, v60
	v_cndmask_b32_e64 v5, v30, v5, s[8:9]
	v_cndmask_b32_e64 v4, v4, v39, s[8:9]
	v_lshlrev_b32_e32 v30, 24, v28
	v_lshlrev_b32_e32 v4, 20, v4
	v_and_b32_e32 v30, 0x80000000, v30
	v_lshl_add_u32 v5, v5, 23, v56
	v_or3_b32 v30, v30, v5, v4
.LBB397_494:                            ;   in Loop: Header=BB397_10 Depth=1
	s_or_b64 exec, exec, s[34:35]
.LBB397_495:                            ;   in Loop: Header=BB397_10 Depth=1
	s_or_b64 exec, exec, s[30:31]
.LBB397_496:                            ;   in Loop: Header=BB397_10 Depth=1
	s_or_b64 exec, exec, s[28:29]
	v_mul_f32_e32 v5, v59, v30
	v_and_b32_e32 v4, 0x7f800000, v5
	v_cmp_ne_u32_e64 s[8:9], s38, v4
                                        ; implicit-def: $vgpr58
	s_and_saveexec_b64 s[28:29], s[8:9]
	s_xor_b64 s[8:9], exec, s[28:29]
; %bb.497:                              ;   in Loop: Header=BB397_10 Depth=1
	v_bfe_u32 v4, v5, 16, 1
	v_add3_u32 v58, v5, v4, s39
                                        ; implicit-def: $vgpr5
; %bb.498:                              ;   in Loop: Header=BB397_10 Depth=1
	s_andn2_saveexec_b64 s[28:29], s[8:9]
; %bb.499:                              ;   in Loop: Header=BB397_10 Depth=1
	v_or_b32_e32 v4, 0x10000, v5
	v_cmp_eq_u32_sdwa s[8:9], v5, v47 src0_sel:WORD_0 src1_sel:DWORD
	v_cndmask_b32_e64 v58, v4, v5, s[8:9]
; %bb.500:                              ;   in Loop: Header=BB397_10 Depth=1
	s_or_b64 exec, exec, s[28:29]
	v_lshrrev_b16_e32 v30, 8, v28
	v_cmp_ne_u16_e64 s[8:9], 0, v30
	v_mov_b32_e32 v39, 0
	s_and_saveexec_b64 s[28:29], s[8:9]
	s_cbranch_execz .LBB397_506
; %bb.501:                              ;   in Loop: Header=BB397_10 Depth=1
	v_cmp_ne_u16_e64 s[8:9], s21, v30
	v_bfrev_b32_e32 v39, 1
	s_and_saveexec_b64 s[30:31], s[8:9]
	s_cbranch_execz .LBB397_505
; %bb.502:                              ;   in Loop: Header=BB397_10 Depth=1
	v_and_b32_e32 v5, 0x7f, v30
	v_cmp_ne_u32_e64 s[8:9], s37, v5
	v_mov_b32_e32 v39, 0x7f800001
	s_and_saveexec_b64 s[34:35], s[8:9]
	s_cbranch_execz .LBB397_504
; %bb.503:                              ;   in Loop: Header=BB397_10 Depth=1
	v_and_b32_e32 v4, 7, v30
	v_lshrrev_b32_e32 v39, 3, v5
	v_cmp_gt_u32_e64 s[8:9], 8, v5
	v_ffbh_u32_e32 v5, v4
	v_min_u32_e32 v5, 32, v5
	v_subrev_u32_e32 v60, 28, v5
	v_lshlrev_b64 v[60:61], v60, v[30:31]
	v_sub_u32_e32 v5, 29, v5
	v_and_b32_e32 v30, 7, v60
	v_cndmask_b32_e64 v5, v39, v5, s[8:9]
	v_cndmask_b32_e64 v4, v4, v30, s[8:9]
	v_lshlrev_b32_e32 v30, 16, v28
	v_lshlrev_b32_e32 v4, 20, v4
	v_and_b32_e32 v30, 0x80000000, v30
	v_lshl_add_u32 v5, v5, 23, v56
	v_or3_b32 v39, v30, v5, v4
.LBB397_504:                            ;   in Loop: Header=BB397_10 Depth=1
	s_or_b64 exec, exec, s[34:35]
.LBB397_505:                            ;   in Loop: Header=BB397_10 Depth=1
	s_or_b64 exec, exec, s[30:31]
.LBB397_506:                            ;   in Loop: Header=BB397_10 Depth=1
	s_or_b64 exec, exec, s[28:29]
	v_mul_f32_e32 v5, v59, v39
	v_and_b32_e32 v4, 0x7f800000, v5
	v_cmp_ne_u32_e64 s[8:9], s38, v4
                                        ; implicit-def: $vgpr60
	s_and_saveexec_b64 s[28:29], s[8:9]
	s_xor_b64 s[8:9], exec, s[28:29]
; %bb.507:                              ;   in Loop: Header=BB397_10 Depth=1
	v_bfe_u32 v4, v5, 16, 1
	v_add3_u32 v60, v5, v4, s39
                                        ; implicit-def: $vgpr5
; %bb.508:                              ;   in Loop: Header=BB397_10 Depth=1
	s_andn2_saveexec_b64 s[28:29], s[8:9]
; %bb.509:                              ;   in Loop: Header=BB397_10 Depth=1
	v_or_b32_e32 v4, 0x10000, v5
	v_cmp_eq_u32_sdwa s[8:9], v5, v47 src0_sel:WORD_0 src1_sel:DWORD
	v_cndmask_b32_e64 v60, v4, v5, s[8:9]
; %bb.510:                              ;   in Loop: Header=BB397_10 Depth=1
	s_or_b64 exec, exec, s[28:29]
	v_lshrrev_b32_e32 v30, 16, v28
	v_cmp_ne_u16_sdwa s[8:9], v30, v47 src0_sel:BYTE_0 src1_sel:DWORD
	v_mov_b32_e32 v39, 0
	s_and_saveexec_b64 s[28:29], s[8:9]
	s_cbranch_execz .LBB397_516
; %bb.511:                              ;   in Loop: Header=BB397_10 Depth=1
	v_cmp_ne_u16_sdwa s[8:9], v30, s21 src0_sel:BYTE_0 src1_sel:DWORD
	v_bfrev_b32_e32 v39, 1
	s_and_saveexec_b64 s[30:31], s[8:9]
	s_cbranch_execz .LBB397_515
; %bb.512:                              ;   in Loop: Header=BB397_10 Depth=1
	v_bfe_u32 v5, v28, 16, 7
	v_cmp_ne_u32_e64 s[8:9], s37, v5
	v_mov_b32_e32 v39, 0x7f800001
	s_and_saveexec_b64 s[34:35], s[8:9]
	s_cbranch_execz .LBB397_514
; %bb.513:                              ;   in Loop: Header=BB397_10 Depth=1
	v_and_b32_e32 v39, 7, v30
	v_ffbh_u32_e32 v4, v39
	v_min_u32_e32 v62, 32, v4
	v_subrev_u32_e32 v4, 28, v62
	v_lshrrev_b32_e32 v61, 3, v5
	v_cmp_gt_u32_e64 s[8:9], 8, v5
	v_lshlrev_b64 v[4:5], v4, v[30:31]
	v_sub_u32_e32 v5, 29, v62
	v_and_b32_e32 v4, 7, v4
	v_cndmask_b32_e64 v5, v61, v5, s[8:9]
	v_cndmask_b32_e64 v4, v39, v4, s[8:9]
	v_lshlrev_b32_e32 v30, 24, v30
	v_lshlrev_b32_e32 v4, 20, v4
	v_and_b32_e32 v30, 0x80000000, v30
	v_lshl_add_u32 v5, v5, 23, v56
	v_or3_b32 v39, v30, v5, v4
.LBB397_514:                            ;   in Loop: Header=BB397_10 Depth=1
	s_or_b64 exec, exec, s[34:35]
.LBB397_515:                            ;   in Loop: Header=BB397_10 Depth=1
	s_or_b64 exec, exec, s[30:31]
.LBB397_516:                            ;   in Loop: Header=BB397_10 Depth=1
	s_or_b64 exec, exec, s[28:29]
	v_mul_f32_e32 v5, v59, v39
	v_and_b32_e32 v4, 0x7f800000, v5
	v_cmp_ne_u32_e64 s[8:9], s38, v4
                                        ; implicit-def: $vgpr61
	s_and_saveexec_b64 s[28:29], s[8:9]
	s_xor_b64 s[8:9], exec, s[28:29]
; %bb.517:                              ;   in Loop: Header=BB397_10 Depth=1
	v_bfe_u32 v4, v5, 16, 1
	v_add3_u32 v61, v5, v4, s39
                                        ; implicit-def: $vgpr5
; %bb.518:                              ;   in Loop: Header=BB397_10 Depth=1
	s_andn2_saveexec_b64 s[28:29], s[8:9]
; %bb.519:                              ;   in Loop: Header=BB397_10 Depth=1
	v_or_b32_e32 v4, 0x10000, v5
	v_cmp_eq_u32_sdwa s[8:9], v5, v47 src0_sel:WORD_0 src1_sel:DWORD
	v_cndmask_b32_e64 v61, v4, v5, s[8:9]
; %bb.520:                              ;   in Loop: Header=BB397_10 Depth=1
	s_or_b64 exec, exec, s[28:29]
	v_cmp_lt_u32_e64 s[8:9], s40, v28
	v_mov_b32_e32 v39, 0
	s_and_saveexec_b64 s[28:29], s[8:9]
	s_cbranch_execz .LBB397_526
; %bb.521:                              ;   in Loop: Header=BB397_10 Depth=1
	v_lshrrev_b32_e32 v30, 24, v28
	v_cmp_ne_u32_e64 s[8:9], s21, v30
	v_bfrev_b32_e32 v39, 1
	s_and_saveexec_b64 s[30:31], s[8:9]
	s_cbranch_execz .LBB397_525
; %bb.522:                              ;   in Loop: Header=BB397_10 Depth=1
	v_bfe_u32 v5, v28, 24, 7
	v_cmp_ne_u32_e64 s[8:9], s37, v5
	v_mov_b32_e32 v39, 0x7f800001
	s_and_saveexec_b64 s[34:35], s[8:9]
	s_cbranch_execz .LBB397_524
; %bb.523:                              ;   in Loop: Header=BB397_10 Depth=1
	v_and_b32_e32 v28, 7, v30
	v_ffbh_u32_e32 v4, v28
	v_min_u32_e32 v62, 32, v4
	v_subrev_u32_e32 v4, 28, v62
	v_lshrrev_b32_e32 v39, 3, v5
	v_cmp_gt_u32_e64 s[8:9], 8, v5
	v_lshlrev_b64 v[4:5], v4, v[30:31]
	v_sub_u32_e32 v5, 29, v62
	v_and_b32_e32 v4, 7, v4
	v_cndmask_b32_e64 v5, v39, v5, s[8:9]
	v_cndmask_b32_e64 v4, v28, v4, s[8:9]
	v_lshlrev_b32_e32 v28, 24, v30
	v_lshlrev_b32_e32 v4, 20, v4
	v_and_b32_e32 v28, 0x80000000, v28
	v_lshl_add_u32 v5, v5, 23, v56
	v_or3_b32 v39, v28, v5, v4
.LBB397_524:                            ;   in Loop: Header=BB397_10 Depth=1
	s_or_b64 exec, exec, s[34:35]
.LBB397_525:                            ;   in Loop: Header=BB397_10 Depth=1
	s_or_b64 exec, exec, s[30:31]
.LBB397_526:                            ;   in Loop: Header=BB397_10 Depth=1
	s_or_b64 exec, exec, s[28:29]
	v_mul_f32_e32 v5, v59, v39
	v_and_b32_e32 v4, 0x7f800000, v5
	v_cmp_ne_u32_e64 s[8:9], s38, v4
                                        ; implicit-def: $vgpr30
	s_and_saveexec_b64 s[28:29], s[8:9]
	s_xor_b64 s[8:9], exec, s[28:29]
; %bb.527:                              ;   in Loop: Header=BB397_10 Depth=1
	v_bfe_u32 v4, v5, 16, 1
	v_add3_u32 v30, v5, v4, s39
                                        ; implicit-def: $vgpr5
; %bb.528:                              ;   in Loop: Header=BB397_10 Depth=1
	s_andn2_saveexec_b64 s[28:29], s[8:9]
; %bb.529:                              ;   in Loop: Header=BB397_10 Depth=1
	v_or_b32_e32 v4, 0x10000, v5
	v_cmp_eq_u32_sdwa s[8:9], v5, v47 src0_sel:WORD_0 src1_sel:DWORD
	v_cndmask_b32_e64 v30, v4, v5, s[8:9]
; %bb.530:                              ;   in Loop: Header=BB397_10 Depth=1
	s_or_b64 exec, exec, s[28:29]
	flat_load_dword v20, v[20:21] offset:3080
	v_mov_b32_e32 v21, 0
	s_waitcnt vmcnt(0) lgkmcnt(0)
	v_cmp_ne_u16_sdwa s[8:9], v20, v47 src0_sel:BYTE_0 src1_sel:DWORD
	s_and_saveexec_b64 s[28:29], s[8:9]
	s_cbranch_execz .LBB397_536
; %bb.531:                              ;   in Loop: Header=BB397_10 Depth=1
	v_cmp_ne_u16_sdwa s[8:9], v20, s21 src0_sel:BYTE_0 src1_sel:DWORD
	v_bfrev_b32_e32 v21, 1
	s_and_saveexec_b64 s[30:31], s[8:9]
	s_cbranch_execz .LBB397_535
; %bb.532:                              ;   in Loop: Header=BB397_10 Depth=1
	v_and_b32_e32 v5, 0x7f, v20
	v_cmp_ne_u32_e64 s[8:9], s37, v5
	v_mov_b32_e32 v21, 0x7f800001
	s_and_saveexec_b64 s[34:35], s[8:9]
	s_cbranch_execz .LBB397_534
; %bb.533:                              ;   in Loop: Header=BB397_10 Depth=1
	v_and_b32_e32 v21, 7, v20
	v_ffbh_u32_e32 v4, v21
	v_min_u32_e32 v39, 32, v4
	v_subrev_u32_e32 v4, 28, v39
	v_lshrrev_b32_e32 v28, 3, v5
	v_cmp_gt_u32_e64 s[8:9], 8, v5
	v_lshlrev_b64 v[4:5], v4, v[20:21]
	v_sub_u32_e32 v5, 29, v39
	v_and_b32_e32 v4, 7, v4
	v_cndmask_b32_e64 v5, v28, v5, s[8:9]
	v_cndmask_b32_e64 v4, v21, v4, s[8:9]
	v_lshlrev_b32_e32 v21, 24, v20
	v_lshlrev_b32_e32 v4, 20, v4
	v_and_b32_e32 v21, 0x80000000, v21
	v_lshl_add_u32 v5, v5, 23, v56
	v_or3_b32 v21, v21, v5, v4
.LBB397_534:                            ;   in Loop: Header=BB397_10 Depth=1
	s_or_b64 exec, exec, s[34:35]
.LBB397_535:                            ;   in Loop: Header=BB397_10 Depth=1
	s_or_b64 exec, exec, s[30:31]
.LBB397_536:                            ;   in Loop: Header=BB397_10 Depth=1
	s_or_b64 exec, exec, s[28:29]
	v_mul_f32_e32 v5, v59, v21
	v_and_b32_e32 v4, 0x7f800000, v5
	v_cmp_ne_u32_e64 s[8:9], s38, v4
                                        ; implicit-def: $vgpr21
	s_and_saveexec_b64 s[28:29], s[8:9]
	s_xor_b64 s[8:9], exec, s[28:29]
; %bb.537:                              ;   in Loop: Header=BB397_10 Depth=1
	v_bfe_u32 v4, v5, 16, 1
	v_add3_u32 v21, v5, v4, s39
                                        ; implicit-def: $vgpr5
; %bb.538:                              ;   in Loop: Header=BB397_10 Depth=1
	s_andn2_saveexec_b64 s[28:29], s[8:9]
; %bb.539:                              ;   in Loop: Header=BB397_10 Depth=1
	v_or_b32_e32 v4, 0x10000, v5
	v_cmp_eq_u32_sdwa s[8:9], v5, v47 src0_sel:WORD_0 src1_sel:DWORD
	v_cndmask_b32_e64 v21, v4, v5, s[8:9]
; %bb.540:                              ;   in Loop: Header=BB397_10 Depth=1
	s_or_b64 exec, exec, s[28:29]
	v_lshrrev_b16_e32 v28, 8, v20
	v_cmp_ne_u16_e64 s[8:9], 0, v28
	v_mov_b32_e32 v39, 0
	s_and_saveexec_b64 s[28:29], s[8:9]
	s_cbranch_execz .LBB397_546
; %bb.541:                              ;   in Loop: Header=BB397_10 Depth=1
	v_cmp_ne_u16_e64 s[8:9], s21, v28
	v_bfrev_b32_e32 v39, 1
	s_and_saveexec_b64 s[30:31], s[8:9]
	s_cbranch_execz .LBB397_545
; %bb.542:                              ;   in Loop: Header=BB397_10 Depth=1
	v_and_b32_e32 v5, 0x7f, v28
	v_cmp_ne_u32_e64 s[8:9], s37, v5
	v_mov_b32_e32 v39, 0x7f800001
	s_and_saveexec_b64 s[34:35], s[8:9]
	s_cbranch_execz .LBB397_544
; %bb.543:                              ;   in Loop: Header=BB397_10 Depth=1
	v_and_b32_e32 v39, 7, v28
	v_ffbh_u32_e32 v4, v39
	v_min_u32_e32 v35, 32, v4
	v_subrev_u32_e32 v4, 28, v35
	v_lshrrev_b32_e32 v62, 3, v5
	v_cmp_gt_u32_e64 s[8:9], 8, v5
	v_lshlrev_b64 v[4:5], v4, v[28:29]
	v_sub_u32_e32 v5, 29, v35
	v_and_b32_e32 v4, 7, v4
	v_cndmask_b32_e64 v5, v62, v5, s[8:9]
	v_cndmask_b32_e64 v4, v39, v4, s[8:9]
	v_lshlrev_b32_e32 v28, 16, v20
	v_lshlrev_b32_e32 v4, 20, v4
	v_and_b32_e32 v28, 0x80000000, v28
	v_lshl_add_u32 v5, v5, 23, v56
	v_or3_b32 v39, v28, v5, v4
.LBB397_544:                            ;   in Loop: Header=BB397_10 Depth=1
	s_or_b64 exec, exec, s[34:35]
.LBB397_545:                            ;   in Loop: Header=BB397_10 Depth=1
	s_or_b64 exec, exec, s[30:31]
.LBB397_546:                            ;   in Loop: Header=BB397_10 Depth=1
	s_or_b64 exec, exec, s[28:29]
	v_mul_f32_e32 v5, v59, v39
	v_and_b32_e32 v4, 0x7f800000, v5
	v_cmp_ne_u32_e64 s[8:9], s38, v4
                                        ; implicit-def: $vgpr62
	s_and_saveexec_b64 s[28:29], s[8:9]
	s_xor_b64 s[8:9], exec, s[28:29]
; %bb.547:                              ;   in Loop: Header=BB397_10 Depth=1
	v_bfe_u32 v4, v5, 16, 1
	v_add3_u32 v62, v5, v4, s39
                                        ; implicit-def: $vgpr5
; %bb.548:                              ;   in Loop: Header=BB397_10 Depth=1
	s_andn2_saveexec_b64 s[28:29], s[8:9]
; %bb.549:                              ;   in Loop: Header=BB397_10 Depth=1
	v_or_b32_e32 v4, 0x10000, v5
	v_cmp_eq_u32_sdwa s[8:9], v5, v47 src0_sel:WORD_0 src1_sel:DWORD
	v_cndmask_b32_e64 v62, v4, v5, s[8:9]
; %bb.550:                              ;   in Loop: Header=BB397_10 Depth=1
	s_or_b64 exec, exec, s[28:29]
	v_lshrrev_b32_e32 v28, 16, v20
	v_cmp_ne_u16_sdwa s[8:9], v28, v47 src0_sel:BYTE_0 src1_sel:DWORD
	v_mov_b32_e32 v39, 0
	s_and_saveexec_b64 s[28:29], s[8:9]
	s_cbranch_execz .LBB397_556
; %bb.551:                              ;   in Loop: Header=BB397_10 Depth=1
	v_cmp_ne_u16_sdwa s[8:9], v28, s21 src0_sel:BYTE_0 src1_sel:DWORD
	v_bfrev_b32_e32 v39, 1
	s_and_saveexec_b64 s[30:31], s[8:9]
	s_cbranch_execz .LBB397_555
; %bb.552:                              ;   in Loop: Header=BB397_10 Depth=1
	v_bfe_u32 v5, v20, 16, 7
	v_cmp_ne_u32_e64 s[8:9], s37, v5
	v_mov_b32_e32 v39, 0x7f800001
	s_and_saveexec_b64 s[34:35], s[8:9]
	s_cbranch_execz .LBB397_554
; %bb.553:                              ;   in Loop: Header=BB397_10 Depth=1
	v_and_b32_e32 v35, 7, v28
	v_ffbh_u32_e32 v4, v35
	v_min_u32_e32 v1, 32, v4
	v_subrev_u32_e32 v4, 28, v1
	v_lshrrev_b32_e32 v39, 3, v5
	v_cmp_gt_u32_e64 s[8:9], 8, v5
	v_lshlrev_b64 v[4:5], v4, v[28:29]
	v_sub_u32_e32 v5, 29, v1
	v_and_b32_e32 v4, 7, v4
	v_cndmask_b32_e64 v5, v39, v5, s[8:9]
	v_cndmask_b32_e64 v4, v35, v4, s[8:9]
	v_lshlrev_b32_e32 v28, 24, v28
	v_lshlrev_b32_e32 v4, 20, v4
	v_and_b32_e32 v28, 0x80000000, v28
	v_lshl_add_u32 v5, v5, 23, v56
	v_or3_b32 v39, v28, v5, v4
.LBB397_554:                            ;   in Loop: Header=BB397_10 Depth=1
	s_or_b64 exec, exec, s[34:35]
.LBB397_555:                            ;   in Loop: Header=BB397_10 Depth=1
	s_or_b64 exec, exec, s[30:31]
.LBB397_556:                            ;   in Loop: Header=BB397_10 Depth=1
	s_or_b64 exec, exec, s[28:29]
	v_mul_f32_e32 v5, v59, v39
	v_and_b32_e32 v4, 0x7f800000, v5
	v_cmp_ne_u32_e64 s[8:9], s38, v4
                                        ; implicit-def: $vgpr39
	s_and_saveexec_b64 s[28:29], s[8:9]
	s_xor_b64 s[8:9], exec, s[28:29]
; %bb.557:                              ;   in Loop: Header=BB397_10 Depth=1
	v_bfe_u32 v4, v5, 16, 1
	v_add3_u32 v39, v5, v4, s39
                                        ; implicit-def: $vgpr5
; %bb.558:                              ;   in Loop: Header=BB397_10 Depth=1
	s_andn2_saveexec_b64 s[28:29], s[8:9]
; %bb.559:                              ;   in Loop: Header=BB397_10 Depth=1
	v_or_b32_e32 v4, 0x10000, v5
	v_cmp_eq_u32_sdwa s[8:9], v5, v47 src0_sel:WORD_0 src1_sel:DWORD
	v_cndmask_b32_e64 v39, v4, v5, s[8:9]
; %bb.560:                              ;   in Loop: Header=BB397_10 Depth=1
	s_or_b64 exec, exec, s[28:29]
	v_cmp_lt_u32_e64 s[8:9], s40, v20
	v_mov_b32_e32 v5, 0
	s_and_saveexec_b64 s[28:29], s[8:9]
	s_cbranch_execz .LBB397_566
; %bb.561:                              ;   in Loop: Header=BB397_10 Depth=1
	v_lshrrev_b32_e32 v28, 24, v20
	v_cmp_ne_u32_e64 s[8:9], s21, v28
	v_bfrev_b32_e32 v5, 1
	s_and_saveexec_b64 s[30:31], s[8:9]
	s_cbranch_execz .LBB397_565
; %bb.562:                              ;   in Loop: Header=BB397_10 Depth=1
	v_bfe_u32 v20, v20, 24, 7
	v_cmp_ne_u32_e64 s[8:9], s37, v20
	v_mov_b32_e32 v5, 0x7f800001
	s_and_saveexec_b64 s[34:35], s[8:9]
	s_cbranch_execz .LBB397_564
; %bb.563:                              ;   in Loop: Header=BB397_10 Depth=1
	v_and_b32_e32 v35, 7, v28
	v_ffbh_u32_e32 v4, v35
	v_lshrrev_b32_e32 v1, 3, v20
	v_cmp_gt_u32_e64 s[8:9], 8, v20
	v_min_u32_e32 v20, 32, v4
	v_subrev_u32_e32 v4, 28, v20
	v_lshlrev_b64 v[4:5], v4, v[28:29]
	v_sub_u32_e32 v5, 29, v20
	v_and_b32_e32 v4, 7, v4
	v_cndmask_b32_e64 v5, v1, v5, s[8:9]
	v_cndmask_b32_e64 v4, v35, v4, s[8:9]
	v_lshlrev_b32_e32 v20, 24, v28
	v_lshlrev_b32_e32 v4, 20, v4
	v_and_b32_e32 v20, 0x80000000, v20
	v_lshl_add_u32 v5, v5, 23, v56
	v_or3_b32 v5, v20, v5, v4
.LBB397_564:                            ;   in Loop: Header=BB397_10 Depth=1
	s_or_b64 exec, exec, s[34:35]
.LBB397_565:                            ;   in Loop: Header=BB397_10 Depth=1
	s_or_b64 exec, exec, s[30:31]
.LBB397_566:                            ;   in Loop: Header=BB397_10 Depth=1
	s_or_b64 exec, exec, s[28:29]
	v_mul_f32_e32 v5, v59, v5
	v_and_b32_e32 v4, 0x7f800000, v5
	v_cmp_ne_u32_e64 s[8:9], s38, v4
                                        ; implicit-def: $vgpr20
	s_and_saveexec_b64 s[28:29], s[8:9]
	s_xor_b64 s[8:9], exec, s[28:29]
; %bb.567:                              ;   in Loop: Header=BB397_10 Depth=1
	v_bfe_u32 v4, v5, 16, 1
	v_add3_u32 v20, v5, v4, s39
                                        ; implicit-def: $vgpr5
; %bb.568:                              ;   in Loop: Header=BB397_10 Depth=1
	s_andn2_saveexec_b64 s[28:29], s[8:9]
; %bb.569:                              ;   in Loop: Header=BB397_10 Depth=1
	v_or_b32_e32 v4, 0x10000, v5
	v_cmp_eq_u32_sdwa s[8:9], v5, v47 src0_sel:WORD_0 src1_sel:DWORD
	v_cndmask_b32_e64 v20, v4, v5, s[8:9]
; %bb.570:                              ;   in Loop: Header=BB397_10 Depth=1
	s_or_b64 exec, exec, s[28:29]
	buffer_load_dword v1, off, s[0:3], s32 offset:212 ; 4-byte Folded Reload
	v_and_b32_e32 v4, 0xffff0000, v36
	v_and_b32_e32 v5, 0xffff0000, v37
	v_and_b32_e32 v35, 0xffff0000, v6
	v_and_b32_e32 v37, 0xffff0000, v38
	v_accvgpr_read_b32 v36, a39
	v_and_b32_e32 v0, 0xffff0000, v0
	s_waitcnt vmcnt(0)
	v_mul_f32_e32 v28, v1, v4
	buffer_load_dword v1, off, s[0:3], s32 offset:196 ; 4-byte Folded Reload
	v_and_b32_e32 v4, 0xffff0000, v11
	v_accvgpr_read_b32 v11, a40
	s_waitcnt vmcnt(0)
	v_fmac_f32_e32 v28, v1, v5
	buffer_load_dword v1, off, s[0:3], s32 offset:216 ; 4-byte Folded Reload
	s_waitcnt vmcnt(0)
	v_mul_f32_e32 v5, v1, v4
	buffer_load_dword v1, off, s[0:3], s32 offset:200 ; 4-byte Folded Reload
	v_and_b32_e32 v4, 0xffff0000, v10
	v_accvgpr_read_b32 v10, a41
	s_waitcnt vmcnt(0)
	v_fmac_f32_e32 v5, v1, v35
	buffer_load_dword v1, off, s[0:3], s32 offset:220 ; 4-byte Folded Reload
	v_and_b32_e32 v35, 0xffff0000, v13
	s_waitcnt vmcnt(0)
	v_mul_f32_e32 v4, v1, v4
	buffer_load_dword v1, off, s[0:3], s32 offset:204 ; 4-byte Folded Reload
	s_waitcnt vmcnt(0)
	v_fmac_f32_e32 v4, v1, v35
	v_accvgpr_read_b32 v1, a27
	v_and_b32_e32 v35, 0xffff0000, v1
	buffer_load_dword v1, off, s[0:3], s32 offset:224 ; 4-byte Folded Reload
	s_waitcnt vmcnt(0)
	v_mul_f32_e32 v35, v1, v35
	buffer_load_dword v1, off, s[0:3], s32 offset:208 ; 4-byte Folded Reload
	s_waitcnt vmcnt(0)
	v_fmac_f32_e32 v35, v1, v37
	v_accvgpr_read_b32 v1, a9
	v_and_b32_e32 v37, 0xffff0000, v1
	buffer_load_dword v1, off, s[0:3], s32 offset:228 ; 4-byte Folded Reload
	s_waitcnt vmcnt(0)
	v_fmac_f32_e32 v28, v1, v37
	v_accvgpr_read_b32 v1, a6
	v_and_b32_e32 v6, 0xffff0000, v1
	v_accvgpr_read_b32 v37, a36
	v_accvgpr_read_b32 v1, a31
	v_fmac_f32_e32 v5, v37, v6
	v_and_b32_e32 v6, 0xffff0000, v1
	v_accvgpr_read_b32 v37, a37
	v_accvgpr_read_b32 v1, a3
	v_fmac_f32_e32 v4, v37, v6
	;; [unrolled: 4-line block ×3, first 2 shown]
	v_and_b32_e32 v6, 0xffff0000, v1
	v_accvgpr_read_b32 v1, a33
	v_fmac_f32_e32 v28, v36, v6
	v_and_b32_e32 v6, 0xffff0000, v1
	v_accvgpr_read_b32 v1, a34
	v_fmac_f32_e32 v5, v11, v6
	;; [unrolled: 3-line block ×4, first 2 shown]
	v_accvgpr_read_b32 v1, a43
	v_fmac_f32_e32 v28, v1, v0
	v_and_b32_e32 v0, 0xffff0000, v3
	v_accvgpr_read_b32 v1, a44
	v_fmac_f32_e32 v5, v1, v0
	v_and_b32_e32 v0, 0xffff0000, v2
	;; [unrolled: 3-line block ×39, first 2 shown]
	v_accvgpr_read_b32 v1, a8
	v_fmac_f32_e32 v35, v1, v0
	v_add_f32_e32 v0, v28, v5
	v_add_f32_e32 v0, v0, v4
	;; [unrolled: 1-line block ×3, first 2 shown]
	v_accvgpr_read_b32 v1, a5
	ds_bpermute_b32 v1, v1, v0
	s_and_saveexec_b64 s[28:29], vcc
	s_cbranch_execz .LBB397_9
; %bb.571:                              ;   in Loop: Header=BB397_10 Depth=1
	s_waitcnt lgkmcnt(0)
	v_add_f32_e32 v0, v0, v1
	buffer_load_dword v1, off, s[0:3], s32 offset:232 ; 4-byte Folded Reload
	v_sub_u32_e32 v2, 1, v32
	v_add_u32_e32 v2, v2, v45
	v_cvt_f32_i32_e32 v2, v2
	s_load_dword s8, s[24:25], 0x0
	v_accvgpr_read_b32 v3, a24
	s_waitcnt vmcnt(0)
	v_mul_f32_e32 v1, v1, v2
	v_cndmask_b32_e64 v1, 0, v1, s[6:7]
	s_waitcnt lgkmcnt(0)
	v_add_u32_e32 v2, s8, v46
	v_fmac_f32_e32 v1, v0, v3
	v_cmp_lt_i32_e64 s[8:9], v45, v32
	v_cndmask_b32_e64 v0, 0, v1, s[8:9]
	ds_write_b32 v2, v0
	buffer_load_dword v2, off, s[0:3], s32 offset:192 ; 4-byte Folded Reload
	s_waitcnt vmcnt(0)
	v_max_f32_e32 v0, v2, v2
	v_max_f32_e32 v0, v0, v1
	v_cndmask_b32_e64 v2, v2, v0, s[8:9]
	buffer_store_dword v2, off, s[0:3], s32 offset:192 ; 4-byte Folded Spill
	s_branch .LBB397_9
.LBB397_572:
	s_or_b64 exec, exec, s[26:27]
	buffer_load_dword v14, off, s[0:3], s32 offset:236 ; 4-byte Folded Reload
	buffer_load_dword v15, off, s[0:3], s32 offset:320 ; 4-byte Folded Reload
	;; [unrolled: 1-line block ×21, first 2 shown]
.LBB397_573:
	s_or_b64 exec, exec, s[10:11]
	s_waitcnt vmcnt(2)
	v_xor_b32_e32 v0, 32, v12
	s_waitcnt vmcnt(1)
	v_cmp_lt_i32_e32 vcc, v0, v18
	v_cndmask_b32_e32 v0, v12, v0, vcc
	v_lshlrev_b32_e32 v2, 2, v0
	s_waitcnt vmcnt(0)
	ds_bpermute_b32 v0, v2, v13
	v_xor_b32_e32 v3, 16, v12
	s_waitcnt lgkmcnt(0)
	v_max_f32_e32 v1, v13, v13
	v_cmp_lt_i32_e32 vcc, v3, v18
	v_xor_b32_e32 v4, 8, v12
	v_max_f32_e32 v0, v0, v0
	v_max_f32_e32 v0, v1, v0
	v_cndmask_b32_e32 v1, v12, v3, vcc
	v_lshlrev_b32_e32 v3, 2, v1
	ds_bpermute_b32 v1, v3, v0
	v_cmp_lt_i32_e32 vcc, v4, v18
	v_xor_b32_e32 v5, 4, v12
	v_xor_b32_e32 v6, 2, v12
	v_and_b32_e32 v22, 63, v14
	s_waitcnt lgkmcnt(0)
	v_max_f32_e32 v1, v1, v1
	v_max_f32_e32 v0, v0, v1
	v_cndmask_b32_e32 v1, v12, v4, vcc
	v_lshlrev_b32_e32 v4, 2, v1
	ds_bpermute_b32 v1, v4, v0
	v_cmp_lt_i32_e32 vcc, v5, v18
	s_lshr_b32 s23, s23, 16
	s_waitcnt lgkmcnt(0)
	v_max_f32_e32 v1, v1, v1
	v_max_f32_e32 v0, v0, v1
	v_cndmask_b32_e32 v1, v12, v5, vcc
	v_lshlrev_b32_e32 v5, 2, v1
	ds_bpermute_b32 v1, v5, v0
	v_cmp_lt_i32_e32 vcc, v6, v18
	s_waitcnt lgkmcnt(0)
	v_max_f32_e32 v1, v1, v1
	v_max_f32_e32 v0, v0, v1
	v_cndmask_b32_e32 v1, v12, v6, vcc
	v_lshlrev_b32_e32 v23, 2, v1
	ds_bpermute_b32 v1, v23, v0
	v_cmp_eq_u32_e32 vcc, 0, v22
	v_lshlrev_b32_e32 v6, 2, v36
	s_and_saveexec_b64 s[6:7], vcc
	s_cbranch_execz .LBB397_575
; %bb.574:
	s_waitcnt lgkmcnt(0)
	v_max_f32_e32 v1, v1, v1
	v_max_f32_e32 v0, v0, v0
	;; [unrolled: 1-line block ×3, first 2 shown]
	ds_write_b32 v6, v0 offset:224
.LBB397_575:
	s_or_b64 exec, exec, s[6:7]
	v_cmp_gt_u32_e64 s[6:7], 2, v22
	v_mov_b32_e32 v0, 0xff7fffff
	v_lshlrev_b32_e32 v7, 2, v22
	s_waitcnt lgkmcnt(0)
	s_barrier
	s_and_saveexec_b64 s[8:9], s[6:7]
	s_cbranch_execz .LBB397_577
; %bb.576:
	ds_read_b32 v0, v7 offset:224
.LBB397_577:
	s_or_b64 exec, exec, s[8:9]
	buffer_load_dword v8, off, s[0:3], s32 offset:188 ; 4-byte Folded Reload
	v_xor_b32_e32 v1, 1, v12
	v_cmp_lt_i32_e64 s[8:9], v1, v18
	v_cndmask_b32_e64 v1, v12, v1, s[8:9]
	v_lshlrev_b32_e32 v24, 2, v1
	s_waitcnt lgkmcnt(0)
	ds_bpermute_b32 v1, v24, v0
	v_max_f32_e32 v0, v0, v0
	v_mov_b32_e32 v19, 0
	s_waitcnt lgkmcnt(0)
	v_max_f32_e32 v1, v1, v1
	v_max_f32_e32 v0, v0, v1
	v_lshlrev_b32_e32 v1, 2, v12
	s_waitcnt vmcnt(0)
	v_subrev_u32_e32 v8, s15, v8
	v_lshl_add_u32 v9, v8, 5, s36
	v_and_b32_e32 v8, 0xffffff00, v1
	ds_bpermute_b32 v0, v8, v0
	v_min_i32_e32 v9, v9, v32
	v_subrev_u32_e32 v1, s36, v9
	v_cmp_lt_i32_e64 s[8:9], v14, v1
	s_and_saveexec_b64 s[24:25], s[8:9]
	s_cbranch_execz .LBB397_581
; %bb.578:
	s_ashr_i32 s21, s20, 31
	s_lshl_b64 s[10:11], s[20:21], 2
	s_getpc_b64 s[26:27]
	s_add_u32 s26, s26, llvm.amdgcn.dynlds.offset.table@rel32@lo+4
	s_addc_u32 s27, s27, llvm.amdgcn.dynlds.offset.table@rel32@hi+12
	s_add_u32 s10, s10, s26
	s_addc_u32 s11, s11, s27
	s_load_dword s10, s[10:11], 0x0
	s_mov_b64 s[26:27], 0
	v_mov_b32_e32 v19, 0
	v_mov_b32_e32 v12, v14
	s_waitcnt lgkmcnt(0)
	v_lshl_add_u32 v18, v14, 2, s10
.LBB397_579:                            ; =>This Inner Loop Header: Depth=1
	ds_read_b32 v13, v18
	v_add_u32_e32 v12, 0x80, v12
	v_cmp_ge_i32_e64 s[10:11], v12, v1
	s_or_b64 s[26:27], s[10:11], s[26:27]
	s_waitcnt lgkmcnt(0)
	v_sub_f32_e32 v13, v13, v0
	v_mul_f32_e32 v13, 0x3fb8aa3b, v13
	v_exp_f32_e32 v13, v13
	ds_write_b32 v18, v13
	v_add_f32_e32 v19, v19, v13
	v_add_u32_e32 v18, 0x200, v18
	s_andn2_b64 exec, exec, s[26:27]
	s_cbranch_execnz .LBB397_579
; %bb.580:
	s_or_b64 exec, exec, s[26:27]
.LBB397_581:
	s_or_b64 exec, exec, s[24:25]
	ds_bpermute_b32 v2, v2, v19
	s_waitcnt lgkmcnt(0)
	v_add_f32_e32 v2, v19, v2
	ds_bpermute_b32 v3, v3, v2
	s_waitcnt lgkmcnt(0)
	v_add_f32_e32 v2, v2, v3
	;; [unrolled: 3-line block ×6, first 2 shown]
	s_and_saveexec_b64 s[10:11], vcc
	s_cbranch_execz .LBB397_583
; %bb.582:
	ds_write_b32 v6, v2 offset:232
.LBB397_583:
	s_or_b64 exec, exec, s[10:11]
	s_waitcnt lgkmcnt(0)
	s_barrier
	s_and_saveexec_b64 s[10:11], s[6:7]
	s_cbranch_execz .LBB397_585
; %bb.584:
	ds_read_b32 v2, v7 offset:232
.LBB397_585:
	s_or_b64 exec, exec, s[10:11]
	s_waitcnt lgkmcnt(0)
	ds_bpermute_b32 v3, v24, v2
	s_waitcnt lgkmcnt(0)
	v_add_f32_e32 v2, v2, v3
	ds_bpermute_b32 v2, v8, v2
	s_and_saveexec_b64 s[6:7], s[8:9]
	s_cbranch_execz .LBB397_598
; %bb.586:
	s_waitcnt lgkmcnt(0)
	v_add_f32_e32 v3, 0x358637bd, v2
	v_div_scale_f32 v4, s[8:9], v3, v3, 1.0
	v_rcp_f32_e32 v5, v4
	v_div_scale_f32 v6, vcc, 1.0, v3, 1.0
	s_movk_i32 s8, 0x7f
	v_fma_f32 v7, -v4, v5, 1.0
	v_fmac_f32_e32 v5, v7, v5
	v_mul_f32_e32 v7, v6, v5
	v_fma_f32 v8, -v4, v7, v6
	v_fmac_f32_e32 v7, v8, v5
	v_fma_f32 v4, -v4, v7, v6
	v_div_fmas_f32 v4, v4, v5, v7
	v_div_fixup_f32 v8, v4, v3, 1.0
	v_xad_u32 v3, v14, -1, v9
	v_subrev_u32_e32 v4, s36, v3
	v_cmp_lt_u32_e32 vcc, s8, v4
	s_mov_b64 s[10:11], -1
	v_mov_b32_e32 v3, v14
	s_and_saveexec_b64 s[8:9], vcc
	s_cbranch_execz .LBB397_595
; %bb.587:
	v_lshrrev_b32_e32 v3, 7, v4
	v_add_u32_e32 v5, -1, v3
	v_lshrrev_b32_e32 v4, 1, v5
	v_mov_b32_e32 v9, v8
	v_add_u32_e32 v4, 1, v4
	v_cmp_lt_u32_e32 vcc, 13, v5
	v_mov_b32_e32 v7, 0
	s_and_saveexec_b64 s[10:11], vcc
	s_cbranch_execz .LBB397_591
; %bb.588:
	s_ashr_i32 s21, s20, 31
	s_lshl_b64 s[24:25], s[20:21], 2
	s_getpc_b64 s[26:27]
	s_add_u32 s26, s26, llvm.amdgcn.dynlds.offset.table@rel32@lo+4
	s_addc_u32 s27, s27, llvm.amdgcn.dynlds.offset.table@rel32@hi+12
	s_add_u32 s24, s24, s26
	s_addc_u32 s25, s25, s27
	s_load_dword s21, s[24:25], 0x0
	v_and_b32_e32 v5, -8, v4
	s_mov_b32 s15, 0
	s_mov_b64 s[24:25], 0
	s_waitcnt lgkmcnt(0)
	v_lshl_add_u32 v6, v14, 2, s21
.LBB397_589:                            ; =>This Inner Loop Header: Depth=1
	ds_read2st64_b32 v[28:29], v6 offset1:2
	ds_read2st64_b32 v[12:13], v6 offset0:4 offset1:6
	ds_read2st64_b32 v[20:21], v6 offset0:8 offset1:10
	;; [unrolled: 1-line block ×3, first 2 shown]
	v_add_u32_e32 v5, -8, v5
	s_waitcnt lgkmcnt(3)
	v_pk_mul_f32 v[28:29], v[8:9], v[28:29]
	s_waitcnt lgkmcnt(2)
	v_pk_mul_f32 v[12:13], v[8:9], v[12:13]
	ds_write2st64_b32 v6, v28, v29 offset1:2
	ds_write2st64_b32 v6, v12, v13 offset0:4 offset1:6
	ds_read2st64_b32 v[12:13], v6 offset0:16 offset1:18
	s_waitcnt lgkmcnt(4)
	v_pk_mul_f32 v[20:21], v[8:9], v[20:21]
	s_waitcnt lgkmcnt(3)
	v_pk_mul_f32 v[18:19], v[8:9], v[18:19]
	ds_write2st64_b32 v6, v20, v21 offset0:8 offset1:10
	ds_write2st64_b32 v6, v18, v19 offset0:12 offset1:14
	s_waitcnt lgkmcnt(2)
	v_pk_mul_f32 v[12:13], v[8:9], v[12:13]
	ds_read2st64_b32 v[20:21], v6 offset0:20 offset1:22
	ds_read2st64_b32 v[18:19], v6 offset0:24 offset1:26
	ds_write2st64_b32 v6, v12, v13 offset0:16 offset1:18
	ds_read2st64_b32 v[12:13], v6 offset0:28 offset1:30
	s_add_i32 s15, s15, 16
	s_waitcnt lgkmcnt(3)
	v_pk_mul_f32 v[20:21], v[8:9], v[20:21]
	s_waitcnt lgkmcnt(2)
	v_pk_mul_f32 v[18:19], v[8:9], v[18:19]
	v_cmp_eq_u32_e32 vcc, 0, v5
	s_waitcnt lgkmcnt(0)
	v_pk_mul_f32 v[12:13], v[8:9], v[12:13]
	ds_write2st64_b32 v6, v20, v21 offset0:20 offset1:22
	ds_write2st64_b32 v6, v18, v19 offset0:24 offset1:26
	;; [unrolled: 1-line block ×3, first 2 shown]
	v_add_u32_e32 v6, 0x2000, v6
	s_or_b64 s[24:25], vcc, s[24:25]
	v_mov_b32_e32 v7, s15
	s_andn2_b64 exec, exec, s[24:25]
	s_cbranch_execnz .LBB397_589
; %bb.590:
	s_or_b64 exec, exec, s[24:25]
	buffer_load_dword v14, off, s[0:3], s32 offset:236 ; 4-byte Folded Reload
.LBB397_591:
	s_or_b64 exec, exec, s[10:11]
	v_and_b32_e32 v4, 7, v4
	v_cmp_ne_u32_e32 vcc, 0, v4
	s_and_saveexec_b64 s[10:11], vcc
	s_cbranch_execz .LBB397_594
; %bb.592:
	s_ashr_i32 s21, s20, 31
	s_lshl_b64 s[24:25], s[20:21], 2
	s_getpc_b64 s[26:27]
	s_add_u32 s26, s26, llvm.amdgcn.dynlds.offset.table@rel32@lo+4
	s_addc_u32 s27, s27, llvm.amdgcn.dynlds.offset.table@rel32@hi+12
	s_add_u32 s24, s24, s26
	s_addc_u32 s25, s25, s27
	s_load_dword s15, s[24:25], 0x0
	v_lshlrev_b32_e32 v5, 9, v7
	s_waitcnt vmcnt(0)
	v_lshlrev_b32_e32 v6, 2, v14
	s_mov_b64 s[24:25], 0
	s_waitcnt lgkmcnt(0)
	v_add3_u32 v5, v5, v6, s15
.LBB397_593:                            ; =>This Inner Loop Header: Depth=1
	ds_read2st64_b32 v[6:7], v5 offset1:2
	v_add_u32_e32 v4, -1, v4
	v_cmp_eq_u32_e32 vcc, 0, v4
	s_or_b64 s[24:25], vcc, s[24:25]
	s_waitcnt lgkmcnt(0)
	v_pk_mul_f32 v[6:7], v[8:9], v[6:7]
	ds_write2st64_b32 v5, v6, v7 offset1:2
	v_add_u32_e32 v5, 0x400, v5
	s_andn2_b64 exec, exec, s[24:25]
	s_cbranch_execnz .LBB397_593
.LBB397_594:
	s_or_b64 exec, exec, s[10:11]
	v_add_u32_e32 v4, 1, v3
	v_and_b32_e32 v5, 0x3fffffe, v4
	v_cmp_ne_u32_e32 vcc, v4, v5
	s_waitcnt vmcnt(0)
	v_lshl_add_u32 v3, v5, 7, v14
	s_orn2_b64 s[10:11], vcc, exec
.LBB397_595:
	s_or_b64 exec, exec, s[8:9]
	s_and_b64 exec, exec, s[10:11]
	s_cbranch_execz .LBB397_598
; %bb.596:
	s_ashr_i32 s21, s20, 31
	s_lshl_b64 s[8:9], s[20:21], 2
	s_getpc_b64 s[10:11]
	s_add_u32 s10, s10, llvm.amdgcn.dynlds.offset.table@rel32@lo+4
	s_addc_u32 s11, s11, llvm.amdgcn.dynlds.offset.table@rel32@hi+12
	s_add_u32 s8, s8, s10
	s_addc_u32 s9, s9, s11
	s_load_dword s8, s[8:9], 0x0
	s_waitcnt lgkmcnt(0)
	v_lshl_add_u32 v4, v3, 2, s8
	s_mov_b64 s[8:9], 0
.LBB397_597:                            ; =>This Inner Loop Header: Depth=1
	ds_read_b32 v5, v4
	v_add_u32_e32 v3, 0x80, v3
	v_cmp_ge_i32_e32 vcc, v3, v1
	s_or_b64 s[8:9], vcc, s[8:9]
	s_waitcnt lgkmcnt(0)
	v_mul_f32_e32 v5, v8, v5
	ds_write_b32 v4, v5
	v_add_u32_e32 v4, 0x200, v4
	s_andn2_b64 exec, exec, s[8:9]
	s_cbranch_execnz .LBB397_597
.LBB397_598:
	s_or_b64 exec, exec, s[6:7]
	v_cmp_ne_u16_e64 s[6:7], s23, 0
	s_cmp_lg_u64 s[6:7], 0
	s_addc_u32 s23, s13, 0
	v_cmp_eq_u32_e32 vcc, 0, v14
	s_waitcnt lgkmcnt(0)
	s_barrier
	s_and_saveexec_b64 s[6:7], vcc
	s_cbranch_execz .LBB397_600
; %bb.599:
	s_mul_i32 s8, s23, s18
	s_mul_i32 s8, s8, s19
	s_mul_i32 s10, s23, s12
	s_ashr_i32 s9, s8, 31
	s_ashr_i32 s11, s10, 31
	;; [unrolled: 1-line block ×3, first 2 shown]
	s_lshl_b64 s[8:9], s[8:9], 2
	s_lshl_b64 s[10:11], s[10:11], 2
	;; [unrolled: 1-line block ×3, first 2 shown]
	s_add_u32 s10, s12, s10
	s_addc_u32 s11, s13, s11
	s_add_u32 s8, s10, s8
	s_addc_u32 s9, s11, s9
	v_mov_b32_e32 v1, s9
	v_add_co_u32_e32 v4, vcc, s8, v35
	v_addc_co_u32_e32 v5, vcc, v1, v34, vcc
	flat_store_dword v[4:5], v0
	v_add_co_u32_e32 v0, vcc, s8, v33
	v_addc_co_u32_e32 v1, vcc, v1, v25, vcc
	flat_store_dword v[0:1], v2
.LBB397_600:
	s_or_b64 exec, exec, s[6:7]
	v_mov_b32_e32 v34, 0
	v_and_b32_e32 v25, 3, v14
	v_mov_b32_e32 v13, 0
	v_mov_b32_e32 v12, 0
	;; [unrolled: 1-line block ×6, first 2 shown]
	s_and_saveexec_b64 s[6:7], s[4:5]
	s_cbranch_execz .LBB397_1434
; %bb.601:
	flat_load_dword v26, v[26:27]
	v_add_co_u32_e32 v0, vcc, v10, v48
	v_add_u32_e32 v3, -1, v37
	s_ashr_i32 s21, s20, 31
	v_addc_co_u32_e32 v1, vcc, v11, v49, vcc
	v_accvgpr_write_b32 a9, v3
	v_and_b32_e32 v3, 0x1f8, v31
	s_lshl_b64 s[4:5], s[20:21], 2
	v_add_co_u32_e32 v0, vcc, v0, v3
	s_getpc_b64 s[8:9]
	s_add_u32 s8, s8, llvm.amdgcn.dynlds.offset.table@rel32@lo+4
	s_addc_u32 s9, s9, llvm.amdgcn.dynlds.offset.table@rel32@hi+12
	v_addc_co_u32_e32 v1, vcc, 0, v1, vcc
	s_add_u32 s4, s4, s8
	v_accvgpr_write_b32 a11, v1
	s_addc_u32 s5, s5, s9
	v_accvgpr_write_b32 a10, v0
	v_lshlrev_b64 v[0:1], 2, v[16:17]
	s_load_dword s4, s[4:5], 0x0
	v_add_co_u32_e32 v0, vcc, v38, v0
	v_addc_co_u32_e32 v1, vcc, v39, v1, vcc
	v_and_b32_e32 v2, 24, v31
	v_add_co_u32_e32 v14, vcc, v30, v0
	v_lshl_add_u32 v0, v36, 5, s36
	v_add3_u32 v17, v0, v2, 7
	v_lshlrev_b32_e32 v0, 5, v25
	s_mov_b32 s8, -1
	v_lshl_or_b32 v0, v36, 7, v0
	v_accvgpr_write_b32 a7, v24
	v_accvgpr_write_b32 a6, v23
	;; [unrolled: 1-line block ×3, first 2 shown]
	s_mov_b32 s9, 0xffffff
	v_mov_b32_e32 v11, 0
	v_addc_co_u32_e32 v15, vcc, v15, v1, vcc
	v_accvgpr_write_b32 a8, v25
	s_waitcnt lgkmcnt(0)
	v_add_u32_e32 v35, s4, v0
	s_mov_b64 s[10:11], 0
	s_mov_b32 s15, 0x7f800000
	s_movk_i32 s21, 0x7fff
	s_movk_i32 s28, 0x80
	;; [unrolled: 1-line block ×3, first 2 shown]
	v_mov_b32_e32 v20, 0
	v_mov_b32_e32 v21, 0
	;; [unrolled: 1-line block ×7, first 2 shown]
	s_branch .LBB397_603
.LBB397_602:                            ;   in Loop: Header=BB397_603 Depth=1
	s_or_b64 exec, exec, s[4:5]
	v_accvgpr_read_b32 v4, a15
	v_and_b32_e32 v25, 0xffff0000, v4
	v_accvgpr_read_b32 v4, a13
	v_and_b32_e32 v24, 0xffff0000, v4
	;; [unrolled: 2-line block ×3, first 2 shown]
	v_and_b32_e32 v44, 0xffff0000, v30
	v_accvgpr_read_b32 v4, a19
	v_pk_add_f32 v[24:25], v[44:45], v[24:25]
	v_and_b32_e32 v45, 0xffff0000, v4
	v_accvgpr_read_b32 v4, a17
	v_and_b32_e32 v44, 0xffff0000, v4
	v_accvgpr_read_b32 v4, a18
	v_and_b32_e32 v47, 0xffff0000, v4
	v_accvgpr_read_b32 v4, a16
	v_and_b32_e32 v46, 0xffff0000, v4
	v_pk_add_f32 v[44:45], v[46:47], v[44:45]
	v_add_f32_e32 v4, v24, v25
	v_add_f32_e32 v4, v4, v44
	v_accvgpr_read_b32 v24, a2
	v_accvgpr_read_b32 v30, a1
	v_add_f32_e32 v4, v4, v45
	v_and_b32_e32 v25, 0xffff0000, v24
	v_accvgpr_read_b32 v24, a0
	v_and_b32_e32 v45, 0xffff0000, v30
	v_accvgpr_read_b32 v30, a27
	v_and_b32_e32 v24, 0xffff0000, v24
	v_and_b32_e32 v44, 0xffff0000, v30
	v_add_f32_e32 v20, v20, v4
	v_accvgpr_read_b32 v4, a30
	v_pk_add_f32 v[24:25], v[44:45], v[24:25]
	v_and_b32_e32 v45, 0xffff0000, v4
	v_accvgpr_read_b32 v4, a28
	v_and_b32_e32 v44, 0xffff0000, v4
	v_accvgpr_read_b32 v4, a29
	;; [unrolled: 2-line block ×3, first 2 shown]
	v_and_b32_e32 v46, 0xffff0000, v4
	v_pk_add_f32 v[44:45], v[46:47], v[44:45]
	v_add_f32_e32 v4, v24, v25
	v_add_f32_e32 v4, v4, v44
	;; [unrolled: 1-line block ×4, first 2 shown]
	v_accvgpr_read_b32 v4, a36
	v_and_b32_e32 v24, 0xffff0000, v4
	v_accvgpr_read_b32 v4, a37
	v_and_b32_e32 v45, 0xffff0000, v4
	;; [unrolled: 2-line block ×7, first 2 shown]
	v_and_b32_e32 v25, 0xffff0000, v23
	v_pk_add_f32 v[46:47], v[58:59], v[46:47]
	v_pk_add_f32 v[24:25], v[44:45], v[24:25]
	v_add_f32_e32 v4, v46, v47
	v_add_f32_e32 v4, v4, v24
	v_and_b32_e32 v36, 0xffff0000, v9
	v_and_b32_e32 v9, 0xffff0000, v8
	;; [unrolled: 1-line block ×5, first 2 shown]
	v_add_f32_e32 v4, v4, v25
	v_and_b32_e32 v25, 0xffff0000, v39
	v_and_b32_e32 v24, 0xffff0000, v37
	;; [unrolled: 1-line block ×3, first 2 shown]
	v_pk_add_f32 v[8:9], v[22:23], v[8:9]
	v_add_f32_e32 v18, v18, v4
	v_pk_add_f32 v[22:23], v[36:37], v[24:25]
	v_add_f32_e32 v4, v8, v9
	v_add_f32_e32 v4, v4, v22
	v_and_b32_e32 v25, 0xffff0000, v51
	v_and_b32_e32 v24, 0xffff0000, v49
	;; [unrolled: 1-line block ×4, first 2 shown]
	v_add_f32_e32 v4, v4, v23
	v_and_b32_e32 v9, 0xffff0000, v55
	v_and_b32_e32 v8, 0xffff0000, v53
	;; [unrolled: 1-line block ×4, first 2 shown]
	v_pk_add_f32 v[24:25], v[36:37], v[24:25]
	v_add_f32_e32 v19, v19, v4
	v_pk_add_f32 v[8:9], v[22:23], v[8:9]
	v_add_f32_e32 v4, v24, v25
	v_add_f32_e32 v4, v4, v8
	;; [unrolled: 1-line block ×4, first 2 shown]
	v_and_b32_e32 v5, 0xffff0000, v5
	v_and_b32_e32 v4, 0xffff0000, v6
	;; [unrolled: 1-line block ×8, first 2 shown]
	v_pk_add_f32 v[4:5], v[6:7], v[4:5]
	v_pk_add_f32 v[6:7], v[22:23], v[8:9]
	v_add_f32_e32 v3, v4, v5
	v_add_f32_e32 v3, v3, v6
	v_and_b32_e32 v9, 0xffff0000, v10
	v_and_b32_e32 v8, 0xffff0000, v1
	;; [unrolled: 1-line block ×4, first 2 shown]
	v_add_f32_e32 v3, v3, v7
	v_and_b32_e32 v5, 0xffff0000, v43
	v_and_b32_e32 v4, 0xffff0000, v42
	;; [unrolled: 1-line block ×4, first 2 shown]
	v_pk_add_f32 v[0:1], v[0:1], v[8:9]
	v_add_f32_e32 v13, v13, v3
	v_pk_add_f32 v[2:3], v[6:7], v[4:5]
	v_add_f32_e32 v0, v0, v1
	v_add_f32_e32 v0, v0, v2
	;; [unrolled: 1-line block ×4, first 2 shown]
	buffer_load_dword v0, off, s[0:3], s32 offset:188 ; 4-byte Folded Reload
	v_add_co_u32_e32 v14, vcc, 8, v14
	v_add_u32_e32 v16, 2, v16
	v_addc_co_u32_e32 v15, vcc, 0, v15, vcc
	v_add_u32_e32 v17, 64, v17
	v_add_u32_e32 v35, 0x100, v35
	s_waitcnt vmcnt(0)
	v_cmp_ge_i32_e32 vcc, v16, v0
	s_or_b64 s[10:11], vcc, s[10:11]
	s_andn2_b64 exec, exec, s[10:11]
	s_cbranch_execz .LBB397_1433
.LBB397_603:                            ; =>This Inner Loop Header: Depth=1
	flat_load_dword v10, v[14:15]
	ds_read2_b64 v[6:9], v35 offset1:1
	ds_read2_b64 v[0:3], v35 offset0:2 offset1:3
                                        ; implicit-def: $vgpr25
	s_waitcnt lgkmcnt(0)
	v_and_b32_e32 v4, 0x7f800000, v6
	v_cmp_ne_u32_e32 vcc, s15, v4
	s_and_saveexec_b64 s[4:5], vcc
	s_xor_b64 s[4:5], exec, s[4:5]
; %bb.604:                              ;   in Loop: Header=BB397_603 Depth=1
	v_bfe_u32 v4, v6, 16, 1
	v_add3_u32 v25, v6, v4, s21
; %bb.605:                              ;   in Loop: Header=BB397_603 Depth=1
	s_andn2_saveexec_b64 s[4:5], s[4:5]
; %bb.606:                              ;   in Loop: Header=BB397_603 Depth=1
	v_or_b32_e32 v4, 0x10000, v6
	v_cmp_eq_u32_sdwa vcc, v6, v11 src0_sel:WORD_0 src1_sel:DWORD
	v_cndmask_b32_e32 v25, v4, v6, vcc
; %bb.607:                              ;   in Loop: Header=BB397_603 Depth=1
	s_or_b64 exec, exec, s[4:5]
	v_and_b32_e32 v4, 0x7f800000, v7
	v_cmp_ne_u32_e32 vcc, s15, v4
                                        ; implicit-def: $vgpr24
	s_and_saveexec_b64 s[4:5], vcc
	s_xor_b64 s[4:5], exec, s[4:5]
; %bb.608:                              ;   in Loop: Header=BB397_603 Depth=1
	v_bfe_u32 v4, v7, 16, 1
	v_add3_u32 v24, v7, v4, s21
; %bb.609:                              ;   in Loop: Header=BB397_603 Depth=1
	s_andn2_saveexec_b64 s[4:5], s[4:5]
; %bb.610:                              ;   in Loop: Header=BB397_603 Depth=1
	v_or_b32_e32 v4, 0x10000, v7
	v_cmp_eq_u32_sdwa vcc, v7, v11 src0_sel:WORD_0 src1_sel:DWORD
	v_cndmask_b32_e32 v24, v4, v7, vcc
; %bb.611:                              ;   in Loop: Header=BB397_603 Depth=1
	s_or_b64 exec, exec, s[4:5]
	v_and_b32_e32 v4, 0x7f800000, v8
	v_cmp_ne_u32_e32 vcc, s15, v4
                                        ; implicit-def: $vgpr23
	s_and_saveexec_b64 s[4:5], vcc
	s_xor_b64 s[4:5], exec, s[4:5]
; %bb.612:                              ;   in Loop: Header=BB397_603 Depth=1
	v_bfe_u32 v4, v8, 16, 1
	v_add3_u32 v23, v8, v4, s21
; %bb.613:                              ;   in Loop: Header=BB397_603 Depth=1
	s_andn2_saveexec_b64 s[4:5], s[4:5]
; %bb.614:                              ;   in Loop: Header=BB397_603 Depth=1
	v_or_b32_e32 v4, 0x10000, v8
	v_cmp_eq_u32_sdwa vcc, v8, v11 src0_sel:WORD_0 src1_sel:DWORD
	v_cndmask_b32_e32 v23, v4, v8, vcc
; %bb.615:                              ;   in Loop: Header=BB397_603 Depth=1
	s_or_b64 exec, exec, s[4:5]
	v_and_b32_e32 v4, 0x7f800000, v9
	v_cmp_ne_u32_e32 vcc, s15, v4
                                        ; implicit-def: $vgpr22
	s_and_saveexec_b64 s[4:5], vcc
	s_xor_b64 s[4:5], exec, s[4:5]
; %bb.616:                              ;   in Loop: Header=BB397_603 Depth=1
	v_bfe_u32 v4, v9, 16, 1
	v_add3_u32 v22, v9, v4, s21
                                        ; implicit-def: $vgpr6_vgpr7_vgpr8_vgpr9
; %bb.617:                              ;   in Loop: Header=BB397_603 Depth=1
	s_andn2_saveexec_b64 s[4:5], s[4:5]
; %bb.618:                              ;   in Loop: Header=BB397_603 Depth=1
	v_or_b32_e32 v4, 0x10000, v9
	v_cmp_eq_u32_sdwa vcc, v9, v11 src0_sel:WORD_0 src1_sel:DWORD
	v_cndmask_b32_e32 v22, v4, v9, vcc
; %bb.619:                              ;   in Loop: Header=BB397_603 Depth=1
	s_or_b64 exec, exec, s[4:5]
	v_and_b32_e32 v4, 0x7f800000, v0
	v_cmp_ne_u32_e32 vcc, s15, v4
                                        ; implicit-def: $vgpr8
	s_and_saveexec_b64 s[4:5], vcc
	s_xor_b64 s[4:5], exec, s[4:5]
; %bb.620:                              ;   in Loop: Header=BB397_603 Depth=1
	v_bfe_u32 v4, v0, 16, 1
	v_add3_u32 v8, v0, v4, s21
; %bb.621:                              ;   in Loop: Header=BB397_603 Depth=1
	s_andn2_saveexec_b64 s[4:5], s[4:5]
; %bb.622:                              ;   in Loop: Header=BB397_603 Depth=1
	v_or_b32_e32 v4, 0x10000, v0
	v_cmp_eq_u32_sdwa vcc, v0, v11 src0_sel:WORD_0 src1_sel:DWORD
	v_cndmask_b32_e32 v8, v4, v0, vcc
; %bb.623:                              ;   in Loop: Header=BB397_603 Depth=1
	s_or_b64 exec, exec, s[4:5]
	v_and_b32_e32 v0, 0x7f800000, v1
	v_cmp_ne_u32_e32 vcc, s15, v0
                                        ; implicit-def: $vgpr7
	s_and_saveexec_b64 s[4:5], vcc
	s_xor_b64 s[4:5], exec, s[4:5]
; %bb.624:                              ;   in Loop: Header=BB397_603 Depth=1
	v_bfe_u32 v0, v1, 16, 1
	v_add3_u32 v7, v1, v0, s21
; %bb.625:                              ;   in Loop: Header=BB397_603 Depth=1
	s_andn2_saveexec_b64 s[4:5], s[4:5]
; %bb.626:                              ;   in Loop: Header=BB397_603 Depth=1
	v_or_b32_e32 v0, 0x10000, v1
	v_cmp_eq_u32_sdwa vcc, v1, v11 src0_sel:WORD_0 src1_sel:DWORD
	v_cndmask_b32_e32 v7, v0, v1, vcc
; %bb.627:                              ;   in Loop: Header=BB397_603 Depth=1
	s_or_b64 exec, exec, s[4:5]
	v_and_b32_e32 v0, 0x7f800000, v2
	v_cmp_ne_u32_e32 vcc, s15, v0
                                        ; implicit-def: $vgpr5
	s_and_saveexec_b64 s[4:5], vcc
	s_xor_b64 s[4:5], exec, s[4:5]
; %bb.628:                              ;   in Loop: Header=BB397_603 Depth=1
	v_bfe_u32 v0, v2, 16, 1
	v_add3_u32 v5, v2, v0, s21
; %bb.629:                              ;   in Loop: Header=BB397_603 Depth=1
	s_andn2_saveexec_b64 s[4:5], s[4:5]
; %bb.630:                              ;   in Loop: Header=BB397_603 Depth=1
	v_or_b32_e32 v0, 0x10000, v2
	v_cmp_eq_u32_sdwa vcc, v2, v11 src0_sel:WORD_0 src1_sel:DWORD
	v_cndmask_b32_e32 v5, v0, v2, vcc
; %bb.631:                              ;   in Loop: Header=BB397_603 Depth=1
	s_or_b64 exec, exec, s[4:5]
	v_and_b32_e32 v0, 0x7f800000, v3
	v_cmp_ne_u32_e32 vcc, s15, v0
                                        ; implicit-def: $vgpr4
	s_and_saveexec_b64 s[4:5], vcc
	s_xor_b64 s[4:5], exec, s[4:5]
; %bb.632:                              ;   in Loop: Header=BB397_603 Depth=1
	v_bfe_u32 v0, v3, 16, 1
	v_add3_u32 v4, v3, v0, s21
                                        ; implicit-def: $vgpr0_vgpr1_vgpr2_vgpr3
; %bb.633:                              ;   in Loop: Header=BB397_603 Depth=1
	s_andn2_saveexec_b64 s[4:5], s[4:5]
; %bb.634:                              ;   in Loop: Header=BB397_603 Depth=1
	v_or_b32_e32 v0, 0x10000, v3
	v_cmp_eq_u32_sdwa vcc, v3, v11 src0_sel:WORD_0 src1_sel:DWORD
	v_cndmask_b32_e32 v4, v0, v3, vcc
; %bb.635:                              ;   in Loop: Header=BB397_603 Depth=1
	s_or_b64 exec, exec, s[4:5]
	v_accvgpr_read_b32 v2, a10
	v_accvgpr_read_b32 v0, a4
	;; [unrolled: 1-line block ×3, first 2 shown]
	s_waitcnt vmcnt(0)
	v_mad_i64_i32 v[0:1], s[4:5], v10, v0, v[2:3]
	flat_load_dwordx2 v[2:3], v[0:1]
	v_mov_b32_e32 v6, 0
	s_waitcnt vmcnt(0) lgkmcnt(0)
	v_cmp_ne_u16_sdwa s[12:13], v2, v11 src0_sel:BYTE_0 src1_sel:DWORD
	s_and_saveexec_b64 s[4:5], s[12:13]
	s_cbranch_execz .LBB397_641
; %bb.636:                              ;   in Loop: Header=BB397_603 Depth=1
	v_cmp_ne_u16_sdwa s[24:25], v2, s28 src0_sel:BYTE_0 src1_sel:DWORD
	v_bfrev_b32_e32 v6, 1
	s_and_saveexec_b64 s[12:13], s[24:25]
	s_cbranch_execz .LBB397_640
; %bb.637:                              ;   in Loop: Header=BB397_603 Depth=1
	v_and_b32_e32 v9, 0x7f, v2
	v_cmp_ne_u32_e32 vcc, s29, v9
	v_mov_b32_e32 v6, 0x7f800001
	s_and_saveexec_b64 s[24:25], vcc
	s_cbranch_execz .LBB397_639
; %bb.638:                              ;   in Loop: Header=BB397_603 Depth=1
	v_and_b32_e32 v6, 7, v2
	v_ffbh_u32_e32 v6, v6
	v_min_u32_e32 v6, 32, v6
	v_subrev_u32_e32 v27, 28, v6
	v_cmp_gt_u32_e32 vcc, 8, v9
	v_lshrrev_b32_e32 v10, 3, v9
	v_cndmask_b32_e32 v9, 0, v27, vcc
	v_sub_u32_e32 v6, 29, v6
	v_lshlrev_b64 v[28:29], v9, v[2:3]
	v_cndmask_b32_e32 v6, v10, v6, vcc
	v_lshlrev_b32_e32 v9, 20, v28
	v_lshlrev_b32_e32 v10, 24, v2
	v_bfrev_b32_e32 v27, 60
	v_and_b32_e32 v9, 0x700000, v9
	v_and_b32_e32 v10, 0x80000000, v10
	v_lshl_add_u32 v6, v6, 23, v27
	v_or3_b32 v6, v10, v6, v9
.LBB397_639:                            ;   in Loop: Header=BB397_603 Depth=1
	s_or_b64 exec, exec, s[24:25]
.LBB397_640:                            ;   in Loop: Header=BB397_603 Depth=1
	s_or_b64 exec, exec, s[12:13]
.LBB397_641:                            ;   in Loop: Header=BB397_603 Depth=1
	s_or_b64 exec, exec, s[4:5]
	v_mul_f32_e32 v6, v26, v6
	v_and_b32_e32 v9, 0x7f800000, v6
	v_cmp_ne_u32_e32 vcc, s15, v9
                                        ; implicit-def: $vgpr9
	s_and_saveexec_b64 s[4:5], vcc
	s_xor_b64 s[4:5], exec, s[4:5]
; %bb.642:                              ;   in Loop: Header=BB397_603 Depth=1
	v_bfe_u32 v9, v6, 16, 1
	v_add3_u32 v9, v6, v9, s21
                                        ; implicit-def: $vgpr6
; %bb.643:                              ;   in Loop: Header=BB397_603 Depth=1
	s_andn2_saveexec_b64 s[4:5], s[4:5]
; %bb.644:                              ;   in Loop: Header=BB397_603 Depth=1
	v_or_b32_e32 v9, 0x10000, v6
	v_cmp_eq_u32_sdwa vcc, v6, v11 src0_sel:WORD_0 src1_sel:DWORD
	v_cndmask_b32_e32 v9, v9, v6, vcc
; %bb.645:                              ;   in Loop: Header=BB397_603 Depth=1
	s_or_b64 exec, exec, s[4:5]
	v_lshrrev_b16_e32 v6, 8, v2
	v_cmp_ne_u16_e32 vcc, 0, v6
	v_mov_b32_e32 v10, 0
	s_and_saveexec_b64 s[4:5], vcc
	s_cbranch_execz .LBB397_651
; %bb.646:                              ;   in Loop: Header=BB397_603 Depth=1
	v_cmp_ne_u16_e32 vcc, s28, v6
	v_bfrev_b32_e32 v10, 1
	s_and_saveexec_b64 s[12:13], vcc
	s_cbranch_execz .LBB397_650
; %bb.647:                              ;   in Loop: Header=BB397_603 Depth=1
	v_and_b32_e32 v27, 0x7f, v6
	v_cmp_ne_u32_e32 vcc, s29, v27
	v_mov_b32_e32 v10, 0x7f800001
	s_and_saveexec_b64 s[24:25], vcc
	s_cbranch_execz .LBB397_649
; %bb.648:                              ;   in Loop: Header=BB397_603 Depth=1
	v_and_b32_e32 v10, 7, v6
	v_ffbh_u32_e32 v28, v10
	v_min_u32_e32 v31, 32, v28
	v_subrev_u32_e32 v28, 28, v31
	v_lshlrev_b64 v[28:29], v28, v[6:7]
	v_lshrrev_b32_e32 v30, 3, v27
	v_sub_u32_e32 v6, 29, v31
	v_and_b32_e32 v28, 7, v28
	v_cmp_gt_u32_e32 vcc, 8, v27
	v_cndmask_b32_e32 v6, v30, v6, vcc
	v_cndmask_b32_e32 v10, v10, v28, vcc
	v_lshlrev_b32_e32 v27, 16, v2
	v_bfrev_b32_e32 v28, 60
	v_lshlrev_b32_e32 v10, 20, v10
	v_and_b32_e32 v27, 0x80000000, v27
	v_lshl_add_u32 v6, v6, 23, v28
	v_or3_b32 v10, v27, v6, v10
.LBB397_649:                            ;   in Loop: Header=BB397_603 Depth=1
	s_or_b64 exec, exec, s[24:25]
.LBB397_650:                            ;   in Loop: Header=BB397_603 Depth=1
	s_or_b64 exec, exec, s[12:13]
.LBB397_651:                            ;   in Loop: Header=BB397_603 Depth=1
	s_or_b64 exec, exec, s[4:5]
	v_mul_f32_e32 v6, v26, v10
	v_and_b32_e32 v10, 0x7f800000, v6
	v_cmp_ne_u32_e32 vcc, s15, v10
                                        ; implicit-def: $vgpr27
	s_and_saveexec_b64 s[4:5], vcc
	s_xor_b64 s[4:5], exec, s[4:5]
; %bb.652:                              ;   in Loop: Header=BB397_603 Depth=1
	v_bfe_u32 v10, v6, 16, 1
	v_add3_u32 v27, v6, v10, s21
                                        ; implicit-def: $vgpr6
; %bb.653:                              ;   in Loop: Header=BB397_603 Depth=1
	s_andn2_saveexec_b64 s[4:5], s[4:5]
; %bb.654:                              ;   in Loop: Header=BB397_603 Depth=1
	v_or_b32_e32 v10, 0x10000, v6
	v_cmp_eq_u32_sdwa vcc, v6, v11 src0_sel:WORD_0 src1_sel:DWORD
	v_cndmask_b32_e32 v27, v10, v6, vcc
; %bb.655:                              ;   in Loop: Header=BB397_603 Depth=1
	s_or_b64 exec, exec, s[4:5]
	v_lshrrev_b32_e32 v6, 16, v2
	v_cmp_ne_u16_sdwa s[12:13], v6, v11 src0_sel:BYTE_0 src1_sel:DWORD
	v_mov_b32_e32 v10, 0
	s_and_saveexec_b64 s[4:5], s[12:13]
	s_cbranch_execz .LBB397_661
; %bb.656:                              ;   in Loop: Header=BB397_603 Depth=1
	v_cmp_ne_u16_sdwa s[24:25], v6, s28 src0_sel:BYTE_0 src1_sel:DWORD
	v_bfrev_b32_e32 v10, 1
	s_and_saveexec_b64 s[12:13], s[24:25]
	s_cbranch_execz .LBB397_660
; %bb.657:                              ;   in Loop: Header=BB397_603 Depth=1
	v_bfe_u32 v28, v2, 16, 7
	v_cmp_ne_u32_e32 vcc, s29, v28
	v_mov_b32_e32 v10, 0x7f800001
	s_and_saveexec_b64 s[24:25], vcc
	s_cbranch_execz .LBB397_659
; %bb.658:                              ;   in Loop: Header=BB397_603 Depth=1
	v_and_b32_e32 v10, 7, v6
	v_ffbh_u32_e32 v30, v10
	v_min_u32_e32 v33, 32, v30
	v_subrev_u32_e32 v30, 28, v33
	v_lshlrev_b64 v[30:31], v30, v[6:7]
	v_lshrrev_b32_e32 v29, 3, v28
	v_sub_u32_e32 v31, 29, v33
	v_and_b32_e32 v30, 7, v30
	v_cmp_gt_u32_e32 vcc, 8, v28
	v_cndmask_b32_e32 v28, v29, v31, vcc
	v_cndmask_b32_e32 v10, v10, v30, vcc
	v_lshlrev_b32_e32 v6, 24, v6
	v_bfrev_b32_e32 v29, 60
	v_lshlrev_b32_e32 v10, 20, v10
	v_and_b32_e32 v6, 0x80000000, v6
	v_lshl_add_u32 v28, v28, 23, v29
	v_or3_b32 v10, v6, v28, v10
.LBB397_659:                            ;   in Loop: Header=BB397_603 Depth=1
	s_or_b64 exec, exec, s[24:25]
.LBB397_660:                            ;   in Loop: Header=BB397_603 Depth=1
	s_or_b64 exec, exec, s[12:13]
.LBB397_661:                            ;   in Loop: Header=BB397_603 Depth=1
	s_or_b64 exec, exec, s[4:5]
	v_mul_f32_e32 v6, v26, v10
	v_and_b32_e32 v10, 0x7f800000, v6
	v_cmp_ne_u32_e32 vcc, s15, v10
                                        ; implicit-def: $vgpr28
	s_and_saveexec_b64 s[4:5], vcc
	s_xor_b64 s[4:5], exec, s[4:5]
; %bb.662:                              ;   in Loop: Header=BB397_603 Depth=1
	v_bfe_u32 v10, v6, 16, 1
	v_add3_u32 v28, v6, v10, s21
                                        ; implicit-def: $vgpr6
; %bb.663:                              ;   in Loop: Header=BB397_603 Depth=1
	s_andn2_saveexec_b64 s[4:5], s[4:5]
; %bb.664:                              ;   in Loop: Header=BB397_603 Depth=1
	v_or_b32_e32 v10, 0x10000, v6
	v_cmp_eq_u32_sdwa vcc, v6, v11 src0_sel:WORD_0 src1_sel:DWORD
	v_cndmask_b32_e32 v28, v10, v6, vcc
; %bb.665:                              ;   in Loop: Header=BB397_603 Depth=1
	s_or_b64 exec, exec, s[4:5]
	v_cmp_lt_u32_e32 vcc, s9, v2
	v_mov_b32_e32 v10, 0
	s_and_saveexec_b64 s[4:5], vcc
	s_cbranch_execz .LBB397_671
; %bb.666:                              ;   in Loop: Header=BB397_603 Depth=1
	v_lshrrev_b32_e32 v6, 24, v2
	v_cmp_ne_u32_e32 vcc, s28, v6
	v_bfrev_b32_e32 v10, 1
	s_and_saveexec_b64 s[12:13], vcc
	s_cbranch_execz .LBB397_670
; %bb.667:                              ;   in Loop: Header=BB397_603 Depth=1
	v_bfe_u32 v29, v2, 24, 7
	v_cmp_ne_u32_e32 vcc, s29, v29
	v_mov_b32_e32 v10, 0x7f800001
	s_and_saveexec_b64 s[24:25], vcc
	s_cbranch_execz .LBB397_669
; %bb.668:                              ;   in Loop: Header=BB397_603 Depth=1
	v_and_b32_e32 v10, 7, v6
	v_ffbh_u32_e32 v30, v10
	v_min_u32_e32 v36, 32, v30
	v_subrev_u32_e32 v30, 28, v36
	v_lshlrev_b64 v[30:31], v30, v[6:7]
	v_lshrrev_b32_e32 v33, 3, v29
	v_sub_u32_e32 v31, 29, v36
	v_and_b32_e32 v30, 7, v30
	v_cmp_gt_u32_e32 vcc, 8, v29
	v_cndmask_b32_e32 v29, v33, v31, vcc
	v_cndmask_b32_e32 v10, v10, v30, vcc
	v_lshlrev_b32_e32 v6, 24, v6
	v_bfrev_b32_e32 v30, 60
	v_lshlrev_b32_e32 v10, 20, v10
	v_and_b32_e32 v6, 0x80000000, v6
	v_lshl_add_u32 v29, v29, 23, v30
	v_or3_b32 v10, v6, v29, v10
.LBB397_669:                            ;   in Loop: Header=BB397_603 Depth=1
	s_or_b64 exec, exec, s[24:25]
.LBB397_670:                            ;   in Loop: Header=BB397_603 Depth=1
	s_or_b64 exec, exec, s[12:13]
.LBB397_671:                            ;   in Loop: Header=BB397_603 Depth=1
	s_or_b64 exec, exec, s[4:5]
	v_mul_f32_e32 v6, v26, v10
	v_and_b32_e32 v10, 0x7f800000, v6
	v_cmp_ne_u32_e32 vcc, s15, v10
                                        ; implicit-def: $vgpr29
	s_and_saveexec_b64 s[4:5], vcc
	s_xor_b64 s[4:5], exec, s[4:5]
; %bb.672:                              ;   in Loop: Header=BB397_603 Depth=1
	v_bfe_u32 v10, v6, 16, 1
	v_add3_u32 v29, v6, v10, s21
                                        ; implicit-def: $vgpr6
; %bb.673:                              ;   in Loop: Header=BB397_603 Depth=1
	s_andn2_saveexec_b64 s[4:5], s[4:5]
; %bb.674:                              ;   in Loop: Header=BB397_603 Depth=1
	v_or_b32_e32 v10, 0x10000, v6
	v_cmp_eq_u32_sdwa vcc, v6, v11 src0_sel:WORD_0 src1_sel:DWORD
	v_cndmask_b32_e32 v29, v10, v6, vcc
; %bb.675:                              ;   in Loop: Header=BB397_603 Depth=1
	s_or_b64 exec, exec, s[4:5]
	v_mov_b32_e32 v10, v3
	v_cmp_ne_u16_sdwa s[12:13], v3, v11 src0_sel:BYTE_0 src1_sel:DWORD
	v_mov_b32_e32 v6, 0
	s_and_saveexec_b64 s[4:5], s[12:13]
	s_cbranch_execz .LBB397_681
; %bb.676:                              ;   in Loop: Header=BB397_603 Depth=1
	v_cmp_ne_u16_sdwa s[24:25], v3, s28 src0_sel:BYTE_0 src1_sel:DWORD
	v_bfrev_b32_e32 v6, 1
	s_and_saveexec_b64 s[12:13], s[24:25]
	s_cbranch_execz .LBB397_680
; %bb.677:                              ;   in Loop: Header=BB397_603 Depth=1
	v_and_b32_e32 v30, 0x7f, v3
	v_cmp_ne_u32_e32 vcc, s29, v30
	v_mov_b32_e32 v6, 0x7f800001
	s_and_saveexec_b64 s[24:25], vcc
	s_cbranch_execz .LBB397_679
; %bb.678:                              ;   in Loop: Header=BB397_603 Depth=1
	v_and_b32_e32 v6, 7, v3
	v_ffbh_u32_e32 v6, v6
	v_min_u32_e32 v6, 32, v6
	v_subrev_u32_e32 v33, 28, v6
	v_cmp_gt_u32_e32 vcc, 8, v30
	v_lshrrev_b32_e32 v31, 3, v30
	v_sub_u32_e32 v6, 29, v6
	v_cndmask_b32_e32 v30, 0, v33, vcc
	v_cndmask_b32_e32 v6, v31, v6, vcc
	v_lshlrev_b64 v[30:31], v30, v[10:11]
	v_lshlrev_b32_e32 v30, 20, v30
	v_lshlrev_b32_e32 v31, 24, v10
	v_bfrev_b32_e32 v33, 60
	v_and_b32_e32 v30, 0x700000, v30
	v_and_b32_e32 v31, 0x80000000, v31
	v_lshl_add_u32 v6, v6, 23, v33
	v_or3_b32 v6, v31, v6, v30
.LBB397_679:                            ;   in Loop: Header=BB397_603 Depth=1
	s_or_b64 exec, exec, s[24:25]
.LBB397_680:                            ;   in Loop: Header=BB397_603 Depth=1
	s_or_b64 exec, exec, s[12:13]
.LBB397_681:                            ;   in Loop: Header=BB397_603 Depth=1
	s_or_b64 exec, exec, s[4:5]
	v_mul_f32_e32 v6, v26, v6
	v_and_b32_e32 v30, 0x7f800000, v6
	v_cmp_ne_u32_e32 vcc, s15, v30
                                        ; implicit-def: $vgpr30
	s_and_saveexec_b64 s[4:5], vcc
	s_xor_b64 s[4:5], exec, s[4:5]
; %bb.682:                              ;   in Loop: Header=BB397_603 Depth=1
	v_bfe_u32 v30, v6, 16, 1
	v_add3_u32 v30, v6, v30, s21
                                        ; implicit-def: $vgpr6
; %bb.683:                              ;   in Loop: Header=BB397_603 Depth=1
	s_andn2_saveexec_b64 s[4:5], s[4:5]
; %bb.684:                              ;   in Loop: Header=BB397_603 Depth=1
	v_or_b32_e32 v30, 0x10000, v6
	v_cmp_eq_u32_sdwa vcc, v6, v11 src0_sel:WORD_0 src1_sel:DWORD
	v_cndmask_b32_e32 v30, v30, v6, vcc
; %bb.685:                              ;   in Loop: Header=BB397_603 Depth=1
	s_or_b64 exec, exec, s[4:5]
	v_lshrrev_b16_e32 v6, 8, v10
	v_cmp_ne_u16_e32 vcc, 0, v6
	v_mov_b32_e32 v31, 0
	s_and_saveexec_b64 s[4:5], vcc
	s_cbranch_execz .LBB397_691
; %bb.686:                              ;   in Loop: Header=BB397_603 Depth=1
	v_cmp_ne_u16_e32 vcc, s28, v6
	v_bfrev_b32_e32 v31, 1
	s_and_saveexec_b64 s[12:13], vcc
	s_cbranch_execz .LBB397_690
; %bb.687:                              ;   in Loop: Header=BB397_603 Depth=1
	v_and_b32_e32 v33, 0x7f, v6
	v_cmp_ne_u32_e32 vcc, s29, v33
	v_mov_b32_e32 v31, 0x7f800001
	s_and_saveexec_b64 s[24:25], vcc
	s_cbranch_execz .LBB397_689
; %bb.688:                              ;   in Loop: Header=BB397_603 Depth=1
	v_and_b32_e32 v31, 7, v6
	v_ffbh_u32_e32 v36, v31
	v_min_u32_e32 v39, 32, v36
	v_subrev_u32_e32 v36, 28, v39
	v_lshlrev_b64 v[36:37], v36, v[6:7]
	v_lshrrev_b32_e32 v38, 3, v33
	v_sub_u32_e32 v6, 29, v39
	v_and_b32_e32 v36, 7, v36
	v_cmp_gt_u32_e32 vcc, 8, v33
	v_cndmask_b32_e32 v6, v38, v6, vcc
	v_cndmask_b32_e32 v31, v31, v36, vcc
	v_lshlrev_b32_e32 v10, 16, v10
	v_bfrev_b32_e32 v33, 60
	v_lshlrev_b32_e32 v31, 20, v31
	v_and_b32_e32 v10, 0x80000000, v10
	v_lshl_add_u32 v6, v6, 23, v33
	v_or3_b32 v31, v10, v6, v31
.LBB397_689:                            ;   in Loop: Header=BB397_603 Depth=1
	s_or_b64 exec, exec, s[24:25]
.LBB397_690:                            ;   in Loop: Header=BB397_603 Depth=1
	s_or_b64 exec, exec, s[12:13]
.LBB397_691:                            ;   in Loop: Header=BB397_603 Depth=1
	s_or_b64 exec, exec, s[4:5]
	v_mul_f32_e32 v6, v26, v31
	v_and_b32_e32 v10, 0x7f800000, v6
	v_cmp_ne_u32_e32 vcc, s15, v10
                                        ; implicit-def: $vgpr10
	s_and_saveexec_b64 s[4:5], vcc
	s_xor_b64 s[4:5], exec, s[4:5]
; %bb.692:                              ;   in Loop: Header=BB397_603 Depth=1
	v_bfe_u32 v10, v6, 16, 1
	v_add3_u32 v10, v6, v10, s21
                                        ; implicit-def: $vgpr6
; %bb.693:                              ;   in Loop: Header=BB397_603 Depth=1
	s_andn2_saveexec_b64 s[4:5], s[4:5]
; %bb.694:                              ;   in Loop: Header=BB397_603 Depth=1
	v_or_b32_e32 v10, 0x10000, v6
	v_cmp_eq_u32_sdwa vcc, v6, v11 src0_sel:WORD_0 src1_sel:DWORD
	v_cndmask_b32_e32 v10, v10, v6, vcc
; %bb.695:                              ;   in Loop: Header=BB397_603 Depth=1
	s_or_b64 exec, exec, s[4:5]
	v_lshrrev_b32_e32 v6, 16, v3
	v_cmp_ne_u16_sdwa s[12:13], v6, v11 src0_sel:BYTE_0 src1_sel:DWORD
	v_mov_b32_e32 v31, 0
	s_and_saveexec_b64 s[4:5], s[12:13]
	s_cbranch_execz .LBB397_701
; %bb.696:                              ;   in Loop: Header=BB397_603 Depth=1
	v_cmp_ne_u16_sdwa s[24:25], v6, s28 src0_sel:BYTE_0 src1_sel:DWORD
	v_bfrev_b32_e32 v31, 1
	s_and_saveexec_b64 s[12:13], s[24:25]
	s_cbranch_execz .LBB397_700
; %bb.697:                              ;   in Loop: Header=BB397_603 Depth=1
	v_bfe_u32 v33, v3, 16, 7
	v_cmp_ne_u32_e32 vcc, s29, v33
	v_mov_b32_e32 v31, 0x7f800001
	s_and_saveexec_b64 s[24:25], vcc
	s_cbranch_execz .LBB397_699
; %bb.698:                              ;   in Loop: Header=BB397_603 Depth=1
	v_and_b32_e32 v31, 7, v6
	v_ffbh_u32_e32 v36, v31
	v_min_u32_e32 v39, 32, v36
	v_subrev_u32_e32 v36, 28, v39
	v_lshlrev_b64 v[36:37], v36, v[6:7]
	v_lshrrev_b32_e32 v38, 3, v33
	v_sub_u32_e32 v37, 29, v39
	v_and_b32_e32 v36, 7, v36
	v_cmp_gt_u32_e32 vcc, 8, v33
	v_cndmask_b32_e32 v33, v38, v37, vcc
	v_cndmask_b32_e32 v31, v31, v36, vcc
	v_lshlrev_b32_e32 v6, 24, v6
	v_bfrev_b32_e32 v36, 60
	v_lshlrev_b32_e32 v31, 20, v31
	v_and_b32_e32 v6, 0x80000000, v6
	v_lshl_add_u32 v33, v33, 23, v36
	v_or3_b32 v31, v6, v33, v31
.LBB397_699:                            ;   in Loop: Header=BB397_603 Depth=1
	s_or_b64 exec, exec, s[24:25]
.LBB397_700:                            ;   in Loop: Header=BB397_603 Depth=1
	s_or_b64 exec, exec, s[12:13]
.LBB397_701:                            ;   in Loop: Header=BB397_603 Depth=1
	s_or_b64 exec, exec, s[4:5]
	v_mul_f32_e32 v6, v26, v31
	v_and_b32_e32 v31, 0x7f800000, v6
	v_cmp_ne_u32_e32 vcc, s15, v31
                                        ; implicit-def: $vgpr31
	s_and_saveexec_b64 s[4:5], vcc
	s_xor_b64 s[4:5], exec, s[4:5]
; %bb.702:                              ;   in Loop: Header=BB397_603 Depth=1
	v_bfe_u32 v31, v6, 16, 1
	v_add3_u32 v31, v6, v31, s21
                                        ; implicit-def: $vgpr6
; %bb.703:                              ;   in Loop: Header=BB397_603 Depth=1
	s_andn2_saveexec_b64 s[4:5], s[4:5]
; %bb.704:                              ;   in Loop: Header=BB397_603 Depth=1
	v_or_b32_e32 v31, 0x10000, v6
	v_cmp_eq_u32_sdwa vcc, v6, v11 src0_sel:WORD_0 src1_sel:DWORD
	v_cndmask_b32_e32 v31, v31, v6, vcc
; %bb.705:                              ;   in Loop: Header=BB397_603 Depth=1
	s_or_b64 exec, exec, s[4:5]
	v_cmp_lt_u64_e32 vcc, s[8:9], v[2:3]
	v_mov_b32_e32 v6, 0
	s_and_saveexec_b64 s[4:5], vcc
	s_cbranch_execz .LBB397_711
; %bb.706:                              ;   in Loop: Header=BB397_603 Depth=1
	v_lshrrev_b32_e32 v2, 24, v3
	v_cmp_ne_u32_e32 vcc, s28, v2
	v_bfrev_b32_e32 v6, 1
	s_and_saveexec_b64 s[12:13], vcc
	s_cbranch_execz .LBB397_710
; %bb.707:                              ;   in Loop: Header=BB397_603 Depth=1
	v_bfe_u32 v3, v3, 24, 7
	v_cmp_ne_u32_e32 vcc, s29, v3
	v_mov_b32_e32 v6, 0x7f800001
	s_and_saveexec_b64 s[24:25], vcc
	s_cbranch_execz .LBB397_709
; %bb.708:                              ;   in Loop: Header=BB397_603 Depth=1
	v_and_b32_e32 v6, 7, v2
	v_ffbh_u32_e32 v36, v6
	v_min_u32_e32 v38, 32, v36
	v_subrev_u32_e32 v36, 28, v38
	v_lshlrev_b64 v[36:37], v36, v[2:3]
	v_lshrrev_b32_e32 v33, 3, v3
	v_sub_u32_e32 v37, 29, v38
	v_and_b32_e32 v36, 7, v36
	v_cmp_gt_u32_e32 vcc, 8, v3
	v_cndmask_b32_e32 v3, v33, v37, vcc
	v_cndmask_b32_e32 v6, v6, v36, vcc
	v_lshlrev_b32_e32 v2, 24, v2
	v_bfrev_b32_e32 v33, 60
	v_lshlrev_b32_e32 v6, 20, v6
	v_and_b32_e32 v2, 0x80000000, v2
	v_lshl_add_u32 v3, v3, 23, v33
	v_or3_b32 v6, v2, v3, v6
.LBB397_709:                            ;   in Loop: Header=BB397_603 Depth=1
	s_or_b64 exec, exec, s[24:25]
.LBB397_710:                            ;   in Loop: Header=BB397_603 Depth=1
	s_or_b64 exec, exec, s[12:13]
.LBB397_711:                            ;   in Loop: Header=BB397_603 Depth=1
	s_or_b64 exec, exec, s[4:5]
	v_mul_f32_e32 v3, v26, v6
	v_and_b32_e32 v2, 0x7f800000, v3
	v_cmp_ne_u32_e32 vcc, s15, v2
                                        ; implicit-def: $vgpr2
	s_and_saveexec_b64 s[4:5], vcc
	s_xor_b64 s[4:5], exec, s[4:5]
; %bb.712:                              ;   in Loop: Header=BB397_603 Depth=1
	v_bfe_u32 v2, v3, 16, 1
	v_add3_u32 v2, v3, v2, s21
                                        ; implicit-def: $vgpr3
; %bb.713:                              ;   in Loop: Header=BB397_603 Depth=1
	s_andn2_saveexec_b64 s[4:5], s[4:5]
; %bb.714:                              ;   in Loop: Header=BB397_603 Depth=1
	v_or_b32_e32 v2, 0x10000, v3
	v_cmp_eq_u32_sdwa vcc, v3, v11 src0_sel:WORD_0 src1_sel:DWORD
	v_cndmask_b32_e32 v2, v2, v3, vcc
; %bb.715:                              ;   in Loop: Header=BB397_603 Depth=1
	s_or_b64 exec, exec, s[4:5]
	v_lshrrev_b32_e32 v6, 16, v10
	v_lshrrev_b32_e32 v10, 16, v30
	v_add_u32_e32 v30, -6, v17
	v_accvgpr_write_b32 a26, v30
	v_add_u32_e32 v30, -5, v17
	v_accvgpr_write_b32 a25, v30
	;; [unrolled: 2-line block ×3, first 2 shown]
	v_add_u32_e32 v30, -3, v17
	v_accvgpr_read_b32 v3, a9
	v_accvgpr_write_b32 a23, v30
	v_add_u32_e32 v30, -2, v17
	v_cmp_eq_u32_e32 vcc, v3, v16
	v_add_u32_e32 v3, -7, v17
	v_accvgpr_write_b32 a22, v30
	v_add_u32_e32 v30, -1, v17
	v_accvgpr_write_b32 a20, v3
	v_lshrrev_b32_e32 v29, 16, v29
	v_lshrrev_b32_e32 v28, 16, v28
	;; [unrolled: 1-line block ×6, first 2 shown]
	v_accvgpr_write_b32 a21, v30
	s_and_saveexec_b64 s[12:13], vcc
	s_cbranch_execz .LBB397_717
; %bb.716:                              ;   in Loop: Header=BB397_603 Depth=1
	v_accvgpr_read_b32 v30, a20
	v_cmp_lt_i32_e64 s[4:5], v30, v32
	v_accvgpr_read_b32 v30, a26
	v_cndmask_b32_e64 v9, 0, v9, s[4:5]
	v_cmp_lt_i32_e64 s[4:5], v30, v32
	v_accvgpr_read_b32 v30, a25
	v_cndmask_b32_e64 v27, 0, v27, s[4:5]
	;; [unrolled: 3-line block ×6, first 2 shown]
	v_cmp_lt_i32_e64 s[4:5], v30, v32
	v_cndmask_b32_e64 v3, 0, v3, s[4:5]
	v_cmp_lt_i32_e64 s[4:5], v17, v32
	v_cndmask_b32_e64 v2, 0, v2, s[4:5]
.LBB397_717:                            ;   in Loop: Header=BB397_603 Depth=1
	s_or_b64 exec, exec, s[12:13]
	v_and_b32_e32 v41, 0xffff0000, v25
	v_lshlrev_b32_e32 v9, 16, v9
	v_mul_f32_e32 v9, v41, v9
	v_and_b32_e32 v25, 0x7f800000, v9
	v_cmp_ne_u32_e64 s[4:5], s15, v25
                                        ; implicit-def: $vgpr30
	s_and_saveexec_b64 s[12:13], s[4:5]
	s_xor_b64 s[4:5], exec, s[12:13]
; %bb.718:                              ;   in Loop: Header=BB397_603 Depth=1
	v_bfe_u32 v25, v9, 16, 1
	v_add3_u32 v30, v9, v25, s21
                                        ; implicit-def: $vgpr9
; %bb.719:                              ;   in Loop: Header=BB397_603 Depth=1
	s_andn2_saveexec_b64 s[12:13], s[4:5]
; %bb.720:                              ;   in Loop: Header=BB397_603 Depth=1
	v_or_b32_e32 v25, 0x10000, v9
	v_cmp_eq_u32_sdwa s[4:5], v9, v11 src0_sel:WORD_0 src1_sel:DWORD
	v_cndmask_b32_e64 v30, v25, v9, s[4:5]
; %bb.721:                              ;   in Loop: Header=BB397_603 Depth=1
	s_or_b64 exec, exec, s[12:13]
	v_and_b32_e32 v42, 0xffff0000, v24
	v_lshlrev_b32_e32 v9, 16, v27
	v_mul_f32_e32 v9, v42, v9
	v_and_b32_e32 v24, 0x7f800000, v9
	v_cmp_ne_u32_e64 s[4:5], s15, v24
                                        ; implicit-def: $agpr13
	s_and_saveexec_b64 s[12:13], s[4:5]
	s_xor_b64 s[4:5], exec, s[12:13]
; %bb.722:                              ;   in Loop: Header=BB397_603 Depth=1
	v_bfe_u32 v24, v9, 16, 1
	v_add3_u32 v9, v9, v24, s21
	v_accvgpr_write_b32 a13, v9
                                        ; implicit-def: $vgpr9
; %bb.723:                              ;   in Loop: Header=BB397_603 Depth=1
	s_andn2_saveexec_b64 s[12:13], s[4:5]
; %bb.724:                              ;   in Loop: Header=BB397_603 Depth=1
	v_or_b32_e32 v24, 0x10000, v9
	v_cmp_eq_u32_sdwa s[4:5], v9, v11 src0_sel:WORD_0 src1_sel:DWORD
	v_cndmask_b32_e64 v9, v24, v9, s[4:5]
	v_accvgpr_write_b32 a13, v9
; %bb.725:                              ;   in Loop: Header=BB397_603 Depth=1
	s_or_b64 exec, exec, s[12:13]
	v_and_b32_e32 v43, 0xffff0000, v23
	v_lshlrev_b32_e32 v9, 16, v28
	v_mul_f32_e32 v9, v43, v9
	v_and_b32_e32 v23, 0x7f800000, v9
	v_cmp_ne_u32_e64 s[4:5], s15, v23
                                        ; implicit-def: $agpr14
	s_and_saveexec_b64 s[12:13], s[4:5]
	s_xor_b64 s[4:5], exec, s[12:13]
; %bb.726:                              ;   in Loop: Header=BB397_603 Depth=1
	v_bfe_u32 v23, v9, 16, 1
	v_add3_u32 v9, v9, v23, s21
	v_accvgpr_write_b32 a14, v9
                                        ; implicit-def: $vgpr9
; %bb.727:                              ;   in Loop: Header=BB397_603 Depth=1
	s_andn2_saveexec_b64 s[12:13], s[4:5]
; %bb.728:                              ;   in Loop: Header=BB397_603 Depth=1
	v_or_b32_e32 v23, 0x10000, v9
	v_cmp_eq_u32_sdwa s[4:5], v9, v11 src0_sel:WORD_0 src1_sel:DWORD
	v_cndmask_b32_e64 v9, v23, v9, s[4:5]
	v_accvgpr_write_b32 a14, v9
; %bb.729:                              ;   in Loop: Header=BB397_603 Depth=1
	s_or_b64 exec, exec, s[12:13]
	v_and_b32_e32 v44, 0xffff0000, v22
	v_lshlrev_b32_e32 v9, 16, v29
	v_mul_f32_e32 v9, v44, v9
	v_and_b32_e32 v22, 0x7f800000, v9
	v_cmp_ne_u32_e64 s[4:5], s15, v22
                                        ; implicit-def: $agpr15
	s_and_saveexec_b64 s[12:13], s[4:5]
	s_xor_b64 s[4:5], exec, s[12:13]
; %bb.730:                              ;   in Loop: Header=BB397_603 Depth=1
	v_bfe_u32 v22, v9, 16, 1
	v_add3_u32 v9, v9, v22, s21
	v_accvgpr_write_b32 a15, v9
                                        ; implicit-def: $vgpr9
; %bb.731:                              ;   in Loop: Header=BB397_603 Depth=1
	s_andn2_saveexec_b64 s[12:13], s[4:5]
; %bb.732:                              ;   in Loop: Header=BB397_603 Depth=1
	v_or_b32_e32 v22, 0x10000, v9
	v_cmp_eq_u32_sdwa s[4:5], v9, v11 src0_sel:WORD_0 src1_sel:DWORD
	v_cndmask_b32_e64 v9, v22, v9, s[4:5]
	v_accvgpr_write_b32 a15, v9
; %bb.733:                              ;   in Loop: Header=BB397_603 Depth=1
	s_or_b64 exec, exec, s[12:13]
	v_and_b32_e32 v45, 0xffff0000, v8
	v_lshlrev_b32_e32 v8, 16, v10
	v_mul_f32_e32 v8, v45, v8
	v_and_b32_e32 v9, 0x7f800000, v8
	v_cmp_ne_u32_e64 s[4:5], s15, v9
                                        ; implicit-def: $agpr16
	s_and_saveexec_b64 s[12:13], s[4:5]
	s_xor_b64 s[4:5], exec, s[12:13]
; %bb.734:                              ;   in Loop: Header=BB397_603 Depth=1
	v_bfe_u32 v9, v8, 16, 1
	v_add3_u32 v8, v8, v9, s21
	v_accvgpr_write_b32 a16, v8
                                        ; implicit-def: $vgpr8
; %bb.735:                              ;   in Loop: Header=BB397_603 Depth=1
	s_andn2_saveexec_b64 s[12:13], s[4:5]
; %bb.736:                              ;   in Loop: Header=BB397_603 Depth=1
	v_or_b32_e32 v9, 0x10000, v8
	v_cmp_eq_u32_sdwa s[4:5], v8, v11 src0_sel:WORD_0 src1_sel:DWORD
	v_cndmask_b32_e64 v8, v9, v8, s[4:5]
	v_accvgpr_write_b32 a16, v8
; %bb.737:                              ;   in Loop: Header=BB397_603 Depth=1
	s_or_b64 exec, exec, s[12:13]
	v_and_b32_e32 v46, 0xffff0000, v7
	v_lshlrev_b32_e32 v6, 16, v6
	v_mul_f32_e32 v6, v46, v6
	v_and_b32_e32 v7, 0x7f800000, v6
	v_cmp_ne_u32_e64 s[4:5], s15, v7
                                        ; implicit-def: $agpr17
	s_and_saveexec_b64 s[12:13], s[4:5]
	s_xor_b64 s[4:5], exec, s[12:13]
; %bb.738:                              ;   in Loop: Header=BB397_603 Depth=1
	v_bfe_u32 v7, v6, 16, 1
	v_add3_u32 v6, v6, v7, s21
	v_accvgpr_write_b32 a17, v6
                                        ; implicit-def: $vgpr6
; %bb.739:                              ;   in Loop: Header=BB397_603 Depth=1
	s_andn2_saveexec_b64 s[12:13], s[4:5]
; %bb.740:                              ;   in Loop: Header=BB397_603 Depth=1
	v_or_b32_e32 v7, 0x10000, v6
	v_cmp_eq_u32_sdwa s[4:5], v6, v11 src0_sel:WORD_0 src1_sel:DWORD
	v_cndmask_b32_e64 v6, v7, v6, s[4:5]
	v_accvgpr_write_b32 a17, v6
; %bb.741:                              ;   in Loop: Header=BB397_603 Depth=1
	s_or_b64 exec, exec, s[12:13]
	v_and_b32_e32 v47, 0xffff0000, v5
	v_lshlrev_b32_e32 v3, 16, v3
	v_mul_f32_e32 v3, v47, v3
	v_and_b32_e32 v5, 0x7f800000, v3
	v_cmp_ne_u32_e64 s[4:5], s15, v5
                                        ; implicit-def: $agpr18
	s_and_saveexec_b64 s[12:13], s[4:5]
	s_xor_b64 s[4:5], exec, s[12:13]
; %bb.742:                              ;   in Loop: Header=BB397_603 Depth=1
	v_bfe_u32 v5, v3, 16, 1
	v_add3_u32 v3, v3, v5, s21
	v_accvgpr_write_b32 a18, v3
                                        ; implicit-def: $vgpr3
; %bb.743:                              ;   in Loop: Header=BB397_603 Depth=1
	s_andn2_saveexec_b64 s[12:13], s[4:5]
; %bb.744:                              ;   in Loop: Header=BB397_603 Depth=1
	v_or_b32_e32 v5, 0x10000, v3
	v_cmp_eq_u32_sdwa s[4:5], v3, v11 src0_sel:WORD_0 src1_sel:DWORD
	v_cndmask_b32_e64 v3, v5, v3, s[4:5]
	v_accvgpr_write_b32 a18, v3
; %bb.745:                              ;   in Loop: Header=BB397_603 Depth=1
	s_or_b64 exec, exec, s[12:13]
	v_and_b32_e32 v56, 0xffff0000, v4
	v_lshlrev_b32_e32 v2, 16, v2
	v_mul_f32_e32 v2, v56, v2
	v_and_b32_e32 v3, 0x7f800000, v2
	v_cmp_ne_u32_e64 s[4:5], s15, v3
                                        ; implicit-def: $agpr19
	s_and_saveexec_b64 s[12:13], s[4:5]
	s_xor_b64 s[4:5], exec, s[12:13]
; %bb.746:                              ;   in Loop: Header=BB397_603 Depth=1
	v_bfe_u32 v3, v2, 16, 1
	v_add3_u32 v2, v2, v3, s21
	v_accvgpr_write_b32 a19, v2
                                        ; implicit-def: $vgpr2
; %bb.747:                              ;   in Loop: Header=BB397_603 Depth=1
	s_andn2_saveexec_b64 s[12:13], s[4:5]
; %bb.748:                              ;   in Loop: Header=BB397_603 Depth=1
	v_or_b32_e32 v3, 0x10000, v2
	v_cmp_eq_u32_sdwa s[4:5], v2, v11 src0_sel:WORD_0 src1_sel:DWORD
	v_cndmask_b32_e64 v2, v3, v2, s[4:5]
	v_accvgpr_write_b32 a19, v2
; %bb.749:                              ;   in Loop: Header=BB397_603 Depth=1
	s_or_b64 exec, exec, s[12:13]
	flat_load_dwordx2 v[2:3], v[0:1] offset:512
	v_mov_b32_e32 v4, 0
	s_waitcnt vmcnt(0) lgkmcnt(0)
	v_cmp_ne_u16_sdwa s[4:5], v2, v11 src0_sel:BYTE_0 src1_sel:DWORD
	s_and_saveexec_b64 s[12:13], s[4:5]
	s_cbranch_execz .LBB397_755
; %bb.750:                              ;   in Loop: Header=BB397_603 Depth=1
	v_cmp_ne_u16_sdwa s[4:5], v2, s28 src0_sel:BYTE_0 src1_sel:DWORD
	v_bfrev_b32_e32 v4, 1
	s_and_saveexec_b64 s[24:25], s[4:5]
	s_cbranch_execz .LBB397_754
; %bb.751:                              ;   in Loop: Header=BB397_603 Depth=1
	v_and_b32_e32 v5, 0x7f, v2
	v_cmp_ne_u32_e64 s[4:5], s29, v5
	v_mov_b32_e32 v4, 0x7f800001
	s_and_saveexec_b64 s[26:27], s[4:5]
	s_cbranch_execz .LBB397_753
; %bb.752:                              ;   in Loop: Header=BB397_603 Depth=1
	v_and_b32_e32 v4, 7, v2
	v_ffbh_u32_e32 v4, v4
	v_min_u32_e32 v4, 32, v4
	v_lshrrev_b32_e32 v6, 3, v5
	v_subrev_u32_e32 v7, 28, v4
	v_sub_u32_e32 v4, 29, v4
	v_cmp_gt_u32_e64 s[4:5], 8, v5
	v_cndmask_b32_e64 v6, v6, v4, s[4:5]
	v_cndmask_b32_e64 v4, 0, v7, s[4:5]
	v_lshlrev_b64 v[4:5], v4, v[2:3]
	v_lshlrev_b32_e32 v4, 20, v4
	v_lshlrev_b32_e32 v5, 24, v2
	v_bfrev_b32_e32 v7, 60
	v_and_b32_e32 v4, 0x700000, v4
	v_and_b32_e32 v5, 0x80000000, v5
	v_lshl_add_u32 v6, v6, 23, v7
	v_or3_b32 v4, v5, v6, v4
.LBB397_753:                            ;   in Loop: Header=BB397_603 Depth=1
	s_or_b64 exec, exec, s[26:27]
.LBB397_754:                            ;   in Loop: Header=BB397_603 Depth=1
	s_or_b64 exec, exec, s[24:25]
.LBB397_755:                            ;   in Loop: Header=BB397_603 Depth=1
	s_or_b64 exec, exec, s[12:13]
	v_mul_f32_e32 v5, v26, v4
	v_and_b32_e32 v4, 0x7f800000, v5
	v_cmp_ne_u32_e64 s[4:5], s15, v4
                                        ; implicit-def: $vgpr4
	s_and_saveexec_b64 s[12:13], s[4:5]
	s_xor_b64 s[4:5], exec, s[12:13]
; %bb.756:                              ;   in Loop: Header=BB397_603 Depth=1
	v_bfe_u32 v4, v5, 16, 1
	v_add3_u32 v4, v5, v4, s21
                                        ; implicit-def: $vgpr5
; %bb.757:                              ;   in Loop: Header=BB397_603 Depth=1
	s_andn2_saveexec_b64 s[12:13], s[4:5]
; %bb.758:                              ;   in Loop: Header=BB397_603 Depth=1
	v_or_b32_e32 v4, 0x10000, v5
	v_cmp_eq_u32_sdwa s[4:5], v5, v11 src0_sel:WORD_0 src1_sel:DWORD
	v_cndmask_b32_e64 v4, v4, v5, s[4:5]
; %bb.759:                              ;   in Loop: Header=BB397_603 Depth=1
	s_or_b64 exec, exec, s[12:13]
	v_lshrrev_b16_e32 v6, 8, v2
	v_cmp_ne_u16_e64 s[4:5], 0, v6
	v_mov_b32_e32 v5, 0
	s_and_saveexec_b64 s[12:13], s[4:5]
	s_cbranch_execz .LBB397_765
; %bb.760:                              ;   in Loop: Header=BB397_603 Depth=1
	v_cmp_ne_u16_e64 s[4:5], s28, v6
	v_bfrev_b32_e32 v5, 1
	s_and_saveexec_b64 s[24:25], s[4:5]
	s_cbranch_execz .LBB397_764
; %bb.761:                              ;   in Loop: Header=BB397_603 Depth=1
	v_and_b32_e32 v7, 0x7f, v6
	v_cmp_ne_u32_e64 s[4:5], s29, v7
	v_mov_b32_e32 v5, 0x7f800001
	s_and_saveexec_b64 s[26:27], s[4:5]
	s_cbranch_execz .LBB397_763
; %bb.762:                              ;   in Loop: Header=BB397_603 Depth=1
	v_and_b32_e32 v5, 7, v6
	v_ffbh_u32_e32 v8, v5
	v_min_u32_e32 v22, 32, v8
	v_subrev_u32_e32 v8, 28, v22
	v_lshlrev_b64 v[8:9], v8, v[6:7]
	v_lshrrev_b32_e32 v10, 3, v7
	v_sub_u32_e32 v6, 29, v22
	v_and_b32_e32 v8, 7, v8
	v_cmp_gt_u32_e64 s[4:5], 8, v7
	v_cndmask_b32_e64 v6, v10, v6, s[4:5]
	v_cndmask_b32_e64 v5, v5, v8, s[4:5]
	v_lshlrev_b32_e32 v7, 16, v2
	v_bfrev_b32_e32 v8, 60
	v_lshlrev_b32_e32 v5, 20, v5
	v_and_b32_e32 v7, 0x80000000, v7
	v_lshl_add_u32 v6, v6, 23, v8
	v_or3_b32 v5, v7, v6, v5
.LBB397_763:                            ;   in Loop: Header=BB397_603 Depth=1
	s_or_b64 exec, exec, s[26:27]
.LBB397_764:                            ;   in Loop: Header=BB397_603 Depth=1
	s_or_b64 exec, exec, s[24:25]
.LBB397_765:                            ;   in Loop: Header=BB397_603 Depth=1
	s_or_b64 exec, exec, s[12:13]
	v_mul_f32_e32 v6, v26, v5
	v_and_b32_e32 v5, 0x7f800000, v6
	v_cmp_ne_u32_e64 s[4:5], s15, v5
                                        ; implicit-def: $vgpr5
	s_and_saveexec_b64 s[12:13], s[4:5]
	s_xor_b64 s[4:5], exec, s[12:13]
; %bb.766:                              ;   in Loop: Header=BB397_603 Depth=1
	v_bfe_u32 v5, v6, 16, 1
	v_add3_u32 v5, v6, v5, s21
                                        ; implicit-def: $vgpr6
; %bb.767:                              ;   in Loop: Header=BB397_603 Depth=1
	s_andn2_saveexec_b64 s[12:13], s[4:5]
; %bb.768:                              ;   in Loop: Header=BB397_603 Depth=1
	v_or_b32_e32 v5, 0x10000, v6
	v_cmp_eq_u32_sdwa s[4:5], v6, v11 src0_sel:WORD_0 src1_sel:DWORD
	v_cndmask_b32_e64 v5, v5, v6, s[4:5]
; %bb.769:                              ;   in Loop: Header=BB397_603 Depth=1
	s_or_b64 exec, exec, s[12:13]
	v_lshrrev_b32_e32 v6, 16, v2
	v_cmp_ne_u16_sdwa s[4:5], v6, v11 src0_sel:BYTE_0 src1_sel:DWORD
	v_mov_b32_e32 v7, 0
	s_and_saveexec_b64 s[12:13], s[4:5]
	s_cbranch_execz .LBB397_775
; %bb.770:                              ;   in Loop: Header=BB397_603 Depth=1
	v_cmp_ne_u16_sdwa s[4:5], v6, s28 src0_sel:BYTE_0 src1_sel:DWORD
	v_bfrev_b32_e32 v7, 1
	s_and_saveexec_b64 s[24:25], s[4:5]
	s_cbranch_execz .LBB397_774
; %bb.771:                              ;   in Loop: Header=BB397_603 Depth=1
	v_bfe_u32 v8, v2, 16, 7
	v_cmp_ne_u32_e64 s[4:5], s29, v8
	v_mov_b32_e32 v7, 0x7f800001
	s_and_saveexec_b64 s[26:27], s[4:5]
	s_cbranch_execz .LBB397_773
; %bb.772:                              ;   in Loop: Header=BB397_603 Depth=1
	v_and_b32_e32 v7, 7, v6
	v_ffbh_u32_e32 v10, v7
	v_min_u32_e32 v10, 32, v10
	v_subrev_u32_e32 v22, 28, v10
	v_lshlrev_b64 v[22:23], v22, v[6:7]
	v_lshrrev_b32_e32 v9, 3, v8
	v_sub_u32_e32 v10, 29, v10
	v_and_b32_e32 v22, 7, v22
	v_cmp_gt_u32_e64 s[4:5], 8, v8
	v_cndmask_b32_e64 v8, v9, v10, s[4:5]
	v_cndmask_b32_e64 v7, v7, v22, s[4:5]
	v_lshlrev_b32_e32 v6, 24, v6
	v_bfrev_b32_e32 v9, 60
	v_lshlrev_b32_e32 v7, 20, v7
	v_and_b32_e32 v6, 0x80000000, v6
	v_lshl_add_u32 v8, v8, 23, v9
	v_or3_b32 v7, v6, v8, v7
.LBB397_773:                            ;   in Loop: Header=BB397_603 Depth=1
	s_or_b64 exec, exec, s[26:27]
.LBB397_774:                            ;   in Loop: Header=BB397_603 Depth=1
	s_or_b64 exec, exec, s[24:25]
.LBB397_775:                            ;   in Loop: Header=BB397_603 Depth=1
	s_or_b64 exec, exec, s[12:13]
	v_mul_f32_e32 v6, v26, v7
	v_and_b32_e32 v7, 0x7f800000, v6
	v_cmp_ne_u32_e64 s[4:5], s15, v7
                                        ; implicit-def: $vgpr7
	s_and_saveexec_b64 s[12:13], s[4:5]
	s_xor_b64 s[4:5], exec, s[12:13]
; %bb.776:                              ;   in Loop: Header=BB397_603 Depth=1
	v_bfe_u32 v7, v6, 16, 1
	v_add3_u32 v7, v6, v7, s21
                                        ; implicit-def: $vgpr6
; %bb.777:                              ;   in Loop: Header=BB397_603 Depth=1
	s_andn2_saveexec_b64 s[12:13], s[4:5]
; %bb.778:                              ;   in Loop: Header=BB397_603 Depth=1
	v_or_b32_e32 v7, 0x10000, v6
	v_cmp_eq_u32_sdwa s[4:5], v6, v11 src0_sel:WORD_0 src1_sel:DWORD
	v_cndmask_b32_e64 v7, v7, v6, s[4:5]
; %bb.779:                              ;   in Loop: Header=BB397_603 Depth=1
	s_or_b64 exec, exec, s[12:13]
	v_cmp_lt_u32_e64 s[4:5], s9, v2
	v_mov_b32_e32 v8, 0
	s_and_saveexec_b64 s[12:13], s[4:5]
	s_cbranch_execz .LBB397_785
; %bb.780:                              ;   in Loop: Header=BB397_603 Depth=1
	v_lshrrev_b32_e32 v6, 24, v2
	v_cmp_ne_u32_e64 s[4:5], s28, v6
	v_bfrev_b32_e32 v8, 1
	s_and_saveexec_b64 s[24:25], s[4:5]
	s_cbranch_execz .LBB397_784
; %bb.781:                              ;   in Loop: Header=BB397_603 Depth=1
	v_bfe_u32 v9, v2, 24, 7
	v_cmp_ne_u32_e64 s[4:5], s29, v9
	v_mov_b32_e32 v8, 0x7f800001
	s_and_saveexec_b64 s[26:27], s[4:5]
	s_cbranch_execz .LBB397_783
; %bb.782:                              ;   in Loop: Header=BB397_603 Depth=1
	v_and_b32_e32 v8, 7, v6
	v_ffbh_u32_e32 v22, v8
	v_min_u32_e32 v24, 32, v22
	v_subrev_u32_e32 v22, 28, v24
	v_lshlrev_b64 v[22:23], v22, v[6:7]
	v_lshrrev_b32_e32 v10, 3, v9
	v_sub_u32_e32 v23, 29, v24
	v_and_b32_e32 v22, 7, v22
	v_cmp_gt_u32_e64 s[4:5], 8, v9
	v_cndmask_b32_e64 v9, v10, v23, s[4:5]
	v_cndmask_b32_e64 v8, v8, v22, s[4:5]
	v_lshlrev_b32_e32 v6, 24, v6
	v_bfrev_b32_e32 v10, 60
	v_lshlrev_b32_e32 v8, 20, v8
	v_and_b32_e32 v6, 0x80000000, v6
	v_lshl_add_u32 v9, v9, 23, v10
	v_or3_b32 v8, v6, v9, v8
.LBB397_783:                            ;   in Loop: Header=BB397_603 Depth=1
	s_or_b64 exec, exec, s[26:27]
.LBB397_784:                            ;   in Loop: Header=BB397_603 Depth=1
	s_or_b64 exec, exec, s[24:25]
.LBB397_785:                            ;   in Loop: Header=BB397_603 Depth=1
	s_or_b64 exec, exec, s[12:13]
	v_mul_f32_e32 v6, v26, v8
	v_and_b32_e32 v8, 0x7f800000, v6
	v_cmp_ne_u32_e64 s[4:5], s15, v8
                                        ; implicit-def: $vgpr8
	s_and_saveexec_b64 s[12:13], s[4:5]
	s_xor_b64 s[4:5], exec, s[12:13]
; %bb.786:                              ;   in Loop: Header=BB397_603 Depth=1
	v_bfe_u32 v8, v6, 16, 1
	v_add3_u32 v8, v6, v8, s21
                                        ; implicit-def: $vgpr6
; %bb.787:                              ;   in Loop: Header=BB397_603 Depth=1
	s_andn2_saveexec_b64 s[12:13], s[4:5]
; %bb.788:                              ;   in Loop: Header=BB397_603 Depth=1
	v_or_b32_e32 v8, 0x10000, v6
	v_cmp_eq_u32_sdwa s[4:5], v6, v11 src0_sel:WORD_0 src1_sel:DWORD
	v_cndmask_b32_e64 v8, v8, v6, s[4:5]
; %bb.789:                              ;   in Loop: Header=BB397_603 Depth=1
	s_or_b64 exec, exec, s[12:13]
	v_mov_b32_e32 v10, v3
	v_cmp_ne_u16_sdwa s[4:5], v3, v11 src0_sel:BYTE_0 src1_sel:DWORD
	v_mov_b32_e32 v6, 0
	s_and_saveexec_b64 s[12:13], s[4:5]
	s_cbranch_execz .LBB397_795
; %bb.790:                              ;   in Loop: Header=BB397_603 Depth=1
	v_cmp_ne_u16_sdwa s[4:5], v3, s28 src0_sel:BYTE_0 src1_sel:DWORD
	v_bfrev_b32_e32 v6, 1
	s_and_saveexec_b64 s[24:25], s[4:5]
	s_cbranch_execz .LBB397_794
; %bb.791:                              ;   in Loop: Header=BB397_603 Depth=1
	v_and_b32_e32 v9, 0x7f, v3
	v_cmp_ne_u32_e64 s[4:5], s29, v9
	v_mov_b32_e32 v6, 0x7f800001
	s_and_saveexec_b64 s[26:27], s[4:5]
	s_cbranch_execz .LBB397_793
; %bb.792:                              ;   in Loop: Header=BB397_603 Depth=1
	v_and_b32_e32 v6, 7, v3
	v_ffbh_u32_e32 v6, v6
	v_min_u32_e32 v6, 32, v6
	v_subrev_u32_e32 v23, 28, v6
	v_cmp_gt_u32_e64 s[4:5], 8, v9
	v_lshrrev_b32_e32 v22, 3, v9
	v_sub_u32_e32 v6, 29, v6
	v_cndmask_b32_e64 v9, 0, v23, s[4:5]
	v_cndmask_b32_e64 v6, v22, v6, s[4:5]
	v_lshlrev_b64 v[22:23], v9, v[10:11]
	v_lshlrev_b32_e32 v9, 20, v22
	v_lshlrev_b32_e32 v22, 24, v10
	v_bfrev_b32_e32 v23, 60
	v_and_b32_e32 v9, 0x700000, v9
	v_and_b32_e32 v22, 0x80000000, v22
	v_lshl_add_u32 v6, v6, 23, v23
	v_or3_b32 v6, v22, v6, v9
.LBB397_793:                            ;   in Loop: Header=BB397_603 Depth=1
	s_or_b64 exec, exec, s[26:27]
.LBB397_794:                            ;   in Loop: Header=BB397_603 Depth=1
	s_or_b64 exec, exec, s[24:25]
.LBB397_795:                            ;   in Loop: Header=BB397_603 Depth=1
	s_or_b64 exec, exec, s[12:13]
	v_mul_f32_e32 v6, v26, v6
	v_and_b32_e32 v9, 0x7f800000, v6
	v_cmp_ne_u32_e64 s[4:5], s15, v9
                                        ; implicit-def: $vgpr9
	s_and_saveexec_b64 s[12:13], s[4:5]
	s_xor_b64 s[4:5], exec, s[12:13]
; %bb.796:                              ;   in Loop: Header=BB397_603 Depth=1
	v_bfe_u32 v9, v6, 16, 1
	v_add3_u32 v9, v6, v9, s21
                                        ; implicit-def: $vgpr6
; %bb.797:                              ;   in Loop: Header=BB397_603 Depth=1
	s_andn2_saveexec_b64 s[12:13], s[4:5]
; %bb.798:                              ;   in Loop: Header=BB397_603 Depth=1
	v_or_b32_e32 v9, 0x10000, v6
	v_cmp_eq_u32_sdwa s[4:5], v6, v11 src0_sel:WORD_0 src1_sel:DWORD
	v_cndmask_b32_e64 v9, v9, v6, s[4:5]
; %bb.799:                              ;   in Loop: Header=BB397_603 Depth=1
	s_or_b64 exec, exec, s[12:13]
	v_lshrrev_b16_e32 v6, 8, v10
	v_cmp_ne_u16_e64 s[4:5], 0, v6
	v_mov_b32_e32 v22, 0
	s_and_saveexec_b64 s[12:13], s[4:5]
	s_cbranch_execz .LBB397_805
; %bb.800:                              ;   in Loop: Header=BB397_603 Depth=1
	v_cmp_ne_u16_e64 s[4:5], s28, v6
	v_bfrev_b32_e32 v22, 1
	s_and_saveexec_b64 s[24:25], s[4:5]
	s_cbranch_execz .LBB397_804
; %bb.801:                              ;   in Loop: Header=BB397_603 Depth=1
	v_and_b32_e32 v23, 0x7f, v6
	v_cmp_ne_u32_e64 s[4:5], s29, v23
	v_mov_b32_e32 v22, 0x7f800001
	s_and_saveexec_b64 s[26:27], s[4:5]
	s_cbranch_execz .LBB397_803
; %bb.802:                              ;   in Loop: Header=BB397_603 Depth=1
	v_and_b32_e32 v22, 7, v6
	v_ffbh_u32_e32 v24, v22
	v_min_u32_e32 v28, 32, v24
	v_subrev_u32_e32 v24, 28, v28
	v_lshlrev_b64 v[24:25], v24, v[6:7]
	v_lshrrev_b32_e32 v27, 3, v23
	v_sub_u32_e32 v6, 29, v28
	v_and_b32_e32 v24, 7, v24
	v_cmp_gt_u32_e64 s[4:5], 8, v23
	v_cndmask_b32_e64 v6, v27, v6, s[4:5]
	v_cndmask_b32_e64 v22, v22, v24, s[4:5]
	v_lshlrev_b32_e32 v10, 16, v10
	v_bfrev_b32_e32 v23, 60
	v_lshlrev_b32_e32 v22, 20, v22
	v_and_b32_e32 v10, 0x80000000, v10
	v_lshl_add_u32 v6, v6, 23, v23
	v_or3_b32 v22, v10, v6, v22
.LBB397_803:                            ;   in Loop: Header=BB397_603 Depth=1
	s_or_b64 exec, exec, s[26:27]
.LBB397_804:                            ;   in Loop: Header=BB397_603 Depth=1
	s_or_b64 exec, exec, s[24:25]
.LBB397_805:                            ;   in Loop: Header=BB397_603 Depth=1
	s_or_b64 exec, exec, s[12:13]
	v_mul_f32_e32 v6, v26, v22
	v_and_b32_e32 v10, 0x7f800000, v6
	v_cmp_ne_u32_e64 s[4:5], s15, v10
                                        ; implicit-def: $vgpr10
	s_and_saveexec_b64 s[12:13], s[4:5]
	s_xor_b64 s[4:5], exec, s[12:13]
; %bb.806:                              ;   in Loop: Header=BB397_603 Depth=1
	v_bfe_u32 v10, v6, 16, 1
	v_add3_u32 v10, v6, v10, s21
                                        ; implicit-def: $vgpr6
; %bb.807:                              ;   in Loop: Header=BB397_603 Depth=1
	s_andn2_saveexec_b64 s[12:13], s[4:5]
; %bb.808:                              ;   in Loop: Header=BB397_603 Depth=1
	v_or_b32_e32 v10, 0x10000, v6
	v_cmp_eq_u32_sdwa s[4:5], v6, v11 src0_sel:WORD_0 src1_sel:DWORD
	v_cndmask_b32_e64 v10, v10, v6, s[4:5]
; %bb.809:                              ;   in Loop: Header=BB397_603 Depth=1
	s_or_b64 exec, exec, s[12:13]
	v_lshrrev_b32_e32 v6, 16, v3
	v_cmp_ne_u16_sdwa s[4:5], v6, v11 src0_sel:BYTE_0 src1_sel:DWORD
	v_mov_b32_e32 v22, 0
	s_and_saveexec_b64 s[12:13], s[4:5]
	s_cbranch_execz .LBB397_815
; %bb.810:                              ;   in Loop: Header=BB397_603 Depth=1
	v_cmp_ne_u16_sdwa s[4:5], v6, s28 src0_sel:BYTE_0 src1_sel:DWORD
	v_bfrev_b32_e32 v22, 1
	s_and_saveexec_b64 s[24:25], s[4:5]
	s_cbranch_execz .LBB397_814
; %bb.811:                              ;   in Loop: Header=BB397_603 Depth=1
	v_bfe_u32 v23, v3, 16, 7
	v_cmp_ne_u32_e64 s[4:5], s29, v23
	v_mov_b32_e32 v22, 0x7f800001
	s_and_saveexec_b64 s[26:27], s[4:5]
	s_cbranch_execz .LBB397_813
; %bb.812:                              ;   in Loop: Header=BB397_603 Depth=1
	v_and_b32_e32 v22, 7, v6
	v_ffbh_u32_e32 v24, v22
	v_min_u32_e32 v28, 32, v24
	v_subrev_u32_e32 v24, 28, v28
	v_lshlrev_b64 v[24:25], v24, v[6:7]
	v_lshrrev_b32_e32 v27, 3, v23
	v_sub_u32_e32 v25, 29, v28
	v_and_b32_e32 v24, 7, v24
	v_cmp_gt_u32_e64 s[4:5], 8, v23
	v_cndmask_b32_e64 v23, v27, v25, s[4:5]
	v_cndmask_b32_e64 v22, v22, v24, s[4:5]
	v_lshlrev_b32_e32 v6, 24, v6
	v_bfrev_b32_e32 v24, 60
	v_lshlrev_b32_e32 v22, 20, v22
	v_and_b32_e32 v6, 0x80000000, v6
	v_lshl_add_u32 v23, v23, 23, v24
	v_or3_b32 v22, v6, v23, v22
.LBB397_813:                            ;   in Loop: Header=BB397_603 Depth=1
	s_or_b64 exec, exec, s[26:27]
.LBB397_814:                            ;   in Loop: Header=BB397_603 Depth=1
	s_or_b64 exec, exec, s[24:25]
.LBB397_815:                            ;   in Loop: Header=BB397_603 Depth=1
	s_or_b64 exec, exec, s[12:13]
	v_mul_f32_e32 v6, v26, v22
	v_and_b32_e32 v22, 0x7f800000, v6
	v_cmp_ne_u32_e64 s[4:5], s15, v22
                                        ; implicit-def: $vgpr22
	s_and_saveexec_b64 s[12:13], s[4:5]
	s_xor_b64 s[4:5], exec, s[12:13]
; %bb.816:                              ;   in Loop: Header=BB397_603 Depth=1
	v_bfe_u32 v22, v6, 16, 1
	v_add3_u32 v22, v6, v22, s21
                                        ; implicit-def: $vgpr6
; %bb.817:                              ;   in Loop: Header=BB397_603 Depth=1
	s_andn2_saveexec_b64 s[12:13], s[4:5]
; %bb.818:                              ;   in Loop: Header=BB397_603 Depth=1
	v_or_b32_e32 v22, 0x10000, v6
	v_cmp_eq_u32_sdwa s[4:5], v6, v11 src0_sel:WORD_0 src1_sel:DWORD
	v_cndmask_b32_e64 v22, v22, v6, s[4:5]
; %bb.819:                              ;   in Loop: Header=BB397_603 Depth=1
	s_or_b64 exec, exec, s[12:13]
	v_cmp_lt_u64_e64 s[4:5], s[8:9], v[2:3]
	v_mov_b32_e32 v6, 0
	s_and_saveexec_b64 s[12:13], s[4:5]
	s_cbranch_execz .LBB397_825
; %bb.820:                              ;   in Loop: Header=BB397_603 Depth=1
	v_lshrrev_b32_e32 v2, 24, v3
	v_cmp_ne_u32_e64 s[4:5], s28, v2
	v_bfrev_b32_e32 v6, 1
	s_and_saveexec_b64 s[24:25], s[4:5]
	s_cbranch_execz .LBB397_824
; %bb.821:                              ;   in Loop: Header=BB397_603 Depth=1
	v_bfe_u32 v3, v3, 24, 7
	v_cmp_ne_u32_e64 s[4:5], s29, v3
	v_mov_b32_e32 v6, 0x7f800001
	s_and_saveexec_b64 s[26:27], s[4:5]
	s_cbranch_execz .LBB397_823
; %bb.822:                              ;   in Loop: Header=BB397_603 Depth=1
	v_and_b32_e32 v6, 7, v2
	v_ffbh_u32_e32 v24, v6
	v_min_u32_e32 v27, 32, v24
	v_subrev_u32_e32 v24, 28, v27
	v_lshlrev_b64 v[24:25], v24, v[2:3]
	v_lshrrev_b32_e32 v23, 3, v3
	v_sub_u32_e32 v25, 29, v27
	v_and_b32_e32 v24, 7, v24
	v_cmp_gt_u32_e64 s[4:5], 8, v3
	v_cndmask_b32_e64 v3, v23, v25, s[4:5]
	v_cndmask_b32_e64 v6, v6, v24, s[4:5]
	v_lshlrev_b32_e32 v2, 24, v2
	v_bfrev_b32_e32 v23, 60
	v_lshlrev_b32_e32 v6, 20, v6
	v_and_b32_e32 v2, 0x80000000, v2
	v_lshl_add_u32 v3, v3, 23, v23
	v_or3_b32 v6, v2, v3, v6
.LBB397_823:                            ;   in Loop: Header=BB397_603 Depth=1
	s_or_b64 exec, exec, s[26:27]
.LBB397_824:                            ;   in Loop: Header=BB397_603 Depth=1
	s_or_b64 exec, exec, s[24:25]
.LBB397_825:                            ;   in Loop: Header=BB397_603 Depth=1
	s_or_b64 exec, exec, s[12:13]
	v_mul_f32_e32 v3, v26, v6
	v_and_b32_e32 v2, 0x7f800000, v3
	v_cmp_ne_u32_e64 s[4:5], s15, v2
                                        ; implicit-def: $vgpr2
	s_and_saveexec_b64 s[12:13], s[4:5]
	s_xor_b64 s[4:5], exec, s[12:13]
; %bb.826:                              ;   in Loop: Header=BB397_603 Depth=1
	v_bfe_u32 v2, v3, 16, 1
	v_add3_u32 v2, v3, v2, s21
                                        ; implicit-def: $vgpr3
; %bb.827:                              ;   in Loop: Header=BB397_603 Depth=1
	s_andn2_saveexec_b64 s[12:13], s[4:5]
; %bb.828:                              ;   in Loop: Header=BB397_603 Depth=1
	v_or_b32_e32 v2, 0x10000, v3
	v_cmp_eq_u32_sdwa s[4:5], v3, v11 src0_sel:WORD_0 src1_sel:DWORD
	v_cndmask_b32_e64 v2, v2, v3, s[4:5]
; %bb.829:                              ;   in Loop: Header=BB397_603 Depth=1
	s_or_b64 exec, exec, s[12:13]
	v_lshrrev_b32_e32 v6, 16, v10
	v_lshrrev_b32_e32 v9, 16, v9
	v_lshrrev_b32_e32 v8, 16, v8
	v_lshrrev_b32_e32 v7, 16, v7
	v_lshrrev_b32_e32 v5, 16, v5
	v_lshrrev_b32_e32 v4, 16, v4
	v_lshrrev_b32_e32 v3, 16, v22
	v_lshrrev_b32_e32 v2, 16, v2
	s_and_saveexec_b64 s[12:13], vcc
	s_cbranch_execz .LBB397_831
; %bb.830:                              ;   in Loop: Header=BB397_603 Depth=1
	v_accvgpr_read_b32 v10, a20
	v_cmp_lt_i32_e64 s[4:5], v10, v32
	v_accvgpr_read_b32 v10, a26
	v_cndmask_b32_e64 v4, 0, v4, s[4:5]
	v_cmp_lt_i32_e64 s[4:5], v10, v32
	v_accvgpr_read_b32 v10, a25
	v_cndmask_b32_e64 v5, 0, v5, s[4:5]
	;; [unrolled: 3-line block ×6, first 2 shown]
	v_cmp_lt_i32_e64 s[4:5], v10, v32
	v_cndmask_b32_e64 v3, 0, v3, s[4:5]
	v_cmp_lt_i32_e64 s[4:5], v17, v32
	v_cndmask_b32_e64 v2, 0, v2, s[4:5]
.LBB397_831:                            ;   in Loop: Header=BB397_603 Depth=1
	s_or_b64 exec, exec, s[12:13]
	v_lshlrev_b32_e32 v4, 16, v4
	v_mul_f32_e32 v4, v41, v4
	v_and_b32_e32 v10, 0x7f800000, v4
	v_cmp_ne_u32_e64 s[4:5], s15, v10
                                        ; implicit-def: $agpr27
	s_and_saveexec_b64 s[12:13], s[4:5]
	s_xor_b64 s[4:5], exec, s[12:13]
; %bb.832:                              ;   in Loop: Header=BB397_603 Depth=1
	v_bfe_u32 v10, v4, 16, 1
	v_add3_u32 v4, v4, v10, s21
	v_accvgpr_write_b32 a27, v4
                                        ; implicit-def: $vgpr4
; %bb.833:                              ;   in Loop: Header=BB397_603 Depth=1
	s_andn2_saveexec_b64 s[12:13], s[4:5]
; %bb.834:                              ;   in Loop: Header=BB397_603 Depth=1
	v_or_b32_e32 v10, 0x10000, v4
	v_cmp_eq_u32_sdwa s[4:5], v4, v11 src0_sel:WORD_0 src1_sel:DWORD
	v_cndmask_b32_e64 v4, v10, v4, s[4:5]
	v_accvgpr_write_b32 a27, v4
; %bb.835:                              ;   in Loop: Header=BB397_603 Depth=1
	s_or_b64 exec, exec, s[12:13]
	v_lshlrev_b32_e32 v4, 16, v5
	v_mul_f32_e32 v4, v42, v4
	v_and_b32_e32 v5, 0x7f800000, v4
	v_cmp_ne_u32_e64 s[4:5], s15, v5
                                        ; implicit-def: $agpr0
	s_and_saveexec_b64 s[12:13], s[4:5]
	s_xor_b64 s[4:5], exec, s[12:13]
; %bb.836:                              ;   in Loop: Header=BB397_603 Depth=1
	v_bfe_u32 v5, v4, 16, 1
	v_add3_u32 v4, v4, v5, s21
	v_accvgpr_write_b32 a0, v4
                                        ; implicit-def: $vgpr4
; %bb.837:                              ;   in Loop: Header=BB397_603 Depth=1
	s_andn2_saveexec_b64 s[12:13], s[4:5]
; %bb.838:                              ;   in Loop: Header=BB397_603 Depth=1
	v_or_b32_e32 v5, 0x10000, v4
	v_cmp_eq_u32_sdwa s[4:5], v4, v11 src0_sel:WORD_0 src1_sel:DWORD
	v_cndmask_b32_e64 v4, v5, v4, s[4:5]
	v_accvgpr_write_b32 a0, v4
; %bb.839:                              ;   in Loop: Header=BB397_603 Depth=1
	s_or_b64 exec, exec, s[12:13]
	v_lshlrev_b32_e32 v4, 16, v7
	v_mul_f32_e32 v4, v43, v4
	v_and_b32_e32 v5, 0x7f800000, v4
	v_cmp_ne_u32_e64 s[4:5], s15, v5
                                        ; implicit-def: $agpr1
	s_and_saveexec_b64 s[12:13], s[4:5]
	s_xor_b64 s[4:5], exec, s[12:13]
; %bb.840:                              ;   in Loop: Header=BB397_603 Depth=1
	v_bfe_u32 v5, v4, 16, 1
	v_add3_u32 v4, v4, v5, s21
	v_accvgpr_write_b32 a1, v4
                                        ; implicit-def: $vgpr4
; %bb.841:                              ;   in Loop: Header=BB397_603 Depth=1
	s_andn2_saveexec_b64 s[12:13], s[4:5]
; %bb.842:                              ;   in Loop: Header=BB397_603 Depth=1
	v_or_b32_e32 v5, 0x10000, v4
	v_cmp_eq_u32_sdwa s[4:5], v4, v11 src0_sel:WORD_0 src1_sel:DWORD
	v_cndmask_b32_e64 v4, v5, v4, s[4:5]
	v_accvgpr_write_b32 a1, v4
; %bb.843:                              ;   in Loop: Header=BB397_603 Depth=1
	s_or_b64 exec, exec, s[12:13]
	v_lshlrev_b32_e32 v4, 16, v8
	v_mul_f32_e32 v4, v44, v4
	v_and_b32_e32 v5, 0x7f800000, v4
	v_cmp_ne_u32_e64 s[4:5], s15, v5
                                        ; implicit-def: $agpr2
	s_and_saveexec_b64 s[12:13], s[4:5]
	s_xor_b64 s[4:5], exec, s[12:13]
; %bb.844:                              ;   in Loop: Header=BB397_603 Depth=1
	v_bfe_u32 v5, v4, 16, 1
	v_add3_u32 v4, v4, v5, s21
	v_accvgpr_write_b32 a2, v4
                                        ; implicit-def: $vgpr4
; %bb.845:                              ;   in Loop: Header=BB397_603 Depth=1
	s_andn2_saveexec_b64 s[12:13], s[4:5]
; %bb.846:                              ;   in Loop: Header=BB397_603 Depth=1
	v_or_b32_e32 v5, 0x10000, v4
	v_cmp_eq_u32_sdwa s[4:5], v4, v11 src0_sel:WORD_0 src1_sel:DWORD
	v_cndmask_b32_e64 v4, v5, v4, s[4:5]
	v_accvgpr_write_b32 a2, v4
; %bb.847:                              ;   in Loop: Header=BB397_603 Depth=1
	s_or_b64 exec, exec, s[12:13]
	v_lshlrev_b32_e32 v4, 16, v9
	v_mul_f32_e32 v4, v45, v4
	v_and_b32_e32 v5, 0x7f800000, v4
	v_cmp_ne_u32_e64 s[4:5], s15, v5
                                        ; implicit-def: $agpr3
	s_and_saveexec_b64 s[12:13], s[4:5]
	s_xor_b64 s[4:5], exec, s[12:13]
; %bb.848:                              ;   in Loop: Header=BB397_603 Depth=1
	v_bfe_u32 v5, v4, 16, 1
	v_add3_u32 v4, v4, v5, s21
	v_accvgpr_write_b32 a3, v4
                                        ; implicit-def: $vgpr4
; %bb.849:                              ;   in Loop: Header=BB397_603 Depth=1
	s_andn2_saveexec_b64 s[12:13], s[4:5]
; %bb.850:                              ;   in Loop: Header=BB397_603 Depth=1
	v_or_b32_e32 v5, 0x10000, v4
	v_cmp_eq_u32_sdwa s[4:5], v4, v11 src0_sel:WORD_0 src1_sel:DWORD
	v_cndmask_b32_e64 v4, v5, v4, s[4:5]
	v_accvgpr_write_b32 a3, v4
; %bb.851:                              ;   in Loop: Header=BB397_603 Depth=1
	s_or_b64 exec, exec, s[12:13]
	v_lshlrev_b32_e32 v4, 16, v6
	v_mul_f32_e32 v4, v46, v4
	v_and_b32_e32 v5, 0x7f800000, v4
	v_cmp_ne_u32_e64 s[4:5], s15, v5
                                        ; implicit-def: $agpr28
	s_and_saveexec_b64 s[12:13], s[4:5]
	s_xor_b64 s[4:5], exec, s[12:13]
; %bb.852:                              ;   in Loop: Header=BB397_603 Depth=1
	v_bfe_u32 v5, v4, 16, 1
	v_add3_u32 v4, v4, v5, s21
	v_accvgpr_write_b32 a28, v4
                                        ; implicit-def: $vgpr4
; %bb.853:                              ;   in Loop: Header=BB397_603 Depth=1
	s_andn2_saveexec_b64 s[12:13], s[4:5]
; %bb.854:                              ;   in Loop: Header=BB397_603 Depth=1
	v_or_b32_e32 v5, 0x10000, v4
	v_cmp_eq_u32_sdwa s[4:5], v4, v11 src0_sel:WORD_0 src1_sel:DWORD
	v_cndmask_b32_e64 v4, v5, v4, s[4:5]
	v_accvgpr_write_b32 a28, v4
; %bb.855:                              ;   in Loop: Header=BB397_603 Depth=1
	s_or_b64 exec, exec, s[12:13]
	v_lshlrev_b32_e32 v3, 16, v3
	v_mul_f32_e32 v3, v47, v3
	v_and_b32_e32 v4, 0x7f800000, v3
	v_cmp_ne_u32_e64 s[4:5], s15, v4
                                        ; implicit-def: $agpr29
	s_and_saveexec_b64 s[12:13], s[4:5]
	s_xor_b64 s[4:5], exec, s[12:13]
; %bb.856:                              ;   in Loop: Header=BB397_603 Depth=1
	v_bfe_u32 v4, v3, 16, 1
	v_add3_u32 v3, v3, v4, s21
	v_accvgpr_write_b32 a29, v3
                                        ; implicit-def: $vgpr3
; %bb.857:                              ;   in Loop: Header=BB397_603 Depth=1
	s_andn2_saveexec_b64 s[12:13], s[4:5]
; %bb.858:                              ;   in Loop: Header=BB397_603 Depth=1
	v_or_b32_e32 v4, 0x10000, v3
	v_cmp_eq_u32_sdwa s[4:5], v3, v11 src0_sel:WORD_0 src1_sel:DWORD
	v_cndmask_b32_e64 v3, v4, v3, s[4:5]
	v_accvgpr_write_b32 a29, v3
; %bb.859:                              ;   in Loop: Header=BB397_603 Depth=1
	s_or_b64 exec, exec, s[12:13]
	v_lshlrev_b32_e32 v2, 16, v2
	v_mul_f32_e32 v2, v56, v2
	v_and_b32_e32 v3, 0x7f800000, v2
	v_cmp_ne_u32_e64 s[4:5], s15, v3
                                        ; implicit-def: $agpr30
	s_and_saveexec_b64 s[12:13], s[4:5]
	s_xor_b64 s[4:5], exec, s[12:13]
; %bb.860:                              ;   in Loop: Header=BB397_603 Depth=1
	v_bfe_u32 v3, v2, 16, 1
	v_add3_u32 v2, v2, v3, s21
	v_accvgpr_write_b32 a30, v2
                                        ; implicit-def: $vgpr2
; %bb.861:                              ;   in Loop: Header=BB397_603 Depth=1
	s_andn2_saveexec_b64 s[12:13], s[4:5]
; %bb.862:                              ;   in Loop: Header=BB397_603 Depth=1
	v_or_b32_e32 v3, 0x10000, v2
	v_cmp_eq_u32_sdwa s[4:5], v2, v11 src0_sel:WORD_0 src1_sel:DWORD
	v_cndmask_b32_e64 v2, v3, v2, s[4:5]
	v_accvgpr_write_b32 a30, v2
; %bb.863:                              ;   in Loop: Header=BB397_603 Depth=1
	s_or_b64 exec, exec, s[12:13]
	flat_load_dwordx2 v[2:3], v[0:1] offset:1024
	v_mov_b32_e32 v4, 0
	s_waitcnt vmcnt(0) lgkmcnt(0)
	v_cmp_ne_u16_sdwa s[4:5], v2, v11 src0_sel:BYTE_0 src1_sel:DWORD
	s_and_saveexec_b64 s[12:13], s[4:5]
	s_cbranch_execz .LBB397_869
; %bb.864:                              ;   in Loop: Header=BB397_603 Depth=1
	v_cmp_ne_u16_sdwa s[4:5], v2, s28 src0_sel:BYTE_0 src1_sel:DWORD
	v_bfrev_b32_e32 v4, 1
	s_and_saveexec_b64 s[24:25], s[4:5]
	s_cbranch_execz .LBB397_868
; %bb.865:                              ;   in Loop: Header=BB397_603 Depth=1
	v_and_b32_e32 v5, 0x7f, v2
	v_cmp_ne_u32_e64 s[4:5], s29, v5
	v_mov_b32_e32 v4, 0x7f800001
	s_and_saveexec_b64 s[26:27], s[4:5]
	s_cbranch_execz .LBB397_867
; %bb.866:                              ;   in Loop: Header=BB397_603 Depth=1
	v_and_b32_e32 v4, 7, v2
	v_ffbh_u32_e32 v4, v4
	v_min_u32_e32 v4, 32, v4
	v_lshrrev_b32_e32 v6, 3, v5
	v_subrev_u32_e32 v7, 28, v4
	v_sub_u32_e32 v4, 29, v4
	v_cmp_gt_u32_e64 s[4:5], 8, v5
	v_cndmask_b32_e64 v6, v6, v4, s[4:5]
	v_cndmask_b32_e64 v4, 0, v7, s[4:5]
	v_lshlrev_b64 v[4:5], v4, v[2:3]
	v_lshlrev_b32_e32 v4, 20, v4
	v_lshlrev_b32_e32 v5, 24, v2
	v_bfrev_b32_e32 v7, 60
	v_and_b32_e32 v4, 0x700000, v4
	v_and_b32_e32 v5, 0x80000000, v5
	v_lshl_add_u32 v6, v6, 23, v7
	v_or3_b32 v4, v5, v6, v4
.LBB397_867:                            ;   in Loop: Header=BB397_603 Depth=1
	s_or_b64 exec, exec, s[26:27]
.LBB397_868:                            ;   in Loop: Header=BB397_603 Depth=1
	s_or_b64 exec, exec, s[24:25]
.LBB397_869:                            ;   in Loop: Header=BB397_603 Depth=1
	s_or_b64 exec, exec, s[12:13]
	v_mul_f32_e32 v5, v26, v4
	v_and_b32_e32 v4, 0x7f800000, v5
	v_cmp_ne_u32_e64 s[4:5], s15, v4
                                        ; implicit-def: $vgpr4
	s_and_saveexec_b64 s[12:13], s[4:5]
	s_xor_b64 s[4:5], exec, s[12:13]
; %bb.870:                              ;   in Loop: Header=BB397_603 Depth=1
	v_bfe_u32 v4, v5, 16, 1
	v_add3_u32 v4, v5, v4, s21
                                        ; implicit-def: $vgpr5
; %bb.871:                              ;   in Loop: Header=BB397_603 Depth=1
	s_andn2_saveexec_b64 s[12:13], s[4:5]
; %bb.872:                              ;   in Loop: Header=BB397_603 Depth=1
	v_or_b32_e32 v4, 0x10000, v5
	v_cmp_eq_u32_sdwa s[4:5], v5, v11 src0_sel:WORD_0 src1_sel:DWORD
	v_cndmask_b32_e64 v4, v4, v5, s[4:5]
; %bb.873:                              ;   in Loop: Header=BB397_603 Depth=1
	s_or_b64 exec, exec, s[12:13]
	v_lshrrev_b16_e32 v6, 8, v2
	v_cmp_ne_u16_e64 s[4:5], 0, v6
	v_mov_b32_e32 v5, 0
	s_and_saveexec_b64 s[12:13], s[4:5]
	s_cbranch_execz .LBB397_879
; %bb.874:                              ;   in Loop: Header=BB397_603 Depth=1
	v_cmp_ne_u16_e64 s[4:5], s28, v6
	v_bfrev_b32_e32 v5, 1
	s_and_saveexec_b64 s[24:25], s[4:5]
	s_cbranch_execz .LBB397_878
; %bb.875:                              ;   in Loop: Header=BB397_603 Depth=1
	v_and_b32_e32 v7, 0x7f, v6
	v_cmp_ne_u32_e64 s[4:5], s29, v7
	v_mov_b32_e32 v5, 0x7f800001
	s_and_saveexec_b64 s[26:27], s[4:5]
	s_cbranch_execz .LBB397_877
; %bb.876:                              ;   in Loop: Header=BB397_603 Depth=1
	v_and_b32_e32 v5, 7, v6
	v_ffbh_u32_e32 v8, v5
	v_min_u32_e32 v22, 32, v8
	v_subrev_u32_e32 v8, 28, v22
	v_lshlrev_b64 v[8:9], v8, v[6:7]
	v_lshrrev_b32_e32 v10, 3, v7
	v_sub_u32_e32 v6, 29, v22
	v_and_b32_e32 v8, 7, v8
	v_cmp_gt_u32_e64 s[4:5], 8, v7
	v_cndmask_b32_e64 v6, v10, v6, s[4:5]
	v_cndmask_b32_e64 v5, v5, v8, s[4:5]
	v_lshlrev_b32_e32 v7, 16, v2
	v_bfrev_b32_e32 v8, 60
	v_lshlrev_b32_e32 v5, 20, v5
	v_and_b32_e32 v7, 0x80000000, v7
	v_lshl_add_u32 v6, v6, 23, v8
	v_or3_b32 v5, v7, v6, v5
.LBB397_877:                            ;   in Loop: Header=BB397_603 Depth=1
	s_or_b64 exec, exec, s[26:27]
.LBB397_878:                            ;   in Loop: Header=BB397_603 Depth=1
	s_or_b64 exec, exec, s[24:25]
.LBB397_879:                            ;   in Loop: Header=BB397_603 Depth=1
	s_or_b64 exec, exec, s[12:13]
	v_mul_f32_e32 v6, v26, v5
	v_and_b32_e32 v5, 0x7f800000, v6
	v_cmp_ne_u32_e64 s[4:5], s15, v5
                                        ; implicit-def: $vgpr5
	s_and_saveexec_b64 s[12:13], s[4:5]
	s_xor_b64 s[4:5], exec, s[12:13]
; %bb.880:                              ;   in Loop: Header=BB397_603 Depth=1
	v_bfe_u32 v5, v6, 16, 1
	v_add3_u32 v5, v6, v5, s21
                                        ; implicit-def: $vgpr6
; %bb.881:                              ;   in Loop: Header=BB397_603 Depth=1
	s_andn2_saveexec_b64 s[12:13], s[4:5]
; %bb.882:                              ;   in Loop: Header=BB397_603 Depth=1
	v_or_b32_e32 v5, 0x10000, v6
	v_cmp_eq_u32_sdwa s[4:5], v6, v11 src0_sel:WORD_0 src1_sel:DWORD
	v_cndmask_b32_e64 v5, v5, v6, s[4:5]
; %bb.883:                              ;   in Loop: Header=BB397_603 Depth=1
	s_or_b64 exec, exec, s[12:13]
	v_lshrrev_b32_e32 v6, 16, v2
	v_cmp_ne_u16_sdwa s[4:5], v6, v11 src0_sel:BYTE_0 src1_sel:DWORD
	v_mov_b32_e32 v7, 0
	s_and_saveexec_b64 s[12:13], s[4:5]
	s_cbranch_execz .LBB397_889
; %bb.884:                              ;   in Loop: Header=BB397_603 Depth=1
	v_cmp_ne_u16_sdwa s[4:5], v6, s28 src0_sel:BYTE_0 src1_sel:DWORD
	v_bfrev_b32_e32 v7, 1
	s_and_saveexec_b64 s[24:25], s[4:5]
	s_cbranch_execz .LBB397_888
; %bb.885:                              ;   in Loop: Header=BB397_603 Depth=1
	v_bfe_u32 v8, v2, 16, 7
	v_cmp_ne_u32_e64 s[4:5], s29, v8
	v_mov_b32_e32 v7, 0x7f800001
	s_and_saveexec_b64 s[26:27], s[4:5]
	s_cbranch_execz .LBB397_887
; %bb.886:                              ;   in Loop: Header=BB397_603 Depth=1
	v_and_b32_e32 v7, 7, v6
	v_ffbh_u32_e32 v10, v7
	v_min_u32_e32 v10, 32, v10
	v_subrev_u32_e32 v22, 28, v10
	v_lshlrev_b64 v[22:23], v22, v[6:7]
	v_lshrrev_b32_e32 v9, 3, v8
	v_sub_u32_e32 v10, 29, v10
	v_and_b32_e32 v22, 7, v22
	v_cmp_gt_u32_e64 s[4:5], 8, v8
	v_cndmask_b32_e64 v8, v9, v10, s[4:5]
	v_cndmask_b32_e64 v7, v7, v22, s[4:5]
	v_lshlrev_b32_e32 v6, 24, v6
	v_bfrev_b32_e32 v9, 60
	v_lshlrev_b32_e32 v7, 20, v7
	v_and_b32_e32 v6, 0x80000000, v6
	v_lshl_add_u32 v8, v8, 23, v9
	v_or3_b32 v7, v6, v8, v7
.LBB397_887:                            ;   in Loop: Header=BB397_603 Depth=1
	s_or_b64 exec, exec, s[26:27]
.LBB397_888:                            ;   in Loop: Header=BB397_603 Depth=1
	s_or_b64 exec, exec, s[24:25]
.LBB397_889:                            ;   in Loop: Header=BB397_603 Depth=1
	s_or_b64 exec, exec, s[12:13]
	v_mul_f32_e32 v6, v26, v7
	v_and_b32_e32 v7, 0x7f800000, v6
	v_cmp_ne_u32_e64 s[4:5], s15, v7
                                        ; implicit-def: $vgpr7
	s_and_saveexec_b64 s[12:13], s[4:5]
	s_xor_b64 s[4:5], exec, s[12:13]
; %bb.890:                              ;   in Loop: Header=BB397_603 Depth=1
	v_bfe_u32 v7, v6, 16, 1
	v_add3_u32 v7, v6, v7, s21
                                        ; implicit-def: $vgpr6
; %bb.891:                              ;   in Loop: Header=BB397_603 Depth=1
	s_andn2_saveexec_b64 s[12:13], s[4:5]
; %bb.892:                              ;   in Loop: Header=BB397_603 Depth=1
	v_or_b32_e32 v7, 0x10000, v6
	v_cmp_eq_u32_sdwa s[4:5], v6, v11 src0_sel:WORD_0 src1_sel:DWORD
	v_cndmask_b32_e64 v7, v7, v6, s[4:5]
; %bb.893:                              ;   in Loop: Header=BB397_603 Depth=1
	s_or_b64 exec, exec, s[12:13]
	v_cmp_lt_u32_e64 s[4:5], s9, v2
	v_mov_b32_e32 v8, 0
	s_and_saveexec_b64 s[12:13], s[4:5]
	s_cbranch_execz .LBB397_899
; %bb.894:                              ;   in Loop: Header=BB397_603 Depth=1
	v_lshrrev_b32_e32 v6, 24, v2
	v_cmp_ne_u32_e64 s[4:5], s28, v6
	v_bfrev_b32_e32 v8, 1
	s_and_saveexec_b64 s[24:25], s[4:5]
	s_cbranch_execz .LBB397_898
; %bb.895:                              ;   in Loop: Header=BB397_603 Depth=1
	v_bfe_u32 v9, v2, 24, 7
	v_cmp_ne_u32_e64 s[4:5], s29, v9
	v_mov_b32_e32 v8, 0x7f800001
	s_and_saveexec_b64 s[26:27], s[4:5]
	s_cbranch_execz .LBB397_897
; %bb.896:                              ;   in Loop: Header=BB397_603 Depth=1
	v_and_b32_e32 v8, 7, v6
	v_ffbh_u32_e32 v22, v8
	v_min_u32_e32 v24, 32, v22
	v_subrev_u32_e32 v22, 28, v24
	v_lshlrev_b64 v[22:23], v22, v[6:7]
	v_lshrrev_b32_e32 v10, 3, v9
	v_sub_u32_e32 v23, 29, v24
	v_and_b32_e32 v22, 7, v22
	v_cmp_gt_u32_e64 s[4:5], 8, v9
	v_cndmask_b32_e64 v9, v10, v23, s[4:5]
	v_cndmask_b32_e64 v8, v8, v22, s[4:5]
	v_lshlrev_b32_e32 v6, 24, v6
	v_bfrev_b32_e32 v10, 60
	v_lshlrev_b32_e32 v8, 20, v8
	v_and_b32_e32 v6, 0x80000000, v6
	v_lshl_add_u32 v9, v9, 23, v10
	v_or3_b32 v8, v6, v9, v8
.LBB397_897:                            ;   in Loop: Header=BB397_603 Depth=1
	s_or_b64 exec, exec, s[26:27]
.LBB397_898:                            ;   in Loop: Header=BB397_603 Depth=1
	s_or_b64 exec, exec, s[24:25]
.LBB397_899:                            ;   in Loop: Header=BB397_603 Depth=1
	s_or_b64 exec, exec, s[12:13]
	v_mul_f32_e32 v6, v26, v8
	v_and_b32_e32 v8, 0x7f800000, v6
	v_cmp_ne_u32_e64 s[4:5], s15, v8
                                        ; implicit-def: $vgpr8
	s_and_saveexec_b64 s[12:13], s[4:5]
	s_xor_b64 s[4:5], exec, s[12:13]
; %bb.900:                              ;   in Loop: Header=BB397_603 Depth=1
	v_bfe_u32 v8, v6, 16, 1
	v_add3_u32 v8, v6, v8, s21
                                        ; implicit-def: $vgpr6
; %bb.901:                              ;   in Loop: Header=BB397_603 Depth=1
	s_andn2_saveexec_b64 s[12:13], s[4:5]
; %bb.902:                              ;   in Loop: Header=BB397_603 Depth=1
	v_or_b32_e32 v8, 0x10000, v6
	v_cmp_eq_u32_sdwa s[4:5], v6, v11 src0_sel:WORD_0 src1_sel:DWORD
	v_cndmask_b32_e64 v8, v8, v6, s[4:5]
; %bb.903:                              ;   in Loop: Header=BB397_603 Depth=1
	s_or_b64 exec, exec, s[12:13]
	v_mov_b32_e32 v10, v3
	v_cmp_ne_u16_sdwa s[4:5], v3, v11 src0_sel:BYTE_0 src1_sel:DWORD
	v_mov_b32_e32 v6, 0
	s_and_saveexec_b64 s[12:13], s[4:5]
	s_cbranch_execz .LBB397_909
; %bb.904:                              ;   in Loop: Header=BB397_603 Depth=1
	v_cmp_ne_u16_sdwa s[4:5], v3, s28 src0_sel:BYTE_0 src1_sel:DWORD
	v_bfrev_b32_e32 v6, 1
	s_and_saveexec_b64 s[24:25], s[4:5]
	s_cbranch_execz .LBB397_908
; %bb.905:                              ;   in Loop: Header=BB397_603 Depth=1
	v_and_b32_e32 v9, 0x7f, v3
	v_cmp_ne_u32_e64 s[4:5], s29, v9
	v_mov_b32_e32 v6, 0x7f800001
	s_and_saveexec_b64 s[26:27], s[4:5]
	s_cbranch_execz .LBB397_907
; %bb.906:                              ;   in Loop: Header=BB397_603 Depth=1
	v_and_b32_e32 v6, 7, v3
	v_ffbh_u32_e32 v6, v6
	v_min_u32_e32 v6, 32, v6
	v_subrev_u32_e32 v23, 28, v6
	v_cmp_gt_u32_e64 s[4:5], 8, v9
	v_lshrrev_b32_e32 v22, 3, v9
	v_sub_u32_e32 v6, 29, v6
	v_cndmask_b32_e64 v9, 0, v23, s[4:5]
	v_cndmask_b32_e64 v6, v22, v6, s[4:5]
	v_lshlrev_b64 v[22:23], v9, v[10:11]
	v_lshlrev_b32_e32 v9, 20, v22
	v_lshlrev_b32_e32 v22, 24, v10
	v_bfrev_b32_e32 v23, 60
	v_and_b32_e32 v9, 0x700000, v9
	v_and_b32_e32 v22, 0x80000000, v22
	v_lshl_add_u32 v6, v6, 23, v23
	v_or3_b32 v6, v22, v6, v9
.LBB397_907:                            ;   in Loop: Header=BB397_603 Depth=1
	s_or_b64 exec, exec, s[26:27]
.LBB397_908:                            ;   in Loop: Header=BB397_603 Depth=1
	s_or_b64 exec, exec, s[24:25]
.LBB397_909:                            ;   in Loop: Header=BB397_603 Depth=1
	s_or_b64 exec, exec, s[12:13]
	v_mul_f32_e32 v6, v26, v6
	v_and_b32_e32 v9, 0x7f800000, v6
	v_cmp_ne_u32_e64 s[4:5], s15, v9
                                        ; implicit-def: $vgpr9
	s_and_saveexec_b64 s[12:13], s[4:5]
	s_xor_b64 s[4:5], exec, s[12:13]
; %bb.910:                              ;   in Loop: Header=BB397_603 Depth=1
	v_bfe_u32 v9, v6, 16, 1
	v_add3_u32 v9, v6, v9, s21
                                        ; implicit-def: $vgpr6
; %bb.911:                              ;   in Loop: Header=BB397_603 Depth=1
	s_andn2_saveexec_b64 s[12:13], s[4:5]
; %bb.912:                              ;   in Loop: Header=BB397_603 Depth=1
	v_or_b32_e32 v9, 0x10000, v6
	v_cmp_eq_u32_sdwa s[4:5], v6, v11 src0_sel:WORD_0 src1_sel:DWORD
	v_cndmask_b32_e64 v9, v9, v6, s[4:5]
; %bb.913:                              ;   in Loop: Header=BB397_603 Depth=1
	s_or_b64 exec, exec, s[12:13]
	v_lshrrev_b16_e32 v6, 8, v10
	v_cmp_ne_u16_e64 s[4:5], 0, v6
	v_mov_b32_e32 v22, 0
	s_and_saveexec_b64 s[12:13], s[4:5]
	s_cbranch_execz .LBB397_919
; %bb.914:                              ;   in Loop: Header=BB397_603 Depth=1
	v_cmp_ne_u16_e64 s[4:5], s28, v6
	v_bfrev_b32_e32 v22, 1
	s_and_saveexec_b64 s[24:25], s[4:5]
	s_cbranch_execz .LBB397_918
; %bb.915:                              ;   in Loop: Header=BB397_603 Depth=1
	v_and_b32_e32 v23, 0x7f, v6
	v_cmp_ne_u32_e64 s[4:5], s29, v23
	v_mov_b32_e32 v22, 0x7f800001
	s_and_saveexec_b64 s[26:27], s[4:5]
	s_cbranch_execz .LBB397_917
; %bb.916:                              ;   in Loop: Header=BB397_603 Depth=1
	v_and_b32_e32 v22, 7, v6
	v_ffbh_u32_e32 v24, v22
	v_min_u32_e32 v28, 32, v24
	v_subrev_u32_e32 v24, 28, v28
	v_lshlrev_b64 v[24:25], v24, v[6:7]
	v_lshrrev_b32_e32 v27, 3, v23
	v_sub_u32_e32 v6, 29, v28
	v_and_b32_e32 v24, 7, v24
	v_cmp_gt_u32_e64 s[4:5], 8, v23
	v_cndmask_b32_e64 v6, v27, v6, s[4:5]
	v_cndmask_b32_e64 v22, v22, v24, s[4:5]
	v_lshlrev_b32_e32 v10, 16, v10
	v_bfrev_b32_e32 v23, 60
	v_lshlrev_b32_e32 v22, 20, v22
	v_and_b32_e32 v10, 0x80000000, v10
	v_lshl_add_u32 v6, v6, 23, v23
	v_or3_b32 v22, v10, v6, v22
.LBB397_917:                            ;   in Loop: Header=BB397_603 Depth=1
	s_or_b64 exec, exec, s[26:27]
.LBB397_918:                            ;   in Loop: Header=BB397_603 Depth=1
	s_or_b64 exec, exec, s[24:25]
.LBB397_919:                            ;   in Loop: Header=BB397_603 Depth=1
	s_or_b64 exec, exec, s[12:13]
	v_mul_f32_e32 v6, v26, v22
	v_and_b32_e32 v10, 0x7f800000, v6
	v_cmp_ne_u32_e64 s[4:5], s15, v10
                                        ; implicit-def: $vgpr10
	s_and_saveexec_b64 s[12:13], s[4:5]
	s_xor_b64 s[4:5], exec, s[12:13]
; %bb.920:                              ;   in Loop: Header=BB397_603 Depth=1
	v_bfe_u32 v10, v6, 16, 1
	v_add3_u32 v10, v6, v10, s21
                                        ; implicit-def: $vgpr6
; %bb.921:                              ;   in Loop: Header=BB397_603 Depth=1
	s_andn2_saveexec_b64 s[12:13], s[4:5]
; %bb.922:                              ;   in Loop: Header=BB397_603 Depth=1
	v_or_b32_e32 v10, 0x10000, v6
	v_cmp_eq_u32_sdwa s[4:5], v6, v11 src0_sel:WORD_0 src1_sel:DWORD
	v_cndmask_b32_e64 v10, v10, v6, s[4:5]
; %bb.923:                              ;   in Loop: Header=BB397_603 Depth=1
	s_or_b64 exec, exec, s[12:13]
	v_lshrrev_b32_e32 v6, 16, v3
	v_cmp_ne_u16_sdwa s[4:5], v6, v11 src0_sel:BYTE_0 src1_sel:DWORD
	v_mov_b32_e32 v22, 0
	s_and_saveexec_b64 s[12:13], s[4:5]
	s_cbranch_execz .LBB397_929
; %bb.924:                              ;   in Loop: Header=BB397_603 Depth=1
	v_cmp_ne_u16_sdwa s[4:5], v6, s28 src0_sel:BYTE_0 src1_sel:DWORD
	v_bfrev_b32_e32 v22, 1
	s_and_saveexec_b64 s[24:25], s[4:5]
	s_cbranch_execz .LBB397_928
; %bb.925:                              ;   in Loop: Header=BB397_603 Depth=1
	v_bfe_u32 v23, v3, 16, 7
	v_cmp_ne_u32_e64 s[4:5], s29, v23
	v_mov_b32_e32 v22, 0x7f800001
	s_and_saveexec_b64 s[26:27], s[4:5]
	s_cbranch_execz .LBB397_927
; %bb.926:                              ;   in Loop: Header=BB397_603 Depth=1
	v_and_b32_e32 v22, 7, v6
	v_ffbh_u32_e32 v24, v22
	v_min_u32_e32 v28, 32, v24
	v_subrev_u32_e32 v24, 28, v28
	v_lshlrev_b64 v[24:25], v24, v[6:7]
	v_lshrrev_b32_e32 v27, 3, v23
	v_sub_u32_e32 v25, 29, v28
	v_and_b32_e32 v24, 7, v24
	v_cmp_gt_u32_e64 s[4:5], 8, v23
	v_cndmask_b32_e64 v23, v27, v25, s[4:5]
	v_cndmask_b32_e64 v22, v22, v24, s[4:5]
	v_lshlrev_b32_e32 v6, 24, v6
	v_bfrev_b32_e32 v24, 60
	v_lshlrev_b32_e32 v22, 20, v22
	v_and_b32_e32 v6, 0x80000000, v6
	v_lshl_add_u32 v23, v23, 23, v24
	v_or3_b32 v22, v6, v23, v22
.LBB397_927:                            ;   in Loop: Header=BB397_603 Depth=1
	s_or_b64 exec, exec, s[26:27]
.LBB397_928:                            ;   in Loop: Header=BB397_603 Depth=1
	s_or_b64 exec, exec, s[24:25]
.LBB397_929:                            ;   in Loop: Header=BB397_603 Depth=1
	s_or_b64 exec, exec, s[12:13]
	v_mul_f32_e32 v6, v26, v22
	v_and_b32_e32 v22, 0x7f800000, v6
	v_cmp_ne_u32_e64 s[4:5], s15, v22
                                        ; implicit-def: $vgpr22
	s_and_saveexec_b64 s[12:13], s[4:5]
	s_xor_b64 s[4:5], exec, s[12:13]
; %bb.930:                              ;   in Loop: Header=BB397_603 Depth=1
	v_bfe_u32 v22, v6, 16, 1
	v_add3_u32 v22, v6, v22, s21
                                        ; implicit-def: $vgpr6
; %bb.931:                              ;   in Loop: Header=BB397_603 Depth=1
	s_andn2_saveexec_b64 s[12:13], s[4:5]
; %bb.932:                              ;   in Loop: Header=BB397_603 Depth=1
	v_or_b32_e32 v22, 0x10000, v6
	v_cmp_eq_u32_sdwa s[4:5], v6, v11 src0_sel:WORD_0 src1_sel:DWORD
	v_cndmask_b32_e64 v22, v22, v6, s[4:5]
; %bb.933:                              ;   in Loop: Header=BB397_603 Depth=1
	s_or_b64 exec, exec, s[12:13]
	v_cmp_lt_u64_e64 s[4:5], s[8:9], v[2:3]
	v_mov_b32_e32 v6, 0
	s_and_saveexec_b64 s[12:13], s[4:5]
	s_cbranch_execz .LBB397_939
; %bb.934:                              ;   in Loop: Header=BB397_603 Depth=1
	v_lshrrev_b32_e32 v2, 24, v3
	v_cmp_ne_u32_e64 s[4:5], s28, v2
	v_bfrev_b32_e32 v6, 1
	s_and_saveexec_b64 s[24:25], s[4:5]
	s_cbranch_execz .LBB397_938
; %bb.935:                              ;   in Loop: Header=BB397_603 Depth=1
	v_bfe_u32 v3, v3, 24, 7
	v_cmp_ne_u32_e64 s[4:5], s29, v3
	v_mov_b32_e32 v6, 0x7f800001
	s_and_saveexec_b64 s[26:27], s[4:5]
	s_cbranch_execz .LBB397_937
; %bb.936:                              ;   in Loop: Header=BB397_603 Depth=1
	v_and_b32_e32 v6, 7, v2
	v_ffbh_u32_e32 v24, v6
	v_min_u32_e32 v27, 32, v24
	v_subrev_u32_e32 v24, 28, v27
	v_lshlrev_b64 v[24:25], v24, v[2:3]
	v_lshrrev_b32_e32 v23, 3, v3
	v_sub_u32_e32 v25, 29, v27
	v_and_b32_e32 v24, 7, v24
	v_cmp_gt_u32_e64 s[4:5], 8, v3
	v_cndmask_b32_e64 v3, v23, v25, s[4:5]
	v_cndmask_b32_e64 v6, v6, v24, s[4:5]
	v_lshlrev_b32_e32 v2, 24, v2
	v_bfrev_b32_e32 v23, 60
	v_lshlrev_b32_e32 v6, 20, v6
	v_and_b32_e32 v2, 0x80000000, v2
	v_lshl_add_u32 v3, v3, 23, v23
	v_or3_b32 v6, v2, v3, v6
.LBB397_937:                            ;   in Loop: Header=BB397_603 Depth=1
	s_or_b64 exec, exec, s[26:27]
.LBB397_938:                            ;   in Loop: Header=BB397_603 Depth=1
	s_or_b64 exec, exec, s[24:25]
.LBB397_939:                            ;   in Loop: Header=BB397_603 Depth=1
	s_or_b64 exec, exec, s[12:13]
	v_mul_f32_e32 v3, v26, v6
	v_and_b32_e32 v2, 0x7f800000, v3
	v_cmp_ne_u32_e64 s[4:5], s15, v2
                                        ; implicit-def: $vgpr2
	s_and_saveexec_b64 s[12:13], s[4:5]
	s_xor_b64 s[4:5], exec, s[12:13]
; %bb.940:                              ;   in Loop: Header=BB397_603 Depth=1
	v_bfe_u32 v2, v3, 16, 1
	v_add3_u32 v2, v3, v2, s21
                                        ; implicit-def: $vgpr3
; %bb.941:                              ;   in Loop: Header=BB397_603 Depth=1
	s_andn2_saveexec_b64 s[12:13], s[4:5]
; %bb.942:                              ;   in Loop: Header=BB397_603 Depth=1
	v_or_b32_e32 v2, 0x10000, v3
	v_cmp_eq_u32_sdwa s[4:5], v3, v11 src0_sel:WORD_0 src1_sel:DWORD
	v_cndmask_b32_e64 v2, v2, v3, s[4:5]
; %bb.943:                              ;   in Loop: Header=BB397_603 Depth=1
	s_or_b64 exec, exec, s[12:13]
	v_lshrrev_b32_e32 v6, 16, v10
	v_lshrrev_b32_e32 v9, 16, v9
	;; [unrolled: 1-line block ×8, first 2 shown]
	s_and_saveexec_b64 s[12:13], vcc
	s_cbranch_execz .LBB397_945
; %bb.944:                              ;   in Loop: Header=BB397_603 Depth=1
	v_accvgpr_read_b32 v10, a20
	v_cmp_lt_i32_e64 s[4:5], v10, v32
	v_accvgpr_read_b32 v10, a26
	v_cndmask_b32_e64 v4, 0, v4, s[4:5]
	v_cmp_lt_i32_e64 s[4:5], v10, v32
	v_accvgpr_read_b32 v10, a25
	v_cndmask_b32_e64 v5, 0, v5, s[4:5]
	;; [unrolled: 3-line block ×6, first 2 shown]
	v_cmp_lt_i32_e64 s[4:5], v10, v32
	v_cndmask_b32_e64 v3, 0, v3, s[4:5]
	v_cmp_lt_i32_e64 s[4:5], v17, v32
	v_cndmask_b32_e64 v2, 0, v2, s[4:5]
.LBB397_945:                            ;   in Loop: Header=BB397_603 Depth=1
	s_or_b64 exec, exec, s[12:13]
	v_lshlrev_b32_e32 v4, 16, v4
	v_mul_f32_e32 v4, v41, v4
	v_and_b32_e32 v10, 0x7f800000, v4
	v_cmp_ne_u32_e64 s[4:5], s15, v10
                                        ; implicit-def: $agpr31
	s_and_saveexec_b64 s[12:13], s[4:5]
	s_xor_b64 s[4:5], exec, s[12:13]
; %bb.946:                              ;   in Loop: Header=BB397_603 Depth=1
	v_bfe_u32 v10, v4, 16, 1
	v_add3_u32 v4, v4, v10, s21
	v_accvgpr_write_b32 a31, v4
                                        ; implicit-def: $vgpr4
; %bb.947:                              ;   in Loop: Header=BB397_603 Depth=1
	s_andn2_saveexec_b64 s[12:13], s[4:5]
; %bb.948:                              ;   in Loop: Header=BB397_603 Depth=1
	v_or_b32_e32 v10, 0x10000, v4
	v_cmp_eq_u32_sdwa s[4:5], v4, v11 src0_sel:WORD_0 src1_sel:DWORD
	v_cndmask_b32_e64 v4, v10, v4, s[4:5]
	v_accvgpr_write_b32 a31, v4
; %bb.949:                              ;   in Loop: Header=BB397_603 Depth=1
	s_or_b64 exec, exec, s[12:13]
	v_lshlrev_b32_e32 v4, 16, v5
	v_mul_f32_e32 v4, v42, v4
	v_and_b32_e32 v5, 0x7f800000, v4
	v_cmp_ne_u32_e64 s[4:5], s15, v5
                                        ; implicit-def: $agpr32
	s_and_saveexec_b64 s[12:13], s[4:5]
	s_xor_b64 s[4:5], exec, s[12:13]
; %bb.950:                              ;   in Loop: Header=BB397_603 Depth=1
	v_bfe_u32 v5, v4, 16, 1
	v_add3_u32 v4, v4, v5, s21
	v_accvgpr_write_b32 a32, v4
                                        ; implicit-def: $vgpr4
; %bb.951:                              ;   in Loop: Header=BB397_603 Depth=1
	s_andn2_saveexec_b64 s[12:13], s[4:5]
; %bb.952:                              ;   in Loop: Header=BB397_603 Depth=1
	v_or_b32_e32 v5, 0x10000, v4
	v_cmp_eq_u32_sdwa s[4:5], v4, v11 src0_sel:WORD_0 src1_sel:DWORD
	v_cndmask_b32_e64 v4, v5, v4, s[4:5]
	v_accvgpr_write_b32 a32, v4
; %bb.953:                              ;   in Loop: Header=BB397_603 Depth=1
	s_or_b64 exec, exec, s[12:13]
	v_lshlrev_b32_e32 v4, 16, v7
	v_mul_f32_e32 v4, v43, v4
	v_and_b32_e32 v5, 0x7f800000, v4
	v_cmp_ne_u32_e64 s[4:5], s15, v5
                                        ; implicit-def: $agpr33
	s_and_saveexec_b64 s[12:13], s[4:5]
	s_xor_b64 s[4:5], exec, s[12:13]
; %bb.954:                              ;   in Loop: Header=BB397_603 Depth=1
	v_bfe_u32 v5, v4, 16, 1
	v_add3_u32 v4, v4, v5, s21
	v_accvgpr_write_b32 a33, v4
                                        ; implicit-def: $vgpr4
; %bb.955:                              ;   in Loop: Header=BB397_603 Depth=1
	s_andn2_saveexec_b64 s[12:13], s[4:5]
; %bb.956:                              ;   in Loop: Header=BB397_603 Depth=1
	v_or_b32_e32 v5, 0x10000, v4
	v_cmp_eq_u32_sdwa s[4:5], v4, v11 src0_sel:WORD_0 src1_sel:DWORD
	v_cndmask_b32_e64 v4, v5, v4, s[4:5]
	v_accvgpr_write_b32 a33, v4
; %bb.957:                              ;   in Loop: Header=BB397_603 Depth=1
	s_or_b64 exec, exec, s[12:13]
	v_lshlrev_b32_e32 v4, 16, v8
	v_mul_f32_e32 v4, v44, v4
	v_and_b32_e32 v5, 0x7f800000, v4
	v_cmp_ne_u32_e64 s[4:5], s15, v5
                                        ; implicit-def: $agpr34
	s_and_saveexec_b64 s[12:13], s[4:5]
	s_xor_b64 s[4:5], exec, s[12:13]
; %bb.958:                              ;   in Loop: Header=BB397_603 Depth=1
	v_bfe_u32 v5, v4, 16, 1
	v_add3_u32 v4, v4, v5, s21
	v_accvgpr_write_b32 a34, v4
                                        ; implicit-def: $vgpr4
; %bb.959:                              ;   in Loop: Header=BB397_603 Depth=1
	s_andn2_saveexec_b64 s[12:13], s[4:5]
; %bb.960:                              ;   in Loop: Header=BB397_603 Depth=1
	v_or_b32_e32 v5, 0x10000, v4
	v_cmp_eq_u32_sdwa s[4:5], v4, v11 src0_sel:WORD_0 src1_sel:DWORD
	v_cndmask_b32_e64 v4, v5, v4, s[4:5]
	v_accvgpr_write_b32 a34, v4
; %bb.961:                              ;   in Loop: Header=BB397_603 Depth=1
	s_or_b64 exec, exec, s[12:13]
	v_lshlrev_b32_e32 v4, 16, v9
	v_mul_f32_e32 v4, v45, v4
	v_and_b32_e32 v5, 0x7f800000, v4
	v_cmp_ne_u32_e64 s[4:5], s15, v5
                                        ; implicit-def: $agpr35
	s_and_saveexec_b64 s[12:13], s[4:5]
	s_xor_b64 s[4:5], exec, s[12:13]
; %bb.962:                              ;   in Loop: Header=BB397_603 Depth=1
	v_bfe_u32 v5, v4, 16, 1
	v_add3_u32 v4, v4, v5, s21
	v_accvgpr_write_b32 a35, v4
                                        ; implicit-def: $vgpr4
; %bb.963:                              ;   in Loop: Header=BB397_603 Depth=1
	s_andn2_saveexec_b64 s[12:13], s[4:5]
; %bb.964:                              ;   in Loop: Header=BB397_603 Depth=1
	v_or_b32_e32 v5, 0x10000, v4
	v_cmp_eq_u32_sdwa s[4:5], v4, v11 src0_sel:WORD_0 src1_sel:DWORD
	v_cndmask_b32_e64 v4, v5, v4, s[4:5]
	v_accvgpr_write_b32 a35, v4
; %bb.965:                              ;   in Loop: Header=BB397_603 Depth=1
	s_or_b64 exec, exec, s[12:13]
	v_lshlrev_b32_e32 v4, 16, v6
	v_mul_f32_e32 v4, v46, v4
	v_and_b32_e32 v5, 0x7f800000, v4
	v_cmp_ne_u32_e64 s[4:5], s15, v5
                                        ; implicit-def: $agpr36
	s_and_saveexec_b64 s[12:13], s[4:5]
	s_xor_b64 s[4:5], exec, s[12:13]
; %bb.966:                              ;   in Loop: Header=BB397_603 Depth=1
	v_bfe_u32 v5, v4, 16, 1
	v_add3_u32 v4, v4, v5, s21
	v_accvgpr_write_b32 a36, v4
                                        ; implicit-def: $vgpr4
; %bb.967:                              ;   in Loop: Header=BB397_603 Depth=1
	s_andn2_saveexec_b64 s[12:13], s[4:5]
; %bb.968:                              ;   in Loop: Header=BB397_603 Depth=1
	v_or_b32_e32 v5, 0x10000, v4
	v_cmp_eq_u32_sdwa s[4:5], v4, v11 src0_sel:WORD_0 src1_sel:DWORD
	v_cndmask_b32_e64 v4, v5, v4, s[4:5]
	v_accvgpr_write_b32 a36, v4
; %bb.969:                              ;   in Loop: Header=BB397_603 Depth=1
	s_or_b64 exec, exec, s[12:13]
	v_lshlrev_b32_e32 v3, 16, v3
	v_mul_f32_e32 v3, v47, v3
	v_and_b32_e32 v4, 0x7f800000, v3
	v_cmp_ne_u32_e64 s[4:5], s15, v4
                                        ; implicit-def: $agpr37
	s_and_saveexec_b64 s[12:13], s[4:5]
	s_xor_b64 s[4:5], exec, s[12:13]
; %bb.970:                              ;   in Loop: Header=BB397_603 Depth=1
	v_bfe_u32 v4, v3, 16, 1
	v_add3_u32 v3, v3, v4, s21
	v_accvgpr_write_b32 a37, v3
                                        ; implicit-def: $vgpr3
; %bb.971:                              ;   in Loop: Header=BB397_603 Depth=1
	s_andn2_saveexec_b64 s[12:13], s[4:5]
; %bb.972:                              ;   in Loop: Header=BB397_603 Depth=1
	v_or_b32_e32 v4, 0x10000, v3
	v_cmp_eq_u32_sdwa s[4:5], v3, v11 src0_sel:WORD_0 src1_sel:DWORD
	v_cndmask_b32_e64 v3, v4, v3, s[4:5]
	v_accvgpr_write_b32 a37, v3
; %bb.973:                              ;   in Loop: Header=BB397_603 Depth=1
	s_or_b64 exec, exec, s[12:13]
	v_lshlrev_b32_e32 v2, 16, v2
	v_mul_f32_e32 v2, v56, v2
	v_and_b32_e32 v3, 0x7f800000, v2
	v_cmp_ne_u32_e64 s[4:5], s15, v3
                                        ; implicit-def: $vgpr23
	s_and_saveexec_b64 s[12:13], s[4:5]
	s_xor_b64 s[4:5], exec, s[12:13]
; %bb.974:                              ;   in Loop: Header=BB397_603 Depth=1
	v_bfe_u32 v3, v2, 16, 1
	v_add3_u32 v23, v2, v3, s21
                                        ; implicit-def: $vgpr2
; %bb.975:                              ;   in Loop: Header=BB397_603 Depth=1
	s_andn2_saveexec_b64 s[12:13], s[4:5]
; %bb.976:                              ;   in Loop: Header=BB397_603 Depth=1
	v_or_b32_e32 v3, 0x10000, v2
	v_cmp_eq_u32_sdwa s[4:5], v2, v11 src0_sel:WORD_0 src1_sel:DWORD
	v_cndmask_b32_e64 v23, v3, v2, s[4:5]
; %bb.977:                              ;   in Loop: Header=BB397_603 Depth=1
	s_or_b64 exec, exec, s[12:13]
	flat_load_dwordx2 v[2:3], v[0:1] offset:1536
	v_mov_b32_e32 v5, 0
	s_waitcnt vmcnt(0) lgkmcnt(0)
	v_cmp_ne_u16_sdwa s[4:5], v2, v11 src0_sel:BYTE_0 src1_sel:DWORD
	s_and_saveexec_b64 s[12:13], s[4:5]
	s_cbranch_execz .LBB397_983
; %bb.978:                              ;   in Loop: Header=BB397_603 Depth=1
	v_cmp_ne_u16_sdwa s[4:5], v2, s28 src0_sel:BYTE_0 src1_sel:DWORD
	v_bfrev_b32_e32 v5, 1
	s_and_saveexec_b64 s[24:25], s[4:5]
	s_cbranch_execz .LBB397_982
; %bb.979:                              ;   in Loop: Header=BB397_603 Depth=1
	v_and_b32_e32 v6, 0x7f, v2
	v_cmp_ne_u32_e64 s[4:5], s29, v6
	v_mov_b32_e32 v5, 0x7f800001
	s_and_saveexec_b64 s[26:27], s[4:5]
	s_cbranch_execz .LBB397_981
; %bb.980:                              ;   in Loop: Header=BB397_603 Depth=1
	v_and_b32_e32 v5, 7, v2
	v_ffbh_u32_e32 v5, v5
	v_min_u32_e32 v5, 32, v5
	v_subrev_u32_e32 v8, 28, v5
	v_cmp_gt_u32_e64 s[4:5], 8, v6
	v_lshrrev_b32_e32 v7, 3, v6
	v_sub_u32_e32 v5, 29, v5
	v_cndmask_b32_e64 v6, 0, v8, s[4:5]
	v_cndmask_b32_e64 v5, v7, v5, s[4:5]
	v_lshlrev_b64 v[6:7], v6, v[2:3]
	v_lshlrev_b32_e32 v6, 20, v6
	v_lshlrev_b32_e32 v7, 24, v2
	v_bfrev_b32_e32 v4, 60
	v_and_b32_e32 v6, 0x700000, v6
	v_and_b32_e32 v7, 0x80000000, v7
	v_lshl_add_u32 v5, v5, 23, v4
	v_or3_b32 v5, v7, v5, v6
.LBB397_981:                            ;   in Loop: Header=BB397_603 Depth=1
	s_or_b64 exec, exec, s[26:27]
.LBB397_982:                            ;   in Loop: Header=BB397_603 Depth=1
	s_or_b64 exec, exec, s[24:25]
.LBB397_983:                            ;   in Loop: Header=BB397_603 Depth=1
	s_or_b64 exec, exec, s[12:13]
	v_mul_f32_e32 v6, v26, v5
	v_and_b32_e32 v5, 0x7f800000, v6
	v_cmp_ne_u32_e64 s[4:5], s15, v5
                                        ; implicit-def: $vgpr5
	s_and_saveexec_b64 s[12:13], s[4:5]
	s_xor_b64 s[4:5], exec, s[12:13]
; %bb.984:                              ;   in Loop: Header=BB397_603 Depth=1
	v_bfe_u32 v5, v6, 16, 1
	v_add3_u32 v5, v6, v5, s21
                                        ; implicit-def: $vgpr6
; %bb.985:                              ;   in Loop: Header=BB397_603 Depth=1
	s_andn2_saveexec_b64 s[12:13], s[4:5]
; %bb.986:                              ;   in Loop: Header=BB397_603 Depth=1
	v_or_b32_e32 v5, 0x10000, v6
	v_cmp_eq_u32_sdwa s[4:5], v6, v11 src0_sel:WORD_0 src1_sel:DWORD
	v_cndmask_b32_e64 v5, v5, v6, s[4:5]
; %bb.987:                              ;   in Loop: Header=BB397_603 Depth=1
	s_or_b64 exec, exec, s[12:13]
	v_lshrrev_b16_e32 v6, 8, v2
	v_cmp_ne_u16_e64 s[4:5], 0, v6
	v_mov_b32_e32 v7, 0
	s_and_saveexec_b64 s[12:13], s[4:5]
	s_cbranch_execz .LBB397_993
; %bb.988:                              ;   in Loop: Header=BB397_603 Depth=1
	v_cmp_ne_u16_e64 s[4:5], s28, v6
	v_bfrev_b32_e32 v7, 1
	s_and_saveexec_b64 s[24:25], s[4:5]
	s_cbranch_execz .LBB397_992
; %bb.989:                              ;   in Loop: Header=BB397_603 Depth=1
	v_and_b32_e32 v8, 0x7f, v6
	v_cmp_ne_u32_e64 s[4:5], s29, v8
	v_mov_b32_e32 v7, 0x7f800001
	s_and_saveexec_b64 s[26:27], s[4:5]
	s_cbranch_execz .LBB397_991
; %bb.990:                              ;   in Loop: Header=BB397_603 Depth=1
	v_and_b32_e32 v9, 7, v6
	v_ffbh_u32_e32 v7, v9
	v_min_u32_e32 v22, 32, v7
	v_subrev_u32_e32 v7, 28, v22
	v_lshlrev_b64 v[6:7], v7, v[6:7]
	v_lshrrev_b32_e32 v10, 3, v8
	v_sub_u32_e32 v7, 29, v22
	v_and_b32_e32 v6, 7, v6
	v_cmp_gt_u32_e64 s[4:5], 8, v8
	v_cndmask_b32_e64 v7, v10, v7, s[4:5]
	v_cndmask_b32_e64 v6, v9, v6, s[4:5]
	v_lshlrev_b32_e32 v8, 16, v2
	v_bfrev_b32_e32 v4, 60
	v_lshlrev_b32_e32 v6, 20, v6
	v_and_b32_e32 v8, 0x80000000, v8
	v_lshl_add_u32 v7, v7, 23, v4
	v_or3_b32 v7, v8, v7, v6
.LBB397_991:                            ;   in Loop: Header=BB397_603 Depth=1
	s_or_b64 exec, exec, s[26:27]
.LBB397_992:                            ;   in Loop: Header=BB397_603 Depth=1
	s_or_b64 exec, exec, s[24:25]
.LBB397_993:                            ;   in Loop: Header=BB397_603 Depth=1
	s_or_b64 exec, exec, s[12:13]
	v_mul_f32_e32 v6, v26, v7
	v_and_b32_e32 v7, 0x7f800000, v6
	v_cmp_ne_u32_e64 s[4:5], s15, v7
                                        ; implicit-def: $vgpr7
	s_and_saveexec_b64 s[12:13], s[4:5]
	s_xor_b64 s[4:5], exec, s[12:13]
; %bb.994:                              ;   in Loop: Header=BB397_603 Depth=1
	v_bfe_u32 v7, v6, 16, 1
	v_add3_u32 v7, v6, v7, s21
                                        ; implicit-def: $vgpr6
; %bb.995:                              ;   in Loop: Header=BB397_603 Depth=1
	s_andn2_saveexec_b64 s[12:13], s[4:5]
; %bb.996:                              ;   in Loop: Header=BB397_603 Depth=1
	v_or_b32_e32 v7, 0x10000, v6
	v_cmp_eq_u32_sdwa s[4:5], v6, v11 src0_sel:WORD_0 src1_sel:DWORD
	v_cndmask_b32_e64 v7, v7, v6, s[4:5]
; %bb.997:                              ;   in Loop: Header=BB397_603 Depth=1
	s_or_b64 exec, exec, s[12:13]
	v_lshrrev_b32_e32 v6, 16, v2
	v_cmp_ne_u16_sdwa s[4:5], v6, v11 src0_sel:BYTE_0 src1_sel:DWORD
	v_mov_b32_e32 v8, 0
	s_and_saveexec_b64 s[12:13], s[4:5]
	s_cbranch_execz .LBB397_1003
; %bb.998:                              ;   in Loop: Header=BB397_603 Depth=1
	v_cmp_ne_u16_sdwa s[4:5], v6, s28 src0_sel:BYTE_0 src1_sel:DWORD
	v_bfrev_b32_e32 v8, 1
	s_and_saveexec_b64 s[24:25], s[4:5]
	s_cbranch_execz .LBB397_1002
; %bb.999:                              ;   in Loop: Header=BB397_603 Depth=1
	v_bfe_u32 v9, v2, 16, 7
	v_cmp_ne_u32_e64 s[4:5], s29, v9
	v_mov_b32_e32 v8, 0x7f800001
	s_and_saveexec_b64 s[26:27], s[4:5]
	s_cbranch_execz .LBB397_1001
; %bb.1000:                             ;   in Loop: Header=BB397_603 Depth=1
	v_and_b32_e32 v8, 7, v6
	v_ffbh_u32_e32 v22, v8
	v_min_u32_e32 v22, 32, v22
	v_subrev_u32_e32 v24, 28, v22
	v_lshlrev_b64 v[36:37], v24, v[6:7]
	v_lshrrev_b32_e32 v10, 3, v9
	v_sub_u32_e32 v22, 29, v22
	v_and_b32_e32 v24, 7, v36
	v_cmp_gt_u32_e64 s[4:5], 8, v9
	v_cndmask_b32_e64 v9, v10, v22, s[4:5]
	v_cndmask_b32_e64 v8, v8, v24, s[4:5]
	v_lshlrev_b32_e32 v6, 24, v6
	v_bfrev_b32_e32 v4, 60
	v_lshlrev_b32_e32 v8, 20, v8
	v_and_b32_e32 v6, 0x80000000, v6
	v_lshl_add_u32 v9, v9, 23, v4
	v_or3_b32 v8, v6, v9, v8
.LBB397_1001:                           ;   in Loop: Header=BB397_603 Depth=1
	s_or_b64 exec, exec, s[26:27]
.LBB397_1002:                           ;   in Loop: Header=BB397_603 Depth=1
	s_or_b64 exec, exec, s[24:25]
.LBB397_1003:                           ;   in Loop: Header=BB397_603 Depth=1
	s_or_b64 exec, exec, s[12:13]
	v_mul_f32_e32 v6, v26, v8
	v_and_b32_e32 v8, 0x7f800000, v6
	v_cmp_ne_u32_e64 s[4:5], s15, v8
                                        ; implicit-def: $vgpr8
	s_and_saveexec_b64 s[12:13], s[4:5]
	s_xor_b64 s[4:5], exec, s[12:13]
; %bb.1004:                             ;   in Loop: Header=BB397_603 Depth=1
	v_bfe_u32 v8, v6, 16, 1
	v_add3_u32 v8, v6, v8, s21
                                        ; implicit-def: $vgpr6
; %bb.1005:                             ;   in Loop: Header=BB397_603 Depth=1
	s_andn2_saveexec_b64 s[12:13], s[4:5]
; %bb.1006:                             ;   in Loop: Header=BB397_603 Depth=1
	v_or_b32_e32 v8, 0x10000, v6
	v_cmp_eq_u32_sdwa s[4:5], v6, v11 src0_sel:WORD_0 src1_sel:DWORD
	v_cndmask_b32_e64 v8, v8, v6, s[4:5]
; %bb.1007:                             ;   in Loop: Header=BB397_603 Depth=1
	s_or_b64 exec, exec, s[12:13]
	v_cmp_lt_u32_e64 s[4:5], s9, v2
	v_mov_b32_e32 v9, 0
	s_and_saveexec_b64 s[12:13], s[4:5]
	s_cbranch_execz .LBB397_1013
; %bb.1008:                             ;   in Loop: Header=BB397_603 Depth=1
	v_lshrrev_b32_e32 v6, 24, v2
	v_cmp_ne_u32_e64 s[4:5], s28, v6
	v_bfrev_b32_e32 v9, 1
	s_and_saveexec_b64 s[24:25], s[4:5]
	s_cbranch_execz .LBB397_1012
; %bb.1009:                             ;   in Loop: Header=BB397_603 Depth=1
	v_bfe_u32 v10, v2, 24, 7
	v_cmp_ne_u32_e64 s[4:5], s29, v10
	v_mov_b32_e32 v9, 0x7f800001
	s_and_saveexec_b64 s[26:27], s[4:5]
	s_cbranch_execz .LBB397_1011
; %bb.1010:                             ;   in Loop: Header=BB397_603 Depth=1
	v_and_b32_e32 v9, 7, v6
	v_ffbh_u32_e32 v24, v9
	v_min_u32_e32 v24, 32, v24
	v_subrev_u32_e32 v25, 28, v24
	v_lshlrev_b64 v[36:37], v25, v[6:7]
	v_lshrrev_b32_e32 v22, 3, v10
	v_sub_u32_e32 v24, 29, v24
	v_and_b32_e32 v25, 7, v36
	v_cmp_gt_u32_e64 s[4:5], 8, v10
	v_cndmask_b32_e64 v10, v22, v24, s[4:5]
	v_cndmask_b32_e64 v9, v9, v25, s[4:5]
	v_lshlrev_b32_e32 v6, 24, v6
	v_bfrev_b32_e32 v4, 60
	v_lshlrev_b32_e32 v9, 20, v9
	v_and_b32_e32 v6, 0x80000000, v6
	v_lshl_add_u32 v10, v10, 23, v4
	v_or3_b32 v9, v6, v10, v9
.LBB397_1011:                           ;   in Loop: Header=BB397_603 Depth=1
	s_or_b64 exec, exec, s[26:27]
.LBB397_1012:                           ;   in Loop: Header=BB397_603 Depth=1
	s_or_b64 exec, exec, s[24:25]
.LBB397_1013:                           ;   in Loop: Header=BB397_603 Depth=1
	s_or_b64 exec, exec, s[12:13]
	v_mul_f32_e32 v6, v26, v9
	v_and_b32_e32 v9, 0x7f800000, v6
	v_cmp_ne_u32_e64 s[4:5], s15, v9
                                        ; implicit-def: $vgpr9
	s_and_saveexec_b64 s[12:13], s[4:5]
	s_xor_b64 s[4:5], exec, s[12:13]
; %bb.1014:                             ;   in Loop: Header=BB397_603 Depth=1
	v_bfe_u32 v9, v6, 16, 1
	v_add3_u32 v9, v6, v9, s21
                                        ; implicit-def: $vgpr6
; %bb.1015:                             ;   in Loop: Header=BB397_603 Depth=1
	s_andn2_saveexec_b64 s[12:13], s[4:5]
; %bb.1016:                             ;   in Loop: Header=BB397_603 Depth=1
	v_or_b32_e32 v9, 0x10000, v6
	v_cmp_eq_u32_sdwa s[4:5], v6, v11 src0_sel:WORD_0 src1_sel:DWORD
	v_cndmask_b32_e64 v9, v9, v6, s[4:5]
; %bb.1017:                             ;   in Loop: Header=BB397_603 Depth=1
	s_or_b64 exec, exec, s[12:13]
	v_mov_b32_e32 v10, v3
	v_cmp_ne_u16_sdwa s[4:5], v3, v11 src0_sel:BYTE_0 src1_sel:DWORD
	v_mov_b32_e32 v6, 0
	s_and_saveexec_b64 s[12:13], s[4:5]
	s_cbranch_execz .LBB397_1023
; %bb.1018:                             ;   in Loop: Header=BB397_603 Depth=1
	v_cmp_ne_u16_sdwa s[4:5], v3, s28 src0_sel:BYTE_0 src1_sel:DWORD
	v_bfrev_b32_e32 v6, 1
	s_and_saveexec_b64 s[24:25], s[4:5]
	s_cbranch_execz .LBB397_1022
; %bb.1019:                             ;   in Loop: Header=BB397_603 Depth=1
	v_and_b32_e32 v22, 0x7f, v3
	v_cmp_ne_u32_e64 s[4:5], s29, v22
	v_mov_b32_e32 v6, 0x7f800001
	s_and_saveexec_b64 s[26:27], s[4:5]
	s_cbranch_execz .LBB397_1021
; %bb.1020:                             ;   in Loop: Header=BB397_603 Depth=1
	v_and_b32_e32 v6, 7, v3
	v_ffbh_u32_e32 v6, v6
	v_min_u32_e32 v6, 32, v6
	v_subrev_u32_e32 v25, 28, v6
	v_cmp_gt_u32_e64 s[4:5], 8, v22
	v_lshrrev_b32_e32 v24, 3, v22
	v_cndmask_b32_e64 v22, 0, v25, s[4:5]
	v_sub_u32_e32 v6, 29, v6
	v_lshlrev_b64 v[36:37], v22, v[10:11]
	v_cndmask_b32_e64 v6, v24, v6, s[4:5]
	v_lshlrev_b32_e32 v22, 20, v36
	v_lshlrev_b32_e32 v24, 24, v10
	v_bfrev_b32_e32 v4, 60
	v_and_b32_e32 v22, 0x700000, v22
	v_and_b32_e32 v24, 0x80000000, v24
	v_lshl_add_u32 v6, v6, 23, v4
	v_or3_b32 v6, v24, v6, v22
.LBB397_1021:                           ;   in Loop: Header=BB397_603 Depth=1
	s_or_b64 exec, exec, s[26:27]
.LBB397_1022:                           ;   in Loop: Header=BB397_603 Depth=1
	s_or_b64 exec, exec, s[24:25]
.LBB397_1023:                           ;   in Loop: Header=BB397_603 Depth=1
	s_or_b64 exec, exec, s[12:13]
	v_mul_f32_e32 v6, v26, v6
	v_and_b32_e32 v22, 0x7f800000, v6
	v_cmp_ne_u32_e64 s[4:5], s15, v22
                                        ; implicit-def: $vgpr22
	s_and_saveexec_b64 s[12:13], s[4:5]
	s_xor_b64 s[4:5], exec, s[12:13]
; %bb.1024:                             ;   in Loop: Header=BB397_603 Depth=1
	v_bfe_u32 v22, v6, 16, 1
	v_add3_u32 v22, v6, v22, s21
                                        ; implicit-def: $vgpr6
; %bb.1025:                             ;   in Loop: Header=BB397_603 Depth=1
	s_andn2_saveexec_b64 s[12:13], s[4:5]
; %bb.1026:                             ;   in Loop: Header=BB397_603 Depth=1
	v_or_b32_e32 v22, 0x10000, v6
	v_cmp_eq_u32_sdwa s[4:5], v6, v11 src0_sel:WORD_0 src1_sel:DWORD
	v_cndmask_b32_e64 v22, v22, v6, s[4:5]
; %bb.1027:                             ;   in Loop: Header=BB397_603 Depth=1
	s_or_b64 exec, exec, s[12:13]
	v_lshrrev_b16_e32 v6, 8, v10
	v_cmp_ne_u16_e64 s[4:5], 0, v6
	v_mov_b32_e32 v25, 0
	s_and_saveexec_b64 s[12:13], s[4:5]
	s_cbranch_execz .LBB397_1033
; %bb.1028:                             ;   in Loop: Header=BB397_603 Depth=1
	v_cmp_ne_u16_e64 s[4:5], s28, v6
	v_bfrev_b32_e32 v25, 1
	s_and_saveexec_b64 s[24:25], s[4:5]
	s_cbranch_execz .LBB397_1032
; %bb.1029:                             ;   in Loop: Header=BB397_603 Depth=1
	v_and_b32_e32 v27, 0x7f, v6
	v_cmp_ne_u32_e64 s[4:5], s29, v27
	v_mov_b32_e32 v25, 0x7f800001
	s_and_saveexec_b64 s[26:27], s[4:5]
	s_cbranch_execz .LBB397_1031
; %bb.1030:                             ;   in Loop: Header=BB397_603 Depth=1
	v_and_b32_e32 v24, 7, v6
	v_ffbh_u32_e32 v28, v24
	v_min_u32_e32 v28, 32, v28
	v_subrev_u32_e32 v29, 28, v28
	v_lshlrev_b64 v[36:37], v29, v[6:7]
	v_lshrrev_b32_e32 v25, 3, v27
	v_sub_u32_e32 v6, 29, v28
	v_and_b32_e32 v28, 7, v36
	v_cmp_gt_u32_e64 s[4:5], 8, v27
	v_cndmask_b32_e64 v6, v25, v6, s[4:5]
	v_cndmask_b32_e64 v24, v24, v28, s[4:5]
	v_lshlrev_b32_e32 v10, 16, v10
	v_bfrev_b32_e32 v4, 60
	v_lshlrev_b32_e32 v24, 20, v24
	v_and_b32_e32 v10, 0x80000000, v10
	v_lshl_add_u32 v6, v6, 23, v4
	v_or3_b32 v25, v10, v6, v24
.LBB397_1031:                           ;   in Loop: Header=BB397_603 Depth=1
	s_or_b64 exec, exec, s[26:27]
.LBB397_1032:                           ;   in Loop: Header=BB397_603 Depth=1
	s_or_b64 exec, exec, s[24:25]
.LBB397_1033:                           ;   in Loop: Header=BB397_603 Depth=1
	s_or_b64 exec, exec, s[12:13]
	v_mul_f32_e32 v6, v26, v25
	v_and_b32_e32 v10, 0x7f800000, v6
	v_cmp_ne_u32_e64 s[4:5], s15, v10
                                        ; implicit-def: $vgpr10
	s_and_saveexec_b64 s[12:13], s[4:5]
	s_xor_b64 s[4:5], exec, s[12:13]
; %bb.1034:                             ;   in Loop: Header=BB397_603 Depth=1
	v_bfe_u32 v10, v6, 16, 1
	v_add3_u32 v10, v6, v10, s21
                                        ; implicit-def: $vgpr6
; %bb.1035:                             ;   in Loop: Header=BB397_603 Depth=1
	s_andn2_saveexec_b64 s[12:13], s[4:5]
; %bb.1036:                             ;   in Loop: Header=BB397_603 Depth=1
	v_or_b32_e32 v10, 0x10000, v6
	v_cmp_eq_u32_sdwa s[4:5], v6, v11 src0_sel:WORD_0 src1_sel:DWORD
	v_cndmask_b32_e64 v10, v10, v6, s[4:5]
; %bb.1037:                             ;   in Loop: Header=BB397_603 Depth=1
	s_or_b64 exec, exec, s[12:13]
	v_lshrrev_b32_e32 v6, 16, v3
	v_cmp_ne_u16_sdwa s[4:5], v6, v11 src0_sel:BYTE_0 src1_sel:DWORD
	v_mov_b32_e32 v25, 0
	s_and_saveexec_b64 s[12:13], s[4:5]
	s_cbranch_execz .LBB397_1043
; %bb.1038:                             ;   in Loop: Header=BB397_603 Depth=1
	v_cmp_ne_u16_sdwa s[4:5], v6, s28 src0_sel:BYTE_0 src1_sel:DWORD
	v_bfrev_b32_e32 v25, 1
	s_and_saveexec_b64 s[24:25], s[4:5]
	s_cbranch_execz .LBB397_1042
; %bb.1039:                             ;   in Loop: Header=BB397_603 Depth=1
	v_bfe_u32 v27, v3, 16, 7
	v_cmp_ne_u32_e64 s[4:5], s29, v27
	v_mov_b32_e32 v25, 0x7f800001
	s_and_saveexec_b64 s[26:27], s[4:5]
	s_cbranch_execz .LBB397_1041
; %bb.1040:                             ;   in Loop: Header=BB397_603 Depth=1
	v_and_b32_e32 v24, 7, v6
	v_ffbh_u32_e32 v28, v24
	v_min_u32_e32 v28, 32, v28
	v_subrev_u32_e32 v29, 28, v28
	v_lshlrev_b64 v[36:37], v29, v[6:7]
	v_lshrrev_b32_e32 v25, 3, v27
	v_sub_u32_e32 v28, 29, v28
	v_and_b32_e32 v29, 7, v36
	v_cmp_gt_u32_e64 s[4:5], 8, v27
	v_cndmask_b32_e64 v25, v25, v28, s[4:5]
	v_cndmask_b32_e64 v24, v24, v29, s[4:5]
	v_lshlrev_b32_e32 v6, 24, v6
	v_bfrev_b32_e32 v4, 60
	v_lshlrev_b32_e32 v24, 20, v24
	v_and_b32_e32 v6, 0x80000000, v6
	v_lshl_add_u32 v25, v25, 23, v4
	v_or3_b32 v25, v6, v25, v24
.LBB397_1041:                           ;   in Loop: Header=BB397_603 Depth=1
	s_or_b64 exec, exec, s[26:27]
.LBB397_1042:                           ;   in Loop: Header=BB397_603 Depth=1
	s_or_b64 exec, exec, s[24:25]
.LBB397_1043:                           ;   in Loop: Header=BB397_603 Depth=1
	s_or_b64 exec, exec, s[12:13]
	v_mul_f32_e32 v6, v26, v25
	v_and_b32_e32 v24, 0x7f800000, v6
	v_cmp_ne_u32_e64 s[4:5], s15, v24
                                        ; implicit-def: $vgpr25
	s_and_saveexec_b64 s[12:13], s[4:5]
	s_xor_b64 s[4:5], exec, s[12:13]
; %bb.1044:                             ;   in Loop: Header=BB397_603 Depth=1
	v_bfe_u32 v24, v6, 16, 1
	v_add3_u32 v25, v6, v24, s21
                                        ; implicit-def: $vgpr6
; %bb.1045:                             ;   in Loop: Header=BB397_603 Depth=1
	s_andn2_saveexec_b64 s[12:13], s[4:5]
; %bb.1046:                             ;   in Loop: Header=BB397_603 Depth=1
	v_or_b32_e32 v24, 0x10000, v6
	v_cmp_eq_u32_sdwa s[4:5], v6, v11 src0_sel:WORD_0 src1_sel:DWORD
	v_cndmask_b32_e64 v25, v24, v6, s[4:5]
; %bb.1047:                             ;   in Loop: Header=BB397_603 Depth=1
	s_or_b64 exec, exec, s[12:13]
	v_cmp_lt_u64_e64 s[4:5], s[8:9], v[2:3]
	v_mov_b32_e32 v6, 0
	s_and_saveexec_b64 s[12:13], s[4:5]
	s_cbranch_execz .LBB397_1053
; %bb.1048:                             ;   in Loop: Header=BB397_603 Depth=1
	v_lshrrev_b32_e32 v2, 24, v3
	v_cmp_ne_u32_e64 s[4:5], s28, v2
	v_bfrev_b32_e32 v6, 1
	s_and_saveexec_b64 s[24:25], s[4:5]
	s_cbranch_execz .LBB397_1052
; %bb.1049:                             ;   in Loop: Header=BB397_603 Depth=1
	v_bfe_u32 v3, v3, 24, 7
	v_cmp_ne_u32_e64 s[4:5], s29, v3
	v_mov_b32_e32 v6, 0x7f800001
	s_and_saveexec_b64 s[26:27], s[4:5]
	s_cbranch_execz .LBB397_1051
; %bb.1050:                             ;   in Loop: Header=BB397_603 Depth=1
	v_and_b32_e32 v6, 7, v2
	v_ffbh_u32_e32 v27, v6
	v_min_u32_e32 v27, 32, v27
	v_subrev_u32_e32 v28, 28, v27
	v_lshlrev_b64 v[36:37], v28, v[2:3]
	v_lshrrev_b32_e32 v24, 3, v3
	v_sub_u32_e32 v27, 29, v27
	v_and_b32_e32 v28, 7, v36
	v_cmp_gt_u32_e64 s[4:5], 8, v3
	v_cndmask_b32_e64 v3, v24, v27, s[4:5]
	v_cndmask_b32_e64 v6, v6, v28, s[4:5]
	v_lshlrev_b32_e32 v2, 24, v2
	v_bfrev_b32_e32 v4, 60
	v_lshlrev_b32_e32 v6, 20, v6
	v_and_b32_e32 v2, 0x80000000, v2
	v_lshl_add_u32 v3, v3, 23, v4
	v_or3_b32 v6, v2, v3, v6
.LBB397_1051:                           ;   in Loop: Header=BB397_603 Depth=1
	s_or_b64 exec, exec, s[26:27]
.LBB397_1052:                           ;   in Loop: Header=BB397_603 Depth=1
	s_or_b64 exec, exec, s[24:25]
.LBB397_1053:                           ;   in Loop: Header=BB397_603 Depth=1
	s_or_b64 exec, exec, s[12:13]
	v_mul_f32_e32 v3, v26, v6
	v_and_b32_e32 v2, 0x7f800000, v3
	v_cmp_ne_u32_e64 s[4:5], s15, v2
                                        ; implicit-def: $vgpr2
	s_and_saveexec_b64 s[12:13], s[4:5]
	s_xor_b64 s[4:5], exec, s[12:13]
; %bb.1054:                             ;   in Loop: Header=BB397_603 Depth=1
	v_bfe_u32 v2, v3, 16, 1
	v_add3_u32 v2, v3, v2, s21
                                        ; implicit-def: $vgpr3
; %bb.1055:                             ;   in Loop: Header=BB397_603 Depth=1
	s_andn2_saveexec_b64 s[12:13], s[4:5]
; %bb.1056:                             ;   in Loop: Header=BB397_603 Depth=1
	v_or_b32_e32 v2, 0x10000, v3
	v_cmp_eq_u32_sdwa s[4:5], v3, v11 src0_sel:WORD_0 src1_sel:DWORD
	v_cndmask_b32_e64 v2, v2, v3, s[4:5]
; %bb.1057:                             ;   in Loop: Header=BB397_603 Depth=1
	s_or_b64 exec, exec, s[12:13]
	v_lshrrev_b32_e32 v6, 16, v10
	v_lshrrev_b32_e32 v10, 16, v22
	;; [unrolled: 1-line block ×8, first 2 shown]
	s_and_saveexec_b64 s[12:13], vcc
	s_cbranch_execz .LBB397_1059
; %bb.1058:                             ;   in Loop: Header=BB397_603 Depth=1
	v_accvgpr_read_b32 v4, a20
	v_cmp_lt_i32_e64 s[4:5], v4, v32
	v_accvgpr_read_b32 v4, a26
	v_cndmask_b32_e64 v5, 0, v5, s[4:5]
	v_cmp_lt_i32_e64 s[4:5], v4, v32
	v_accvgpr_read_b32 v4, a25
	v_cndmask_b32_e64 v7, 0, v7, s[4:5]
	;; [unrolled: 3-line block ×6, first 2 shown]
	v_cmp_lt_i32_e64 s[4:5], v4, v32
	v_cndmask_b32_e64 v3, 0, v3, s[4:5]
	v_cmp_lt_i32_e64 s[4:5], v17, v32
	v_cndmask_b32_e64 v2, 0, v2, s[4:5]
.LBB397_1059:                           ;   in Loop: Header=BB397_603 Depth=1
	s_or_b64 exec, exec, s[12:13]
	v_lshlrev_b32_e32 v5, 16, v5
	v_mul_f32_e32 v5, v41, v5
	v_and_b32_e32 v22, 0x7f800000, v5
	v_cmp_ne_u32_e64 s[4:5], s15, v22
                                        ; implicit-def: $vgpr28
	s_and_saveexec_b64 s[12:13], s[4:5]
	s_xor_b64 s[4:5], exec, s[12:13]
; %bb.1060:                             ;   in Loop: Header=BB397_603 Depth=1
	v_bfe_u32 v22, v5, 16, 1
	v_add3_u32 v28, v5, v22, s21
                                        ; implicit-def: $vgpr5
; %bb.1061:                             ;   in Loop: Header=BB397_603 Depth=1
	s_andn2_saveexec_b64 s[12:13], s[4:5]
; %bb.1062:                             ;   in Loop: Header=BB397_603 Depth=1
	v_or_b32_e32 v22, 0x10000, v5
	v_cmp_eq_u32_sdwa s[4:5], v5, v11 src0_sel:WORD_0 src1_sel:DWORD
	v_cndmask_b32_e64 v28, v22, v5, s[4:5]
; %bb.1063:                             ;   in Loop: Header=BB397_603 Depth=1
	s_or_b64 exec, exec, s[12:13]
	v_lshlrev_b32_e32 v5, 16, v7
	v_mul_f32_e32 v5, v42, v5
	v_and_b32_e32 v7, 0x7f800000, v5
	v_cmp_ne_u32_e64 s[4:5], s15, v7
                                        ; implicit-def: $vgpr7
	s_and_saveexec_b64 s[12:13], s[4:5]
	s_xor_b64 s[4:5], exec, s[12:13]
; %bb.1064:                             ;   in Loop: Header=BB397_603 Depth=1
	v_bfe_u32 v7, v5, 16, 1
	v_add3_u32 v7, v5, v7, s21
                                        ; implicit-def: $vgpr5
; %bb.1065:                             ;   in Loop: Header=BB397_603 Depth=1
	s_andn2_saveexec_b64 s[12:13], s[4:5]
; %bb.1066:                             ;   in Loop: Header=BB397_603 Depth=1
	v_or_b32_e32 v7, 0x10000, v5
	v_cmp_eq_u32_sdwa s[4:5], v5, v11 src0_sel:WORD_0 src1_sel:DWORD
	v_cndmask_b32_e64 v7, v7, v5, s[4:5]
; %bb.1067:                             ;   in Loop: Header=BB397_603 Depth=1
	s_or_b64 exec, exec, s[12:13]
	v_lshlrev_b32_e32 v5, 16, v8
	v_mul_f32_e32 v5, v43, v5
	v_and_b32_e32 v8, 0x7f800000, v5
	v_cmp_ne_u32_e64 s[4:5], s15, v8
                                        ; implicit-def: $vgpr22
	s_and_saveexec_b64 s[12:13], s[4:5]
	s_xor_b64 s[4:5], exec, s[12:13]
; %bb.1068:                             ;   in Loop: Header=BB397_603 Depth=1
	v_bfe_u32 v8, v5, 16, 1
	v_add3_u32 v22, v5, v8, s21
                                        ; implicit-def: $vgpr5
; %bb.1069:                             ;   in Loop: Header=BB397_603 Depth=1
	s_andn2_saveexec_b64 s[12:13], s[4:5]
; %bb.1070:                             ;   in Loop: Header=BB397_603 Depth=1
	v_or_b32_e32 v8, 0x10000, v5
	v_cmp_eq_u32_sdwa s[4:5], v5, v11 src0_sel:WORD_0 src1_sel:DWORD
	v_cndmask_b32_e64 v22, v8, v5, s[4:5]
; %bb.1071:                             ;   in Loop: Header=BB397_603 Depth=1
	s_or_b64 exec, exec, s[12:13]
	v_lshlrev_b32_e32 v5, 16, v9
	v_mul_f32_e32 v5, v44, v5
	v_and_b32_e32 v8, 0x7f800000, v5
	v_cmp_ne_u32_e64 s[4:5], s15, v8
                                        ; implicit-def: $vgpr8
	s_and_saveexec_b64 s[12:13], s[4:5]
	s_xor_b64 s[4:5], exec, s[12:13]
; %bb.1072:                             ;   in Loop: Header=BB397_603 Depth=1
	v_bfe_u32 v8, v5, 16, 1
	v_add3_u32 v8, v5, v8, s21
                                        ; implicit-def: $vgpr5
; %bb.1073:                             ;   in Loop: Header=BB397_603 Depth=1
	s_andn2_saveexec_b64 s[12:13], s[4:5]
; %bb.1074:                             ;   in Loop: Header=BB397_603 Depth=1
	v_or_b32_e32 v8, 0x10000, v5
	v_cmp_eq_u32_sdwa s[4:5], v5, v11 src0_sel:WORD_0 src1_sel:DWORD
	v_cndmask_b32_e64 v8, v8, v5, s[4:5]
; %bb.1075:                             ;   in Loop: Header=BB397_603 Depth=1
	s_or_b64 exec, exec, s[12:13]
	v_lshlrev_b32_e32 v5, 16, v10
	v_mul_f32_e32 v5, v45, v5
	v_and_b32_e32 v9, 0x7f800000, v5
	v_cmp_ne_u32_e64 s[4:5], s15, v9
                                        ; implicit-def: $vgpr9
	s_and_saveexec_b64 s[12:13], s[4:5]
	s_xor_b64 s[4:5], exec, s[12:13]
; %bb.1076:                             ;   in Loop: Header=BB397_603 Depth=1
	v_bfe_u32 v9, v5, 16, 1
	v_add3_u32 v9, v5, v9, s21
                                        ; implicit-def: $vgpr5
; %bb.1077:                             ;   in Loop: Header=BB397_603 Depth=1
	s_andn2_saveexec_b64 s[12:13], s[4:5]
; %bb.1078:                             ;   in Loop: Header=BB397_603 Depth=1
	v_or_b32_e32 v9, 0x10000, v5
	v_cmp_eq_u32_sdwa s[4:5], v5, v11 src0_sel:WORD_0 src1_sel:DWORD
	v_cndmask_b32_e64 v9, v9, v5, s[4:5]
; %bb.1079:                             ;   in Loop: Header=BB397_603 Depth=1
	s_or_b64 exec, exec, s[12:13]
	v_lshlrev_b32_e32 v5, 16, v6
	v_mul_f32_e32 v5, v46, v5
	v_and_b32_e32 v6, 0x7f800000, v5
	v_cmp_ne_u32_e64 s[4:5], s15, v6
                                        ; implicit-def: $vgpr37
	s_and_saveexec_b64 s[12:13], s[4:5]
	s_xor_b64 s[4:5], exec, s[12:13]
; %bb.1080:                             ;   in Loop: Header=BB397_603 Depth=1
	v_bfe_u32 v6, v5, 16, 1
	v_add3_u32 v37, v5, v6, s21
                                        ; implicit-def: $vgpr5
; %bb.1081:                             ;   in Loop: Header=BB397_603 Depth=1
	s_andn2_saveexec_b64 s[12:13], s[4:5]
; %bb.1082:                             ;   in Loop: Header=BB397_603 Depth=1
	v_or_b32_e32 v6, 0x10000, v5
	v_cmp_eq_u32_sdwa s[4:5], v5, v11 src0_sel:WORD_0 src1_sel:DWORD
	v_cndmask_b32_e64 v37, v6, v5, s[4:5]
; %bb.1083:                             ;   in Loop: Header=BB397_603 Depth=1
	s_or_b64 exec, exec, s[12:13]
	v_lshlrev_b32_e32 v3, 16, v3
	v_mul_f32_e32 v3, v47, v3
	v_and_b32_e32 v5, 0x7f800000, v3
	v_cmp_ne_u32_e64 s[4:5], s15, v5
                                        ; implicit-def: $vgpr38
	s_and_saveexec_b64 s[12:13], s[4:5]
	s_xor_b64 s[4:5], exec, s[12:13]
; %bb.1084:                             ;   in Loop: Header=BB397_603 Depth=1
	v_bfe_u32 v5, v3, 16, 1
	v_add3_u32 v38, v3, v5, s21
                                        ; implicit-def: $vgpr3
; %bb.1085:                             ;   in Loop: Header=BB397_603 Depth=1
	s_andn2_saveexec_b64 s[12:13], s[4:5]
; %bb.1086:                             ;   in Loop: Header=BB397_603 Depth=1
	v_or_b32_e32 v5, 0x10000, v3
	v_cmp_eq_u32_sdwa s[4:5], v3, v11 src0_sel:WORD_0 src1_sel:DWORD
	v_cndmask_b32_e64 v38, v5, v3, s[4:5]
; %bb.1087:                             ;   in Loop: Header=BB397_603 Depth=1
	s_or_b64 exec, exec, s[12:13]
	v_lshlrev_b32_e32 v2, 16, v2
	v_mul_f32_e32 v2, v56, v2
	v_and_b32_e32 v3, 0x7f800000, v2
	v_cmp_ne_u32_e64 s[4:5], s15, v3
                                        ; implicit-def: $vgpr39
	s_and_saveexec_b64 s[12:13], s[4:5]
	s_xor_b64 s[4:5], exec, s[12:13]
; %bb.1088:                             ;   in Loop: Header=BB397_603 Depth=1
	v_bfe_u32 v3, v2, 16, 1
	v_add3_u32 v39, v2, v3, s21
                                        ; implicit-def: $vgpr2
; %bb.1089:                             ;   in Loop: Header=BB397_603 Depth=1
	s_andn2_saveexec_b64 s[12:13], s[4:5]
; %bb.1090:                             ;   in Loop: Header=BB397_603 Depth=1
	v_or_b32_e32 v3, 0x10000, v2
	v_cmp_eq_u32_sdwa s[4:5], v2, v11 src0_sel:WORD_0 src1_sel:DWORD
	v_cndmask_b32_e64 v39, v3, v2, s[4:5]
; %bb.1091:                             ;   in Loop: Header=BB397_603 Depth=1
	s_or_b64 exec, exec, s[12:13]
	flat_load_dwordx2 v[2:3], v[0:1] offset:2048
	v_mov_b32_e32 v5, 0
	s_waitcnt vmcnt(0) lgkmcnt(0)
	v_cmp_ne_u16_sdwa s[4:5], v2, v11 src0_sel:BYTE_0 src1_sel:DWORD
	s_and_saveexec_b64 s[12:13], s[4:5]
	s_cbranch_execz .LBB397_1097
; %bb.1092:                             ;   in Loop: Header=BB397_603 Depth=1
	v_cmp_ne_u16_sdwa s[4:5], v2, s28 src0_sel:BYTE_0 src1_sel:DWORD
	v_bfrev_b32_e32 v5, 1
	s_and_saveexec_b64 s[24:25], s[4:5]
	s_cbranch_execz .LBB397_1096
; %bb.1093:                             ;   in Loop: Header=BB397_603 Depth=1
	v_and_b32_e32 v6, 0x7f, v2
	v_cmp_ne_u32_e64 s[4:5], s29, v6
	v_mov_b32_e32 v5, 0x7f800001
	s_and_saveexec_b64 s[26:27], s[4:5]
	s_cbranch_execz .LBB397_1095
; %bb.1094:                             ;   in Loop: Header=BB397_603 Depth=1
	v_and_b32_e32 v5, 7, v2
	v_ffbh_u32_e32 v5, v5
	v_min_u32_e32 v5, 32, v5
	v_subrev_u32_e32 v24, 28, v5
	v_cmp_gt_u32_e64 s[4:5], 8, v6
	v_lshrrev_b32_e32 v10, 3, v6
	v_cndmask_b32_e64 v6, 0, v24, s[4:5]
	v_sub_u32_e32 v5, 29, v5
	v_lshlrev_b64 v[48:49], v6, v[2:3]
	v_cndmask_b32_e64 v5, v10, v5, s[4:5]
	v_lshlrev_b32_e32 v6, 20, v48
	v_lshlrev_b32_e32 v10, 24, v2
	v_bfrev_b32_e32 v4, 60
	v_and_b32_e32 v6, 0x700000, v6
	v_and_b32_e32 v10, 0x80000000, v10
	v_lshl_add_u32 v5, v5, 23, v4
	v_or3_b32 v5, v10, v5, v6
.LBB397_1095:                           ;   in Loop: Header=BB397_603 Depth=1
	s_or_b64 exec, exec, s[26:27]
.LBB397_1096:                           ;   in Loop: Header=BB397_603 Depth=1
	s_or_b64 exec, exec, s[24:25]
.LBB397_1097:                           ;   in Loop: Header=BB397_603 Depth=1
	s_or_b64 exec, exec, s[12:13]
	v_mul_f32_e32 v6, v26, v5
	v_and_b32_e32 v5, 0x7f800000, v6
	v_cmp_ne_u32_e64 s[4:5], s15, v5
                                        ; implicit-def: $vgpr5
	s_and_saveexec_b64 s[12:13], s[4:5]
	s_xor_b64 s[4:5], exec, s[12:13]
; %bb.1098:                             ;   in Loop: Header=BB397_603 Depth=1
	v_bfe_u32 v5, v6, 16, 1
	v_add3_u32 v5, v6, v5, s21
                                        ; implicit-def: $vgpr6
; %bb.1099:                             ;   in Loop: Header=BB397_603 Depth=1
	s_andn2_saveexec_b64 s[12:13], s[4:5]
; %bb.1100:                             ;   in Loop: Header=BB397_603 Depth=1
	v_or_b32_e32 v5, 0x10000, v6
	v_cmp_eq_u32_sdwa s[4:5], v6, v11 src0_sel:WORD_0 src1_sel:DWORD
	v_cndmask_b32_e64 v5, v5, v6, s[4:5]
; %bb.1101:                             ;   in Loop: Header=BB397_603 Depth=1
	s_or_b64 exec, exec, s[12:13]
	v_lshrrev_b16_e32 v6, 8, v2
	v_cmp_ne_u16_e64 s[4:5], 0, v6
	v_mov_b32_e32 v10, 0
	s_and_saveexec_b64 s[12:13], s[4:5]
	s_cbranch_execz .LBB397_1107
; %bb.1102:                             ;   in Loop: Header=BB397_603 Depth=1
	v_cmp_ne_u16_e64 s[4:5], s28, v6
	v_bfrev_b32_e32 v10, 1
	s_and_saveexec_b64 s[24:25], s[4:5]
	s_cbranch_execz .LBB397_1106
; %bb.1103:                             ;   in Loop: Header=BB397_603 Depth=1
	v_and_b32_e32 v27, 0x7f, v6
	v_cmp_ne_u32_e64 s[4:5], s29, v27
	v_mov_b32_e32 v10, 0x7f800001
	s_and_saveexec_b64 s[26:27], s[4:5]
	s_cbranch_execz .LBB397_1105
; %bb.1104:                             ;   in Loop: Header=BB397_603 Depth=1
	v_and_b32_e32 v10, 7, v6
	v_ffbh_u32_e32 v25, v10
	v_min_u32_e32 v25, 32, v25
	v_subrev_u32_e32 v29, 28, v25
	v_lshlrev_b64 v[48:49], v29, v[6:7]
	v_lshrrev_b32_e32 v24, 3, v27
	v_sub_u32_e32 v6, 29, v25
	v_and_b32_e32 v25, 7, v48
	v_cmp_gt_u32_e64 s[4:5], 8, v27
	v_cndmask_b32_e64 v6, v24, v6, s[4:5]
	v_cndmask_b32_e64 v10, v10, v25, s[4:5]
	v_lshlrev_b32_e32 v24, 16, v2
	v_bfrev_b32_e32 v4, 60
	v_lshlrev_b32_e32 v10, 20, v10
	v_and_b32_e32 v24, 0x80000000, v24
	v_lshl_add_u32 v6, v6, 23, v4
	v_or3_b32 v10, v24, v6, v10
.LBB397_1105:                           ;   in Loop: Header=BB397_603 Depth=1
	s_or_b64 exec, exec, s[26:27]
.LBB397_1106:                           ;   in Loop: Header=BB397_603 Depth=1
	s_or_b64 exec, exec, s[24:25]
.LBB397_1107:                           ;   in Loop: Header=BB397_603 Depth=1
	s_or_b64 exec, exec, s[12:13]
	v_mul_f32_e32 v6, v26, v10
	v_and_b32_e32 v10, 0x7f800000, v6
	v_cmp_ne_u32_e64 s[4:5], s15, v10
                                        ; implicit-def: $vgpr27
	s_and_saveexec_b64 s[12:13], s[4:5]
	s_xor_b64 s[4:5], exec, s[12:13]
; %bb.1108:                             ;   in Loop: Header=BB397_603 Depth=1
	v_bfe_u32 v10, v6, 16, 1
	v_add3_u32 v27, v6, v10, s21
                                        ; implicit-def: $vgpr6
; %bb.1109:                             ;   in Loop: Header=BB397_603 Depth=1
	s_andn2_saveexec_b64 s[12:13], s[4:5]
; %bb.1110:                             ;   in Loop: Header=BB397_603 Depth=1
	v_or_b32_e32 v10, 0x10000, v6
	v_cmp_eq_u32_sdwa s[4:5], v6, v11 src0_sel:WORD_0 src1_sel:DWORD
	v_cndmask_b32_e64 v27, v10, v6, s[4:5]
; %bb.1111:                             ;   in Loop: Header=BB397_603 Depth=1
	s_or_b64 exec, exec, s[12:13]
	v_lshrrev_b32_e32 v6, 16, v2
	v_cmp_ne_u16_sdwa s[4:5], v6, v11 src0_sel:BYTE_0 src1_sel:DWORD
	v_mov_b32_e32 v10, 0
	s_and_saveexec_b64 s[12:13], s[4:5]
	s_cbranch_execz .LBB397_1117
; %bb.1112:                             ;   in Loop: Header=BB397_603 Depth=1
	v_cmp_ne_u16_sdwa s[4:5], v6, s28 src0_sel:BYTE_0 src1_sel:DWORD
	v_bfrev_b32_e32 v10, 1
	s_and_saveexec_b64 s[24:25], s[4:5]
	s_cbranch_execz .LBB397_1116
; %bb.1113:                             ;   in Loop: Header=BB397_603 Depth=1
	v_bfe_u32 v29, v2, 16, 7
	v_cmp_ne_u32_e64 s[4:5], s29, v29
	v_mov_b32_e32 v10, 0x7f800001
	s_and_saveexec_b64 s[26:27], s[4:5]
	s_cbranch_execz .LBB397_1115
; %bb.1114:                             ;   in Loop: Header=BB397_603 Depth=1
	v_and_b32_e32 v10, 7, v6
	v_ffbh_u32_e32 v25, v10
	v_min_u32_e32 v25, 32, v25
	v_subrev_u32_e32 v31, 28, v25
	v_lshlrev_b64 v[48:49], v31, v[6:7]
	v_lshrrev_b32_e32 v24, 3, v29
	v_sub_u32_e32 v25, 29, v25
	v_and_b32_e32 v31, 7, v48
	v_cmp_gt_u32_e64 s[4:5], 8, v29
	v_cndmask_b32_e64 v24, v24, v25, s[4:5]
	v_cndmask_b32_e64 v10, v10, v31, s[4:5]
	v_lshlrev_b32_e32 v6, 24, v6
	v_bfrev_b32_e32 v4, 60
	v_lshlrev_b32_e32 v10, 20, v10
	v_and_b32_e32 v6, 0x80000000, v6
	v_lshl_add_u32 v24, v24, 23, v4
	v_or3_b32 v10, v6, v24, v10
.LBB397_1115:                           ;   in Loop: Header=BB397_603 Depth=1
	s_or_b64 exec, exec, s[26:27]
.LBB397_1116:                           ;   in Loop: Header=BB397_603 Depth=1
	s_or_b64 exec, exec, s[24:25]
.LBB397_1117:                           ;   in Loop: Header=BB397_603 Depth=1
	s_or_b64 exec, exec, s[12:13]
	v_mul_f32_e32 v6, v26, v10
	v_and_b32_e32 v10, 0x7f800000, v6
	v_cmp_ne_u32_e64 s[4:5], s15, v10
                                        ; implicit-def: $vgpr29
	s_and_saveexec_b64 s[12:13], s[4:5]
	s_xor_b64 s[4:5], exec, s[12:13]
; %bb.1118:                             ;   in Loop: Header=BB397_603 Depth=1
	v_bfe_u32 v10, v6, 16, 1
	v_add3_u32 v29, v6, v10, s21
                                        ; implicit-def: $vgpr6
; %bb.1119:                             ;   in Loop: Header=BB397_603 Depth=1
	s_andn2_saveexec_b64 s[12:13], s[4:5]
; %bb.1120:                             ;   in Loop: Header=BB397_603 Depth=1
	v_or_b32_e32 v10, 0x10000, v6
	v_cmp_eq_u32_sdwa s[4:5], v6, v11 src0_sel:WORD_0 src1_sel:DWORD
	v_cndmask_b32_e64 v29, v10, v6, s[4:5]
; %bb.1121:                             ;   in Loop: Header=BB397_603 Depth=1
	s_or_b64 exec, exec, s[12:13]
	v_cmp_lt_u32_e64 s[4:5], s9, v2
	v_mov_b32_e32 v10, 0
	s_and_saveexec_b64 s[12:13], s[4:5]
	s_cbranch_execz .LBB397_1127
; %bb.1122:                             ;   in Loop: Header=BB397_603 Depth=1
	v_lshrrev_b32_e32 v6, 24, v2
	v_cmp_ne_u32_e64 s[4:5], s28, v6
	v_bfrev_b32_e32 v10, 1
	s_and_saveexec_b64 s[24:25], s[4:5]
	s_cbranch_execz .LBB397_1126
; %bb.1123:                             ;   in Loop: Header=BB397_603 Depth=1
	v_bfe_u32 v31, v2, 24, 7
	v_cmp_ne_u32_e64 s[4:5], s29, v31
	v_mov_b32_e32 v10, 0x7f800001
	s_and_saveexec_b64 s[26:27], s[4:5]
	s_cbranch_execz .LBB397_1125
; %bb.1124:                             ;   in Loop: Header=BB397_603 Depth=1
	v_and_b32_e32 v10, 7, v6
	v_ffbh_u32_e32 v25, v10
	v_min_u32_e32 v25, 32, v25
	v_subrev_u32_e32 v33, 28, v25
	v_lshlrev_b64 v[48:49], v33, v[6:7]
	v_lshrrev_b32_e32 v24, 3, v31
	v_sub_u32_e32 v25, 29, v25
	v_and_b32_e32 v33, 7, v48
	v_cmp_gt_u32_e64 s[4:5], 8, v31
	v_cndmask_b32_e64 v24, v24, v25, s[4:5]
	v_cndmask_b32_e64 v10, v10, v33, s[4:5]
	v_lshlrev_b32_e32 v6, 24, v6
	v_bfrev_b32_e32 v4, 60
	v_lshlrev_b32_e32 v10, 20, v10
	v_and_b32_e32 v6, 0x80000000, v6
	v_lshl_add_u32 v24, v24, 23, v4
	v_or3_b32 v10, v6, v24, v10
.LBB397_1125:                           ;   in Loop: Header=BB397_603 Depth=1
	s_or_b64 exec, exec, s[26:27]
.LBB397_1126:                           ;   in Loop: Header=BB397_603 Depth=1
	s_or_b64 exec, exec, s[24:25]
.LBB397_1127:                           ;   in Loop: Header=BB397_603 Depth=1
	s_or_b64 exec, exec, s[12:13]
	v_mul_f32_e32 v6, v26, v10
	v_and_b32_e32 v10, 0x7f800000, v6
	v_cmp_ne_u32_e64 s[4:5], s15, v10
                                        ; implicit-def: $vgpr31
	s_and_saveexec_b64 s[12:13], s[4:5]
	s_xor_b64 s[4:5], exec, s[12:13]
; %bb.1128:                             ;   in Loop: Header=BB397_603 Depth=1
	v_bfe_u32 v10, v6, 16, 1
	v_add3_u32 v31, v6, v10, s21
                                        ; implicit-def: $vgpr6
; %bb.1129:                             ;   in Loop: Header=BB397_603 Depth=1
	s_andn2_saveexec_b64 s[12:13], s[4:5]
; %bb.1130:                             ;   in Loop: Header=BB397_603 Depth=1
	v_or_b32_e32 v10, 0x10000, v6
	v_cmp_eq_u32_sdwa s[4:5], v6, v11 src0_sel:WORD_0 src1_sel:DWORD
	v_cndmask_b32_e64 v31, v10, v6, s[4:5]
; %bb.1131:                             ;   in Loop: Header=BB397_603 Depth=1
	s_or_b64 exec, exec, s[12:13]
	v_mov_b32_e32 v10, v3
	v_cmp_ne_u16_sdwa s[4:5], v3, v11 src0_sel:BYTE_0 src1_sel:DWORD
	v_mov_b32_e32 v6, 0
	s_and_saveexec_b64 s[12:13], s[4:5]
	s_cbranch_execz .LBB397_1137
; %bb.1132:                             ;   in Loop: Header=BB397_603 Depth=1
	v_cmp_ne_u16_sdwa s[4:5], v3, s28 src0_sel:BYTE_0 src1_sel:DWORD
	v_bfrev_b32_e32 v6, 1
	s_and_saveexec_b64 s[24:25], s[4:5]
	s_cbranch_execz .LBB397_1136
; %bb.1133:                             ;   in Loop: Header=BB397_603 Depth=1
	v_and_b32_e32 v33, 0x7f, v3
	v_cmp_ne_u32_e64 s[4:5], s29, v33
	v_mov_b32_e32 v6, 0x7f800001
	s_and_saveexec_b64 s[26:27], s[4:5]
	s_cbranch_execz .LBB397_1135
; %bb.1134:                             ;   in Loop: Header=BB397_603 Depth=1
	v_and_b32_e32 v6, 7, v3
	v_ffbh_u32_e32 v6, v6
	v_min_u32_e32 v6, 32, v6
	v_lshrrev_b32_e32 v24, 3, v33
	v_subrev_u32_e32 v25, 28, v6
	v_sub_u32_e32 v6, 29, v6
	v_cmp_gt_u32_e64 s[4:5], 8, v33
	v_cndmask_b32_e64 v6, v24, v6, s[4:5]
	v_cndmask_b32_e64 v24, 0, v25, s[4:5]
	v_lshlrev_b64 v[48:49], v24, v[10:11]
	v_lshlrev_b32_e32 v24, 20, v48
	v_lshlrev_b32_e32 v25, 24, v10
	v_bfrev_b32_e32 v4, 60
	v_and_b32_e32 v24, 0x700000, v24
	v_and_b32_e32 v25, 0x80000000, v25
	v_lshl_add_u32 v6, v6, 23, v4
	v_or3_b32 v6, v25, v6, v24
.LBB397_1135:                           ;   in Loop: Header=BB397_603 Depth=1
	s_or_b64 exec, exec, s[26:27]
.LBB397_1136:                           ;   in Loop: Header=BB397_603 Depth=1
	s_or_b64 exec, exec, s[24:25]
.LBB397_1137:                           ;   in Loop: Header=BB397_603 Depth=1
	s_or_b64 exec, exec, s[12:13]
	v_mul_f32_e32 v6, v26, v6
	v_and_b32_e32 v24, 0x7f800000, v6
	v_cmp_ne_u32_e64 s[4:5], s15, v24
                                        ; implicit-def: $vgpr48
	s_and_saveexec_b64 s[12:13], s[4:5]
	s_xor_b64 s[4:5], exec, s[12:13]
; %bb.1138:                             ;   in Loop: Header=BB397_603 Depth=1
	v_bfe_u32 v24, v6, 16, 1
	v_add3_u32 v48, v6, v24, s21
                                        ; implicit-def: $vgpr6
; %bb.1139:                             ;   in Loop: Header=BB397_603 Depth=1
	s_andn2_saveexec_b64 s[12:13], s[4:5]
; %bb.1140:                             ;   in Loop: Header=BB397_603 Depth=1
	v_or_b32_e32 v24, 0x10000, v6
	v_cmp_eq_u32_sdwa s[4:5], v6, v11 src0_sel:WORD_0 src1_sel:DWORD
	v_cndmask_b32_e64 v48, v24, v6, s[4:5]
; %bb.1141:                             ;   in Loop: Header=BB397_603 Depth=1
	s_or_b64 exec, exec, s[12:13]
	v_lshrrev_b16_e32 v6, 8, v10
	v_cmp_ne_u16_e64 s[4:5], 0, v6
	v_mov_b32_e32 v33, 0
	s_and_saveexec_b64 s[12:13], s[4:5]
	s_cbranch_execz .LBB397_1147
; %bb.1142:                             ;   in Loop: Header=BB397_603 Depth=1
	v_cmp_ne_u16_e64 s[4:5], s28, v6
	v_bfrev_b32_e32 v33, 1
	s_and_saveexec_b64 s[24:25], s[4:5]
	s_cbranch_execz .LBB397_1146
; %bb.1143:                             ;   in Loop: Header=BB397_603 Depth=1
	v_and_b32_e32 v36, 0x7f, v6
	v_cmp_ne_u32_e64 s[4:5], s29, v36
	v_mov_b32_e32 v33, 0x7f800001
	s_and_saveexec_b64 s[26:27], s[4:5]
	s_cbranch_execz .LBB397_1145
; %bb.1144:                             ;   in Loop: Header=BB397_603 Depth=1
	v_and_b32_e32 v24, 7, v6
	v_ffbh_u32_e32 v33, v24
	v_min_u32_e32 v33, 32, v33
	v_subrev_u32_e32 v49, 28, v33
	v_lshlrev_b64 v[50:51], v49, v[6:7]
	v_lshrrev_b32_e32 v25, 3, v36
	v_sub_u32_e32 v6, 29, v33
	v_and_b32_e32 v33, 7, v50
	v_cmp_gt_u32_e64 s[4:5], 8, v36
	v_cndmask_b32_e64 v6, v25, v6, s[4:5]
	v_cndmask_b32_e64 v24, v24, v33, s[4:5]
	v_lshlrev_b32_e32 v10, 16, v10
	v_bfrev_b32_e32 v4, 60
	v_lshlrev_b32_e32 v24, 20, v24
	v_and_b32_e32 v10, 0x80000000, v10
	v_lshl_add_u32 v6, v6, 23, v4
	v_or3_b32 v33, v10, v6, v24
.LBB397_1145:                           ;   in Loop: Header=BB397_603 Depth=1
	s_or_b64 exec, exec, s[26:27]
.LBB397_1146:                           ;   in Loop: Header=BB397_603 Depth=1
	s_or_b64 exec, exec, s[24:25]
.LBB397_1147:                           ;   in Loop: Header=BB397_603 Depth=1
	s_or_b64 exec, exec, s[12:13]
	v_mul_f32_e32 v6, v26, v33
	v_and_b32_e32 v10, 0x7f800000, v6
	v_cmp_ne_u32_e64 s[4:5], s15, v10
                                        ; implicit-def: $vgpr10
	s_and_saveexec_b64 s[12:13], s[4:5]
	s_xor_b64 s[4:5], exec, s[12:13]
; %bb.1148:                             ;   in Loop: Header=BB397_603 Depth=1
	v_bfe_u32 v10, v6, 16, 1
	v_add3_u32 v10, v6, v10, s21
                                        ; implicit-def: $vgpr6
; %bb.1149:                             ;   in Loop: Header=BB397_603 Depth=1
	s_andn2_saveexec_b64 s[12:13], s[4:5]
; %bb.1150:                             ;   in Loop: Header=BB397_603 Depth=1
	v_or_b32_e32 v10, 0x10000, v6
	v_cmp_eq_u32_sdwa s[4:5], v6, v11 src0_sel:WORD_0 src1_sel:DWORD
	v_cndmask_b32_e64 v10, v10, v6, s[4:5]
; %bb.1151:                             ;   in Loop: Header=BB397_603 Depth=1
	s_or_b64 exec, exec, s[12:13]
	v_lshrrev_b32_e32 v6, 16, v3
	v_cmp_ne_u16_sdwa s[4:5], v6, v11 src0_sel:BYTE_0 src1_sel:DWORD
	v_mov_b32_e32 v33, 0
	s_and_saveexec_b64 s[12:13], s[4:5]
	s_cbranch_execz .LBB397_1157
; %bb.1152:                             ;   in Loop: Header=BB397_603 Depth=1
	v_cmp_ne_u16_sdwa s[4:5], v6, s28 src0_sel:BYTE_0 src1_sel:DWORD
	v_bfrev_b32_e32 v33, 1
	s_and_saveexec_b64 s[24:25], s[4:5]
	s_cbranch_execz .LBB397_1156
; %bb.1153:                             ;   in Loop: Header=BB397_603 Depth=1
	v_bfe_u32 v36, v3, 16, 7
	v_cmp_ne_u32_e64 s[4:5], s29, v36
	v_mov_b32_e32 v33, 0x7f800001
	s_and_saveexec_b64 s[26:27], s[4:5]
	s_cbranch_execz .LBB397_1155
; %bb.1154:                             ;   in Loop: Header=BB397_603 Depth=1
	v_and_b32_e32 v24, 7, v6
	v_ffbh_u32_e32 v33, v24
	v_min_u32_e32 v33, 32, v33
	v_subrev_u32_e32 v49, 28, v33
	v_lshlrev_b64 v[50:51], v49, v[6:7]
	v_lshrrev_b32_e32 v25, 3, v36
	v_sub_u32_e32 v33, 29, v33
	v_and_b32_e32 v49, 7, v50
	v_cmp_gt_u32_e64 s[4:5], 8, v36
	v_cndmask_b32_e64 v25, v25, v33, s[4:5]
	v_cndmask_b32_e64 v24, v24, v49, s[4:5]
	v_lshlrev_b32_e32 v6, 24, v6
	v_bfrev_b32_e32 v4, 60
	v_lshlrev_b32_e32 v24, 20, v24
	v_and_b32_e32 v6, 0x80000000, v6
	v_lshl_add_u32 v25, v25, 23, v4
	v_or3_b32 v33, v6, v25, v24
.LBB397_1155:                           ;   in Loop: Header=BB397_603 Depth=1
	s_or_b64 exec, exec, s[26:27]
.LBB397_1156:                           ;   in Loop: Header=BB397_603 Depth=1
	s_or_b64 exec, exec, s[24:25]
.LBB397_1157:                           ;   in Loop: Header=BB397_603 Depth=1
	s_or_b64 exec, exec, s[12:13]
	v_mul_f32_e32 v6, v26, v33
	v_and_b32_e32 v24, 0x7f800000, v6
	v_cmp_ne_u32_e64 s[4:5], s15, v24
                                        ; implicit-def: $vgpr33
	s_and_saveexec_b64 s[12:13], s[4:5]
	s_xor_b64 s[4:5], exec, s[12:13]
; %bb.1158:                             ;   in Loop: Header=BB397_603 Depth=1
	v_bfe_u32 v24, v6, 16, 1
	v_add3_u32 v33, v6, v24, s21
                                        ; implicit-def: $vgpr6
; %bb.1159:                             ;   in Loop: Header=BB397_603 Depth=1
	s_andn2_saveexec_b64 s[12:13], s[4:5]
; %bb.1160:                             ;   in Loop: Header=BB397_603 Depth=1
	v_or_b32_e32 v24, 0x10000, v6
	v_cmp_eq_u32_sdwa s[4:5], v6, v11 src0_sel:WORD_0 src1_sel:DWORD
	v_cndmask_b32_e64 v33, v24, v6, s[4:5]
; %bb.1161:                             ;   in Loop: Header=BB397_603 Depth=1
	s_or_b64 exec, exec, s[12:13]
	v_cmp_lt_u64_e64 s[4:5], s[8:9], v[2:3]
	v_mov_b32_e32 v6, 0
	s_and_saveexec_b64 s[12:13], s[4:5]
	s_cbranch_execz .LBB397_1167
; %bb.1162:                             ;   in Loop: Header=BB397_603 Depth=1
	v_lshrrev_b32_e32 v2, 24, v3
	v_cmp_ne_u32_e64 s[4:5], s28, v2
	v_bfrev_b32_e32 v6, 1
	s_and_saveexec_b64 s[24:25], s[4:5]
	s_cbranch_execz .LBB397_1166
; %bb.1163:                             ;   in Loop: Header=BB397_603 Depth=1
	v_bfe_u32 v3, v3, 24, 7
	v_cmp_ne_u32_e64 s[4:5], s29, v3
	v_mov_b32_e32 v6, 0x7f800001
	s_and_saveexec_b64 s[26:27], s[4:5]
	s_cbranch_execz .LBB397_1165
; %bb.1164:                             ;   in Loop: Header=BB397_603 Depth=1
	v_and_b32_e32 v6, 7, v2
	v_ffbh_u32_e32 v25, v6
	v_min_u32_e32 v25, 32, v25
	v_subrev_u32_e32 v36, 28, v25
	v_lshlrev_b64 v[50:51], v36, v[2:3]
	v_lshrrev_b32_e32 v24, 3, v3
	v_sub_u32_e32 v25, 29, v25
	v_and_b32_e32 v36, 7, v50
	v_cmp_gt_u32_e64 s[4:5], 8, v3
	v_cndmask_b32_e64 v3, v24, v25, s[4:5]
	v_cndmask_b32_e64 v6, v6, v36, s[4:5]
	v_lshlrev_b32_e32 v2, 24, v2
	v_bfrev_b32_e32 v4, 60
	v_lshlrev_b32_e32 v6, 20, v6
	v_and_b32_e32 v2, 0x80000000, v2
	v_lshl_add_u32 v3, v3, 23, v4
	v_or3_b32 v6, v2, v3, v6
.LBB397_1165:                           ;   in Loop: Header=BB397_603 Depth=1
	s_or_b64 exec, exec, s[26:27]
.LBB397_1166:                           ;   in Loop: Header=BB397_603 Depth=1
	s_or_b64 exec, exec, s[24:25]
.LBB397_1167:                           ;   in Loop: Header=BB397_603 Depth=1
	s_or_b64 exec, exec, s[12:13]
	v_mul_f32_e32 v3, v26, v6
	v_and_b32_e32 v2, 0x7f800000, v3
	v_cmp_ne_u32_e64 s[4:5], s15, v2
                                        ; implicit-def: $vgpr2
	s_and_saveexec_b64 s[12:13], s[4:5]
	s_xor_b64 s[4:5], exec, s[12:13]
; %bb.1168:                             ;   in Loop: Header=BB397_603 Depth=1
	v_bfe_u32 v2, v3, 16, 1
	v_add3_u32 v2, v3, v2, s21
                                        ; implicit-def: $vgpr3
; %bb.1169:                             ;   in Loop: Header=BB397_603 Depth=1
	s_andn2_saveexec_b64 s[12:13], s[4:5]
; %bb.1170:                             ;   in Loop: Header=BB397_603 Depth=1
	v_or_b32_e32 v2, 0x10000, v3
	v_cmp_eq_u32_sdwa s[4:5], v3, v11 src0_sel:WORD_0 src1_sel:DWORD
	v_cndmask_b32_e64 v2, v2, v3, s[4:5]
; %bb.1171:                             ;   in Loop: Header=BB397_603 Depth=1
	s_or_b64 exec, exec, s[12:13]
	v_lshrrev_b32_e32 v6, 16, v10
	v_lshrrev_b32_e32 v10, 16, v48
	;; [unrolled: 1-line block ×8, first 2 shown]
	s_and_saveexec_b64 s[12:13], vcc
	s_cbranch_execz .LBB397_1173
; %bb.1172:                             ;   in Loop: Header=BB397_603 Depth=1
	v_accvgpr_read_b32 v4, a20
	v_cmp_lt_i32_e64 s[4:5], v4, v32
	v_accvgpr_read_b32 v4, a26
	v_cndmask_b32_e64 v5, 0, v5, s[4:5]
	v_cmp_lt_i32_e64 s[4:5], v4, v32
	v_accvgpr_read_b32 v4, a25
	v_cndmask_b32_e64 v27, 0, v27, s[4:5]
	;; [unrolled: 3-line block ×6, first 2 shown]
	v_cmp_lt_i32_e64 s[4:5], v4, v32
	v_cndmask_b32_e64 v3, 0, v3, s[4:5]
	v_cmp_lt_i32_e64 s[4:5], v17, v32
	v_cndmask_b32_e64 v2, 0, v2, s[4:5]
.LBB397_1173:                           ;   in Loop: Header=BB397_603 Depth=1
	s_or_b64 exec, exec, s[12:13]
	v_lshlrev_b32_e32 v5, 16, v5
	v_mul_f32_e32 v5, v41, v5
	v_and_b32_e32 v24, 0x7f800000, v5
	v_cmp_ne_u32_e64 s[4:5], s15, v24
                                        ; implicit-def: $vgpr48
	s_and_saveexec_b64 s[12:13], s[4:5]
	s_xor_b64 s[4:5], exec, s[12:13]
; %bb.1174:                             ;   in Loop: Header=BB397_603 Depth=1
	v_bfe_u32 v24, v5, 16, 1
	v_add3_u32 v48, v5, v24, s21
                                        ; implicit-def: $vgpr5
; %bb.1175:                             ;   in Loop: Header=BB397_603 Depth=1
	s_andn2_saveexec_b64 s[12:13], s[4:5]
; %bb.1176:                             ;   in Loop: Header=BB397_603 Depth=1
	v_or_b32_e32 v24, 0x10000, v5
	v_cmp_eq_u32_sdwa s[4:5], v5, v11 src0_sel:WORD_0 src1_sel:DWORD
	v_cndmask_b32_e64 v48, v24, v5, s[4:5]
; %bb.1177:                             ;   in Loop: Header=BB397_603 Depth=1
	s_or_b64 exec, exec, s[12:13]
	v_lshlrev_b32_e32 v5, 16, v27
	v_mul_f32_e32 v5, v42, v5
	v_and_b32_e32 v24, 0x7f800000, v5
	v_cmp_ne_u32_e64 s[4:5], s15, v24
                                        ; implicit-def: $vgpr49
	s_and_saveexec_b64 s[12:13], s[4:5]
	s_xor_b64 s[4:5], exec, s[12:13]
; %bb.1178:                             ;   in Loop: Header=BB397_603 Depth=1
	v_bfe_u32 v24, v5, 16, 1
	v_add3_u32 v49, v5, v24, s21
                                        ; implicit-def: $vgpr5
; %bb.1179:                             ;   in Loop: Header=BB397_603 Depth=1
	s_andn2_saveexec_b64 s[12:13], s[4:5]
; %bb.1180:                             ;   in Loop: Header=BB397_603 Depth=1
	v_or_b32_e32 v24, 0x10000, v5
	v_cmp_eq_u32_sdwa s[4:5], v5, v11 src0_sel:WORD_0 src1_sel:DWORD
	v_cndmask_b32_e64 v49, v24, v5, s[4:5]
; %bb.1181:                             ;   in Loop: Header=BB397_603 Depth=1
	s_or_b64 exec, exec, s[12:13]
	v_lshlrev_b32_e32 v5, 16, v29
	v_mul_f32_e32 v5, v43, v5
	v_and_b32_e32 v24, 0x7f800000, v5
	v_cmp_ne_u32_e64 s[4:5], s15, v24
                                        ; implicit-def: $vgpr50
	s_and_saveexec_b64 s[12:13], s[4:5]
	s_xor_b64 s[4:5], exec, s[12:13]
; %bb.1182:                             ;   in Loop: Header=BB397_603 Depth=1
	v_bfe_u32 v24, v5, 16, 1
	v_add3_u32 v50, v5, v24, s21
                                        ; implicit-def: $vgpr5
; %bb.1183:                             ;   in Loop: Header=BB397_603 Depth=1
	s_andn2_saveexec_b64 s[12:13], s[4:5]
; %bb.1184:                             ;   in Loop: Header=BB397_603 Depth=1
	v_or_b32_e32 v24, 0x10000, v5
	v_cmp_eq_u32_sdwa s[4:5], v5, v11 src0_sel:WORD_0 src1_sel:DWORD
	v_cndmask_b32_e64 v50, v24, v5, s[4:5]
; %bb.1185:                             ;   in Loop: Header=BB397_603 Depth=1
	s_or_b64 exec, exec, s[12:13]
	v_lshlrev_b32_e32 v5, 16, v31
	v_mul_f32_e32 v5, v44, v5
	v_and_b32_e32 v24, 0x7f800000, v5
	v_cmp_ne_u32_e64 s[4:5], s15, v24
                                        ; implicit-def: $vgpr51
	s_and_saveexec_b64 s[12:13], s[4:5]
	s_xor_b64 s[4:5], exec, s[12:13]
; %bb.1186:                             ;   in Loop: Header=BB397_603 Depth=1
	v_bfe_u32 v24, v5, 16, 1
	v_add3_u32 v51, v5, v24, s21
                                        ; implicit-def: $vgpr5
; %bb.1187:                             ;   in Loop: Header=BB397_603 Depth=1
	s_andn2_saveexec_b64 s[12:13], s[4:5]
; %bb.1188:                             ;   in Loop: Header=BB397_603 Depth=1
	v_or_b32_e32 v24, 0x10000, v5
	v_cmp_eq_u32_sdwa s[4:5], v5, v11 src0_sel:WORD_0 src1_sel:DWORD
	v_cndmask_b32_e64 v51, v24, v5, s[4:5]
; %bb.1189:                             ;   in Loop: Header=BB397_603 Depth=1
	s_or_b64 exec, exec, s[12:13]
	v_lshlrev_b32_e32 v5, 16, v10
	v_mul_f32_e32 v5, v45, v5
	v_and_b32_e32 v10, 0x7f800000, v5
	v_cmp_ne_u32_e64 s[4:5], s15, v10
                                        ; implicit-def: $vgpr52
	s_and_saveexec_b64 s[12:13], s[4:5]
	s_xor_b64 s[4:5], exec, s[12:13]
; %bb.1190:                             ;   in Loop: Header=BB397_603 Depth=1
	v_bfe_u32 v10, v5, 16, 1
	v_add3_u32 v52, v5, v10, s21
                                        ; implicit-def: $vgpr5
; %bb.1191:                             ;   in Loop: Header=BB397_603 Depth=1
	s_andn2_saveexec_b64 s[12:13], s[4:5]
; %bb.1192:                             ;   in Loop: Header=BB397_603 Depth=1
	v_or_b32_e32 v10, 0x10000, v5
	v_cmp_eq_u32_sdwa s[4:5], v5, v11 src0_sel:WORD_0 src1_sel:DWORD
	v_cndmask_b32_e64 v52, v10, v5, s[4:5]
; %bb.1193:                             ;   in Loop: Header=BB397_603 Depth=1
	s_or_b64 exec, exec, s[12:13]
	v_lshlrev_b32_e32 v5, 16, v6
	v_mul_f32_e32 v5, v46, v5
	v_and_b32_e32 v6, 0x7f800000, v5
	v_cmp_ne_u32_e64 s[4:5], s15, v6
                                        ; implicit-def: $vgpr53
	s_and_saveexec_b64 s[12:13], s[4:5]
	s_xor_b64 s[4:5], exec, s[12:13]
; %bb.1194:                             ;   in Loop: Header=BB397_603 Depth=1
	v_bfe_u32 v6, v5, 16, 1
	v_add3_u32 v53, v5, v6, s21
                                        ; implicit-def: $vgpr5
; %bb.1195:                             ;   in Loop: Header=BB397_603 Depth=1
	s_andn2_saveexec_b64 s[12:13], s[4:5]
; %bb.1196:                             ;   in Loop: Header=BB397_603 Depth=1
	v_or_b32_e32 v6, 0x10000, v5
	v_cmp_eq_u32_sdwa s[4:5], v5, v11 src0_sel:WORD_0 src1_sel:DWORD
	v_cndmask_b32_e64 v53, v6, v5, s[4:5]
; %bb.1197:                             ;   in Loop: Header=BB397_603 Depth=1
	s_or_b64 exec, exec, s[12:13]
	v_lshlrev_b32_e32 v3, 16, v3
	v_mul_f32_e32 v3, v47, v3
	v_and_b32_e32 v5, 0x7f800000, v3
	v_cmp_ne_u32_e64 s[4:5], s15, v5
                                        ; implicit-def: $vgpr54
	s_and_saveexec_b64 s[12:13], s[4:5]
	s_xor_b64 s[4:5], exec, s[12:13]
; %bb.1198:                             ;   in Loop: Header=BB397_603 Depth=1
	v_bfe_u32 v5, v3, 16, 1
	v_add3_u32 v54, v3, v5, s21
                                        ; implicit-def: $vgpr3
; %bb.1199:                             ;   in Loop: Header=BB397_603 Depth=1
	s_andn2_saveexec_b64 s[12:13], s[4:5]
; %bb.1200:                             ;   in Loop: Header=BB397_603 Depth=1
	v_or_b32_e32 v5, 0x10000, v3
	v_cmp_eq_u32_sdwa s[4:5], v3, v11 src0_sel:WORD_0 src1_sel:DWORD
	v_cndmask_b32_e64 v54, v5, v3, s[4:5]
; %bb.1201:                             ;   in Loop: Header=BB397_603 Depth=1
	s_or_b64 exec, exec, s[12:13]
	v_lshlrev_b32_e32 v2, 16, v2
	v_mul_f32_e32 v2, v56, v2
	v_and_b32_e32 v3, 0x7f800000, v2
	v_cmp_ne_u32_e64 s[4:5], s15, v3
                                        ; implicit-def: $vgpr55
	s_and_saveexec_b64 s[12:13], s[4:5]
	s_xor_b64 s[4:5], exec, s[12:13]
; %bb.1202:                             ;   in Loop: Header=BB397_603 Depth=1
	v_bfe_u32 v3, v2, 16, 1
	v_add3_u32 v55, v2, v3, s21
                                        ; implicit-def: $vgpr2
; %bb.1203:                             ;   in Loop: Header=BB397_603 Depth=1
	s_andn2_saveexec_b64 s[12:13], s[4:5]
; %bb.1204:                             ;   in Loop: Header=BB397_603 Depth=1
	v_or_b32_e32 v3, 0x10000, v2
	v_cmp_eq_u32_sdwa s[4:5], v2, v11 src0_sel:WORD_0 src1_sel:DWORD
	v_cndmask_b32_e64 v55, v3, v2, s[4:5]
; %bb.1205:                             ;   in Loop: Header=BB397_603 Depth=1
	s_or_b64 exec, exec, s[12:13]
	flat_load_dwordx2 v[2:3], v[0:1] offset:2560
	v_mov_b32_e32 v5, 0
	s_waitcnt vmcnt(0) lgkmcnt(0)
	v_cmp_ne_u16_sdwa s[4:5], v2, v11 src0_sel:BYTE_0 src1_sel:DWORD
	s_and_saveexec_b64 s[12:13], s[4:5]
	s_cbranch_execz .LBB397_1211
; %bb.1206:                             ;   in Loop: Header=BB397_603 Depth=1
	v_cmp_ne_u16_sdwa s[4:5], v2, s28 src0_sel:BYTE_0 src1_sel:DWORD
	v_bfrev_b32_e32 v5, 1
	s_and_saveexec_b64 s[24:25], s[4:5]
	s_cbranch_execz .LBB397_1210
; %bb.1207:                             ;   in Loop: Header=BB397_603 Depth=1
	v_and_b32_e32 v6, 0x7f, v2
	v_cmp_ne_u32_e64 s[4:5], s29, v6
	v_mov_b32_e32 v5, 0x7f800001
	s_and_saveexec_b64 s[26:27], s[4:5]
	s_cbranch_execz .LBB397_1209
; %bb.1208:                             ;   in Loop: Header=BB397_603 Depth=1
	v_and_b32_e32 v5, 7, v2
	v_ffbh_u32_e32 v5, v5
	v_min_u32_e32 v5, 32, v5
	v_subrev_u32_e32 v24, 28, v5
	v_cmp_gt_u32_e64 s[4:5], 8, v6
	v_lshrrev_b32_e32 v10, 3, v6
	v_cndmask_b32_e64 v6, 0, v24, s[4:5]
	v_sub_u32_e32 v5, 29, v5
	v_lshlrev_b64 v[58:59], v6, v[2:3]
	v_cndmask_b32_e64 v5, v10, v5, s[4:5]
	v_lshlrev_b32_e32 v6, 20, v58
	v_lshlrev_b32_e32 v10, 24, v2
	v_bfrev_b32_e32 v4, 60
	v_and_b32_e32 v6, 0x700000, v6
	v_and_b32_e32 v10, 0x80000000, v10
	v_lshl_add_u32 v5, v5, 23, v4
	v_or3_b32 v5, v10, v5, v6
.LBB397_1209:                           ;   in Loop: Header=BB397_603 Depth=1
	s_or_b64 exec, exec, s[26:27]
.LBB397_1210:                           ;   in Loop: Header=BB397_603 Depth=1
	s_or_b64 exec, exec, s[24:25]
.LBB397_1211:                           ;   in Loop: Header=BB397_603 Depth=1
	s_or_b64 exec, exec, s[12:13]
	v_mul_f32_e32 v6, v26, v5
	v_and_b32_e32 v5, 0x7f800000, v6
	v_cmp_ne_u32_e64 s[4:5], s15, v5
                                        ; implicit-def: $vgpr5
	s_and_saveexec_b64 s[12:13], s[4:5]
	s_xor_b64 s[4:5], exec, s[12:13]
; %bb.1212:                             ;   in Loop: Header=BB397_603 Depth=1
	v_bfe_u32 v5, v6, 16, 1
	v_add3_u32 v5, v6, v5, s21
                                        ; implicit-def: $vgpr6
; %bb.1213:                             ;   in Loop: Header=BB397_603 Depth=1
	s_andn2_saveexec_b64 s[12:13], s[4:5]
; %bb.1214:                             ;   in Loop: Header=BB397_603 Depth=1
	v_or_b32_e32 v5, 0x10000, v6
	v_cmp_eq_u32_sdwa s[4:5], v6, v11 src0_sel:WORD_0 src1_sel:DWORD
	v_cndmask_b32_e64 v5, v5, v6, s[4:5]
; %bb.1215:                             ;   in Loop: Header=BB397_603 Depth=1
	s_or_b64 exec, exec, s[12:13]
	v_lshrrev_b16_e32 v6, 8, v2
	v_cmp_ne_u16_e64 s[4:5], 0, v6
	v_mov_b32_e32 v10, 0
	s_and_saveexec_b64 s[12:13], s[4:5]
	s_cbranch_execz .LBB397_1221
; %bb.1216:                             ;   in Loop: Header=BB397_603 Depth=1
	v_cmp_ne_u16_e64 s[4:5], s28, v6
	v_bfrev_b32_e32 v10, 1
	s_and_saveexec_b64 s[24:25], s[4:5]
	s_cbranch_execz .LBB397_1220
; %bb.1217:                             ;   in Loop: Header=BB397_603 Depth=1
	v_and_b32_e32 v27, 0x7f, v6
	v_cmp_ne_u32_e64 s[4:5], s29, v27
	v_mov_b32_e32 v10, 0x7f800001
	s_and_saveexec_b64 s[26:27], s[4:5]
	s_cbranch_execz .LBB397_1219
; %bb.1218:                             ;   in Loop: Header=BB397_603 Depth=1
	v_and_b32_e32 v10, 7, v6
	v_ffbh_u32_e32 v25, v10
	v_min_u32_e32 v25, 32, v25
	v_subrev_u32_e32 v29, 28, v25
	v_lshlrev_b64 v[58:59], v29, v[6:7]
	v_lshrrev_b32_e32 v24, 3, v27
	v_sub_u32_e32 v6, 29, v25
	v_and_b32_e32 v25, 7, v58
	v_cmp_gt_u32_e64 s[4:5], 8, v27
	v_cndmask_b32_e64 v6, v24, v6, s[4:5]
	v_cndmask_b32_e64 v10, v10, v25, s[4:5]
	v_lshlrev_b32_e32 v24, 16, v2
	v_bfrev_b32_e32 v4, 60
	v_lshlrev_b32_e32 v10, 20, v10
	v_and_b32_e32 v24, 0x80000000, v24
	v_lshl_add_u32 v6, v6, 23, v4
	v_or3_b32 v10, v24, v6, v10
.LBB397_1219:                           ;   in Loop: Header=BB397_603 Depth=1
	s_or_b64 exec, exec, s[26:27]
.LBB397_1220:                           ;   in Loop: Header=BB397_603 Depth=1
	s_or_b64 exec, exec, s[24:25]
.LBB397_1221:                           ;   in Loop: Header=BB397_603 Depth=1
	s_or_b64 exec, exec, s[12:13]
	v_mul_f32_e32 v6, v26, v10
	v_and_b32_e32 v10, 0x7f800000, v6
	v_cmp_ne_u32_e64 s[4:5], s15, v10
                                        ; implicit-def: $vgpr27
	s_and_saveexec_b64 s[12:13], s[4:5]
	s_xor_b64 s[4:5], exec, s[12:13]
; %bb.1222:                             ;   in Loop: Header=BB397_603 Depth=1
	v_bfe_u32 v10, v6, 16, 1
	v_add3_u32 v27, v6, v10, s21
                                        ; implicit-def: $vgpr6
; %bb.1223:                             ;   in Loop: Header=BB397_603 Depth=1
	s_andn2_saveexec_b64 s[12:13], s[4:5]
; %bb.1224:                             ;   in Loop: Header=BB397_603 Depth=1
	v_or_b32_e32 v10, 0x10000, v6
	v_cmp_eq_u32_sdwa s[4:5], v6, v11 src0_sel:WORD_0 src1_sel:DWORD
	v_cndmask_b32_e64 v27, v10, v6, s[4:5]
; %bb.1225:                             ;   in Loop: Header=BB397_603 Depth=1
	s_or_b64 exec, exec, s[12:13]
	v_lshrrev_b32_e32 v6, 16, v2
	v_cmp_ne_u16_sdwa s[4:5], v6, v11 src0_sel:BYTE_0 src1_sel:DWORD
	v_mov_b32_e32 v10, 0
	s_and_saveexec_b64 s[12:13], s[4:5]
	s_cbranch_execz .LBB397_1231
; %bb.1226:                             ;   in Loop: Header=BB397_603 Depth=1
	v_cmp_ne_u16_sdwa s[4:5], v6, s28 src0_sel:BYTE_0 src1_sel:DWORD
	v_bfrev_b32_e32 v10, 1
	s_and_saveexec_b64 s[24:25], s[4:5]
	s_cbranch_execz .LBB397_1230
; %bb.1227:                             ;   in Loop: Header=BB397_603 Depth=1
	v_bfe_u32 v29, v2, 16, 7
	v_cmp_ne_u32_e64 s[4:5], s29, v29
	v_mov_b32_e32 v10, 0x7f800001
	s_and_saveexec_b64 s[26:27], s[4:5]
	s_cbranch_execz .LBB397_1229
; %bb.1228:                             ;   in Loop: Header=BB397_603 Depth=1
	v_and_b32_e32 v10, 7, v6
	v_ffbh_u32_e32 v25, v10
	v_min_u32_e32 v25, 32, v25
	v_subrev_u32_e32 v31, 28, v25
	v_lshlrev_b64 v[58:59], v31, v[6:7]
	v_lshrrev_b32_e32 v24, 3, v29
	v_sub_u32_e32 v25, 29, v25
	v_and_b32_e32 v31, 7, v58
	v_cmp_gt_u32_e64 s[4:5], 8, v29
	v_cndmask_b32_e64 v24, v24, v25, s[4:5]
	v_cndmask_b32_e64 v10, v10, v31, s[4:5]
	v_lshlrev_b32_e32 v6, 24, v6
	v_bfrev_b32_e32 v4, 60
	v_lshlrev_b32_e32 v10, 20, v10
	v_and_b32_e32 v6, 0x80000000, v6
	v_lshl_add_u32 v24, v24, 23, v4
	v_or3_b32 v10, v6, v24, v10
.LBB397_1229:                           ;   in Loop: Header=BB397_603 Depth=1
	s_or_b64 exec, exec, s[26:27]
.LBB397_1230:                           ;   in Loop: Header=BB397_603 Depth=1
	s_or_b64 exec, exec, s[24:25]
.LBB397_1231:                           ;   in Loop: Header=BB397_603 Depth=1
	s_or_b64 exec, exec, s[12:13]
	v_mul_f32_e32 v6, v26, v10
	v_and_b32_e32 v10, 0x7f800000, v6
	v_cmp_ne_u32_e64 s[4:5], s15, v10
                                        ; implicit-def: $vgpr29
	s_and_saveexec_b64 s[12:13], s[4:5]
	s_xor_b64 s[4:5], exec, s[12:13]
; %bb.1232:                             ;   in Loop: Header=BB397_603 Depth=1
	v_bfe_u32 v10, v6, 16, 1
	v_add3_u32 v29, v6, v10, s21
                                        ; implicit-def: $vgpr6
; %bb.1233:                             ;   in Loop: Header=BB397_603 Depth=1
	s_andn2_saveexec_b64 s[12:13], s[4:5]
; %bb.1234:                             ;   in Loop: Header=BB397_603 Depth=1
	v_or_b32_e32 v10, 0x10000, v6
	v_cmp_eq_u32_sdwa s[4:5], v6, v11 src0_sel:WORD_0 src1_sel:DWORD
	v_cndmask_b32_e64 v29, v10, v6, s[4:5]
; %bb.1235:                             ;   in Loop: Header=BB397_603 Depth=1
	s_or_b64 exec, exec, s[12:13]
	v_cmp_lt_u32_e64 s[4:5], s9, v2
	v_mov_b32_e32 v10, 0
	s_and_saveexec_b64 s[12:13], s[4:5]
	s_cbranch_execz .LBB397_1241
; %bb.1236:                             ;   in Loop: Header=BB397_603 Depth=1
	v_lshrrev_b32_e32 v6, 24, v2
	v_cmp_ne_u32_e64 s[4:5], s28, v6
	v_bfrev_b32_e32 v10, 1
	s_and_saveexec_b64 s[24:25], s[4:5]
	s_cbranch_execz .LBB397_1240
; %bb.1237:                             ;   in Loop: Header=BB397_603 Depth=1
	v_bfe_u32 v31, v2, 24, 7
	v_cmp_ne_u32_e64 s[4:5], s29, v31
	v_mov_b32_e32 v10, 0x7f800001
	s_and_saveexec_b64 s[26:27], s[4:5]
	s_cbranch_execz .LBB397_1239
; %bb.1238:                             ;   in Loop: Header=BB397_603 Depth=1
	v_and_b32_e32 v10, 7, v6
	v_ffbh_u32_e32 v25, v10
	v_min_u32_e32 v25, 32, v25
	v_subrev_u32_e32 v33, 28, v25
	v_lshlrev_b64 v[58:59], v33, v[6:7]
	v_lshrrev_b32_e32 v24, 3, v31
	v_sub_u32_e32 v25, 29, v25
	v_and_b32_e32 v33, 7, v58
	v_cmp_gt_u32_e64 s[4:5], 8, v31
	v_cndmask_b32_e64 v24, v24, v25, s[4:5]
	v_cndmask_b32_e64 v10, v10, v33, s[4:5]
	v_lshlrev_b32_e32 v6, 24, v6
	v_bfrev_b32_e32 v4, 60
	v_lshlrev_b32_e32 v10, 20, v10
	v_and_b32_e32 v6, 0x80000000, v6
	v_lshl_add_u32 v24, v24, 23, v4
	v_or3_b32 v10, v6, v24, v10
.LBB397_1239:                           ;   in Loop: Header=BB397_603 Depth=1
	s_or_b64 exec, exec, s[26:27]
.LBB397_1240:                           ;   in Loop: Header=BB397_603 Depth=1
	s_or_b64 exec, exec, s[24:25]
.LBB397_1241:                           ;   in Loop: Header=BB397_603 Depth=1
	s_or_b64 exec, exec, s[12:13]
	v_mul_f32_e32 v6, v26, v10
	v_and_b32_e32 v10, 0x7f800000, v6
	v_cmp_ne_u32_e64 s[4:5], s15, v10
                                        ; implicit-def: $vgpr31
	s_and_saveexec_b64 s[12:13], s[4:5]
	s_xor_b64 s[4:5], exec, s[12:13]
; %bb.1242:                             ;   in Loop: Header=BB397_603 Depth=1
	v_bfe_u32 v10, v6, 16, 1
	v_add3_u32 v31, v6, v10, s21
                                        ; implicit-def: $vgpr6
; %bb.1243:                             ;   in Loop: Header=BB397_603 Depth=1
	s_andn2_saveexec_b64 s[12:13], s[4:5]
; %bb.1244:                             ;   in Loop: Header=BB397_603 Depth=1
	v_or_b32_e32 v10, 0x10000, v6
	v_cmp_eq_u32_sdwa s[4:5], v6, v11 src0_sel:WORD_0 src1_sel:DWORD
	v_cndmask_b32_e64 v31, v10, v6, s[4:5]
; %bb.1245:                             ;   in Loop: Header=BB397_603 Depth=1
	s_or_b64 exec, exec, s[12:13]
	v_mov_b32_e32 v10, v3
	v_cmp_ne_u16_sdwa s[4:5], v3, v11 src0_sel:BYTE_0 src1_sel:DWORD
	v_mov_b32_e32 v6, 0
	s_and_saveexec_b64 s[12:13], s[4:5]
	s_cbranch_execz .LBB397_1251
; %bb.1246:                             ;   in Loop: Header=BB397_603 Depth=1
	v_cmp_ne_u16_sdwa s[4:5], v3, s28 src0_sel:BYTE_0 src1_sel:DWORD
	v_bfrev_b32_e32 v6, 1
	s_and_saveexec_b64 s[24:25], s[4:5]
	s_cbranch_execz .LBB397_1250
; %bb.1247:                             ;   in Loop: Header=BB397_603 Depth=1
	v_and_b32_e32 v33, 0x7f, v3
	v_cmp_ne_u32_e64 s[4:5], s29, v33
	v_mov_b32_e32 v6, 0x7f800001
	s_and_saveexec_b64 s[26:27], s[4:5]
	s_cbranch_execz .LBB397_1249
; %bb.1248:                             ;   in Loop: Header=BB397_603 Depth=1
	v_and_b32_e32 v6, 7, v3
	v_ffbh_u32_e32 v6, v6
	v_min_u32_e32 v6, 32, v6
	v_lshrrev_b32_e32 v24, 3, v33
	v_subrev_u32_e32 v25, 28, v6
	v_sub_u32_e32 v6, 29, v6
	v_cmp_gt_u32_e64 s[4:5], 8, v33
	v_cndmask_b32_e64 v6, v24, v6, s[4:5]
	v_cndmask_b32_e64 v24, 0, v25, s[4:5]
	v_lshlrev_b64 v[58:59], v24, v[10:11]
	v_lshlrev_b32_e32 v24, 20, v58
	v_lshlrev_b32_e32 v25, 24, v10
	v_bfrev_b32_e32 v4, 60
	v_and_b32_e32 v24, 0x700000, v24
	v_and_b32_e32 v25, 0x80000000, v25
	v_lshl_add_u32 v6, v6, 23, v4
	v_or3_b32 v6, v25, v6, v24
.LBB397_1249:                           ;   in Loop: Header=BB397_603 Depth=1
	s_or_b64 exec, exec, s[26:27]
.LBB397_1250:                           ;   in Loop: Header=BB397_603 Depth=1
	s_or_b64 exec, exec, s[24:25]
.LBB397_1251:                           ;   in Loop: Header=BB397_603 Depth=1
	s_or_b64 exec, exec, s[12:13]
	v_mul_f32_e32 v6, v26, v6
	v_and_b32_e32 v24, 0x7f800000, v6
	v_cmp_ne_u32_e64 s[4:5], s15, v24
                                        ; implicit-def: $vgpr40
	s_and_saveexec_b64 s[12:13], s[4:5]
	s_xor_b64 s[4:5], exec, s[12:13]
; %bb.1252:                             ;   in Loop: Header=BB397_603 Depth=1
	v_bfe_u32 v24, v6, 16, 1
	v_add3_u32 v40, v6, v24, s21
                                        ; implicit-def: $vgpr6
; %bb.1253:                             ;   in Loop: Header=BB397_603 Depth=1
	s_andn2_saveexec_b64 s[12:13], s[4:5]
; %bb.1254:                             ;   in Loop: Header=BB397_603 Depth=1
	v_or_b32_e32 v24, 0x10000, v6
	v_cmp_eq_u32_sdwa s[4:5], v6, v11 src0_sel:WORD_0 src1_sel:DWORD
	v_cndmask_b32_e64 v40, v24, v6, s[4:5]
; %bb.1255:                             ;   in Loop: Header=BB397_603 Depth=1
	s_or_b64 exec, exec, s[12:13]
	v_lshrrev_b16_e32 v6, 8, v10
	v_cmp_ne_u16_e64 s[4:5], 0, v6
	v_mov_b32_e32 v33, 0
	s_and_saveexec_b64 s[12:13], s[4:5]
	s_cbranch_execz .LBB397_1261
; %bb.1256:                             ;   in Loop: Header=BB397_603 Depth=1
	v_cmp_ne_u16_e64 s[4:5], s28, v6
	v_bfrev_b32_e32 v33, 1
	s_and_saveexec_b64 s[24:25], s[4:5]
	s_cbranch_execz .LBB397_1260
; %bb.1257:                             ;   in Loop: Header=BB397_603 Depth=1
	v_and_b32_e32 v36, 0x7f, v6
	v_cmp_ne_u32_e64 s[4:5], s29, v36
	v_mov_b32_e32 v33, 0x7f800001
	s_and_saveexec_b64 s[26:27], s[4:5]
	s_cbranch_execz .LBB397_1259
; %bb.1258:                             ;   in Loop: Header=BB397_603 Depth=1
	v_and_b32_e32 v24, 7, v6
	v_ffbh_u32_e32 v33, v24
	v_min_u32_e32 v33, 32, v33
	v_subrev_u32_e32 v57, 28, v33
	v_lshlrev_b64 v[58:59], v57, v[6:7]
	v_lshrrev_b32_e32 v25, 3, v36
	v_sub_u32_e32 v6, 29, v33
	v_and_b32_e32 v33, 7, v58
	v_cmp_gt_u32_e64 s[4:5], 8, v36
	v_cndmask_b32_e64 v6, v25, v6, s[4:5]
	v_cndmask_b32_e64 v24, v24, v33, s[4:5]
	v_lshlrev_b32_e32 v10, 16, v10
	v_bfrev_b32_e32 v4, 60
	v_lshlrev_b32_e32 v24, 20, v24
	v_and_b32_e32 v10, 0x80000000, v10
	v_lshl_add_u32 v6, v6, 23, v4
	v_or3_b32 v33, v10, v6, v24
.LBB397_1259:                           ;   in Loop: Header=BB397_603 Depth=1
	s_or_b64 exec, exec, s[26:27]
.LBB397_1260:                           ;   in Loop: Header=BB397_603 Depth=1
	s_or_b64 exec, exec, s[24:25]
.LBB397_1261:                           ;   in Loop: Header=BB397_603 Depth=1
	s_or_b64 exec, exec, s[12:13]
	v_mul_f32_e32 v6, v26, v33
	v_and_b32_e32 v10, 0x7f800000, v6
	v_cmp_ne_u32_e64 s[4:5], s15, v10
                                        ; implicit-def: $vgpr10
	s_and_saveexec_b64 s[12:13], s[4:5]
	s_xor_b64 s[4:5], exec, s[12:13]
; %bb.1262:                             ;   in Loop: Header=BB397_603 Depth=1
	v_bfe_u32 v10, v6, 16, 1
	v_add3_u32 v10, v6, v10, s21
                                        ; implicit-def: $vgpr6
; %bb.1263:                             ;   in Loop: Header=BB397_603 Depth=1
	s_andn2_saveexec_b64 s[12:13], s[4:5]
; %bb.1264:                             ;   in Loop: Header=BB397_603 Depth=1
	v_or_b32_e32 v10, 0x10000, v6
	v_cmp_eq_u32_sdwa s[4:5], v6, v11 src0_sel:WORD_0 src1_sel:DWORD
	v_cndmask_b32_e64 v10, v10, v6, s[4:5]
; %bb.1265:                             ;   in Loop: Header=BB397_603 Depth=1
	s_or_b64 exec, exec, s[12:13]
	v_lshrrev_b32_e32 v6, 16, v3
	v_cmp_ne_u16_sdwa s[4:5], v6, v11 src0_sel:BYTE_0 src1_sel:DWORD
	v_mov_b32_e32 v33, 0
	s_and_saveexec_b64 s[12:13], s[4:5]
	s_cbranch_execz .LBB397_1271
; %bb.1266:                             ;   in Loop: Header=BB397_603 Depth=1
	v_cmp_ne_u16_sdwa s[4:5], v6, s28 src0_sel:BYTE_0 src1_sel:DWORD
	v_bfrev_b32_e32 v33, 1
	s_and_saveexec_b64 s[24:25], s[4:5]
	s_cbranch_execz .LBB397_1270
; %bb.1267:                             ;   in Loop: Header=BB397_603 Depth=1
	v_bfe_u32 v36, v3, 16, 7
	v_cmp_ne_u32_e64 s[4:5], s29, v36
	v_mov_b32_e32 v33, 0x7f800001
	s_and_saveexec_b64 s[26:27], s[4:5]
	s_cbranch_execz .LBB397_1269
; %bb.1268:                             ;   in Loop: Header=BB397_603 Depth=1
	v_and_b32_e32 v24, 7, v6
	v_ffbh_u32_e32 v33, v24
	v_min_u32_e32 v33, 32, v33
	v_subrev_u32_e32 v57, 28, v33
	v_lshlrev_b64 v[58:59], v57, v[6:7]
	v_lshrrev_b32_e32 v25, 3, v36
	v_sub_u32_e32 v33, 29, v33
	v_and_b32_e32 v57, 7, v58
	v_cmp_gt_u32_e64 s[4:5], 8, v36
	v_cndmask_b32_e64 v25, v25, v33, s[4:5]
	v_cndmask_b32_e64 v24, v24, v57, s[4:5]
	v_lshlrev_b32_e32 v6, 24, v6
	v_bfrev_b32_e32 v4, 60
	v_lshlrev_b32_e32 v24, 20, v24
	v_and_b32_e32 v6, 0x80000000, v6
	v_lshl_add_u32 v25, v25, 23, v4
	v_or3_b32 v33, v6, v25, v24
.LBB397_1269:                           ;   in Loop: Header=BB397_603 Depth=1
	s_or_b64 exec, exec, s[26:27]
.LBB397_1270:                           ;   in Loop: Header=BB397_603 Depth=1
	s_or_b64 exec, exec, s[24:25]
.LBB397_1271:                           ;   in Loop: Header=BB397_603 Depth=1
	s_or_b64 exec, exec, s[12:13]
	v_mul_f32_e32 v33, v26, v33
	v_and_b32_e32 v6, 0x7f800000, v33
	v_cmp_ne_u32_e64 s[4:5], s15, v6
                                        ; implicit-def: $vgpr6
	s_and_saveexec_b64 s[12:13], s[4:5]
	s_xor_b64 s[4:5], exec, s[12:13]
; %bb.1272:                             ;   in Loop: Header=BB397_603 Depth=1
	v_bfe_u32 v6, v33, 16, 1
	v_add3_u32 v6, v33, v6, s21
                                        ; implicit-def: $vgpr33
; %bb.1273:                             ;   in Loop: Header=BB397_603 Depth=1
	s_andn2_saveexec_b64 s[12:13], s[4:5]
; %bb.1274:                             ;   in Loop: Header=BB397_603 Depth=1
	v_or_b32_e32 v6, 0x10000, v33
	v_cmp_eq_u32_sdwa s[4:5], v33, v11 src0_sel:WORD_0 src1_sel:DWORD
	v_cndmask_b32_e64 v6, v6, v33, s[4:5]
; %bb.1275:                             ;   in Loop: Header=BB397_603 Depth=1
	s_or_b64 exec, exec, s[12:13]
	v_cmp_lt_u64_e64 s[4:5], s[8:9], v[2:3]
	v_mov_b32_e32 v33, 0
	s_and_saveexec_b64 s[12:13], s[4:5]
	s_cbranch_execz .LBB397_1281
; %bb.1276:                             ;   in Loop: Header=BB397_603 Depth=1
	v_lshrrev_b32_e32 v2, 24, v3
	v_cmp_ne_u32_e64 s[4:5], s28, v2
	v_bfrev_b32_e32 v33, 1
	s_and_saveexec_b64 s[24:25], s[4:5]
	s_cbranch_execz .LBB397_1280
; %bb.1277:                             ;   in Loop: Header=BB397_603 Depth=1
	v_bfe_u32 v3, v3, 24, 7
	v_cmp_ne_u32_e64 s[4:5], s29, v3
	v_mov_b32_e32 v33, 0x7f800001
	s_and_saveexec_b64 s[26:27], s[4:5]
	s_cbranch_execz .LBB397_1279
; %bb.1278:                             ;   in Loop: Header=BB397_603 Depth=1
	v_and_b32_e32 v24, 7, v2
	v_ffbh_u32_e32 v33, v24
	v_min_u32_e32 v33, 32, v33
	v_subrev_u32_e32 v36, 28, v33
	v_lshlrev_b64 v[58:59], v36, v[2:3]
	v_lshrrev_b32_e32 v25, 3, v3
	v_sub_u32_e32 v33, 29, v33
	v_and_b32_e32 v36, 7, v58
	v_cmp_gt_u32_e64 s[4:5], 8, v3
	v_cndmask_b32_e64 v3, v25, v33, s[4:5]
	v_cndmask_b32_e64 v24, v24, v36, s[4:5]
	v_lshlrev_b32_e32 v2, 24, v2
	v_bfrev_b32_e32 v4, 60
	v_lshlrev_b32_e32 v24, 20, v24
	v_and_b32_e32 v2, 0x80000000, v2
	v_lshl_add_u32 v3, v3, 23, v4
	v_or3_b32 v33, v2, v3, v24
.LBB397_1279:                           ;   in Loop: Header=BB397_603 Depth=1
	s_or_b64 exec, exec, s[26:27]
.LBB397_1280:                           ;   in Loop: Header=BB397_603 Depth=1
	s_or_b64 exec, exec, s[24:25]
.LBB397_1281:                           ;   in Loop: Header=BB397_603 Depth=1
	s_or_b64 exec, exec, s[12:13]
	v_mul_f32_e32 v3, v26, v33
	v_and_b32_e32 v2, 0x7f800000, v3
	v_cmp_ne_u32_e64 s[4:5], s15, v2
                                        ; implicit-def: $vgpr2
	s_and_saveexec_b64 s[12:13], s[4:5]
	s_xor_b64 s[4:5], exec, s[12:13]
; %bb.1282:                             ;   in Loop: Header=BB397_603 Depth=1
	v_bfe_u32 v2, v3, 16, 1
	v_add3_u32 v2, v3, v2, s21
                                        ; implicit-def: $vgpr3
; %bb.1283:                             ;   in Loop: Header=BB397_603 Depth=1
	s_andn2_saveexec_b64 s[12:13], s[4:5]
; %bb.1284:                             ;   in Loop: Header=BB397_603 Depth=1
	v_or_b32_e32 v2, 0x10000, v3
	v_cmp_eq_u32_sdwa s[4:5], v3, v11 src0_sel:WORD_0 src1_sel:DWORD
	v_cndmask_b32_e64 v2, v2, v3, s[4:5]
; %bb.1285:                             ;   in Loop: Header=BB397_603 Depth=1
	s_or_b64 exec, exec, s[12:13]
	v_lshrrev_b32_e32 v57, 16, v10
	v_lshrrev_b32_e32 v33, 16, v40
	;; [unrolled: 1-line block ×8, first 2 shown]
	s_and_saveexec_b64 s[12:13], vcc
	s_cbranch_execz .LBB397_1287
; %bb.1286:                             ;   in Loop: Header=BB397_603 Depth=1
	v_accvgpr_read_b32 v4, a20
	v_cmp_lt_i32_e64 s[4:5], v4, v32
	v_accvgpr_read_b32 v4, a26
	v_cndmask_b32_e64 v3, 0, v3, s[4:5]
	v_cmp_lt_i32_e64 s[4:5], v4, v32
	v_accvgpr_read_b32 v4, a25
	v_cndmask_b32_e64 v27, 0, v27, s[4:5]
	;; [unrolled: 3-line block ×6, first 2 shown]
	v_cmp_lt_i32_e64 s[4:5], v4, v32
	v_cndmask_b32_e64 v10, 0, v10, s[4:5]
	v_cmp_lt_i32_e64 s[4:5], v17, v32
	v_cndmask_b32_e64 v2, 0, v2, s[4:5]
.LBB397_1287:                           ;   in Loop: Header=BB397_603 Depth=1
	s_or_b64 exec, exec, s[12:13]
	v_lshlrev_b32_e32 v3, 16, v3
	v_mul_f32_e32 v5, v41, v3
	v_and_b32_e32 v3, 0x7f800000, v5
	v_cmp_ne_u32_e64 s[4:5], s15, v3
                                        ; implicit-def: $vgpr3
	s_and_saveexec_b64 s[12:13], s[4:5]
	s_xor_b64 s[4:5], exec, s[12:13]
; %bb.1288:                             ;   in Loop: Header=BB397_603 Depth=1
	v_bfe_u32 v3, v5, 16, 1
	v_add3_u32 v3, v5, v3, s21
                                        ; implicit-def: $vgpr5
; %bb.1289:                             ;   in Loop: Header=BB397_603 Depth=1
	s_andn2_saveexec_b64 s[12:13], s[4:5]
; %bb.1290:                             ;   in Loop: Header=BB397_603 Depth=1
	v_or_b32_e32 v3, 0x10000, v5
	v_cmp_eq_u32_sdwa s[4:5], v5, v11 src0_sel:WORD_0 src1_sel:DWORD
	v_cndmask_b32_e64 v3, v3, v5, s[4:5]
; %bb.1291:                             ;   in Loop: Header=BB397_603 Depth=1
	s_or_b64 exec, exec, s[12:13]
	v_lshlrev_b32_e32 v5, 16, v27
	v_mul_f32_e32 v5, v42, v5
	v_and_b32_e32 v6, 0x7f800000, v5
	v_cmp_ne_u32_e64 s[4:5], s15, v6
                                        ; implicit-def: $vgpr6
	s_and_saveexec_b64 s[12:13], s[4:5]
	s_xor_b64 s[4:5], exec, s[12:13]
; %bb.1292:                             ;   in Loop: Header=BB397_603 Depth=1
	v_bfe_u32 v6, v5, 16, 1
	v_add3_u32 v6, v5, v6, s21
                                        ; implicit-def: $vgpr5
; %bb.1293:                             ;   in Loop: Header=BB397_603 Depth=1
	s_andn2_saveexec_b64 s[12:13], s[4:5]
; %bb.1294:                             ;   in Loop: Header=BB397_603 Depth=1
	v_or_b32_e32 v6, 0x10000, v5
	v_cmp_eq_u32_sdwa s[4:5], v5, v11 src0_sel:WORD_0 src1_sel:DWORD
	v_cndmask_b32_e64 v6, v6, v5, s[4:5]
; %bb.1295:                             ;   in Loop: Header=BB397_603 Depth=1
	s_or_b64 exec, exec, s[12:13]
	v_lshlrev_b32_e32 v5, 16, v29
	v_mul_f32_e32 v5, v43, v5
	v_and_b32_e32 v24, 0x7f800000, v5
	v_cmp_ne_u32_e64 s[4:5], s15, v24
                                        ; implicit-def: $vgpr40
	s_and_saveexec_b64 s[12:13], s[4:5]
	s_xor_b64 s[4:5], exec, s[12:13]
; %bb.1296:                             ;   in Loop: Header=BB397_603 Depth=1
	v_bfe_u32 v24, v5, 16, 1
	v_add3_u32 v40, v5, v24, s21
                                        ; implicit-def: $vgpr5
; %bb.1297:                             ;   in Loop: Header=BB397_603 Depth=1
	s_andn2_saveexec_b64 s[12:13], s[4:5]
; %bb.1298:                             ;   in Loop: Header=BB397_603 Depth=1
	v_or_b32_e32 v24, 0x10000, v5
	v_cmp_eq_u32_sdwa s[4:5], v5, v11 src0_sel:WORD_0 src1_sel:DWORD
	v_cndmask_b32_e64 v40, v24, v5, s[4:5]
; %bb.1299:                             ;   in Loop: Header=BB397_603 Depth=1
	s_or_b64 exec, exec, s[12:13]
	v_lshlrev_b32_e32 v5, 16, v31
	v_mul_f32_e32 v27, v44, v5
	v_and_b32_e32 v5, 0x7f800000, v27
	v_cmp_ne_u32_e64 s[4:5], s15, v5
                                        ; implicit-def: $vgpr5
	s_and_saveexec_b64 s[12:13], s[4:5]
	s_xor_b64 s[4:5], exec, s[12:13]
; %bb.1300:                             ;   in Loop: Header=BB397_603 Depth=1
	v_bfe_u32 v5, v27, 16, 1
	v_add3_u32 v5, v27, v5, s21
                                        ; implicit-def: $vgpr27
; %bb.1301:                             ;   in Loop: Header=BB397_603 Depth=1
	s_andn2_saveexec_b64 s[12:13], s[4:5]
; %bb.1302:                             ;   in Loop: Header=BB397_603 Depth=1
	v_or_b32_e32 v5, 0x10000, v27
	v_cmp_eq_u32_sdwa s[4:5], v27, v11 src0_sel:WORD_0 src1_sel:DWORD
	v_cndmask_b32_e64 v5, v5, v27, s[4:5]
; %bb.1303:                             ;   in Loop: Header=BB397_603 Depth=1
	s_or_b64 exec, exec, s[12:13]
	v_lshlrev_b32_e32 v24, 16, v33
	v_mul_f32_e32 v29, v45, v24
	v_and_b32_e32 v24, 0x7f800000, v29
	v_cmp_ne_u32_e64 s[4:5], s15, v24
                                        ; implicit-def: $vgpr27
	s_and_saveexec_b64 s[12:13], s[4:5]
	s_xor_b64 s[4:5], exec, s[12:13]
; %bb.1304:                             ;   in Loop: Header=BB397_603 Depth=1
	v_bfe_u32 v24, v29, 16, 1
	v_add3_u32 v27, v29, v24, s21
                                        ; implicit-def: $vgpr29
; %bb.1305:                             ;   in Loop: Header=BB397_603 Depth=1
	s_andn2_saveexec_b64 s[12:13], s[4:5]
; %bb.1306:                             ;   in Loop: Header=BB397_603 Depth=1
	v_or_b32_e32 v24, 0x10000, v29
	v_cmp_eq_u32_sdwa s[4:5], v29, v11 src0_sel:WORD_0 src1_sel:DWORD
	v_cndmask_b32_e64 v27, v24, v29, s[4:5]
; %bb.1307:                             ;   in Loop: Header=BB397_603 Depth=1
	s_or_b64 exec, exec, s[12:13]
	v_lshlrev_b32_e32 v24, 16, v57
	v_mul_f32_e32 v31, v46, v24
	v_and_b32_e32 v24, 0x7f800000, v31
	v_cmp_ne_u32_e64 s[4:5], s15, v24
                                        ; implicit-def: $vgpr29
	s_and_saveexec_b64 s[12:13], s[4:5]
	s_xor_b64 s[4:5], exec, s[12:13]
; %bb.1308:                             ;   in Loop: Header=BB397_603 Depth=1
	v_bfe_u32 v24, v31, 16, 1
	v_add3_u32 v29, v31, v24, s21
                                        ; implicit-def: $vgpr31
; %bb.1309:                             ;   in Loop: Header=BB397_603 Depth=1
	s_andn2_saveexec_b64 s[12:13], s[4:5]
; %bb.1310:                             ;   in Loop: Header=BB397_603 Depth=1
	v_or_b32_e32 v24, 0x10000, v31
	v_cmp_eq_u32_sdwa s[4:5], v31, v11 src0_sel:WORD_0 src1_sel:DWORD
	v_cndmask_b32_e64 v29, v24, v31, s[4:5]
; %bb.1311:                             ;   in Loop: Header=BB397_603 Depth=1
	s_or_b64 exec, exec, s[12:13]
	v_lshlrev_b32_e32 v10, 16, v10
	v_mul_f32_e32 v10, v47, v10
	v_and_b32_e32 v24, 0x7f800000, v10
	v_cmp_ne_u32_e64 s[4:5], s15, v24
                                        ; implicit-def: $vgpr31
	s_and_saveexec_b64 s[12:13], s[4:5]
	s_xor_b64 s[4:5], exec, s[12:13]
; %bb.1312:                             ;   in Loop: Header=BB397_603 Depth=1
	v_bfe_u32 v24, v10, 16, 1
	v_add3_u32 v31, v10, v24, s21
                                        ; implicit-def: $vgpr10
; %bb.1313:                             ;   in Loop: Header=BB397_603 Depth=1
	s_andn2_saveexec_b64 s[12:13], s[4:5]
; %bb.1314:                             ;   in Loop: Header=BB397_603 Depth=1
	v_or_b32_e32 v24, 0x10000, v10
	v_cmp_eq_u32_sdwa s[4:5], v10, v11 src0_sel:WORD_0 src1_sel:DWORD
	v_cndmask_b32_e64 v31, v24, v10, s[4:5]
; %bb.1315:                             ;   in Loop: Header=BB397_603 Depth=1
	s_or_b64 exec, exec, s[12:13]
	v_lshlrev_b32_e32 v2, 16, v2
	v_mul_f32_e32 v2, v56, v2
	v_and_b32_e32 v10, 0x7f800000, v2
	v_cmp_ne_u32_e64 s[4:5], s15, v10
                                        ; implicit-def: $vgpr57
	s_and_saveexec_b64 s[12:13], s[4:5]
	s_xor_b64 s[4:5], exec, s[12:13]
; %bb.1316:                             ;   in Loop: Header=BB397_603 Depth=1
	v_bfe_u32 v10, v2, 16, 1
	v_add3_u32 v57, v2, v10, s21
                                        ; implicit-def: $vgpr2
; %bb.1317:                             ;   in Loop: Header=BB397_603 Depth=1
	s_andn2_saveexec_b64 s[12:13], s[4:5]
; %bb.1318:                             ;   in Loop: Header=BB397_603 Depth=1
	v_or_b32_e32 v10, 0x10000, v2
	v_cmp_eq_u32_sdwa s[4:5], v2, v11 src0_sel:WORD_0 src1_sel:DWORD
	v_cndmask_b32_e64 v57, v10, v2, s[4:5]
; %bb.1319:                             ;   in Loop: Header=BB397_603 Depth=1
	s_or_b64 exec, exec, s[12:13]
	flat_load_dwordx2 v[0:1], v[0:1] offset:3072
	v_mov_b32_e32 v2, 0
	s_waitcnt vmcnt(0) lgkmcnt(0)
	v_cmp_ne_u16_sdwa s[4:5], v0, v11 src0_sel:BYTE_0 src1_sel:DWORD
	s_and_saveexec_b64 s[12:13], s[4:5]
	s_cbranch_execz .LBB397_1325
; %bb.1320:                             ;   in Loop: Header=BB397_603 Depth=1
	v_cmp_ne_u16_sdwa s[4:5], v0, s28 src0_sel:BYTE_0 src1_sel:DWORD
	v_bfrev_b32_e32 v2, 1
	s_and_saveexec_b64 s[24:25], s[4:5]
	s_cbranch_execz .LBB397_1324
; %bb.1321:                             ;   in Loop: Header=BB397_603 Depth=1
	v_and_b32_e32 v10, 0x7f, v0
	v_cmp_ne_u32_e64 s[4:5], s29, v10
	v_mov_b32_e32 v2, 0x7f800001
	s_and_saveexec_b64 s[26:27], s[4:5]
	s_cbranch_execz .LBB397_1323
; %bb.1322:                             ;   in Loop: Header=BB397_603 Depth=1
	v_and_b32_e32 v2, 7, v0
	v_ffbh_u32_e32 v2, v2
	v_min_u32_e32 v2, 32, v2
	v_subrev_u32_e32 v25, 28, v2
	v_cmp_gt_u32_e64 s[4:5], 8, v10
	v_lshrrev_b32_e32 v24, 3, v10
	v_cndmask_b32_e64 v10, 0, v25, s[4:5]
	v_sub_u32_e32 v2, 29, v2
	v_lshlrev_b64 v[58:59], v10, v[0:1]
	v_cndmask_b32_e64 v2, v24, v2, s[4:5]
	v_lshlrev_b32_e32 v10, 20, v58
	v_lshlrev_b32_e32 v24, 24, v0
	v_bfrev_b32_e32 v4, 60
	v_and_b32_e32 v10, 0x700000, v10
	v_and_b32_e32 v24, 0x80000000, v24
	v_lshl_add_u32 v2, v2, 23, v4
	v_or3_b32 v2, v24, v2, v10
.LBB397_1323:                           ;   in Loop: Header=BB397_603 Depth=1
	s_or_b64 exec, exec, s[26:27]
.LBB397_1324:                           ;   in Loop: Header=BB397_603 Depth=1
	s_or_b64 exec, exec, s[24:25]
.LBB397_1325:                           ;   in Loop: Header=BB397_603 Depth=1
	s_or_b64 exec, exec, s[12:13]
	v_mul_f32_e32 v2, v26, v2
	v_and_b32_e32 v10, 0x7f800000, v2
	v_cmp_ne_u32_e64 s[4:5], s15, v10
                                        ; implicit-def: $vgpr58
	s_and_saveexec_b64 s[12:13], s[4:5]
	s_xor_b64 s[4:5], exec, s[12:13]
; %bb.1326:                             ;   in Loop: Header=BB397_603 Depth=1
	v_bfe_u32 v10, v2, 16, 1
	v_add3_u32 v58, v2, v10, s21
                                        ; implicit-def: $vgpr2
; %bb.1327:                             ;   in Loop: Header=BB397_603 Depth=1
	s_andn2_saveexec_b64 s[12:13], s[4:5]
; %bb.1328:                             ;   in Loop: Header=BB397_603 Depth=1
	v_or_b32_e32 v10, 0x10000, v2
	v_cmp_eq_u32_sdwa s[4:5], v2, v11 src0_sel:WORD_0 src1_sel:DWORD
	v_cndmask_b32_e64 v58, v10, v2, s[4:5]
; %bb.1329:                             ;   in Loop: Header=BB397_603 Depth=1
	s_or_b64 exec, exec, s[12:13]
	v_lshrrev_b16_e32 v2, 8, v0
	v_cmp_ne_u16_e64 s[4:5], 0, v2
	v_mov_b32_e32 v10, 0
	s_and_saveexec_b64 s[12:13], s[4:5]
	s_cbranch_execz .LBB397_1335
; %bb.1330:                             ;   in Loop: Header=BB397_603 Depth=1
	v_cmp_ne_u16_e64 s[4:5], s28, v2
	v_bfrev_b32_e32 v10, 1
	s_and_saveexec_b64 s[24:25], s[4:5]
	s_cbranch_execz .LBB397_1334
; %bb.1331:                             ;   in Loop: Header=BB397_603 Depth=1
	v_and_b32_e32 v33, 0x7f, v2
	v_cmp_ne_u32_e64 s[4:5], s29, v33
	v_mov_b32_e32 v10, 0x7f800001
	s_and_saveexec_b64 s[26:27], s[4:5]
	s_cbranch_execz .LBB397_1333
; %bb.1332:                             ;   in Loop: Header=BB397_603 Depth=1
	v_and_b32_e32 v10, 7, v2
	v_ffbh_u32_e32 v25, v10
	v_min_u32_e32 v25, 32, v25
	v_subrev_u32_e32 v36, 28, v25
	v_lshlrev_b64 v[60:61], v36, v[2:3]
	v_lshrrev_b32_e32 v24, 3, v33
	v_sub_u32_e32 v2, 29, v25
	v_and_b32_e32 v25, 7, v60
	v_cmp_gt_u32_e64 s[4:5], 8, v33
	v_cndmask_b32_e64 v2, v24, v2, s[4:5]
	v_cndmask_b32_e64 v10, v10, v25, s[4:5]
	v_lshlrev_b32_e32 v24, 16, v0
	v_bfrev_b32_e32 v4, 60
	v_lshlrev_b32_e32 v10, 20, v10
	v_and_b32_e32 v24, 0x80000000, v24
	v_lshl_add_u32 v2, v2, 23, v4
	v_or3_b32 v10, v24, v2, v10
.LBB397_1333:                           ;   in Loop: Header=BB397_603 Depth=1
	s_or_b64 exec, exec, s[26:27]
.LBB397_1334:                           ;   in Loop: Header=BB397_603 Depth=1
	s_or_b64 exec, exec, s[24:25]
.LBB397_1335:                           ;   in Loop: Header=BB397_603 Depth=1
	s_or_b64 exec, exec, s[12:13]
	v_mul_f32_e32 v2, v26, v10
	v_and_b32_e32 v10, 0x7f800000, v2
	v_cmp_ne_u32_e64 s[4:5], s15, v10
                                        ; implicit-def: $vgpr59
	s_and_saveexec_b64 s[12:13], s[4:5]
	s_xor_b64 s[4:5], exec, s[12:13]
; %bb.1336:                             ;   in Loop: Header=BB397_603 Depth=1
	v_bfe_u32 v10, v2, 16, 1
	v_add3_u32 v59, v2, v10, s21
                                        ; implicit-def: $vgpr2
; %bb.1337:                             ;   in Loop: Header=BB397_603 Depth=1
	s_andn2_saveexec_b64 s[12:13], s[4:5]
; %bb.1338:                             ;   in Loop: Header=BB397_603 Depth=1
	v_or_b32_e32 v10, 0x10000, v2
	v_cmp_eq_u32_sdwa s[4:5], v2, v11 src0_sel:WORD_0 src1_sel:DWORD
	v_cndmask_b32_e64 v59, v10, v2, s[4:5]
; %bb.1339:                             ;   in Loop: Header=BB397_603 Depth=1
	s_or_b64 exec, exec, s[12:13]
	v_lshrrev_b32_e32 v2, 16, v0
	v_cmp_ne_u16_sdwa s[4:5], v2, v11 src0_sel:BYTE_0 src1_sel:DWORD
	v_mov_b32_e32 v10, 0
	s_and_saveexec_b64 s[12:13], s[4:5]
	s_cbranch_execz .LBB397_1345
; %bb.1340:                             ;   in Loop: Header=BB397_603 Depth=1
	v_cmp_ne_u16_sdwa s[4:5], v2, s28 src0_sel:BYTE_0 src1_sel:DWORD
	v_bfrev_b32_e32 v10, 1
	s_and_saveexec_b64 s[24:25], s[4:5]
	s_cbranch_execz .LBB397_1344
; %bb.1341:                             ;   in Loop: Header=BB397_603 Depth=1
	v_bfe_u32 v33, v0, 16, 7
	v_cmp_ne_u32_e64 s[4:5], s29, v33
	v_mov_b32_e32 v10, 0x7f800001
	s_and_saveexec_b64 s[26:27], s[4:5]
	s_cbranch_execz .LBB397_1343
; %bb.1342:                             ;   in Loop: Header=BB397_603 Depth=1
	v_and_b32_e32 v10, 7, v2
	v_ffbh_u32_e32 v25, v10
	v_min_u32_e32 v25, 32, v25
	v_subrev_u32_e32 v36, 28, v25
	v_lshlrev_b64 v[60:61], v36, v[2:3]
	v_lshrrev_b32_e32 v24, 3, v33
	v_sub_u32_e32 v25, 29, v25
	v_and_b32_e32 v36, 7, v60
	v_cmp_gt_u32_e64 s[4:5], 8, v33
	v_cndmask_b32_e64 v24, v24, v25, s[4:5]
	v_cndmask_b32_e64 v10, v10, v36, s[4:5]
	v_lshlrev_b32_e32 v2, 24, v2
	v_bfrev_b32_e32 v4, 60
	v_lshlrev_b32_e32 v10, 20, v10
	v_and_b32_e32 v2, 0x80000000, v2
	v_lshl_add_u32 v24, v24, 23, v4
	v_or3_b32 v10, v2, v24, v10
.LBB397_1343:                           ;   in Loop: Header=BB397_603 Depth=1
	s_or_b64 exec, exec, s[26:27]
.LBB397_1344:                           ;   in Loop: Header=BB397_603 Depth=1
	s_or_b64 exec, exec, s[24:25]
.LBB397_1345:                           ;   in Loop: Header=BB397_603 Depth=1
	s_or_b64 exec, exec, s[12:13]
	v_mul_f32_e32 v2, v26, v10
	v_and_b32_e32 v10, 0x7f800000, v2
	v_cmp_ne_u32_e64 s[4:5], s15, v10
                                        ; implicit-def: $vgpr60
	s_and_saveexec_b64 s[12:13], s[4:5]
	s_xor_b64 s[4:5], exec, s[12:13]
; %bb.1346:                             ;   in Loop: Header=BB397_603 Depth=1
	v_bfe_u32 v10, v2, 16, 1
	v_add3_u32 v60, v2, v10, s21
                                        ; implicit-def: $vgpr2
; %bb.1347:                             ;   in Loop: Header=BB397_603 Depth=1
	s_andn2_saveexec_b64 s[12:13], s[4:5]
; %bb.1348:                             ;   in Loop: Header=BB397_603 Depth=1
	v_or_b32_e32 v10, 0x10000, v2
	v_cmp_eq_u32_sdwa s[4:5], v2, v11 src0_sel:WORD_0 src1_sel:DWORD
	v_cndmask_b32_e64 v60, v10, v2, s[4:5]
; %bb.1349:                             ;   in Loop: Header=BB397_603 Depth=1
	s_or_b64 exec, exec, s[12:13]
	v_cmp_lt_u32_e64 s[4:5], s9, v0
	v_mov_b32_e32 v10, 0
	s_and_saveexec_b64 s[12:13], s[4:5]
	s_cbranch_execz .LBB397_1355
; %bb.1350:                             ;   in Loop: Header=BB397_603 Depth=1
	v_lshrrev_b32_e32 v2, 24, v0
	v_cmp_ne_u32_e64 s[4:5], s28, v2
	v_bfrev_b32_e32 v10, 1
	s_and_saveexec_b64 s[24:25], s[4:5]
	s_cbranch_execz .LBB397_1354
; %bb.1351:                             ;   in Loop: Header=BB397_603 Depth=1
	v_bfe_u32 v33, v0, 24, 7
	v_cmp_ne_u32_e64 s[4:5], s29, v33
	v_mov_b32_e32 v10, 0x7f800001
	s_and_saveexec_b64 s[26:27], s[4:5]
	s_cbranch_execz .LBB397_1353
; %bb.1352:                             ;   in Loop: Header=BB397_603 Depth=1
	v_and_b32_e32 v10, 7, v2
	v_ffbh_u32_e32 v24, v10
	v_min_u32_e32 v61, 32, v24
	v_subrev_u32_e32 v24, 28, v61
	v_lshlrev_b64 v[24:25], v24, v[2:3]
	v_lshrrev_b32_e32 v36, 3, v33
	v_sub_u32_e32 v25, 29, v61
	v_and_b32_e32 v24, 7, v24
	v_cmp_gt_u32_e64 s[4:5], 8, v33
	v_cndmask_b32_e64 v25, v36, v25, s[4:5]
	v_cndmask_b32_e64 v10, v10, v24, s[4:5]
	v_lshlrev_b32_e32 v2, 24, v2
	v_bfrev_b32_e32 v4, 60
	v_lshlrev_b32_e32 v10, 20, v10
	v_and_b32_e32 v2, 0x80000000, v2
	v_lshl_add_u32 v24, v25, 23, v4
	v_or3_b32 v10, v2, v24, v10
.LBB397_1353:                           ;   in Loop: Header=BB397_603 Depth=1
	s_or_b64 exec, exec, s[26:27]
.LBB397_1354:                           ;   in Loop: Header=BB397_603 Depth=1
	s_or_b64 exec, exec, s[24:25]
.LBB397_1355:                           ;   in Loop: Header=BB397_603 Depth=1
	s_or_b64 exec, exec, s[12:13]
	v_mul_f32_e32 v2, v26, v10
	v_and_b32_e32 v10, 0x7f800000, v2
	v_cmp_ne_u32_e64 s[4:5], s15, v10
                                        ; implicit-def: $vgpr61
	s_and_saveexec_b64 s[12:13], s[4:5]
	s_xor_b64 s[4:5], exec, s[12:13]
; %bb.1356:                             ;   in Loop: Header=BB397_603 Depth=1
	v_bfe_u32 v10, v2, 16, 1
	v_add3_u32 v61, v2, v10, s21
                                        ; implicit-def: $vgpr2
; %bb.1357:                             ;   in Loop: Header=BB397_603 Depth=1
	s_andn2_saveexec_b64 s[12:13], s[4:5]
; %bb.1358:                             ;   in Loop: Header=BB397_603 Depth=1
	v_or_b32_e32 v10, 0x10000, v2
	v_cmp_eq_u32_sdwa s[4:5], v2, v11 src0_sel:WORD_0 src1_sel:DWORD
	v_cndmask_b32_e64 v61, v10, v2, s[4:5]
; %bb.1359:                             ;   in Loop: Header=BB397_603 Depth=1
	s_or_b64 exec, exec, s[12:13]
	v_mov_b32_e32 v10, v1
	v_cmp_ne_u16_sdwa s[4:5], v1, v11 src0_sel:BYTE_0 src1_sel:DWORD
	v_mov_b32_e32 v2, 0
	s_and_saveexec_b64 s[12:13], s[4:5]
	s_cbranch_execz .LBB397_1365
; %bb.1360:                             ;   in Loop: Header=BB397_603 Depth=1
	v_cmp_ne_u16_sdwa s[4:5], v1, s28 src0_sel:BYTE_0 src1_sel:DWORD
	v_bfrev_b32_e32 v2, 1
	s_and_saveexec_b64 s[24:25], s[4:5]
	s_cbranch_execz .LBB397_1364
; %bb.1361:                             ;   in Loop: Header=BB397_603 Depth=1
	v_and_b32_e32 v33, 0x7f, v1
	v_cmp_ne_u32_e64 s[4:5], s29, v33
	v_mov_b32_e32 v2, 0x7f800001
	s_and_saveexec_b64 s[26:27], s[4:5]
	s_cbranch_execz .LBB397_1363
; %bb.1362:                             ;   in Loop: Header=BB397_603 Depth=1
	v_and_b32_e32 v2, 7, v1
	v_ffbh_u32_e32 v2, v2
	v_min_u32_e32 v2, 32, v2
	v_lshrrev_b32_e32 v24, 3, v33
	v_subrev_u32_e32 v25, 28, v2
	v_sub_u32_e32 v2, 29, v2
	v_cmp_gt_u32_e64 s[4:5], 8, v33
	v_cndmask_b32_e64 v2, v24, v2, s[4:5]
	v_cndmask_b32_e64 v24, 0, v25, s[4:5]
	v_lshlrev_b64 v[24:25], v24, v[10:11]
	v_lshlrev_b32_e32 v24, 20, v24
	v_lshlrev_b32_e32 v25, 24, v10
	v_bfrev_b32_e32 v4, 60
	v_and_b32_e32 v24, 0x700000, v24
	v_and_b32_e32 v25, 0x80000000, v25
	v_lshl_add_u32 v2, v2, 23, v4
	v_or3_b32 v2, v25, v2, v24
.LBB397_1363:                           ;   in Loop: Header=BB397_603 Depth=1
	s_or_b64 exec, exec, s[26:27]
.LBB397_1364:                           ;   in Loop: Header=BB397_603 Depth=1
	s_or_b64 exec, exec, s[24:25]
.LBB397_1365:                           ;   in Loop: Header=BB397_603 Depth=1
	s_or_b64 exec, exec, s[12:13]
	v_mul_f32_e32 v2, v26, v2
	v_and_b32_e32 v24, 0x7f800000, v2
	v_cmp_ne_u32_e64 s[4:5], s15, v24
                                        ; implicit-def: $vgpr62
	s_and_saveexec_b64 s[12:13], s[4:5]
	s_xor_b64 s[4:5], exec, s[12:13]
; %bb.1366:                             ;   in Loop: Header=BB397_603 Depth=1
	v_bfe_u32 v24, v2, 16, 1
	v_add3_u32 v62, v2, v24, s21
                                        ; implicit-def: $vgpr2
; %bb.1367:                             ;   in Loop: Header=BB397_603 Depth=1
	s_andn2_saveexec_b64 s[12:13], s[4:5]
; %bb.1368:                             ;   in Loop: Header=BB397_603 Depth=1
	v_or_b32_e32 v24, 0x10000, v2
	v_cmp_eq_u32_sdwa s[4:5], v2, v11 src0_sel:WORD_0 src1_sel:DWORD
	v_cndmask_b32_e64 v62, v24, v2, s[4:5]
; %bb.1369:                             ;   in Loop: Header=BB397_603 Depth=1
	s_or_b64 exec, exec, s[12:13]
	v_lshrrev_b16_e32 v2, 8, v10
	v_cmp_ne_u16_e64 s[4:5], 0, v2
	v_mov_b32_e32 v33, 0
	s_and_saveexec_b64 s[12:13], s[4:5]
	s_cbranch_execz .LBB397_1375
; %bb.1370:                             ;   in Loop: Header=BB397_603 Depth=1
	v_cmp_ne_u16_e64 s[4:5], s28, v2
	v_bfrev_b32_e32 v33, 1
	s_and_saveexec_b64 s[24:25], s[4:5]
	s_cbranch_execz .LBB397_1374
; %bb.1371:                             ;   in Loop: Header=BB397_603 Depth=1
	v_and_b32_e32 v36, 0x7f, v2
	v_cmp_ne_u32_e64 s[4:5], s29, v36
	v_mov_b32_e32 v33, 0x7f800001
	s_and_saveexec_b64 s[26:27], s[4:5]
	s_cbranch_execz .LBB397_1373
; %bb.1372:                             ;   in Loop: Header=BB397_603 Depth=1
	v_and_b32_e32 v33, 7, v2
	v_ffbh_u32_e32 v24, v33
	v_min_u32_e32 v4, 32, v24
	v_subrev_u32_e32 v24, 28, v4
	v_lshlrev_b64 v[24:25], v24, v[2:3]
	v_accvgpr_write_b32 a12, v30
	v_lshrrev_b32_e32 v30, 3, v36
	v_sub_u32_e32 v2, 29, v4
	v_and_b32_e32 v4, 7, v24
	v_cmp_gt_u32_e64 s[4:5], 8, v36
	v_cndmask_b32_e64 v2, v30, v2, s[4:5]
	v_cndmask_b32_e64 v4, v33, v4, s[4:5]
	v_lshlrev_b32_e32 v10, 16, v10
	v_bfrev_b32_e32 v24, 60
	v_lshlrev_b32_e32 v4, 20, v4
	v_and_b32_e32 v10, 0x80000000, v10
	v_lshl_add_u32 v2, v2, 23, v24
	v_accvgpr_read_b32 v30, a12
	v_or3_b32 v33, v10, v2, v4
.LBB397_1373:                           ;   in Loop: Header=BB397_603 Depth=1
	s_or_b64 exec, exec, s[26:27]
.LBB397_1374:                           ;   in Loop: Header=BB397_603 Depth=1
	s_or_b64 exec, exec, s[24:25]
.LBB397_1375:                           ;   in Loop: Header=BB397_603 Depth=1
	s_or_b64 exec, exec, s[12:13]
	v_mul_f32_e32 v2, v26, v33
	v_and_b32_e32 v4, 0x7f800000, v2
	v_cmp_ne_u32_e64 s[4:5], s15, v4
                                        ; implicit-def: $vgpr10
	s_and_saveexec_b64 s[12:13], s[4:5]
	s_xor_b64 s[4:5], exec, s[12:13]
; %bb.1376:                             ;   in Loop: Header=BB397_603 Depth=1
	v_bfe_u32 v4, v2, 16, 1
	v_add3_u32 v10, v2, v4, s21
                                        ; implicit-def: $vgpr2
; %bb.1377:                             ;   in Loop: Header=BB397_603 Depth=1
	s_andn2_saveexec_b64 s[12:13], s[4:5]
; %bb.1378:                             ;   in Loop: Header=BB397_603 Depth=1
	v_or_b32_e32 v4, 0x10000, v2
	v_cmp_eq_u32_sdwa s[4:5], v2, v11 src0_sel:WORD_0 src1_sel:DWORD
	v_cndmask_b32_e64 v10, v4, v2, s[4:5]
; %bb.1379:                             ;   in Loop: Header=BB397_603 Depth=1
	s_or_b64 exec, exec, s[12:13]
	v_lshrrev_b32_e32 v2, 16, v1
	v_cmp_ne_u16_sdwa s[4:5], v2, v11 src0_sel:BYTE_0 src1_sel:DWORD
	v_mov_b32_e32 v33, 0
	s_and_saveexec_b64 s[12:13], s[4:5]
	s_cbranch_execz .LBB397_1385
; %bb.1380:                             ;   in Loop: Header=BB397_603 Depth=1
	v_cmp_ne_u16_sdwa s[4:5], v2, s28 src0_sel:BYTE_0 src1_sel:DWORD
	v_bfrev_b32_e32 v33, 1
	s_and_saveexec_b64 s[24:25], s[4:5]
	s_cbranch_execz .LBB397_1384
; %bb.1381:                             ;   in Loop: Header=BB397_603 Depth=1
	v_bfe_u32 v36, v1, 16, 7
	v_cmp_ne_u32_e64 s[4:5], s29, v36
	v_mov_b32_e32 v33, 0x7f800001
	s_and_saveexec_b64 s[26:27], s[4:5]
	s_cbranch_execz .LBB397_1383
; %bb.1382:                             ;   in Loop: Header=BB397_603 Depth=1
	v_and_b32_e32 v4, 7, v2
	v_ffbh_u32_e32 v24, v4
	v_min_u32_e32 v33, 32, v24
	v_subrev_u32_e32 v24, 28, v33
	v_lshlrev_b64 v[24:25], v24, v[2:3]
	v_accvgpr_write_b32 a12, v30
	v_lshrrev_b32_e32 v30, 3, v36
	v_sub_u32_e32 v25, 29, v33
	v_and_b32_e32 v24, 7, v24
	v_cmp_gt_u32_e64 s[4:5], 8, v36
	v_cndmask_b32_e64 v25, v30, v25, s[4:5]
	v_cndmask_b32_e64 v4, v4, v24, s[4:5]
	v_lshlrev_b32_e32 v2, 24, v2
	v_bfrev_b32_e32 v24, 60
	v_lshlrev_b32_e32 v4, 20, v4
	v_and_b32_e32 v2, 0x80000000, v2
	v_lshl_add_u32 v24, v25, 23, v24
	v_accvgpr_read_b32 v30, a12
	v_or3_b32 v33, v2, v24, v4
.LBB397_1383:                           ;   in Loop: Header=BB397_603 Depth=1
	s_or_b64 exec, exec, s[26:27]
.LBB397_1384:                           ;   in Loop: Header=BB397_603 Depth=1
	s_or_b64 exec, exec, s[24:25]
.LBB397_1385:                           ;   in Loop: Header=BB397_603 Depth=1
	s_or_b64 exec, exec, s[12:13]
	v_mul_f32_e32 v33, v26, v33
	v_and_b32_e32 v2, 0x7f800000, v33
	v_cmp_ne_u32_e64 s[4:5], s15, v2
                                        ; implicit-def: $vgpr2
	s_and_saveexec_b64 s[12:13], s[4:5]
	s_xor_b64 s[4:5], exec, s[12:13]
; %bb.1386:                             ;   in Loop: Header=BB397_603 Depth=1
	v_bfe_u32 v2, v33, 16, 1
	v_add3_u32 v2, v33, v2, s21
                                        ; implicit-def: $vgpr33
; %bb.1387:                             ;   in Loop: Header=BB397_603 Depth=1
	s_andn2_saveexec_b64 s[12:13], s[4:5]
; %bb.1388:                             ;   in Loop: Header=BB397_603 Depth=1
	v_or_b32_e32 v2, 0x10000, v33
	v_cmp_eq_u32_sdwa s[4:5], v33, v11 src0_sel:WORD_0 src1_sel:DWORD
	v_cndmask_b32_e64 v2, v2, v33, s[4:5]
; %bb.1389:                             ;   in Loop: Header=BB397_603 Depth=1
	s_or_b64 exec, exec, s[12:13]
	v_cmp_lt_u64_e64 s[4:5], s[8:9], v[0:1]
	v_mov_b32_e32 v33, 0
	s_and_saveexec_b64 s[12:13], s[4:5]
	s_cbranch_execz .LBB397_1395
; %bb.1390:                             ;   in Loop: Header=BB397_603 Depth=1
	v_lshrrev_b32_e32 v0, 24, v1
	v_cmp_ne_u32_e64 s[4:5], s28, v0
	v_bfrev_b32_e32 v33, 1
	s_and_saveexec_b64 s[24:25], s[4:5]
	s_cbranch_execz .LBB397_1394
; %bb.1391:                             ;   in Loop: Header=BB397_603 Depth=1
	v_bfe_u32 v1, v1, 24, 7
	v_cmp_ne_u32_e64 s[4:5], s29, v1
	v_mov_b32_e32 v33, 0x7f800001
	s_and_saveexec_b64 s[26:27], s[4:5]
	s_cbranch_execz .LBB397_1393
; %bb.1392:                             ;   in Loop: Header=BB397_603 Depth=1
	v_and_b32_e32 v4, 7, v0
	v_ffbh_u32_e32 v24, v4
	v_min_u32_e32 v33, 32, v24
	v_subrev_u32_e32 v24, 28, v33
	v_lshlrev_b64 v[24:25], v24, v[0:1]
	v_mov_b32_e32 v36, v30
	v_lshrrev_b32_e32 v30, 3, v1
	v_sub_u32_e32 v25, 29, v33
	v_and_b32_e32 v24, 7, v24
	v_cmp_gt_u32_e64 s[4:5], 8, v1
	v_cndmask_b32_e64 v1, v30, v25, s[4:5]
	v_cndmask_b32_e64 v4, v4, v24, s[4:5]
	v_lshlrev_b32_e32 v0, 24, v0
	v_bfrev_b32_e32 v24, 60
	v_lshlrev_b32_e32 v4, 20, v4
	v_and_b32_e32 v0, 0x80000000, v0
	v_lshl_add_u32 v1, v1, 23, v24
	v_mov_b32_e32 v30, v36
	v_or3_b32 v33, v0, v1, v4
.LBB397_1393:                           ;   in Loop: Header=BB397_603 Depth=1
	s_or_b64 exec, exec, s[26:27]
.LBB397_1394:                           ;   in Loop: Header=BB397_603 Depth=1
	s_or_b64 exec, exec, s[24:25]
.LBB397_1395:                           ;   in Loop: Header=BB397_603 Depth=1
	s_or_b64 exec, exec, s[12:13]
	v_mul_f32_e32 v0, v26, v33
	v_and_b32_e32 v1, 0x7f800000, v0
	v_cmp_ne_u32_e64 s[4:5], s15, v1
                                        ; implicit-def: $vgpr36
	s_and_saveexec_b64 s[12:13], s[4:5]
	s_xor_b64 s[4:5], exec, s[12:13]
; %bb.1396:                             ;   in Loop: Header=BB397_603 Depth=1
	v_bfe_u32 v1, v0, 16, 1
	v_add3_u32 v36, v0, v1, s21
                                        ; implicit-def: $vgpr0
; %bb.1397:                             ;   in Loop: Header=BB397_603 Depth=1
	s_andn2_saveexec_b64 s[12:13], s[4:5]
; %bb.1398:                             ;   in Loop: Header=BB397_603 Depth=1
	v_or_b32_e32 v1, 0x10000, v0
	v_cmp_eq_u32_sdwa s[4:5], v0, v11 src0_sel:WORD_0 src1_sel:DWORD
	v_cndmask_b32_e64 v36, v1, v0, s[4:5]
; %bb.1399:                             ;   in Loop: Header=BB397_603 Depth=1
	s_or_b64 exec, exec, s[12:13]
	v_lshrrev_b32_e32 v33, 16, v10
	v_lshrrev_b32_e32 v62, 16, v62
	v_lshrrev_b32_e32 v10, 16, v61
	v_lshrrev_b32_e32 v60, 16, v60
	v_lshrrev_b32_e32 v1, 16, v59
	v_lshrrev_b32_e32 v0, 16, v58
	v_lshrrev_b32_e32 v59, 16, v2
	v_lshrrev_b32_e32 v58, 16, v36
	s_and_saveexec_b64 s[4:5], vcc
	s_cbranch_execz .LBB397_1401
; %bb.1400:                             ;   in Loop: Header=BB397_603 Depth=1
	v_accvgpr_read_b32 v2, a20
	v_cmp_lt_i32_e32 vcc, v2, v32
	v_accvgpr_read_b32 v2, a26
	v_cndmask_b32_e32 v0, 0, v0, vcc
	v_cmp_lt_i32_e32 vcc, v2, v32
	v_accvgpr_read_b32 v2, a25
	v_cndmask_b32_e32 v1, 0, v1, vcc
	;; [unrolled: 3-line block ×6, first 2 shown]
	v_cmp_lt_i32_e32 vcc, v2, v32
	v_cndmask_b32_e32 v59, 0, v59, vcc
	v_cmp_lt_i32_e32 vcc, v17, v32
	v_cndmask_b32_e32 v58, 0, v58, vcc
.LBB397_1401:                           ;   in Loop: Header=BB397_603 Depth=1
	s_or_b64 exec, exec, s[4:5]
	v_lshlrev_b32_e32 v0, 16, v0
	v_mul_f32_e32 v2, v41, v0
	v_and_b32_e32 v0, 0x7f800000, v2
	v_cmp_ne_u32_e32 vcc, s15, v0
                                        ; implicit-def: $vgpr0
	s_and_saveexec_b64 s[4:5], vcc
	s_xor_b64 s[4:5], exec, s[4:5]
; %bb.1402:                             ;   in Loop: Header=BB397_603 Depth=1
	v_bfe_u32 v0, v2, 16, 1
	v_add3_u32 v0, v2, v0, s21
                                        ; implicit-def: $vgpr2
; %bb.1403:                             ;   in Loop: Header=BB397_603 Depth=1
	s_andn2_saveexec_b64 s[4:5], s[4:5]
; %bb.1404:                             ;   in Loop: Header=BB397_603 Depth=1
	v_or_b32_e32 v0, 0x10000, v2
	v_cmp_eq_u32_sdwa vcc, v2, v11 src0_sel:WORD_0 src1_sel:DWORD
	v_cndmask_b32_e32 v0, v0, v2, vcc
; %bb.1405:                             ;   in Loop: Header=BB397_603 Depth=1
	s_or_b64 exec, exec, s[4:5]
	v_lshlrev_b32_e32 v1, 16, v1
	v_mul_f32_e32 v2, v42, v1
	v_and_b32_e32 v1, 0x7f800000, v2
	v_cmp_ne_u32_e32 vcc, s15, v1
                                        ; implicit-def: $vgpr1
	s_and_saveexec_b64 s[4:5], vcc
	s_xor_b64 s[4:5], exec, s[4:5]
; %bb.1406:                             ;   in Loop: Header=BB397_603 Depth=1
	v_bfe_u32 v1, v2, 16, 1
	v_add3_u32 v1, v2, v1, s21
                                        ; implicit-def: $vgpr2
; %bb.1407:                             ;   in Loop: Header=BB397_603 Depth=1
	s_andn2_saveexec_b64 s[4:5], s[4:5]
; %bb.1408:                             ;   in Loop: Header=BB397_603 Depth=1
	v_or_b32_e32 v1, 0x10000, v2
	v_cmp_eq_u32_sdwa vcc, v2, v11 src0_sel:WORD_0 src1_sel:DWORD
	v_cndmask_b32_e32 v1, v1, v2, vcc
; %bb.1409:                             ;   in Loop: Header=BB397_603 Depth=1
	s_or_b64 exec, exec, s[4:5]
	v_lshlrev_b32_e32 v2, 16, v60
	v_mul_f32_e32 v36, v43, v2
	v_and_b32_e32 v2, 0x7f800000, v36
	v_cmp_ne_u32_e32 vcc, s15, v2
                                        ; implicit-def: $vgpr2
	s_and_saveexec_b64 s[4:5], vcc
	s_xor_b64 s[4:5], exec, s[4:5]
; %bb.1410:                             ;   in Loop: Header=BB397_603 Depth=1
	v_bfe_u32 v2, v36, 16, 1
	v_add3_u32 v2, v36, v2, s21
                                        ; implicit-def: $vgpr36
; %bb.1411:                             ;   in Loop: Header=BB397_603 Depth=1
	s_andn2_saveexec_b64 s[4:5], s[4:5]
; %bb.1412:                             ;   in Loop: Header=BB397_603 Depth=1
	v_or_b32_e32 v2, 0x10000, v36
	v_cmp_eq_u32_sdwa vcc, v36, v11 src0_sel:WORD_0 src1_sel:DWORD
	v_cndmask_b32_e32 v2, v2, v36, vcc
; %bb.1413:                             ;   in Loop: Header=BB397_603 Depth=1
	s_or_b64 exec, exec, s[4:5]
	v_lshlrev_b32_e32 v4, 16, v10
	v_mul_f32_e32 v36, v44, v4
	v_and_b32_e32 v4, 0x7f800000, v36
	v_cmp_ne_u32_e32 vcc, s15, v4
                                        ; implicit-def: $vgpr10
	s_and_saveexec_b64 s[4:5], vcc
	s_xor_b64 s[4:5], exec, s[4:5]
; %bb.1414:                             ;   in Loop: Header=BB397_603 Depth=1
	v_bfe_u32 v4, v36, 16, 1
	v_add3_u32 v10, v36, v4, s21
                                        ; implicit-def: $vgpr36
; %bb.1415:                             ;   in Loop: Header=BB397_603 Depth=1
	s_andn2_saveexec_b64 s[4:5], s[4:5]
; %bb.1416:                             ;   in Loop: Header=BB397_603 Depth=1
	v_or_b32_e32 v4, 0x10000, v36
	v_cmp_eq_u32_sdwa vcc, v36, v11 src0_sel:WORD_0 src1_sel:DWORD
	v_cndmask_b32_e32 v10, v4, v36, vcc
; %bb.1417:                             ;   in Loop: Header=BB397_603 Depth=1
	s_or_b64 exec, exec, s[4:5]
	v_lshlrev_b32_e32 v4, 16, v62
	v_mul_f32_e32 v36, v45, v4
	v_and_b32_e32 v4, 0x7f800000, v36
	v_cmp_ne_u32_e32 vcc, s15, v4
                                        ; implicit-def: $vgpr41
	s_and_saveexec_b64 s[4:5], vcc
	s_xor_b64 s[4:5], exec, s[4:5]
; %bb.1418:                             ;   in Loop: Header=BB397_603 Depth=1
	v_bfe_u32 v4, v36, 16, 1
	v_add3_u32 v41, v36, v4, s21
                                        ; implicit-def: $vgpr36
; %bb.1419:                             ;   in Loop: Header=BB397_603 Depth=1
	s_andn2_saveexec_b64 s[4:5], s[4:5]
; %bb.1420:                             ;   in Loop: Header=BB397_603 Depth=1
	v_or_b32_e32 v4, 0x10000, v36
	v_cmp_eq_u32_sdwa vcc, v36, v11 src0_sel:WORD_0 src1_sel:DWORD
	v_cndmask_b32_e32 v41, v4, v36, vcc
; %bb.1421:                             ;   in Loop: Header=BB397_603 Depth=1
	s_or_b64 exec, exec, s[4:5]
	v_lshlrev_b32_e32 v4, 16, v33
	v_mul_f32_e32 v33, v46, v4
	v_and_b32_e32 v4, 0x7f800000, v33
	v_cmp_ne_u32_e32 vcc, s15, v4
                                        ; implicit-def: $vgpr42
	s_and_saveexec_b64 s[4:5], vcc
	s_xor_b64 s[4:5], exec, s[4:5]
; %bb.1422:                             ;   in Loop: Header=BB397_603 Depth=1
	v_bfe_u32 v4, v33, 16, 1
	v_add3_u32 v42, v33, v4, s21
                                        ; implicit-def: $vgpr33
; %bb.1423:                             ;   in Loop: Header=BB397_603 Depth=1
	s_andn2_saveexec_b64 s[4:5], s[4:5]
; %bb.1424:                             ;   in Loop: Header=BB397_603 Depth=1
	v_or_b32_e32 v4, 0x10000, v33
	v_cmp_eq_u32_sdwa vcc, v33, v11 src0_sel:WORD_0 src1_sel:DWORD
	v_cndmask_b32_e32 v42, v4, v33, vcc
; %bb.1425:                             ;   in Loop: Header=BB397_603 Depth=1
	s_or_b64 exec, exec, s[4:5]
	v_lshlrev_b32_e32 v4, 16, v59
	v_mul_f32_e32 v36, v47, v4
	v_and_b32_e32 v4, 0x7f800000, v36
	v_cmp_ne_u32_e32 vcc, s15, v4
                                        ; implicit-def: $vgpr33
	s_and_saveexec_b64 s[4:5], vcc
	s_xor_b64 s[4:5], exec, s[4:5]
; %bb.1426:                             ;   in Loop: Header=BB397_603 Depth=1
	v_bfe_u32 v4, v36, 16, 1
	v_add3_u32 v33, v36, v4, s21
                                        ; implicit-def: $vgpr36
; %bb.1427:                             ;   in Loop: Header=BB397_603 Depth=1
	s_andn2_saveexec_b64 s[4:5], s[4:5]
; %bb.1428:                             ;   in Loop: Header=BB397_603 Depth=1
	v_or_b32_e32 v4, 0x10000, v36
	v_cmp_eq_u32_sdwa vcc, v36, v11 src0_sel:WORD_0 src1_sel:DWORD
	v_cndmask_b32_e32 v33, v4, v36, vcc
; %bb.1429:                             ;   in Loop: Header=BB397_603 Depth=1
	s_or_b64 exec, exec, s[4:5]
	v_lshlrev_b32_e32 v4, 16, v58
	v_mul_f32_e32 v36, v56, v4
	v_and_b32_e32 v4, 0x7f800000, v36
	v_cmp_ne_u32_e32 vcc, s15, v4
                                        ; implicit-def: $vgpr43
	s_and_saveexec_b64 s[4:5], vcc
	s_xor_b64 s[4:5], exec, s[4:5]
; %bb.1430:                             ;   in Loop: Header=BB397_603 Depth=1
	v_bfe_u32 v4, v36, 16, 1
	v_add3_u32 v43, v36, v4, s21
                                        ; implicit-def: $vgpr36
; %bb.1431:                             ;   in Loop: Header=BB397_603 Depth=1
	s_andn2_saveexec_b64 s[4:5], s[4:5]
	s_cbranch_execz .LBB397_602
; %bb.1432:                             ;   in Loop: Header=BB397_603 Depth=1
	v_or_b32_e32 v4, 0x10000, v36
	v_cmp_eq_u32_sdwa vcc, v36, v11 src0_sel:WORD_0 src1_sel:DWORD
	v_cndmask_b32_e32 v43, v4, v36, vcc
	s_branch .LBB397_602
.LBB397_1433:
	s_or_b64 exec, exec, s[10:11]
	v_accvgpr_read_b32 v22, a5
	v_accvgpr_read_b32 v23, a6
	v_accvgpr_read_b32 v24, a7
	v_accvgpr_read_b32 v25, a8
.LBB397_1434:
	s_or_b64 exec, exec, s[6:7]
	ds_bpermute_b32 v2, v23, v18
	ds_bpermute_b32 v3, v23, v19
	s_waitcnt lgkmcnt(0)
	s_barrier
	ds_bpermute_b32 v0, v23, v20
	v_pk_add_f32 v[2:3], v[18:19], v[2:3]
	ds_bpermute_b32 v10, v24, v2
	ds_bpermute_b32 v11, v24, v3
	;; [unrolled: 1-line block ×6, first 2 shown]
	s_waitcnt lgkmcnt(0)
	v_pk_add_f32 v[2:3], v[2:3], v[10:11]
	buffer_load_dword v10, off, s[0:3], s32 offset:236 ; 4-byte Folded Reload
	v_pk_add_f32 v[0:1], v[20:21], v[0:1]
	ds_bpermute_b32 v4, v24, v0
	ds_bpermute_b32 v5, v24, v1
	v_pk_add_f32 v[6:7], v[12:13], v[6:7]
	v_add_f32_e32 v14, v34, v8
	ds_bpermute_b32 v12, v24, v6
	ds_bpermute_b32 v13, v24, v7
	;; [unrolled: 1-line block ×3, first 2 shown]
	s_waitcnt lgkmcnt(0)
	v_pk_add_f32 v[8:9], v[0:1], v[4:5]
	v_pk_add_f32 v[0:1], v[6:7], v[12:13]
	v_add_f32_e32 v6, v14, v15
	s_waitcnt vmcnt(0)
	v_and_b32_e32 v4, 0x3c3, v10
	v_cmp_eq_u32_e32 vcc, 64, v4
	s_and_saveexec_b64 s[4:5], vcc
	s_cbranch_execz .LBB397_1436
; %bb.1435:
	s_ashr_i32 s21, s20, 31
	s_lshl_b64 s[6:7], s[20:21], 2
	s_getpc_b64 s[8:9]
	s_add_u32 s8, s8, llvm.amdgcn.dynlds.offset.table@rel32@lo+4
	s_addc_u32 s9, s9, llvm.amdgcn.dynlds.offset.table@rel32@hi+12
	s_add_u32 s6, s6, s8
	s_addc_u32 s7, s7, s9
	s_load_dword s6, s[6:7], 0x0
	s_waitcnt lgkmcnt(0)
	v_add_u32_e32 v4, s6, v22
	ds_write2_b32 v4, v8, v9 offset1:16
	ds_write2_b32 v4, v2, v3 offset0:32 offset1:48
	ds_write2_b32 v4, v0, v1 offset0:64 offset1:80
	ds_write_b32 v4, v6 offset:384
.LBB397_1436:
	s_or_b64 exec, exec, s[4:5]
	v_cmp_gt_u32_e32 vcc, 64, v10
	s_waitcnt lgkmcnt(0)
	s_barrier
	s_and_saveexec_b64 s[6:7], vcc
	s_cbranch_execz .LBB397_1446
; %bb.1437:
	v_cmp_eq_u32_e64 s[4:5], 0, v25
	v_lshrrev_b32_e32 v4, 2, v10
	s_and_saveexec_b64 s[8:9], s[4:5]
	s_cbranch_execnz .LBB397_1478
; %bb.1438:
	s_or_b64 exec, exec, s[8:9]
	s_and_saveexec_b64 s[8:9], s[4:5]
	s_cbranch_execnz .LBB397_1479
.LBB397_1439:
	s_or_b64 exec, exec, s[8:9]
	s_and_saveexec_b64 s[8:9], s[4:5]
	s_cbranch_execnz .LBB397_1480
.LBB397_1440:
	s_or_b64 exec, exec, s[8:9]
	s_and_saveexec_b64 s[8:9], s[4:5]
	s_cbranch_execnz .LBB397_1481
.LBB397_1441:
	s_or_b64 exec, exec, s[8:9]
	s_and_saveexec_b64 s[8:9], s[4:5]
	s_cbranch_execnz .LBB397_1482
.LBB397_1442:
	s_or_b64 exec, exec, s[8:9]
	s_and_saveexec_b64 s[8:9], s[4:5]
	s_cbranch_execnz .LBB397_1483
.LBB397_1443:
	s_or_b64 exec, exec, s[8:9]
	s_and_saveexec_b64 s[8:9], s[4:5]
	s_cbranch_execz .LBB397_1445
.LBB397_1444:
	s_ashr_i32 s21, s20, 31
	s_lshl_b64 s[4:5], s[20:21], 2
	s_getpc_b64 s[10:11]
	s_add_u32 s10, s10, llvm.amdgcn.dynlds.offset.table@rel32@lo+4
	s_addc_u32 s11, s11, llvm.amdgcn.dynlds.offset.table@rel32@hi+12
	s_add_u32 s4, s4, s10
	s_addc_u32 s5, s5, s11
	s_load_dword s4, s[4:5], 0x0
	s_waitcnt lgkmcnt(0)
	v_lshl_add_u32 v4, v4, 2, s4
	ds_read_b32 v4, v4 offset:384
	s_waitcnt lgkmcnt(0)
	v_add_f32_e32 v6, v6, v4
.LBB397_1445:
	s_or_b64 exec, exec, s[8:9]
.LBB397_1446:
	s_or_b64 exec, exec, s[6:7]
	s_barrier
	s_and_b64 exec, exec, vcc
	s_cbranch_execz .LBB397_1477
; %bb.1447:
	v_cmp_eq_u32_e32 vcc, 0, v25
	s_and_b64 exec, exec, vcc
	s_cbranch_execz .LBB397_1477
; %bb.1448:
	s_mov_b32 s4, 0x7f800000
	v_and_b32_e32 v4, 0x7f800000, v8
	v_cmp_ne_u32_e32 vcc, s4, v4
                                        ; implicit-def: $vgpr4
	s_and_saveexec_b64 s[4:5], vcc
	s_xor_b64 s[4:5], exec, s[4:5]
; %bb.1449:
	v_bfe_u32 v4, v8, 16, 1
	s_movk_i32 s6, 0x7fff
	v_add3_u32 v4, v8, v4, s6
; %bb.1450:
	s_andn2_saveexec_b64 s[4:5], s[4:5]
; %bb.1451:
	v_mov_b32_e32 v4, 0
	v_or_b32_e32 v5, 0x10000, v8
	v_cmp_eq_u32_sdwa vcc, v8, v4 src0_sel:WORD_0 src1_sel:DWORD
	v_cndmask_b32_e32 v4, v5, v8, vcc
; %bb.1452:
	s_or_b64 exec, exec, s[4:5]
	buffer_load_dword v7, off, s[0:3], s32 offset:244 ; 4-byte Folded Reload
	buffer_load_dword v8, off, s[0:3], s32 offset:240 ; 4-byte Folded Reload
	s_mul_i32 s4, s23, s18
	s_mul_i32 s4, s4, s19
	s_mulk_i32 s4, 0x70
	s_mul_i32 s6, s22, s23
	s_mul_i32 s8, s14, 0x70
	s_ashr_i32 s5, s4, 31
	s_ashr_i32 s7, s6, 31
	;; [unrolled: 1-line block ×3, first 2 shown]
	s_lshl_b64 s[4:5], s[4:5], 1
	s_lshl_b64 s[6:7], s[6:7], 1
	;; [unrolled: 1-line block ×3, first 2 shown]
	s_add_u32 s6, s8, s6
	s_addc_u32 s7, s9, s7
	s_add_u32 s4, s6, s4
	s_addc_u32 s5, s7, s5
	v_mov_b32_e32 v5, s5
	s_waitcnt vmcnt(1)
	v_add_co_u32_e32 v7, vcc, s4, v7
	s_waitcnt vmcnt(0)
	v_addc_co_u32_e32 v5, vcc, v5, v8, vcc
	v_lshrrev_b32_e32 v8, 1, v10
	v_and_b32_e32 v8, 0x1fe, v8
	v_add_co_u32_e32 v10, vcc, v7, v8
	v_addc_co_u32_e32 v11, vcc, 0, v5, vcc
	flat_store_short_d16_hi v[10:11], v4
	s_mov_b32 s4, 0x7f800000
	v_and_b32_e32 v4, 0x7f800000, v9
	v_cmp_ne_u32_e32 vcc, s4, v4
                                        ; implicit-def: $vgpr4
	s_and_saveexec_b64 s[4:5], vcc
	s_xor_b64 s[4:5], exec, s[4:5]
; %bb.1453:
	v_bfe_u32 v4, v9, 16, 1
	s_movk_i32 s6, 0x7fff
	v_add3_u32 v4, v9, v4, s6
; %bb.1454:
	s_andn2_saveexec_b64 s[4:5], s[4:5]
; %bb.1455:
	v_mov_b32_e32 v4, 0
	v_or_b32_e32 v5, 0x10000, v9
	v_cmp_eq_u32_sdwa vcc, v9, v4 src0_sel:WORD_0 src1_sel:DWORD
	v_cndmask_b32_e32 v4, v5, v9, vcc
; %bb.1456:
	s_or_b64 exec, exec, s[4:5]
	flat_store_short_d16_hi v[10:11], v4 offset:32
	s_mov_b32 s4, 0x7f800000
	v_and_b32_e32 v4, 0x7f800000, v2
	v_cmp_ne_u32_e32 vcc, s4, v4
                                        ; implicit-def: $vgpr4
	s_and_saveexec_b64 s[4:5], vcc
	s_xor_b64 s[4:5], exec, s[4:5]
; %bb.1457:
	v_bfe_u32 v4, v2, 16, 1
	s_movk_i32 s6, 0x7fff
	v_add3_u32 v4, v2, v4, s6
; %bb.1458:
	s_andn2_saveexec_b64 s[4:5], s[4:5]
; %bb.1459:
	v_mov_b32_e32 v4, 0
	v_or_b32_e32 v5, 0x10000, v2
	v_cmp_eq_u32_sdwa vcc, v2, v4 src0_sel:WORD_0 src1_sel:DWORD
	v_cndmask_b32_e32 v4, v5, v2, vcc
; %bb.1460:
	s_or_b64 exec, exec, s[4:5]
	s_mov_b32 s4, 0x7f800000
	v_and_b32_e32 v2, 0x7f800000, v3
	v_cmp_ne_u32_e32 vcc, s4, v2
	flat_store_short_d16_hi v[10:11], v4 offset:64
                                        ; implicit-def: $vgpr2
	s_and_saveexec_b64 s[4:5], vcc
	s_xor_b64 s[4:5], exec, s[4:5]
; %bb.1461:
	v_bfe_u32 v2, v3, 16, 1
	s_movk_i32 s6, 0x7fff
	v_add3_u32 v2, v3, v2, s6
; %bb.1462:
	s_andn2_saveexec_b64 s[4:5], s[4:5]
; %bb.1463:
	v_mov_b32_e32 v2, 0
	v_or_b32_e32 v4, 0x10000, v3
	v_cmp_eq_u32_sdwa vcc, v3, v2 src0_sel:WORD_0 src1_sel:DWORD
	v_cndmask_b32_e32 v2, v4, v3, vcc
; %bb.1464:
	s_or_b64 exec, exec, s[4:5]
	flat_store_short_d16_hi v[10:11], v2 offset:96
	s_mov_b32 s4, 0x7f800000
	v_and_b32_e32 v2, 0x7f800000, v0
	v_cmp_ne_u32_e32 vcc, s4, v2
                                        ; implicit-def: $vgpr2
	s_and_saveexec_b64 s[4:5], vcc
	s_xor_b64 s[4:5], exec, s[4:5]
; %bb.1465:
	v_bfe_u32 v2, v0, 16, 1
	s_movk_i32 s6, 0x7fff
	v_add3_u32 v2, v0, v2, s6
; %bb.1466:
	s_andn2_saveexec_b64 s[4:5], s[4:5]
; %bb.1467:
	v_mov_b32_e32 v2, 0
	v_or_b32_e32 v3, 0x10000, v0
	v_cmp_eq_u32_sdwa vcc, v0, v2 src0_sel:WORD_0 src1_sel:DWORD
	v_cndmask_b32_e32 v2, v3, v0, vcc
; %bb.1468:
	s_or_b64 exec, exec, s[4:5]
	s_mov_b32 s4, 0x7f800000
	v_and_b32_e32 v0, 0x7f800000, v1
	v_cmp_ne_u32_e32 vcc, s4, v0
	flat_store_short_d16_hi v[10:11], v2 offset:128
                                        ; implicit-def: $vgpr0
	s_and_saveexec_b64 s[4:5], vcc
	s_xor_b64 s[4:5], exec, s[4:5]
; %bb.1469:
	v_bfe_u32 v0, v1, 16, 1
	s_movk_i32 s6, 0x7fff
	v_add3_u32 v0, v1, v0, s6
; %bb.1470:
	s_andn2_saveexec_b64 s[4:5], s[4:5]
; %bb.1471:
	v_mov_b32_e32 v0, 0
	v_or_b32_e32 v2, 0x10000, v1
	v_cmp_eq_u32_sdwa vcc, v1, v0 src0_sel:WORD_0 src1_sel:DWORD
	v_cndmask_b32_e32 v0, v2, v1, vcc
; %bb.1472:
	s_or_b64 exec, exec, s[4:5]
	flat_store_short_d16_hi v[10:11], v0 offset:160
	s_mov_b32 s4, 0x7f800000
	v_and_b32_e32 v0, 0x7f800000, v6
	v_cmp_ne_u32_e32 vcc, s4, v0
                                        ; implicit-def: $vgpr7
	s_and_saveexec_b64 s[4:5], vcc
	s_xor_b64 s[4:5], exec, s[4:5]
; %bb.1473:
	v_bfe_u32 v0, v6, 16, 1
	s_movk_i32 s6, 0x7fff
	v_add3_u32 v7, v6, v0, s6
                                        ; implicit-def: $vgpr0_vgpr1_vgpr2_vgpr3_vgpr4_vgpr5_vgpr6
; %bb.1474:
	s_andn2_saveexec_b64 s[4:5], s[4:5]
; %bb.1475:
	v_mov_b32_e32 v0, 0
	v_or_b32_e32 v1, 0x10000, v6
	v_cmp_eq_u32_sdwa vcc, v6, v0 src0_sel:WORD_0 src1_sel:DWORD
	v_cndmask_b32_e32 v7, v1, v6, vcc
; %bb.1476:
	s_or_b64 exec, exec, s[4:5]
	flat_store_short_d16_hi v[10:11], v7 offset:192
.LBB397_1477:
	s_or_b64 exec, exec, s[16:17]
	buffer_load_dword a63, off, s[0:3], s32 ; 4-byte Folded Reload
	buffer_load_dword a62, off, s[0:3], s32 offset:4 ; 4-byte Folded Reload
	buffer_load_dword a61, off, s[0:3], s32 offset:8 ; 4-byte Folded Reload
	;; [unrolled: 1-line block ×46, first 2 shown]
	v_readlane_b32 s30, v63, 7
	v_readlane_b32 s31, v63, 8
	;; [unrolled: 1-line block ×9, first 2 shown]
	s_or_saveexec_b64 s[4:5], -1
	buffer_load_dword v63, off, s[0:3], s32 offset:324 ; 4-byte Folded Reload
	s_mov_b64 exec, s[4:5]
	s_waitcnt vmcnt(0) lgkmcnt(0)
	s_setpc_b64 s[30:31]
.LBB397_1478:
	s_ashr_i32 s21, s20, 31
	s_lshl_b64 s[10:11], s[20:21], 2
	s_getpc_b64 s[12:13]
	s_add_u32 s12, s12, llvm.amdgcn.dynlds.offset.table@rel32@lo+4
	s_addc_u32 s13, s13, llvm.amdgcn.dynlds.offset.table@rel32@hi+12
	s_add_u32 s10, s10, s12
	s_addc_u32 s11, s11, s13
	s_load_dword s10, s[10:11], 0x0
	s_waitcnt lgkmcnt(0)
	v_lshl_add_u32 v5, v4, 2, s10
	ds_read_b32 v5, v5
	s_waitcnt lgkmcnt(0)
	v_add_f32_e32 v8, v8, v5
	s_or_b64 exec, exec, s[8:9]
	s_and_saveexec_b64 s[8:9], s[4:5]
	s_cbranch_execz .LBB397_1439
.LBB397_1479:
	s_ashr_i32 s21, s20, 31
	s_lshl_b64 s[10:11], s[20:21], 2
	s_getpc_b64 s[12:13]
	s_add_u32 s12, s12, llvm.amdgcn.dynlds.offset.table@rel32@lo+4
	s_addc_u32 s13, s13, llvm.amdgcn.dynlds.offset.table@rel32@hi+12
	s_add_u32 s10, s10, s12
	s_addc_u32 s11, s11, s13
	s_load_dword s10, s[10:11], 0x0
	s_waitcnt lgkmcnt(0)
	v_lshl_add_u32 v5, v4, 2, s10
	ds_read_b32 v5, v5 offset:64
	s_waitcnt lgkmcnt(0)
	v_add_f32_e32 v9, v9, v5
	s_or_b64 exec, exec, s[8:9]
	s_and_saveexec_b64 s[8:9], s[4:5]
	s_cbranch_execz .LBB397_1440
.LBB397_1480:
	s_ashr_i32 s21, s20, 31
	s_lshl_b64 s[10:11], s[20:21], 2
	s_getpc_b64 s[12:13]
	s_add_u32 s12, s12, llvm.amdgcn.dynlds.offset.table@rel32@lo+4
	s_addc_u32 s13, s13, llvm.amdgcn.dynlds.offset.table@rel32@hi+12
	s_add_u32 s10, s10, s12
	s_addc_u32 s11, s11, s13
	s_load_dword s10, s[10:11], 0x0
	s_waitcnt lgkmcnt(0)
	v_lshl_add_u32 v5, v4, 2, s10
	ds_read_b32 v5, v5 offset:128
	s_waitcnt lgkmcnt(0)
	v_add_f32_e32 v2, v2, v5
	s_or_b64 exec, exec, s[8:9]
	s_and_saveexec_b64 s[8:9], s[4:5]
	s_cbranch_execz .LBB397_1441
.LBB397_1481:
	s_ashr_i32 s21, s20, 31
	s_lshl_b64 s[10:11], s[20:21], 2
	s_getpc_b64 s[12:13]
	s_add_u32 s12, s12, llvm.amdgcn.dynlds.offset.table@rel32@lo+4
	s_addc_u32 s13, s13, llvm.amdgcn.dynlds.offset.table@rel32@hi+12
	s_add_u32 s10, s10, s12
	s_addc_u32 s11, s11, s13
	s_load_dword s10, s[10:11], 0x0
	s_waitcnt lgkmcnt(0)
	v_lshl_add_u32 v5, v4, 2, s10
	ds_read_b32 v5, v5 offset:192
	s_waitcnt lgkmcnt(0)
	v_add_f32_e32 v3, v3, v5
	s_or_b64 exec, exec, s[8:9]
	s_and_saveexec_b64 s[8:9], s[4:5]
	s_cbranch_execz .LBB397_1442
.LBB397_1482:
	s_ashr_i32 s21, s20, 31
	s_lshl_b64 s[10:11], s[20:21], 2
	s_getpc_b64 s[12:13]
	s_add_u32 s12, s12, llvm.amdgcn.dynlds.offset.table@rel32@lo+4
	s_addc_u32 s13, s13, llvm.amdgcn.dynlds.offset.table@rel32@hi+12
	s_add_u32 s10, s10, s12
	s_addc_u32 s11, s11, s13
	s_load_dword s10, s[10:11], 0x0
	s_waitcnt lgkmcnt(0)
	v_lshl_add_u32 v5, v4, 2, s10
	ds_read_b32 v5, v5 offset:256
	s_waitcnt lgkmcnt(0)
	v_add_f32_e32 v0, v0, v5
	s_or_b64 exec, exec, s[8:9]
	s_and_saveexec_b64 s[8:9], s[4:5]
	s_cbranch_execz .LBB397_1443
.LBB397_1483:
	s_ashr_i32 s21, s20, 31
	s_lshl_b64 s[10:11], s[20:21], 2
	s_getpc_b64 s[12:13]
	s_add_u32 s12, s12, llvm.amdgcn.dynlds.offset.table@rel32@lo+4
	s_addc_u32 s13, s13, llvm.amdgcn.dynlds.offset.table@rel32@hi+12
	s_add_u32 s10, s10, s12
	s_addc_u32 s11, s11, s13
	s_load_dword s10, s[10:11], 0x0
	s_waitcnt lgkmcnt(0)
	v_lshl_add_u32 v5, v4, 2, s10
	ds_read_b32 v5, v5 offset:320
	s_waitcnt lgkmcnt(0)
	v_add_f32_e32 v1, v1, v5
	s_or_b64 exec, exec, s[8:9]
	s_and_saveexec_b64 s[8:9], s[4:5]
	s_cbranch_execnz .LBB397_1444
	s_branch .LBB397_1445
.Lfunc_end397:
	.size	_ZN4vllm22paged_attention_kernelI14__hip_bfloat16hLi112ELi32ELi128ELNS_18Fp8KVCacheDataTypeE1ELb0ELi512EEEvPfS3_PT_PKS4_PKT0_SA_ifPKiSC_iPKfiiiSE_SE_iiiii, .Lfunc_end397-_ZN4vllm22paged_attention_kernelI14__hip_bfloat16hLi112ELi32ELi128ELNS_18Fp8KVCacheDataTypeE1ELb0ELi512EEEvPfS3_PT_PKS4_PKT0_SA_ifPKiSC_iPKfiiiSE_SE_iiiii
                                        ; -- End function
	.section	.AMDGPU.csdata,"",@progbits
; Function info:
; codeLenInByte = 45608
; NumSgprs: 45
; NumVgprs: 64
; NumAgprs: 64
; TotalNumVgprs: 128
; ScratchSize: 332
; MemoryBound: 0
	.section	.text._ZN4vllm25paged_attention_v2_kernelI14__hip_bfloat16hLi112ELi32ELi128ELNS_18Fp8KVCacheDataTypeE1ELb0ELi512EEEvPfS3_PT_PKS4_PKT0_SA_ifPKiSC_iPKfiiiSE_SE_iiiii,"axG",@progbits,_ZN4vllm25paged_attention_v2_kernelI14__hip_bfloat16hLi112ELi32ELi128ELNS_18Fp8KVCacheDataTypeE1ELb0ELi512EEEvPfS3_PT_PKS4_PKT0_SA_ifPKiSC_iPKfiiiSE_SE_iiiii,comdat
	.protected	_ZN4vllm25paged_attention_v2_kernelI14__hip_bfloat16hLi112ELi32ELi128ELNS_18Fp8KVCacheDataTypeE1ELb0ELi512EEEvPfS3_PT_PKS4_PKT0_SA_ifPKiSC_iPKfiiiSE_SE_iiiii ; -- Begin function _ZN4vllm25paged_attention_v2_kernelI14__hip_bfloat16hLi112ELi32ELi128ELNS_18Fp8KVCacheDataTypeE1ELb0ELi512EEEvPfS3_PT_PKS4_PKT0_SA_ifPKiSC_iPKfiiiSE_SE_iiiii
	.globl	_ZN4vllm25paged_attention_v2_kernelI14__hip_bfloat16hLi112ELi32ELi128ELNS_18Fp8KVCacheDataTypeE1ELb0ELi512EEEvPfS3_PT_PKS4_PKT0_SA_ifPKiSC_iPKfiiiSE_SE_iiiii
	.p2align	8
	.type	_ZN4vllm25paged_attention_v2_kernelI14__hip_bfloat16hLi112ELi32ELi128ELNS_18Fp8KVCacheDataTypeE1ELb0ELi512EEEvPfS3_PT_PKS4_PKT0_SA_ifPKiSC_iPKfiiiSE_SE_iiiii,@function
_ZN4vllm25paged_attention_v2_kernelI14__hip_bfloat16hLi112ELi32ELi128ELNS_18Fp8KVCacheDataTypeE1ELb0ELi512EEEvPfS3_PT_PKS4_PKT0_SA_ifPKiSC_iPKfiiiSE_SE_iiiii: ; @_ZN4vllm25paged_attention_v2_kernelI14__hip_bfloat16hLi112ELi32ELi128ELNS_18Fp8KVCacheDataTypeE1ELb0ELi512EEEvPfS3_PT_PKS4_PKT0_SA_ifPKiSC_iPKfiiiSE_SE_iiiii
; %bb.0:
	s_add_u32 flat_scratch_lo, s6, s11
	s_addc_u32 flat_scratch_hi, s7, 0
	s_add_u32 s0, s0, s11
	s_load_dwordx8 s[24:31], s[4:5], 0x0
	s_load_dwordx8 s[16:23], s[4:5], 0x20
	s_load_dwordx2 s[6:7], s[4:5], 0x40
	s_load_dwordx2 s[34:35], s[4:5], 0x50
	s_load_dword s11, s[4:5], 0x48
	s_load_dwordx8 s[36:43], s[4:5], 0x58
	s_addc_u32 s1, s1, 0
	s_mov_b32 s12, s8
	s_add_u32 s8, s4, 0x90
	s_mov_b32 s13, s9
	s_addc_u32 s9, s5, 0
	s_mov_b32 s14, s10
	s_mov_b32 s15, 2
	v_mov_b32_e32 v31, v0
	s_waitcnt lgkmcnt(0)
	v_mov_b32_e32 v0, s24
	v_mov_b32_e32 v1, s25
	;; [unrolled: 1-line block ×28, first 2 shown]
	s_mov_b32 s32, 0
	s_getpc_b64 s[4:5]
	s_add_u32 s4, s4, _ZN4vllm22paged_attention_kernelI14__hip_bfloat16hLi112ELi32ELi128ELNS_18Fp8KVCacheDataTypeE1ELb0ELi512EEEvPfS3_PT_PKS4_PKT0_SA_ifPKiSC_iPKfiiiSE_SE_iiiii@rel32@lo+4
	s_addc_u32 s5, s5, _ZN4vllm22paged_attention_kernelI14__hip_bfloat16hLi112ELi32ELi128ELNS_18Fp8KVCacheDataTypeE1ELb0ELi512EEEvPfS3_PT_PKS4_PKT0_SA_ifPKiSC_iPKfiiiSE_SE_iiiii@rel32@hi+12
	s_swappc_b64 s[30:31], s[4:5]
	s_endpgm
	.section	.rodata,"a",@progbits
	.p2align	6, 0x0
	.amdhsa_kernel _ZN4vllm25paged_attention_v2_kernelI14__hip_bfloat16hLi112ELi32ELi128ELNS_18Fp8KVCacheDataTypeE1ELb0ELi512EEEvPfS3_PT_PKS4_PKT0_SA_ifPKiSC_iPKfiiiSE_SE_iiiii
		.amdhsa_group_segment_fixed_size 240
		.amdhsa_private_segment_fixed_size 332
		.amdhsa_kernarg_size 400
		.amdhsa_user_sgpr_count 8
		.amdhsa_user_sgpr_private_segment_buffer 1
		.amdhsa_user_sgpr_dispatch_ptr 0
		.amdhsa_user_sgpr_queue_ptr 0
		.amdhsa_user_sgpr_kernarg_segment_ptr 1
		.amdhsa_user_sgpr_dispatch_id 0
		.amdhsa_user_sgpr_flat_scratch_init 1
		.amdhsa_user_sgpr_kernarg_preload_length 0
		.amdhsa_user_sgpr_kernarg_preload_offset 0
		.amdhsa_user_sgpr_private_segment_size 0
		.amdhsa_uses_dynamic_stack 0
		.amdhsa_system_sgpr_private_segment_wavefront_offset 1
		.amdhsa_system_sgpr_workgroup_id_x 1
		.amdhsa_system_sgpr_workgroup_id_y 1
		.amdhsa_system_sgpr_workgroup_id_z 1
		.amdhsa_system_sgpr_workgroup_info 0
		.amdhsa_system_vgpr_workitem_id 0
		.amdhsa_next_free_vgpr 128
		.amdhsa_next_free_sgpr 44
		.amdhsa_accum_offset 64
		.amdhsa_reserve_vcc 1
		.amdhsa_reserve_flat_scratch 1
		.amdhsa_float_round_mode_32 0
		.amdhsa_float_round_mode_16_64 0
		.amdhsa_float_denorm_mode_32 3
		.amdhsa_float_denorm_mode_16_64 3
		.amdhsa_dx10_clamp 1
		.amdhsa_ieee_mode 1
		.amdhsa_fp16_overflow 0
		.amdhsa_tg_split 0
		.amdhsa_exception_fp_ieee_invalid_op 0
		.amdhsa_exception_fp_denorm_src 0
		.amdhsa_exception_fp_ieee_div_zero 0
		.amdhsa_exception_fp_ieee_overflow 0
		.amdhsa_exception_fp_ieee_underflow 0
		.amdhsa_exception_fp_ieee_inexact 0
		.amdhsa_exception_int_div_zero 0
	.end_amdhsa_kernel
	.section	.text._ZN4vllm25paged_attention_v2_kernelI14__hip_bfloat16hLi112ELi32ELi128ELNS_18Fp8KVCacheDataTypeE1ELb0ELi512EEEvPfS3_PT_PKS4_PKT0_SA_ifPKiSC_iPKfiiiSE_SE_iiiii,"axG",@progbits,_ZN4vllm25paged_attention_v2_kernelI14__hip_bfloat16hLi112ELi32ELi128ELNS_18Fp8KVCacheDataTypeE1ELb0ELi512EEEvPfS3_PT_PKS4_PKT0_SA_ifPKiSC_iPKfiiiSE_SE_iiiii,comdat
.Lfunc_end398:
	.size	_ZN4vllm25paged_attention_v2_kernelI14__hip_bfloat16hLi112ELi32ELi128ELNS_18Fp8KVCacheDataTypeE1ELb0ELi512EEEvPfS3_PT_PKS4_PKT0_SA_ifPKiSC_iPKfiiiSE_SE_iiiii, .Lfunc_end398-_ZN4vllm25paged_attention_v2_kernelI14__hip_bfloat16hLi112ELi32ELi128ELNS_18Fp8KVCacheDataTypeE1ELb0ELi512EEEvPfS3_PT_PKS4_PKT0_SA_ifPKiSC_iPKfiiiSE_SE_iiiii
                                        ; -- End function
	.section	.AMDGPU.csdata,"",@progbits
; Kernel info:
; codeLenInByte = 244
; NumSgprs: 50
; NumVgprs: 64
; NumAgprs: 64
; TotalNumVgprs: 128
; ScratchSize: 332
; MemoryBound: 0
; FloatMode: 240
; IeeeMode: 1
; LDSByteSize: 240 bytes/workgroup (compile time only)
; SGPRBlocks: 6
; VGPRBlocks: 15
; NumSGPRsForWavesPerEU: 50
; NumVGPRsForWavesPerEU: 128
; AccumOffset: 64
; Occupancy: 4
; WaveLimiterHint : 1
; COMPUTE_PGM_RSRC2:SCRATCH_EN: 1
; COMPUTE_PGM_RSRC2:USER_SGPR: 8
; COMPUTE_PGM_RSRC2:TRAP_HANDLER: 0
; COMPUTE_PGM_RSRC2:TGID_X_EN: 1
; COMPUTE_PGM_RSRC2:TGID_Y_EN: 1
; COMPUTE_PGM_RSRC2:TGID_Z_EN: 1
; COMPUTE_PGM_RSRC2:TIDIG_COMP_CNT: 0
; COMPUTE_PGM_RSRC3_GFX90A:ACCUM_OFFSET: 15
; COMPUTE_PGM_RSRC3_GFX90A:TG_SPLIT: 0
	.text
	.p2align	2                               ; -- Begin function _ZN4vllm22paged_attention_kernelI14__hip_bfloat16hLi120ELi32ELi128ELNS_18Fp8KVCacheDataTypeE1ELb0ELi512EEEvPfS3_PT_PKS4_PKT0_SA_ifPKiSC_iPKfiiiSE_SE_iiiii
	.type	_ZN4vllm22paged_attention_kernelI14__hip_bfloat16hLi120ELi32ELi128ELNS_18Fp8KVCacheDataTypeE1ELb0ELi512EEEvPfS3_PT_PKS4_PKT0_SA_ifPKiSC_iPKfiiiSE_SE_iiiii,@function
_ZN4vllm22paged_attention_kernelI14__hip_bfloat16hLi120ELi32ELi128ELNS_18Fp8KVCacheDataTypeE1ELb0ELi512EEEvPfS3_PT_PKS4_PKT0_SA_ifPKiSC_iPKfiiiSE_SE_iiiii: ; @_ZN4vllm22paged_attention_kernelI14__hip_bfloat16hLi120ELi32ELi128ELNS_18Fp8KVCacheDataTypeE1ELb0ELi512EEEvPfS3_PT_PKS4_PKT0_SA_ifPKiSC_iPKfiiiSE_SE_iiiii
; %bb.0:
	s_waitcnt vmcnt(0) expcnt(0) lgkmcnt(0)
	s_or_saveexec_b64 s[4:5], -1
	buffer_store_dword v63, off, s[0:3], s32 offset:356 ; 4-byte Folded Spill
	s_mov_b64 exec, s[4:5]
	buffer_store_dword v40, off, s[0:3], s32 offset:184 ; 4-byte Folded Spill
	buffer_store_dword v41, off, s[0:3], s32 offset:180 ; 4-byte Folded Spill
	;; [unrolled: 1-line block ×46, first 2 shown]
	buffer_store_dword a63, off, s[0:3], s32 ; 4-byte Folded Spill
	v_writelane_b32 v63, s34, 0
	v_writelane_b32 v63, s35, 1
	;; [unrolled: 1-line block ×9, first 2 shown]
	s_mov_b32 s22, s13
	s_ashr_i32 s23, s13, 31
	v_accvgpr_write_b32 a22, v24
	s_lshl_b64 s[4:5], s[22:23], 2
	v_accvgpr_write_b32 a23, v25
	v_mov_b32_e32 v24, v1
	v_mov_b32_e32 v25, v0
	;; [unrolled: 1-line block ×3, first 2 shown]
	v_add_co_u32_e32 v0, vcc, s4, v16
	buffer_store_dword v26, off, s[0:3], s32 offset:264 ; 4-byte Folded Spill
	s_nop 0
	buffer_store_dword v27, off, s[0:3], s32 offset:268 ; 4-byte Folded Spill
	buffer_store_dword v5, off, s[0:3], s32 offset:280 ; 4-byte Folded Spill
	;; [unrolled: 1-line block ×3, first 2 shown]
	v_addc_co_u32_e32 v1, vcc, v17, v1, vcc
	flat_load_dword v33, v[0:1]
	s_lshl_b32 s23, s14, 9
	v_accvgpr_write_b32 a6, v22
	v_mov_b32_e32 v29, v20
	v_mov_b32_e32 v28, v19
	v_accvgpr_write_b32 a24, v13
	v_mov_b32_e32 v30, v11
	v_mov_b32_e32 v32, v10
	;; [unrolled: 1-line block ×4, first 2 shown]
	s_waitcnt vmcnt(0) lgkmcnt(0)
	v_cmp_lt_i32_e32 vcc, s23, v33
	s_and_saveexec_b64 s[16:17], vcc
	s_cbranch_execz .LBB399_1644
; %bb.1:
	v_sub_u32_e32 v0, 0, v12
	v_max_i32_e32 v0, v12, v0
	v_cvt_f32_u32_e32 v1, v0
	s_load_dword s4, s[8:9], 0x10
	s_load_dword s6, s[8:9], 0x0
	v_sub_u32_e32 v3, 0, v0
	s_mov_b32 s18, s15
	v_rcp_iflag_f32_e32 v1, v1
	s_waitcnt lgkmcnt(0)
	s_lshr_b32 s4, s4, 16
	s_cmp_lg_u32 s4, 0
	s_cselect_b64 s[4:5], -1, 0
	v_mul_f32_e32 v1, 0x4f7ffffe, v1
	v_cvt_u32_f32_e32 v1, v1
	s_cmp_lg_u64 s[4:5], 0
	s_addc_u32 s15, s6, 0
	s_abs_i32 s4, s15
	v_mul_lo_u32 v3, v3, v1
	v_mul_hi_u32 v3, v1, v3
	v_add_u32_e32 v1, v1, v3
	v_mul_hi_u32 v1, s4, v1
	v_mul_lo_u32 v3, v1, v0
	v_sub_u32_e32 v3, s4, v3
	v_add_u32_e32 v4, 1, v1
	v_cmp_ge_u32_e32 vcc, v3, v0
	v_cndmask_b32_e32 v1, v1, v4, vcc
	v_sub_u32_e32 v4, v3, v0
	v_cndmask_b32_e32 v3, v3, v4, vcc
	v_xor_b32_e32 v2, s15, v12
	v_add_u32_e32 v4, 1, v1
	v_cmp_ge_u32_e32 vcc, v3, v0
	v_ashrrev_i32_e32 v2, 31, v2
	v_cndmask_b32_e32 v0, v1, v4, vcc
	v_xor_b32_e32 v0, v0, v2
	v_sub_u32_e32 v0, v0, v2
	v_sub_u32_e32 v1, 0, v0
	v_max_i32_e32 v1, v0, v1
	v_cvt_f32_u32_e32 v2, v1
	v_sub_u32_e32 v3, 0, v1
	s_abs_i32 s6, s12
	v_cmp_ne_u64_e32 vcc, 0, v[28:29]
	v_rcp_iflag_f32_e32 v2, v2
	v_mul_f32_e32 v2, 0x4f7ffffe, v2
	v_cvt_u32_f32_e32 v2, v2
	v_mul_lo_u32 v3, v3, v2
	v_mul_hi_u32 v3, v2, v3
	v_add_u32_e32 v2, v2, v3
	v_mad_u64_u32 v[16:17], s[4:5], s6, v2, 0
	v_mov_b32_e32 v2, 0
	buffer_store_dword v2, off, s[0:3], s32 offset:272 ; 4-byte Folded Spill
	s_and_saveexec_b64 s[4:5], vcc
	s_cbranch_execz .LBB399_3
; %bb.2:
	s_ashr_i32 s13, s12, 31
	s_lshl_b64 s[10:11], s[12:13], 2
	v_mov_b32_e32 v3, s11
	v_add_co_u32_e32 v2, vcc, s10, v28
	v_addc_co_u32_e32 v3, vcc, v29, v3, vcc
	flat_load_dword v2, v[2:3]
	s_waitcnt vmcnt(0) lgkmcnt(0)
	buffer_store_dword v2, off, s[0:3], s32 offset:272 ; 4-byte Folded Spill
.LBB399_3:
	s_or_b64 exec, exec, s[4:5]
	v_and_b32_e32 v19, 0x3ff, v31
	s_ashr_i32 s7, s12, 31
	v_ashrrev_i32_e32 v2, 31, v0
	v_and_b32_e32 v0, 1, v19
	s_movk_i32 s10, 0x78
	s_mul_i32 s20, s12, 0x78
	v_cmp_gt_u32_e32 vcc, 30, v19
	v_lshlrev_b32_e32 v28, 3, v19
	s_and_saveexec_b64 s[4:5], vcc
	s_cbranch_execz .LBB399_5
; %bb.4:
	v_mul_lo_u32 v4, s22, v21
	v_ashrrev_i32_e32 v5, 31, v4
	v_lshlrev_b64 v[4:5], 1, v[4:5]
	v_add_co_u32_e32 v3, vcc, v6, v4
	s_ashr_i32 s21, s20, 31
	v_addc_co_u32_e32 v4, vcc, v7, v5, vcc
	s_lshl_b64 s[24:25], s[20:21], 1
	v_mov_b32_e32 v5, s25
	v_add_co_u32_e32 v3, vcc, s24, v3
	v_addc_co_u32_e32 v5, vcc, v4, v5, vcc
	v_add_co_u32_e32 v4, vcc, v3, v28
	v_addc_co_u32_e32 v5, vcc, 0, v5, vcc
	flat_load_dwordx2 v[4:5], v[4:5]
	v_lshlrev_b32_e32 v3, 2, v19
	v_and_b32_e32 v3, 0xff8, v3
	v_mad_u32_u24 v3, v0, s10, v3
	s_waitcnt vmcnt(0) lgkmcnt(0)
	ds_write_b64 v3, v[4:5]
.LBB399_5:
	s_or_b64 exec, exec, s[4:5]
	v_add_u32_e32 v3, 31, v33
	v_ashrrev_i32_e32 v4, 31, v3
	v_lshrrev_b32_e32 v4, 27, v4
	v_add_u32_e32 v3, v3, v4
	v_ashrrev_i32_e32 v31, 5, v3
	v_mul_lo_u32 v3, v17, v1
	v_sub_u32_e32 v3, s6, v3
	v_add_u32_e32 v4, 1, v17
	v_cmp_ge_u32_e32 vcc, v3, v1
	v_sub_u32_e32 v5, v3, v1
	v_cndmask_b32_e32 v4, v17, v4, vcc
	v_cndmask_b32_e32 v3, v3, v5, vcc
	s_lshl_b32 s21, s14, 4
	v_add_u32_e32 v5, 1, v4
	v_cmp_ge_u32_e32 vcc, v3, v1
	s_add_i32 s4, s21, 16
	v_lshrrev_b32_e32 v29, 6, v19
	v_xor_b32_e32 v2, s7, v2
	v_cndmask_b32_e32 v1, v4, v5, vcc
	v_min_i32_e32 v10, s4, v31
	v_xor_b32_e32 v1, v1, v2
	v_mul_lo_u32 v6, s22, v18
	v_or_b32_e32 v16, s21, v29
	v_sub_u32_e32 v2, v1, v2
	v_ashrrev_i32_e32 v7, 31, v6
	v_cmp_lt_i32_e64 s[4:5], v16, v10
	v_cmp_ge_i32_e32 vcc, v16, v10
	v_mbcnt_lo_u32_b32 v1, -1, 0
	s_waitcnt lgkmcnt(0)
	s_barrier
	buffer_store_dword v10, off, s[0:3], s32 offset:188 ; 4-byte Folded Spill
                                        ; implicit-def: $sgpr19
                                        ; implicit-def: $vgpr10
                                        ; implicit-def: $vgpr11
	s_and_saveexec_b64 s[6:7], vcc
	s_xor_b64 s[6:7], exec, s[6:7]
; %bb.6:
	v_mbcnt_hi_u32_b32 v10, -1, v1
	v_and_b32_e32 v0, 64, v10
	v_add_u32_e32 v11, 64, v0
	s_mov_b32 s19, 0xff7fffff
                                        ; implicit-def: $vgpr0
                                        ; kill: killed $vgpr0
                                        ; implicit-def: $agpr24
                                        ; implicit-def: $agpr22
                                        ; implicit-def: $vgpr8
                                        ; implicit-def: $vgpr9
                                        ; implicit-def: $vgpr0
                                        ; implicit-def: $vgpr1
; %bb.7:
	s_or_saveexec_b64 s[10:11], s[6:7]
	s_load_dword s36, s[8:9], 0x14
	s_load_dword s13, s[8:9], 0x8
	v_mul_lo_u32 v36, v2, v23
	v_mov_b32_e32 v13, s19
	v_ashrrev_i32_e32 v17, 31, v16
	v_ashrrev_i32_e32 v37, 31, v36
	v_lshlrev_b64 v[34:35], 2, v[6:7]
	buffer_store_dword v19, off, s[0:3], s32 offset:276 ; 4-byte Folded Spill
	s_xor_b64 exec, exec, s[10:11]
	s_cbranch_execz .LBB399_613
; %bb.8:
	buffer_store_dword v31, off, s[0:3], s32 offset:288 ; 4-byte Folded Spill
	buffer_store_dword v28, off, s[0:3], s32 offset:292 ; 4-byte Folded Spill
	buffer_store_dword v27, off, s[0:3], s32 offset:324 ; 4-byte Folded Spill
	buffer_store_dword v26, off, s[0:3], s32 offset:332 ; 4-byte Folded Spill
	buffer_store_dword v25, off, s[0:3], s32 offset:328 ; 4-byte Folded Spill
	buffer_store_dword v24, off, s[0:3], s32 offset:340 ; 4-byte Folded Spill
	buffer_store_dword v32, off, s[0:3], s32 offset:336 ; 4-byte Folded Spill
	buffer_store_dword v30, off, s[0:3], s32 offset:344 ; 4-byte Folded Spill
	v_mul_u32_u24_e32 v6, 0x78, v0
	ds_read2_b64 v[2:5], v6 offset1:1
	ds_read2_b64 v[20:23], v6 offset0:2 offset1:3
	buffer_store_dword v36, off, s[0:3], s32 offset:296 ; 4-byte Folded Spill
	buffer_store_dword v37, off, s[0:3], s32 offset:300 ; 4-byte Folded Spill
	s_ashr_i32 s19, s18, 31
	s_waitcnt lgkmcnt(0)
	v_lshlrev_b32_e32 v7, 16, v2
	v_and_b32_e32 v2, 0xffff0000, v2
	buffer_store_dword v2, off, s[0:3], s32 offset:196 ; 4-byte Folded Spill
	v_lshlrev_b32_e32 v2, 16, v3
	buffer_store_dword v2, off, s[0:3], s32 offset:200 ; 4-byte Folded Spill
	v_and_b32_e32 v2, 0xffff0000, v3
	buffer_store_dword v2, off, s[0:3], s32 offset:208 ; 4-byte Folded Spill
	v_lshlrev_b32_e32 v2, 16, v4
	buffer_store_dword v2, off, s[0:3], s32 offset:204 ; 4-byte Folded Spill
	;; [unrolled: 4-line block ×6, first 2 shown]
	ds_read2_b64 v[2:5], v6 offset0:4 offset1:5
	buffer_store_dword v7, off, s[0:3], s32 offset:192 ; 4-byte Folded Spill
	v_and_b32_e32 v7, 0xffff0000, v22
	buffer_store_dword v7, off, s[0:3], s32 offset:244 ; 4-byte Folded Spill
	v_lshlrev_b32_e32 v7, 16, v23
	buffer_store_dword v7, off, s[0:3], s32 offset:248 ; 4-byte Folded Spill
	v_and_b32_e32 v7, 0xffff0000, v23
	ds_read2_b64 v[20:23], v6 offset0:6 offset1:7
	buffer_store_dword v7, off, s[0:3], s32 offset:252 ; 4-byte Folded Spill
	s_waitcnt lgkmcnt(1)
	v_lshlrev_b32_e32 v7, 16, v2
	v_and_b32_e32 v2, 0xffff0000, v2
	buffer_store_dword v2, off, s[0:3], s32 offset:260 ; 4-byte Folded Spill
	v_lshlrev_b32_e32 v2, 16, v3
	v_accvgpr_write_b32 a45, v2
	v_and_b32_e32 v2, 0xffff0000, v3
	v_accvgpr_write_b32 a46, v2
	v_lshlrev_b32_e32 v2, 16, v4
	v_accvgpr_write_b32 a47, v2
	v_and_b32_e32 v2, 0xffff0000, v4
	v_accvgpr_write_b32 a48, v2
	;; [unrolled: 4-line block ×3, first 2 shown]
	s_waitcnt lgkmcnt(0)
	v_lshlrev_b32_e32 v2, 16, v20
	v_accvgpr_write_b32 a51, v2
	v_and_b32_e32 v2, 0xffff0000, v20
	v_accvgpr_write_b32 a52, v2
	v_lshlrev_b32_e32 v2, 16, v21
	v_accvgpr_write_b32 a53, v2
	v_and_b32_e32 v2, 0xffff0000, v21
	v_accvgpr_write_b32 a54, v2
	v_lshlrev_b32_e32 v2, 16, v22
	v_accvgpr_write_b32 a55, v2
	ds_read2_b64 v[2:5], v6 offset0:8 offset1:9
	buffer_store_dword v7, off, s[0:3], s32 offset:256 ; 4-byte Folded Spill
	v_and_b32_e32 v7, 0xffff0000, v22
	v_accvgpr_write_b32 a56, v7
	v_lshlrev_b32_e32 v7, 16, v23
	v_accvgpr_write_b32 a57, v7
	v_and_b32_e32 v7, 0xffff0000, v23
	ds_read2_b64 v[20:23], v6 offset0:10 offset1:11
	v_accvgpr_write_b32 a58, v7
	s_waitcnt lgkmcnt(1)
	v_lshlrev_b32_e32 v7, 16, v2
	v_and_b32_e32 v2, 0xffff0000, v2
	v_accvgpr_write_b32 a60, v2
	v_lshlrev_b32_e32 v2, 16, v3
	v_accvgpr_write_b32 a61, v2
	v_and_b32_e32 v2, 0xffff0000, v3
	v_accvgpr_write_b32 a62, v2
	v_lshlrev_b32_e32 v2, 16, v4
	v_accvgpr_write_b32 a63, v2
	;; [unrolled: 4-line block ×3, first 2 shown]
	v_and_b32_e32 v2, 0xffff0000, v5
	v_accvgpr_write_b32 a2, v2
	s_waitcnt lgkmcnt(0)
	v_lshlrev_b32_e32 v2, 16, v20
	v_accvgpr_write_b32 a20, v2
	v_and_b32_e32 v2, 0xffff0000, v20
	v_accvgpr_write_b32 a21, v2
	v_lshlrev_b32_e32 v2, 16, v21
	v_accvgpr_write_b32 a18, v2
	v_and_b32_e32 v2, 0xffff0000, v21
	v_accvgpr_write_b32 a19, v2
	;; [unrolled: 4-line block ×4, first 2 shown]
	ds_read2_b64 v[2:5], v6 offset0:12 offset1:13
	v_accvgpr_write_b32 a59, v7
	s_lshl_b64 s[8:9], s[18:19], 2
	s_getpc_b64 s[24:25]
	s_add_u32 s24, s24, llvm.amdgcn.dynlds.offset.table@rel32@lo+4
	s_addc_u32 s25, s25, llvm.amdgcn.dynlds.offset.table@rel32@hi+12
	s_add_u32 s24, s8, s24
	s_waitcnt lgkmcnt(0)
	v_lshlrev_b32_e32 v7, 16, v2
	v_and_b32_e32 v2, 0xffff0000, v2
	v_accvgpr_write_b32 a14, v2
	v_lshlrev_b32_e32 v2, 16, v3
	v_accvgpr_write_b32 a12, v2
	v_and_b32_e32 v2, 0xffff0000, v3
	v_accvgpr_write_b32 a13, v2
	v_lshlrev_b32_e32 v2, 16, v4
	v_accvgpr_write_b32 a10, v2
	;; [unrolled: 4-line block ×3, first 2 shown]
	v_and_b32_e32 v2, 0xffff0000, v5
	v_accvgpr_write_b32 a8, v2
	v_add_co_u32_e32 v2, vcc, v8, v36
	v_bfe_u32 v4, v19, 1, 5
	v_addc_co_u32_e32 v3, vcc, v9, v37, vcc
	v_lshlrev_b32_e32 v5, 4, v4
	v_add_co_u32_e32 v2, vcc, v2, v5
	v_addc_co_u32_e32 v3, vcc, 0, v3, vcc
	v_accvgpr_write_b32 a5, v3
	v_accvgpr_write_b32 a4, v2
	ds_read_b64 v[2:3], v6 offset:112
	v_accvgpr_write_b32 a1, v7
	s_addc_u32 s25, s9, s25
	s_mov_b64 s[26:27], 0
	s_movk_i32 s19, 0x80
	s_waitcnt lgkmcnt(0)
	v_lshlrev_b32_e32 v5, 16, v2
	v_and_b32_e32 v2, 0xffff0000, v2
	v_accvgpr_write_b32 a3, v2
	v_lshlrev_b32_e32 v2, 16, v3
	v_accvgpr_write_b32 a27, v2
	v_and_b32_e32 v2, 0xffff0000, v3
	v_accvgpr_write_b32 a28, v2
	v_lshlrev_b64 v[2:3], 2, v[16:17]
	v_add_co_u32_e32 v2, vcc, v34, v2
	buffer_store_dword v34, off, s[0:3], s32 offset:304 ; 4-byte Folded Spill
	s_nop 0
	buffer_store_dword v35, off, s[0:3], s32 offset:308 ; 4-byte Folded Spill
	v_accvgpr_write_b32 a7, v5
	s_movk_i32 s37, 0x7f
	s_mov_b32 s38, 0x7f800000
	s_movk_i32 s39, 0x7fff
	s_mov_b32 s40, 0xffffff
	v_mov_b32_e32 v57, 0
	v_mov_b32_e32 v13, 0xff7fffff
	v_bfrev_b32_e32 v58, 60
	v_mov_b32_e32 v59, v16
	buffer_store_dword v14, off, s[0:3], s32 offset:348 ; 4-byte Folded Spill
	buffer_store_dword v15, off, s[0:3], s32 offset:352 ; 4-byte Folded Spill
	;; [unrolled: 1-line block ×3, first 2 shown]
	v_addc_co_u32_e32 v3, vcc, v35, v3, vcc
	v_add_co_u32_e32 v18, vcc, v14, v2
	v_mbcnt_hi_u32_b32 v2, -1, v1
	v_and_b32_e32 v1, 64, v2
	v_addc_co_u32_e32 v19, vcc, v15, v3, vcc
	v_add_u32_e32 v3, 64, v1
	v_xor_b32_e32 v1, 1, v2
	v_cmp_lt_i32_e32 vcc, v1, v3
	v_cndmask_b32_e32 v1, v2, v1, vcc
	v_lshlrev_b32_e32 v1, 2, v1
	v_accvgpr_write_b32 a29, v1
	buffer_load_dword v1, off, s[0:3], s32 offset:272 ; 4-byte Folded Reload
	v_cmp_eq_u32_e32 vcc, 0, v0
	v_lshlrev_b32_e32 v0, 2, v0
	v_accvgpr_write_b32 a30, v0
	buffer_store_dword v3, off, s[0:3], s32 offset:312 ; 4-byte Folded Spill
	buffer_store_dword v2, off, s[0:3], s32 offset:316 ; 4-byte Folded Spill
	s_waitcnt vmcnt(2)
	v_cmp_neq_f32_e64 s[6:7], 0, v1
	v_lshlrev_b32_e32 v1, 5, v29
	v_add3_u32 v47, s23, v1, v4
	v_lshlrev_b32_e32 v1, 2, v4
	v_lshl_or_b32 v56, v29, 7, v1
	s_branch .LBB399_10
.LBB399_9:                              ;   in Loop: Header=BB399_10 Depth=1
	s_or_b64 exec, exec, s[28:29]
	buffer_load_dword v0, off, s[0:3], s32 offset:188 ; 4-byte Folded Reload
	v_add_co_u32_e64 v18, s[8:9], 8, v18
	v_add_u32_e32 v59, 2, v59
	v_addc_co_u32_e64 v19, s[8:9], 0, v19, s[8:9]
	v_add_u32_e32 v47, 64, v47
	v_add_u32_e32 v56, 0x100, v56
	s_waitcnt vmcnt(0)
	v_cmp_ge_i32_e64 s[8:9], v59, v0
	s_or_b64 s[26:27], s[8:9], s[26:27]
	s_andn2_b64 exec, exec, s[26:27]
	s_cbranch_execz .LBB399_612
.LBB399_10:                             ; =>This Inner Loop Header: Depth=1
	flat_load_dword v0, v[18:19]
	v_accvgpr_read_b32 v4, a4
	v_accvgpr_read_b32 v2, a6
	;; [unrolled: 1-line block ×3, first 2 shown]
	s_waitcnt vmcnt(0) lgkmcnt(0)
	v_mad_i64_i32 v[0:1], s[8:9], v0, v2, v[4:5]
	v_accvgpr_read_b32 v2, a30
	v_add_co_u32_e64 v20, s[8:9], v0, v2
	v_addc_co_u32_e64 v21, s[8:9], 0, v1, s[8:9]
	v_accvgpr_read_b32 v0, a22
	flat_load_dword v28, v[20:21]
	v_accvgpr_read_b32 v1, a23
	flat_load_dword v61, v[0:1]
	v_mov_b32_e32 v0, 0
	s_waitcnt vmcnt(0) lgkmcnt(0)
	v_cmp_ne_u16_sdwa s[8:9], v28, v57 src0_sel:BYTE_0 src1_sel:DWORD
	s_and_saveexec_b64 s[28:29], s[8:9]
	s_cbranch_execz .LBB399_16
; %bb.11:                               ;   in Loop: Header=BB399_10 Depth=1
	v_cmp_ne_u16_sdwa s[8:9], v28, s19 src0_sel:BYTE_0 src1_sel:DWORD
	v_bfrev_b32_e32 v0, 1
	s_and_saveexec_b64 s[30:31], s[8:9]
	s_cbranch_execz .LBB399_15
; %bb.12:                               ;   in Loop: Header=BB399_10 Depth=1
	v_and_b32_e32 v1, 0x7f, v28
	v_cmp_ne_u32_e64 s[8:9], s37, v1
	v_mov_b32_e32 v0, 0x7f800001
	s_and_saveexec_b64 s[34:35], s[8:9]
	s_cbranch_execz .LBB399_14
; %bb.13:                               ;   in Loop: Header=BB399_10 Depth=1
	v_and_b32_e32 v0, 7, v28
	v_ffbh_u32_e32 v2, v0
	v_min_u32_e32 v5, 32, v2
	v_subrev_u32_e32 v2, 28, v5
	v_lshlrev_b64 v[2:3], v2, v[28:29]
	v_lshrrev_b32_e32 v4, 3, v1
	v_sub_u32_e32 v3, 29, v5
	v_and_b32_e32 v2, 7, v2
	v_cmp_gt_u32_e64 s[8:9], 8, v1
	v_cndmask_b32_e64 v1, v4, v3, s[8:9]
	v_cndmask_b32_e64 v0, v0, v2, s[8:9]
	v_lshlrev_b32_e32 v2, 24, v28
	v_lshlrev_b32_e32 v0, 20, v0
	v_and_b32_e32 v2, 0x80000000, v2
	v_lshl_add_u32 v1, v1, 23, v58
	v_or3_b32 v0, v2, v1, v0
.LBB399_14:                             ;   in Loop: Header=BB399_10 Depth=1
	s_or_b64 exec, exec, s[34:35]
.LBB399_15:                             ;   in Loop: Header=BB399_10 Depth=1
	s_or_b64 exec, exec, s[30:31]
.LBB399_16:                             ;   in Loop: Header=BB399_10 Depth=1
	s_or_b64 exec, exec, s[28:29]
	v_mul_f32_e32 v0, v61, v0
	v_and_b32_e32 v1, 0x7f800000, v0
	v_cmp_ne_u32_e64 s[8:9], s38, v1
                                        ; implicit-def: $agpr31
	s_and_saveexec_b64 s[28:29], s[8:9]
	s_xor_b64 s[8:9], exec, s[28:29]
; %bb.17:                               ;   in Loop: Header=BB399_10 Depth=1
	v_bfe_u32 v1, v0, 16, 1
	v_add3_u32 v0, v0, v1, s39
	v_accvgpr_write_b32 a31, v0
                                        ; implicit-def: $vgpr0
; %bb.18:                               ;   in Loop: Header=BB399_10 Depth=1
	s_andn2_saveexec_b64 s[28:29], s[8:9]
; %bb.19:                               ;   in Loop: Header=BB399_10 Depth=1
	v_or_b32_e32 v1, 0x10000, v0
	v_cmp_eq_u32_sdwa s[8:9], v0, v57 src0_sel:WORD_0 src1_sel:DWORD
	v_cndmask_b32_e64 v0, v1, v0, s[8:9]
	v_accvgpr_write_b32 a31, v0
; %bb.20:                               ;   in Loop: Header=BB399_10 Depth=1
	s_or_b64 exec, exec, s[28:29]
	v_lshrrev_b16_e32 v30, 8, v28
	v_cmp_ne_u16_e64 s[8:9], 0, v30
	v_mov_b32_e32 v0, 0
	s_and_saveexec_b64 s[28:29], s[8:9]
	s_cbranch_execz .LBB399_26
; %bb.21:                               ;   in Loop: Header=BB399_10 Depth=1
	v_cmp_ne_u16_e64 s[8:9], s19, v30
	v_bfrev_b32_e32 v0, 1
	s_and_saveexec_b64 s[30:31], s[8:9]
	s_cbranch_execz .LBB399_25
; %bb.22:                               ;   in Loop: Header=BB399_10 Depth=1
	v_and_b32_e32 v1, 0x7f, v30
	v_cmp_ne_u32_e64 s[8:9], s37, v1
	v_mov_b32_e32 v0, 0x7f800001
	s_and_saveexec_b64 s[34:35], s[8:9]
	s_cbranch_execz .LBB399_24
; %bb.23:                               ;   in Loop: Header=BB399_10 Depth=1
	v_and_b32_e32 v0, 7, v30
	v_ffbh_u32_e32 v2, v0
	v_min_u32_e32 v5, 32, v2
	v_subrev_u32_e32 v2, 28, v5
	v_lshlrev_b64 v[2:3], v2, v[30:31]
	v_lshrrev_b32_e32 v4, 3, v1
	v_sub_u32_e32 v3, 29, v5
	v_and_b32_e32 v2, 7, v2
	v_cmp_gt_u32_e64 s[8:9], 8, v1
	v_cndmask_b32_e64 v1, v4, v3, s[8:9]
	v_cndmask_b32_e64 v0, v0, v2, s[8:9]
	v_lshlrev_b32_e32 v2, 16, v28
	v_lshlrev_b32_e32 v0, 20, v0
	v_and_b32_e32 v2, 0x80000000, v2
	v_lshl_add_u32 v1, v1, 23, v58
	v_or3_b32 v0, v2, v1, v0
.LBB399_24:                             ;   in Loop: Header=BB399_10 Depth=1
	s_or_b64 exec, exec, s[34:35]
.LBB399_25:                             ;   in Loop: Header=BB399_10 Depth=1
	s_or_b64 exec, exec, s[30:31]
.LBB399_26:                             ;   in Loop: Header=BB399_10 Depth=1
	s_or_b64 exec, exec, s[28:29]
	v_mul_f32_e32 v0, v61, v0
	v_and_b32_e32 v1, 0x7f800000, v0
	v_cmp_ne_u32_e64 s[8:9], s38, v1
                                        ; implicit-def: $agpr32
	s_and_saveexec_b64 s[28:29], s[8:9]
	s_xor_b64 s[8:9], exec, s[28:29]
; %bb.27:                               ;   in Loop: Header=BB399_10 Depth=1
	v_bfe_u32 v1, v0, 16, 1
	v_add3_u32 v0, v0, v1, s39
	v_accvgpr_write_b32 a32, v0
                                        ; implicit-def: $vgpr0
; %bb.28:                               ;   in Loop: Header=BB399_10 Depth=1
	s_andn2_saveexec_b64 s[28:29], s[8:9]
; %bb.29:                               ;   in Loop: Header=BB399_10 Depth=1
	v_or_b32_e32 v1, 0x10000, v0
	v_cmp_eq_u32_sdwa s[8:9], v0, v57 src0_sel:WORD_0 src1_sel:DWORD
	v_cndmask_b32_e64 v0, v1, v0, s[8:9]
	v_accvgpr_write_b32 a32, v0
; %bb.30:                               ;   in Loop: Header=BB399_10 Depth=1
	s_or_b64 exec, exec, s[28:29]
	v_lshrrev_b32_e32 v30, 16, v28
	v_cmp_ne_u16_sdwa s[8:9], v30, v57 src0_sel:BYTE_0 src1_sel:DWORD
	v_mov_b32_e32 v0, 0
	s_and_saveexec_b64 s[28:29], s[8:9]
	s_cbranch_execz .LBB399_36
; %bb.31:                               ;   in Loop: Header=BB399_10 Depth=1
	v_cmp_ne_u16_sdwa s[8:9], v30, s19 src0_sel:BYTE_0 src1_sel:DWORD
	v_bfrev_b32_e32 v0, 1
	s_and_saveexec_b64 s[30:31], s[8:9]
	s_cbranch_execz .LBB399_35
; %bb.32:                               ;   in Loop: Header=BB399_10 Depth=1
	v_bfe_u32 v1, v28, 16, 7
	v_cmp_ne_u32_e64 s[8:9], s37, v1
	v_mov_b32_e32 v0, 0x7f800001
	s_and_saveexec_b64 s[34:35], s[8:9]
	s_cbranch_execz .LBB399_34
; %bb.33:                               ;   in Loop: Header=BB399_10 Depth=1
	v_and_b32_e32 v0, 7, v30
	v_ffbh_u32_e32 v2, v0
	v_min_u32_e32 v5, 32, v2
	v_subrev_u32_e32 v2, 28, v5
	v_lshlrev_b64 v[2:3], v2, v[30:31]
	v_lshrrev_b32_e32 v4, 3, v1
	v_sub_u32_e32 v3, 29, v5
	v_and_b32_e32 v2, 7, v2
	v_cmp_gt_u32_e64 s[8:9], 8, v1
	v_cndmask_b32_e64 v1, v4, v3, s[8:9]
	v_cndmask_b32_e64 v0, v0, v2, s[8:9]
	v_lshlrev_b32_e32 v2, 24, v30
	v_lshlrev_b32_e32 v0, 20, v0
	v_and_b32_e32 v2, 0x80000000, v2
	v_lshl_add_u32 v1, v1, 23, v58
	v_or3_b32 v0, v2, v1, v0
.LBB399_34:                             ;   in Loop: Header=BB399_10 Depth=1
	s_or_b64 exec, exec, s[34:35]
.LBB399_35:                             ;   in Loop: Header=BB399_10 Depth=1
	s_or_b64 exec, exec, s[30:31]
.LBB399_36:                             ;   in Loop: Header=BB399_10 Depth=1
	s_or_b64 exec, exec, s[28:29]
	v_mul_f32_e32 v0, v61, v0
	v_and_b32_e32 v1, 0x7f800000, v0
	v_cmp_ne_u32_e64 s[8:9], s38, v1
                                        ; implicit-def: $agpr33
	s_and_saveexec_b64 s[28:29], s[8:9]
	s_xor_b64 s[8:9], exec, s[28:29]
; %bb.37:                               ;   in Loop: Header=BB399_10 Depth=1
	v_bfe_u32 v1, v0, 16, 1
	v_add3_u32 v0, v0, v1, s39
	v_accvgpr_write_b32 a33, v0
                                        ; implicit-def: $vgpr0
; %bb.38:                               ;   in Loop: Header=BB399_10 Depth=1
	s_andn2_saveexec_b64 s[28:29], s[8:9]
; %bb.39:                               ;   in Loop: Header=BB399_10 Depth=1
	v_or_b32_e32 v1, 0x10000, v0
	v_cmp_eq_u32_sdwa s[8:9], v0, v57 src0_sel:WORD_0 src1_sel:DWORD
	v_cndmask_b32_e64 v0, v1, v0, s[8:9]
	v_accvgpr_write_b32 a33, v0
; %bb.40:                               ;   in Loop: Header=BB399_10 Depth=1
	s_or_b64 exec, exec, s[28:29]
	v_cmp_lt_u32_e64 s[8:9], s40, v28
	v_mov_b32_e32 v0, 0
	s_and_saveexec_b64 s[28:29], s[8:9]
	s_cbranch_execz .LBB399_46
; %bb.41:                               ;   in Loop: Header=BB399_10 Depth=1
	v_lshrrev_b32_e32 v30, 24, v28
	v_cmp_ne_u32_e64 s[8:9], s19, v30
	v_bfrev_b32_e32 v0, 1
	s_and_saveexec_b64 s[30:31], s[8:9]
	s_cbranch_execz .LBB399_45
; %bb.42:                               ;   in Loop: Header=BB399_10 Depth=1
	v_bfe_u32 v1, v28, 24, 7
	v_cmp_ne_u32_e64 s[8:9], s37, v1
	v_mov_b32_e32 v0, 0x7f800001
	s_and_saveexec_b64 s[34:35], s[8:9]
	s_cbranch_execz .LBB399_44
; %bb.43:                               ;   in Loop: Header=BB399_10 Depth=1
	v_and_b32_e32 v0, 7, v30
	v_ffbh_u32_e32 v2, v0
	v_min_u32_e32 v5, 32, v2
	v_subrev_u32_e32 v2, 28, v5
	v_lshlrev_b64 v[2:3], v2, v[30:31]
	v_lshrrev_b32_e32 v4, 3, v1
	v_sub_u32_e32 v3, 29, v5
	v_and_b32_e32 v2, 7, v2
	v_cmp_gt_u32_e64 s[8:9], 8, v1
	v_cndmask_b32_e64 v1, v4, v3, s[8:9]
	v_cndmask_b32_e64 v0, v0, v2, s[8:9]
	v_lshlrev_b32_e32 v2, 24, v30
	v_lshlrev_b32_e32 v0, 20, v0
	v_and_b32_e32 v2, 0x80000000, v2
	v_lshl_add_u32 v1, v1, 23, v58
	v_or3_b32 v0, v2, v1, v0
.LBB399_44:                             ;   in Loop: Header=BB399_10 Depth=1
	s_or_b64 exec, exec, s[34:35]
.LBB399_45:                             ;   in Loop: Header=BB399_10 Depth=1
	s_or_b64 exec, exec, s[30:31]
.LBB399_46:                             ;   in Loop: Header=BB399_10 Depth=1
	s_or_b64 exec, exec, s[28:29]
	v_mul_f32_e32 v0, v61, v0
	v_and_b32_e32 v1, 0x7f800000, v0
	v_cmp_ne_u32_e64 s[8:9], s38, v1
                                        ; implicit-def: $agpr34
	s_and_saveexec_b64 s[28:29], s[8:9]
	s_xor_b64 s[8:9], exec, s[28:29]
; %bb.47:                               ;   in Loop: Header=BB399_10 Depth=1
	v_bfe_u32 v1, v0, 16, 1
	v_add3_u32 v0, v0, v1, s39
	v_accvgpr_write_b32 a34, v0
                                        ; implicit-def: $vgpr0
; %bb.48:                               ;   in Loop: Header=BB399_10 Depth=1
	s_andn2_saveexec_b64 s[28:29], s[8:9]
; %bb.49:                               ;   in Loop: Header=BB399_10 Depth=1
	v_or_b32_e32 v1, 0x10000, v0
	v_cmp_eq_u32_sdwa s[8:9], v0, v57 src0_sel:WORD_0 src1_sel:DWORD
	v_cndmask_b32_e64 v0, v1, v0, s[8:9]
	v_accvgpr_write_b32 a34, v0
; %bb.50:                               ;   in Loop: Header=BB399_10 Depth=1
	s_or_b64 exec, exec, s[28:29]
	flat_load_dword v28, v[20:21] offset:8
	v_mov_b32_e32 v0, 0
	s_waitcnt vmcnt(0) lgkmcnt(0)
	v_cmp_ne_u16_sdwa s[8:9], v28, v57 src0_sel:BYTE_0 src1_sel:DWORD
	s_and_saveexec_b64 s[28:29], s[8:9]
	s_cbranch_execz .LBB399_56
; %bb.51:                               ;   in Loop: Header=BB399_10 Depth=1
	v_cmp_ne_u16_sdwa s[8:9], v28, s19 src0_sel:BYTE_0 src1_sel:DWORD
	v_bfrev_b32_e32 v0, 1
	s_and_saveexec_b64 s[30:31], s[8:9]
	s_cbranch_execz .LBB399_55
; %bb.52:                               ;   in Loop: Header=BB399_10 Depth=1
	v_and_b32_e32 v1, 0x7f, v28
	v_cmp_ne_u32_e64 s[8:9], s37, v1
	v_mov_b32_e32 v0, 0x7f800001
	s_and_saveexec_b64 s[34:35], s[8:9]
	s_cbranch_execz .LBB399_54
; %bb.53:                               ;   in Loop: Header=BB399_10 Depth=1
	v_and_b32_e32 v0, 7, v28
	v_ffbh_u32_e32 v2, v0
	v_min_u32_e32 v5, 32, v2
	v_subrev_u32_e32 v2, 28, v5
	v_lshlrev_b64 v[2:3], v2, v[28:29]
	v_lshrrev_b32_e32 v4, 3, v1
	v_sub_u32_e32 v3, 29, v5
	v_and_b32_e32 v2, 7, v2
	v_cmp_gt_u32_e64 s[8:9], 8, v1
	v_cndmask_b32_e64 v1, v4, v3, s[8:9]
	v_cndmask_b32_e64 v0, v0, v2, s[8:9]
	v_lshlrev_b32_e32 v2, 24, v28
	v_lshlrev_b32_e32 v0, 20, v0
	v_and_b32_e32 v2, 0x80000000, v2
	v_lshl_add_u32 v1, v1, 23, v58
	v_or3_b32 v0, v2, v1, v0
.LBB399_54:                             ;   in Loop: Header=BB399_10 Depth=1
	s_or_b64 exec, exec, s[34:35]
.LBB399_55:                             ;   in Loop: Header=BB399_10 Depth=1
	s_or_b64 exec, exec, s[30:31]
.LBB399_56:                             ;   in Loop: Header=BB399_10 Depth=1
	s_or_b64 exec, exec, s[28:29]
	v_mul_f32_e32 v0, v61, v0
	v_and_b32_e32 v1, 0x7f800000, v0
	v_cmp_ne_u32_e64 s[8:9], s38, v1
                                        ; implicit-def: $agpr35
	s_and_saveexec_b64 s[28:29], s[8:9]
	s_xor_b64 s[8:9], exec, s[28:29]
; %bb.57:                               ;   in Loop: Header=BB399_10 Depth=1
	v_bfe_u32 v1, v0, 16, 1
	v_add3_u32 v0, v0, v1, s39
	v_accvgpr_write_b32 a35, v0
                                        ; implicit-def: $vgpr0
; %bb.58:                               ;   in Loop: Header=BB399_10 Depth=1
	s_andn2_saveexec_b64 s[28:29], s[8:9]
; %bb.59:                               ;   in Loop: Header=BB399_10 Depth=1
	v_or_b32_e32 v1, 0x10000, v0
	v_cmp_eq_u32_sdwa s[8:9], v0, v57 src0_sel:WORD_0 src1_sel:DWORD
	v_cndmask_b32_e64 v0, v1, v0, s[8:9]
	v_accvgpr_write_b32 a35, v0
; %bb.60:                               ;   in Loop: Header=BB399_10 Depth=1
	s_or_b64 exec, exec, s[28:29]
	v_lshrrev_b16_e32 v30, 8, v28
	v_cmp_ne_u16_e64 s[8:9], 0, v30
	v_mov_b32_e32 v0, 0
	s_and_saveexec_b64 s[28:29], s[8:9]
	s_cbranch_execz .LBB399_66
; %bb.61:                               ;   in Loop: Header=BB399_10 Depth=1
	v_cmp_ne_u16_e64 s[8:9], s19, v30
	v_bfrev_b32_e32 v0, 1
	s_and_saveexec_b64 s[30:31], s[8:9]
	s_cbranch_execz .LBB399_65
; %bb.62:                               ;   in Loop: Header=BB399_10 Depth=1
	v_and_b32_e32 v1, 0x7f, v30
	v_cmp_ne_u32_e64 s[8:9], s37, v1
	v_mov_b32_e32 v0, 0x7f800001
	s_and_saveexec_b64 s[34:35], s[8:9]
	s_cbranch_execz .LBB399_64
; %bb.63:                               ;   in Loop: Header=BB399_10 Depth=1
	v_and_b32_e32 v0, 7, v30
	v_ffbh_u32_e32 v2, v0
	v_min_u32_e32 v5, 32, v2
	v_subrev_u32_e32 v2, 28, v5
	v_lshlrev_b64 v[2:3], v2, v[30:31]
	v_lshrrev_b32_e32 v4, 3, v1
	v_sub_u32_e32 v3, 29, v5
	v_and_b32_e32 v2, 7, v2
	v_cmp_gt_u32_e64 s[8:9], 8, v1
	v_cndmask_b32_e64 v1, v4, v3, s[8:9]
	v_cndmask_b32_e64 v0, v0, v2, s[8:9]
	v_lshlrev_b32_e32 v2, 16, v28
	v_lshlrev_b32_e32 v0, 20, v0
	v_and_b32_e32 v2, 0x80000000, v2
	v_lshl_add_u32 v1, v1, 23, v58
	v_or3_b32 v0, v2, v1, v0
.LBB399_64:                             ;   in Loop: Header=BB399_10 Depth=1
	s_or_b64 exec, exec, s[34:35]
.LBB399_65:                             ;   in Loop: Header=BB399_10 Depth=1
	s_or_b64 exec, exec, s[30:31]
.LBB399_66:                             ;   in Loop: Header=BB399_10 Depth=1
	s_or_b64 exec, exec, s[28:29]
	v_mul_f32_e32 v0, v61, v0
	v_and_b32_e32 v1, 0x7f800000, v0
	v_cmp_ne_u32_e64 s[8:9], s38, v1
                                        ; implicit-def: $agpr36
	s_and_saveexec_b64 s[28:29], s[8:9]
	s_xor_b64 s[8:9], exec, s[28:29]
; %bb.67:                               ;   in Loop: Header=BB399_10 Depth=1
	v_bfe_u32 v1, v0, 16, 1
	v_add3_u32 v0, v0, v1, s39
	v_accvgpr_write_b32 a36, v0
                                        ; implicit-def: $vgpr0
; %bb.68:                               ;   in Loop: Header=BB399_10 Depth=1
	s_andn2_saveexec_b64 s[28:29], s[8:9]
; %bb.69:                               ;   in Loop: Header=BB399_10 Depth=1
	v_or_b32_e32 v1, 0x10000, v0
	v_cmp_eq_u32_sdwa s[8:9], v0, v57 src0_sel:WORD_0 src1_sel:DWORD
	v_cndmask_b32_e64 v0, v1, v0, s[8:9]
	v_accvgpr_write_b32 a36, v0
; %bb.70:                               ;   in Loop: Header=BB399_10 Depth=1
	s_or_b64 exec, exec, s[28:29]
	v_lshrrev_b32_e32 v30, 16, v28
	v_cmp_ne_u16_sdwa s[8:9], v30, v57 src0_sel:BYTE_0 src1_sel:DWORD
	v_mov_b32_e32 v0, 0
	s_and_saveexec_b64 s[28:29], s[8:9]
	s_cbranch_execz .LBB399_76
; %bb.71:                               ;   in Loop: Header=BB399_10 Depth=1
	v_cmp_ne_u16_sdwa s[8:9], v30, s19 src0_sel:BYTE_0 src1_sel:DWORD
	v_bfrev_b32_e32 v0, 1
	s_and_saveexec_b64 s[30:31], s[8:9]
	s_cbranch_execz .LBB399_75
; %bb.72:                               ;   in Loop: Header=BB399_10 Depth=1
	v_bfe_u32 v1, v28, 16, 7
	v_cmp_ne_u32_e64 s[8:9], s37, v1
	v_mov_b32_e32 v0, 0x7f800001
	s_and_saveexec_b64 s[34:35], s[8:9]
	s_cbranch_execz .LBB399_74
; %bb.73:                               ;   in Loop: Header=BB399_10 Depth=1
	v_and_b32_e32 v0, 7, v30
	v_ffbh_u32_e32 v2, v0
	v_min_u32_e32 v5, 32, v2
	v_subrev_u32_e32 v2, 28, v5
	v_lshlrev_b64 v[2:3], v2, v[30:31]
	v_lshrrev_b32_e32 v4, 3, v1
	v_sub_u32_e32 v3, 29, v5
	v_and_b32_e32 v2, 7, v2
	v_cmp_gt_u32_e64 s[8:9], 8, v1
	v_cndmask_b32_e64 v1, v4, v3, s[8:9]
	v_cndmask_b32_e64 v0, v0, v2, s[8:9]
	v_lshlrev_b32_e32 v2, 24, v30
	v_lshlrev_b32_e32 v0, 20, v0
	v_and_b32_e32 v2, 0x80000000, v2
	v_lshl_add_u32 v1, v1, 23, v58
	v_or3_b32 v0, v2, v1, v0
.LBB399_74:                             ;   in Loop: Header=BB399_10 Depth=1
	s_or_b64 exec, exec, s[34:35]
.LBB399_75:                             ;   in Loop: Header=BB399_10 Depth=1
	s_or_b64 exec, exec, s[30:31]
.LBB399_76:                             ;   in Loop: Header=BB399_10 Depth=1
	s_or_b64 exec, exec, s[28:29]
	v_mul_f32_e32 v0, v61, v0
	v_and_b32_e32 v1, 0x7f800000, v0
	v_cmp_ne_u32_e64 s[8:9], s38, v1
                                        ; implicit-def: $agpr37
	s_and_saveexec_b64 s[28:29], s[8:9]
	s_xor_b64 s[8:9], exec, s[28:29]
; %bb.77:                               ;   in Loop: Header=BB399_10 Depth=1
	v_bfe_u32 v1, v0, 16, 1
	v_add3_u32 v0, v0, v1, s39
	v_accvgpr_write_b32 a37, v0
                                        ; implicit-def: $vgpr0
; %bb.78:                               ;   in Loop: Header=BB399_10 Depth=1
	s_andn2_saveexec_b64 s[28:29], s[8:9]
; %bb.79:                               ;   in Loop: Header=BB399_10 Depth=1
	v_or_b32_e32 v1, 0x10000, v0
	v_cmp_eq_u32_sdwa s[8:9], v0, v57 src0_sel:WORD_0 src1_sel:DWORD
	v_cndmask_b32_e64 v0, v1, v0, s[8:9]
	v_accvgpr_write_b32 a37, v0
; %bb.80:                               ;   in Loop: Header=BB399_10 Depth=1
	s_or_b64 exec, exec, s[28:29]
	v_cmp_lt_u32_e64 s[8:9], s40, v28
	v_mov_b32_e32 v0, 0
	s_and_saveexec_b64 s[28:29], s[8:9]
	s_cbranch_execz .LBB399_86
; %bb.81:                               ;   in Loop: Header=BB399_10 Depth=1
	v_lshrrev_b32_e32 v30, 24, v28
	v_cmp_ne_u32_e64 s[8:9], s19, v30
	v_bfrev_b32_e32 v0, 1
	s_and_saveexec_b64 s[30:31], s[8:9]
	s_cbranch_execz .LBB399_85
; %bb.82:                               ;   in Loop: Header=BB399_10 Depth=1
	v_bfe_u32 v1, v28, 24, 7
	v_cmp_ne_u32_e64 s[8:9], s37, v1
	v_mov_b32_e32 v0, 0x7f800001
	s_and_saveexec_b64 s[34:35], s[8:9]
	s_cbranch_execz .LBB399_84
; %bb.83:                               ;   in Loop: Header=BB399_10 Depth=1
	v_and_b32_e32 v0, 7, v30
	v_ffbh_u32_e32 v2, v0
	v_min_u32_e32 v5, 32, v2
	v_subrev_u32_e32 v2, 28, v5
	v_lshlrev_b64 v[2:3], v2, v[30:31]
	v_lshrrev_b32_e32 v4, 3, v1
	v_sub_u32_e32 v3, 29, v5
	v_and_b32_e32 v2, 7, v2
	v_cmp_gt_u32_e64 s[8:9], 8, v1
	v_cndmask_b32_e64 v1, v4, v3, s[8:9]
	v_cndmask_b32_e64 v0, v0, v2, s[8:9]
	v_lshlrev_b32_e32 v2, 24, v30
	v_lshlrev_b32_e32 v0, 20, v0
	v_and_b32_e32 v2, 0x80000000, v2
	v_lshl_add_u32 v1, v1, 23, v58
	v_or3_b32 v0, v2, v1, v0
.LBB399_84:                             ;   in Loop: Header=BB399_10 Depth=1
	s_or_b64 exec, exec, s[34:35]
.LBB399_85:                             ;   in Loop: Header=BB399_10 Depth=1
	s_or_b64 exec, exec, s[30:31]
.LBB399_86:                             ;   in Loop: Header=BB399_10 Depth=1
	s_or_b64 exec, exec, s[28:29]
	v_mul_f32_e32 v0, v61, v0
	v_and_b32_e32 v1, 0x7f800000, v0
	v_cmp_ne_u32_e64 s[8:9], s38, v1
                                        ; implicit-def: $agpr38
	s_and_saveexec_b64 s[28:29], s[8:9]
	s_xor_b64 s[8:9], exec, s[28:29]
; %bb.87:                               ;   in Loop: Header=BB399_10 Depth=1
	v_bfe_u32 v1, v0, 16, 1
	v_add3_u32 v0, v0, v1, s39
	v_accvgpr_write_b32 a38, v0
                                        ; implicit-def: $vgpr0
; %bb.88:                               ;   in Loop: Header=BB399_10 Depth=1
	s_andn2_saveexec_b64 s[28:29], s[8:9]
; %bb.89:                               ;   in Loop: Header=BB399_10 Depth=1
	v_or_b32_e32 v1, 0x10000, v0
	v_cmp_eq_u32_sdwa s[8:9], v0, v57 src0_sel:WORD_0 src1_sel:DWORD
	v_cndmask_b32_e64 v0, v1, v0, s[8:9]
	v_accvgpr_write_b32 a38, v0
; %bb.90:                               ;   in Loop: Header=BB399_10 Depth=1
	s_or_b64 exec, exec, s[28:29]
	flat_load_dword v28, v[20:21] offset:512
	v_mov_b32_e32 v0, 0
	s_waitcnt vmcnt(0) lgkmcnt(0)
	v_cmp_ne_u16_sdwa s[8:9], v28, v57 src0_sel:BYTE_0 src1_sel:DWORD
	s_and_saveexec_b64 s[28:29], s[8:9]
	s_cbranch_execz .LBB399_96
; %bb.91:                               ;   in Loop: Header=BB399_10 Depth=1
	v_cmp_ne_u16_sdwa s[8:9], v28, s19 src0_sel:BYTE_0 src1_sel:DWORD
	v_bfrev_b32_e32 v0, 1
	s_and_saveexec_b64 s[30:31], s[8:9]
	s_cbranch_execz .LBB399_95
; %bb.92:                               ;   in Loop: Header=BB399_10 Depth=1
	v_and_b32_e32 v1, 0x7f, v28
	v_cmp_ne_u32_e64 s[8:9], s37, v1
	v_mov_b32_e32 v0, 0x7f800001
	s_and_saveexec_b64 s[34:35], s[8:9]
	s_cbranch_execz .LBB399_94
; %bb.93:                               ;   in Loop: Header=BB399_10 Depth=1
	v_and_b32_e32 v0, 7, v28
	v_ffbh_u32_e32 v2, v0
	v_min_u32_e32 v5, 32, v2
	v_subrev_u32_e32 v2, 28, v5
	v_lshlrev_b64 v[2:3], v2, v[28:29]
	v_lshrrev_b32_e32 v4, 3, v1
	v_sub_u32_e32 v3, 29, v5
	v_and_b32_e32 v2, 7, v2
	v_cmp_gt_u32_e64 s[8:9], 8, v1
	v_cndmask_b32_e64 v1, v4, v3, s[8:9]
	v_cndmask_b32_e64 v0, v0, v2, s[8:9]
	v_lshlrev_b32_e32 v2, 24, v28
	v_lshlrev_b32_e32 v0, 20, v0
	v_and_b32_e32 v2, 0x80000000, v2
	v_lshl_add_u32 v1, v1, 23, v58
	v_or3_b32 v0, v2, v1, v0
.LBB399_94:                             ;   in Loop: Header=BB399_10 Depth=1
	s_or_b64 exec, exec, s[34:35]
.LBB399_95:                             ;   in Loop: Header=BB399_10 Depth=1
	s_or_b64 exec, exec, s[30:31]
.LBB399_96:                             ;   in Loop: Header=BB399_10 Depth=1
	s_or_b64 exec, exec, s[28:29]
	v_mul_f32_e32 v0, v61, v0
	v_and_b32_e32 v1, 0x7f800000, v0
	v_cmp_ne_u32_e64 s[8:9], s38, v1
                                        ; implicit-def: $agpr39
	s_and_saveexec_b64 s[28:29], s[8:9]
	s_xor_b64 s[8:9], exec, s[28:29]
; %bb.97:                               ;   in Loop: Header=BB399_10 Depth=1
	v_bfe_u32 v1, v0, 16, 1
	v_add3_u32 v0, v0, v1, s39
	v_accvgpr_write_b32 a39, v0
                                        ; implicit-def: $vgpr0
; %bb.98:                               ;   in Loop: Header=BB399_10 Depth=1
	s_andn2_saveexec_b64 s[28:29], s[8:9]
; %bb.99:                               ;   in Loop: Header=BB399_10 Depth=1
	v_or_b32_e32 v1, 0x10000, v0
	v_cmp_eq_u32_sdwa s[8:9], v0, v57 src0_sel:WORD_0 src1_sel:DWORD
	v_cndmask_b32_e64 v0, v1, v0, s[8:9]
	v_accvgpr_write_b32 a39, v0
; %bb.100:                              ;   in Loop: Header=BB399_10 Depth=1
	s_or_b64 exec, exec, s[28:29]
	v_lshrrev_b16_e32 v30, 8, v28
	v_cmp_ne_u16_e64 s[8:9], 0, v30
	v_mov_b32_e32 v0, 0
	s_and_saveexec_b64 s[28:29], s[8:9]
	s_cbranch_execz .LBB399_106
; %bb.101:                              ;   in Loop: Header=BB399_10 Depth=1
	v_cmp_ne_u16_e64 s[8:9], s19, v30
	v_bfrev_b32_e32 v0, 1
	s_and_saveexec_b64 s[30:31], s[8:9]
	s_cbranch_execz .LBB399_105
; %bb.102:                              ;   in Loop: Header=BB399_10 Depth=1
	v_and_b32_e32 v1, 0x7f, v30
	v_cmp_ne_u32_e64 s[8:9], s37, v1
	v_mov_b32_e32 v0, 0x7f800001
	s_and_saveexec_b64 s[34:35], s[8:9]
	s_cbranch_execz .LBB399_104
; %bb.103:                              ;   in Loop: Header=BB399_10 Depth=1
	v_and_b32_e32 v0, 7, v30
	v_ffbh_u32_e32 v2, v0
	v_min_u32_e32 v5, 32, v2
	v_subrev_u32_e32 v2, 28, v5
	v_lshlrev_b64 v[2:3], v2, v[30:31]
	v_lshrrev_b32_e32 v4, 3, v1
	v_sub_u32_e32 v3, 29, v5
	v_and_b32_e32 v2, 7, v2
	v_cmp_gt_u32_e64 s[8:9], 8, v1
	v_cndmask_b32_e64 v1, v4, v3, s[8:9]
	v_cndmask_b32_e64 v0, v0, v2, s[8:9]
	v_lshlrev_b32_e32 v2, 16, v28
	v_lshlrev_b32_e32 v0, 20, v0
	v_and_b32_e32 v2, 0x80000000, v2
	v_lshl_add_u32 v1, v1, 23, v58
	v_or3_b32 v0, v2, v1, v0
.LBB399_104:                            ;   in Loop: Header=BB399_10 Depth=1
	s_or_b64 exec, exec, s[34:35]
.LBB399_105:                            ;   in Loop: Header=BB399_10 Depth=1
	s_or_b64 exec, exec, s[30:31]
.LBB399_106:                            ;   in Loop: Header=BB399_10 Depth=1
	s_or_b64 exec, exec, s[28:29]
	v_mul_f32_e32 v0, v61, v0
	v_and_b32_e32 v1, 0x7f800000, v0
	v_cmp_ne_u32_e64 s[8:9], s38, v1
                                        ; implicit-def: $agpr40
	s_and_saveexec_b64 s[28:29], s[8:9]
	s_xor_b64 s[8:9], exec, s[28:29]
; %bb.107:                              ;   in Loop: Header=BB399_10 Depth=1
	v_bfe_u32 v1, v0, 16, 1
	v_add3_u32 v0, v0, v1, s39
	v_accvgpr_write_b32 a40, v0
                                        ; implicit-def: $vgpr0
; %bb.108:                              ;   in Loop: Header=BB399_10 Depth=1
	s_andn2_saveexec_b64 s[28:29], s[8:9]
; %bb.109:                              ;   in Loop: Header=BB399_10 Depth=1
	v_or_b32_e32 v1, 0x10000, v0
	v_cmp_eq_u32_sdwa s[8:9], v0, v57 src0_sel:WORD_0 src1_sel:DWORD
	v_cndmask_b32_e64 v0, v1, v0, s[8:9]
	v_accvgpr_write_b32 a40, v0
; %bb.110:                              ;   in Loop: Header=BB399_10 Depth=1
	s_or_b64 exec, exec, s[28:29]
	v_lshrrev_b32_e32 v30, 16, v28
	v_cmp_ne_u16_sdwa s[8:9], v30, v57 src0_sel:BYTE_0 src1_sel:DWORD
	v_mov_b32_e32 v0, 0
	s_and_saveexec_b64 s[28:29], s[8:9]
	s_cbranch_execz .LBB399_116
; %bb.111:                              ;   in Loop: Header=BB399_10 Depth=1
	v_cmp_ne_u16_sdwa s[8:9], v30, s19 src0_sel:BYTE_0 src1_sel:DWORD
	v_bfrev_b32_e32 v0, 1
	s_and_saveexec_b64 s[30:31], s[8:9]
	s_cbranch_execz .LBB399_115
; %bb.112:                              ;   in Loop: Header=BB399_10 Depth=1
	v_bfe_u32 v1, v28, 16, 7
	v_cmp_ne_u32_e64 s[8:9], s37, v1
	v_mov_b32_e32 v0, 0x7f800001
	s_and_saveexec_b64 s[34:35], s[8:9]
	s_cbranch_execz .LBB399_114
; %bb.113:                              ;   in Loop: Header=BB399_10 Depth=1
	v_and_b32_e32 v0, 7, v30
	v_ffbh_u32_e32 v2, v0
	v_min_u32_e32 v5, 32, v2
	v_subrev_u32_e32 v2, 28, v5
	v_lshlrev_b64 v[2:3], v2, v[30:31]
	v_lshrrev_b32_e32 v4, 3, v1
	v_sub_u32_e32 v3, 29, v5
	v_and_b32_e32 v2, 7, v2
	v_cmp_gt_u32_e64 s[8:9], 8, v1
	v_cndmask_b32_e64 v1, v4, v3, s[8:9]
	v_cndmask_b32_e64 v0, v0, v2, s[8:9]
	v_lshlrev_b32_e32 v2, 24, v30
	v_lshlrev_b32_e32 v0, 20, v0
	v_and_b32_e32 v2, 0x80000000, v2
	v_lshl_add_u32 v1, v1, 23, v58
	v_or3_b32 v0, v2, v1, v0
.LBB399_114:                            ;   in Loop: Header=BB399_10 Depth=1
	s_or_b64 exec, exec, s[34:35]
.LBB399_115:                            ;   in Loop: Header=BB399_10 Depth=1
	s_or_b64 exec, exec, s[30:31]
.LBB399_116:                            ;   in Loop: Header=BB399_10 Depth=1
	s_or_b64 exec, exec, s[28:29]
	v_mul_f32_e32 v0, v61, v0
	v_and_b32_e32 v1, 0x7f800000, v0
	v_cmp_ne_u32_e64 s[8:9], s38, v1
                                        ; implicit-def: $agpr41
	s_and_saveexec_b64 s[28:29], s[8:9]
	s_xor_b64 s[8:9], exec, s[28:29]
; %bb.117:                              ;   in Loop: Header=BB399_10 Depth=1
	v_bfe_u32 v1, v0, 16, 1
	v_add3_u32 v0, v0, v1, s39
	v_accvgpr_write_b32 a41, v0
                                        ; implicit-def: $vgpr0
; %bb.118:                              ;   in Loop: Header=BB399_10 Depth=1
	s_andn2_saveexec_b64 s[28:29], s[8:9]
; %bb.119:                              ;   in Loop: Header=BB399_10 Depth=1
	v_or_b32_e32 v1, 0x10000, v0
	v_cmp_eq_u32_sdwa s[8:9], v0, v57 src0_sel:WORD_0 src1_sel:DWORD
	v_cndmask_b32_e64 v0, v1, v0, s[8:9]
	v_accvgpr_write_b32 a41, v0
; %bb.120:                              ;   in Loop: Header=BB399_10 Depth=1
	s_or_b64 exec, exec, s[28:29]
	v_cmp_lt_u32_e64 s[8:9], s40, v28
	v_mov_b32_e32 v0, 0
	s_and_saveexec_b64 s[28:29], s[8:9]
	s_cbranch_execz .LBB399_126
; %bb.121:                              ;   in Loop: Header=BB399_10 Depth=1
	v_lshrrev_b32_e32 v30, 24, v28
	v_cmp_ne_u32_e64 s[8:9], s19, v30
	v_bfrev_b32_e32 v0, 1
	s_and_saveexec_b64 s[30:31], s[8:9]
	s_cbranch_execz .LBB399_125
; %bb.122:                              ;   in Loop: Header=BB399_10 Depth=1
	v_bfe_u32 v1, v28, 24, 7
	v_cmp_ne_u32_e64 s[8:9], s37, v1
	v_mov_b32_e32 v0, 0x7f800001
	s_and_saveexec_b64 s[34:35], s[8:9]
	s_cbranch_execz .LBB399_124
; %bb.123:                              ;   in Loop: Header=BB399_10 Depth=1
	v_and_b32_e32 v0, 7, v30
	v_ffbh_u32_e32 v2, v0
	v_min_u32_e32 v5, 32, v2
	v_subrev_u32_e32 v2, 28, v5
	v_lshlrev_b64 v[2:3], v2, v[30:31]
	v_lshrrev_b32_e32 v4, 3, v1
	v_sub_u32_e32 v3, 29, v5
	v_and_b32_e32 v2, 7, v2
	v_cmp_gt_u32_e64 s[8:9], 8, v1
	v_cndmask_b32_e64 v1, v4, v3, s[8:9]
	v_cndmask_b32_e64 v0, v0, v2, s[8:9]
	v_lshlrev_b32_e32 v2, 24, v30
	v_lshlrev_b32_e32 v0, 20, v0
	v_and_b32_e32 v2, 0x80000000, v2
	v_lshl_add_u32 v1, v1, 23, v58
	v_or3_b32 v0, v2, v1, v0
.LBB399_124:                            ;   in Loop: Header=BB399_10 Depth=1
	s_or_b64 exec, exec, s[34:35]
.LBB399_125:                            ;   in Loop: Header=BB399_10 Depth=1
	s_or_b64 exec, exec, s[30:31]
.LBB399_126:                            ;   in Loop: Header=BB399_10 Depth=1
	s_or_b64 exec, exec, s[28:29]
	v_mul_f32_e32 v0, v61, v0
	v_and_b32_e32 v1, 0x7f800000, v0
	v_cmp_ne_u32_e64 s[8:9], s38, v1
                                        ; implicit-def: $agpr42
	s_and_saveexec_b64 s[28:29], s[8:9]
	s_xor_b64 s[8:9], exec, s[28:29]
; %bb.127:                              ;   in Loop: Header=BB399_10 Depth=1
	v_bfe_u32 v1, v0, 16, 1
	v_add3_u32 v0, v0, v1, s39
	v_accvgpr_write_b32 a42, v0
                                        ; implicit-def: $vgpr0
; %bb.128:                              ;   in Loop: Header=BB399_10 Depth=1
	s_andn2_saveexec_b64 s[28:29], s[8:9]
; %bb.129:                              ;   in Loop: Header=BB399_10 Depth=1
	v_or_b32_e32 v1, 0x10000, v0
	v_cmp_eq_u32_sdwa s[8:9], v0, v57 src0_sel:WORD_0 src1_sel:DWORD
	v_cndmask_b32_e64 v0, v1, v0, s[8:9]
	v_accvgpr_write_b32 a42, v0
; %bb.130:                              ;   in Loop: Header=BB399_10 Depth=1
	s_or_b64 exec, exec, s[28:29]
	flat_load_dword v28, v[20:21] offset:520
	v_mov_b32_e32 v0, 0
	s_waitcnt vmcnt(0) lgkmcnt(0)
	v_cmp_ne_u16_sdwa s[8:9], v28, v57 src0_sel:BYTE_0 src1_sel:DWORD
	s_and_saveexec_b64 s[28:29], s[8:9]
	s_cbranch_execz .LBB399_136
; %bb.131:                              ;   in Loop: Header=BB399_10 Depth=1
	v_cmp_ne_u16_sdwa s[8:9], v28, s19 src0_sel:BYTE_0 src1_sel:DWORD
	v_bfrev_b32_e32 v0, 1
	s_and_saveexec_b64 s[30:31], s[8:9]
	s_cbranch_execz .LBB399_135
; %bb.132:                              ;   in Loop: Header=BB399_10 Depth=1
	v_and_b32_e32 v2, 0x7f, v28
	v_cmp_ne_u32_e64 s[8:9], s37, v2
	v_mov_b32_e32 v0, 0x7f800001
	s_and_saveexec_b64 s[34:35], s[8:9]
	s_cbranch_execz .LBB399_134
; %bb.133:                              ;   in Loop: Header=BB399_10 Depth=1
	v_and_b32_e32 v0, 7, v28
	v_ffbh_u32_e32 v4, v0
	v_min_u32_e32 v6, 32, v4
	v_subrev_u32_e32 v4, 28, v6
	v_lshlrev_b64 v[4:5], v4, v[28:29]
	v_lshrrev_b32_e32 v3, 3, v2
	v_sub_u32_e32 v5, 29, v6
	v_and_b32_e32 v4, 7, v4
	v_cmp_gt_u32_e64 s[8:9], 8, v2
	v_cndmask_b32_e64 v2, v3, v5, s[8:9]
	v_cndmask_b32_e64 v0, v0, v4, s[8:9]
	v_lshlrev_b32_e32 v3, 24, v28
	v_lshlrev_b32_e32 v0, 20, v0
	v_and_b32_e32 v3, 0x80000000, v3
	v_lshl_add_u32 v2, v2, 23, v58
	v_or3_b32 v0, v3, v2, v0
.LBB399_134:                            ;   in Loop: Header=BB399_10 Depth=1
	s_or_b64 exec, exec, s[34:35]
.LBB399_135:                            ;   in Loop: Header=BB399_10 Depth=1
	s_or_b64 exec, exec, s[30:31]
.LBB399_136:                            ;   in Loop: Header=BB399_10 Depth=1
	s_or_b64 exec, exec, s[28:29]
	v_mul_f32_e32 v2, v61, v0
	v_and_b32_e32 v0, 0x7f800000, v2
	v_cmp_ne_u32_e64 s[8:9], s38, v0
                                        ; implicit-def: $agpr43
	s_and_saveexec_b64 s[28:29], s[8:9]
	s_xor_b64 s[8:9], exec, s[28:29]
; %bb.137:                              ;   in Loop: Header=BB399_10 Depth=1
	v_bfe_u32 v0, v2, 16, 1
	v_add3_u32 v0, v2, v0, s39
	v_accvgpr_write_b32 a43, v0
                                        ; implicit-def: $vgpr2
; %bb.138:                              ;   in Loop: Header=BB399_10 Depth=1
	s_andn2_saveexec_b64 s[28:29], s[8:9]
; %bb.139:                              ;   in Loop: Header=BB399_10 Depth=1
	v_or_b32_e32 v0, 0x10000, v2
	v_cmp_eq_u32_sdwa s[8:9], v2, v57 src0_sel:WORD_0 src1_sel:DWORD
	v_cndmask_b32_e64 v0, v0, v2, s[8:9]
	v_accvgpr_write_b32 a43, v0
; %bb.140:                              ;   in Loop: Header=BB399_10 Depth=1
	s_or_b64 exec, exec, s[28:29]
	v_lshrrev_b16_e32 v30, 8, v28
	v_cmp_ne_u16_e64 s[8:9], 0, v30
	v_mov_b32_e32 v2, 0
	s_and_saveexec_b64 s[28:29], s[8:9]
	s_cbranch_execz .LBB399_146
; %bb.141:                              ;   in Loop: Header=BB399_10 Depth=1
	v_cmp_ne_u16_e64 s[8:9], s19, v30
	v_bfrev_b32_e32 v2, 1
	s_and_saveexec_b64 s[30:31], s[8:9]
	s_cbranch_execz .LBB399_145
; %bb.142:                              ;   in Loop: Header=BB399_10 Depth=1
	v_and_b32_e32 v3, 0x7f, v30
	v_cmp_ne_u32_e64 s[8:9], s37, v3
	v_mov_b32_e32 v2, 0x7f800001
	s_and_saveexec_b64 s[34:35], s[8:9]
	s_cbranch_execz .LBB399_144
; %bb.143:                              ;   in Loop: Header=BB399_10 Depth=1
	v_and_b32_e32 v4, 7, v30
	v_ffbh_u32_e32 v2, v4
	v_min_u32_e32 v6, 32, v2
	v_subrev_u32_e32 v2, 28, v6
	v_lshrrev_b32_e32 v5, 3, v3
	v_cmp_gt_u32_e64 s[8:9], 8, v3
	v_lshlrev_b64 v[2:3], v2, v[30:31]
	v_sub_u32_e32 v3, 29, v6
	v_and_b32_e32 v2, 7, v2
	v_cndmask_b32_e64 v3, v5, v3, s[8:9]
	v_cndmask_b32_e64 v2, v4, v2, s[8:9]
	v_lshlrev_b32_e32 v4, 16, v28
	v_lshlrev_b32_e32 v2, 20, v2
	v_and_b32_e32 v4, 0x80000000, v4
	v_lshl_add_u32 v3, v3, 23, v58
	v_or3_b32 v2, v4, v3, v2
.LBB399_144:                            ;   in Loop: Header=BB399_10 Depth=1
	s_or_b64 exec, exec, s[34:35]
.LBB399_145:                            ;   in Loop: Header=BB399_10 Depth=1
	s_or_b64 exec, exec, s[30:31]
.LBB399_146:                            ;   in Loop: Header=BB399_10 Depth=1
	s_or_b64 exec, exec, s[28:29]
	v_mul_f32_e32 v2, v61, v2
	v_and_b32_e32 v3, 0x7f800000, v2
	v_cmp_ne_u32_e64 s[8:9], s38, v3
                                        ; implicit-def: $agpr44
	s_and_saveexec_b64 s[28:29], s[8:9]
	s_xor_b64 s[8:9], exec, s[28:29]
; %bb.147:                              ;   in Loop: Header=BB399_10 Depth=1
	v_bfe_u32 v3, v2, 16, 1
	v_add3_u32 v0, v2, v3, s39
	v_accvgpr_write_b32 a44, v0
                                        ; implicit-def: $vgpr2
; %bb.148:                              ;   in Loop: Header=BB399_10 Depth=1
	s_andn2_saveexec_b64 s[28:29], s[8:9]
; %bb.149:                              ;   in Loop: Header=BB399_10 Depth=1
	v_or_b32_e32 v3, 0x10000, v2
	v_cmp_eq_u32_sdwa s[8:9], v2, v57 src0_sel:WORD_0 src1_sel:DWORD
	v_cndmask_b32_e64 v0, v3, v2, s[8:9]
	v_accvgpr_write_b32 a44, v0
; %bb.150:                              ;   in Loop: Header=BB399_10 Depth=1
	s_or_b64 exec, exec, s[28:29]
	v_lshrrev_b32_e32 v30, 16, v28
	v_cmp_ne_u16_sdwa s[8:9], v30, v57 src0_sel:BYTE_0 src1_sel:DWORD
	v_mov_b32_e32 v2, 0
	s_and_saveexec_b64 s[28:29], s[8:9]
	s_cbranch_execz .LBB399_156
; %bb.151:                              ;   in Loop: Header=BB399_10 Depth=1
	v_cmp_ne_u16_sdwa s[8:9], v30, s19 src0_sel:BYTE_0 src1_sel:DWORD
	v_bfrev_b32_e32 v2, 1
	s_and_saveexec_b64 s[30:31], s[8:9]
	s_cbranch_execz .LBB399_155
; %bb.152:                              ;   in Loop: Header=BB399_10 Depth=1
	v_bfe_u32 v3, v28, 16, 7
	v_cmp_ne_u32_e64 s[8:9], s37, v3
	v_mov_b32_e32 v2, 0x7f800001
	s_and_saveexec_b64 s[34:35], s[8:9]
	s_cbranch_execz .LBB399_154
; %bb.153:                              ;   in Loop: Header=BB399_10 Depth=1
	v_and_b32_e32 v4, 7, v30
	v_ffbh_u32_e32 v2, v4
	v_min_u32_e32 v6, 32, v2
	v_subrev_u32_e32 v2, 28, v6
	v_lshrrev_b32_e32 v5, 3, v3
	v_cmp_gt_u32_e64 s[8:9], 8, v3
	v_lshlrev_b64 v[2:3], v2, v[30:31]
	v_sub_u32_e32 v3, 29, v6
	v_and_b32_e32 v2, 7, v2
	v_cndmask_b32_e64 v3, v5, v3, s[8:9]
	v_cndmask_b32_e64 v2, v4, v2, s[8:9]
	v_lshlrev_b32_e32 v4, 24, v30
	v_lshlrev_b32_e32 v2, 20, v2
	v_and_b32_e32 v4, 0x80000000, v4
	v_lshl_add_u32 v3, v3, 23, v58
	v_or3_b32 v2, v4, v3, v2
.LBB399_154:                            ;   in Loop: Header=BB399_10 Depth=1
	s_or_b64 exec, exec, s[34:35]
.LBB399_155:                            ;   in Loop: Header=BB399_10 Depth=1
	s_or_b64 exec, exec, s[30:31]
.LBB399_156:                            ;   in Loop: Header=BB399_10 Depth=1
	s_or_b64 exec, exec, s[28:29]
	v_mul_f32_e32 v2, v61, v2
	v_and_b32_e32 v3, 0x7f800000, v2
	v_cmp_ne_u32_e64 s[8:9], s38, v3
                                        ; implicit-def: $vgpr3
	s_and_saveexec_b64 s[28:29], s[8:9]
	s_xor_b64 s[8:9], exec, s[28:29]
; %bb.157:                              ;   in Loop: Header=BB399_10 Depth=1
	v_bfe_u32 v3, v2, 16, 1
	v_add3_u32 v3, v2, v3, s39
                                        ; implicit-def: $vgpr2
; %bb.158:                              ;   in Loop: Header=BB399_10 Depth=1
	s_andn2_saveexec_b64 s[28:29], s[8:9]
; %bb.159:                              ;   in Loop: Header=BB399_10 Depth=1
	v_or_b32_e32 v3, 0x10000, v2
	v_cmp_eq_u32_sdwa s[8:9], v2, v57 src0_sel:WORD_0 src1_sel:DWORD
	v_cndmask_b32_e64 v3, v3, v2, s[8:9]
; %bb.160:                              ;   in Loop: Header=BB399_10 Depth=1
	s_or_b64 exec, exec, s[28:29]
	v_cmp_lt_u32_e64 s[8:9], s40, v28
	v_mov_b32_e32 v2, 0
	s_and_saveexec_b64 s[28:29], s[8:9]
	s_cbranch_execz .LBB399_166
; %bb.161:                              ;   in Loop: Header=BB399_10 Depth=1
	v_lshrrev_b32_e32 v30, 24, v28
	v_cmp_ne_u32_e64 s[8:9], s19, v30
	v_bfrev_b32_e32 v2, 1
	s_and_saveexec_b64 s[30:31], s[8:9]
	s_cbranch_execz .LBB399_165
; %bb.162:                              ;   in Loop: Header=BB399_10 Depth=1
	v_bfe_u32 v4, v28, 24, 7
	v_cmp_ne_u32_e64 s[8:9], s37, v4
	v_mov_b32_e32 v2, 0x7f800001
	s_and_saveexec_b64 s[34:35], s[8:9]
	s_cbranch_execz .LBB399_164
; %bb.163:                              ;   in Loop: Header=BB399_10 Depth=1
	v_and_b32_e32 v2, 7, v30
	v_lshrrev_b32_e32 v6, 3, v4
	v_cmp_gt_u32_e64 s[8:9], 8, v4
	v_ffbh_u32_e32 v4, v2
	v_min_u32_e32 v7, 32, v4
	v_subrev_u32_e32 v4, 28, v7
	v_lshlrev_b64 v[4:5], v4, v[30:31]
	v_sub_u32_e32 v5, 29, v7
	v_and_b32_e32 v4, 7, v4
	v_cndmask_b32_e64 v5, v6, v5, s[8:9]
	v_cndmask_b32_e64 v2, v2, v4, s[8:9]
	v_lshlrev_b32_e32 v4, 24, v30
	v_lshlrev_b32_e32 v2, 20, v2
	v_and_b32_e32 v4, 0x80000000, v4
	v_lshl_add_u32 v5, v5, 23, v58
	v_or3_b32 v2, v4, v5, v2
.LBB399_164:                            ;   in Loop: Header=BB399_10 Depth=1
	s_or_b64 exec, exec, s[34:35]
.LBB399_165:                            ;   in Loop: Header=BB399_10 Depth=1
	s_or_b64 exec, exec, s[30:31]
.LBB399_166:                            ;   in Loop: Header=BB399_10 Depth=1
	s_or_b64 exec, exec, s[28:29]
	v_mul_f32_e32 v4, v61, v2
	v_and_b32_e32 v2, 0x7f800000, v4
	v_cmp_ne_u32_e64 s[8:9], s38, v2
                                        ; implicit-def: $vgpr2
	s_and_saveexec_b64 s[28:29], s[8:9]
	s_xor_b64 s[8:9], exec, s[28:29]
; %bb.167:                              ;   in Loop: Header=BB399_10 Depth=1
	v_bfe_u32 v2, v4, 16, 1
	v_add3_u32 v2, v4, v2, s39
                                        ; implicit-def: $vgpr4
; %bb.168:                              ;   in Loop: Header=BB399_10 Depth=1
	s_andn2_saveexec_b64 s[28:29], s[8:9]
; %bb.169:                              ;   in Loop: Header=BB399_10 Depth=1
	v_or_b32_e32 v2, 0x10000, v4
	v_cmp_eq_u32_sdwa s[8:9], v4, v57 src0_sel:WORD_0 src1_sel:DWORD
	v_cndmask_b32_e64 v2, v2, v4, s[8:9]
; %bb.170:                              ;   in Loop: Header=BB399_10 Depth=1
	s_or_b64 exec, exec, s[28:29]
	flat_load_dword v28, v[20:21] offset:1024
	v_mov_b32_e32 v4, 0
	s_waitcnt vmcnt(0) lgkmcnt(0)
	v_cmp_ne_u16_sdwa s[8:9], v28, v57 src0_sel:BYTE_0 src1_sel:DWORD
	s_and_saveexec_b64 s[28:29], s[8:9]
	s_cbranch_execz .LBB399_176
; %bb.171:                              ;   in Loop: Header=BB399_10 Depth=1
	v_cmp_ne_u16_sdwa s[8:9], v28, s19 src0_sel:BYTE_0 src1_sel:DWORD
	v_bfrev_b32_e32 v4, 1
	s_and_saveexec_b64 s[30:31], s[8:9]
	s_cbranch_execz .LBB399_175
; %bb.172:                              ;   in Loop: Header=BB399_10 Depth=1
	v_and_b32_e32 v5, 0x7f, v28
	v_cmp_ne_u32_e64 s[8:9], s37, v5
	v_mov_b32_e32 v4, 0x7f800001
	s_and_saveexec_b64 s[34:35], s[8:9]
	s_cbranch_execz .LBB399_174
; %bb.173:                              ;   in Loop: Header=BB399_10 Depth=1
	v_and_b32_e32 v6, 7, v28
	v_ffbh_u32_e32 v4, v6
	v_min_u32_e32 v8, 32, v4
	v_subrev_u32_e32 v4, 28, v8
	v_lshrrev_b32_e32 v7, 3, v5
	v_cmp_gt_u32_e64 s[8:9], 8, v5
	v_lshlrev_b64 v[4:5], v4, v[28:29]
	v_sub_u32_e32 v5, 29, v8
	v_and_b32_e32 v4, 7, v4
	v_cndmask_b32_e64 v5, v7, v5, s[8:9]
	v_cndmask_b32_e64 v4, v6, v4, s[8:9]
	v_lshlrev_b32_e32 v6, 24, v28
	v_lshlrev_b32_e32 v4, 20, v4
	v_and_b32_e32 v6, 0x80000000, v6
	v_lshl_add_u32 v5, v5, 23, v58
	v_or3_b32 v4, v6, v5, v4
.LBB399_174:                            ;   in Loop: Header=BB399_10 Depth=1
	s_or_b64 exec, exec, s[34:35]
.LBB399_175:                            ;   in Loop: Header=BB399_10 Depth=1
	s_or_b64 exec, exec, s[30:31]
.LBB399_176:                            ;   in Loop: Header=BB399_10 Depth=1
	s_or_b64 exec, exec, s[28:29]
	v_mul_f32_e32 v4, v61, v4
	v_and_b32_e32 v5, 0x7f800000, v4
	v_cmp_ne_u32_e64 s[8:9], s38, v5
                                        ; implicit-def: $vgpr29
	s_and_saveexec_b64 s[28:29], s[8:9]
	s_xor_b64 s[8:9], exec, s[28:29]
; %bb.177:                              ;   in Loop: Header=BB399_10 Depth=1
	v_bfe_u32 v5, v4, 16, 1
	v_add3_u32 v29, v4, v5, s39
                                        ; implicit-def: $vgpr4
; %bb.178:                              ;   in Loop: Header=BB399_10 Depth=1
	s_andn2_saveexec_b64 s[28:29], s[8:9]
; %bb.179:                              ;   in Loop: Header=BB399_10 Depth=1
	v_or_b32_e32 v5, 0x10000, v4
	v_cmp_eq_u32_sdwa s[8:9], v4, v57 src0_sel:WORD_0 src1_sel:DWORD
	v_cndmask_b32_e64 v29, v5, v4, s[8:9]
; %bb.180:                              ;   in Loop: Header=BB399_10 Depth=1
	s_or_b64 exec, exec, s[28:29]
	v_lshrrev_b16_e32 v30, 8, v28
	v_cmp_ne_u16_e64 s[8:9], 0, v30
	v_mov_b32_e32 v4, 0
	s_and_saveexec_b64 s[28:29], s[8:9]
	s_cbranch_execz .LBB399_186
; %bb.181:                              ;   in Loop: Header=BB399_10 Depth=1
	v_cmp_ne_u16_e64 s[8:9], s19, v30
	v_bfrev_b32_e32 v4, 1
	s_and_saveexec_b64 s[30:31], s[8:9]
	s_cbranch_execz .LBB399_185
; %bb.182:                              ;   in Loop: Header=BB399_10 Depth=1
	v_and_b32_e32 v5, 0x7f, v30
	v_cmp_ne_u32_e64 s[8:9], s37, v5
	v_mov_b32_e32 v4, 0x7f800001
	s_and_saveexec_b64 s[34:35], s[8:9]
	s_cbranch_execz .LBB399_184
; %bb.183:                              ;   in Loop: Header=BB399_10 Depth=1
	v_and_b32_e32 v6, 7, v30
	v_ffbh_u32_e32 v4, v6
	v_min_u32_e32 v8, 32, v4
	v_subrev_u32_e32 v4, 28, v8
	v_lshrrev_b32_e32 v7, 3, v5
	v_cmp_gt_u32_e64 s[8:9], 8, v5
	v_lshlrev_b64 v[4:5], v4, v[30:31]
	v_sub_u32_e32 v5, 29, v8
	v_and_b32_e32 v4, 7, v4
	v_cndmask_b32_e64 v5, v7, v5, s[8:9]
	v_cndmask_b32_e64 v4, v6, v4, s[8:9]
	v_lshlrev_b32_e32 v6, 16, v28
	v_lshlrev_b32_e32 v4, 20, v4
	v_and_b32_e32 v6, 0x80000000, v6
	v_lshl_add_u32 v5, v5, 23, v58
	v_or3_b32 v4, v6, v5, v4
.LBB399_184:                            ;   in Loop: Header=BB399_10 Depth=1
	s_or_b64 exec, exec, s[34:35]
.LBB399_185:                            ;   in Loop: Header=BB399_10 Depth=1
	s_or_b64 exec, exec, s[30:31]
.LBB399_186:                            ;   in Loop: Header=BB399_10 Depth=1
	s_or_b64 exec, exec, s[28:29]
	v_mul_f32_e32 v4, v61, v4
	v_and_b32_e32 v5, 0x7f800000, v4
	v_cmp_ne_u32_e64 s[8:9], s38, v5
                                        ; implicit-def: $vgpr34
	s_and_saveexec_b64 s[28:29], s[8:9]
	s_xor_b64 s[8:9], exec, s[28:29]
; %bb.187:                              ;   in Loop: Header=BB399_10 Depth=1
	v_bfe_u32 v5, v4, 16, 1
	v_add3_u32 v34, v4, v5, s39
                                        ; implicit-def: $vgpr4
; %bb.188:                              ;   in Loop: Header=BB399_10 Depth=1
	s_andn2_saveexec_b64 s[28:29], s[8:9]
; %bb.189:                              ;   in Loop: Header=BB399_10 Depth=1
	v_or_b32_e32 v5, 0x10000, v4
	v_cmp_eq_u32_sdwa s[8:9], v4, v57 src0_sel:WORD_0 src1_sel:DWORD
	v_cndmask_b32_e64 v34, v5, v4, s[8:9]
; %bb.190:                              ;   in Loop: Header=BB399_10 Depth=1
	s_or_b64 exec, exec, s[28:29]
	v_lshrrev_b32_e32 v30, 16, v28
	v_cmp_ne_u16_sdwa s[8:9], v30, v57 src0_sel:BYTE_0 src1_sel:DWORD
	v_mov_b32_e32 v4, 0
	s_and_saveexec_b64 s[28:29], s[8:9]
	s_cbranch_execz .LBB399_196
; %bb.191:                              ;   in Loop: Header=BB399_10 Depth=1
	v_cmp_ne_u16_sdwa s[8:9], v30, s19 src0_sel:BYTE_0 src1_sel:DWORD
	v_bfrev_b32_e32 v4, 1
	s_and_saveexec_b64 s[30:31], s[8:9]
	s_cbranch_execz .LBB399_195
; %bb.192:                              ;   in Loop: Header=BB399_10 Depth=1
	v_bfe_u32 v5, v28, 16, 7
	v_cmp_ne_u32_e64 s[8:9], s37, v5
	v_mov_b32_e32 v4, 0x7f800001
	s_and_saveexec_b64 s[34:35], s[8:9]
	s_cbranch_execz .LBB399_194
; %bb.193:                              ;   in Loop: Header=BB399_10 Depth=1
	v_and_b32_e32 v6, 7, v30
	v_ffbh_u32_e32 v4, v6
	v_min_u32_e32 v8, 32, v4
	v_subrev_u32_e32 v4, 28, v8
	v_lshrrev_b32_e32 v7, 3, v5
	v_cmp_gt_u32_e64 s[8:9], 8, v5
	v_lshlrev_b64 v[4:5], v4, v[30:31]
	v_sub_u32_e32 v5, 29, v8
	v_and_b32_e32 v4, 7, v4
	v_cndmask_b32_e64 v5, v7, v5, s[8:9]
	v_cndmask_b32_e64 v4, v6, v4, s[8:9]
	v_lshlrev_b32_e32 v6, 24, v30
	v_lshlrev_b32_e32 v4, 20, v4
	v_and_b32_e32 v6, 0x80000000, v6
	v_lshl_add_u32 v5, v5, 23, v58
	v_or3_b32 v4, v6, v5, v4
.LBB399_194:                            ;   in Loop: Header=BB399_10 Depth=1
	s_or_b64 exec, exec, s[34:35]
.LBB399_195:                            ;   in Loop: Header=BB399_10 Depth=1
	s_or_b64 exec, exec, s[30:31]
.LBB399_196:                            ;   in Loop: Header=BB399_10 Depth=1
	s_or_b64 exec, exec, s[28:29]
	v_mul_f32_e32 v4, v61, v4
	v_and_b32_e32 v5, 0x7f800000, v4
	v_cmp_ne_u32_e64 s[8:9], s38, v5
                                        ; implicit-def: $vgpr27
	s_and_saveexec_b64 s[28:29], s[8:9]
	s_xor_b64 s[8:9], exec, s[28:29]
; %bb.197:                              ;   in Loop: Header=BB399_10 Depth=1
	v_bfe_u32 v5, v4, 16, 1
	v_add3_u32 v27, v4, v5, s39
                                        ; implicit-def: $vgpr4
; %bb.198:                              ;   in Loop: Header=BB399_10 Depth=1
	s_andn2_saveexec_b64 s[28:29], s[8:9]
; %bb.199:                              ;   in Loop: Header=BB399_10 Depth=1
	v_or_b32_e32 v5, 0x10000, v4
	v_cmp_eq_u32_sdwa s[8:9], v4, v57 src0_sel:WORD_0 src1_sel:DWORD
	v_cndmask_b32_e64 v27, v5, v4, s[8:9]
; %bb.200:                              ;   in Loop: Header=BB399_10 Depth=1
	s_or_b64 exec, exec, s[28:29]
	v_cmp_lt_u32_e64 s[8:9], s40, v28
	v_mov_b32_e32 v4, 0
	s_and_saveexec_b64 s[28:29], s[8:9]
	s_cbranch_execz .LBB399_206
; %bb.201:                              ;   in Loop: Header=BB399_10 Depth=1
	v_lshrrev_b32_e32 v30, 24, v28
	v_cmp_ne_u32_e64 s[8:9], s19, v30
	v_bfrev_b32_e32 v4, 1
	s_and_saveexec_b64 s[30:31], s[8:9]
	s_cbranch_execz .LBB399_205
; %bb.202:                              ;   in Loop: Header=BB399_10 Depth=1
	v_bfe_u32 v5, v28, 24, 7
	v_cmp_ne_u32_e64 s[8:9], s37, v5
	v_mov_b32_e32 v4, 0x7f800001
	s_and_saveexec_b64 s[34:35], s[8:9]
	s_cbranch_execz .LBB399_204
; %bb.203:                              ;   in Loop: Header=BB399_10 Depth=1
	v_and_b32_e32 v6, 7, v30
	v_ffbh_u32_e32 v4, v6
	v_min_u32_e32 v8, 32, v4
	v_subrev_u32_e32 v4, 28, v8
	v_lshrrev_b32_e32 v7, 3, v5
	v_cmp_gt_u32_e64 s[8:9], 8, v5
	v_lshlrev_b64 v[4:5], v4, v[30:31]
	v_sub_u32_e32 v5, 29, v8
	v_and_b32_e32 v4, 7, v4
	v_cndmask_b32_e64 v5, v7, v5, s[8:9]
	v_cndmask_b32_e64 v4, v6, v4, s[8:9]
	v_lshlrev_b32_e32 v6, 24, v30
	v_lshlrev_b32_e32 v4, 20, v4
	v_and_b32_e32 v6, 0x80000000, v6
	v_lshl_add_u32 v5, v5, 23, v58
	v_or3_b32 v4, v6, v5, v4
.LBB399_204:                            ;   in Loop: Header=BB399_10 Depth=1
	s_or_b64 exec, exec, s[34:35]
.LBB399_205:                            ;   in Loop: Header=BB399_10 Depth=1
	s_or_b64 exec, exec, s[30:31]
.LBB399_206:                            ;   in Loop: Header=BB399_10 Depth=1
	s_or_b64 exec, exec, s[28:29]
	v_mul_f32_e32 v4, v61, v4
	v_and_b32_e32 v5, 0x7f800000, v4
	v_cmp_ne_u32_e64 s[8:9], s38, v5
                                        ; implicit-def: $vgpr26
	s_and_saveexec_b64 s[28:29], s[8:9]
	s_xor_b64 s[8:9], exec, s[28:29]
; %bb.207:                              ;   in Loop: Header=BB399_10 Depth=1
	v_bfe_u32 v5, v4, 16, 1
	v_add3_u32 v26, v4, v5, s39
                                        ; implicit-def: $vgpr4
; %bb.208:                              ;   in Loop: Header=BB399_10 Depth=1
	s_andn2_saveexec_b64 s[28:29], s[8:9]
; %bb.209:                              ;   in Loop: Header=BB399_10 Depth=1
	v_or_b32_e32 v5, 0x10000, v4
	v_cmp_eq_u32_sdwa s[8:9], v4, v57 src0_sel:WORD_0 src1_sel:DWORD
	v_cndmask_b32_e64 v26, v5, v4, s[8:9]
; %bb.210:                              ;   in Loop: Header=BB399_10 Depth=1
	s_or_b64 exec, exec, s[28:29]
	flat_load_dword v28, v[20:21] offset:1032
	v_mov_b32_e32 v4, 0
	s_waitcnt vmcnt(0) lgkmcnt(0)
	v_cmp_ne_u16_sdwa s[8:9], v28, v57 src0_sel:BYTE_0 src1_sel:DWORD
	s_and_saveexec_b64 s[28:29], s[8:9]
	s_cbranch_execz .LBB399_216
; %bb.211:                              ;   in Loop: Header=BB399_10 Depth=1
	v_cmp_ne_u16_sdwa s[8:9], v28, s19 src0_sel:BYTE_0 src1_sel:DWORD
	v_bfrev_b32_e32 v4, 1
	s_and_saveexec_b64 s[30:31], s[8:9]
	s_cbranch_execz .LBB399_215
; %bb.212:                              ;   in Loop: Header=BB399_10 Depth=1
	v_and_b32_e32 v5, 0x7f, v28
	v_cmp_ne_u32_e64 s[8:9], s37, v5
	v_mov_b32_e32 v4, 0x7f800001
	s_and_saveexec_b64 s[34:35], s[8:9]
	s_cbranch_execz .LBB399_214
; %bb.213:                              ;   in Loop: Header=BB399_10 Depth=1
	v_and_b32_e32 v6, 7, v28
	v_ffbh_u32_e32 v4, v6
	v_min_u32_e32 v8, 32, v4
	v_subrev_u32_e32 v4, 28, v8
	v_lshrrev_b32_e32 v7, 3, v5
	v_cmp_gt_u32_e64 s[8:9], 8, v5
	v_lshlrev_b64 v[4:5], v4, v[28:29]
	v_sub_u32_e32 v5, 29, v8
	v_and_b32_e32 v4, 7, v4
	v_cndmask_b32_e64 v5, v7, v5, s[8:9]
	v_cndmask_b32_e64 v4, v6, v4, s[8:9]
	v_lshlrev_b32_e32 v6, 24, v28
	v_lshlrev_b32_e32 v4, 20, v4
	v_and_b32_e32 v6, 0x80000000, v6
	v_lshl_add_u32 v5, v5, 23, v58
	v_or3_b32 v4, v6, v5, v4
.LBB399_214:                            ;   in Loop: Header=BB399_10 Depth=1
	s_or_b64 exec, exec, s[34:35]
.LBB399_215:                            ;   in Loop: Header=BB399_10 Depth=1
	s_or_b64 exec, exec, s[30:31]
.LBB399_216:                            ;   in Loop: Header=BB399_10 Depth=1
	s_or_b64 exec, exec, s[28:29]
	v_mul_f32_e32 v4, v61, v4
	v_and_b32_e32 v5, 0x7f800000, v4
	v_cmp_ne_u32_e64 s[8:9], s38, v5
                                        ; implicit-def: $vgpr35
	s_and_saveexec_b64 s[28:29], s[8:9]
	s_xor_b64 s[8:9], exec, s[28:29]
; %bb.217:                              ;   in Loop: Header=BB399_10 Depth=1
	v_bfe_u32 v5, v4, 16, 1
	v_add3_u32 v35, v4, v5, s39
                                        ; implicit-def: $vgpr4
; %bb.218:                              ;   in Loop: Header=BB399_10 Depth=1
	s_andn2_saveexec_b64 s[28:29], s[8:9]
; %bb.219:                              ;   in Loop: Header=BB399_10 Depth=1
	v_or_b32_e32 v5, 0x10000, v4
	v_cmp_eq_u32_sdwa s[8:9], v4, v57 src0_sel:WORD_0 src1_sel:DWORD
	v_cndmask_b32_e64 v35, v5, v4, s[8:9]
; %bb.220:                              ;   in Loop: Header=BB399_10 Depth=1
	s_or_b64 exec, exec, s[28:29]
	v_lshrrev_b16_e32 v30, 8, v28
	v_cmp_ne_u16_e64 s[8:9], 0, v30
	v_mov_b32_e32 v4, 0
	s_and_saveexec_b64 s[28:29], s[8:9]
	s_cbranch_execz .LBB399_226
; %bb.221:                              ;   in Loop: Header=BB399_10 Depth=1
	v_cmp_ne_u16_e64 s[8:9], s19, v30
	v_bfrev_b32_e32 v4, 1
	s_and_saveexec_b64 s[30:31], s[8:9]
	s_cbranch_execz .LBB399_225
; %bb.222:                              ;   in Loop: Header=BB399_10 Depth=1
	v_and_b32_e32 v5, 0x7f, v30
	v_cmp_ne_u32_e64 s[8:9], s37, v5
	v_mov_b32_e32 v4, 0x7f800001
	s_and_saveexec_b64 s[34:35], s[8:9]
	s_cbranch_execz .LBB399_224
; %bb.223:                              ;   in Loop: Header=BB399_10 Depth=1
	v_and_b32_e32 v6, 7, v30
	v_ffbh_u32_e32 v4, v6
	v_min_u32_e32 v8, 32, v4
	v_subrev_u32_e32 v4, 28, v8
	v_lshrrev_b32_e32 v7, 3, v5
	v_cmp_gt_u32_e64 s[8:9], 8, v5
	v_lshlrev_b64 v[4:5], v4, v[30:31]
	v_sub_u32_e32 v5, 29, v8
	v_and_b32_e32 v4, 7, v4
	v_cndmask_b32_e64 v5, v7, v5, s[8:9]
	v_cndmask_b32_e64 v4, v6, v4, s[8:9]
	v_lshlrev_b32_e32 v6, 16, v28
	v_lshlrev_b32_e32 v4, 20, v4
	v_and_b32_e32 v6, 0x80000000, v6
	v_lshl_add_u32 v5, v5, 23, v58
	v_or3_b32 v4, v6, v5, v4
.LBB399_224:                            ;   in Loop: Header=BB399_10 Depth=1
	s_or_b64 exec, exec, s[34:35]
.LBB399_225:                            ;   in Loop: Header=BB399_10 Depth=1
	s_or_b64 exec, exec, s[30:31]
.LBB399_226:                            ;   in Loop: Header=BB399_10 Depth=1
	s_or_b64 exec, exec, s[28:29]
	v_mul_f32_e32 v4, v61, v4
	v_and_b32_e32 v5, 0x7f800000, v4
	v_cmp_ne_u32_e64 s[8:9], s38, v5
                                        ; implicit-def: $vgpr15
	s_and_saveexec_b64 s[28:29], s[8:9]
	s_xor_b64 s[8:9], exec, s[28:29]
; %bb.227:                              ;   in Loop: Header=BB399_10 Depth=1
	v_bfe_u32 v5, v4, 16, 1
	v_add3_u32 v15, v4, v5, s39
                                        ; implicit-def: $vgpr4
; %bb.228:                              ;   in Loop: Header=BB399_10 Depth=1
	s_andn2_saveexec_b64 s[28:29], s[8:9]
; %bb.229:                              ;   in Loop: Header=BB399_10 Depth=1
	v_or_b32_e32 v5, 0x10000, v4
	v_cmp_eq_u32_sdwa s[8:9], v4, v57 src0_sel:WORD_0 src1_sel:DWORD
	v_cndmask_b32_e64 v15, v5, v4, s[8:9]
; %bb.230:                              ;   in Loop: Header=BB399_10 Depth=1
	s_or_b64 exec, exec, s[28:29]
	v_lshrrev_b32_e32 v30, 16, v28
	v_cmp_ne_u16_sdwa s[8:9], v30, v57 src0_sel:BYTE_0 src1_sel:DWORD
	v_mov_b32_e32 v4, 0
	s_and_saveexec_b64 s[28:29], s[8:9]
	s_cbranch_execz .LBB399_236
; %bb.231:                              ;   in Loop: Header=BB399_10 Depth=1
	v_cmp_ne_u16_sdwa s[8:9], v30, s19 src0_sel:BYTE_0 src1_sel:DWORD
	v_bfrev_b32_e32 v4, 1
	s_and_saveexec_b64 s[30:31], s[8:9]
	s_cbranch_execz .LBB399_235
; %bb.232:                              ;   in Loop: Header=BB399_10 Depth=1
	v_bfe_u32 v5, v28, 16, 7
	v_cmp_ne_u32_e64 s[8:9], s37, v5
	v_mov_b32_e32 v4, 0x7f800001
	s_and_saveexec_b64 s[34:35], s[8:9]
	s_cbranch_execz .LBB399_234
; %bb.233:                              ;   in Loop: Header=BB399_10 Depth=1
	v_and_b32_e32 v6, 7, v30
	v_ffbh_u32_e32 v4, v6
	v_min_u32_e32 v8, 32, v4
	v_subrev_u32_e32 v4, 28, v8
	v_lshrrev_b32_e32 v7, 3, v5
	v_cmp_gt_u32_e64 s[8:9], 8, v5
	v_lshlrev_b64 v[4:5], v4, v[30:31]
	v_sub_u32_e32 v5, 29, v8
	v_and_b32_e32 v4, 7, v4
	v_cndmask_b32_e64 v5, v7, v5, s[8:9]
	v_cndmask_b32_e64 v4, v6, v4, s[8:9]
	v_lshlrev_b32_e32 v6, 24, v30
	v_lshlrev_b32_e32 v4, 20, v4
	v_and_b32_e32 v6, 0x80000000, v6
	v_lshl_add_u32 v5, v5, 23, v58
	v_or3_b32 v4, v6, v5, v4
.LBB399_234:                            ;   in Loop: Header=BB399_10 Depth=1
	s_or_b64 exec, exec, s[34:35]
.LBB399_235:                            ;   in Loop: Header=BB399_10 Depth=1
	s_or_b64 exec, exec, s[30:31]
.LBB399_236:                            ;   in Loop: Header=BB399_10 Depth=1
	s_or_b64 exec, exec, s[28:29]
	v_mul_f32_e32 v4, v61, v4
	v_and_b32_e32 v5, 0x7f800000, v4
	v_cmp_ne_u32_e64 s[8:9], s38, v5
                                        ; implicit-def: $vgpr14
	s_and_saveexec_b64 s[28:29], s[8:9]
	s_xor_b64 s[8:9], exec, s[28:29]
; %bb.237:                              ;   in Loop: Header=BB399_10 Depth=1
	v_bfe_u32 v5, v4, 16, 1
	v_add3_u32 v14, v4, v5, s39
                                        ; implicit-def: $vgpr4
; %bb.238:                              ;   in Loop: Header=BB399_10 Depth=1
	s_andn2_saveexec_b64 s[28:29], s[8:9]
; %bb.239:                              ;   in Loop: Header=BB399_10 Depth=1
	v_or_b32_e32 v5, 0x10000, v4
	v_cmp_eq_u32_sdwa s[8:9], v4, v57 src0_sel:WORD_0 src1_sel:DWORD
	v_cndmask_b32_e64 v14, v5, v4, s[8:9]
; %bb.240:                              ;   in Loop: Header=BB399_10 Depth=1
	s_or_b64 exec, exec, s[28:29]
	v_cmp_lt_u32_e64 s[8:9], s40, v28
	v_mov_b32_e32 v4, 0
	s_and_saveexec_b64 s[28:29], s[8:9]
	s_cbranch_execz .LBB399_246
; %bb.241:                              ;   in Loop: Header=BB399_10 Depth=1
	v_lshrrev_b32_e32 v30, 24, v28
	v_cmp_ne_u32_e64 s[8:9], s19, v30
	v_bfrev_b32_e32 v4, 1
	s_and_saveexec_b64 s[30:31], s[8:9]
	s_cbranch_execz .LBB399_245
; %bb.242:                              ;   in Loop: Header=BB399_10 Depth=1
	v_bfe_u32 v5, v28, 24, 7
	v_cmp_ne_u32_e64 s[8:9], s37, v5
	v_mov_b32_e32 v4, 0x7f800001
	s_and_saveexec_b64 s[34:35], s[8:9]
	s_cbranch_execz .LBB399_244
; %bb.243:                              ;   in Loop: Header=BB399_10 Depth=1
	v_and_b32_e32 v6, 7, v30
	v_ffbh_u32_e32 v4, v6
	v_min_u32_e32 v8, 32, v4
	v_subrev_u32_e32 v4, 28, v8
	v_lshrrev_b32_e32 v7, 3, v5
	v_cmp_gt_u32_e64 s[8:9], 8, v5
	v_lshlrev_b64 v[4:5], v4, v[30:31]
	v_sub_u32_e32 v5, 29, v8
	v_and_b32_e32 v4, 7, v4
	v_cndmask_b32_e64 v5, v7, v5, s[8:9]
	v_cndmask_b32_e64 v4, v6, v4, s[8:9]
	v_lshlrev_b32_e32 v6, 24, v30
	v_lshlrev_b32_e32 v4, 20, v4
	v_and_b32_e32 v6, 0x80000000, v6
	v_lshl_add_u32 v5, v5, 23, v58
	v_or3_b32 v4, v6, v5, v4
.LBB399_244:                            ;   in Loop: Header=BB399_10 Depth=1
	s_or_b64 exec, exec, s[34:35]
.LBB399_245:                            ;   in Loop: Header=BB399_10 Depth=1
	s_or_b64 exec, exec, s[30:31]
.LBB399_246:                            ;   in Loop: Header=BB399_10 Depth=1
	s_or_b64 exec, exec, s[28:29]
	v_mul_f32_e32 v4, v61, v4
	v_and_b32_e32 v5, 0x7f800000, v4
	v_cmp_ne_u32_e64 s[8:9], s38, v5
                                        ; implicit-def: $vgpr23
	s_and_saveexec_b64 s[28:29], s[8:9]
	s_xor_b64 s[8:9], exec, s[28:29]
; %bb.247:                              ;   in Loop: Header=BB399_10 Depth=1
	v_bfe_u32 v5, v4, 16, 1
	v_add3_u32 v23, v4, v5, s39
                                        ; implicit-def: $vgpr4
; %bb.248:                              ;   in Loop: Header=BB399_10 Depth=1
	s_andn2_saveexec_b64 s[28:29], s[8:9]
; %bb.249:                              ;   in Loop: Header=BB399_10 Depth=1
	v_or_b32_e32 v5, 0x10000, v4
	v_cmp_eq_u32_sdwa s[8:9], v4, v57 src0_sel:WORD_0 src1_sel:DWORD
	v_cndmask_b32_e64 v23, v5, v4, s[8:9]
; %bb.250:                              ;   in Loop: Header=BB399_10 Depth=1
	s_or_b64 exec, exec, s[28:29]
	flat_load_dword v28, v[20:21] offset:1536
	v_mov_b32_e32 v4, 0
	s_waitcnt vmcnt(0) lgkmcnt(0)
	v_cmp_ne_u16_sdwa s[8:9], v28, v57 src0_sel:BYTE_0 src1_sel:DWORD
	s_and_saveexec_b64 s[28:29], s[8:9]
	s_cbranch_execz .LBB399_256
; %bb.251:                              ;   in Loop: Header=BB399_10 Depth=1
	v_cmp_ne_u16_sdwa s[8:9], v28, s19 src0_sel:BYTE_0 src1_sel:DWORD
	v_bfrev_b32_e32 v4, 1
	s_and_saveexec_b64 s[30:31], s[8:9]
	s_cbranch_execz .LBB399_255
; %bb.252:                              ;   in Loop: Header=BB399_10 Depth=1
	v_and_b32_e32 v5, 0x7f, v28
	v_cmp_ne_u32_e64 s[8:9], s37, v5
	v_mov_b32_e32 v4, 0x7f800001
	s_and_saveexec_b64 s[34:35], s[8:9]
	s_cbranch_execz .LBB399_254
; %bb.253:                              ;   in Loop: Header=BB399_10 Depth=1
	v_and_b32_e32 v6, 7, v28
	v_ffbh_u32_e32 v4, v6
	v_min_u32_e32 v8, 32, v4
	v_subrev_u32_e32 v4, 28, v8
	v_lshrrev_b32_e32 v7, 3, v5
	v_cmp_gt_u32_e64 s[8:9], 8, v5
	v_lshlrev_b64 v[4:5], v4, v[28:29]
	v_sub_u32_e32 v5, 29, v8
	v_and_b32_e32 v4, 7, v4
	v_cndmask_b32_e64 v5, v7, v5, s[8:9]
	v_cndmask_b32_e64 v4, v6, v4, s[8:9]
	v_lshlrev_b32_e32 v6, 24, v28
	v_lshlrev_b32_e32 v4, 20, v4
	v_and_b32_e32 v6, 0x80000000, v6
	v_lshl_add_u32 v5, v5, 23, v58
	v_or3_b32 v4, v6, v5, v4
.LBB399_254:                            ;   in Loop: Header=BB399_10 Depth=1
	s_or_b64 exec, exec, s[34:35]
.LBB399_255:                            ;   in Loop: Header=BB399_10 Depth=1
	s_or_b64 exec, exec, s[30:31]
.LBB399_256:                            ;   in Loop: Header=BB399_10 Depth=1
	s_or_b64 exec, exec, s[28:29]
	v_mul_f32_e32 v4, v61, v4
	v_and_b32_e32 v5, 0x7f800000, v4
	v_cmp_ne_u32_e64 s[8:9], s38, v5
                                        ; implicit-def: $vgpr36
	s_and_saveexec_b64 s[28:29], s[8:9]
	s_xor_b64 s[8:9], exec, s[28:29]
; %bb.257:                              ;   in Loop: Header=BB399_10 Depth=1
	v_bfe_u32 v5, v4, 16, 1
	v_add3_u32 v36, v4, v5, s39
                                        ; implicit-def: $vgpr4
; %bb.258:                              ;   in Loop: Header=BB399_10 Depth=1
	s_andn2_saveexec_b64 s[28:29], s[8:9]
; %bb.259:                              ;   in Loop: Header=BB399_10 Depth=1
	v_or_b32_e32 v5, 0x10000, v4
	v_cmp_eq_u32_sdwa s[8:9], v4, v57 src0_sel:WORD_0 src1_sel:DWORD
	v_cndmask_b32_e64 v36, v5, v4, s[8:9]
; %bb.260:                              ;   in Loop: Header=BB399_10 Depth=1
	s_or_b64 exec, exec, s[28:29]
	v_lshrrev_b16_e32 v30, 8, v28
	v_cmp_ne_u16_e64 s[8:9], 0, v30
	v_mov_b32_e32 v4, 0
	s_and_saveexec_b64 s[28:29], s[8:9]
	s_cbranch_execz .LBB399_266
; %bb.261:                              ;   in Loop: Header=BB399_10 Depth=1
	v_cmp_ne_u16_e64 s[8:9], s19, v30
	v_bfrev_b32_e32 v4, 1
	s_and_saveexec_b64 s[30:31], s[8:9]
	s_cbranch_execz .LBB399_265
; %bb.262:                              ;   in Loop: Header=BB399_10 Depth=1
	v_and_b32_e32 v5, 0x7f, v30
	v_cmp_ne_u32_e64 s[8:9], s37, v5
	v_mov_b32_e32 v4, 0x7f800001
	s_and_saveexec_b64 s[34:35], s[8:9]
	s_cbranch_execz .LBB399_264
; %bb.263:                              ;   in Loop: Header=BB399_10 Depth=1
	v_and_b32_e32 v6, 7, v30
	v_ffbh_u32_e32 v4, v6
	v_min_u32_e32 v8, 32, v4
	v_subrev_u32_e32 v4, 28, v8
	v_lshrrev_b32_e32 v7, 3, v5
	v_cmp_gt_u32_e64 s[8:9], 8, v5
	v_lshlrev_b64 v[4:5], v4, v[30:31]
	v_sub_u32_e32 v5, 29, v8
	v_and_b32_e32 v4, 7, v4
	v_cndmask_b32_e64 v5, v7, v5, s[8:9]
	v_cndmask_b32_e64 v4, v6, v4, s[8:9]
	v_lshlrev_b32_e32 v6, 16, v28
	v_lshlrev_b32_e32 v4, 20, v4
	v_and_b32_e32 v6, 0x80000000, v6
	v_lshl_add_u32 v5, v5, 23, v58
	v_or3_b32 v4, v6, v5, v4
.LBB399_264:                            ;   in Loop: Header=BB399_10 Depth=1
	s_or_b64 exec, exec, s[34:35]
.LBB399_265:                            ;   in Loop: Header=BB399_10 Depth=1
	s_or_b64 exec, exec, s[30:31]
.LBB399_266:                            ;   in Loop: Header=BB399_10 Depth=1
	s_or_b64 exec, exec, s[28:29]
	v_mul_f32_e32 v4, v61, v4
	v_and_b32_e32 v5, 0x7f800000, v4
	v_cmp_ne_u32_e64 s[8:9], s38, v5
                                        ; implicit-def: $vgpr37
	s_and_saveexec_b64 s[28:29], s[8:9]
	s_xor_b64 s[8:9], exec, s[28:29]
; %bb.267:                              ;   in Loop: Header=BB399_10 Depth=1
	v_bfe_u32 v5, v4, 16, 1
	v_add3_u32 v37, v4, v5, s39
                                        ; implicit-def: $vgpr4
; %bb.268:                              ;   in Loop: Header=BB399_10 Depth=1
	s_andn2_saveexec_b64 s[28:29], s[8:9]
; %bb.269:                              ;   in Loop: Header=BB399_10 Depth=1
	v_or_b32_e32 v5, 0x10000, v4
	v_cmp_eq_u32_sdwa s[8:9], v4, v57 src0_sel:WORD_0 src1_sel:DWORD
	v_cndmask_b32_e64 v37, v5, v4, s[8:9]
; %bb.270:                              ;   in Loop: Header=BB399_10 Depth=1
	s_or_b64 exec, exec, s[28:29]
	v_lshrrev_b32_e32 v30, 16, v28
	v_cmp_ne_u16_sdwa s[8:9], v30, v57 src0_sel:BYTE_0 src1_sel:DWORD
	v_mov_b32_e32 v4, 0
	s_and_saveexec_b64 s[28:29], s[8:9]
	s_cbranch_execz .LBB399_276
; %bb.271:                              ;   in Loop: Header=BB399_10 Depth=1
	v_cmp_ne_u16_sdwa s[8:9], v30, s19 src0_sel:BYTE_0 src1_sel:DWORD
	v_bfrev_b32_e32 v4, 1
	s_and_saveexec_b64 s[30:31], s[8:9]
	s_cbranch_execz .LBB399_275
; %bb.272:                              ;   in Loop: Header=BB399_10 Depth=1
	v_bfe_u32 v5, v28, 16, 7
	v_cmp_ne_u32_e64 s[8:9], s37, v5
	v_mov_b32_e32 v4, 0x7f800001
	s_and_saveexec_b64 s[34:35], s[8:9]
	s_cbranch_execz .LBB399_274
; %bb.273:                              ;   in Loop: Header=BB399_10 Depth=1
	v_and_b32_e32 v6, 7, v30
	v_ffbh_u32_e32 v4, v6
	v_min_u32_e32 v8, 32, v4
	v_subrev_u32_e32 v4, 28, v8
	v_lshrrev_b32_e32 v7, 3, v5
	v_cmp_gt_u32_e64 s[8:9], 8, v5
	v_lshlrev_b64 v[4:5], v4, v[30:31]
	v_sub_u32_e32 v5, 29, v8
	v_and_b32_e32 v4, 7, v4
	v_cndmask_b32_e64 v5, v7, v5, s[8:9]
	v_cndmask_b32_e64 v4, v6, v4, s[8:9]
	v_lshlrev_b32_e32 v6, 24, v30
	v_lshlrev_b32_e32 v4, 20, v4
	v_and_b32_e32 v6, 0x80000000, v6
	v_lshl_add_u32 v5, v5, 23, v58
	v_or3_b32 v4, v6, v5, v4
.LBB399_274:                            ;   in Loop: Header=BB399_10 Depth=1
	s_or_b64 exec, exec, s[34:35]
.LBB399_275:                            ;   in Loop: Header=BB399_10 Depth=1
	s_or_b64 exec, exec, s[30:31]
.LBB399_276:                            ;   in Loop: Header=BB399_10 Depth=1
	s_or_b64 exec, exec, s[28:29]
	v_mul_f32_e32 v4, v61, v4
	v_and_b32_e32 v5, 0x7f800000, v4
	v_cmp_ne_u32_e64 s[8:9], s38, v5
                                        ; implicit-def: $vgpr38
	s_and_saveexec_b64 s[28:29], s[8:9]
	s_xor_b64 s[8:9], exec, s[28:29]
; %bb.277:                              ;   in Loop: Header=BB399_10 Depth=1
	v_bfe_u32 v5, v4, 16, 1
	v_add3_u32 v38, v4, v5, s39
                                        ; implicit-def: $vgpr4
; %bb.278:                              ;   in Loop: Header=BB399_10 Depth=1
	s_andn2_saveexec_b64 s[28:29], s[8:9]
; %bb.279:                              ;   in Loop: Header=BB399_10 Depth=1
	v_or_b32_e32 v5, 0x10000, v4
	v_cmp_eq_u32_sdwa s[8:9], v4, v57 src0_sel:WORD_0 src1_sel:DWORD
	v_cndmask_b32_e64 v38, v5, v4, s[8:9]
; %bb.280:                              ;   in Loop: Header=BB399_10 Depth=1
	s_or_b64 exec, exec, s[28:29]
	v_cmp_lt_u32_e64 s[8:9], s40, v28
	v_mov_b32_e32 v4, 0
	s_and_saveexec_b64 s[28:29], s[8:9]
	s_cbranch_execz .LBB399_286
; %bb.281:                              ;   in Loop: Header=BB399_10 Depth=1
	v_lshrrev_b32_e32 v30, 24, v28
	v_cmp_ne_u32_e64 s[8:9], s19, v30
	v_bfrev_b32_e32 v4, 1
	s_and_saveexec_b64 s[30:31], s[8:9]
	s_cbranch_execz .LBB399_285
; %bb.282:                              ;   in Loop: Header=BB399_10 Depth=1
	v_bfe_u32 v5, v28, 24, 7
	v_cmp_ne_u32_e64 s[8:9], s37, v5
	v_mov_b32_e32 v4, 0x7f800001
	s_and_saveexec_b64 s[34:35], s[8:9]
	s_cbranch_execz .LBB399_284
; %bb.283:                              ;   in Loop: Header=BB399_10 Depth=1
	v_and_b32_e32 v6, 7, v30
	v_ffbh_u32_e32 v4, v6
	v_min_u32_e32 v8, 32, v4
	v_subrev_u32_e32 v4, 28, v8
	v_lshrrev_b32_e32 v7, 3, v5
	v_cmp_gt_u32_e64 s[8:9], 8, v5
	v_lshlrev_b64 v[4:5], v4, v[30:31]
	v_sub_u32_e32 v5, 29, v8
	v_and_b32_e32 v4, 7, v4
	v_cndmask_b32_e64 v5, v7, v5, s[8:9]
	v_cndmask_b32_e64 v4, v6, v4, s[8:9]
	v_lshlrev_b32_e32 v6, 24, v30
	v_lshlrev_b32_e32 v4, 20, v4
	v_and_b32_e32 v6, 0x80000000, v6
	v_lshl_add_u32 v5, v5, 23, v58
	v_or3_b32 v4, v6, v5, v4
.LBB399_284:                            ;   in Loop: Header=BB399_10 Depth=1
	s_or_b64 exec, exec, s[34:35]
.LBB399_285:                            ;   in Loop: Header=BB399_10 Depth=1
	s_or_b64 exec, exec, s[30:31]
.LBB399_286:                            ;   in Loop: Header=BB399_10 Depth=1
	s_or_b64 exec, exec, s[28:29]
	v_mul_f32_e32 v4, v61, v4
	v_and_b32_e32 v5, 0x7f800000, v4
	v_cmp_ne_u32_e64 s[8:9], s38, v5
                                        ; implicit-def: $vgpr50
	s_and_saveexec_b64 s[28:29], s[8:9]
	s_xor_b64 s[8:9], exec, s[28:29]
; %bb.287:                              ;   in Loop: Header=BB399_10 Depth=1
	v_bfe_u32 v5, v4, 16, 1
	v_add3_u32 v50, v4, v5, s39
                                        ; implicit-def: $vgpr4
; %bb.288:                              ;   in Loop: Header=BB399_10 Depth=1
	s_andn2_saveexec_b64 s[28:29], s[8:9]
; %bb.289:                              ;   in Loop: Header=BB399_10 Depth=1
	v_or_b32_e32 v5, 0x10000, v4
	v_cmp_eq_u32_sdwa s[8:9], v4, v57 src0_sel:WORD_0 src1_sel:DWORD
	v_cndmask_b32_e64 v50, v5, v4, s[8:9]
; %bb.290:                              ;   in Loop: Header=BB399_10 Depth=1
	s_or_b64 exec, exec, s[28:29]
	flat_load_dword v28, v[20:21] offset:1544
	v_mov_b32_e32 v4, 0
	s_waitcnt vmcnt(0) lgkmcnt(0)
	v_cmp_ne_u16_sdwa s[8:9], v28, v57 src0_sel:BYTE_0 src1_sel:DWORD
	s_and_saveexec_b64 s[28:29], s[8:9]
	s_cbranch_execz .LBB399_296
; %bb.291:                              ;   in Loop: Header=BB399_10 Depth=1
	v_cmp_ne_u16_sdwa s[8:9], v28, s19 src0_sel:BYTE_0 src1_sel:DWORD
	v_bfrev_b32_e32 v4, 1
	s_and_saveexec_b64 s[30:31], s[8:9]
	s_cbranch_execz .LBB399_295
; %bb.292:                              ;   in Loop: Header=BB399_10 Depth=1
	v_and_b32_e32 v5, 0x7f, v28
	v_cmp_ne_u32_e64 s[8:9], s37, v5
	v_mov_b32_e32 v4, 0x7f800001
	s_and_saveexec_b64 s[34:35], s[8:9]
	s_cbranch_execz .LBB399_294
; %bb.293:                              ;   in Loop: Header=BB399_10 Depth=1
	v_and_b32_e32 v6, 7, v28
	v_ffbh_u32_e32 v4, v6
	v_min_u32_e32 v8, 32, v4
	v_subrev_u32_e32 v4, 28, v8
	v_lshrrev_b32_e32 v7, 3, v5
	v_cmp_gt_u32_e64 s[8:9], 8, v5
	v_lshlrev_b64 v[4:5], v4, v[28:29]
	v_sub_u32_e32 v5, 29, v8
	v_and_b32_e32 v4, 7, v4
	v_cndmask_b32_e64 v5, v7, v5, s[8:9]
	v_cndmask_b32_e64 v4, v6, v4, s[8:9]
	v_lshlrev_b32_e32 v6, 24, v28
	v_lshlrev_b32_e32 v4, 20, v4
	v_and_b32_e32 v6, 0x80000000, v6
	v_lshl_add_u32 v5, v5, 23, v58
	v_or3_b32 v4, v6, v5, v4
.LBB399_294:                            ;   in Loop: Header=BB399_10 Depth=1
	s_or_b64 exec, exec, s[34:35]
.LBB399_295:                            ;   in Loop: Header=BB399_10 Depth=1
	s_or_b64 exec, exec, s[30:31]
.LBB399_296:                            ;   in Loop: Header=BB399_10 Depth=1
	s_or_b64 exec, exec, s[28:29]
	v_mul_f32_e32 v4, v61, v4
	v_and_b32_e32 v5, 0x7f800000, v4
	v_cmp_ne_u32_e64 s[8:9], s38, v5
                                        ; implicit-def: $vgpr51
	s_and_saveexec_b64 s[28:29], s[8:9]
	s_xor_b64 s[8:9], exec, s[28:29]
; %bb.297:                              ;   in Loop: Header=BB399_10 Depth=1
	v_bfe_u32 v5, v4, 16, 1
	v_add3_u32 v51, v4, v5, s39
                                        ; implicit-def: $vgpr4
; %bb.298:                              ;   in Loop: Header=BB399_10 Depth=1
	s_andn2_saveexec_b64 s[28:29], s[8:9]
; %bb.299:                              ;   in Loop: Header=BB399_10 Depth=1
	v_or_b32_e32 v5, 0x10000, v4
	v_cmp_eq_u32_sdwa s[8:9], v4, v57 src0_sel:WORD_0 src1_sel:DWORD
	v_cndmask_b32_e64 v51, v5, v4, s[8:9]
; %bb.300:                              ;   in Loop: Header=BB399_10 Depth=1
	s_or_b64 exec, exec, s[28:29]
	v_lshrrev_b16_e32 v30, 8, v28
	v_cmp_ne_u16_e64 s[8:9], 0, v30
	v_mov_b32_e32 v4, 0
	s_and_saveexec_b64 s[28:29], s[8:9]
	s_cbranch_execz .LBB399_306
; %bb.301:                              ;   in Loop: Header=BB399_10 Depth=1
	v_cmp_ne_u16_e64 s[8:9], s19, v30
	v_bfrev_b32_e32 v4, 1
	s_and_saveexec_b64 s[30:31], s[8:9]
	s_cbranch_execz .LBB399_305
; %bb.302:                              ;   in Loop: Header=BB399_10 Depth=1
	v_and_b32_e32 v5, 0x7f, v30
	v_cmp_ne_u32_e64 s[8:9], s37, v5
	v_mov_b32_e32 v4, 0x7f800001
	s_and_saveexec_b64 s[34:35], s[8:9]
	s_cbranch_execz .LBB399_304
; %bb.303:                              ;   in Loop: Header=BB399_10 Depth=1
	v_and_b32_e32 v6, 7, v30
	v_ffbh_u32_e32 v4, v6
	v_min_u32_e32 v8, 32, v4
	v_subrev_u32_e32 v4, 28, v8
	v_lshrrev_b32_e32 v7, 3, v5
	v_cmp_gt_u32_e64 s[8:9], 8, v5
	v_lshlrev_b64 v[4:5], v4, v[30:31]
	v_sub_u32_e32 v5, 29, v8
	v_and_b32_e32 v4, 7, v4
	v_cndmask_b32_e64 v5, v7, v5, s[8:9]
	v_cndmask_b32_e64 v4, v6, v4, s[8:9]
	v_lshlrev_b32_e32 v6, 16, v28
	v_lshlrev_b32_e32 v4, 20, v4
	v_and_b32_e32 v6, 0x80000000, v6
	v_lshl_add_u32 v5, v5, 23, v58
	v_or3_b32 v4, v6, v5, v4
.LBB399_304:                            ;   in Loop: Header=BB399_10 Depth=1
	s_or_b64 exec, exec, s[34:35]
.LBB399_305:                            ;   in Loop: Header=BB399_10 Depth=1
	s_or_b64 exec, exec, s[30:31]
.LBB399_306:                            ;   in Loop: Header=BB399_10 Depth=1
	s_or_b64 exec, exec, s[28:29]
	v_mul_f32_e32 v4, v61, v4
	v_and_b32_e32 v5, 0x7f800000, v4
	v_cmp_ne_u32_e64 s[8:9], s38, v5
                                        ; implicit-def: $vgpr52
	s_and_saveexec_b64 s[28:29], s[8:9]
	s_xor_b64 s[8:9], exec, s[28:29]
; %bb.307:                              ;   in Loop: Header=BB399_10 Depth=1
	v_bfe_u32 v5, v4, 16, 1
	v_add3_u32 v52, v4, v5, s39
                                        ; implicit-def: $vgpr4
; %bb.308:                              ;   in Loop: Header=BB399_10 Depth=1
	s_andn2_saveexec_b64 s[28:29], s[8:9]
; %bb.309:                              ;   in Loop: Header=BB399_10 Depth=1
	v_or_b32_e32 v5, 0x10000, v4
	v_cmp_eq_u32_sdwa s[8:9], v4, v57 src0_sel:WORD_0 src1_sel:DWORD
	v_cndmask_b32_e64 v52, v5, v4, s[8:9]
; %bb.310:                              ;   in Loop: Header=BB399_10 Depth=1
	s_or_b64 exec, exec, s[28:29]
	v_lshrrev_b32_e32 v30, 16, v28
	v_cmp_ne_u16_sdwa s[8:9], v30, v57 src0_sel:BYTE_0 src1_sel:DWORD
	v_mov_b32_e32 v4, 0
	s_and_saveexec_b64 s[28:29], s[8:9]
	s_cbranch_execz .LBB399_316
; %bb.311:                              ;   in Loop: Header=BB399_10 Depth=1
	v_cmp_ne_u16_sdwa s[8:9], v30, s19 src0_sel:BYTE_0 src1_sel:DWORD
	v_bfrev_b32_e32 v4, 1
	s_and_saveexec_b64 s[30:31], s[8:9]
	s_cbranch_execz .LBB399_315
; %bb.312:                              ;   in Loop: Header=BB399_10 Depth=1
	v_bfe_u32 v5, v28, 16, 7
	v_cmp_ne_u32_e64 s[8:9], s37, v5
	v_mov_b32_e32 v4, 0x7f800001
	s_and_saveexec_b64 s[34:35], s[8:9]
	s_cbranch_execz .LBB399_314
; %bb.313:                              ;   in Loop: Header=BB399_10 Depth=1
	v_and_b32_e32 v6, 7, v30
	v_ffbh_u32_e32 v4, v6
	v_min_u32_e32 v8, 32, v4
	v_subrev_u32_e32 v4, 28, v8
	v_lshrrev_b32_e32 v7, 3, v5
	v_cmp_gt_u32_e64 s[8:9], 8, v5
	v_lshlrev_b64 v[4:5], v4, v[30:31]
	v_sub_u32_e32 v5, 29, v8
	v_and_b32_e32 v4, 7, v4
	v_cndmask_b32_e64 v5, v7, v5, s[8:9]
	v_cndmask_b32_e64 v4, v6, v4, s[8:9]
	v_lshlrev_b32_e32 v6, 24, v30
	v_lshlrev_b32_e32 v4, 20, v4
	v_and_b32_e32 v6, 0x80000000, v6
	v_lshl_add_u32 v5, v5, 23, v58
	v_or3_b32 v4, v6, v5, v4
.LBB399_314:                            ;   in Loop: Header=BB399_10 Depth=1
	s_or_b64 exec, exec, s[34:35]
.LBB399_315:                            ;   in Loop: Header=BB399_10 Depth=1
	s_or_b64 exec, exec, s[30:31]
.LBB399_316:                            ;   in Loop: Header=BB399_10 Depth=1
	s_or_b64 exec, exec, s[28:29]
	v_mul_f32_e32 v4, v61, v4
	v_and_b32_e32 v5, 0x7f800000, v4
	v_cmp_ne_u32_e64 s[8:9], s38, v5
                                        ; implicit-def: $vgpr53
	s_and_saveexec_b64 s[28:29], s[8:9]
	s_xor_b64 s[8:9], exec, s[28:29]
; %bb.317:                              ;   in Loop: Header=BB399_10 Depth=1
	v_bfe_u32 v5, v4, 16, 1
	v_add3_u32 v53, v4, v5, s39
                                        ; implicit-def: $vgpr4
; %bb.318:                              ;   in Loop: Header=BB399_10 Depth=1
	s_andn2_saveexec_b64 s[28:29], s[8:9]
; %bb.319:                              ;   in Loop: Header=BB399_10 Depth=1
	v_or_b32_e32 v5, 0x10000, v4
	v_cmp_eq_u32_sdwa s[8:9], v4, v57 src0_sel:WORD_0 src1_sel:DWORD
	v_cndmask_b32_e64 v53, v5, v4, s[8:9]
; %bb.320:                              ;   in Loop: Header=BB399_10 Depth=1
	s_or_b64 exec, exec, s[28:29]
	v_cmp_lt_u32_e64 s[8:9], s40, v28
	v_mov_b32_e32 v4, 0
	s_and_saveexec_b64 s[28:29], s[8:9]
	s_cbranch_execz .LBB399_326
; %bb.321:                              ;   in Loop: Header=BB399_10 Depth=1
	v_lshrrev_b32_e32 v30, 24, v28
	v_cmp_ne_u32_e64 s[8:9], s19, v30
	v_bfrev_b32_e32 v4, 1
	s_and_saveexec_b64 s[30:31], s[8:9]
	s_cbranch_execz .LBB399_325
; %bb.322:                              ;   in Loop: Header=BB399_10 Depth=1
	v_bfe_u32 v5, v28, 24, 7
	v_cmp_ne_u32_e64 s[8:9], s37, v5
	v_mov_b32_e32 v4, 0x7f800001
	s_and_saveexec_b64 s[34:35], s[8:9]
	s_cbranch_execz .LBB399_324
; %bb.323:                              ;   in Loop: Header=BB399_10 Depth=1
	v_and_b32_e32 v6, 7, v30
	v_ffbh_u32_e32 v4, v6
	v_min_u32_e32 v8, 32, v4
	v_subrev_u32_e32 v4, 28, v8
	v_lshrrev_b32_e32 v7, 3, v5
	v_cmp_gt_u32_e64 s[8:9], 8, v5
	v_lshlrev_b64 v[4:5], v4, v[30:31]
	v_sub_u32_e32 v5, 29, v8
	v_and_b32_e32 v4, 7, v4
	v_cndmask_b32_e64 v5, v7, v5, s[8:9]
	v_cndmask_b32_e64 v4, v6, v4, s[8:9]
	v_lshlrev_b32_e32 v6, 24, v30
	v_lshlrev_b32_e32 v4, 20, v4
	v_and_b32_e32 v6, 0x80000000, v6
	v_lshl_add_u32 v5, v5, 23, v58
	v_or3_b32 v4, v6, v5, v4
.LBB399_324:                            ;   in Loop: Header=BB399_10 Depth=1
	s_or_b64 exec, exec, s[34:35]
.LBB399_325:                            ;   in Loop: Header=BB399_10 Depth=1
	s_or_b64 exec, exec, s[30:31]
.LBB399_326:                            ;   in Loop: Header=BB399_10 Depth=1
	s_or_b64 exec, exec, s[28:29]
	v_mul_f32_e32 v4, v61, v4
	v_and_b32_e32 v5, 0x7f800000, v4
	v_cmp_ne_u32_e64 s[8:9], s38, v5
                                        ; implicit-def: $vgpr54
	s_and_saveexec_b64 s[28:29], s[8:9]
	s_xor_b64 s[8:9], exec, s[28:29]
; %bb.327:                              ;   in Loop: Header=BB399_10 Depth=1
	v_bfe_u32 v5, v4, 16, 1
	v_add3_u32 v54, v4, v5, s39
                                        ; implicit-def: $vgpr4
; %bb.328:                              ;   in Loop: Header=BB399_10 Depth=1
	s_andn2_saveexec_b64 s[28:29], s[8:9]
; %bb.329:                              ;   in Loop: Header=BB399_10 Depth=1
	v_or_b32_e32 v5, 0x10000, v4
	v_cmp_eq_u32_sdwa s[8:9], v4, v57 src0_sel:WORD_0 src1_sel:DWORD
	v_cndmask_b32_e64 v54, v5, v4, s[8:9]
; %bb.330:                              ;   in Loop: Header=BB399_10 Depth=1
	s_or_b64 exec, exec, s[28:29]
	flat_load_dword v28, v[20:21] offset:2048
	v_mov_b32_e32 v4, 0
	s_waitcnt vmcnt(0) lgkmcnt(0)
	v_cmp_ne_u16_sdwa s[8:9], v28, v57 src0_sel:BYTE_0 src1_sel:DWORD
	s_and_saveexec_b64 s[28:29], s[8:9]
	s_cbranch_execz .LBB399_336
; %bb.331:                              ;   in Loop: Header=BB399_10 Depth=1
	v_cmp_ne_u16_sdwa s[8:9], v28, s19 src0_sel:BYTE_0 src1_sel:DWORD
	v_bfrev_b32_e32 v4, 1
	s_and_saveexec_b64 s[30:31], s[8:9]
	s_cbranch_execz .LBB399_335
; %bb.332:                              ;   in Loop: Header=BB399_10 Depth=1
	v_and_b32_e32 v5, 0x7f, v28
	v_cmp_ne_u32_e64 s[8:9], s37, v5
	v_mov_b32_e32 v4, 0x7f800001
	s_and_saveexec_b64 s[34:35], s[8:9]
	s_cbranch_execz .LBB399_334
; %bb.333:                              ;   in Loop: Header=BB399_10 Depth=1
	v_and_b32_e32 v6, 7, v28
	v_ffbh_u32_e32 v4, v6
	v_min_u32_e32 v8, 32, v4
	v_subrev_u32_e32 v4, 28, v8
	v_lshrrev_b32_e32 v7, 3, v5
	v_cmp_gt_u32_e64 s[8:9], 8, v5
	v_lshlrev_b64 v[4:5], v4, v[28:29]
	v_sub_u32_e32 v5, 29, v8
	v_and_b32_e32 v4, 7, v4
	v_cndmask_b32_e64 v5, v7, v5, s[8:9]
	v_cndmask_b32_e64 v4, v6, v4, s[8:9]
	v_lshlrev_b32_e32 v6, 24, v28
	v_lshlrev_b32_e32 v4, 20, v4
	v_and_b32_e32 v6, 0x80000000, v6
	v_lshl_add_u32 v5, v5, 23, v58
	v_or3_b32 v4, v6, v5, v4
.LBB399_334:                            ;   in Loop: Header=BB399_10 Depth=1
	s_or_b64 exec, exec, s[34:35]
.LBB399_335:                            ;   in Loop: Header=BB399_10 Depth=1
	s_or_b64 exec, exec, s[30:31]
.LBB399_336:                            ;   in Loop: Header=BB399_10 Depth=1
	s_or_b64 exec, exec, s[28:29]
	v_mul_f32_e32 v4, v61, v4
	v_and_b32_e32 v5, 0x7f800000, v4
	v_cmp_ne_u32_e64 s[8:9], s38, v5
                                        ; implicit-def: $vgpr55
	s_and_saveexec_b64 s[28:29], s[8:9]
	s_xor_b64 s[8:9], exec, s[28:29]
; %bb.337:                              ;   in Loop: Header=BB399_10 Depth=1
	v_bfe_u32 v5, v4, 16, 1
	v_add3_u32 v55, v4, v5, s39
                                        ; implicit-def: $vgpr4
; %bb.338:                              ;   in Loop: Header=BB399_10 Depth=1
	s_andn2_saveexec_b64 s[28:29], s[8:9]
; %bb.339:                              ;   in Loop: Header=BB399_10 Depth=1
	v_or_b32_e32 v5, 0x10000, v4
	v_cmp_eq_u32_sdwa s[8:9], v4, v57 src0_sel:WORD_0 src1_sel:DWORD
	v_cndmask_b32_e64 v55, v5, v4, s[8:9]
; %bb.340:                              ;   in Loop: Header=BB399_10 Depth=1
	s_or_b64 exec, exec, s[28:29]
	v_lshrrev_b16_e32 v30, 8, v28
	v_cmp_ne_u16_e64 s[8:9], 0, v30
	v_mov_b32_e32 v4, 0
	s_and_saveexec_b64 s[28:29], s[8:9]
	s_cbranch_execz .LBB399_346
; %bb.341:                              ;   in Loop: Header=BB399_10 Depth=1
	v_cmp_ne_u16_e64 s[8:9], s19, v30
	v_bfrev_b32_e32 v4, 1
	s_and_saveexec_b64 s[30:31], s[8:9]
	s_cbranch_execz .LBB399_345
; %bb.342:                              ;   in Loop: Header=BB399_10 Depth=1
	v_and_b32_e32 v5, 0x7f, v30
	v_cmp_ne_u32_e64 s[8:9], s37, v5
	v_mov_b32_e32 v4, 0x7f800001
	s_and_saveexec_b64 s[34:35], s[8:9]
	s_cbranch_execz .LBB399_344
; %bb.343:                              ;   in Loop: Header=BB399_10 Depth=1
	v_and_b32_e32 v6, 7, v30
	v_ffbh_u32_e32 v4, v6
	v_min_u32_e32 v8, 32, v4
	v_subrev_u32_e32 v4, 28, v8
	v_lshrrev_b32_e32 v7, 3, v5
	v_cmp_gt_u32_e64 s[8:9], 8, v5
	v_lshlrev_b64 v[4:5], v4, v[30:31]
	v_sub_u32_e32 v5, 29, v8
	v_and_b32_e32 v4, 7, v4
	v_cndmask_b32_e64 v5, v7, v5, s[8:9]
	v_cndmask_b32_e64 v4, v6, v4, s[8:9]
	v_lshlrev_b32_e32 v6, 16, v28
	v_lshlrev_b32_e32 v4, 20, v4
	v_and_b32_e32 v6, 0x80000000, v6
	v_lshl_add_u32 v5, v5, 23, v58
	v_or3_b32 v4, v6, v5, v4
.LBB399_344:                            ;   in Loop: Header=BB399_10 Depth=1
	s_or_b64 exec, exec, s[34:35]
.LBB399_345:                            ;   in Loop: Header=BB399_10 Depth=1
	s_or_b64 exec, exec, s[30:31]
.LBB399_346:                            ;   in Loop: Header=BB399_10 Depth=1
	s_or_b64 exec, exec, s[28:29]
	v_mul_f32_e32 v4, v61, v4
	v_and_b32_e32 v5, 0x7f800000, v4
	v_cmp_ne_u32_e64 s[8:9], s38, v5
                                        ; implicit-def: $vgpr40
	s_and_saveexec_b64 s[28:29], s[8:9]
	s_xor_b64 s[8:9], exec, s[28:29]
; %bb.347:                              ;   in Loop: Header=BB399_10 Depth=1
	v_bfe_u32 v5, v4, 16, 1
	v_add3_u32 v40, v4, v5, s39
                                        ; implicit-def: $vgpr4
; %bb.348:                              ;   in Loop: Header=BB399_10 Depth=1
	s_andn2_saveexec_b64 s[28:29], s[8:9]
; %bb.349:                              ;   in Loop: Header=BB399_10 Depth=1
	v_or_b32_e32 v5, 0x10000, v4
	v_cmp_eq_u32_sdwa s[8:9], v4, v57 src0_sel:WORD_0 src1_sel:DWORD
	v_cndmask_b32_e64 v40, v5, v4, s[8:9]
; %bb.350:                              ;   in Loop: Header=BB399_10 Depth=1
	s_or_b64 exec, exec, s[28:29]
	v_lshrrev_b32_e32 v30, 16, v28
	v_cmp_ne_u16_sdwa s[8:9], v30, v57 src0_sel:BYTE_0 src1_sel:DWORD
	v_mov_b32_e32 v4, 0
	s_and_saveexec_b64 s[28:29], s[8:9]
	s_cbranch_execz .LBB399_356
; %bb.351:                              ;   in Loop: Header=BB399_10 Depth=1
	v_cmp_ne_u16_sdwa s[8:9], v30, s19 src0_sel:BYTE_0 src1_sel:DWORD
	v_bfrev_b32_e32 v4, 1
	s_and_saveexec_b64 s[30:31], s[8:9]
	s_cbranch_execz .LBB399_355
; %bb.352:                              ;   in Loop: Header=BB399_10 Depth=1
	v_bfe_u32 v5, v28, 16, 7
	v_cmp_ne_u32_e64 s[8:9], s37, v5
	v_mov_b32_e32 v4, 0x7f800001
	s_and_saveexec_b64 s[34:35], s[8:9]
	s_cbranch_execz .LBB399_354
; %bb.353:                              ;   in Loop: Header=BB399_10 Depth=1
	v_and_b32_e32 v6, 7, v30
	v_ffbh_u32_e32 v4, v6
	v_min_u32_e32 v8, 32, v4
	v_subrev_u32_e32 v4, 28, v8
	v_lshrrev_b32_e32 v7, 3, v5
	v_cmp_gt_u32_e64 s[8:9], 8, v5
	v_lshlrev_b64 v[4:5], v4, v[30:31]
	v_sub_u32_e32 v5, 29, v8
	v_and_b32_e32 v4, 7, v4
	v_cndmask_b32_e64 v5, v7, v5, s[8:9]
	v_cndmask_b32_e64 v4, v6, v4, s[8:9]
	v_lshlrev_b32_e32 v6, 24, v30
	v_lshlrev_b32_e32 v4, 20, v4
	v_and_b32_e32 v6, 0x80000000, v6
	v_lshl_add_u32 v5, v5, 23, v58
	v_or3_b32 v4, v6, v5, v4
.LBB399_354:                            ;   in Loop: Header=BB399_10 Depth=1
	s_or_b64 exec, exec, s[34:35]
.LBB399_355:                            ;   in Loop: Header=BB399_10 Depth=1
	s_or_b64 exec, exec, s[30:31]
.LBB399_356:                            ;   in Loop: Header=BB399_10 Depth=1
	s_or_b64 exec, exec, s[28:29]
	v_mul_f32_e32 v4, v61, v4
	v_and_b32_e32 v5, 0x7f800000, v4
	v_cmp_ne_u32_e64 s[8:9], s38, v5
                                        ; implicit-def: $vgpr41
	s_and_saveexec_b64 s[28:29], s[8:9]
	s_xor_b64 s[8:9], exec, s[28:29]
; %bb.357:                              ;   in Loop: Header=BB399_10 Depth=1
	v_bfe_u32 v5, v4, 16, 1
	v_add3_u32 v41, v4, v5, s39
                                        ; implicit-def: $vgpr4
; %bb.358:                              ;   in Loop: Header=BB399_10 Depth=1
	s_andn2_saveexec_b64 s[28:29], s[8:9]
; %bb.359:                              ;   in Loop: Header=BB399_10 Depth=1
	v_or_b32_e32 v5, 0x10000, v4
	v_cmp_eq_u32_sdwa s[8:9], v4, v57 src0_sel:WORD_0 src1_sel:DWORD
	v_cndmask_b32_e64 v41, v5, v4, s[8:9]
; %bb.360:                              ;   in Loop: Header=BB399_10 Depth=1
	s_or_b64 exec, exec, s[28:29]
	v_cmp_lt_u32_e64 s[8:9], s40, v28
	v_mov_b32_e32 v4, 0
	s_and_saveexec_b64 s[28:29], s[8:9]
	s_cbranch_execz .LBB399_366
; %bb.361:                              ;   in Loop: Header=BB399_10 Depth=1
	v_lshrrev_b32_e32 v30, 24, v28
	v_cmp_ne_u32_e64 s[8:9], s19, v30
	v_bfrev_b32_e32 v4, 1
	s_and_saveexec_b64 s[30:31], s[8:9]
	s_cbranch_execz .LBB399_365
; %bb.362:                              ;   in Loop: Header=BB399_10 Depth=1
	v_bfe_u32 v5, v28, 24, 7
	v_cmp_ne_u32_e64 s[8:9], s37, v5
	v_mov_b32_e32 v4, 0x7f800001
	s_and_saveexec_b64 s[34:35], s[8:9]
	s_cbranch_execz .LBB399_364
; %bb.363:                              ;   in Loop: Header=BB399_10 Depth=1
	v_and_b32_e32 v6, 7, v30
	v_ffbh_u32_e32 v4, v6
	v_min_u32_e32 v8, 32, v4
	v_subrev_u32_e32 v4, 28, v8
	v_lshrrev_b32_e32 v7, 3, v5
	v_cmp_gt_u32_e64 s[8:9], 8, v5
	v_lshlrev_b64 v[4:5], v4, v[30:31]
	v_sub_u32_e32 v5, 29, v8
	v_and_b32_e32 v4, 7, v4
	v_cndmask_b32_e64 v5, v7, v5, s[8:9]
	v_cndmask_b32_e64 v4, v6, v4, s[8:9]
	v_lshlrev_b32_e32 v6, 24, v30
	v_lshlrev_b32_e32 v4, 20, v4
	v_and_b32_e32 v6, 0x80000000, v6
	v_lshl_add_u32 v5, v5, 23, v58
	v_or3_b32 v4, v6, v5, v4
.LBB399_364:                            ;   in Loop: Header=BB399_10 Depth=1
	s_or_b64 exec, exec, s[34:35]
.LBB399_365:                            ;   in Loop: Header=BB399_10 Depth=1
	s_or_b64 exec, exec, s[30:31]
.LBB399_366:                            ;   in Loop: Header=BB399_10 Depth=1
	s_or_b64 exec, exec, s[28:29]
	v_mul_f32_e32 v4, v61, v4
	v_and_b32_e32 v5, 0x7f800000, v4
	v_cmp_ne_u32_e64 s[8:9], s38, v5
                                        ; implicit-def: $vgpr42
	s_and_saveexec_b64 s[28:29], s[8:9]
	s_xor_b64 s[8:9], exec, s[28:29]
; %bb.367:                              ;   in Loop: Header=BB399_10 Depth=1
	v_bfe_u32 v5, v4, 16, 1
	v_add3_u32 v42, v4, v5, s39
                                        ; implicit-def: $vgpr4
; %bb.368:                              ;   in Loop: Header=BB399_10 Depth=1
	s_andn2_saveexec_b64 s[28:29], s[8:9]
; %bb.369:                              ;   in Loop: Header=BB399_10 Depth=1
	v_or_b32_e32 v5, 0x10000, v4
	v_cmp_eq_u32_sdwa s[8:9], v4, v57 src0_sel:WORD_0 src1_sel:DWORD
	v_cndmask_b32_e64 v42, v5, v4, s[8:9]
; %bb.370:                              ;   in Loop: Header=BB399_10 Depth=1
	s_or_b64 exec, exec, s[28:29]
	flat_load_dword v28, v[20:21] offset:2056
	v_mov_b32_e32 v4, 0
	s_waitcnt vmcnt(0) lgkmcnt(0)
	v_cmp_ne_u16_sdwa s[8:9], v28, v57 src0_sel:BYTE_0 src1_sel:DWORD
	s_and_saveexec_b64 s[28:29], s[8:9]
	s_cbranch_execz .LBB399_376
; %bb.371:                              ;   in Loop: Header=BB399_10 Depth=1
	v_cmp_ne_u16_sdwa s[8:9], v28, s19 src0_sel:BYTE_0 src1_sel:DWORD
	v_bfrev_b32_e32 v4, 1
	s_and_saveexec_b64 s[30:31], s[8:9]
	s_cbranch_execz .LBB399_375
; %bb.372:                              ;   in Loop: Header=BB399_10 Depth=1
	v_and_b32_e32 v5, 0x7f, v28
	v_cmp_ne_u32_e64 s[8:9], s37, v5
	v_mov_b32_e32 v4, 0x7f800001
	s_and_saveexec_b64 s[34:35], s[8:9]
	s_cbranch_execz .LBB399_374
; %bb.373:                              ;   in Loop: Header=BB399_10 Depth=1
	v_and_b32_e32 v6, 7, v28
	v_ffbh_u32_e32 v4, v6
	v_min_u32_e32 v8, 32, v4
	v_subrev_u32_e32 v4, 28, v8
	v_lshrrev_b32_e32 v7, 3, v5
	v_cmp_gt_u32_e64 s[8:9], 8, v5
	v_lshlrev_b64 v[4:5], v4, v[28:29]
	v_sub_u32_e32 v5, 29, v8
	v_and_b32_e32 v4, 7, v4
	v_cndmask_b32_e64 v5, v7, v5, s[8:9]
	v_cndmask_b32_e64 v4, v6, v4, s[8:9]
	v_lshlrev_b32_e32 v6, 24, v28
	v_lshlrev_b32_e32 v4, 20, v4
	v_and_b32_e32 v6, 0x80000000, v6
	v_lshl_add_u32 v5, v5, 23, v58
	v_or3_b32 v4, v6, v5, v4
.LBB399_374:                            ;   in Loop: Header=BB399_10 Depth=1
	s_or_b64 exec, exec, s[34:35]
.LBB399_375:                            ;   in Loop: Header=BB399_10 Depth=1
	s_or_b64 exec, exec, s[30:31]
.LBB399_376:                            ;   in Loop: Header=BB399_10 Depth=1
	s_or_b64 exec, exec, s[28:29]
	v_mul_f32_e32 v4, v61, v4
	v_and_b32_e32 v5, 0x7f800000, v4
	v_cmp_ne_u32_e64 s[8:9], s38, v5
                                        ; implicit-def: $vgpr43
	s_and_saveexec_b64 s[28:29], s[8:9]
	s_xor_b64 s[8:9], exec, s[28:29]
; %bb.377:                              ;   in Loop: Header=BB399_10 Depth=1
	v_bfe_u32 v5, v4, 16, 1
	v_add3_u32 v43, v4, v5, s39
                                        ; implicit-def: $vgpr4
; %bb.378:                              ;   in Loop: Header=BB399_10 Depth=1
	s_andn2_saveexec_b64 s[28:29], s[8:9]
; %bb.379:                              ;   in Loop: Header=BB399_10 Depth=1
	v_or_b32_e32 v5, 0x10000, v4
	v_cmp_eq_u32_sdwa s[8:9], v4, v57 src0_sel:WORD_0 src1_sel:DWORD
	v_cndmask_b32_e64 v43, v5, v4, s[8:9]
; %bb.380:                              ;   in Loop: Header=BB399_10 Depth=1
	s_or_b64 exec, exec, s[28:29]
	v_lshrrev_b16_e32 v30, 8, v28
	v_cmp_ne_u16_e64 s[8:9], 0, v30
	v_mov_b32_e32 v4, 0
	s_and_saveexec_b64 s[28:29], s[8:9]
	s_cbranch_execz .LBB399_386
; %bb.381:                              ;   in Loop: Header=BB399_10 Depth=1
	v_cmp_ne_u16_e64 s[8:9], s19, v30
	v_bfrev_b32_e32 v4, 1
	s_and_saveexec_b64 s[30:31], s[8:9]
	s_cbranch_execz .LBB399_385
; %bb.382:                              ;   in Loop: Header=BB399_10 Depth=1
	v_and_b32_e32 v5, 0x7f, v30
	v_cmp_ne_u32_e64 s[8:9], s37, v5
	v_mov_b32_e32 v4, 0x7f800001
	s_and_saveexec_b64 s[34:35], s[8:9]
	s_cbranch_execz .LBB399_384
; %bb.383:                              ;   in Loop: Header=BB399_10 Depth=1
	v_and_b32_e32 v6, 7, v30
	v_ffbh_u32_e32 v4, v6
	v_min_u32_e32 v8, 32, v4
	v_subrev_u32_e32 v4, 28, v8
	v_lshrrev_b32_e32 v7, 3, v5
	v_cmp_gt_u32_e64 s[8:9], 8, v5
	v_lshlrev_b64 v[4:5], v4, v[30:31]
	v_sub_u32_e32 v5, 29, v8
	v_and_b32_e32 v4, 7, v4
	v_cndmask_b32_e64 v5, v7, v5, s[8:9]
	v_cndmask_b32_e64 v4, v6, v4, s[8:9]
	v_lshlrev_b32_e32 v6, 16, v28
	v_lshlrev_b32_e32 v4, 20, v4
	v_and_b32_e32 v6, 0x80000000, v6
	v_lshl_add_u32 v5, v5, 23, v58
	v_or3_b32 v4, v6, v5, v4
.LBB399_384:                            ;   in Loop: Header=BB399_10 Depth=1
	s_or_b64 exec, exec, s[34:35]
.LBB399_385:                            ;   in Loop: Header=BB399_10 Depth=1
	s_or_b64 exec, exec, s[30:31]
.LBB399_386:                            ;   in Loop: Header=BB399_10 Depth=1
	s_or_b64 exec, exec, s[28:29]
	v_mul_f32_e32 v4, v61, v4
	v_and_b32_e32 v5, 0x7f800000, v4
	v_cmp_ne_u32_e64 s[8:9], s38, v5
                                        ; implicit-def: $vgpr44
	s_and_saveexec_b64 s[28:29], s[8:9]
	s_xor_b64 s[8:9], exec, s[28:29]
; %bb.387:                              ;   in Loop: Header=BB399_10 Depth=1
	v_bfe_u32 v5, v4, 16, 1
	v_add3_u32 v44, v4, v5, s39
                                        ; implicit-def: $vgpr4
; %bb.388:                              ;   in Loop: Header=BB399_10 Depth=1
	s_andn2_saveexec_b64 s[28:29], s[8:9]
; %bb.389:                              ;   in Loop: Header=BB399_10 Depth=1
	v_or_b32_e32 v5, 0x10000, v4
	v_cmp_eq_u32_sdwa s[8:9], v4, v57 src0_sel:WORD_0 src1_sel:DWORD
	v_cndmask_b32_e64 v44, v5, v4, s[8:9]
; %bb.390:                              ;   in Loop: Header=BB399_10 Depth=1
	s_or_b64 exec, exec, s[28:29]
	v_lshrrev_b32_e32 v30, 16, v28
	v_cmp_ne_u16_sdwa s[8:9], v30, v57 src0_sel:BYTE_0 src1_sel:DWORD
	v_mov_b32_e32 v4, 0
	s_and_saveexec_b64 s[28:29], s[8:9]
	s_cbranch_execz .LBB399_396
; %bb.391:                              ;   in Loop: Header=BB399_10 Depth=1
	v_cmp_ne_u16_sdwa s[8:9], v30, s19 src0_sel:BYTE_0 src1_sel:DWORD
	v_bfrev_b32_e32 v4, 1
	s_and_saveexec_b64 s[30:31], s[8:9]
	s_cbranch_execz .LBB399_395
; %bb.392:                              ;   in Loop: Header=BB399_10 Depth=1
	v_bfe_u32 v5, v28, 16, 7
	v_cmp_ne_u32_e64 s[8:9], s37, v5
	v_mov_b32_e32 v4, 0x7f800001
	s_and_saveexec_b64 s[34:35], s[8:9]
	s_cbranch_execz .LBB399_394
; %bb.393:                              ;   in Loop: Header=BB399_10 Depth=1
	v_and_b32_e32 v6, 7, v30
	v_ffbh_u32_e32 v4, v6
	v_min_u32_e32 v8, 32, v4
	v_subrev_u32_e32 v4, 28, v8
	v_lshrrev_b32_e32 v7, 3, v5
	v_cmp_gt_u32_e64 s[8:9], 8, v5
	v_lshlrev_b64 v[4:5], v4, v[30:31]
	v_sub_u32_e32 v5, 29, v8
	v_and_b32_e32 v4, 7, v4
	v_cndmask_b32_e64 v5, v7, v5, s[8:9]
	v_cndmask_b32_e64 v4, v6, v4, s[8:9]
	v_lshlrev_b32_e32 v6, 24, v30
	v_lshlrev_b32_e32 v4, 20, v4
	v_and_b32_e32 v6, 0x80000000, v6
	v_lshl_add_u32 v5, v5, 23, v58
	v_or3_b32 v4, v6, v5, v4
.LBB399_394:                            ;   in Loop: Header=BB399_10 Depth=1
	s_or_b64 exec, exec, s[34:35]
.LBB399_395:                            ;   in Loop: Header=BB399_10 Depth=1
	s_or_b64 exec, exec, s[30:31]
.LBB399_396:                            ;   in Loop: Header=BB399_10 Depth=1
	s_or_b64 exec, exec, s[28:29]
	v_mul_f32_e32 v4, v61, v4
	v_and_b32_e32 v5, 0x7f800000, v4
	v_cmp_ne_u32_e64 s[8:9], s38, v5
                                        ; implicit-def: $vgpr46
	s_and_saveexec_b64 s[28:29], s[8:9]
	s_xor_b64 s[8:9], exec, s[28:29]
; %bb.397:                              ;   in Loop: Header=BB399_10 Depth=1
	v_bfe_u32 v5, v4, 16, 1
	v_add3_u32 v46, v4, v5, s39
                                        ; implicit-def: $vgpr4
; %bb.398:                              ;   in Loop: Header=BB399_10 Depth=1
	s_andn2_saveexec_b64 s[28:29], s[8:9]
; %bb.399:                              ;   in Loop: Header=BB399_10 Depth=1
	v_or_b32_e32 v5, 0x10000, v4
	v_cmp_eq_u32_sdwa s[8:9], v4, v57 src0_sel:WORD_0 src1_sel:DWORD
	v_cndmask_b32_e64 v46, v5, v4, s[8:9]
; %bb.400:                              ;   in Loop: Header=BB399_10 Depth=1
	s_or_b64 exec, exec, s[28:29]
	v_cmp_lt_u32_e64 s[8:9], s40, v28
	v_mov_b32_e32 v4, 0
	s_and_saveexec_b64 s[28:29], s[8:9]
	s_cbranch_execz .LBB399_406
; %bb.401:                              ;   in Loop: Header=BB399_10 Depth=1
	v_lshrrev_b32_e32 v30, 24, v28
	v_cmp_ne_u32_e64 s[8:9], s19, v30
	v_bfrev_b32_e32 v4, 1
	s_and_saveexec_b64 s[30:31], s[8:9]
	s_cbranch_execz .LBB399_405
; %bb.402:                              ;   in Loop: Header=BB399_10 Depth=1
	v_bfe_u32 v5, v28, 24, 7
	v_cmp_ne_u32_e64 s[8:9], s37, v5
	v_mov_b32_e32 v4, 0x7f800001
	s_and_saveexec_b64 s[34:35], s[8:9]
	s_cbranch_execz .LBB399_404
; %bb.403:                              ;   in Loop: Header=BB399_10 Depth=1
	v_and_b32_e32 v6, 7, v30
	v_ffbh_u32_e32 v4, v6
	v_min_u32_e32 v8, 32, v4
	v_subrev_u32_e32 v4, 28, v8
	v_lshrrev_b32_e32 v7, 3, v5
	v_cmp_gt_u32_e64 s[8:9], 8, v5
	v_lshlrev_b64 v[4:5], v4, v[30:31]
	v_sub_u32_e32 v5, 29, v8
	v_and_b32_e32 v4, 7, v4
	v_cndmask_b32_e64 v5, v7, v5, s[8:9]
	v_cndmask_b32_e64 v4, v6, v4, s[8:9]
	v_lshlrev_b32_e32 v6, 24, v30
	v_lshlrev_b32_e32 v4, 20, v4
	v_and_b32_e32 v6, 0x80000000, v6
	v_lshl_add_u32 v5, v5, 23, v58
	v_or3_b32 v4, v6, v5, v4
.LBB399_404:                            ;   in Loop: Header=BB399_10 Depth=1
	s_or_b64 exec, exec, s[34:35]
.LBB399_405:                            ;   in Loop: Header=BB399_10 Depth=1
	s_or_b64 exec, exec, s[30:31]
.LBB399_406:                            ;   in Loop: Header=BB399_10 Depth=1
	s_or_b64 exec, exec, s[28:29]
	v_mul_f32_e32 v4, v61, v4
	v_and_b32_e32 v5, 0x7f800000, v4
	v_cmp_ne_u32_e64 s[8:9], s38, v5
                                        ; implicit-def: $vgpr12
	s_and_saveexec_b64 s[28:29], s[8:9]
	s_xor_b64 s[8:9], exec, s[28:29]
; %bb.407:                              ;   in Loop: Header=BB399_10 Depth=1
	v_bfe_u32 v5, v4, 16, 1
	v_add3_u32 v12, v4, v5, s39
                                        ; implicit-def: $vgpr4
; %bb.408:                              ;   in Loop: Header=BB399_10 Depth=1
	s_andn2_saveexec_b64 s[28:29], s[8:9]
; %bb.409:                              ;   in Loop: Header=BB399_10 Depth=1
	v_or_b32_e32 v5, 0x10000, v4
	v_cmp_eq_u32_sdwa s[8:9], v4, v57 src0_sel:WORD_0 src1_sel:DWORD
	v_cndmask_b32_e64 v12, v5, v4, s[8:9]
; %bb.410:                              ;   in Loop: Header=BB399_10 Depth=1
	s_or_b64 exec, exec, s[28:29]
	flat_load_dword v28, v[20:21] offset:2560
	v_mov_b32_e32 v4, 0
	s_waitcnt vmcnt(0) lgkmcnt(0)
	v_cmp_ne_u16_sdwa s[8:9], v28, v57 src0_sel:BYTE_0 src1_sel:DWORD
	s_and_saveexec_b64 s[28:29], s[8:9]
	s_cbranch_execz .LBB399_416
; %bb.411:                              ;   in Loop: Header=BB399_10 Depth=1
	v_cmp_ne_u16_sdwa s[8:9], v28, s19 src0_sel:BYTE_0 src1_sel:DWORD
	v_bfrev_b32_e32 v4, 1
	s_and_saveexec_b64 s[30:31], s[8:9]
	s_cbranch_execz .LBB399_415
; %bb.412:                              ;   in Loop: Header=BB399_10 Depth=1
	v_and_b32_e32 v5, 0x7f, v28
	v_cmp_ne_u32_e64 s[8:9], s37, v5
	v_mov_b32_e32 v4, 0x7f800001
	s_and_saveexec_b64 s[34:35], s[8:9]
	s_cbranch_execz .LBB399_414
; %bb.413:                              ;   in Loop: Header=BB399_10 Depth=1
	v_and_b32_e32 v6, 7, v28
	v_ffbh_u32_e32 v4, v6
	v_min_u32_e32 v8, 32, v4
	v_subrev_u32_e32 v4, 28, v8
	v_lshrrev_b32_e32 v7, 3, v5
	v_cmp_gt_u32_e64 s[8:9], 8, v5
	v_lshlrev_b64 v[4:5], v4, v[28:29]
	v_sub_u32_e32 v5, 29, v8
	v_and_b32_e32 v4, 7, v4
	v_cndmask_b32_e64 v5, v7, v5, s[8:9]
	v_cndmask_b32_e64 v4, v6, v4, s[8:9]
	v_lshlrev_b32_e32 v6, 24, v28
	v_lshlrev_b32_e32 v4, 20, v4
	v_and_b32_e32 v6, 0x80000000, v6
	v_lshl_add_u32 v5, v5, 23, v58
	v_or3_b32 v4, v6, v5, v4
.LBB399_414:                            ;   in Loop: Header=BB399_10 Depth=1
	s_or_b64 exec, exec, s[34:35]
.LBB399_415:                            ;   in Loop: Header=BB399_10 Depth=1
	s_or_b64 exec, exec, s[30:31]
.LBB399_416:                            ;   in Loop: Header=BB399_10 Depth=1
	s_or_b64 exec, exec, s[28:29]
	v_mul_f32_e32 v5, v61, v4
	v_and_b32_e32 v4, 0x7f800000, v5
	v_cmp_ne_u32_e64 s[8:9], s38, v4
                                        ; implicit-def: $vgpr4
	s_and_saveexec_b64 s[28:29], s[8:9]
	s_xor_b64 s[8:9], exec, s[28:29]
; %bb.417:                              ;   in Loop: Header=BB399_10 Depth=1
	v_bfe_u32 v4, v5, 16, 1
	v_add3_u32 v4, v5, v4, s39
                                        ; implicit-def: $vgpr5
; %bb.418:                              ;   in Loop: Header=BB399_10 Depth=1
	s_andn2_saveexec_b64 s[28:29], s[8:9]
; %bb.419:                              ;   in Loop: Header=BB399_10 Depth=1
	v_or_b32_e32 v4, 0x10000, v5
	v_cmp_eq_u32_sdwa s[8:9], v5, v57 src0_sel:WORD_0 src1_sel:DWORD
	v_cndmask_b32_e64 v4, v4, v5, s[8:9]
; %bb.420:                              ;   in Loop: Header=BB399_10 Depth=1
	s_or_b64 exec, exec, s[28:29]
	v_lshrrev_b16_e32 v30, 8, v28
	v_cmp_ne_u16_e64 s[8:9], 0, v30
	v_mov_b32_e32 v5, 0
	s_and_saveexec_b64 s[28:29], s[8:9]
	s_cbranch_execz .LBB399_426
; %bb.421:                              ;   in Loop: Header=BB399_10 Depth=1
	v_cmp_ne_u16_e64 s[8:9], s19, v30
	v_bfrev_b32_e32 v5, 1
	s_and_saveexec_b64 s[30:31], s[8:9]
	s_cbranch_execz .LBB399_425
; %bb.422:                              ;   in Loop: Header=BB399_10 Depth=1
	v_and_b32_e32 v6, 0x7f, v30
	v_cmp_ne_u32_e64 s[8:9], s37, v6
	v_mov_b32_e32 v5, 0x7f800001
	s_and_saveexec_b64 s[34:35], s[8:9]
	s_cbranch_execz .LBB399_424
; %bb.423:                              ;   in Loop: Header=BB399_10 Depth=1
	v_and_b32_e32 v5, 7, v30
	v_lshrrev_b32_e32 v8, 3, v6
	v_cmp_gt_u32_e64 s[8:9], 8, v6
	v_ffbh_u32_e32 v6, v5
	v_min_u32_e32 v9, 32, v6
	v_subrev_u32_e32 v6, 28, v9
	v_lshlrev_b64 v[6:7], v6, v[30:31]
	v_sub_u32_e32 v7, 29, v9
	v_and_b32_e32 v6, 7, v6
	v_cndmask_b32_e64 v7, v8, v7, s[8:9]
	v_cndmask_b32_e64 v5, v5, v6, s[8:9]
	v_lshlrev_b32_e32 v6, 16, v28
	v_lshlrev_b32_e32 v5, 20, v5
	v_and_b32_e32 v6, 0x80000000, v6
	v_lshl_add_u32 v7, v7, 23, v58
	v_or3_b32 v5, v6, v7, v5
.LBB399_424:                            ;   in Loop: Header=BB399_10 Depth=1
	s_or_b64 exec, exec, s[34:35]
.LBB399_425:                            ;   in Loop: Header=BB399_10 Depth=1
	s_or_b64 exec, exec, s[30:31]
.LBB399_426:                            ;   in Loop: Header=BB399_10 Depth=1
	s_or_b64 exec, exec, s[28:29]
	v_mul_f32_e32 v5, v61, v5
	v_and_b32_e32 v6, 0x7f800000, v5
	v_cmp_ne_u32_e64 s[8:9], s38, v6
                                        ; implicit-def: $vgpr22
	s_and_saveexec_b64 s[28:29], s[8:9]
	s_xor_b64 s[8:9], exec, s[28:29]
; %bb.427:                              ;   in Loop: Header=BB399_10 Depth=1
	v_bfe_u32 v6, v5, 16, 1
	v_add3_u32 v22, v5, v6, s39
                                        ; implicit-def: $vgpr5
; %bb.428:                              ;   in Loop: Header=BB399_10 Depth=1
	s_andn2_saveexec_b64 s[28:29], s[8:9]
; %bb.429:                              ;   in Loop: Header=BB399_10 Depth=1
	v_or_b32_e32 v6, 0x10000, v5
	v_cmp_eq_u32_sdwa s[8:9], v5, v57 src0_sel:WORD_0 src1_sel:DWORD
	v_cndmask_b32_e64 v22, v6, v5, s[8:9]
; %bb.430:                              ;   in Loop: Header=BB399_10 Depth=1
	s_or_b64 exec, exec, s[28:29]
	v_lshrrev_b32_e32 v30, 16, v28
	v_cmp_ne_u16_sdwa s[8:9], v30, v57 src0_sel:BYTE_0 src1_sel:DWORD
	v_mov_b32_e32 v5, 0
	s_and_saveexec_b64 s[28:29], s[8:9]
	s_cbranch_execz .LBB399_436
; %bb.431:                              ;   in Loop: Header=BB399_10 Depth=1
	v_cmp_ne_u16_sdwa s[8:9], v30, s19 src0_sel:BYTE_0 src1_sel:DWORD
	v_bfrev_b32_e32 v5, 1
	s_and_saveexec_b64 s[30:31], s[8:9]
	s_cbranch_execz .LBB399_435
; %bb.432:                              ;   in Loop: Header=BB399_10 Depth=1
	v_bfe_u32 v6, v28, 16, 7
	v_cmp_ne_u32_e64 s[8:9], s37, v6
	v_mov_b32_e32 v5, 0x7f800001
	s_and_saveexec_b64 s[34:35], s[8:9]
	s_cbranch_execz .LBB399_434
; %bb.433:                              ;   in Loop: Header=BB399_10 Depth=1
	v_and_b32_e32 v5, 7, v30
	v_lshrrev_b32_e32 v8, 3, v6
	v_cmp_gt_u32_e64 s[8:9], 8, v6
	v_ffbh_u32_e32 v6, v5
	v_min_u32_e32 v9, 32, v6
	v_subrev_u32_e32 v6, 28, v9
	v_lshlrev_b64 v[6:7], v6, v[30:31]
	v_sub_u32_e32 v7, 29, v9
	v_and_b32_e32 v6, 7, v6
	v_cndmask_b32_e64 v7, v8, v7, s[8:9]
	v_cndmask_b32_e64 v5, v5, v6, s[8:9]
	v_lshlrev_b32_e32 v6, 24, v30
	v_lshlrev_b32_e32 v5, 20, v5
	v_and_b32_e32 v6, 0x80000000, v6
	v_lshl_add_u32 v7, v7, 23, v58
	v_or3_b32 v5, v6, v7, v5
.LBB399_434:                            ;   in Loop: Header=BB399_10 Depth=1
	s_or_b64 exec, exec, s[34:35]
.LBB399_435:                            ;   in Loop: Header=BB399_10 Depth=1
	s_or_b64 exec, exec, s[30:31]
.LBB399_436:                            ;   in Loop: Header=BB399_10 Depth=1
	s_or_b64 exec, exec, s[28:29]
	v_mul_f32_e32 v6, v61, v5
	v_and_b32_e32 v5, 0x7f800000, v6
	v_cmp_ne_u32_e64 s[8:9], s38, v5
                                        ; implicit-def: $vgpr5
	s_and_saveexec_b64 s[28:29], s[8:9]
	s_xor_b64 s[8:9], exec, s[28:29]
; %bb.437:                              ;   in Loop: Header=BB399_10 Depth=1
	v_bfe_u32 v5, v6, 16, 1
	v_add3_u32 v5, v6, v5, s39
                                        ; implicit-def: $vgpr6
; %bb.438:                              ;   in Loop: Header=BB399_10 Depth=1
	s_andn2_saveexec_b64 s[28:29], s[8:9]
; %bb.439:                              ;   in Loop: Header=BB399_10 Depth=1
	v_or_b32_e32 v5, 0x10000, v6
	v_cmp_eq_u32_sdwa s[8:9], v6, v57 src0_sel:WORD_0 src1_sel:DWORD
	v_cndmask_b32_e64 v5, v5, v6, s[8:9]
; %bb.440:                              ;   in Loop: Header=BB399_10 Depth=1
	s_or_b64 exec, exec, s[28:29]
	v_cmp_lt_u32_e64 s[8:9], s40, v28
	v_mov_b32_e32 v6, 0
	s_and_saveexec_b64 s[28:29], s[8:9]
	s_cbranch_execz .LBB399_446
; %bb.441:                              ;   in Loop: Header=BB399_10 Depth=1
	v_lshrrev_b32_e32 v30, 24, v28
	v_cmp_ne_u32_e64 s[8:9], s19, v30
	v_bfrev_b32_e32 v6, 1
	s_and_saveexec_b64 s[30:31], s[8:9]
	s_cbranch_execz .LBB399_445
; %bb.442:                              ;   in Loop: Header=BB399_10 Depth=1
	v_bfe_u32 v7, v28, 24, 7
	v_cmp_ne_u32_e64 s[8:9], s37, v7
	v_mov_b32_e32 v6, 0x7f800001
	s_and_saveexec_b64 s[34:35], s[8:9]
	s_cbranch_execz .LBB399_444
; %bb.443:                              ;   in Loop: Header=BB399_10 Depth=1
	v_and_b32_e32 v8, 7, v30
	v_ffbh_u32_e32 v6, v8
	v_min_u32_e32 v10, 32, v6
	v_subrev_u32_e32 v6, 28, v10
	v_lshrrev_b32_e32 v9, 3, v7
	v_cmp_gt_u32_e64 s[8:9], 8, v7
	v_lshlrev_b64 v[6:7], v6, v[30:31]
	v_sub_u32_e32 v7, 29, v10
	v_and_b32_e32 v6, 7, v6
	v_cndmask_b32_e64 v7, v9, v7, s[8:9]
	v_cndmask_b32_e64 v6, v8, v6, s[8:9]
	v_lshlrev_b32_e32 v8, 24, v30
	v_lshlrev_b32_e32 v6, 20, v6
	v_and_b32_e32 v8, 0x80000000, v8
	v_lshl_add_u32 v7, v7, 23, v58
	v_or3_b32 v6, v8, v7, v6
.LBB399_444:                            ;   in Loop: Header=BB399_10 Depth=1
	s_or_b64 exec, exec, s[34:35]
.LBB399_445:                            ;   in Loop: Header=BB399_10 Depth=1
	s_or_b64 exec, exec, s[30:31]
.LBB399_446:                            ;   in Loop: Header=BB399_10 Depth=1
	s_or_b64 exec, exec, s[28:29]
	v_mul_f32_e32 v6, v61, v6
	v_and_b32_e32 v7, 0x7f800000, v6
	v_cmp_ne_u32_e64 s[8:9], s38, v7
                                        ; implicit-def: $vgpr8
	s_and_saveexec_b64 s[28:29], s[8:9]
	s_xor_b64 s[8:9], exec, s[28:29]
; %bb.447:                              ;   in Loop: Header=BB399_10 Depth=1
	v_bfe_u32 v7, v6, 16, 1
	v_add3_u32 v8, v6, v7, s39
                                        ; implicit-def: $vgpr6
; %bb.448:                              ;   in Loop: Header=BB399_10 Depth=1
	s_andn2_saveexec_b64 s[28:29], s[8:9]
; %bb.449:                              ;   in Loop: Header=BB399_10 Depth=1
	v_or_b32_e32 v7, 0x10000, v6
	v_cmp_eq_u32_sdwa s[8:9], v6, v57 src0_sel:WORD_0 src1_sel:DWORD
	v_cndmask_b32_e64 v8, v7, v6, s[8:9]
; %bb.450:                              ;   in Loop: Header=BB399_10 Depth=1
	s_or_b64 exec, exec, s[28:29]
	flat_load_dword v28, v[20:21] offset:2568
	v_mov_b32_e32 v6, 0
	s_waitcnt vmcnt(0) lgkmcnt(0)
	v_cmp_ne_u16_sdwa s[8:9], v28, v57 src0_sel:BYTE_0 src1_sel:DWORD
	s_and_saveexec_b64 s[28:29], s[8:9]
	s_cbranch_execz .LBB399_456
; %bb.451:                              ;   in Loop: Header=BB399_10 Depth=1
	v_cmp_ne_u16_sdwa s[8:9], v28, s19 src0_sel:BYTE_0 src1_sel:DWORD
	v_bfrev_b32_e32 v6, 1
	s_and_saveexec_b64 s[30:31], s[8:9]
	s_cbranch_execz .LBB399_455
; %bb.452:                              ;   in Loop: Header=BB399_10 Depth=1
	v_and_b32_e32 v7, 0x7f, v28
	v_cmp_ne_u32_e64 s[8:9], s37, v7
	v_mov_b32_e32 v6, 0x7f800001
	s_and_saveexec_b64 s[34:35], s[8:9]
	s_cbranch_execz .LBB399_454
; %bb.453:                              ;   in Loop: Header=BB399_10 Depth=1
	v_and_b32_e32 v9, 7, v28
	v_ffbh_u32_e32 v6, v9
	v_min_u32_e32 v11, 32, v6
	v_subrev_u32_e32 v6, 28, v11
	v_lshrrev_b32_e32 v10, 3, v7
	v_cmp_gt_u32_e64 s[8:9], 8, v7
	v_lshlrev_b64 v[6:7], v6, v[28:29]
	v_sub_u32_e32 v7, 29, v11
	v_and_b32_e32 v6, 7, v6
	v_cndmask_b32_e64 v7, v10, v7, s[8:9]
	v_cndmask_b32_e64 v6, v9, v6, s[8:9]
	v_lshlrev_b32_e32 v9, 24, v28
	v_lshlrev_b32_e32 v6, 20, v6
	v_and_b32_e32 v9, 0x80000000, v9
	v_lshl_add_u32 v7, v7, 23, v58
	v_or3_b32 v6, v9, v7, v6
.LBB399_454:                            ;   in Loop: Header=BB399_10 Depth=1
	s_or_b64 exec, exec, s[34:35]
.LBB399_455:                            ;   in Loop: Header=BB399_10 Depth=1
	s_or_b64 exec, exec, s[30:31]
.LBB399_456:                            ;   in Loop: Header=BB399_10 Depth=1
	s_or_b64 exec, exec, s[28:29]
	v_mul_f32_e32 v6, v61, v6
	v_and_b32_e32 v7, 0x7f800000, v6
	v_cmp_ne_u32_e64 s[8:9], s38, v7
                                        ; implicit-def: $vgpr9
	s_and_saveexec_b64 s[28:29], s[8:9]
	s_xor_b64 s[8:9], exec, s[28:29]
; %bb.457:                              ;   in Loop: Header=BB399_10 Depth=1
	v_bfe_u32 v7, v6, 16, 1
	v_add3_u32 v9, v6, v7, s39
                                        ; implicit-def: $vgpr6
; %bb.458:                              ;   in Loop: Header=BB399_10 Depth=1
	s_andn2_saveexec_b64 s[28:29], s[8:9]
; %bb.459:                              ;   in Loop: Header=BB399_10 Depth=1
	v_or_b32_e32 v7, 0x10000, v6
	v_cmp_eq_u32_sdwa s[8:9], v6, v57 src0_sel:WORD_0 src1_sel:DWORD
	v_cndmask_b32_e64 v9, v7, v6, s[8:9]
; %bb.460:                              ;   in Loop: Header=BB399_10 Depth=1
	s_or_b64 exec, exec, s[28:29]
	v_lshrrev_b16_e32 v30, 8, v28
	v_cmp_ne_u16_e64 s[8:9], 0, v30
	v_mov_b32_e32 v6, 0
	s_and_saveexec_b64 s[28:29], s[8:9]
	s_cbranch_execz .LBB399_466
; %bb.461:                              ;   in Loop: Header=BB399_10 Depth=1
	v_cmp_ne_u16_e64 s[8:9], s19, v30
	v_bfrev_b32_e32 v6, 1
	s_and_saveexec_b64 s[30:31], s[8:9]
	s_cbranch_execz .LBB399_465
; %bb.462:                              ;   in Loop: Header=BB399_10 Depth=1
	v_and_b32_e32 v7, 0x7f, v30
	v_cmp_ne_u32_e64 s[8:9], s37, v7
	v_mov_b32_e32 v6, 0x7f800001
	s_and_saveexec_b64 s[34:35], s[8:9]
	s_cbranch_execz .LBB399_464
; %bb.463:                              ;   in Loop: Header=BB399_10 Depth=1
	v_and_b32_e32 v10, 7, v30
	v_ffbh_u32_e32 v6, v10
	v_min_u32_e32 v24, 32, v6
	v_subrev_u32_e32 v6, 28, v24
	v_lshrrev_b32_e32 v11, 3, v7
	v_cmp_gt_u32_e64 s[8:9], 8, v7
	v_lshlrev_b64 v[6:7], v6, v[30:31]
	v_sub_u32_e32 v7, 29, v24
	v_and_b32_e32 v6, 7, v6
	v_cndmask_b32_e64 v7, v11, v7, s[8:9]
	v_cndmask_b32_e64 v6, v10, v6, s[8:9]
	v_lshlrev_b32_e32 v10, 16, v28
	v_lshlrev_b32_e32 v6, 20, v6
	v_and_b32_e32 v10, 0x80000000, v10
	v_lshl_add_u32 v7, v7, 23, v58
	v_or3_b32 v6, v10, v7, v6
.LBB399_464:                            ;   in Loop: Header=BB399_10 Depth=1
	s_or_b64 exec, exec, s[34:35]
.LBB399_465:                            ;   in Loop: Header=BB399_10 Depth=1
	s_or_b64 exec, exec, s[30:31]
.LBB399_466:                            ;   in Loop: Header=BB399_10 Depth=1
	s_or_b64 exec, exec, s[28:29]
	v_mul_f32_e32 v6, v61, v6
	v_and_b32_e32 v7, 0x7f800000, v6
	v_cmp_ne_u32_e64 s[8:9], s38, v7
                                        ; implicit-def: $vgpr45
	s_and_saveexec_b64 s[28:29], s[8:9]
	s_xor_b64 s[8:9], exec, s[28:29]
; %bb.467:                              ;   in Loop: Header=BB399_10 Depth=1
	v_bfe_u32 v7, v6, 16, 1
	v_add3_u32 v45, v6, v7, s39
                                        ; implicit-def: $vgpr6
; %bb.468:                              ;   in Loop: Header=BB399_10 Depth=1
	s_andn2_saveexec_b64 s[28:29], s[8:9]
; %bb.469:                              ;   in Loop: Header=BB399_10 Depth=1
	v_or_b32_e32 v7, 0x10000, v6
	v_cmp_eq_u32_sdwa s[8:9], v6, v57 src0_sel:WORD_0 src1_sel:DWORD
	v_cndmask_b32_e64 v45, v7, v6, s[8:9]
; %bb.470:                              ;   in Loop: Header=BB399_10 Depth=1
	s_or_b64 exec, exec, s[28:29]
	v_lshrrev_b32_e32 v30, 16, v28
	v_cmp_ne_u16_sdwa s[8:9], v30, v57 src0_sel:BYTE_0 src1_sel:DWORD
	v_mov_b32_e32 v6, 0
	s_and_saveexec_b64 s[28:29], s[8:9]
	s_cbranch_execz .LBB399_476
; %bb.471:                              ;   in Loop: Header=BB399_10 Depth=1
	v_cmp_ne_u16_sdwa s[8:9], v30, s19 src0_sel:BYTE_0 src1_sel:DWORD
	v_bfrev_b32_e32 v6, 1
	s_and_saveexec_b64 s[30:31], s[8:9]
	s_cbranch_execz .LBB399_475
; %bb.472:                              ;   in Loop: Header=BB399_10 Depth=1
	v_bfe_u32 v7, v28, 16, 7
	v_cmp_ne_u32_e64 s[8:9], s37, v7
	v_mov_b32_e32 v6, 0x7f800001
	s_and_saveexec_b64 s[34:35], s[8:9]
	s_cbranch_execz .LBB399_474
; %bb.473:                              ;   in Loop: Header=BB399_10 Depth=1
	v_and_b32_e32 v10, 7, v30
	v_ffbh_u32_e32 v6, v10
	v_min_u32_e32 v24, 32, v6
	v_subrev_u32_e32 v6, 28, v24
	v_lshrrev_b32_e32 v11, 3, v7
	v_cmp_gt_u32_e64 s[8:9], 8, v7
	v_lshlrev_b64 v[6:7], v6, v[30:31]
	v_sub_u32_e32 v7, 29, v24
	v_and_b32_e32 v6, 7, v6
	v_cndmask_b32_e64 v7, v11, v7, s[8:9]
	v_cndmask_b32_e64 v6, v10, v6, s[8:9]
	v_lshlrev_b32_e32 v10, 24, v30
	v_lshlrev_b32_e32 v6, 20, v6
	v_and_b32_e32 v10, 0x80000000, v10
	v_lshl_add_u32 v7, v7, 23, v58
	v_or3_b32 v6, v10, v7, v6
.LBB399_474:                            ;   in Loop: Header=BB399_10 Depth=1
	s_or_b64 exec, exec, s[34:35]
.LBB399_475:                            ;   in Loop: Header=BB399_10 Depth=1
	s_or_b64 exec, exec, s[30:31]
.LBB399_476:                            ;   in Loop: Header=BB399_10 Depth=1
	s_or_b64 exec, exec, s[28:29]
	v_mul_f32_e32 v6, v61, v6
	v_and_b32_e32 v7, 0x7f800000, v6
	v_cmp_ne_u32_e64 s[8:9], s38, v7
                                        ; implicit-def: $vgpr25
	s_and_saveexec_b64 s[28:29], s[8:9]
	s_xor_b64 s[8:9], exec, s[28:29]
; %bb.477:                              ;   in Loop: Header=BB399_10 Depth=1
	v_bfe_u32 v7, v6, 16, 1
	v_add3_u32 v25, v6, v7, s39
                                        ; implicit-def: $vgpr6
; %bb.478:                              ;   in Loop: Header=BB399_10 Depth=1
	s_andn2_saveexec_b64 s[28:29], s[8:9]
; %bb.479:                              ;   in Loop: Header=BB399_10 Depth=1
	v_or_b32_e32 v7, 0x10000, v6
	v_cmp_eq_u32_sdwa s[8:9], v6, v57 src0_sel:WORD_0 src1_sel:DWORD
	v_cndmask_b32_e64 v25, v7, v6, s[8:9]
; %bb.480:                              ;   in Loop: Header=BB399_10 Depth=1
	s_or_b64 exec, exec, s[28:29]
	v_cmp_lt_u32_e64 s[8:9], s40, v28
	v_mov_b32_e32 v6, 0
	s_and_saveexec_b64 s[28:29], s[8:9]
	s_cbranch_execz .LBB399_486
; %bb.481:                              ;   in Loop: Header=BB399_10 Depth=1
	v_lshrrev_b32_e32 v30, 24, v28
	v_cmp_ne_u32_e64 s[8:9], s19, v30
	v_bfrev_b32_e32 v6, 1
	s_and_saveexec_b64 s[30:31], s[8:9]
	s_cbranch_execz .LBB399_485
; %bb.482:                              ;   in Loop: Header=BB399_10 Depth=1
	v_bfe_u32 v7, v28, 24, 7
	v_cmp_ne_u32_e64 s[8:9], s37, v7
	v_mov_b32_e32 v6, 0x7f800001
	s_and_saveexec_b64 s[34:35], s[8:9]
	s_cbranch_execz .LBB399_484
; %bb.483:                              ;   in Loop: Header=BB399_10 Depth=1
	v_and_b32_e32 v10, 7, v30
	v_ffbh_u32_e32 v6, v10
	v_min_u32_e32 v24, 32, v6
	v_subrev_u32_e32 v6, 28, v24
	v_lshrrev_b32_e32 v11, 3, v7
	v_cmp_gt_u32_e64 s[8:9], 8, v7
	v_lshlrev_b64 v[6:7], v6, v[30:31]
	v_sub_u32_e32 v7, 29, v24
	v_and_b32_e32 v6, 7, v6
	v_cndmask_b32_e64 v7, v11, v7, s[8:9]
	v_cndmask_b32_e64 v6, v10, v6, s[8:9]
	v_lshlrev_b32_e32 v10, 24, v30
	v_lshlrev_b32_e32 v6, 20, v6
	v_and_b32_e32 v10, 0x80000000, v10
	v_lshl_add_u32 v7, v7, 23, v58
	v_or3_b32 v6, v10, v7, v6
.LBB399_484:                            ;   in Loop: Header=BB399_10 Depth=1
	s_or_b64 exec, exec, s[34:35]
.LBB399_485:                            ;   in Loop: Header=BB399_10 Depth=1
	s_or_b64 exec, exec, s[30:31]
.LBB399_486:                            ;   in Loop: Header=BB399_10 Depth=1
	s_or_b64 exec, exec, s[28:29]
	v_mul_f32_e32 v6, v61, v6
	v_and_b32_e32 v7, 0x7f800000, v6
	v_cmp_ne_u32_e64 s[8:9], s38, v7
                                        ; implicit-def: $vgpr24
	s_and_saveexec_b64 s[28:29], s[8:9]
	s_xor_b64 s[8:9], exec, s[28:29]
; %bb.487:                              ;   in Loop: Header=BB399_10 Depth=1
	v_bfe_u32 v7, v6, 16, 1
	v_add3_u32 v24, v6, v7, s39
                                        ; implicit-def: $vgpr6
; %bb.488:                              ;   in Loop: Header=BB399_10 Depth=1
	s_andn2_saveexec_b64 s[28:29], s[8:9]
; %bb.489:                              ;   in Loop: Header=BB399_10 Depth=1
	v_or_b32_e32 v7, 0x10000, v6
	v_cmp_eq_u32_sdwa s[8:9], v6, v57 src0_sel:WORD_0 src1_sel:DWORD
	v_cndmask_b32_e64 v24, v7, v6, s[8:9]
; %bb.490:                              ;   in Loop: Header=BB399_10 Depth=1
	s_or_b64 exec, exec, s[28:29]
	flat_load_dword v28, v[20:21] offset:3072
	v_mov_b32_e32 v6, 0
	s_waitcnt vmcnt(0) lgkmcnt(0)
	v_cmp_ne_u16_sdwa s[8:9], v28, v57 src0_sel:BYTE_0 src1_sel:DWORD
	s_and_saveexec_b64 s[28:29], s[8:9]
	s_cbranch_execz .LBB399_496
; %bb.491:                              ;   in Loop: Header=BB399_10 Depth=1
	v_cmp_ne_u16_sdwa s[8:9], v28, s19 src0_sel:BYTE_0 src1_sel:DWORD
	v_bfrev_b32_e32 v6, 1
	s_and_saveexec_b64 s[30:31], s[8:9]
	s_cbranch_execz .LBB399_495
; %bb.492:                              ;   in Loop: Header=BB399_10 Depth=1
	v_and_b32_e32 v7, 0x7f, v28
	v_cmp_ne_u32_e64 s[8:9], s37, v7
	v_mov_b32_e32 v6, 0x7f800001
	s_and_saveexec_b64 s[34:35], s[8:9]
	s_cbranch_execz .LBB399_494
; %bb.493:                              ;   in Loop: Header=BB399_10 Depth=1
	v_and_b32_e32 v10, 7, v28
	v_ffbh_u32_e32 v6, v10
	v_min_u32_e32 v30, 32, v6
	v_subrev_u32_e32 v6, 28, v30
	v_lshrrev_b32_e32 v11, 3, v7
	v_cmp_gt_u32_e64 s[8:9], 8, v7
	v_lshlrev_b64 v[6:7], v6, v[28:29]
	v_sub_u32_e32 v7, 29, v30
	v_and_b32_e32 v6, 7, v6
	v_cndmask_b32_e64 v7, v11, v7, s[8:9]
	v_cndmask_b32_e64 v6, v10, v6, s[8:9]
	v_lshlrev_b32_e32 v10, 24, v28
	v_lshlrev_b32_e32 v6, 20, v6
	v_and_b32_e32 v10, 0x80000000, v10
	v_lshl_add_u32 v7, v7, 23, v58
	v_or3_b32 v6, v10, v7, v6
.LBB399_494:                            ;   in Loop: Header=BB399_10 Depth=1
	s_or_b64 exec, exec, s[34:35]
.LBB399_495:                            ;   in Loop: Header=BB399_10 Depth=1
	s_or_b64 exec, exec, s[30:31]
.LBB399_496:                            ;   in Loop: Header=BB399_10 Depth=1
	s_or_b64 exec, exec, s[28:29]
	v_mul_f32_e32 v6, v61, v6
	v_and_b32_e32 v7, 0x7f800000, v6
	v_cmp_ne_u32_e64 s[8:9], s38, v7
                                        ; implicit-def: $vgpr60
	s_and_saveexec_b64 s[28:29], s[8:9]
	s_xor_b64 s[8:9], exec, s[28:29]
; %bb.497:                              ;   in Loop: Header=BB399_10 Depth=1
	v_bfe_u32 v7, v6, 16, 1
	v_add3_u32 v60, v6, v7, s39
                                        ; implicit-def: $vgpr6
; %bb.498:                              ;   in Loop: Header=BB399_10 Depth=1
	s_andn2_saveexec_b64 s[28:29], s[8:9]
; %bb.499:                              ;   in Loop: Header=BB399_10 Depth=1
	v_or_b32_e32 v7, 0x10000, v6
	v_cmp_eq_u32_sdwa s[8:9], v6, v57 src0_sel:WORD_0 src1_sel:DWORD
	v_cndmask_b32_e64 v60, v7, v6, s[8:9]
; %bb.500:                              ;   in Loop: Header=BB399_10 Depth=1
	s_or_b64 exec, exec, s[28:29]
	v_lshrrev_b16_e32 v30, 8, v28
	v_cmp_ne_u16_e64 s[8:9], 0, v30
	v_mov_b32_e32 v6, 0
	s_and_saveexec_b64 s[28:29], s[8:9]
	s_cbranch_execz .LBB399_506
; %bb.501:                              ;   in Loop: Header=BB399_10 Depth=1
	v_cmp_ne_u16_e64 s[8:9], s19, v30
	v_bfrev_b32_e32 v6, 1
	s_and_saveexec_b64 s[30:31], s[8:9]
	s_cbranch_execz .LBB399_505
; %bb.502:                              ;   in Loop: Header=BB399_10 Depth=1
	v_and_b32_e32 v7, 0x7f, v30
	v_cmp_ne_u32_e64 s[8:9], s37, v7
	v_mov_b32_e32 v6, 0x7f800001
	s_and_saveexec_b64 s[34:35], s[8:9]
	s_cbranch_execz .LBB399_504
; %bb.503:                              ;   in Loop: Header=BB399_10 Depth=1
	v_and_b32_e32 v10, 7, v30
	v_ffbh_u32_e32 v6, v10
	v_min_u32_e32 v31, 32, v6
	v_subrev_u32_e32 v6, 28, v31
	v_lshrrev_b32_e32 v11, 3, v7
	v_cmp_gt_u32_e64 s[8:9], 8, v7
	v_lshlrev_b64 v[6:7], v6, v[30:31]
	v_sub_u32_e32 v7, 29, v31
	v_and_b32_e32 v6, 7, v6
	v_cndmask_b32_e64 v7, v11, v7, s[8:9]
	v_cndmask_b32_e64 v6, v10, v6, s[8:9]
	v_lshlrev_b32_e32 v10, 16, v28
	v_lshlrev_b32_e32 v6, 20, v6
	v_and_b32_e32 v10, 0x80000000, v10
	v_lshl_add_u32 v7, v7, 23, v58
	v_or3_b32 v6, v10, v7, v6
.LBB399_504:                            ;   in Loop: Header=BB399_10 Depth=1
	s_or_b64 exec, exec, s[34:35]
.LBB399_505:                            ;   in Loop: Header=BB399_10 Depth=1
	s_or_b64 exec, exec, s[30:31]
.LBB399_506:                            ;   in Loop: Header=BB399_10 Depth=1
	s_or_b64 exec, exec, s[28:29]
	v_mul_f32_e32 v6, v61, v6
	v_and_b32_e32 v7, 0x7f800000, v6
	v_cmp_ne_u32_e64 s[8:9], s38, v7
                                        ; implicit-def: $vgpr62
	s_and_saveexec_b64 s[28:29], s[8:9]
	s_xor_b64 s[8:9], exec, s[28:29]
; %bb.507:                              ;   in Loop: Header=BB399_10 Depth=1
	v_bfe_u32 v7, v6, 16, 1
	v_add3_u32 v62, v6, v7, s39
                                        ; implicit-def: $vgpr6
; %bb.508:                              ;   in Loop: Header=BB399_10 Depth=1
	s_andn2_saveexec_b64 s[28:29], s[8:9]
; %bb.509:                              ;   in Loop: Header=BB399_10 Depth=1
	v_or_b32_e32 v7, 0x10000, v6
	v_cmp_eq_u32_sdwa s[8:9], v6, v57 src0_sel:WORD_0 src1_sel:DWORD
	v_cndmask_b32_e64 v62, v7, v6, s[8:9]
; %bb.510:                              ;   in Loop: Header=BB399_10 Depth=1
	s_or_b64 exec, exec, s[28:29]
	v_lshrrev_b32_e32 v30, 16, v28
	v_cmp_ne_u16_sdwa s[8:9], v30, v57 src0_sel:BYTE_0 src1_sel:DWORD
	v_mov_b32_e32 v6, 0
	s_and_saveexec_b64 s[28:29], s[8:9]
	s_cbranch_execz .LBB399_516
; %bb.511:                              ;   in Loop: Header=BB399_10 Depth=1
	v_cmp_ne_u16_sdwa s[8:9], v30, s19 src0_sel:BYTE_0 src1_sel:DWORD
	v_bfrev_b32_e32 v6, 1
	s_and_saveexec_b64 s[30:31], s[8:9]
	s_cbranch_execz .LBB399_515
; %bb.512:                              ;   in Loop: Header=BB399_10 Depth=1
	v_bfe_u32 v7, v28, 16, 7
	v_cmp_ne_u32_e64 s[8:9], s37, v7
	v_mov_b32_e32 v6, 0x7f800001
	s_and_saveexec_b64 s[34:35], s[8:9]
	s_cbranch_execz .LBB399_514
; %bb.513:                              ;   in Loop: Header=BB399_10 Depth=1
	v_and_b32_e32 v10, 7, v30
	v_ffbh_u32_e32 v6, v10
	v_min_u32_e32 v31, 32, v6
	v_subrev_u32_e32 v6, 28, v31
	v_lshrrev_b32_e32 v11, 3, v7
	v_cmp_gt_u32_e64 s[8:9], 8, v7
	v_lshlrev_b64 v[6:7], v6, v[30:31]
	v_sub_u32_e32 v7, 29, v31
	v_and_b32_e32 v6, 7, v6
	v_cndmask_b32_e64 v7, v11, v7, s[8:9]
	v_cndmask_b32_e64 v6, v10, v6, s[8:9]
	v_lshlrev_b32_e32 v10, 24, v30
	v_lshlrev_b32_e32 v6, 20, v6
	v_and_b32_e32 v10, 0x80000000, v10
	v_lshl_add_u32 v7, v7, 23, v58
	v_or3_b32 v6, v10, v7, v6
.LBB399_514:                            ;   in Loop: Header=BB399_10 Depth=1
	s_or_b64 exec, exec, s[34:35]
.LBB399_515:                            ;   in Loop: Header=BB399_10 Depth=1
	s_or_b64 exec, exec, s[30:31]
.LBB399_516:                            ;   in Loop: Header=BB399_10 Depth=1
	s_or_b64 exec, exec, s[28:29]
	v_mul_f32_e32 v6, v61, v6
	v_and_b32_e32 v7, 0x7f800000, v6
	v_cmp_ne_u32_e64 s[8:9], s38, v7
                                        ; implicit-def: $vgpr31
	s_and_saveexec_b64 s[28:29], s[8:9]
	s_xor_b64 s[8:9], exec, s[28:29]
; %bb.517:                              ;   in Loop: Header=BB399_10 Depth=1
	v_bfe_u32 v7, v6, 16, 1
	v_add3_u32 v31, v6, v7, s39
                                        ; implicit-def: $vgpr6
; %bb.518:                              ;   in Loop: Header=BB399_10 Depth=1
	s_andn2_saveexec_b64 s[28:29], s[8:9]
; %bb.519:                              ;   in Loop: Header=BB399_10 Depth=1
	v_or_b32_e32 v7, 0x10000, v6
	v_cmp_eq_u32_sdwa s[8:9], v6, v57 src0_sel:WORD_0 src1_sel:DWORD
	v_cndmask_b32_e64 v31, v7, v6, s[8:9]
; %bb.520:                              ;   in Loop: Header=BB399_10 Depth=1
	s_or_b64 exec, exec, s[28:29]
	v_cmp_lt_u32_e64 s[8:9], s40, v28
	v_mov_b32_e32 v6, 0
	s_and_saveexec_b64 s[28:29], s[8:9]
	s_cbranch_execz .LBB399_526
; %bb.521:                              ;   in Loop: Header=BB399_10 Depth=1
	v_lshrrev_b32_e32 v30, 24, v28
	v_cmp_ne_u32_e64 s[8:9], s19, v30
	v_bfrev_b32_e32 v6, 1
	s_and_saveexec_b64 s[30:31], s[8:9]
	s_cbranch_execz .LBB399_525
; %bb.522:                              ;   in Loop: Header=BB399_10 Depth=1
	v_bfe_u32 v7, v28, 24, 7
	v_cmp_ne_u32_e64 s[8:9], s37, v7
	v_mov_b32_e32 v6, 0x7f800001
	s_and_saveexec_b64 s[34:35], s[8:9]
	s_cbranch_execz .LBB399_524
; %bb.523:                              ;   in Loop: Header=BB399_10 Depth=1
	v_and_b32_e32 v10, 7, v30
	v_ffbh_u32_e32 v6, v10
	v_min_u32_e32 v28, 32, v6
	v_subrev_u32_e32 v6, 28, v28
	v_lshrrev_b32_e32 v11, 3, v7
	v_cmp_gt_u32_e64 s[8:9], 8, v7
	v_lshlrev_b64 v[6:7], v6, v[30:31]
	v_sub_u32_e32 v7, 29, v28
	v_and_b32_e32 v6, 7, v6
	v_cndmask_b32_e64 v7, v11, v7, s[8:9]
	v_cndmask_b32_e64 v6, v10, v6, s[8:9]
	v_lshlrev_b32_e32 v10, 24, v30
	v_lshlrev_b32_e32 v6, 20, v6
	v_and_b32_e32 v10, 0x80000000, v10
	v_lshl_add_u32 v7, v7, 23, v58
	v_or3_b32 v6, v10, v7, v6
.LBB399_524:                            ;   in Loop: Header=BB399_10 Depth=1
	s_or_b64 exec, exec, s[34:35]
.LBB399_525:                            ;   in Loop: Header=BB399_10 Depth=1
	s_or_b64 exec, exec, s[30:31]
.LBB399_526:                            ;   in Loop: Header=BB399_10 Depth=1
	s_or_b64 exec, exec, s[28:29]
	v_mul_f32_e32 v6, v61, v6
	v_and_b32_e32 v7, 0x7f800000, v6
	v_cmp_ne_u32_e64 s[8:9], s38, v7
                                        ; implicit-def: $vgpr49
	s_and_saveexec_b64 s[28:29], s[8:9]
	s_xor_b64 s[8:9], exec, s[28:29]
; %bb.527:                              ;   in Loop: Header=BB399_10 Depth=1
	v_bfe_u32 v7, v6, 16, 1
	v_add3_u32 v49, v6, v7, s39
                                        ; implicit-def: $vgpr6
; %bb.528:                              ;   in Loop: Header=BB399_10 Depth=1
	s_andn2_saveexec_b64 s[28:29], s[8:9]
; %bb.529:                              ;   in Loop: Header=BB399_10 Depth=1
	v_or_b32_e32 v7, 0x10000, v6
	v_cmp_eq_u32_sdwa s[8:9], v6, v57 src0_sel:WORD_0 src1_sel:DWORD
	v_cndmask_b32_e64 v49, v7, v6, s[8:9]
; %bb.530:                              ;   in Loop: Header=BB399_10 Depth=1
	s_or_b64 exec, exec, s[28:29]
	flat_load_dword v28, v[20:21] offset:3080
	v_mov_b32_e32 v6, 0
	s_waitcnt vmcnt(0) lgkmcnt(0)
	v_cmp_ne_u16_sdwa s[8:9], v28, v57 src0_sel:BYTE_0 src1_sel:DWORD
	s_and_saveexec_b64 s[28:29], s[8:9]
	s_cbranch_execz .LBB399_536
; %bb.531:                              ;   in Loop: Header=BB399_10 Depth=1
	v_cmp_ne_u16_sdwa s[8:9], v28, s19 src0_sel:BYTE_0 src1_sel:DWORD
	v_bfrev_b32_e32 v6, 1
	s_and_saveexec_b64 s[30:31], s[8:9]
	s_cbranch_execz .LBB399_535
; %bb.532:                              ;   in Loop: Header=BB399_10 Depth=1
	v_and_b32_e32 v7, 0x7f, v28
	v_cmp_ne_u32_e64 s[8:9], s37, v7
	v_mov_b32_e32 v6, 0x7f800001
	s_and_saveexec_b64 s[34:35], s[8:9]
	s_cbranch_execz .LBB399_534
; %bb.533:                              ;   in Loop: Header=BB399_10 Depth=1
	v_and_b32_e32 v10, 7, v28
	v_ffbh_u32_e32 v6, v10
	v_min_u32_e32 v30, 32, v6
	v_subrev_u32_e32 v6, 28, v30
	v_lshrrev_b32_e32 v11, 3, v7
	v_cmp_gt_u32_e64 s[8:9], 8, v7
	v_lshlrev_b64 v[6:7], v6, v[28:29]
	v_sub_u32_e32 v7, 29, v30
	v_and_b32_e32 v6, 7, v6
	v_cndmask_b32_e64 v7, v11, v7, s[8:9]
	v_cndmask_b32_e64 v6, v10, v6, s[8:9]
	v_lshlrev_b32_e32 v10, 24, v28
	v_lshlrev_b32_e32 v6, 20, v6
	v_and_b32_e32 v10, 0x80000000, v10
	v_lshl_add_u32 v7, v7, 23, v58
	v_or3_b32 v6, v10, v7, v6
.LBB399_534:                            ;   in Loop: Header=BB399_10 Depth=1
	s_or_b64 exec, exec, s[34:35]
.LBB399_535:                            ;   in Loop: Header=BB399_10 Depth=1
	s_or_b64 exec, exec, s[30:31]
.LBB399_536:                            ;   in Loop: Header=BB399_10 Depth=1
	s_or_b64 exec, exec, s[28:29]
	v_mul_f32_e32 v6, v61, v6
	v_and_b32_e32 v7, 0x7f800000, v6
	v_cmp_ne_u32_e64 s[8:9], s38, v7
                                        ; implicit-def: $vgpr32
	s_and_saveexec_b64 s[28:29], s[8:9]
	s_xor_b64 s[8:9], exec, s[28:29]
; %bb.537:                              ;   in Loop: Header=BB399_10 Depth=1
	v_bfe_u32 v7, v6, 16, 1
	v_add3_u32 v32, v6, v7, s39
                                        ; implicit-def: $vgpr6
; %bb.538:                              ;   in Loop: Header=BB399_10 Depth=1
	s_andn2_saveexec_b64 s[28:29], s[8:9]
; %bb.539:                              ;   in Loop: Header=BB399_10 Depth=1
	v_or_b32_e32 v7, 0x10000, v6
	v_cmp_eq_u32_sdwa s[8:9], v6, v57 src0_sel:WORD_0 src1_sel:DWORD
	v_cndmask_b32_e64 v32, v7, v6, s[8:9]
; %bb.540:                              ;   in Loop: Header=BB399_10 Depth=1
	s_or_b64 exec, exec, s[28:29]
	v_lshrrev_b16_e32 v30, 8, v28
	v_cmp_ne_u16_e64 s[8:9], 0, v30
	v_mov_b32_e32 v6, 0
	s_and_saveexec_b64 s[28:29], s[8:9]
	s_cbranch_execz .LBB399_546
; %bb.541:                              ;   in Loop: Header=BB399_10 Depth=1
	v_cmp_ne_u16_e64 s[8:9], s19, v30
	v_bfrev_b32_e32 v6, 1
	s_and_saveexec_b64 s[30:31], s[8:9]
	s_cbranch_execz .LBB399_545
; %bb.542:                              ;   in Loop: Header=BB399_10 Depth=1
	v_and_b32_e32 v7, 0x7f, v30
	v_cmp_ne_u32_e64 s[8:9], s37, v7
	v_mov_b32_e32 v6, 0x7f800001
	s_and_saveexec_b64 s[34:35], s[8:9]
	s_cbranch_execz .LBB399_544
; %bb.543:                              ;   in Loop: Header=BB399_10 Depth=1
	v_and_b32_e32 v10, 7, v30
	v_ffbh_u32_e32 v6, v10
	v_min_u32_e32 v39, 32, v6
	v_subrev_u32_e32 v6, 28, v39
	v_lshrrev_b32_e32 v11, 3, v7
	v_cmp_gt_u32_e64 s[8:9], 8, v7
	v_lshlrev_b64 v[6:7], v6, v[30:31]
	v_sub_u32_e32 v7, 29, v39
	v_and_b32_e32 v6, 7, v6
	v_cndmask_b32_e64 v7, v11, v7, s[8:9]
	v_cndmask_b32_e64 v6, v10, v6, s[8:9]
	v_lshlrev_b32_e32 v10, 16, v28
	v_lshlrev_b32_e32 v6, 20, v6
	v_and_b32_e32 v10, 0x80000000, v10
	v_lshl_add_u32 v7, v7, 23, v58
	v_or3_b32 v6, v10, v7, v6
.LBB399_544:                            ;   in Loop: Header=BB399_10 Depth=1
	s_or_b64 exec, exec, s[34:35]
.LBB399_545:                            ;   in Loop: Header=BB399_10 Depth=1
	s_or_b64 exec, exec, s[30:31]
.LBB399_546:                            ;   in Loop: Header=BB399_10 Depth=1
	s_or_b64 exec, exec, s[28:29]
	v_mul_f32_e32 v7, v61, v6
	v_and_b32_e32 v6, 0x7f800000, v7
	v_cmp_ne_u32_e64 s[8:9], s38, v6
                                        ; implicit-def: $vgpr6
	s_and_saveexec_b64 s[28:29], s[8:9]
	s_xor_b64 s[8:9], exec, s[28:29]
; %bb.547:                              ;   in Loop: Header=BB399_10 Depth=1
	v_bfe_u32 v6, v7, 16, 1
	v_add3_u32 v6, v7, v6, s39
                                        ; implicit-def: $vgpr7
; %bb.548:                              ;   in Loop: Header=BB399_10 Depth=1
	s_andn2_saveexec_b64 s[28:29], s[8:9]
; %bb.549:                              ;   in Loop: Header=BB399_10 Depth=1
	v_or_b32_e32 v6, 0x10000, v7
	v_cmp_eq_u32_sdwa s[8:9], v7, v57 src0_sel:WORD_0 src1_sel:DWORD
	v_cndmask_b32_e64 v6, v6, v7, s[8:9]
; %bb.550:                              ;   in Loop: Header=BB399_10 Depth=1
	s_or_b64 exec, exec, s[28:29]
	v_lshrrev_b32_e32 v30, 16, v28
	v_cmp_ne_u16_sdwa s[8:9], v30, v57 src0_sel:BYTE_0 src1_sel:DWORD
	v_mov_b32_e32 v7, 0
	s_and_saveexec_b64 s[28:29], s[8:9]
	s_cbranch_execz .LBB399_556
; %bb.551:                              ;   in Loop: Header=BB399_10 Depth=1
	v_cmp_ne_u16_sdwa s[8:9], v30, s19 src0_sel:BYTE_0 src1_sel:DWORD
	v_bfrev_b32_e32 v7, 1
	s_and_saveexec_b64 s[30:31], s[8:9]
	s_cbranch_execz .LBB399_555
; %bb.552:                              ;   in Loop: Header=BB399_10 Depth=1
	v_bfe_u32 v10, v28, 16, 7
	v_cmp_ne_u32_e64 s[8:9], s37, v10
	v_mov_b32_e32 v7, 0x7f800001
	s_and_saveexec_b64 s[34:35], s[8:9]
	s_cbranch_execz .LBB399_554
; %bb.553:                              ;   in Loop: Header=BB399_10 Depth=1
	v_and_b32_e32 v7, 7, v30
	v_lshrrev_b32_e32 v39, 3, v10
	v_cmp_gt_u32_e64 s[8:9], 8, v10
	v_ffbh_u32_e32 v10, v7
	v_min_u32_e32 v48, 32, v10
	v_subrev_u32_e32 v10, 28, v48
	v_lshlrev_b64 v[10:11], v10, v[30:31]
	v_sub_u32_e32 v11, 29, v48
	v_and_b32_e32 v10, 7, v10
	v_cndmask_b32_e64 v11, v39, v11, s[8:9]
	v_cndmask_b32_e64 v7, v7, v10, s[8:9]
	v_lshlrev_b32_e32 v10, 24, v30
	v_lshlrev_b32_e32 v7, 20, v7
	v_and_b32_e32 v10, 0x80000000, v10
	v_lshl_add_u32 v11, v11, 23, v58
	v_or3_b32 v7, v10, v11, v7
.LBB399_554:                            ;   in Loop: Header=BB399_10 Depth=1
	s_or_b64 exec, exec, s[34:35]
.LBB399_555:                            ;   in Loop: Header=BB399_10 Depth=1
	s_or_b64 exec, exec, s[30:31]
.LBB399_556:                            ;   in Loop: Header=BB399_10 Depth=1
	s_or_b64 exec, exec, s[28:29]
	v_mul_f32_e32 v10, v61, v7
	v_and_b32_e32 v7, 0x7f800000, v10
	v_cmp_ne_u32_e64 s[8:9], s38, v7
                                        ; implicit-def: $vgpr7
	s_and_saveexec_b64 s[28:29], s[8:9]
	s_xor_b64 s[8:9], exec, s[28:29]
; %bb.557:                              ;   in Loop: Header=BB399_10 Depth=1
	v_bfe_u32 v7, v10, 16, 1
	v_add3_u32 v7, v10, v7, s39
                                        ; implicit-def: $vgpr10
; %bb.558:                              ;   in Loop: Header=BB399_10 Depth=1
	s_andn2_saveexec_b64 s[28:29], s[8:9]
; %bb.559:                              ;   in Loop: Header=BB399_10 Depth=1
	v_or_b32_e32 v7, 0x10000, v10
	v_cmp_eq_u32_sdwa s[8:9], v10, v57 src0_sel:WORD_0 src1_sel:DWORD
	v_cndmask_b32_e64 v7, v7, v10, s[8:9]
; %bb.560:                              ;   in Loop: Header=BB399_10 Depth=1
	s_or_b64 exec, exec, s[28:29]
	v_cmp_lt_u32_e64 s[8:9], s40, v28
	v_mov_b32_e32 v10, 0
	s_and_saveexec_b64 s[28:29], s[8:9]
	s_cbranch_execz .LBB399_566
; %bb.561:                              ;   in Loop: Header=BB399_10 Depth=1
	v_lshrrev_b32_e32 v30, 24, v28
	v_cmp_ne_u32_e64 s[8:9], s19, v30
	v_bfrev_b32_e32 v10, 1
	s_and_saveexec_b64 s[30:31], s[8:9]
	s_cbranch_execz .LBB399_565
; %bb.562:                              ;   in Loop: Header=BB399_10 Depth=1
	v_bfe_u32 v11, v28, 24, 7
	v_cmp_ne_u32_e64 s[8:9], s37, v11
	v_mov_b32_e32 v10, 0x7f800001
	s_and_saveexec_b64 s[34:35], s[8:9]
	s_cbranch_execz .LBB399_564
; %bb.563:                              ;   in Loop: Header=BB399_10 Depth=1
	v_and_b32_e32 v28, 7, v30
	v_ffbh_u32_e32 v10, v28
	v_min_u32_e32 v48, 32, v10
	v_subrev_u32_e32 v10, 28, v48
	v_lshrrev_b32_e32 v39, 3, v11
	v_cmp_gt_u32_e64 s[8:9], 8, v11
	v_lshlrev_b64 v[10:11], v10, v[30:31]
	v_sub_u32_e32 v11, 29, v48
	v_and_b32_e32 v10, 7, v10
	v_cndmask_b32_e64 v11, v39, v11, s[8:9]
	v_cndmask_b32_e64 v10, v28, v10, s[8:9]
	v_lshlrev_b32_e32 v28, 24, v30
	v_lshlrev_b32_e32 v10, 20, v10
	v_and_b32_e32 v28, 0x80000000, v28
	v_lshl_add_u32 v11, v11, 23, v58
	v_or3_b32 v10, v28, v11, v10
.LBB399_564:                            ;   in Loop: Header=BB399_10 Depth=1
	s_or_b64 exec, exec, s[34:35]
.LBB399_565:                            ;   in Loop: Header=BB399_10 Depth=1
	s_or_b64 exec, exec, s[30:31]
.LBB399_566:                            ;   in Loop: Header=BB399_10 Depth=1
	s_or_b64 exec, exec, s[28:29]
	v_mul_f32_e32 v10, v61, v10
	v_and_b32_e32 v11, 0x7f800000, v10
	v_cmp_ne_u32_e64 s[8:9], s38, v11
                                        ; implicit-def: $vgpr30
	s_and_saveexec_b64 s[28:29], s[8:9]
	s_xor_b64 s[8:9], exec, s[28:29]
; %bb.567:                              ;   in Loop: Header=BB399_10 Depth=1
	v_bfe_u32 v11, v10, 16, 1
	v_add3_u32 v30, v10, v11, s39
                                        ; implicit-def: $vgpr10
; %bb.568:                              ;   in Loop: Header=BB399_10 Depth=1
	s_andn2_saveexec_b64 s[28:29], s[8:9]
; %bb.569:                              ;   in Loop: Header=BB399_10 Depth=1
	v_or_b32_e32 v11, 0x10000, v10
	v_cmp_eq_u32_sdwa s[8:9], v10, v57 src0_sel:WORD_0 src1_sel:DWORD
	v_cndmask_b32_e64 v30, v11, v10, s[8:9]
; %bb.570:                              ;   in Loop: Header=BB399_10 Depth=1
	s_or_b64 exec, exec, s[28:29]
	flat_load_dword v20, v[20:21] offset:3584
	v_mov_b32_e32 v10, 0
	s_waitcnt vmcnt(0) lgkmcnt(0)
	v_cmp_ne_u16_sdwa s[8:9], v20, v57 src0_sel:BYTE_0 src1_sel:DWORD
	s_and_saveexec_b64 s[28:29], s[8:9]
	s_cbranch_execz .LBB399_576
; %bb.571:                              ;   in Loop: Header=BB399_10 Depth=1
	v_cmp_ne_u16_sdwa s[8:9], v20, s19 src0_sel:BYTE_0 src1_sel:DWORD
	v_bfrev_b32_e32 v10, 1
	s_and_saveexec_b64 s[30:31], s[8:9]
	s_cbranch_execz .LBB399_575
; %bb.572:                              ;   in Loop: Header=BB399_10 Depth=1
	v_and_b32_e32 v11, 0x7f, v20
	v_cmp_ne_u32_e64 s[8:9], s37, v11
	v_mov_b32_e32 v10, 0x7f800001
	s_and_saveexec_b64 s[34:35], s[8:9]
	s_cbranch_execz .LBB399_574
; %bb.573:                              ;   in Loop: Header=BB399_10 Depth=1
	v_and_b32_e32 v21, 7, v20
	v_ffbh_u32_e32 v10, v21
	v_min_u32_e32 v39, 32, v10
	v_subrev_u32_e32 v10, 28, v39
	v_lshrrev_b32_e32 v28, 3, v11
	v_cmp_gt_u32_e64 s[8:9], 8, v11
	v_lshlrev_b64 v[10:11], v10, v[20:21]
	v_sub_u32_e32 v11, 29, v39
	v_and_b32_e32 v10, 7, v10
	v_cndmask_b32_e64 v11, v28, v11, s[8:9]
	v_cndmask_b32_e64 v10, v21, v10, s[8:9]
	v_lshlrev_b32_e32 v21, 24, v20
	v_lshlrev_b32_e32 v10, 20, v10
	v_and_b32_e32 v21, 0x80000000, v21
	v_lshl_add_u32 v11, v11, 23, v58
	v_or3_b32 v10, v21, v11, v10
.LBB399_574:                            ;   in Loop: Header=BB399_10 Depth=1
	s_or_b64 exec, exec, s[34:35]
.LBB399_575:                            ;   in Loop: Header=BB399_10 Depth=1
	s_or_b64 exec, exec, s[30:31]
.LBB399_576:                            ;   in Loop: Header=BB399_10 Depth=1
	s_or_b64 exec, exec, s[28:29]
	v_mul_f32_e32 v10, v61, v10
	v_and_b32_e32 v11, 0x7f800000, v10
	v_cmp_ne_u32_e64 s[8:9], s38, v11
                                        ; implicit-def: $vgpr21
	s_and_saveexec_b64 s[28:29], s[8:9]
	s_xor_b64 s[8:9], exec, s[28:29]
; %bb.577:                              ;   in Loop: Header=BB399_10 Depth=1
	v_bfe_u32 v11, v10, 16, 1
	v_add3_u32 v21, v10, v11, s39
                                        ; implicit-def: $vgpr10
; %bb.578:                              ;   in Loop: Header=BB399_10 Depth=1
	s_andn2_saveexec_b64 s[28:29], s[8:9]
; %bb.579:                              ;   in Loop: Header=BB399_10 Depth=1
	v_or_b32_e32 v11, 0x10000, v10
	v_cmp_eq_u32_sdwa s[8:9], v10, v57 src0_sel:WORD_0 src1_sel:DWORD
	v_cndmask_b32_e64 v21, v11, v10, s[8:9]
; %bb.580:                              ;   in Loop: Header=BB399_10 Depth=1
	s_or_b64 exec, exec, s[28:29]
	v_lshrrev_b16_e32 v28, 8, v20
	v_cmp_ne_u16_e64 s[8:9], 0, v28
	v_mov_b32_e32 v10, 0
	s_and_saveexec_b64 s[28:29], s[8:9]
	s_cbranch_execz .LBB399_586
; %bb.581:                              ;   in Loop: Header=BB399_10 Depth=1
	v_cmp_ne_u16_e64 s[8:9], s19, v28
	v_bfrev_b32_e32 v10, 1
	s_and_saveexec_b64 s[30:31], s[8:9]
	s_cbranch_execz .LBB399_585
; %bb.582:                              ;   in Loop: Header=BB399_10 Depth=1
	v_and_b32_e32 v11, 0x7f, v28
	v_cmp_ne_u32_e64 s[8:9], s37, v11
	v_mov_b32_e32 v10, 0x7f800001
	s_and_saveexec_b64 s[34:35], s[8:9]
	s_cbranch_execz .LBB399_584
; %bb.583:                              ;   in Loop: Header=BB399_10 Depth=1
	v_and_b32_e32 v39, 7, v28
	v_ffbh_u32_e32 v10, v39
	v_min_u32_e32 v1, 32, v10
	v_subrev_u32_e32 v10, 28, v1
	v_lshrrev_b32_e32 v48, 3, v11
	v_cmp_gt_u32_e64 s[8:9], 8, v11
	v_lshlrev_b64 v[10:11], v10, v[28:29]
	v_sub_u32_e32 v1, 29, v1
	v_and_b32_e32 v10, 7, v10
	v_cndmask_b32_e64 v1, v48, v1, s[8:9]
	v_cndmask_b32_e64 v10, v39, v10, s[8:9]
	v_lshlrev_b32_e32 v11, 16, v20
	v_lshlrev_b32_e32 v10, 20, v10
	v_and_b32_e32 v11, 0x80000000, v11
	v_lshl_add_u32 v1, v1, 23, v58
	v_or3_b32 v10, v11, v1, v10
.LBB399_584:                            ;   in Loop: Header=BB399_10 Depth=1
	s_or_b64 exec, exec, s[34:35]
.LBB399_585:                            ;   in Loop: Header=BB399_10 Depth=1
	s_or_b64 exec, exec, s[30:31]
.LBB399_586:                            ;   in Loop: Header=BB399_10 Depth=1
	s_or_b64 exec, exec, s[28:29]
	v_mul_f32_e32 v10, v61, v10
	v_and_b32_e32 v1, 0x7f800000, v10
	v_cmp_ne_u32_e64 s[8:9], s38, v1
                                        ; implicit-def: $vgpr39
	s_and_saveexec_b64 s[28:29], s[8:9]
	s_xor_b64 s[8:9], exec, s[28:29]
; %bb.587:                              ;   in Loop: Header=BB399_10 Depth=1
	v_bfe_u32 v1, v10, 16, 1
	v_add3_u32 v39, v10, v1, s39
                                        ; implicit-def: $vgpr10
; %bb.588:                              ;   in Loop: Header=BB399_10 Depth=1
	s_andn2_saveexec_b64 s[28:29], s[8:9]
; %bb.589:                              ;   in Loop: Header=BB399_10 Depth=1
	v_or_b32_e32 v1, 0x10000, v10
	v_cmp_eq_u32_sdwa s[8:9], v10, v57 src0_sel:WORD_0 src1_sel:DWORD
	v_cndmask_b32_e64 v39, v1, v10, s[8:9]
; %bb.590:                              ;   in Loop: Header=BB399_10 Depth=1
	s_or_b64 exec, exec, s[28:29]
	v_lshrrev_b32_e32 v28, 16, v20
	v_cmp_ne_u16_sdwa s[8:9], v28, v57 src0_sel:BYTE_0 src1_sel:DWORD
	v_mov_b32_e32 v10, 0
	s_and_saveexec_b64 s[28:29], s[8:9]
	s_cbranch_execz .LBB399_596
; %bb.591:                              ;   in Loop: Header=BB399_10 Depth=1
	v_cmp_ne_u16_sdwa s[8:9], v28, s19 src0_sel:BYTE_0 src1_sel:DWORD
	v_bfrev_b32_e32 v10, 1
	s_and_saveexec_b64 s[30:31], s[8:9]
	s_cbranch_execz .LBB399_595
; %bb.592:                              ;   in Loop: Header=BB399_10 Depth=1
	v_bfe_u32 v11, v20, 16, 7
	v_cmp_ne_u32_e64 s[8:9], s37, v11
	v_mov_b32_e32 v10, 0x7f800001
	s_and_saveexec_b64 s[34:35], s[8:9]
	s_cbranch_execz .LBB399_594
; %bb.593:                              ;   in Loop: Header=BB399_10 Depth=1
	v_and_b32_e32 v1, 7, v28
	v_ffbh_u32_e32 v10, v1
	v_min_u32_e32 v0, 32, v10
	v_subrev_u32_e32 v10, 28, v0
	v_lshrrev_b32_e32 v48, 3, v11
	v_cmp_gt_u32_e64 s[8:9], 8, v11
	v_lshlrev_b64 v[10:11], v10, v[28:29]
	v_sub_u32_e32 v0, 29, v0
	v_and_b32_e32 v10, 7, v10
	v_cndmask_b32_e64 v0, v48, v0, s[8:9]
	v_cndmask_b32_e64 v1, v1, v10, s[8:9]
	v_lshlrev_b32_e32 v10, 24, v28
	v_lshlrev_b32_e32 v1, 20, v1
	v_and_b32_e32 v10, 0x80000000, v10
	v_lshl_add_u32 v0, v0, 23, v58
	v_or3_b32 v10, v10, v0, v1
.LBB399_594:                            ;   in Loop: Header=BB399_10 Depth=1
	s_or_b64 exec, exec, s[34:35]
.LBB399_595:                            ;   in Loop: Header=BB399_10 Depth=1
	s_or_b64 exec, exec, s[30:31]
.LBB399_596:                            ;   in Loop: Header=BB399_10 Depth=1
	s_or_b64 exec, exec, s[28:29]
	v_mul_f32_e32 v10, v61, v10
	v_and_b32_e32 v0, 0x7f800000, v10
	v_cmp_ne_u32_e64 s[8:9], s38, v0
                                        ; implicit-def: $vgpr48
	s_and_saveexec_b64 s[28:29], s[8:9]
	s_xor_b64 s[8:9], exec, s[28:29]
; %bb.597:                              ;   in Loop: Header=BB399_10 Depth=1
	v_bfe_u32 v0, v10, 16, 1
	v_add3_u32 v48, v10, v0, s39
                                        ; implicit-def: $vgpr10
; %bb.598:                              ;   in Loop: Header=BB399_10 Depth=1
	s_andn2_saveexec_b64 s[28:29], s[8:9]
; %bb.599:                              ;   in Loop: Header=BB399_10 Depth=1
	v_or_b32_e32 v0, 0x10000, v10
	v_cmp_eq_u32_sdwa s[8:9], v10, v57 src0_sel:WORD_0 src1_sel:DWORD
	v_cndmask_b32_e64 v48, v0, v10, s[8:9]
; %bb.600:                              ;   in Loop: Header=BB399_10 Depth=1
	s_or_b64 exec, exec, s[28:29]
	v_cmp_lt_u32_e64 s[8:9], s40, v20
	v_mov_b32_e32 v10, 0
	s_and_saveexec_b64 s[28:29], s[8:9]
	s_cbranch_execz .LBB399_606
; %bb.601:                              ;   in Loop: Header=BB399_10 Depth=1
	v_lshrrev_b32_e32 v28, 24, v20
	v_cmp_ne_u32_e64 s[8:9], s19, v28
	v_bfrev_b32_e32 v10, 1
	s_and_saveexec_b64 s[30:31], s[8:9]
	s_cbranch_execz .LBB399_605
; %bb.602:                              ;   in Loop: Header=BB399_10 Depth=1
	v_bfe_u32 v11, v20, 24, 7
	v_cmp_ne_u32_e64 s[8:9], s37, v11
	v_mov_b32_e32 v10, 0x7f800001
	s_and_saveexec_b64 s[34:35], s[8:9]
	s_cbranch_execz .LBB399_604
; %bb.603:                              ;   in Loop: Header=BB399_10 Depth=1
	v_and_b32_e32 v0, 7, v28
	v_ffbh_u32_e32 v10, v0
	v_min_u32_e32 v20, 32, v10
	v_subrev_u32_e32 v10, 28, v20
	v_lshrrev_b32_e32 v1, 3, v11
	v_cmp_gt_u32_e64 s[8:9], 8, v11
	v_lshlrev_b64 v[10:11], v10, v[28:29]
	v_sub_u32_e32 v11, 29, v20
	v_and_b32_e32 v10, 7, v10
	v_cndmask_b32_e64 v1, v1, v11, s[8:9]
	v_cndmask_b32_e64 v0, v0, v10, s[8:9]
	v_lshlrev_b32_e32 v10, 24, v28
	v_lshlrev_b32_e32 v0, 20, v0
	v_and_b32_e32 v10, 0x80000000, v10
	v_lshl_add_u32 v1, v1, 23, v58
	v_or3_b32 v10, v10, v1, v0
.LBB399_604:                            ;   in Loop: Header=BB399_10 Depth=1
	s_or_b64 exec, exec, s[34:35]
.LBB399_605:                            ;   in Loop: Header=BB399_10 Depth=1
	s_or_b64 exec, exec, s[30:31]
.LBB399_606:                            ;   in Loop: Header=BB399_10 Depth=1
	s_or_b64 exec, exec, s[28:29]
	v_mul_f32_e32 v10, v61, v10
	v_and_b32_e32 v0, 0x7f800000, v10
	v_cmp_ne_u32_e64 s[8:9], s38, v0
                                        ; implicit-def: $vgpr20
	s_and_saveexec_b64 s[28:29], s[8:9]
	s_xor_b64 s[8:9], exec, s[28:29]
; %bb.607:                              ;   in Loop: Header=BB399_10 Depth=1
	v_bfe_u32 v0, v10, 16, 1
	v_add3_u32 v20, v10, v0, s39
                                        ; implicit-def: $vgpr10
; %bb.608:                              ;   in Loop: Header=BB399_10 Depth=1
	s_andn2_saveexec_b64 s[28:29], s[8:9]
; %bb.609:                              ;   in Loop: Header=BB399_10 Depth=1
	v_or_b32_e32 v0, 0x10000, v10
	v_cmp_eq_u32_sdwa s[8:9], v10, v57 src0_sel:WORD_0 src1_sel:DWORD
	v_cndmask_b32_e64 v20, v0, v10, s[8:9]
; %bb.610:                              ;   in Loop: Header=BB399_10 Depth=1
	s_or_b64 exec, exec, s[28:29]
	buffer_load_dword v10, off, s[0:3], s32 offset:204 ; 4-byte Folded Reload
	v_accvgpr_read_b32 v0, a35
	v_and_b32_e32 v0, 0xffff0000, v0
	v_accvgpr_read_b32 v1, a31
	v_and_b32_e32 v1, 0xffff0000, v1
	s_waitcnt vmcnt(0)
	v_mul_f32_e32 v28, v10, v0
	buffer_load_dword v0, off, s[0:3], s32 offset:192 ; 4-byte Folded Reload
	buffer_load_dword v10, off, s[0:3], s32 offset:212 ; 4-byte Folded Reload
	s_waitcnt vmcnt(1)
	v_fmac_f32_e32 v28, v0, v1
	v_accvgpr_read_b32 v0, a36
	v_and_b32_e32 v0, 0xffff0000, v0
	s_waitcnt vmcnt(0)
	v_mul_f32_e32 v61, v10, v0
	buffer_load_dword v0, off, s[0:3], s32 offset:196 ; 4-byte Folded Reload
	buffer_load_dword v10, off, s[0:3], s32 offset:216 ; 4-byte Folded Reload
	v_accvgpr_read_b32 v1, a32
	v_and_b32_e32 v1, 0xffff0000, v1
	s_waitcnt vmcnt(1)
	v_fmac_f32_e32 v61, v0, v1
	v_accvgpr_read_b32 v0, a37
	v_and_b32_e32 v0, 0xffff0000, v0
	s_waitcnt vmcnt(0)
	v_mul_f32_e32 v11, v10, v0
	buffer_load_dword v0, off, s[0:3], s32 offset:200 ; 4-byte Folded Reload
	buffer_load_dword v10, off, s[0:3], s32 offset:220 ; 4-byte Folded Reload
	v_accvgpr_read_b32 v1, a33
	v_and_b32_e32 v1, 0xffff0000, v1
	s_waitcnt vmcnt(1)
	v_fmac_f32_e32 v11, v0, v1
	v_accvgpr_read_b32 v0, a38
	v_and_b32_e32 v0, 0xffff0000, v0
	s_waitcnt vmcnt(0)
	v_mul_f32_e32 v10, v10, v0
	buffer_load_dword v0, off, s[0:3], s32 offset:208 ; 4-byte Folded Reload
	v_accvgpr_read_b32 v1, a34
	v_and_b32_e32 v1, 0xffff0000, v1
	s_waitcnt vmcnt(0)
	v_fmac_f32_e32 v10, v0, v1
	buffer_load_dword v1, off, s[0:3], s32 offset:224 ; 4-byte Folded Reload
	v_accvgpr_read_b32 v0, a39
	v_and_b32_e32 v0, 0xffff0000, v0
	s_waitcnt vmcnt(0)
	v_fmac_f32_e32 v28, v1, v0
	;; [unrolled: 5-line block ×7, first 2 shown]
	buffer_load_dword v1, off, s[0:3], s32 offset:248 ; 4-byte Folded Reload
	v_and_b32_e32 v0, 0xffff0000, v3
	s_waitcnt vmcnt(0)
	v_fmac_f32_e32 v11, v1, v0
	buffer_load_dword v1, off, s[0:3], s32 offset:252 ; 4-byte Folded Reload
	v_and_b32_e32 v0, 0xffff0000, v2
	s_waitcnt vmcnt(0)
	v_fmac_f32_e32 v10, v1, v0
	;; [unrolled: 4-line block ×4, first 2 shown]
	v_and_b32_e32 v0, 0xffff0000, v27
	v_accvgpr_read_b32 v1, a45
	v_fmac_f32_e32 v11, v1, v0
	v_and_b32_e32 v0, 0xffff0000, v26
	v_accvgpr_read_b32 v1, a46
	v_fmac_f32_e32 v10, v1, v0
	;; [unrolled: 3-line block ×42, first 2 shown]
	v_add_f32_e32 v0, v28, v61
	v_add_f32_e32 v0, v0, v11
	;; [unrolled: 1-line block ×3, first 2 shown]
	v_accvgpr_read_b32 v1, a29
	ds_bpermute_b32 v1, v1, v0
	s_and_saveexec_b64 s[28:29], vcc
	s_cbranch_execz .LBB399_9
; %bb.611:                              ;   in Loop: Header=BB399_10 Depth=1
	s_waitcnt lgkmcnt(0)
	v_add_f32_e32 v0, v0, v1
	buffer_load_dword v1, off, s[0:3], s32 offset:272 ; 4-byte Folded Reload
	v_sub_u32_e32 v2, 1, v33
	v_add_u32_e32 v2, v2, v47
	v_cvt_f32_i32_e32 v2, v2
	s_load_dword s8, s[24:25], 0x0
	v_accvgpr_read_b32 v3, a24
	s_waitcnt vmcnt(0)
	v_mul_f32_e32 v1, v1, v2
	v_cndmask_b32_e64 v1, 0, v1, s[6:7]
	s_waitcnt lgkmcnt(0)
	v_add_u32_e32 v2, s8, v56
	v_fmac_f32_e32 v1, v0, v3
	v_cmp_lt_i32_e64 s[8:9], v47, v33
	v_cndmask_b32_e64 v0, 0, v1, s[8:9]
	ds_write_b32 v2, v0
	v_max_f32_e32 v0, v13, v13
	v_max_f32_e32 v0, v0, v1
	v_cndmask_b32_e64 v13, v13, v0, s[8:9]
	s_branch .LBB399_9
.LBB399_612:
	s_or_b64 exec, exec, s[26:27]
	buffer_load_dword v19, off, s[0:3], s32 offset:276 ; 4-byte Folded Reload
	buffer_load_dword v15, off, s[0:3], s32 offset:352 ; 4-byte Folded Reload
	;; [unrolled: 1-line block ×18, first 2 shown]
.LBB399_613:
	s_or_b64 exec, exec, s[10:11]
	s_waitcnt vmcnt(1)
	v_xor_b32_e32 v0, 32, v10
	s_waitcnt vmcnt(0)
	v_cmp_lt_i32_e32 vcc, v0, v11
	v_cndmask_b32_e32 v0, v10, v0, vcc
	v_lshlrev_b32_e32 v3, 2, v0
	ds_bpermute_b32 v0, v3, v13
	v_xor_b32_e32 v2, 16, v10
	s_waitcnt lgkmcnt(0)
	v_max_f32_e32 v1, v13, v13
	v_cmp_lt_i32_e32 vcc, v2, v11
	s_lshr_b32 s28, s36, 16
	v_max_f32_e32 v0, v0, v0
	v_max_f32_e32 v0, v1, v0
	v_cndmask_b32_e32 v1, v10, v2, vcc
	v_lshlrev_b32_e32 v4, 2, v1
	ds_bpermute_b32 v1, v4, v0
	v_xor_b32_e32 v2, 8, v10
	v_cmp_lt_i32_e32 vcc, v2, v11
	v_lshlrev_b32_e32 v7, 2, v29
	s_waitcnt lgkmcnt(0)
	v_max_f32_e32 v1, v1, v1
	v_max_f32_e32 v0, v0, v1
	v_cndmask_b32_e32 v1, v10, v2, vcc
	v_lshlrev_b32_e32 v5, 2, v1
	ds_bpermute_b32 v1, v5, v0
	v_xor_b32_e32 v2, 4, v10
	v_cmp_lt_i32_e32 vcc, v2, v11
	s_waitcnt lgkmcnt(0)
	v_max_f32_e32 v1, v1, v1
	v_max_f32_e32 v0, v0, v1
	v_cndmask_b32_e32 v1, v10, v2, vcc
	v_lshlrev_b32_e32 v6, 2, v1
	ds_bpermute_b32 v1, v6, v0
	v_xor_b32_e32 v2, 2, v10
	v_cmp_lt_i32_e32 vcc, v2, v11
	s_waitcnt lgkmcnt(0)
	v_max_f32_e32 v1, v1, v1
	v_max_f32_e32 v1, v0, v1
	v_cndmask_b32_e32 v0, v10, v2, vcc
	v_lshlrev_b32_e32 v22, 2, v0
	ds_bpermute_b32 v2, v22, v1
	v_and_b32_e32 v0, 63, v19
	v_cmp_eq_u32_e32 vcc, 0, v0
	s_and_saveexec_b64 s[6:7], vcc
	s_cbranch_execz .LBB399_615
; %bb.614:
	s_waitcnt lgkmcnt(0)
	v_max_f32_e32 v2, v2, v2
	v_max_f32_e32 v1, v1, v1
	;; [unrolled: 1-line block ×3, first 2 shown]
	ds_write_b32 v7, v1 offset:240
.LBB399_615:
	s_or_b64 exec, exec, s[6:7]
	v_cmp_gt_u32_e64 s[6:7], 2, v0
	v_mov_b32_e32 v1, 0xff7fffff
	v_lshlrev_b32_e32 v8, 2, v0
	s_waitcnt lgkmcnt(0)
	s_barrier
	s_and_saveexec_b64 s[8:9], s[6:7]
	s_cbranch_execz .LBB399_617
; %bb.616:
	ds_read_b32 v1, v8 offset:240
.LBB399_617:
	s_or_b64 exec, exec, s[8:9]
	buffer_load_dword v9, off, s[0:3], s32 offset:188 ; 4-byte Folded Reload
	v_xor_b32_e32 v2, 1, v10
	v_cmp_lt_i32_e64 s[8:9], v2, v11
	v_cndmask_b32_e64 v2, v10, v2, s[8:9]
	v_lshlrev_b32_e32 v23, 2, v2
	s_waitcnt lgkmcnt(0)
	ds_bpermute_b32 v2, v23, v1
	v_max_f32_e32 v1, v1, v1
	v_mov_b32_e32 v11, 0
	s_waitcnt lgkmcnt(0)
	v_max_f32_e32 v2, v2, v2
	v_max_f32_e32 v1, v1, v2
	v_lshlrev_b32_e32 v2, 2, v10
	v_and_b32_e32 v10, 0xffffff00, v2
	ds_bpermute_b32 v1, v10, v1
	s_waitcnt vmcnt(0)
	v_subrev_u32_e32 v9, s21, v9
	v_lshl_add_u32 v9, v9, 5, s23
	v_min_i32_e32 v9, v9, v33
	v_subrev_u32_e32 v2, s23, v9
	v_cmp_lt_i32_e64 s[8:9], v19, v2
	s_and_saveexec_b64 s[24:25], s[8:9]
	s_cbranch_execz .LBB399_621
; %bb.618:
	s_ashr_i32 s19, s18, 31
	s_lshl_b64 s[10:11], s[18:19], 2
	s_getpc_b64 s[26:27]
	s_add_u32 s26, s26, llvm.amdgcn.dynlds.offset.table@rel32@lo+4
	s_addc_u32 s27, s27, llvm.amdgcn.dynlds.offset.table@rel32@hi+12
	s_add_u32 s10, s10, s26
	s_addc_u32 s11, s11, s27
	s_load_dword s10, s[10:11], 0x0
	s_mov_b64 s[26:27], 0
	v_mov_b32_e32 v11, 0
	v_mov_b32_e32 v13, v19
	s_waitcnt lgkmcnt(0)
	v_lshl_add_u32 v12, v19, 2, s10
.LBB399_619:                            ; =>This Inner Loop Header: Depth=1
	ds_read_b32 v18, v12
	v_add_u32_e32 v13, 0x80, v13
	v_cmp_ge_i32_e64 s[10:11], v13, v2
	s_or_b64 s[26:27], s[10:11], s[26:27]
	s_waitcnt lgkmcnt(0)
	v_sub_f32_e32 v18, v18, v1
	v_mul_f32_e32 v18, 0x3fb8aa3b, v18
	v_exp_f32_e32 v18, v18
	ds_write_b32 v12, v18
	v_add_f32_e32 v11, v11, v18
	v_add_u32_e32 v12, 0x200, v12
	s_andn2_b64 exec, exec, s[26:27]
	s_cbranch_execnz .LBB399_619
; %bb.620:
	s_or_b64 exec, exec, s[26:27]
.LBB399_621:
	s_or_b64 exec, exec, s[24:25]
	ds_bpermute_b32 v3, v3, v11
	s_waitcnt lgkmcnt(0)
	v_add_f32_e32 v3, v11, v3
	ds_bpermute_b32 v4, v4, v3
	s_waitcnt lgkmcnt(0)
	v_add_f32_e32 v3, v3, v4
	;; [unrolled: 3-line block ×6, first 2 shown]
	s_and_saveexec_b64 s[10:11], vcc
	s_cbranch_execz .LBB399_623
; %bb.622:
	ds_write_b32 v7, v3 offset:248
.LBB399_623:
	s_or_b64 exec, exec, s[10:11]
	s_waitcnt lgkmcnt(0)
	s_barrier
	s_and_saveexec_b64 s[10:11], s[6:7]
	s_cbranch_execz .LBB399_625
; %bb.624:
	ds_read_b32 v3, v8 offset:248
.LBB399_625:
	s_or_b64 exec, exec, s[10:11]
	s_waitcnt lgkmcnt(0)
	ds_bpermute_b32 v4, v23, v3
	s_waitcnt lgkmcnt(0)
	v_add_f32_e32 v3, v3, v4
	ds_bpermute_b32 v3, v10, v3
	s_and_saveexec_b64 s[6:7], s[8:9]
	s_cbranch_execz .LBB399_638
; %bb.626:
	s_waitcnt lgkmcnt(0)
	v_add_f32_e32 v4, 0x358637bd, v3
	v_div_scale_f32 v5, s[8:9], v4, v4, 1.0
	v_rcp_f32_e32 v6, v5
	v_div_scale_f32 v7, vcc, 1.0, v4, 1.0
	s_movk_i32 s8, 0x7f
	v_fma_f32 v8, -v5, v6, 1.0
	v_fmac_f32_e32 v6, v8, v6
	v_mul_f32_e32 v8, v7, v6
	v_fma_f32 v10, -v5, v8, v7
	v_fmac_f32_e32 v8, v10, v6
	v_fma_f32 v5, -v5, v8, v7
	v_div_fmas_f32 v5, v5, v6, v8
	v_div_fixup_f32 v8, v5, v4, 1.0
	v_xad_u32 v4, v19, -1, v9
	v_subrev_u32_e32 v5, s23, v4
	v_cmp_lt_u32_e32 vcc, s8, v5
	s_mov_b64 s[10:11], -1
	v_mov_b32_e32 v4, v19
	s_and_saveexec_b64 s[8:9], vcc
	s_cbranch_execz .LBB399_635
; %bb.627:
	v_lshrrev_b32_e32 v4, 7, v5
	v_add_u32_e32 v6, -1, v4
	v_lshrrev_b32_e32 v5, 1, v6
	v_mov_b32_e32 v9, v8
	v_add_u32_e32 v5, 1, v5
	v_cmp_lt_u32_e32 vcc, 13, v6
	v_mov_b32_e32 v10, 0
	s_and_saveexec_b64 s[10:11], vcc
	s_cbranch_execz .LBB399_631
; %bb.628:
	s_ashr_i32 s19, s18, 31
	s_lshl_b64 s[24:25], s[18:19], 2
	s_getpc_b64 s[26:27]
	s_add_u32 s26, s26, llvm.amdgcn.dynlds.offset.table@rel32@lo+4
	s_addc_u32 s27, s27, llvm.amdgcn.dynlds.offset.table@rel32@hi+12
	s_add_u32 s24, s24, s26
	s_addc_u32 s25, s25, s27
	s_load_dword s21, s[24:25], 0x0
	v_and_b32_e32 v6, -8, v5
	s_mov_b32 s19, 0
	s_mov_b64 s[24:25], 0
	s_waitcnt lgkmcnt(0)
	v_lshl_add_u32 v7, v19, 2, s21
.LBB399_629:                            ; =>This Inner Loop Header: Depth=1
	ds_read2st64_b32 v[10:11], v7 offset1:2
	ds_read2st64_b32 v[12:13], v7 offset0:4 offset1:6
	ds_read2st64_b32 v[20:21], v7 offset0:8 offset1:10
	;; [unrolled: 1-line block ×3, first 2 shown]
	v_add_u32_e32 v6, -8, v6
	s_waitcnt lgkmcnt(3)
	v_pk_mul_f32 v[10:11], v[8:9], v[10:11]
	s_waitcnt lgkmcnt(2)
	v_pk_mul_f32 v[12:13], v[8:9], v[12:13]
	ds_write2st64_b32 v7, v10, v11 offset1:2
	ds_write2st64_b32 v7, v12, v13 offset0:4 offset1:6
	ds_read2st64_b32 v[12:13], v7 offset0:16 offset1:18
	s_waitcnt lgkmcnt(4)
	v_pk_mul_f32 v[10:11], v[8:9], v[20:21]
	ds_write2st64_b32 v7, v10, v11 offset0:8 offset1:10
	s_waitcnt lgkmcnt(4)
	v_pk_mul_f32 v[10:11], v[8:9], v[18:19]
	ds_write2st64_b32 v7, v10, v11 offset0:12 offset1:14
	ds_read2st64_b32 v[10:11], v7 offset0:20 offset1:22
	s_waitcnt lgkmcnt(3)
	v_pk_mul_f32 v[12:13], v[8:9], v[12:13]
	ds_read2st64_b32 v[18:19], v7 offset0:24 offset1:26
	ds_write2st64_b32 v7, v12, v13 offset0:16 offset1:18
	ds_read2st64_b32 v[12:13], v7 offset0:28 offset1:30
	s_waitcnt lgkmcnt(3)
	v_pk_mul_f32 v[10:11], v[8:9], v[10:11]
	ds_write2st64_b32 v7, v10, v11 offset0:20 offset1:22
	s_waitcnt lgkmcnt(3)
	v_pk_mul_f32 v[10:11], v[8:9], v[18:19]
	ds_write2st64_b32 v7, v10, v11 offset0:24 offset1:26
	s_waitcnt lgkmcnt(2)
	v_pk_mul_f32 v[10:11], v[8:9], v[12:13]
	s_add_i32 s19, s19, 16
	v_cmp_eq_u32_e32 vcc, 0, v6
	ds_write2st64_b32 v7, v10, v11 offset0:28 offset1:30
	v_add_u32_e32 v7, 0x2000, v7
	s_or_b64 s[24:25], vcc, s[24:25]
	v_mov_b32_e32 v10, s19
	s_andn2_b64 exec, exec, s[24:25]
	s_cbranch_execnz .LBB399_629
; %bb.630:
	s_or_b64 exec, exec, s[24:25]
	buffer_load_dword v19, off, s[0:3], s32 offset:276 ; 4-byte Folded Reload
.LBB399_631:
	s_or_b64 exec, exec, s[10:11]
	v_and_b32_e32 v5, 7, v5
	v_cmp_ne_u32_e32 vcc, 0, v5
	s_and_saveexec_b64 s[10:11], vcc
	s_cbranch_execz .LBB399_634
; %bb.632:
	s_ashr_i32 s19, s18, 31
	s_lshl_b64 s[24:25], s[18:19], 2
	s_getpc_b64 s[26:27]
	s_add_u32 s26, s26, llvm.amdgcn.dynlds.offset.table@rel32@lo+4
	s_addc_u32 s27, s27, llvm.amdgcn.dynlds.offset.table@rel32@hi+12
	s_add_u32 s24, s24, s26
	s_addc_u32 s25, s25, s27
	s_load_dword s19, s[24:25], 0x0
	v_lshlrev_b32_e32 v6, 9, v10
	s_waitcnt vmcnt(0)
	v_lshlrev_b32_e32 v7, 2, v19
	s_mov_b64 s[24:25], 0
	s_waitcnt lgkmcnt(0)
	v_add3_u32 v6, v6, v7, s19
.LBB399_633:                            ; =>This Inner Loop Header: Depth=1
	ds_read2st64_b32 v[10:11], v6 offset1:2
	v_add_u32_e32 v5, -1, v5
	v_cmp_eq_u32_e32 vcc, 0, v5
	s_or_b64 s[24:25], vcc, s[24:25]
	s_waitcnt lgkmcnt(0)
	v_pk_mul_f32 v[10:11], v[8:9], v[10:11]
	ds_write2st64_b32 v6, v10, v11 offset1:2
	v_add_u32_e32 v6, 0x400, v6
	s_andn2_b64 exec, exec, s[24:25]
	s_cbranch_execnz .LBB399_633
.LBB399_634:
	s_or_b64 exec, exec, s[10:11]
	v_add_u32_e32 v5, 1, v4
	v_and_b32_e32 v6, 0x3fffffe, v5
	v_cmp_ne_u32_e32 vcc, v5, v6
	s_waitcnt vmcnt(0)
	v_lshl_add_u32 v4, v6, 7, v19
	s_orn2_b64 s[10:11], vcc, exec
.LBB399_635:
	s_or_b64 exec, exec, s[8:9]
	s_and_b64 exec, exec, s[10:11]
	s_cbranch_execz .LBB399_638
; %bb.636:
	s_ashr_i32 s19, s18, 31
	s_lshl_b64 s[8:9], s[18:19], 2
	s_getpc_b64 s[10:11]
	s_add_u32 s10, s10, llvm.amdgcn.dynlds.offset.table@rel32@lo+4
	s_addc_u32 s11, s11, llvm.amdgcn.dynlds.offset.table@rel32@hi+12
	s_add_u32 s8, s8, s10
	s_addc_u32 s9, s9, s11
	s_load_dword s8, s[8:9], 0x0
	s_waitcnt lgkmcnt(0)
	v_lshl_add_u32 v5, v4, 2, s8
	s_mov_b64 s[8:9], 0
.LBB399_637:                            ; =>This Inner Loop Header: Depth=1
	ds_read_b32 v6, v5
	v_add_u32_e32 v4, 0x80, v4
	v_cmp_ge_i32_e32 vcc, v4, v2
	s_or_b64 s[8:9], vcc, s[8:9]
	s_waitcnt lgkmcnt(0)
	v_mul_f32_e32 v6, v8, v6
	ds_write_b32 v5, v6
	v_add_u32_e32 v5, 0x200, v5
	s_andn2_b64 exec, exec, s[8:9]
	s_cbranch_execnz .LBB399_637
.LBB399_638:
	s_or_b64 exec, exec, s[6:7]
	v_cmp_ne_u16_e64 s[6:7], s28, 0
	s_cmp_lg_u64 s[6:7], 0
	s_addc_u32 s21, s13, 0
	s_mul_i32 s6, s21, s22
	v_cmp_eq_u32_e32 vcc, 0, v19
	s_mul_i32 s8, s6, s15
	s_waitcnt lgkmcnt(0)
	s_barrier
	s_and_saveexec_b64 s[6:7], vcc
	s_cbranch_execz .LBB399_640
; %bb.639:
	s_mul_i32 s12, s21, s12
	s_ashr_i32 s9, s8, 31
	s_ashr_i32 s13, s12, 31
	;; [unrolled: 1-line block ×3, first 2 shown]
	s_lshl_b64 s[10:11], s[8:9], 2
	s_lshl_b64 s[12:13], s[12:13], 2
	;; [unrolled: 1-line block ×3, first 2 shown]
	s_add_u32 s9, s24, s12
	s_addc_u32 s12, s25, s13
	s_add_u32 s9, s9, s10
	s_addc_u32 s10, s12, s11
	v_mov_b32_e32 v2, s10
	v_add_co_u32_e32 v4, vcc, s9, v27
	v_addc_co_u32_e32 v5, vcc, v2, v26, vcc
	flat_store_dword v[4:5], v1
	v_mov_b32_e32 v1, s10
	v_add_co_u32_e32 v4, vcc, s9, v25
	v_addc_co_u32_e32 v5, vcc, v1, v24, vcc
	flat_store_dword v[4:5], v3
.LBB399_640:
	s_or_b64 exec, exec, s[6:7]
	v_mov_b32_e32 v51, 0
	v_lshrrev_b32_e32 v27, 2, v0
	v_and_b32_e32 v26, 3, v19
	v_mov_b32_e32 v50, 0
	v_mov_b32_e32 v19, 0
	;; [unrolled: 1-line block ×7, first 2 shown]
	s_and_saveexec_b64 s[10:11], s[4:5]
	s_cbranch_execz .LBB399_1590
; %bb.641:
	buffer_load_dword v0, off, s[0:3], s32 offset:264 ; 4-byte Folded Reload
	buffer_load_dword v1, off, s[0:3], s32 offset:268 ; 4-byte Folded Reload
	s_ashr_i32 s19, s18, 31
	s_lshl_b64 s[4:5], s[18:19], 2
	s_getpc_b64 s[6:7]
	s_add_u32 s6, s6, llvm.amdgcn.dynlds.offset.table@rel32@lo+4
	s_addc_u32 s7, s7, llvm.amdgcn.dynlds.offset.table@rel32@hi+12
	v_and_b32_e32 v2, 24, v28
	s_add_u32 s4, s4, s6
	s_addc_u32 s5, s5, s7
	s_load_dword s6, s[4:5], 0x0
	s_movk_i32 s4, 0x78
	s_mov_b32 s12, -1
	v_accvgpr_write_b32 a8, v23
	v_accvgpr_write_b32 a7, v22
	s_mov_b32 s13, 0xffffff
	v_accvgpr_write_b32 a10, v27
	v_accvgpr_write_b32 a9, v26
	s_mov_b32 s9, 0x7f800000
	s_movk_i32 s15, 0x7fff
	s_movk_i32 s19, 0x80
	;; [unrolled: 1-line block ×3, first 2 shown]
	v_mov_b32_e32 v24, 0
	v_mov_b32_e32 v25, 0
	;; [unrolled: 1-line block ×8, first 2 shown]
	s_waitcnt vmcnt(0)
	flat_load_dword v38, v[0:1]
	v_add_co_u32_e32 v0, vcc, v32, v36
	v_addc_co_u32_e32 v1, vcc, v30, v37, vcc
	v_accvgpr_write_b32 a15, v1
	v_accvgpr_write_b32 a14, v0
	v_add_u32_e32 v0, -1, v31
	v_accvgpr_write_b32 a11, v0
	v_lshl_or_b32 v0, v27, 5, v2
	v_accvgpr_write_b32 a16, v0
	v_or_b32_e32 v0, 0x70, v27
	v_cmp_gt_u32_e32 vcc, s4, v0
	v_lshl_or_b32 v0, v0, 5, v2
	v_accvgpr_write_b32 a18, v0
	v_lshlrev_b64 v[0:1], 2, v[16:17]
	v_add_co_u32_e64 v0, s[4:5], v34, v0
	v_addc_co_u32_e64 v1, s[4:5], v35, v1, s[4:5]
	v_add_co_u32_e64 v14, s[4:5], v14, v0
	v_lshl_add_u32 v0, v29, 5, s23
	v_add3_u32 v17, v0, v2, 7
	v_lshlrev_b32_e32 v0, 5, v26
	v_lshl_or_b32 v0, v29, 7, v0
	v_mov_b32_e32 v31, 0
	v_addc_co_u32_e64 v15, s[4:5], v15, v1, s[4:5]
	s_waitcnt lgkmcnt(0)
	v_add_u32_e32 v48, s6, v0
	s_mov_b64 s[22:23], 0
	s_branch .LBB399_644
.LBB399_642:                            ;   in Loop: Header=BB399_644 Depth=1
	s_or_b64 exec, exec, s[6:7]
	v_and_b32_e32 v43, 0xffff0000, v35
	v_and_b32_e32 v42, 0xffff0000, v12
	;; [unrolled: 1-line block ×8, first 2 shown]
	v_pk_add_f32 v[0:1], v[12:13], v[42:43]
	v_pk_add_f32 v[10:11], v[50:51], v[10:11]
	v_add_f32_e32 v0, v0, v1
	v_add_f32_e32 v0, v0, v10
	v_add_f32_e32 v0, v0, v11
	v_accvgpr_read_b32 v51, a13
	v_accvgpr_read_b32 v50, a12
	v_add_f32_e32 v51, v51, v0
.LBB399_643:                            ;   in Loop: Header=BB399_644 Depth=1
	s_or_b64 exec, exec, s[24:25]
	v_accvgpr_read_b32 v0, a21
	v_accvgpr_read_b32 v2, a20
	v_and_b32_e32 v1, 0xffff0000, v0
	v_accvgpr_read_b32 v0, a19
	v_and_b32_e32 v13, 0xffff0000, v2
	;; [unrolled: 2-line block ×3, first 2 shown]
	v_and_b32_e32 v12, 0xffff0000, v2
	v_accvgpr_read_b32 v2, a25
	v_pk_add_f32 v[0:1], v[12:13], v[0:1]
	v_and_b32_e32 v13, 0xffff0000, v2
	v_accvgpr_read_b32 v2, a23
	v_and_b32_e32 v12, 0xffff0000, v2
	v_accvgpr_read_b32 v2, a24
	;; [unrolled: 2-line block ×3, first 2 shown]
	v_and_b32_e32 v42, 0xffff0000, v2
	v_pk_add_f32 v[12:13], v[42:43], v[12:13]
	v_add_f32_e32 v0, v0, v1
	v_add_f32_e32 v0, v0, v12
	v_accvgpr_read_b32 v2, a33
	v_add_f32_e32 v0, v0, v13
	v_and_b32_e32 v13, 0xffff0000, v2
	v_accvgpr_read_b32 v2, a31
	v_and_b32_e32 v12, 0xffff0000, v2
	v_accvgpr_read_b32 v2, a30
	v_and_b32_e32 v43, 0xffff0000, v2
	v_accvgpr_read_b32 v2, a28
	v_and_b32_e32 v42, 0xffff0000, v2
	v_accvgpr_read_b32 v2, a29
	v_add_f32_e32 v24, v24, v0
	v_accvgpr_read_b32 v0, a34
	v_and_b32_e32 v45, 0xffff0000, v2
	v_accvgpr_read_b32 v2, a27
	v_and_b32_e32 v1, 0xffff0000, v0
	;; [unrolled: 2-line block ×3, first 2 shown]
	v_and_b32_e32 v0, 0xffff0000, v0
	v_pk_add_f32 v[42:43], v[44:45], v[42:43]
	v_pk_add_f32 v[0:1], v[12:13], v[0:1]
	v_add_f32_e32 v2, v42, v43
	v_add_f32_e32 v0, v2, v0
	v_accvgpr_read_b32 v2, a35
	v_and_b32_e32 v13, 0xffff0000, v2
	v_accvgpr_read_b32 v2, a4
	v_and_b32_e32 v12, 0xffff0000, v2
	v_accvgpr_read_b32 v2, a3
	v_and_b32_e32 v43, 0xffff0000, v2
	v_accvgpr_read_b32 v2, a1
	v_add_f32_e32 v0, v0, v1
	v_and_b32_e32 v42, 0xffff0000, v2
	v_accvgpr_read_b32 v2, a2
	v_add_f32_e32 v25, v25, v0
	v_accvgpr_read_b32 v0, a36
	v_and_b32_e32 v45, 0xffff0000, v2
	v_accvgpr_read_b32 v2, a0
	v_and_b32_e32 v1, 0xffff0000, v0
	;; [unrolled: 2-line block ×3, first 2 shown]
	v_and_b32_e32 v0, 0xffff0000, v0
	v_pk_add_f32 v[42:43], v[44:45], v[42:43]
	v_pk_add_f32 v[0:1], v[12:13], v[0:1]
	v_add_f32_e32 v2, v42, v43
	v_add_f32_e32 v0, v2, v0
	v_accvgpr_read_b32 v2, a43
	v_and_b32_e32 v13, 0xffff0000, v2
	v_accvgpr_read_b32 v2, a41
	v_and_b32_e32 v12, 0xffff0000, v2
	;; [unrolled: 2-line block ×4, first 2 shown]
	v_accvgpr_read_b32 v2, a39
	v_add_f32_e32 v0, v0, v1
	v_and_b32_e32 v23, 0xffff0000, v2
	v_accvgpr_read_b32 v2, a37
	v_add_f32_e32 v20, v20, v0
	v_and_b32_e32 v1, 0xffff0000, v22
	v_accvgpr_read_b32 v0, a42
	v_and_b32_e32 v22, 0xffff0000, v2
	v_and_b32_e32 v0, 0xffff0000, v0
	v_pk_add_f32 v[10:11], v[22:23], v[10:11]
	v_pk_add_f32 v[0:1], v[12:13], v[0:1]
	v_add_f32_e32 v2, v10, v11
	v_add_f32_e32 v0, v2, v0
	v_add_f32_e32 v0, v0, v1
	v_and_b32_e32 v13, 0xffff0000, v55
	v_and_b32_e32 v12, 0xffff0000, v53
	v_and_b32_e32 v23, 0xffff0000, v54
	v_and_b32_e32 v22, 0xffff0000, v52
	v_add_f32_e32 v21, v21, v0
	v_and_b32_e32 v1, 0xffff0000, v60
	v_and_b32_e32 v0, 0xffff0000, v58
	v_and_b32_e32 v11, 0xffff0000, v59
	v_and_b32_e32 v10, 0xffff0000, v40
	v_pk_add_f32 v[12:13], v[22:23], v[12:13]
	v_pk_add_f32 v[0:1], v[10:11], v[0:1]
	v_add_f32_e32 v2, v12, v13
	v_add_f32_e32 v0, v2, v0
	v_add_f32_e32 v0, v0, v1
	v_and_b32_e32 v9, 0xffff0000, v62
	v_and_b32_e32 v8, 0xffff0000, v8
	v_and_b32_e32 v11, 0xffff0000, v61
	v_and_b32_e32 v10, 0xffff0000, v7
	v_add_f32_e32 v18, v18, v0
	v_and_b32_e32 v1, 0xffff0000, v41
	v_and_b32_e32 v0, 0xffff0000, v5
	;; [unrolled: 14-line block ×3, first 2 shown]
	v_and_b32_e32 v5, 0xffff0000, v37
	v_and_b32_e32 v4, 0xffff0000, v29
	v_pk_add_f32 v[2:3], v[8:9], v[6:7]
	v_pk_add_f32 v[0:1], v[4:5], v[0:1]
	v_add_f32_e32 v2, v2, v3
	v_add_f32_e32 v0, v2, v0
	;; [unrolled: 1-line block ×4, first 2 shown]
	buffer_load_dword v0, off, s[0:3], s32 offset:188 ; 4-byte Folded Reload
	v_add_co_u32_e64 v14, s[4:5], 8, v14
	v_add_u32_e32 v16, 2, v16
	v_addc_co_u32_e64 v15, s[4:5], 0, v15, s[4:5]
	v_add_u32_e32 v17, 64, v17
	v_add_u32_e32 v48, 0x100, v48
	s_waitcnt vmcnt(0)
	v_cmp_ge_i32_e64 s[4:5], v16, v0
	s_or_b64 s[22:23], s[4:5], s[22:23]
	s_andn2_b64 exec, exec, s[22:23]
	s_cbranch_execz .LBB399_1589
.LBB399_644:                            ; =>This Inner Loop Header: Depth=1
	flat_load_dword v12, v[14:15]
	ds_read2_b64 v[6:9], v48 offset1:1
	ds_read2_b64 v[0:3], v48 offset0:2 offset1:3
                                        ; implicit-def: $vgpr26
	s_waitcnt lgkmcnt(0)
	v_and_b32_e32 v4, 0x7f800000, v6
	v_cmp_ne_u32_e64 s[4:5], s9, v4
	s_and_saveexec_b64 s[6:7], s[4:5]
	s_xor_b64 s[4:5], exec, s[6:7]
; %bb.645:                              ;   in Loop: Header=BB399_644 Depth=1
	v_bfe_u32 v4, v6, 16, 1
	v_add3_u32 v26, v6, v4, s15
; %bb.646:                              ;   in Loop: Header=BB399_644 Depth=1
	s_andn2_saveexec_b64 s[6:7], s[4:5]
; %bb.647:                              ;   in Loop: Header=BB399_644 Depth=1
	v_or_b32_e32 v4, 0x10000, v6
	v_cmp_eq_u32_sdwa s[4:5], v6, v31 src0_sel:WORD_0 src1_sel:DWORD
	v_cndmask_b32_e64 v26, v4, v6, s[4:5]
; %bb.648:                              ;   in Loop: Header=BB399_644 Depth=1
	s_or_b64 exec, exec, s[6:7]
	v_and_b32_e32 v4, 0x7f800000, v7
	v_cmp_ne_u32_e64 s[4:5], s9, v4
                                        ; implicit-def: $vgpr23
	s_and_saveexec_b64 s[6:7], s[4:5]
	s_xor_b64 s[4:5], exec, s[6:7]
; %bb.649:                              ;   in Loop: Header=BB399_644 Depth=1
	v_bfe_u32 v4, v7, 16, 1
	v_add3_u32 v23, v7, v4, s15
; %bb.650:                              ;   in Loop: Header=BB399_644 Depth=1
	s_andn2_saveexec_b64 s[6:7], s[4:5]
; %bb.651:                              ;   in Loop: Header=BB399_644 Depth=1
	v_or_b32_e32 v4, 0x10000, v7
	v_cmp_eq_u32_sdwa s[4:5], v7, v31 src0_sel:WORD_0 src1_sel:DWORD
	v_cndmask_b32_e64 v23, v4, v7, s[4:5]
; %bb.652:                              ;   in Loop: Header=BB399_644 Depth=1
	s_or_b64 exec, exec, s[6:7]
	v_and_b32_e32 v4, 0x7f800000, v8
	v_cmp_ne_u32_e64 s[4:5], s9, v4
                                        ; implicit-def: $vgpr22
	s_and_saveexec_b64 s[6:7], s[4:5]
	s_xor_b64 s[4:5], exec, s[6:7]
; %bb.653:                              ;   in Loop: Header=BB399_644 Depth=1
	v_bfe_u32 v4, v8, 16, 1
	v_add3_u32 v22, v8, v4, s15
; %bb.654:                              ;   in Loop: Header=BB399_644 Depth=1
	s_andn2_saveexec_b64 s[6:7], s[4:5]
; %bb.655:                              ;   in Loop: Header=BB399_644 Depth=1
	v_or_b32_e32 v4, 0x10000, v8
	v_cmp_eq_u32_sdwa s[4:5], v8, v31 src0_sel:WORD_0 src1_sel:DWORD
	v_cndmask_b32_e64 v22, v4, v8, s[4:5]
; %bb.656:                              ;   in Loop: Header=BB399_644 Depth=1
	s_or_b64 exec, exec, s[6:7]
	v_and_b32_e32 v4, 0x7f800000, v9
	v_cmp_ne_u32_e64 s[4:5], s9, v4
                                        ; implicit-def: $vgpr11
	s_and_saveexec_b64 s[6:7], s[4:5]
	s_xor_b64 s[4:5], exec, s[6:7]
; %bb.657:                              ;   in Loop: Header=BB399_644 Depth=1
	v_bfe_u32 v4, v9, 16, 1
	v_add3_u32 v11, v9, v4, s15
                                        ; implicit-def: $vgpr6_vgpr7_vgpr8_vgpr9
; %bb.658:                              ;   in Loop: Header=BB399_644 Depth=1
	s_andn2_saveexec_b64 s[6:7], s[4:5]
; %bb.659:                              ;   in Loop: Header=BB399_644 Depth=1
	v_or_b32_e32 v4, 0x10000, v9
	v_cmp_eq_u32_sdwa s[4:5], v9, v31 src0_sel:WORD_0 src1_sel:DWORD
	v_cndmask_b32_e64 v11, v4, v9, s[4:5]
; %bb.660:                              ;   in Loop: Header=BB399_644 Depth=1
	s_or_b64 exec, exec, s[6:7]
	v_and_b32_e32 v4, 0x7f800000, v0
	v_cmp_ne_u32_e64 s[4:5], s9, v4
                                        ; implicit-def: $vgpr10
	s_and_saveexec_b64 s[6:7], s[4:5]
	s_xor_b64 s[4:5], exec, s[6:7]
; %bb.661:                              ;   in Loop: Header=BB399_644 Depth=1
	v_bfe_u32 v4, v0, 16, 1
	v_add3_u32 v10, v0, v4, s15
; %bb.662:                              ;   in Loop: Header=BB399_644 Depth=1
	s_andn2_saveexec_b64 s[6:7], s[4:5]
; %bb.663:                              ;   in Loop: Header=BB399_644 Depth=1
	v_or_b32_e32 v4, 0x10000, v0
	v_cmp_eq_u32_sdwa s[4:5], v0, v31 src0_sel:WORD_0 src1_sel:DWORD
	v_cndmask_b32_e64 v10, v4, v0, s[4:5]
; %bb.664:                              ;   in Loop: Header=BB399_644 Depth=1
	s_or_b64 exec, exec, s[6:7]
	v_and_b32_e32 v0, 0x7f800000, v1
	v_cmp_ne_u32_e64 s[4:5], s9, v0
                                        ; implicit-def: $vgpr9
	s_and_saveexec_b64 s[6:7], s[4:5]
	s_xor_b64 s[4:5], exec, s[6:7]
; %bb.665:                              ;   in Loop: Header=BB399_644 Depth=1
	v_bfe_u32 v0, v1, 16, 1
	v_add3_u32 v9, v1, v0, s15
; %bb.666:                              ;   in Loop: Header=BB399_644 Depth=1
	s_andn2_saveexec_b64 s[6:7], s[4:5]
; %bb.667:                              ;   in Loop: Header=BB399_644 Depth=1
	v_or_b32_e32 v0, 0x10000, v1
	v_cmp_eq_u32_sdwa s[4:5], v1, v31 src0_sel:WORD_0 src1_sel:DWORD
	v_cndmask_b32_e64 v9, v0, v1, s[4:5]
; %bb.668:                              ;   in Loop: Header=BB399_644 Depth=1
	s_or_b64 exec, exec, s[6:7]
	v_and_b32_e32 v0, 0x7f800000, v2
	v_cmp_ne_u32_e64 s[4:5], s9, v0
                                        ; implicit-def: $vgpr5
	s_and_saveexec_b64 s[6:7], s[4:5]
	s_xor_b64 s[4:5], exec, s[6:7]
; %bb.669:                              ;   in Loop: Header=BB399_644 Depth=1
	v_bfe_u32 v0, v2, 16, 1
	v_add3_u32 v5, v2, v0, s15
; %bb.670:                              ;   in Loop: Header=BB399_644 Depth=1
	s_andn2_saveexec_b64 s[6:7], s[4:5]
; %bb.671:                              ;   in Loop: Header=BB399_644 Depth=1
	v_or_b32_e32 v0, 0x10000, v2
	v_cmp_eq_u32_sdwa s[4:5], v2, v31 src0_sel:WORD_0 src1_sel:DWORD
	v_cndmask_b32_e64 v5, v0, v2, s[4:5]
; %bb.672:                              ;   in Loop: Header=BB399_644 Depth=1
	s_or_b64 exec, exec, s[6:7]
	v_and_b32_e32 v0, 0x7f800000, v3
	v_cmp_ne_u32_e64 s[4:5], s9, v0
                                        ; implicit-def: $vgpr4
	s_and_saveexec_b64 s[6:7], s[4:5]
	s_xor_b64 s[4:5], exec, s[6:7]
; %bb.673:                              ;   in Loop: Header=BB399_644 Depth=1
	v_bfe_u32 v0, v3, 16, 1
	v_add3_u32 v4, v3, v0, s15
                                        ; implicit-def: $vgpr0_vgpr1_vgpr2_vgpr3
; %bb.674:                              ;   in Loop: Header=BB399_644 Depth=1
	s_andn2_saveexec_b64 s[6:7], s[4:5]
; %bb.675:                              ;   in Loop: Header=BB399_644 Depth=1
	v_or_b32_e32 v0, 0x10000, v3
	v_cmp_eq_u32_sdwa s[4:5], v3, v31 src0_sel:WORD_0 src1_sel:DWORD
	v_cndmask_b32_e64 v4, v0, v3, s[4:5]
; %bb.676:                              ;   in Loop: Header=BB399_644 Depth=1
	s_or_b64 exec, exec, s[6:7]
	v_accvgpr_read_b32 v2, a14
	v_accvgpr_read_b32 v0, a6
	;; [unrolled: 1-line block ×3, first 2 shown]
	s_waitcnt vmcnt(0)
	v_mad_i64_i32 v[0:1], s[4:5], v12, v0, v[2:3]
	v_accvgpr_read_b32 v2, a16
	v_add_co_u32_e64 v2, s[4:5], v0, v2
	v_addc_co_u32_e64 v3, s[4:5], 0, v1, s[4:5]
	flat_load_dwordx2 v[6:7], v[2:3]
	v_mov_b32_e32 v8, 0
	s_waitcnt vmcnt(0) lgkmcnt(0)
	v_cmp_ne_u16_sdwa s[4:5], v6, v31 src0_sel:BYTE_0 src1_sel:DWORD
	s_and_saveexec_b64 s[6:7], s[4:5]
	s_cbranch_execz .LBB399_682
; %bb.677:                              ;   in Loop: Header=BB399_644 Depth=1
	v_cmp_ne_u16_sdwa s[4:5], v6, s19 src0_sel:BYTE_0 src1_sel:DWORD
	v_bfrev_b32_e32 v8, 1
	s_and_saveexec_b64 s[24:25], s[4:5]
	s_cbranch_execz .LBB399_681
; %bb.678:                              ;   in Loop: Header=BB399_644 Depth=1
	v_and_b32_e32 v12, 0x7f, v6
	v_cmp_ne_u32_e64 s[4:5], s34, v12
	v_mov_b32_e32 v8, 0x7f800001
	s_and_saveexec_b64 s[26:27], s[4:5]
	s_cbranch_execz .LBB399_680
; %bb.679:                              ;   in Loop: Header=BB399_644 Depth=1
	v_and_b32_e32 v8, 7, v6
	v_ffbh_u32_e32 v8, v8
	v_min_u32_e32 v8, 32, v8
	v_subrev_u32_e32 v27, 28, v8
	v_cmp_gt_u32_e64 s[4:5], 8, v12
	v_lshrrev_b32_e32 v13, 3, v12
	v_sub_u32_e32 v8, 29, v8
	v_cndmask_b32_e64 v12, 0, v27, s[4:5]
	v_cndmask_b32_e64 v8, v13, v8, s[4:5]
	v_lshlrev_b64 v[12:13], v12, v[6:7]
	v_lshlrev_b32_e32 v12, 20, v12
	v_lshlrev_b32_e32 v13, 24, v6
	v_bfrev_b32_e32 v27, 60
	v_and_b32_e32 v12, 0x700000, v12
	v_and_b32_e32 v13, 0x80000000, v13
	v_lshl_add_u32 v8, v8, 23, v27
	v_or3_b32 v8, v13, v8, v12
.LBB399_680:                            ;   in Loop: Header=BB399_644 Depth=1
	s_or_b64 exec, exec, s[26:27]
.LBB399_681:                            ;   in Loop: Header=BB399_644 Depth=1
	s_or_b64 exec, exec, s[24:25]
.LBB399_682:                            ;   in Loop: Header=BB399_644 Depth=1
	s_or_b64 exec, exec, s[6:7]
	v_mul_f32_e32 v8, v38, v8
	v_and_b32_e32 v12, 0x7f800000, v8
	v_cmp_ne_u32_e64 s[4:5], s9, v12
                                        ; implicit-def: $vgpr27
	s_and_saveexec_b64 s[6:7], s[4:5]
	s_xor_b64 s[4:5], exec, s[6:7]
; %bb.683:                              ;   in Loop: Header=BB399_644 Depth=1
	v_bfe_u32 v12, v8, 16, 1
	v_add3_u32 v27, v8, v12, s15
                                        ; implicit-def: $vgpr8
; %bb.684:                              ;   in Loop: Header=BB399_644 Depth=1
	s_andn2_saveexec_b64 s[6:7], s[4:5]
; %bb.685:                              ;   in Loop: Header=BB399_644 Depth=1
	v_or_b32_e32 v12, 0x10000, v8
	v_cmp_eq_u32_sdwa s[4:5], v8, v31 src0_sel:WORD_0 src1_sel:DWORD
	v_cndmask_b32_e64 v27, v12, v8, s[4:5]
; %bb.686:                              ;   in Loop: Header=BB399_644 Depth=1
	s_or_b64 exec, exec, s[6:7]
	v_lshrrev_b16_e32 v8, 8, v6
	v_cmp_ne_u16_e64 s[4:5], 0, v8
	v_mov_b32_e32 v12, 0
	s_and_saveexec_b64 s[6:7], s[4:5]
	s_cbranch_execz .LBB399_692
; %bb.687:                              ;   in Loop: Header=BB399_644 Depth=1
	v_cmp_ne_u16_e64 s[4:5], s19, v8
	v_bfrev_b32_e32 v12, 1
	s_and_saveexec_b64 s[24:25], s[4:5]
	s_cbranch_execz .LBB399_691
; %bb.688:                              ;   in Loop: Header=BB399_644 Depth=1
	v_and_b32_e32 v13, 0x7f, v8
	v_cmp_ne_u32_e64 s[4:5], s34, v13
	v_mov_b32_e32 v12, 0x7f800001
	s_and_saveexec_b64 s[26:27], s[4:5]
	s_cbranch_execz .LBB399_690
; %bb.689:                              ;   in Loop: Header=BB399_644 Depth=1
	v_and_b32_e32 v12, 7, v8
	v_ffbh_u32_e32 v28, v12
	v_min_u32_e32 v32, 32, v28
	v_subrev_u32_e32 v28, 28, v32
	v_lshlrev_b64 v[28:29], v28, v[8:9]
	v_lshrrev_b32_e32 v30, 3, v13
	v_sub_u32_e32 v8, 29, v32
	v_and_b32_e32 v28, 7, v28
	v_cmp_gt_u32_e64 s[4:5], 8, v13
	v_cndmask_b32_e64 v8, v30, v8, s[4:5]
	v_cndmask_b32_e64 v12, v12, v28, s[4:5]
	v_lshlrev_b32_e32 v13, 16, v6
	v_bfrev_b32_e32 v28, 60
	v_lshlrev_b32_e32 v12, 20, v12
	v_and_b32_e32 v13, 0x80000000, v13
	v_lshl_add_u32 v8, v8, 23, v28
	v_or3_b32 v12, v13, v8, v12
.LBB399_690:                            ;   in Loop: Header=BB399_644 Depth=1
	s_or_b64 exec, exec, s[26:27]
.LBB399_691:                            ;   in Loop: Header=BB399_644 Depth=1
	s_or_b64 exec, exec, s[24:25]
.LBB399_692:                            ;   in Loop: Header=BB399_644 Depth=1
	s_or_b64 exec, exec, s[6:7]
	v_mul_f32_e32 v8, v38, v12
	v_and_b32_e32 v12, 0x7f800000, v8
	v_cmp_ne_u32_e64 s[4:5], s9, v12
                                        ; implicit-def: $vgpr28
	s_and_saveexec_b64 s[6:7], s[4:5]
	s_xor_b64 s[4:5], exec, s[6:7]
; %bb.693:                              ;   in Loop: Header=BB399_644 Depth=1
	v_bfe_u32 v12, v8, 16, 1
	v_add3_u32 v28, v8, v12, s15
                                        ; implicit-def: $vgpr8
; %bb.694:                              ;   in Loop: Header=BB399_644 Depth=1
	s_andn2_saveexec_b64 s[6:7], s[4:5]
; %bb.695:                              ;   in Loop: Header=BB399_644 Depth=1
	v_or_b32_e32 v12, 0x10000, v8
	v_cmp_eq_u32_sdwa s[4:5], v8, v31 src0_sel:WORD_0 src1_sel:DWORD
	v_cndmask_b32_e64 v28, v12, v8, s[4:5]
; %bb.696:                              ;   in Loop: Header=BB399_644 Depth=1
	s_or_b64 exec, exec, s[6:7]
	v_lshrrev_b32_e32 v8, 16, v6
	v_cmp_ne_u16_sdwa s[4:5], v8, v31 src0_sel:BYTE_0 src1_sel:DWORD
	v_mov_b32_e32 v12, 0
	s_and_saveexec_b64 s[6:7], s[4:5]
	s_cbranch_execz .LBB399_702
; %bb.697:                              ;   in Loop: Header=BB399_644 Depth=1
	v_cmp_ne_u16_sdwa s[4:5], v8, s19 src0_sel:BYTE_0 src1_sel:DWORD
	v_bfrev_b32_e32 v12, 1
	s_and_saveexec_b64 s[24:25], s[4:5]
	s_cbranch_execz .LBB399_701
; %bb.698:                              ;   in Loop: Header=BB399_644 Depth=1
	v_bfe_u32 v13, v6, 16, 7
	v_cmp_ne_u32_e64 s[4:5], s34, v13
	v_mov_b32_e32 v12, 0x7f800001
	s_and_saveexec_b64 s[26:27], s[4:5]
	s_cbranch_execz .LBB399_700
; %bb.699:                              ;   in Loop: Header=BB399_644 Depth=1
	v_and_b32_e32 v12, 7, v8
	v_ffbh_u32_e32 v30, v12
	v_min_u32_e32 v30, 32, v30
	v_subrev_u32_e32 v32, 28, v30
	v_lshlrev_b64 v[34:35], v32, v[8:9]
	v_lshrrev_b32_e32 v29, 3, v13
	v_sub_u32_e32 v30, 29, v30
	v_and_b32_e32 v32, 7, v34
	v_cmp_gt_u32_e64 s[4:5], 8, v13
	v_cndmask_b32_e64 v13, v29, v30, s[4:5]
	v_cndmask_b32_e64 v12, v12, v32, s[4:5]
	v_lshlrev_b32_e32 v8, 24, v8
	v_bfrev_b32_e32 v29, 60
	v_lshlrev_b32_e32 v12, 20, v12
	v_and_b32_e32 v8, 0x80000000, v8
	v_lshl_add_u32 v13, v13, 23, v29
	v_or3_b32 v12, v8, v13, v12
.LBB399_700:                            ;   in Loop: Header=BB399_644 Depth=1
	s_or_b64 exec, exec, s[26:27]
.LBB399_701:                            ;   in Loop: Header=BB399_644 Depth=1
	s_or_b64 exec, exec, s[24:25]
.LBB399_702:                            ;   in Loop: Header=BB399_644 Depth=1
	s_or_b64 exec, exec, s[6:7]
	v_mul_f32_e32 v8, v38, v12
	v_and_b32_e32 v12, 0x7f800000, v8
	v_cmp_ne_u32_e64 s[4:5], s9, v12
                                        ; implicit-def: $vgpr12
	s_and_saveexec_b64 s[6:7], s[4:5]
	s_xor_b64 s[4:5], exec, s[6:7]
; %bb.703:                              ;   in Loop: Header=BB399_644 Depth=1
	v_bfe_u32 v12, v8, 16, 1
	v_add3_u32 v12, v8, v12, s15
                                        ; implicit-def: $vgpr8
; %bb.704:                              ;   in Loop: Header=BB399_644 Depth=1
	s_andn2_saveexec_b64 s[6:7], s[4:5]
; %bb.705:                              ;   in Loop: Header=BB399_644 Depth=1
	v_or_b32_e32 v12, 0x10000, v8
	v_cmp_eq_u32_sdwa s[4:5], v8, v31 src0_sel:WORD_0 src1_sel:DWORD
	v_cndmask_b32_e64 v12, v12, v8, s[4:5]
; %bb.706:                              ;   in Loop: Header=BB399_644 Depth=1
	s_or_b64 exec, exec, s[6:7]
	v_cmp_lt_u32_e64 s[4:5], s13, v6
	v_mov_b32_e32 v13, 0
	s_and_saveexec_b64 s[6:7], s[4:5]
	s_cbranch_execz .LBB399_712
; %bb.707:                              ;   in Loop: Header=BB399_644 Depth=1
	v_lshrrev_b32_e32 v8, 24, v6
	v_cmp_ne_u32_e64 s[4:5], s19, v8
	v_bfrev_b32_e32 v13, 1
	s_and_saveexec_b64 s[24:25], s[4:5]
	s_cbranch_execz .LBB399_711
; %bb.708:                              ;   in Loop: Header=BB399_644 Depth=1
	v_bfe_u32 v29, v6, 24, 7
	v_cmp_ne_u32_e64 s[4:5], s34, v29
	v_mov_b32_e32 v13, 0x7f800001
	s_and_saveexec_b64 s[26:27], s[4:5]
	s_cbranch_execz .LBB399_710
; %bb.709:                              ;   in Loop: Header=BB399_644 Depth=1
	v_and_b32_e32 v13, 7, v8
	v_ffbh_u32_e32 v32, v13
	v_min_u32_e32 v32, 32, v32
	v_subrev_u32_e32 v34, 28, v32
	v_lshlrev_b64 v[34:35], v34, v[8:9]
	v_lshrrev_b32_e32 v30, 3, v29
	v_sub_u32_e32 v32, 29, v32
	v_and_b32_e32 v34, 7, v34
	v_cmp_gt_u32_e64 s[4:5], 8, v29
	v_cndmask_b32_e64 v29, v30, v32, s[4:5]
	v_cndmask_b32_e64 v13, v13, v34, s[4:5]
	v_lshlrev_b32_e32 v8, 24, v8
	v_bfrev_b32_e32 v30, 60
	v_lshlrev_b32_e32 v13, 20, v13
	v_and_b32_e32 v8, 0x80000000, v8
	v_lshl_add_u32 v29, v29, 23, v30
	v_or3_b32 v13, v8, v29, v13
.LBB399_710:                            ;   in Loop: Header=BB399_644 Depth=1
	s_or_b64 exec, exec, s[26:27]
.LBB399_711:                            ;   in Loop: Header=BB399_644 Depth=1
	s_or_b64 exec, exec, s[24:25]
.LBB399_712:                            ;   in Loop: Header=BB399_644 Depth=1
	s_or_b64 exec, exec, s[6:7]
	v_mul_f32_e32 v8, v38, v13
	v_and_b32_e32 v13, 0x7f800000, v8
	v_cmp_ne_u32_e64 s[4:5], s9, v13
                                        ; implicit-def: $vgpr13
	s_and_saveexec_b64 s[6:7], s[4:5]
	s_xor_b64 s[4:5], exec, s[6:7]
; %bb.713:                              ;   in Loop: Header=BB399_644 Depth=1
	v_bfe_u32 v13, v8, 16, 1
	v_add3_u32 v13, v8, v13, s15
                                        ; implicit-def: $vgpr8
; %bb.714:                              ;   in Loop: Header=BB399_644 Depth=1
	s_andn2_saveexec_b64 s[6:7], s[4:5]
; %bb.715:                              ;   in Loop: Header=BB399_644 Depth=1
	v_or_b32_e32 v13, 0x10000, v8
	v_cmp_eq_u32_sdwa s[4:5], v8, v31 src0_sel:WORD_0 src1_sel:DWORD
	v_cndmask_b32_e64 v13, v13, v8, s[4:5]
; %bb.716:                              ;   in Loop: Header=BB399_644 Depth=1
	s_or_b64 exec, exec, s[6:7]
	v_mov_b32_e32 v30, v7
	v_cmp_ne_u16_sdwa s[4:5], v7, v31 src0_sel:BYTE_0 src1_sel:DWORD
	v_mov_b32_e32 v8, 0
	s_and_saveexec_b64 s[6:7], s[4:5]
	s_cbranch_execz .LBB399_722
; %bb.717:                              ;   in Loop: Header=BB399_644 Depth=1
	v_cmp_ne_u16_sdwa s[4:5], v7, s19 src0_sel:BYTE_0 src1_sel:DWORD
	v_bfrev_b32_e32 v8, 1
	s_and_saveexec_b64 s[24:25], s[4:5]
	s_cbranch_execz .LBB399_721
; %bb.718:                              ;   in Loop: Header=BB399_644 Depth=1
	v_and_b32_e32 v29, 0x7f, v7
	v_cmp_ne_u32_e64 s[4:5], s34, v29
	v_mov_b32_e32 v8, 0x7f800001
	s_and_saveexec_b64 s[26:27], s[4:5]
	s_cbranch_execz .LBB399_720
; %bb.719:                              ;   in Loop: Header=BB399_644 Depth=1
	v_and_b32_e32 v8, 7, v7
	v_ffbh_u32_e32 v8, v8
	v_min_u32_e32 v8, 32, v8
	v_subrev_u32_e32 v34, 28, v8
	v_cmp_gt_u32_e64 s[4:5], 8, v29
	v_lshrrev_b32_e32 v32, 3, v29
	v_cndmask_b32_e64 v29, 0, v34, s[4:5]
	v_sub_u32_e32 v8, 29, v8
	v_lshlrev_b64 v[34:35], v29, v[30:31]
	v_cndmask_b32_e64 v8, v32, v8, s[4:5]
	v_lshlrev_b32_e32 v29, 20, v34
	v_lshlrev_b32_e32 v32, 24, v30
	v_bfrev_b32_e32 v34, 60
	v_and_b32_e32 v29, 0x700000, v29
	v_and_b32_e32 v32, 0x80000000, v32
	v_lshl_add_u32 v8, v8, 23, v34
	v_or3_b32 v8, v32, v8, v29
.LBB399_720:                            ;   in Loop: Header=BB399_644 Depth=1
	s_or_b64 exec, exec, s[26:27]
.LBB399_721:                            ;   in Loop: Header=BB399_644 Depth=1
	s_or_b64 exec, exec, s[24:25]
.LBB399_722:                            ;   in Loop: Header=BB399_644 Depth=1
	s_or_b64 exec, exec, s[6:7]
	v_mul_f32_e32 v8, v38, v8
	v_and_b32_e32 v29, 0x7f800000, v8
	v_cmp_ne_u32_e64 s[4:5], s9, v29
                                        ; implicit-def: $vgpr29
	s_and_saveexec_b64 s[6:7], s[4:5]
	s_xor_b64 s[4:5], exec, s[6:7]
; %bb.723:                              ;   in Loop: Header=BB399_644 Depth=1
	v_bfe_u32 v29, v8, 16, 1
	v_add3_u32 v29, v8, v29, s15
                                        ; implicit-def: $vgpr8
; %bb.724:                              ;   in Loop: Header=BB399_644 Depth=1
	s_andn2_saveexec_b64 s[6:7], s[4:5]
; %bb.725:                              ;   in Loop: Header=BB399_644 Depth=1
	v_or_b32_e32 v29, 0x10000, v8
	v_cmp_eq_u32_sdwa s[4:5], v8, v31 src0_sel:WORD_0 src1_sel:DWORD
	v_cndmask_b32_e64 v29, v29, v8, s[4:5]
; %bb.726:                              ;   in Loop: Header=BB399_644 Depth=1
	s_or_b64 exec, exec, s[6:7]
	v_lshrrev_b16_e32 v8, 8, v30
	v_cmp_ne_u16_e64 s[4:5], 0, v8
	v_mov_b32_e32 v32, 0
	s_and_saveexec_b64 s[6:7], s[4:5]
	s_cbranch_execz .LBB399_732
; %bb.727:                              ;   in Loop: Header=BB399_644 Depth=1
	v_cmp_ne_u16_e64 s[4:5], s19, v8
	v_bfrev_b32_e32 v32, 1
	s_and_saveexec_b64 s[24:25], s[4:5]
	s_cbranch_execz .LBB399_731
; %bb.728:                              ;   in Loop: Header=BB399_644 Depth=1
	v_and_b32_e32 v34, 0x7f, v8
	v_cmp_ne_u32_e64 s[4:5], s34, v34
	v_mov_b32_e32 v32, 0x7f800001
	s_and_saveexec_b64 s[26:27], s[4:5]
	s_cbranch_execz .LBB399_730
; %bb.729:                              ;   in Loop: Header=BB399_644 Depth=1
	v_and_b32_e32 v32, 7, v8
	v_ffbh_u32_e32 v36, v32
	v_min_u32_e32 v39, 32, v36
	v_subrev_u32_e32 v36, 28, v39
	v_lshlrev_b64 v[36:37], v36, v[8:9]
	v_lshrrev_b32_e32 v35, 3, v34
	v_sub_u32_e32 v8, 29, v39
	v_and_b32_e32 v36, 7, v36
	v_cmp_gt_u32_e64 s[4:5], 8, v34
	v_cndmask_b32_e64 v8, v35, v8, s[4:5]
	v_cndmask_b32_e64 v32, v32, v36, s[4:5]
	v_lshlrev_b32_e32 v30, 16, v30
	v_bfrev_b32_e32 v34, 60
	v_lshlrev_b32_e32 v32, 20, v32
	v_and_b32_e32 v30, 0x80000000, v30
	v_lshl_add_u32 v8, v8, 23, v34
	v_or3_b32 v32, v30, v8, v32
.LBB399_730:                            ;   in Loop: Header=BB399_644 Depth=1
	s_or_b64 exec, exec, s[26:27]
.LBB399_731:                            ;   in Loop: Header=BB399_644 Depth=1
	s_or_b64 exec, exec, s[24:25]
.LBB399_732:                            ;   in Loop: Header=BB399_644 Depth=1
	s_or_b64 exec, exec, s[6:7]
	v_mul_f32_e32 v8, v38, v32
	v_and_b32_e32 v30, 0x7f800000, v8
	v_cmp_ne_u32_e64 s[4:5], s9, v30
                                        ; implicit-def: $vgpr30
	s_and_saveexec_b64 s[6:7], s[4:5]
	s_xor_b64 s[4:5], exec, s[6:7]
; %bb.733:                              ;   in Loop: Header=BB399_644 Depth=1
	v_bfe_u32 v30, v8, 16, 1
	v_add3_u32 v30, v8, v30, s15
                                        ; implicit-def: $vgpr8
; %bb.734:                              ;   in Loop: Header=BB399_644 Depth=1
	s_andn2_saveexec_b64 s[6:7], s[4:5]
; %bb.735:                              ;   in Loop: Header=BB399_644 Depth=1
	v_or_b32_e32 v30, 0x10000, v8
	v_cmp_eq_u32_sdwa s[4:5], v8, v31 src0_sel:WORD_0 src1_sel:DWORD
	v_cndmask_b32_e64 v30, v30, v8, s[4:5]
; %bb.736:                              ;   in Loop: Header=BB399_644 Depth=1
	s_or_b64 exec, exec, s[6:7]
	v_lshrrev_b32_e32 v8, 16, v7
	v_cmp_ne_u16_sdwa s[4:5], v8, v31 src0_sel:BYTE_0 src1_sel:DWORD
	v_mov_b32_e32 v32, 0
	s_and_saveexec_b64 s[6:7], s[4:5]
	s_cbranch_execz .LBB399_742
; %bb.737:                              ;   in Loop: Header=BB399_644 Depth=1
	v_cmp_ne_u16_sdwa s[4:5], v8, s19 src0_sel:BYTE_0 src1_sel:DWORD
	v_bfrev_b32_e32 v32, 1
	s_and_saveexec_b64 s[24:25], s[4:5]
	s_cbranch_execz .LBB399_741
; %bb.738:                              ;   in Loop: Header=BB399_644 Depth=1
	v_bfe_u32 v34, v7, 16, 7
	v_cmp_ne_u32_e64 s[4:5], s34, v34
	v_mov_b32_e32 v32, 0x7f800001
	s_and_saveexec_b64 s[26:27], s[4:5]
	s_cbranch_execz .LBB399_740
; %bb.739:                              ;   in Loop: Header=BB399_644 Depth=1
	v_and_b32_e32 v32, 7, v8
	v_ffbh_u32_e32 v36, v32
	v_min_u32_e32 v39, 32, v36
	v_subrev_u32_e32 v36, 28, v39
	v_lshlrev_b64 v[36:37], v36, v[8:9]
	v_lshrrev_b32_e32 v35, 3, v34
	v_sub_u32_e32 v37, 29, v39
	v_and_b32_e32 v36, 7, v36
	v_cmp_gt_u32_e64 s[4:5], 8, v34
	v_cndmask_b32_e64 v34, v35, v37, s[4:5]
	v_cndmask_b32_e64 v32, v32, v36, s[4:5]
	v_lshlrev_b32_e32 v8, 24, v8
	v_bfrev_b32_e32 v35, 60
	v_lshlrev_b32_e32 v32, 20, v32
	v_and_b32_e32 v8, 0x80000000, v8
	v_lshl_add_u32 v34, v34, 23, v35
	v_or3_b32 v32, v8, v34, v32
.LBB399_740:                            ;   in Loop: Header=BB399_644 Depth=1
	s_or_b64 exec, exec, s[26:27]
.LBB399_741:                            ;   in Loop: Header=BB399_644 Depth=1
	s_or_b64 exec, exec, s[24:25]
.LBB399_742:                            ;   in Loop: Header=BB399_644 Depth=1
	s_or_b64 exec, exec, s[6:7]
	v_mul_f32_e32 v8, v38, v32
	v_and_b32_e32 v32, 0x7f800000, v8
	v_cmp_ne_u32_e64 s[4:5], s9, v32
                                        ; implicit-def: $vgpr32
	s_and_saveexec_b64 s[6:7], s[4:5]
	s_xor_b64 s[4:5], exec, s[6:7]
; %bb.743:                              ;   in Loop: Header=BB399_644 Depth=1
	v_bfe_u32 v32, v8, 16, 1
	v_add3_u32 v32, v8, v32, s15
                                        ; implicit-def: $vgpr8
; %bb.744:                              ;   in Loop: Header=BB399_644 Depth=1
	s_andn2_saveexec_b64 s[6:7], s[4:5]
; %bb.745:                              ;   in Loop: Header=BB399_644 Depth=1
	v_or_b32_e32 v32, 0x10000, v8
	v_cmp_eq_u32_sdwa s[4:5], v8, v31 src0_sel:WORD_0 src1_sel:DWORD
	v_cndmask_b32_e64 v32, v32, v8, s[4:5]
; %bb.746:                              ;   in Loop: Header=BB399_644 Depth=1
	s_or_b64 exec, exec, s[6:7]
	v_cmp_lt_u64_e64 s[4:5], s[12:13], v[6:7]
	v_mov_b32_e32 v8, 0
	s_and_saveexec_b64 s[6:7], s[4:5]
	s_cbranch_execz .LBB399_752
; %bb.747:                              ;   in Loop: Header=BB399_644 Depth=1
	v_lshrrev_b32_e32 v6, 24, v7
	v_cmp_ne_u32_e64 s[4:5], s19, v6
	v_bfrev_b32_e32 v8, 1
	s_and_saveexec_b64 s[24:25], s[4:5]
	s_cbranch_execz .LBB399_751
; %bb.748:                              ;   in Loop: Header=BB399_644 Depth=1
	v_bfe_u32 v7, v7, 24, 7
	v_cmp_ne_u32_e64 s[4:5], s34, v7
	v_mov_b32_e32 v8, 0x7f800001
	s_and_saveexec_b64 s[26:27], s[4:5]
	s_cbranch_execz .LBB399_750
; %bb.749:                              ;   in Loop: Header=BB399_644 Depth=1
	v_and_b32_e32 v8, 7, v6
	v_ffbh_u32_e32 v34, v8
	v_min_u32_e32 v37, 32, v34
	v_subrev_u32_e32 v34, 28, v37
	v_lshlrev_b64 v[34:35], v34, v[6:7]
	v_lshrrev_b32_e32 v36, 3, v7
	v_sub_u32_e32 v35, 29, v37
	v_and_b32_e32 v34, 7, v34
	v_cmp_gt_u32_e64 s[4:5], 8, v7
	v_cndmask_b32_e64 v7, v36, v35, s[4:5]
	v_cndmask_b32_e64 v8, v8, v34, s[4:5]
	v_lshlrev_b32_e32 v6, 24, v6
	v_bfrev_b32_e32 v34, 60
	v_lshlrev_b32_e32 v8, 20, v8
	v_and_b32_e32 v6, 0x80000000, v6
	v_lshl_add_u32 v7, v7, 23, v34
	v_or3_b32 v8, v6, v7, v8
.LBB399_750:                            ;   in Loop: Header=BB399_644 Depth=1
	s_or_b64 exec, exec, s[26:27]
.LBB399_751:                            ;   in Loop: Header=BB399_644 Depth=1
	s_or_b64 exec, exec, s[24:25]
.LBB399_752:                            ;   in Loop: Header=BB399_644 Depth=1
	s_or_b64 exec, exec, s[6:7]
	v_mul_f32_e32 v7, v38, v8
	v_and_b32_e32 v6, 0x7f800000, v7
	v_cmp_ne_u32_e64 s[4:5], s9, v6
                                        ; implicit-def: $vgpr6
	s_and_saveexec_b64 s[6:7], s[4:5]
	s_xor_b64 s[4:5], exec, s[6:7]
; %bb.753:                              ;   in Loop: Header=BB399_644 Depth=1
	v_bfe_u32 v6, v7, 16, 1
	v_add3_u32 v6, v7, v6, s15
                                        ; implicit-def: $vgpr7
; %bb.754:                              ;   in Loop: Header=BB399_644 Depth=1
	s_andn2_saveexec_b64 s[6:7], s[4:5]
; %bb.755:                              ;   in Loop: Header=BB399_644 Depth=1
	v_or_b32_e32 v6, 0x10000, v7
	v_cmp_eq_u32_sdwa s[4:5], v7, v31 src0_sel:WORD_0 src1_sel:DWORD
	v_cndmask_b32_e64 v6, v6, v7, s[4:5]
; %bb.756:                              ;   in Loop: Header=BB399_644 Depth=1
	s_or_b64 exec, exec, s[6:7]
	v_accvgpr_read_b32 v7, a11
	v_cmp_eq_u32_e64 s[4:5], v7, v16
	v_add_u32_e32 v7, -7, v17
	v_accvgpr_write_b32 a26, v7
	v_lshrrev_b32_e32 v8, 16, v30
	v_lshrrev_b32_e32 v29, 16, v29
	;; [unrolled: 1-line block ×8, first 2 shown]
	s_and_saveexec_b64 s[24:25], s[4:5]
	s_cbranch_execz .LBB399_758
; %bb.757:                              ;   in Loop: Header=BB399_644 Depth=1
	v_accvgpr_read_b32 v30, a26
	v_cmp_lt_i32_e64 s[6:7], v30, v33
	v_add_u32_e32 v30, -6, v17
	v_cndmask_b32_e64 v27, 0, v27, s[6:7]
	v_cmp_lt_i32_e64 s[6:7], v30, v33
	v_add_u32_e32 v30, -5, v17
	v_cndmask_b32_e64 v28, 0, v28, s[6:7]
	;; [unrolled: 3-line block ×6, first 2 shown]
	v_cmp_lt_i32_e64 s[6:7], v30, v33
	v_cndmask_b32_e64 v7, 0, v7, s[6:7]
	v_cmp_lt_i32_e64 s[6:7], v17, v33
	v_cndmask_b32_e64 v6, 0, v6, s[6:7]
.LBB399_758:                            ;   in Loop: Header=BB399_644 Depth=1
	s_or_b64 exec, exec, s[24:25]
	v_and_b32_e32 v42, 0xffff0000, v26
	v_lshlrev_b32_e32 v26, 16, v27
	v_mul_f32_e32 v26, v42, v26
	v_and_b32_e32 v27, 0x7f800000, v26
	v_cmp_ne_u32_e64 s[6:7], s9, v27
                                        ; implicit-def: $agpr17
	s_and_saveexec_b64 s[24:25], s[6:7]
	s_xor_b64 s[6:7], exec, s[24:25]
; %bb.759:                              ;   in Loop: Header=BB399_644 Depth=1
	v_bfe_u32 v27, v26, 16, 1
	v_add3_u32 v26, v26, v27, s15
	v_accvgpr_write_b32 a17, v26
                                        ; implicit-def: $vgpr26
; %bb.760:                              ;   in Loop: Header=BB399_644 Depth=1
	s_andn2_saveexec_b64 s[24:25], s[6:7]
; %bb.761:                              ;   in Loop: Header=BB399_644 Depth=1
	v_or_b32_e32 v27, 0x10000, v26
	v_cmp_eq_u32_sdwa s[6:7], v26, v31 src0_sel:WORD_0 src1_sel:DWORD
	v_cndmask_b32_e64 v26, v27, v26, s[6:7]
	v_accvgpr_write_b32 a17, v26
; %bb.762:                              ;   in Loop: Header=BB399_644 Depth=1
	s_or_b64 exec, exec, s[24:25]
	v_and_b32_e32 v43, 0xffff0000, v23
	v_lshlrev_b32_e32 v23, 16, v28
	v_mul_f32_e32 v23, v43, v23
	v_and_b32_e32 v26, 0x7f800000, v23
	v_cmp_ne_u32_e64 s[6:7], s9, v26
                                        ; implicit-def: $agpr19
	s_and_saveexec_b64 s[24:25], s[6:7]
	s_xor_b64 s[6:7], exec, s[24:25]
; %bb.763:                              ;   in Loop: Header=BB399_644 Depth=1
	v_bfe_u32 v26, v23, 16, 1
	v_add3_u32 v23, v23, v26, s15
	v_accvgpr_write_b32 a19, v23
                                        ; implicit-def: $vgpr23
; %bb.764:                              ;   in Loop: Header=BB399_644 Depth=1
	s_andn2_saveexec_b64 s[24:25], s[6:7]
; %bb.765:                              ;   in Loop: Header=BB399_644 Depth=1
	v_or_b32_e32 v26, 0x10000, v23
	v_cmp_eq_u32_sdwa s[6:7], v23, v31 src0_sel:WORD_0 src1_sel:DWORD
	v_cndmask_b32_e64 v23, v26, v23, s[6:7]
	v_accvgpr_write_b32 a19, v23
; %bb.766:                              ;   in Loop: Header=BB399_644 Depth=1
	s_or_b64 exec, exec, s[24:25]
	v_and_b32_e32 v44, 0xffff0000, v22
	v_lshlrev_b32_e32 v12, 16, v12
	v_mul_f32_e32 v12, v44, v12
	v_and_b32_e32 v22, 0x7f800000, v12
	v_cmp_ne_u32_e64 s[6:7], s9, v22
                                        ; implicit-def: $agpr20
	s_and_saveexec_b64 s[24:25], s[6:7]
	s_xor_b64 s[6:7], exec, s[24:25]
; %bb.767:                              ;   in Loop: Header=BB399_644 Depth=1
	v_bfe_u32 v22, v12, 16, 1
	v_add3_u32 v12, v12, v22, s15
	v_accvgpr_write_b32 a20, v12
                                        ; implicit-def: $vgpr12
; %bb.768:                              ;   in Loop: Header=BB399_644 Depth=1
	s_andn2_saveexec_b64 s[24:25], s[6:7]
; %bb.769:                              ;   in Loop: Header=BB399_644 Depth=1
	v_or_b32_e32 v22, 0x10000, v12
	v_cmp_eq_u32_sdwa s[6:7], v12, v31 src0_sel:WORD_0 src1_sel:DWORD
	v_cndmask_b32_e64 v12, v22, v12, s[6:7]
	v_accvgpr_write_b32 a20, v12
; %bb.770:                              ;   in Loop: Header=BB399_644 Depth=1
	s_or_b64 exec, exec, s[24:25]
	v_and_b32_e32 v45, 0xffff0000, v11
	v_lshlrev_b32_e32 v11, 16, v13
	v_mul_f32_e32 v11, v45, v11
	v_and_b32_e32 v12, 0x7f800000, v11
	v_cmp_ne_u32_e64 s[6:7], s9, v12
                                        ; implicit-def: $agpr21
	s_and_saveexec_b64 s[24:25], s[6:7]
	s_xor_b64 s[6:7], exec, s[24:25]
; %bb.771:                              ;   in Loop: Header=BB399_644 Depth=1
	v_bfe_u32 v12, v11, 16, 1
	v_add3_u32 v11, v11, v12, s15
	v_accvgpr_write_b32 a21, v11
                                        ; implicit-def: $vgpr11
; %bb.772:                              ;   in Loop: Header=BB399_644 Depth=1
	s_andn2_saveexec_b64 s[24:25], s[6:7]
; %bb.773:                              ;   in Loop: Header=BB399_644 Depth=1
	v_or_b32_e32 v12, 0x10000, v11
	v_cmp_eq_u32_sdwa s[6:7], v11, v31 src0_sel:WORD_0 src1_sel:DWORD
	v_cndmask_b32_e64 v11, v12, v11, s[6:7]
	v_accvgpr_write_b32 a21, v11
; %bb.774:                              ;   in Loop: Header=BB399_644 Depth=1
	s_or_b64 exec, exec, s[24:25]
	v_and_b32_e32 v46, 0xffff0000, v10
	v_lshlrev_b32_e32 v10, 16, v29
	v_mul_f32_e32 v10, v46, v10
	v_and_b32_e32 v11, 0x7f800000, v10
	v_cmp_ne_u32_e64 s[6:7], s9, v11
                                        ; implicit-def: $agpr22
	s_and_saveexec_b64 s[24:25], s[6:7]
	s_xor_b64 s[6:7], exec, s[24:25]
; %bb.775:                              ;   in Loop: Header=BB399_644 Depth=1
	v_bfe_u32 v11, v10, 16, 1
	v_add3_u32 v10, v10, v11, s15
	v_accvgpr_write_b32 a22, v10
                                        ; implicit-def: $vgpr10
; %bb.776:                              ;   in Loop: Header=BB399_644 Depth=1
	s_andn2_saveexec_b64 s[24:25], s[6:7]
; %bb.777:                              ;   in Loop: Header=BB399_644 Depth=1
	v_or_b32_e32 v11, 0x10000, v10
	v_cmp_eq_u32_sdwa s[6:7], v10, v31 src0_sel:WORD_0 src1_sel:DWORD
	v_cndmask_b32_e64 v10, v11, v10, s[6:7]
	v_accvgpr_write_b32 a22, v10
; %bb.778:                              ;   in Loop: Header=BB399_644 Depth=1
	s_or_b64 exec, exec, s[24:25]
	v_and_b32_e32 v47, 0xffff0000, v9
	v_lshlrev_b32_e32 v8, 16, v8
	v_mul_f32_e32 v8, v47, v8
	v_and_b32_e32 v9, 0x7f800000, v8
	v_cmp_ne_u32_e64 s[6:7], s9, v9
                                        ; implicit-def: $agpr23
	s_and_saveexec_b64 s[24:25], s[6:7]
	s_xor_b64 s[6:7], exec, s[24:25]
; %bb.779:                              ;   in Loop: Header=BB399_644 Depth=1
	v_bfe_u32 v9, v8, 16, 1
	v_add3_u32 v8, v8, v9, s15
	v_accvgpr_write_b32 a23, v8
                                        ; implicit-def: $vgpr8
; %bb.780:                              ;   in Loop: Header=BB399_644 Depth=1
	s_andn2_saveexec_b64 s[24:25], s[6:7]
; %bb.781:                              ;   in Loop: Header=BB399_644 Depth=1
	v_or_b32_e32 v9, 0x10000, v8
	v_cmp_eq_u32_sdwa s[6:7], v8, v31 src0_sel:WORD_0 src1_sel:DWORD
	v_cndmask_b32_e64 v8, v9, v8, s[6:7]
	v_accvgpr_write_b32 a23, v8
; %bb.782:                              ;   in Loop: Header=BB399_644 Depth=1
	s_or_b64 exec, exec, s[24:25]
	v_and_b32_e32 v56, 0xffff0000, v5
	v_lshlrev_b32_e32 v5, 16, v7
	v_mul_f32_e32 v5, v56, v5
	v_and_b32_e32 v7, 0x7f800000, v5
	v_cmp_ne_u32_e64 s[6:7], s9, v7
                                        ; implicit-def: $agpr24
	s_and_saveexec_b64 s[24:25], s[6:7]
	s_xor_b64 s[6:7], exec, s[24:25]
; %bb.783:                              ;   in Loop: Header=BB399_644 Depth=1
	v_bfe_u32 v7, v5, 16, 1
	v_add3_u32 v5, v5, v7, s15
	v_accvgpr_write_b32 a24, v5
                                        ; implicit-def: $vgpr5
; %bb.784:                              ;   in Loop: Header=BB399_644 Depth=1
	s_andn2_saveexec_b64 s[24:25], s[6:7]
; %bb.785:                              ;   in Loop: Header=BB399_644 Depth=1
	v_or_b32_e32 v7, 0x10000, v5
	v_cmp_eq_u32_sdwa s[6:7], v5, v31 src0_sel:WORD_0 src1_sel:DWORD
	v_cndmask_b32_e64 v5, v7, v5, s[6:7]
	v_accvgpr_write_b32 a24, v5
; %bb.786:                              ;   in Loop: Header=BB399_644 Depth=1
	s_or_b64 exec, exec, s[24:25]
	v_and_b32_e32 v57, 0xffff0000, v4
	v_lshlrev_b32_e32 v4, 16, v6
	v_mul_f32_e32 v4, v57, v4
	v_and_b32_e32 v5, 0x7f800000, v4
	v_cmp_ne_u32_e64 s[6:7], s9, v5
                                        ; implicit-def: $agpr25
	s_and_saveexec_b64 s[24:25], s[6:7]
	s_xor_b64 s[6:7], exec, s[24:25]
; %bb.787:                              ;   in Loop: Header=BB399_644 Depth=1
	v_bfe_u32 v5, v4, 16, 1
	v_add3_u32 v4, v4, v5, s15
	v_accvgpr_write_b32 a25, v4
                                        ; implicit-def: $vgpr4
; %bb.788:                              ;   in Loop: Header=BB399_644 Depth=1
	s_andn2_saveexec_b64 s[24:25], s[6:7]
; %bb.789:                              ;   in Loop: Header=BB399_644 Depth=1
	v_or_b32_e32 v5, 0x10000, v4
	v_cmp_eq_u32_sdwa s[6:7], v4, v31 src0_sel:WORD_0 src1_sel:DWORD
	v_cndmask_b32_e64 v4, v5, v4, s[6:7]
	v_accvgpr_write_b32 a25, v4
; %bb.790:                              ;   in Loop: Header=BB399_644 Depth=1
	s_or_b64 exec, exec, s[24:25]
	flat_load_dwordx2 v[6:7], v[2:3] offset:512
	v_mov_b32_e32 v4, 0
	s_waitcnt vmcnt(0) lgkmcnt(0)
	v_cmp_ne_u16_sdwa s[6:7], v6, v31 src0_sel:BYTE_0 src1_sel:DWORD
	s_and_saveexec_b64 s[24:25], s[6:7]
	s_cbranch_execz .LBB399_796
; %bb.791:                              ;   in Loop: Header=BB399_644 Depth=1
	v_cmp_ne_u16_sdwa s[6:7], v6, s19 src0_sel:BYTE_0 src1_sel:DWORD
	v_bfrev_b32_e32 v4, 1
	s_and_saveexec_b64 s[26:27], s[6:7]
	s_cbranch_execz .LBB399_795
; %bb.792:                              ;   in Loop: Header=BB399_644 Depth=1
	v_and_b32_e32 v5, 0x7f, v6
	v_cmp_ne_u32_e64 s[6:7], s34, v5
	v_mov_b32_e32 v4, 0x7f800001
	s_and_saveexec_b64 s[28:29], s[6:7]
	s_cbranch_execz .LBB399_794
; %bb.793:                              ;   in Loop: Header=BB399_644 Depth=1
	v_and_b32_e32 v4, 7, v6
	v_ffbh_u32_e32 v4, v4
	v_min_u32_e32 v4, 32, v4
	v_lshrrev_b32_e32 v8, 3, v5
	v_subrev_u32_e32 v9, 28, v4
	v_sub_u32_e32 v4, 29, v4
	v_cmp_gt_u32_e64 s[6:7], 8, v5
	v_cndmask_b32_e64 v8, v8, v4, s[6:7]
	v_cndmask_b32_e64 v4, 0, v9, s[6:7]
	v_lshlrev_b64 v[4:5], v4, v[6:7]
	v_lshlrev_b32_e32 v4, 20, v4
	v_lshlrev_b32_e32 v5, 24, v6
	v_bfrev_b32_e32 v9, 60
	v_and_b32_e32 v4, 0x700000, v4
	v_and_b32_e32 v5, 0x80000000, v5
	v_lshl_add_u32 v8, v8, 23, v9
	v_or3_b32 v4, v5, v8, v4
.LBB399_794:                            ;   in Loop: Header=BB399_644 Depth=1
	s_or_b64 exec, exec, s[28:29]
.LBB399_795:                            ;   in Loop: Header=BB399_644 Depth=1
	s_or_b64 exec, exec, s[26:27]
.LBB399_796:                            ;   in Loop: Header=BB399_644 Depth=1
	s_or_b64 exec, exec, s[24:25]
	v_mul_f32_e32 v5, v38, v4
	v_and_b32_e32 v4, 0x7f800000, v5
	v_cmp_ne_u32_e64 s[6:7], s9, v4
                                        ; implicit-def: $vgpr4
	s_and_saveexec_b64 s[24:25], s[6:7]
	s_xor_b64 s[6:7], exec, s[24:25]
; %bb.797:                              ;   in Loop: Header=BB399_644 Depth=1
	v_bfe_u32 v4, v5, 16, 1
	v_add3_u32 v4, v5, v4, s15
                                        ; implicit-def: $vgpr5
; %bb.798:                              ;   in Loop: Header=BB399_644 Depth=1
	s_andn2_saveexec_b64 s[24:25], s[6:7]
; %bb.799:                              ;   in Loop: Header=BB399_644 Depth=1
	v_or_b32_e32 v4, 0x10000, v5
	v_cmp_eq_u32_sdwa s[6:7], v5, v31 src0_sel:WORD_0 src1_sel:DWORD
	v_cndmask_b32_e64 v4, v4, v5, s[6:7]
; %bb.800:                              ;   in Loop: Header=BB399_644 Depth=1
	s_or_b64 exec, exec, s[24:25]
	v_lshrrev_b16_e32 v8, 8, v6
	v_cmp_ne_u16_e64 s[6:7], 0, v8
	v_mov_b32_e32 v5, 0
	s_and_saveexec_b64 s[24:25], s[6:7]
	s_cbranch_execz .LBB399_806
; %bb.801:                              ;   in Loop: Header=BB399_644 Depth=1
	v_cmp_ne_u16_e64 s[6:7], s19, v8
	v_bfrev_b32_e32 v5, 1
	s_and_saveexec_b64 s[26:27], s[6:7]
	s_cbranch_execz .LBB399_805
; %bb.802:                              ;   in Loop: Header=BB399_644 Depth=1
	v_and_b32_e32 v9, 0x7f, v8
	v_cmp_ne_u32_e64 s[6:7], s34, v9
	v_mov_b32_e32 v5, 0x7f800001
	s_and_saveexec_b64 s[28:29], s[6:7]
	s_cbranch_execz .LBB399_804
; %bb.803:                              ;   in Loop: Header=BB399_644 Depth=1
	v_and_b32_e32 v5, 7, v8
	v_ffbh_u32_e32 v10, v5
	v_min_u32_e32 v13, 32, v10
	v_subrev_u32_e32 v10, 28, v13
	v_lshlrev_b64 v[10:11], v10, v[8:9]
	v_lshrrev_b32_e32 v12, 3, v9
	v_sub_u32_e32 v8, 29, v13
	v_and_b32_e32 v10, 7, v10
	v_cmp_gt_u32_e64 s[6:7], 8, v9
	v_cndmask_b32_e64 v8, v12, v8, s[6:7]
	v_cndmask_b32_e64 v5, v5, v10, s[6:7]
	v_lshlrev_b32_e32 v9, 16, v6
	v_bfrev_b32_e32 v10, 60
	v_lshlrev_b32_e32 v5, 20, v5
	v_and_b32_e32 v9, 0x80000000, v9
	v_lshl_add_u32 v8, v8, 23, v10
	v_or3_b32 v5, v9, v8, v5
.LBB399_804:                            ;   in Loop: Header=BB399_644 Depth=1
	s_or_b64 exec, exec, s[28:29]
.LBB399_805:                            ;   in Loop: Header=BB399_644 Depth=1
	s_or_b64 exec, exec, s[26:27]
.LBB399_806:                            ;   in Loop: Header=BB399_644 Depth=1
	s_or_b64 exec, exec, s[24:25]
	v_mul_f32_e32 v8, v38, v5
	v_and_b32_e32 v5, 0x7f800000, v8
	v_cmp_ne_u32_e64 s[6:7], s9, v5
                                        ; implicit-def: $vgpr5
	s_and_saveexec_b64 s[24:25], s[6:7]
	s_xor_b64 s[6:7], exec, s[24:25]
; %bb.807:                              ;   in Loop: Header=BB399_644 Depth=1
	v_bfe_u32 v5, v8, 16, 1
	v_add3_u32 v5, v8, v5, s15
                                        ; implicit-def: $vgpr8
; %bb.808:                              ;   in Loop: Header=BB399_644 Depth=1
	s_andn2_saveexec_b64 s[24:25], s[6:7]
; %bb.809:                              ;   in Loop: Header=BB399_644 Depth=1
	v_or_b32_e32 v5, 0x10000, v8
	v_cmp_eq_u32_sdwa s[6:7], v8, v31 src0_sel:WORD_0 src1_sel:DWORD
	v_cndmask_b32_e64 v5, v5, v8, s[6:7]
; %bb.810:                              ;   in Loop: Header=BB399_644 Depth=1
	s_or_b64 exec, exec, s[24:25]
	v_lshrrev_b32_e32 v8, 16, v6
	v_cmp_ne_u16_sdwa s[6:7], v8, v31 src0_sel:BYTE_0 src1_sel:DWORD
	v_mov_b32_e32 v9, 0
	s_and_saveexec_b64 s[24:25], s[6:7]
	s_cbranch_execz .LBB399_816
; %bb.811:                              ;   in Loop: Header=BB399_644 Depth=1
	v_cmp_ne_u16_sdwa s[6:7], v8, s19 src0_sel:BYTE_0 src1_sel:DWORD
	v_bfrev_b32_e32 v9, 1
	s_and_saveexec_b64 s[26:27], s[6:7]
	s_cbranch_execz .LBB399_815
; %bb.812:                              ;   in Loop: Header=BB399_644 Depth=1
	v_bfe_u32 v10, v6, 16, 7
	v_cmp_ne_u32_e64 s[6:7], s34, v10
	v_mov_b32_e32 v9, 0x7f800001
	s_and_saveexec_b64 s[28:29], s[6:7]
	s_cbranch_execz .LBB399_814
; %bb.813:                              ;   in Loop: Header=BB399_644 Depth=1
	v_and_b32_e32 v9, 7, v8
	v_ffbh_u32_e32 v12, v9
	v_min_u32_e32 v22, 32, v12
	v_subrev_u32_e32 v12, 28, v22
	v_lshlrev_b64 v[12:13], v12, v[8:9]
	v_lshrrev_b32_e32 v11, 3, v10
	v_sub_u32_e32 v13, 29, v22
	v_and_b32_e32 v12, 7, v12
	v_cmp_gt_u32_e64 s[6:7], 8, v10
	v_cndmask_b32_e64 v10, v11, v13, s[6:7]
	v_cndmask_b32_e64 v9, v9, v12, s[6:7]
	v_lshlrev_b32_e32 v8, 24, v8
	v_bfrev_b32_e32 v11, 60
	v_lshlrev_b32_e32 v9, 20, v9
	v_and_b32_e32 v8, 0x80000000, v8
	v_lshl_add_u32 v10, v10, 23, v11
	v_or3_b32 v9, v8, v10, v9
.LBB399_814:                            ;   in Loop: Header=BB399_644 Depth=1
	s_or_b64 exec, exec, s[28:29]
.LBB399_815:                            ;   in Loop: Header=BB399_644 Depth=1
	s_or_b64 exec, exec, s[26:27]
.LBB399_816:                            ;   in Loop: Header=BB399_644 Depth=1
	s_or_b64 exec, exec, s[24:25]
	v_mul_f32_e32 v8, v38, v9
	v_and_b32_e32 v9, 0x7f800000, v8
	v_cmp_ne_u32_e64 s[6:7], s9, v9
                                        ; implicit-def: $vgpr9
	s_and_saveexec_b64 s[24:25], s[6:7]
	s_xor_b64 s[6:7], exec, s[24:25]
; %bb.817:                              ;   in Loop: Header=BB399_644 Depth=1
	v_bfe_u32 v9, v8, 16, 1
	v_add3_u32 v9, v8, v9, s15
                                        ; implicit-def: $vgpr8
; %bb.818:                              ;   in Loop: Header=BB399_644 Depth=1
	s_andn2_saveexec_b64 s[24:25], s[6:7]
; %bb.819:                              ;   in Loop: Header=BB399_644 Depth=1
	v_or_b32_e32 v9, 0x10000, v8
	v_cmp_eq_u32_sdwa s[6:7], v8, v31 src0_sel:WORD_0 src1_sel:DWORD
	v_cndmask_b32_e64 v9, v9, v8, s[6:7]
; %bb.820:                              ;   in Loop: Header=BB399_644 Depth=1
	s_or_b64 exec, exec, s[24:25]
	v_cmp_lt_u32_e64 s[6:7], s13, v6
	v_mov_b32_e32 v10, 0
	s_and_saveexec_b64 s[24:25], s[6:7]
	s_cbranch_execz .LBB399_826
; %bb.821:                              ;   in Loop: Header=BB399_644 Depth=1
	v_lshrrev_b32_e32 v8, 24, v6
	v_cmp_ne_u32_e64 s[6:7], s19, v8
	v_bfrev_b32_e32 v10, 1
	s_and_saveexec_b64 s[26:27], s[6:7]
	s_cbranch_execz .LBB399_825
; %bb.822:                              ;   in Loop: Header=BB399_644 Depth=1
	v_bfe_u32 v11, v6, 24, 7
	v_cmp_ne_u32_e64 s[6:7], s34, v11
	v_mov_b32_e32 v10, 0x7f800001
	s_and_saveexec_b64 s[28:29], s[6:7]
	s_cbranch_execz .LBB399_824
; %bb.823:                              ;   in Loop: Header=BB399_644 Depth=1
	v_and_b32_e32 v10, 7, v8
	v_ffbh_u32_e32 v12, v10
	v_min_u32_e32 v23, 32, v12
	v_subrev_u32_e32 v12, 28, v23
	v_lshlrev_b64 v[12:13], v12, v[8:9]
	v_lshrrev_b32_e32 v22, 3, v11
	v_sub_u32_e32 v13, 29, v23
	v_and_b32_e32 v12, 7, v12
	v_cmp_gt_u32_e64 s[6:7], 8, v11
	v_cndmask_b32_e64 v11, v22, v13, s[6:7]
	v_cndmask_b32_e64 v10, v10, v12, s[6:7]
	v_lshlrev_b32_e32 v8, 24, v8
	v_bfrev_b32_e32 v12, 60
	v_lshlrev_b32_e32 v10, 20, v10
	v_and_b32_e32 v8, 0x80000000, v8
	v_lshl_add_u32 v11, v11, 23, v12
	v_or3_b32 v10, v8, v11, v10
.LBB399_824:                            ;   in Loop: Header=BB399_644 Depth=1
	s_or_b64 exec, exec, s[28:29]
.LBB399_825:                            ;   in Loop: Header=BB399_644 Depth=1
	s_or_b64 exec, exec, s[26:27]
.LBB399_826:                            ;   in Loop: Header=BB399_644 Depth=1
	s_or_b64 exec, exec, s[24:25]
	v_mul_f32_e32 v8, v38, v10
	v_and_b32_e32 v10, 0x7f800000, v8
	v_cmp_ne_u32_e64 s[6:7], s9, v10
                                        ; implicit-def: $vgpr10
	s_and_saveexec_b64 s[24:25], s[6:7]
	s_xor_b64 s[6:7], exec, s[24:25]
; %bb.827:                              ;   in Loop: Header=BB399_644 Depth=1
	v_bfe_u32 v10, v8, 16, 1
	v_add3_u32 v10, v8, v10, s15
                                        ; implicit-def: $vgpr8
; %bb.828:                              ;   in Loop: Header=BB399_644 Depth=1
	s_andn2_saveexec_b64 s[24:25], s[6:7]
; %bb.829:                              ;   in Loop: Header=BB399_644 Depth=1
	v_or_b32_e32 v10, 0x10000, v8
	v_cmp_eq_u32_sdwa s[6:7], v8, v31 src0_sel:WORD_0 src1_sel:DWORD
	v_cndmask_b32_e64 v10, v10, v8, s[6:7]
; %bb.830:                              ;   in Loop: Header=BB399_644 Depth=1
	s_or_b64 exec, exec, s[24:25]
	v_mov_b32_e32 v30, v7
	v_cmp_ne_u16_sdwa s[6:7], v7, v31 src0_sel:BYTE_0 src1_sel:DWORD
	v_mov_b32_e32 v8, 0
	s_and_saveexec_b64 s[24:25], s[6:7]
	s_cbranch_execz .LBB399_836
; %bb.831:                              ;   in Loop: Header=BB399_644 Depth=1
	v_cmp_ne_u16_sdwa s[6:7], v7, s19 src0_sel:BYTE_0 src1_sel:DWORD
	v_bfrev_b32_e32 v8, 1
	s_and_saveexec_b64 s[26:27], s[6:7]
	s_cbranch_execz .LBB399_835
; %bb.832:                              ;   in Loop: Header=BB399_644 Depth=1
	v_and_b32_e32 v11, 0x7f, v7
	v_cmp_ne_u32_e64 s[6:7], s34, v11
	v_mov_b32_e32 v8, 0x7f800001
	s_and_saveexec_b64 s[28:29], s[6:7]
	s_cbranch_execz .LBB399_834
; %bb.833:                              ;   in Loop: Header=BB399_644 Depth=1
	v_and_b32_e32 v8, 7, v7
	v_ffbh_u32_e32 v8, v8
	v_min_u32_e32 v8, 32, v8
	v_subrev_u32_e32 v13, 28, v8
	v_cmp_gt_u32_e64 s[6:7], 8, v11
	v_lshrrev_b32_e32 v12, 3, v11
	v_sub_u32_e32 v8, 29, v8
	v_cndmask_b32_e64 v11, 0, v13, s[6:7]
	v_cndmask_b32_e64 v8, v12, v8, s[6:7]
	v_lshlrev_b64 v[12:13], v11, v[30:31]
	v_lshlrev_b32_e32 v11, 20, v12
	v_lshlrev_b32_e32 v12, 24, v30
	v_bfrev_b32_e32 v13, 60
	v_and_b32_e32 v11, 0x700000, v11
	v_and_b32_e32 v12, 0x80000000, v12
	v_lshl_add_u32 v8, v8, 23, v13
	v_or3_b32 v8, v12, v8, v11
.LBB399_834:                            ;   in Loop: Header=BB399_644 Depth=1
	s_or_b64 exec, exec, s[28:29]
.LBB399_835:                            ;   in Loop: Header=BB399_644 Depth=1
	s_or_b64 exec, exec, s[26:27]
.LBB399_836:                            ;   in Loop: Header=BB399_644 Depth=1
	s_or_b64 exec, exec, s[24:25]
	v_mul_f32_e32 v8, v38, v8
	v_and_b32_e32 v11, 0x7f800000, v8
	v_cmp_ne_u32_e64 s[6:7], s9, v11
                                        ; implicit-def: $vgpr11
	s_and_saveexec_b64 s[24:25], s[6:7]
	s_xor_b64 s[6:7], exec, s[24:25]
; %bb.837:                              ;   in Loop: Header=BB399_644 Depth=1
	v_bfe_u32 v11, v8, 16, 1
	v_add3_u32 v11, v8, v11, s15
                                        ; implicit-def: $vgpr8
; %bb.838:                              ;   in Loop: Header=BB399_644 Depth=1
	s_andn2_saveexec_b64 s[24:25], s[6:7]
; %bb.839:                              ;   in Loop: Header=BB399_644 Depth=1
	v_or_b32_e32 v11, 0x10000, v8
	v_cmp_eq_u32_sdwa s[6:7], v8, v31 src0_sel:WORD_0 src1_sel:DWORD
	v_cndmask_b32_e64 v11, v11, v8, s[6:7]
; %bb.840:                              ;   in Loop: Header=BB399_644 Depth=1
	s_or_b64 exec, exec, s[24:25]
	v_lshrrev_b16_e32 v8, 8, v30
	v_cmp_ne_u16_e64 s[6:7], 0, v8
	v_mov_b32_e32 v12, 0
	s_and_saveexec_b64 s[24:25], s[6:7]
	s_cbranch_execz .LBB399_846
; %bb.841:                              ;   in Loop: Header=BB399_644 Depth=1
	v_cmp_ne_u16_e64 s[6:7], s19, v8
	v_bfrev_b32_e32 v12, 1
	s_and_saveexec_b64 s[26:27], s[6:7]
	s_cbranch_execz .LBB399_845
; %bb.842:                              ;   in Loop: Header=BB399_644 Depth=1
	v_and_b32_e32 v13, 0x7f, v8
	v_cmp_ne_u32_e64 s[6:7], s34, v13
	v_mov_b32_e32 v12, 0x7f800001
	s_and_saveexec_b64 s[28:29], s[6:7]
	s_cbranch_execz .LBB399_844
; %bb.843:                              ;   in Loop: Header=BB399_644 Depth=1
	v_and_b32_e32 v12, 7, v8
	v_ffbh_u32_e32 v22, v12
	v_min_u32_e32 v27, 32, v22
	v_subrev_u32_e32 v22, 28, v27
	v_lshlrev_b64 v[22:23], v22, v[8:9]
	v_lshrrev_b32_e32 v26, 3, v13
	v_sub_u32_e32 v8, 29, v27
	v_and_b32_e32 v22, 7, v22
	v_cmp_gt_u32_e64 s[6:7], 8, v13
	v_cndmask_b32_e64 v8, v26, v8, s[6:7]
	v_cndmask_b32_e64 v12, v12, v22, s[6:7]
	v_lshlrev_b32_e32 v13, 16, v30
	v_bfrev_b32_e32 v22, 60
	v_lshlrev_b32_e32 v12, 20, v12
	v_and_b32_e32 v13, 0x80000000, v13
	v_lshl_add_u32 v8, v8, 23, v22
	v_or3_b32 v12, v13, v8, v12
.LBB399_844:                            ;   in Loop: Header=BB399_644 Depth=1
	s_or_b64 exec, exec, s[28:29]
.LBB399_845:                            ;   in Loop: Header=BB399_644 Depth=1
	s_or_b64 exec, exec, s[26:27]
.LBB399_846:                            ;   in Loop: Header=BB399_644 Depth=1
	s_or_b64 exec, exec, s[24:25]
	v_mul_f32_e32 v8, v38, v12
	v_and_b32_e32 v12, 0x7f800000, v8
	v_cmp_ne_u32_e64 s[6:7], s9, v12
                                        ; implicit-def: $vgpr12
	s_and_saveexec_b64 s[24:25], s[6:7]
	s_xor_b64 s[6:7], exec, s[24:25]
; %bb.847:                              ;   in Loop: Header=BB399_644 Depth=1
	v_bfe_u32 v12, v8, 16, 1
	v_add3_u32 v12, v8, v12, s15
                                        ; implicit-def: $vgpr8
; %bb.848:                              ;   in Loop: Header=BB399_644 Depth=1
	s_andn2_saveexec_b64 s[24:25], s[6:7]
; %bb.849:                              ;   in Loop: Header=BB399_644 Depth=1
	v_or_b32_e32 v12, 0x10000, v8
	v_cmp_eq_u32_sdwa s[6:7], v8, v31 src0_sel:WORD_0 src1_sel:DWORD
	v_cndmask_b32_e64 v12, v12, v8, s[6:7]
; %bb.850:                              ;   in Loop: Header=BB399_644 Depth=1
	s_or_b64 exec, exec, s[24:25]
	v_lshrrev_b32_e32 v8, 16, v7
	v_cmp_ne_u16_sdwa s[6:7], v8, v31 src0_sel:BYTE_0 src1_sel:DWORD
	v_mov_b32_e32 v13, 0
	s_and_saveexec_b64 s[24:25], s[6:7]
	s_cbranch_execz .LBB399_856
; %bb.851:                              ;   in Loop: Header=BB399_644 Depth=1
	v_cmp_ne_u16_sdwa s[6:7], v8, s19 src0_sel:BYTE_0 src1_sel:DWORD
	v_bfrev_b32_e32 v13, 1
	s_and_saveexec_b64 s[26:27], s[6:7]
	s_cbranch_execz .LBB399_855
; %bb.852:                              ;   in Loop: Header=BB399_644 Depth=1
	v_bfe_u32 v22, v7, 16, 7
	v_cmp_ne_u32_e64 s[6:7], s34, v22
	v_mov_b32_e32 v13, 0x7f800001
	s_and_saveexec_b64 s[28:29], s[6:7]
	s_cbranch_execz .LBB399_854
; %bb.853:                              ;   in Loop: Header=BB399_644 Depth=1
	v_and_b32_e32 v13, 7, v8
	v_ffbh_u32_e32 v26, v13
	v_min_u32_e32 v28, 32, v26
	v_subrev_u32_e32 v26, 28, v28
	v_lshlrev_b64 v[26:27], v26, v[8:9]
	v_lshrrev_b32_e32 v23, 3, v22
	v_sub_u32_e32 v27, 29, v28
	v_and_b32_e32 v26, 7, v26
	v_cmp_gt_u32_e64 s[6:7], 8, v22
	v_cndmask_b32_e64 v22, v23, v27, s[6:7]
	v_cndmask_b32_e64 v13, v13, v26, s[6:7]
	v_lshlrev_b32_e32 v8, 24, v8
	v_bfrev_b32_e32 v23, 60
	v_lshlrev_b32_e32 v13, 20, v13
	v_and_b32_e32 v8, 0x80000000, v8
	v_lshl_add_u32 v22, v22, 23, v23
	v_or3_b32 v13, v8, v22, v13
.LBB399_854:                            ;   in Loop: Header=BB399_644 Depth=1
	s_or_b64 exec, exec, s[28:29]
.LBB399_855:                            ;   in Loop: Header=BB399_644 Depth=1
	s_or_b64 exec, exec, s[26:27]
.LBB399_856:                            ;   in Loop: Header=BB399_644 Depth=1
	s_or_b64 exec, exec, s[24:25]
	v_mul_f32_e32 v8, v38, v13
	v_and_b32_e32 v13, 0x7f800000, v8
	v_cmp_ne_u32_e64 s[6:7], s9, v13
                                        ; implicit-def: $vgpr13
	s_and_saveexec_b64 s[24:25], s[6:7]
	s_xor_b64 s[6:7], exec, s[24:25]
; %bb.857:                              ;   in Loop: Header=BB399_644 Depth=1
	v_bfe_u32 v13, v8, 16, 1
	v_add3_u32 v13, v8, v13, s15
                                        ; implicit-def: $vgpr8
; %bb.858:                              ;   in Loop: Header=BB399_644 Depth=1
	s_andn2_saveexec_b64 s[24:25], s[6:7]
; %bb.859:                              ;   in Loop: Header=BB399_644 Depth=1
	v_or_b32_e32 v13, 0x10000, v8
	v_cmp_eq_u32_sdwa s[6:7], v8, v31 src0_sel:WORD_0 src1_sel:DWORD
	v_cndmask_b32_e64 v13, v13, v8, s[6:7]
; %bb.860:                              ;   in Loop: Header=BB399_644 Depth=1
	s_or_b64 exec, exec, s[24:25]
	v_cmp_lt_u64_e64 s[6:7], s[12:13], v[6:7]
	v_mov_b32_e32 v8, 0
	s_and_saveexec_b64 s[24:25], s[6:7]
	s_cbranch_execz .LBB399_866
; %bb.861:                              ;   in Loop: Header=BB399_644 Depth=1
	v_lshrrev_b32_e32 v6, 24, v7
	v_cmp_ne_u32_e64 s[6:7], s19, v6
	v_bfrev_b32_e32 v8, 1
	s_and_saveexec_b64 s[26:27], s[6:7]
	s_cbranch_execz .LBB399_865
; %bb.862:                              ;   in Loop: Header=BB399_644 Depth=1
	v_bfe_u32 v7, v7, 24, 7
	v_cmp_ne_u32_e64 s[6:7], s34, v7
	v_mov_b32_e32 v8, 0x7f800001
	s_and_saveexec_b64 s[28:29], s[6:7]
	s_cbranch_execz .LBB399_864
; %bb.863:                              ;   in Loop: Header=BB399_644 Depth=1
	v_and_b32_e32 v8, 7, v6
	v_ffbh_u32_e32 v22, v8
	v_min_u32_e32 v27, 32, v22
	v_subrev_u32_e32 v22, 28, v27
	v_lshlrev_b64 v[22:23], v22, v[6:7]
	v_lshrrev_b32_e32 v26, 3, v7
	v_sub_u32_e32 v23, 29, v27
	v_and_b32_e32 v22, 7, v22
	v_cmp_gt_u32_e64 s[6:7], 8, v7
	v_cndmask_b32_e64 v7, v26, v23, s[6:7]
	v_cndmask_b32_e64 v8, v8, v22, s[6:7]
	v_lshlrev_b32_e32 v6, 24, v6
	v_bfrev_b32_e32 v22, 60
	v_lshlrev_b32_e32 v8, 20, v8
	v_and_b32_e32 v6, 0x80000000, v6
	v_lshl_add_u32 v7, v7, 23, v22
	v_or3_b32 v8, v6, v7, v8
.LBB399_864:                            ;   in Loop: Header=BB399_644 Depth=1
	s_or_b64 exec, exec, s[28:29]
.LBB399_865:                            ;   in Loop: Header=BB399_644 Depth=1
	s_or_b64 exec, exec, s[26:27]
.LBB399_866:                            ;   in Loop: Header=BB399_644 Depth=1
	s_or_b64 exec, exec, s[24:25]
	v_mul_f32_e32 v6, v38, v8
	v_and_b32_e32 v7, 0x7f800000, v6
	v_cmp_ne_u32_e64 s[6:7], s9, v7
                                        ; implicit-def: $vgpr22
	s_and_saveexec_b64 s[24:25], s[6:7]
	s_xor_b64 s[6:7], exec, s[24:25]
; %bb.867:                              ;   in Loop: Header=BB399_644 Depth=1
	v_bfe_u32 v7, v6, 16, 1
	v_add3_u32 v22, v6, v7, s15
                                        ; implicit-def: $vgpr6
; %bb.868:                              ;   in Loop: Header=BB399_644 Depth=1
	s_andn2_saveexec_b64 s[24:25], s[6:7]
; %bb.869:                              ;   in Loop: Header=BB399_644 Depth=1
	v_or_b32_e32 v7, 0x10000, v6
	v_cmp_eq_u32_sdwa s[6:7], v6, v31 src0_sel:WORD_0 src1_sel:DWORD
	v_cndmask_b32_e64 v22, v7, v6, s[6:7]
; %bb.870:                              ;   in Loop: Header=BB399_644 Depth=1
	s_or_b64 exec, exec, s[24:25]
	v_lshrrev_b32_e32 v6, 16, v12
	v_lshrrev_b32_e32 v7, 16, v11
	;; [unrolled: 1-line block ×8, first 2 shown]
	s_and_saveexec_b64 s[24:25], s[4:5]
	s_cbranch_execz .LBB399_872
; %bb.871:                              ;   in Loop: Header=BB399_644 Depth=1
	v_accvgpr_read_b32 v12, a26
	v_cmp_lt_i32_e64 s[6:7], v12, v33
	v_add_u32_e32 v12, -6, v17
	v_cndmask_b32_e64 v11, 0, v11, s[6:7]
	v_cmp_lt_i32_e64 s[6:7], v12, v33
	v_add_u32_e32 v12, -5, v17
	v_cndmask_b32_e64 v10, 0, v10, s[6:7]
	;; [unrolled: 3-line block ×6, first 2 shown]
	v_cmp_lt_i32_e64 s[6:7], v12, v33
	v_cndmask_b32_e64 v5, 0, v5, s[6:7]
	v_cmp_lt_i32_e64 s[6:7], v17, v33
	v_cndmask_b32_e64 v4, 0, v4, s[6:7]
.LBB399_872:                            ;   in Loop: Header=BB399_644 Depth=1
	s_or_b64 exec, exec, s[24:25]
	v_lshlrev_b32_e32 v11, 16, v11
	v_mul_f32_e32 v11, v42, v11
	v_and_b32_e32 v12, 0x7f800000, v11
	v_cmp_ne_u32_e64 s[6:7], s9, v12
                                        ; implicit-def: $agpr27
	s_and_saveexec_b64 s[24:25], s[6:7]
	s_xor_b64 s[6:7], exec, s[24:25]
; %bb.873:                              ;   in Loop: Header=BB399_644 Depth=1
	v_bfe_u32 v12, v11, 16, 1
	v_add3_u32 v11, v11, v12, s15
	v_accvgpr_write_b32 a27, v11
                                        ; implicit-def: $vgpr11
; %bb.874:                              ;   in Loop: Header=BB399_644 Depth=1
	s_andn2_saveexec_b64 s[24:25], s[6:7]
; %bb.875:                              ;   in Loop: Header=BB399_644 Depth=1
	v_or_b32_e32 v12, 0x10000, v11
	v_cmp_eq_u32_sdwa s[6:7], v11, v31 src0_sel:WORD_0 src1_sel:DWORD
	v_cndmask_b32_e64 v11, v12, v11, s[6:7]
	v_accvgpr_write_b32 a27, v11
; %bb.876:                              ;   in Loop: Header=BB399_644 Depth=1
	s_or_b64 exec, exec, s[24:25]
	v_lshlrev_b32_e32 v10, 16, v10
	v_mul_f32_e32 v10, v43, v10
	v_and_b32_e32 v11, 0x7f800000, v10
	v_cmp_ne_u32_e64 s[6:7], s9, v11
                                        ; implicit-def: $agpr28
	s_and_saveexec_b64 s[24:25], s[6:7]
	s_xor_b64 s[6:7], exec, s[24:25]
; %bb.877:                              ;   in Loop: Header=BB399_644 Depth=1
	v_bfe_u32 v11, v10, 16, 1
	v_add3_u32 v10, v10, v11, s15
	v_accvgpr_write_b32 a28, v10
                                        ; implicit-def: $vgpr10
; %bb.878:                              ;   in Loop: Header=BB399_644 Depth=1
	s_andn2_saveexec_b64 s[24:25], s[6:7]
; %bb.879:                              ;   in Loop: Header=BB399_644 Depth=1
	v_or_b32_e32 v11, 0x10000, v10
	v_cmp_eq_u32_sdwa s[6:7], v10, v31 src0_sel:WORD_0 src1_sel:DWORD
	v_cndmask_b32_e64 v10, v11, v10, s[6:7]
	v_accvgpr_write_b32 a28, v10
; %bb.880:                              ;   in Loop: Header=BB399_644 Depth=1
	s_or_b64 exec, exec, s[24:25]
	v_lshlrev_b32_e32 v9, 16, v9
	v_mul_f32_e32 v9, v44, v9
	v_and_b32_e32 v10, 0x7f800000, v9
	v_cmp_ne_u32_e64 s[6:7], s9, v10
                                        ; implicit-def: $agpr29
	s_and_saveexec_b64 s[24:25], s[6:7]
	s_xor_b64 s[6:7], exec, s[24:25]
; %bb.881:                              ;   in Loop: Header=BB399_644 Depth=1
	v_bfe_u32 v10, v9, 16, 1
	v_add3_u32 v9, v9, v10, s15
	v_accvgpr_write_b32 a29, v9
                                        ; implicit-def: $vgpr9
; %bb.882:                              ;   in Loop: Header=BB399_644 Depth=1
	s_andn2_saveexec_b64 s[24:25], s[6:7]
; %bb.883:                              ;   in Loop: Header=BB399_644 Depth=1
	v_or_b32_e32 v10, 0x10000, v9
	v_cmp_eq_u32_sdwa s[6:7], v9, v31 src0_sel:WORD_0 src1_sel:DWORD
	v_cndmask_b32_e64 v9, v10, v9, s[6:7]
	v_accvgpr_write_b32 a29, v9
; %bb.884:                              ;   in Loop: Header=BB399_644 Depth=1
	s_or_b64 exec, exec, s[24:25]
	v_lshlrev_b32_e32 v8, 16, v8
	v_mul_f32_e32 v8, v45, v8
	v_and_b32_e32 v9, 0x7f800000, v8
	v_cmp_ne_u32_e64 s[6:7], s9, v9
                                        ; implicit-def: $agpr30
	s_and_saveexec_b64 s[24:25], s[6:7]
	s_xor_b64 s[6:7], exec, s[24:25]
; %bb.885:                              ;   in Loop: Header=BB399_644 Depth=1
	v_bfe_u32 v9, v8, 16, 1
	v_add3_u32 v8, v8, v9, s15
	v_accvgpr_write_b32 a30, v8
                                        ; implicit-def: $vgpr8
; %bb.886:                              ;   in Loop: Header=BB399_644 Depth=1
	s_andn2_saveexec_b64 s[24:25], s[6:7]
; %bb.887:                              ;   in Loop: Header=BB399_644 Depth=1
	v_or_b32_e32 v9, 0x10000, v8
	v_cmp_eq_u32_sdwa s[6:7], v8, v31 src0_sel:WORD_0 src1_sel:DWORD
	v_cndmask_b32_e64 v8, v9, v8, s[6:7]
	v_accvgpr_write_b32 a30, v8
; %bb.888:                              ;   in Loop: Header=BB399_644 Depth=1
	s_or_b64 exec, exec, s[24:25]
	v_lshlrev_b32_e32 v7, 16, v7
	v_mul_f32_e32 v7, v46, v7
	v_and_b32_e32 v8, 0x7f800000, v7
	v_cmp_ne_u32_e64 s[6:7], s9, v8
                                        ; implicit-def: $agpr31
	s_and_saveexec_b64 s[24:25], s[6:7]
	s_xor_b64 s[6:7], exec, s[24:25]
; %bb.889:                              ;   in Loop: Header=BB399_644 Depth=1
	v_bfe_u32 v8, v7, 16, 1
	v_add3_u32 v7, v7, v8, s15
	v_accvgpr_write_b32 a31, v7
                                        ; implicit-def: $vgpr7
; %bb.890:                              ;   in Loop: Header=BB399_644 Depth=1
	s_andn2_saveexec_b64 s[24:25], s[6:7]
; %bb.891:                              ;   in Loop: Header=BB399_644 Depth=1
	v_or_b32_e32 v8, 0x10000, v7
	v_cmp_eq_u32_sdwa s[6:7], v7, v31 src0_sel:WORD_0 src1_sel:DWORD
	v_cndmask_b32_e64 v7, v8, v7, s[6:7]
	v_accvgpr_write_b32 a31, v7
; %bb.892:                              ;   in Loop: Header=BB399_644 Depth=1
	s_or_b64 exec, exec, s[24:25]
	v_lshlrev_b32_e32 v6, 16, v6
	v_mul_f32_e32 v6, v47, v6
	v_and_b32_e32 v7, 0x7f800000, v6
	v_cmp_ne_u32_e64 s[6:7], s9, v7
                                        ; implicit-def: $agpr32
	s_and_saveexec_b64 s[24:25], s[6:7]
	s_xor_b64 s[6:7], exec, s[24:25]
; %bb.893:                              ;   in Loop: Header=BB399_644 Depth=1
	v_bfe_u32 v7, v6, 16, 1
	v_add3_u32 v6, v6, v7, s15
	v_accvgpr_write_b32 a32, v6
                                        ; implicit-def: $vgpr6
; %bb.894:                              ;   in Loop: Header=BB399_644 Depth=1
	s_andn2_saveexec_b64 s[24:25], s[6:7]
; %bb.895:                              ;   in Loop: Header=BB399_644 Depth=1
	v_or_b32_e32 v7, 0x10000, v6
	v_cmp_eq_u32_sdwa s[6:7], v6, v31 src0_sel:WORD_0 src1_sel:DWORD
	v_cndmask_b32_e64 v6, v7, v6, s[6:7]
	v_accvgpr_write_b32 a32, v6
; %bb.896:                              ;   in Loop: Header=BB399_644 Depth=1
	s_or_b64 exec, exec, s[24:25]
	v_lshlrev_b32_e32 v5, 16, v5
	v_mul_f32_e32 v5, v56, v5
	v_and_b32_e32 v6, 0x7f800000, v5
	v_cmp_ne_u32_e64 s[6:7], s9, v6
                                        ; implicit-def: $agpr33
	s_and_saveexec_b64 s[24:25], s[6:7]
	s_xor_b64 s[6:7], exec, s[24:25]
; %bb.897:                              ;   in Loop: Header=BB399_644 Depth=1
	v_bfe_u32 v6, v5, 16, 1
	v_add3_u32 v5, v5, v6, s15
	v_accvgpr_write_b32 a33, v5
                                        ; implicit-def: $vgpr5
; %bb.898:                              ;   in Loop: Header=BB399_644 Depth=1
	s_andn2_saveexec_b64 s[24:25], s[6:7]
; %bb.899:                              ;   in Loop: Header=BB399_644 Depth=1
	v_or_b32_e32 v6, 0x10000, v5
	v_cmp_eq_u32_sdwa s[6:7], v5, v31 src0_sel:WORD_0 src1_sel:DWORD
	v_cndmask_b32_e64 v5, v6, v5, s[6:7]
	v_accvgpr_write_b32 a33, v5
; %bb.900:                              ;   in Loop: Header=BB399_644 Depth=1
	s_or_b64 exec, exec, s[24:25]
	v_lshlrev_b32_e32 v4, 16, v4
	v_mul_f32_e32 v4, v57, v4
	v_and_b32_e32 v5, 0x7f800000, v4
	v_cmp_ne_u32_e64 s[6:7], s9, v5
                                        ; implicit-def: $agpr34
	s_and_saveexec_b64 s[24:25], s[6:7]
	s_xor_b64 s[6:7], exec, s[24:25]
; %bb.901:                              ;   in Loop: Header=BB399_644 Depth=1
	v_bfe_u32 v5, v4, 16, 1
	v_add3_u32 v4, v4, v5, s15
	v_accvgpr_write_b32 a34, v4
                                        ; implicit-def: $vgpr4
; %bb.902:                              ;   in Loop: Header=BB399_644 Depth=1
	s_andn2_saveexec_b64 s[24:25], s[6:7]
; %bb.903:                              ;   in Loop: Header=BB399_644 Depth=1
	v_or_b32_e32 v5, 0x10000, v4
	v_cmp_eq_u32_sdwa s[6:7], v4, v31 src0_sel:WORD_0 src1_sel:DWORD
	v_cndmask_b32_e64 v4, v5, v4, s[6:7]
	v_accvgpr_write_b32 a34, v4
; %bb.904:                              ;   in Loop: Header=BB399_644 Depth=1
	s_or_b64 exec, exec, s[24:25]
	flat_load_dwordx2 v[6:7], v[2:3] offset:1024
	v_mov_b32_e32 v4, 0
	s_waitcnt vmcnt(0) lgkmcnt(0)
	v_cmp_ne_u16_sdwa s[6:7], v6, v31 src0_sel:BYTE_0 src1_sel:DWORD
	s_and_saveexec_b64 s[24:25], s[6:7]
	s_cbranch_execz .LBB399_910
; %bb.905:                              ;   in Loop: Header=BB399_644 Depth=1
	v_cmp_ne_u16_sdwa s[6:7], v6, s19 src0_sel:BYTE_0 src1_sel:DWORD
	v_bfrev_b32_e32 v4, 1
	s_and_saveexec_b64 s[26:27], s[6:7]
	s_cbranch_execz .LBB399_909
; %bb.906:                              ;   in Loop: Header=BB399_644 Depth=1
	v_and_b32_e32 v5, 0x7f, v6
	v_cmp_ne_u32_e64 s[6:7], s34, v5
	v_mov_b32_e32 v4, 0x7f800001
	s_and_saveexec_b64 s[28:29], s[6:7]
	s_cbranch_execz .LBB399_908
; %bb.907:                              ;   in Loop: Header=BB399_644 Depth=1
	v_and_b32_e32 v4, 7, v6
	v_ffbh_u32_e32 v4, v4
	v_min_u32_e32 v4, 32, v4
	v_lshrrev_b32_e32 v8, 3, v5
	v_subrev_u32_e32 v9, 28, v4
	v_sub_u32_e32 v4, 29, v4
	v_cmp_gt_u32_e64 s[6:7], 8, v5
	v_cndmask_b32_e64 v8, v8, v4, s[6:7]
	v_cndmask_b32_e64 v4, 0, v9, s[6:7]
	v_lshlrev_b64 v[4:5], v4, v[6:7]
	v_lshlrev_b32_e32 v4, 20, v4
	v_lshlrev_b32_e32 v5, 24, v6
	v_bfrev_b32_e32 v9, 60
	v_and_b32_e32 v4, 0x700000, v4
	v_and_b32_e32 v5, 0x80000000, v5
	v_lshl_add_u32 v8, v8, 23, v9
	v_or3_b32 v4, v5, v8, v4
.LBB399_908:                            ;   in Loop: Header=BB399_644 Depth=1
	s_or_b64 exec, exec, s[28:29]
.LBB399_909:                            ;   in Loop: Header=BB399_644 Depth=1
	s_or_b64 exec, exec, s[26:27]
.LBB399_910:                            ;   in Loop: Header=BB399_644 Depth=1
	s_or_b64 exec, exec, s[24:25]
	v_mul_f32_e32 v5, v38, v4
	v_and_b32_e32 v4, 0x7f800000, v5
	v_cmp_ne_u32_e64 s[6:7], s9, v4
                                        ; implicit-def: $vgpr4
	s_and_saveexec_b64 s[24:25], s[6:7]
	s_xor_b64 s[6:7], exec, s[24:25]
; %bb.911:                              ;   in Loop: Header=BB399_644 Depth=1
	v_bfe_u32 v4, v5, 16, 1
	v_add3_u32 v4, v5, v4, s15
                                        ; implicit-def: $vgpr5
; %bb.912:                              ;   in Loop: Header=BB399_644 Depth=1
	s_andn2_saveexec_b64 s[24:25], s[6:7]
; %bb.913:                              ;   in Loop: Header=BB399_644 Depth=1
	v_or_b32_e32 v4, 0x10000, v5
	v_cmp_eq_u32_sdwa s[6:7], v5, v31 src0_sel:WORD_0 src1_sel:DWORD
	v_cndmask_b32_e64 v4, v4, v5, s[6:7]
; %bb.914:                              ;   in Loop: Header=BB399_644 Depth=1
	s_or_b64 exec, exec, s[24:25]
	v_lshrrev_b16_e32 v8, 8, v6
	v_cmp_ne_u16_e64 s[6:7], 0, v8
	v_mov_b32_e32 v5, 0
	s_and_saveexec_b64 s[24:25], s[6:7]
	s_cbranch_execz .LBB399_920
; %bb.915:                              ;   in Loop: Header=BB399_644 Depth=1
	v_cmp_ne_u16_e64 s[6:7], s19, v8
	v_bfrev_b32_e32 v5, 1
	s_and_saveexec_b64 s[26:27], s[6:7]
	s_cbranch_execz .LBB399_919
; %bb.916:                              ;   in Loop: Header=BB399_644 Depth=1
	v_and_b32_e32 v9, 0x7f, v8
	v_cmp_ne_u32_e64 s[6:7], s34, v9
	v_mov_b32_e32 v5, 0x7f800001
	s_and_saveexec_b64 s[28:29], s[6:7]
	s_cbranch_execz .LBB399_918
; %bb.917:                              ;   in Loop: Header=BB399_644 Depth=1
	v_and_b32_e32 v5, 7, v8
	v_ffbh_u32_e32 v10, v5
	v_min_u32_e32 v13, 32, v10
	v_subrev_u32_e32 v10, 28, v13
	v_lshlrev_b64 v[10:11], v10, v[8:9]
	v_lshrrev_b32_e32 v12, 3, v9
	v_sub_u32_e32 v8, 29, v13
	v_and_b32_e32 v10, 7, v10
	v_cmp_gt_u32_e64 s[6:7], 8, v9
	v_cndmask_b32_e64 v8, v12, v8, s[6:7]
	v_cndmask_b32_e64 v5, v5, v10, s[6:7]
	v_lshlrev_b32_e32 v9, 16, v6
	v_bfrev_b32_e32 v10, 60
	v_lshlrev_b32_e32 v5, 20, v5
	v_and_b32_e32 v9, 0x80000000, v9
	v_lshl_add_u32 v8, v8, 23, v10
	v_or3_b32 v5, v9, v8, v5
.LBB399_918:                            ;   in Loop: Header=BB399_644 Depth=1
	s_or_b64 exec, exec, s[28:29]
.LBB399_919:                            ;   in Loop: Header=BB399_644 Depth=1
	s_or_b64 exec, exec, s[26:27]
.LBB399_920:                            ;   in Loop: Header=BB399_644 Depth=1
	s_or_b64 exec, exec, s[24:25]
	v_mul_f32_e32 v8, v38, v5
	v_and_b32_e32 v5, 0x7f800000, v8
	v_cmp_ne_u32_e64 s[6:7], s9, v5
                                        ; implicit-def: $vgpr5
	s_and_saveexec_b64 s[24:25], s[6:7]
	s_xor_b64 s[6:7], exec, s[24:25]
; %bb.921:                              ;   in Loop: Header=BB399_644 Depth=1
	v_bfe_u32 v5, v8, 16, 1
	v_add3_u32 v5, v8, v5, s15
                                        ; implicit-def: $vgpr8
; %bb.922:                              ;   in Loop: Header=BB399_644 Depth=1
	s_andn2_saveexec_b64 s[24:25], s[6:7]
; %bb.923:                              ;   in Loop: Header=BB399_644 Depth=1
	v_or_b32_e32 v5, 0x10000, v8
	v_cmp_eq_u32_sdwa s[6:7], v8, v31 src0_sel:WORD_0 src1_sel:DWORD
	v_cndmask_b32_e64 v5, v5, v8, s[6:7]
; %bb.924:                              ;   in Loop: Header=BB399_644 Depth=1
	s_or_b64 exec, exec, s[24:25]
	v_lshrrev_b32_e32 v8, 16, v6
	v_cmp_ne_u16_sdwa s[6:7], v8, v31 src0_sel:BYTE_0 src1_sel:DWORD
	v_mov_b32_e32 v9, 0
	s_and_saveexec_b64 s[24:25], s[6:7]
	s_cbranch_execz .LBB399_930
; %bb.925:                              ;   in Loop: Header=BB399_644 Depth=1
	v_cmp_ne_u16_sdwa s[6:7], v8, s19 src0_sel:BYTE_0 src1_sel:DWORD
	v_bfrev_b32_e32 v9, 1
	s_and_saveexec_b64 s[26:27], s[6:7]
	s_cbranch_execz .LBB399_929
; %bb.926:                              ;   in Loop: Header=BB399_644 Depth=1
	v_bfe_u32 v10, v6, 16, 7
	v_cmp_ne_u32_e64 s[6:7], s34, v10
	v_mov_b32_e32 v9, 0x7f800001
	s_and_saveexec_b64 s[28:29], s[6:7]
	s_cbranch_execz .LBB399_928
; %bb.927:                              ;   in Loop: Header=BB399_644 Depth=1
	v_and_b32_e32 v9, 7, v8
	v_ffbh_u32_e32 v12, v9
	v_min_u32_e32 v22, 32, v12
	v_subrev_u32_e32 v12, 28, v22
	v_lshlrev_b64 v[12:13], v12, v[8:9]
	v_lshrrev_b32_e32 v11, 3, v10
	v_sub_u32_e32 v13, 29, v22
	v_and_b32_e32 v12, 7, v12
	v_cmp_gt_u32_e64 s[6:7], 8, v10
	v_cndmask_b32_e64 v10, v11, v13, s[6:7]
	v_cndmask_b32_e64 v9, v9, v12, s[6:7]
	v_lshlrev_b32_e32 v8, 24, v8
	v_bfrev_b32_e32 v11, 60
	v_lshlrev_b32_e32 v9, 20, v9
	v_and_b32_e32 v8, 0x80000000, v8
	v_lshl_add_u32 v10, v10, 23, v11
	v_or3_b32 v9, v8, v10, v9
.LBB399_928:                            ;   in Loop: Header=BB399_644 Depth=1
	s_or_b64 exec, exec, s[28:29]
.LBB399_929:                            ;   in Loop: Header=BB399_644 Depth=1
	s_or_b64 exec, exec, s[26:27]
.LBB399_930:                            ;   in Loop: Header=BB399_644 Depth=1
	s_or_b64 exec, exec, s[24:25]
	v_mul_f32_e32 v8, v38, v9
	v_and_b32_e32 v9, 0x7f800000, v8
	v_cmp_ne_u32_e64 s[6:7], s9, v9
                                        ; implicit-def: $vgpr9
	s_and_saveexec_b64 s[24:25], s[6:7]
	s_xor_b64 s[6:7], exec, s[24:25]
; %bb.931:                              ;   in Loop: Header=BB399_644 Depth=1
	v_bfe_u32 v9, v8, 16, 1
	v_add3_u32 v9, v8, v9, s15
                                        ; implicit-def: $vgpr8
; %bb.932:                              ;   in Loop: Header=BB399_644 Depth=1
	s_andn2_saveexec_b64 s[24:25], s[6:7]
; %bb.933:                              ;   in Loop: Header=BB399_644 Depth=1
	v_or_b32_e32 v9, 0x10000, v8
	v_cmp_eq_u32_sdwa s[6:7], v8, v31 src0_sel:WORD_0 src1_sel:DWORD
	v_cndmask_b32_e64 v9, v9, v8, s[6:7]
; %bb.934:                              ;   in Loop: Header=BB399_644 Depth=1
	s_or_b64 exec, exec, s[24:25]
	v_cmp_lt_u32_e64 s[6:7], s13, v6
	v_mov_b32_e32 v10, 0
	s_and_saveexec_b64 s[24:25], s[6:7]
	s_cbranch_execz .LBB399_940
; %bb.935:                              ;   in Loop: Header=BB399_644 Depth=1
	v_lshrrev_b32_e32 v8, 24, v6
	v_cmp_ne_u32_e64 s[6:7], s19, v8
	v_bfrev_b32_e32 v10, 1
	s_and_saveexec_b64 s[26:27], s[6:7]
	s_cbranch_execz .LBB399_939
; %bb.936:                              ;   in Loop: Header=BB399_644 Depth=1
	v_bfe_u32 v11, v6, 24, 7
	v_cmp_ne_u32_e64 s[6:7], s34, v11
	v_mov_b32_e32 v10, 0x7f800001
	s_and_saveexec_b64 s[28:29], s[6:7]
	s_cbranch_execz .LBB399_938
; %bb.937:                              ;   in Loop: Header=BB399_644 Depth=1
	v_and_b32_e32 v10, 7, v8
	v_ffbh_u32_e32 v12, v10
	v_min_u32_e32 v23, 32, v12
	v_subrev_u32_e32 v12, 28, v23
	v_lshlrev_b64 v[12:13], v12, v[8:9]
	v_lshrrev_b32_e32 v22, 3, v11
	v_sub_u32_e32 v13, 29, v23
	v_and_b32_e32 v12, 7, v12
	v_cmp_gt_u32_e64 s[6:7], 8, v11
	v_cndmask_b32_e64 v11, v22, v13, s[6:7]
	v_cndmask_b32_e64 v10, v10, v12, s[6:7]
	v_lshlrev_b32_e32 v8, 24, v8
	v_bfrev_b32_e32 v12, 60
	v_lshlrev_b32_e32 v10, 20, v10
	v_and_b32_e32 v8, 0x80000000, v8
	v_lshl_add_u32 v11, v11, 23, v12
	v_or3_b32 v10, v8, v11, v10
.LBB399_938:                            ;   in Loop: Header=BB399_644 Depth=1
	s_or_b64 exec, exec, s[28:29]
.LBB399_939:                            ;   in Loop: Header=BB399_644 Depth=1
	s_or_b64 exec, exec, s[26:27]
.LBB399_940:                            ;   in Loop: Header=BB399_644 Depth=1
	s_or_b64 exec, exec, s[24:25]
	v_mul_f32_e32 v8, v38, v10
	v_and_b32_e32 v10, 0x7f800000, v8
	v_cmp_ne_u32_e64 s[6:7], s9, v10
                                        ; implicit-def: $vgpr10
	s_and_saveexec_b64 s[24:25], s[6:7]
	s_xor_b64 s[6:7], exec, s[24:25]
; %bb.941:                              ;   in Loop: Header=BB399_644 Depth=1
	v_bfe_u32 v10, v8, 16, 1
	v_add3_u32 v10, v8, v10, s15
                                        ; implicit-def: $vgpr8
; %bb.942:                              ;   in Loop: Header=BB399_644 Depth=1
	s_andn2_saveexec_b64 s[24:25], s[6:7]
; %bb.943:                              ;   in Loop: Header=BB399_644 Depth=1
	v_or_b32_e32 v10, 0x10000, v8
	v_cmp_eq_u32_sdwa s[6:7], v8, v31 src0_sel:WORD_0 src1_sel:DWORD
	v_cndmask_b32_e64 v10, v10, v8, s[6:7]
; %bb.944:                              ;   in Loop: Header=BB399_644 Depth=1
	s_or_b64 exec, exec, s[24:25]
	v_mov_b32_e32 v30, v7
	v_cmp_ne_u16_sdwa s[6:7], v7, v31 src0_sel:BYTE_0 src1_sel:DWORD
	v_mov_b32_e32 v8, 0
	s_and_saveexec_b64 s[24:25], s[6:7]
	s_cbranch_execz .LBB399_950
; %bb.945:                              ;   in Loop: Header=BB399_644 Depth=1
	v_cmp_ne_u16_sdwa s[6:7], v7, s19 src0_sel:BYTE_0 src1_sel:DWORD
	v_bfrev_b32_e32 v8, 1
	s_and_saveexec_b64 s[26:27], s[6:7]
	s_cbranch_execz .LBB399_949
; %bb.946:                              ;   in Loop: Header=BB399_644 Depth=1
	v_and_b32_e32 v11, 0x7f, v7
	v_cmp_ne_u32_e64 s[6:7], s34, v11
	v_mov_b32_e32 v8, 0x7f800001
	s_and_saveexec_b64 s[28:29], s[6:7]
	s_cbranch_execz .LBB399_948
; %bb.947:                              ;   in Loop: Header=BB399_644 Depth=1
	v_and_b32_e32 v8, 7, v7
	v_ffbh_u32_e32 v8, v8
	v_min_u32_e32 v8, 32, v8
	v_subrev_u32_e32 v13, 28, v8
	v_cmp_gt_u32_e64 s[6:7], 8, v11
	v_lshrrev_b32_e32 v12, 3, v11
	v_sub_u32_e32 v8, 29, v8
	v_cndmask_b32_e64 v11, 0, v13, s[6:7]
	v_cndmask_b32_e64 v8, v12, v8, s[6:7]
	v_lshlrev_b64 v[12:13], v11, v[30:31]
	v_lshlrev_b32_e32 v11, 20, v12
	v_lshlrev_b32_e32 v12, 24, v30
	v_bfrev_b32_e32 v13, 60
	v_and_b32_e32 v11, 0x700000, v11
	v_and_b32_e32 v12, 0x80000000, v12
	v_lshl_add_u32 v8, v8, 23, v13
	v_or3_b32 v8, v12, v8, v11
.LBB399_948:                            ;   in Loop: Header=BB399_644 Depth=1
	s_or_b64 exec, exec, s[28:29]
.LBB399_949:                            ;   in Loop: Header=BB399_644 Depth=1
	s_or_b64 exec, exec, s[26:27]
.LBB399_950:                            ;   in Loop: Header=BB399_644 Depth=1
	s_or_b64 exec, exec, s[24:25]
	v_mul_f32_e32 v8, v38, v8
	v_and_b32_e32 v11, 0x7f800000, v8
	v_cmp_ne_u32_e64 s[6:7], s9, v11
                                        ; implicit-def: $vgpr11
	s_and_saveexec_b64 s[24:25], s[6:7]
	s_xor_b64 s[6:7], exec, s[24:25]
; %bb.951:                              ;   in Loop: Header=BB399_644 Depth=1
	v_bfe_u32 v11, v8, 16, 1
	v_add3_u32 v11, v8, v11, s15
                                        ; implicit-def: $vgpr8
; %bb.952:                              ;   in Loop: Header=BB399_644 Depth=1
	s_andn2_saveexec_b64 s[24:25], s[6:7]
; %bb.953:                              ;   in Loop: Header=BB399_644 Depth=1
	v_or_b32_e32 v11, 0x10000, v8
	v_cmp_eq_u32_sdwa s[6:7], v8, v31 src0_sel:WORD_0 src1_sel:DWORD
	v_cndmask_b32_e64 v11, v11, v8, s[6:7]
; %bb.954:                              ;   in Loop: Header=BB399_644 Depth=1
	s_or_b64 exec, exec, s[24:25]
	v_lshrrev_b16_e32 v8, 8, v30
	v_cmp_ne_u16_e64 s[6:7], 0, v8
	v_mov_b32_e32 v12, 0
	s_and_saveexec_b64 s[24:25], s[6:7]
	s_cbranch_execz .LBB399_960
; %bb.955:                              ;   in Loop: Header=BB399_644 Depth=1
	v_cmp_ne_u16_e64 s[6:7], s19, v8
	v_bfrev_b32_e32 v12, 1
	s_and_saveexec_b64 s[26:27], s[6:7]
	s_cbranch_execz .LBB399_959
; %bb.956:                              ;   in Loop: Header=BB399_644 Depth=1
	v_and_b32_e32 v13, 0x7f, v8
	v_cmp_ne_u32_e64 s[6:7], s34, v13
	v_mov_b32_e32 v12, 0x7f800001
	s_and_saveexec_b64 s[28:29], s[6:7]
	s_cbranch_execz .LBB399_958
; %bb.957:                              ;   in Loop: Header=BB399_644 Depth=1
	v_and_b32_e32 v12, 7, v8
	v_ffbh_u32_e32 v22, v12
	v_min_u32_e32 v27, 32, v22
	v_subrev_u32_e32 v22, 28, v27
	v_lshlrev_b64 v[22:23], v22, v[8:9]
	v_lshrrev_b32_e32 v26, 3, v13
	v_sub_u32_e32 v8, 29, v27
	v_and_b32_e32 v22, 7, v22
	v_cmp_gt_u32_e64 s[6:7], 8, v13
	v_cndmask_b32_e64 v8, v26, v8, s[6:7]
	v_cndmask_b32_e64 v12, v12, v22, s[6:7]
	v_lshlrev_b32_e32 v13, 16, v30
	v_bfrev_b32_e32 v22, 60
	v_lshlrev_b32_e32 v12, 20, v12
	v_and_b32_e32 v13, 0x80000000, v13
	v_lshl_add_u32 v8, v8, 23, v22
	v_or3_b32 v12, v13, v8, v12
.LBB399_958:                            ;   in Loop: Header=BB399_644 Depth=1
	s_or_b64 exec, exec, s[28:29]
.LBB399_959:                            ;   in Loop: Header=BB399_644 Depth=1
	s_or_b64 exec, exec, s[26:27]
.LBB399_960:                            ;   in Loop: Header=BB399_644 Depth=1
	s_or_b64 exec, exec, s[24:25]
	v_mul_f32_e32 v8, v38, v12
	v_and_b32_e32 v12, 0x7f800000, v8
	v_cmp_ne_u32_e64 s[6:7], s9, v12
                                        ; implicit-def: $vgpr12
	s_and_saveexec_b64 s[24:25], s[6:7]
	s_xor_b64 s[6:7], exec, s[24:25]
; %bb.961:                              ;   in Loop: Header=BB399_644 Depth=1
	v_bfe_u32 v12, v8, 16, 1
	v_add3_u32 v12, v8, v12, s15
                                        ; implicit-def: $vgpr8
; %bb.962:                              ;   in Loop: Header=BB399_644 Depth=1
	s_andn2_saveexec_b64 s[24:25], s[6:7]
; %bb.963:                              ;   in Loop: Header=BB399_644 Depth=1
	v_or_b32_e32 v12, 0x10000, v8
	v_cmp_eq_u32_sdwa s[6:7], v8, v31 src0_sel:WORD_0 src1_sel:DWORD
	v_cndmask_b32_e64 v12, v12, v8, s[6:7]
; %bb.964:                              ;   in Loop: Header=BB399_644 Depth=1
	s_or_b64 exec, exec, s[24:25]
	v_lshrrev_b32_e32 v8, 16, v7
	v_cmp_ne_u16_sdwa s[6:7], v8, v31 src0_sel:BYTE_0 src1_sel:DWORD
	v_mov_b32_e32 v13, 0
	s_and_saveexec_b64 s[24:25], s[6:7]
	s_cbranch_execz .LBB399_970
; %bb.965:                              ;   in Loop: Header=BB399_644 Depth=1
	v_cmp_ne_u16_sdwa s[6:7], v8, s19 src0_sel:BYTE_0 src1_sel:DWORD
	v_bfrev_b32_e32 v13, 1
	s_and_saveexec_b64 s[26:27], s[6:7]
	s_cbranch_execz .LBB399_969
; %bb.966:                              ;   in Loop: Header=BB399_644 Depth=1
	v_bfe_u32 v22, v7, 16, 7
	v_cmp_ne_u32_e64 s[6:7], s34, v22
	v_mov_b32_e32 v13, 0x7f800001
	s_and_saveexec_b64 s[28:29], s[6:7]
	s_cbranch_execz .LBB399_968
; %bb.967:                              ;   in Loop: Header=BB399_644 Depth=1
	v_and_b32_e32 v13, 7, v8
	v_ffbh_u32_e32 v26, v13
	v_min_u32_e32 v28, 32, v26
	v_subrev_u32_e32 v26, 28, v28
	v_lshlrev_b64 v[26:27], v26, v[8:9]
	v_lshrrev_b32_e32 v23, 3, v22
	v_sub_u32_e32 v27, 29, v28
	v_and_b32_e32 v26, 7, v26
	v_cmp_gt_u32_e64 s[6:7], 8, v22
	v_cndmask_b32_e64 v22, v23, v27, s[6:7]
	v_cndmask_b32_e64 v13, v13, v26, s[6:7]
	v_lshlrev_b32_e32 v8, 24, v8
	v_bfrev_b32_e32 v23, 60
	v_lshlrev_b32_e32 v13, 20, v13
	v_and_b32_e32 v8, 0x80000000, v8
	v_lshl_add_u32 v22, v22, 23, v23
	v_or3_b32 v13, v8, v22, v13
.LBB399_968:                            ;   in Loop: Header=BB399_644 Depth=1
	s_or_b64 exec, exec, s[28:29]
.LBB399_969:                            ;   in Loop: Header=BB399_644 Depth=1
	s_or_b64 exec, exec, s[26:27]
.LBB399_970:                            ;   in Loop: Header=BB399_644 Depth=1
	s_or_b64 exec, exec, s[24:25]
	v_mul_f32_e32 v8, v38, v13
	v_and_b32_e32 v13, 0x7f800000, v8
	v_cmp_ne_u32_e64 s[6:7], s9, v13
                                        ; implicit-def: $vgpr13
	s_and_saveexec_b64 s[24:25], s[6:7]
	s_xor_b64 s[6:7], exec, s[24:25]
; %bb.971:                              ;   in Loop: Header=BB399_644 Depth=1
	v_bfe_u32 v13, v8, 16, 1
	v_add3_u32 v13, v8, v13, s15
                                        ; implicit-def: $vgpr8
; %bb.972:                              ;   in Loop: Header=BB399_644 Depth=1
	s_andn2_saveexec_b64 s[24:25], s[6:7]
; %bb.973:                              ;   in Loop: Header=BB399_644 Depth=1
	v_or_b32_e32 v13, 0x10000, v8
	v_cmp_eq_u32_sdwa s[6:7], v8, v31 src0_sel:WORD_0 src1_sel:DWORD
	v_cndmask_b32_e64 v13, v13, v8, s[6:7]
; %bb.974:                              ;   in Loop: Header=BB399_644 Depth=1
	s_or_b64 exec, exec, s[24:25]
	v_cmp_lt_u64_e64 s[6:7], s[12:13], v[6:7]
	v_mov_b32_e32 v8, 0
	s_and_saveexec_b64 s[24:25], s[6:7]
	s_cbranch_execz .LBB399_980
; %bb.975:                              ;   in Loop: Header=BB399_644 Depth=1
	v_lshrrev_b32_e32 v6, 24, v7
	v_cmp_ne_u32_e64 s[6:7], s19, v6
	v_bfrev_b32_e32 v8, 1
	s_and_saveexec_b64 s[26:27], s[6:7]
	s_cbranch_execz .LBB399_979
; %bb.976:                              ;   in Loop: Header=BB399_644 Depth=1
	v_bfe_u32 v7, v7, 24, 7
	v_cmp_ne_u32_e64 s[6:7], s34, v7
	v_mov_b32_e32 v8, 0x7f800001
	s_and_saveexec_b64 s[28:29], s[6:7]
	s_cbranch_execz .LBB399_978
; %bb.977:                              ;   in Loop: Header=BB399_644 Depth=1
	v_and_b32_e32 v8, 7, v6
	v_ffbh_u32_e32 v22, v8
	v_min_u32_e32 v27, 32, v22
	v_subrev_u32_e32 v22, 28, v27
	v_lshlrev_b64 v[22:23], v22, v[6:7]
	v_lshrrev_b32_e32 v26, 3, v7
	v_sub_u32_e32 v23, 29, v27
	v_and_b32_e32 v22, 7, v22
	v_cmp_gt_u32_e64 s[6:7], 8, v7
	v_cndmask_b32_e64 v7, v26, v23, s[6:7]
	v_cndmask_b32_e64 v8, v8, v22, s[6:7]
	v_lshlrev_b32_e32 v6, 24, v6
	v_bfrev_b32_e32 v22, 60
	v_lshlrev_b32_e32 v8, 20, v8
	v_and_b32_e32 v6, 0x80000000, v6
	v_lshl_add_u32 v7, v7, 23, v22
	v_or3_b32 v8, v6, v7, v8
.LBB399_978:                            ;   in Loop: Header=BB399_644 Depth=1
	s_or_b64 exec, exec, s[28:29]
.LBB399_979:                            ;   in Loop: Header=BB399_644 Depth=1
	s_or_b64 exec, exec, s[26:27]
.LBB399_980:                            ;   in Loop: Header=BB399_644 Depth=1
	s_or_b64 exec, exec, s[24:25]
	v_mul_f32_e32 v6, v38, v8
	v_and_b32_e32 v7, 0x7f800000, v6
	v_cmp_ne_u32_e64 s[6:7], s9, v7
                                        ; implicit-def: $vgpr22
	s_and_saveexec_b64 s[24:25], s[6:7]
	s_xor_b64 s[6:7], exec, s[24:25]
; %bb.981:                              ;   in Loop: Header=BB399_644 Depth=1
	v_bfe_u32 v7, v6, 16, 1
	v_add3_u32 v22, v6, v7, s15
                                        ; implicit-def: $vgpr6
; %bb.982:                              ;   in Loop: Header=BB399_644 Depth=1
	s_andn2_saveexec_b64 s[24:25], s[6:7]
; %bb.983:                              ;   in Loop: Header=BB399_644 Depth=1
	v_or_b32_e32 v7, 0x10000, v6
	v_cmp_eq_u32_sdwa s[6:7], v6, v31 src0_sel:WORD_0 src1_sel:DWORD
	v_cndmask_b32_e64 v22, v7, v6, s[6:7]
; %bb.984:                              ;   in Loop: Header=BB399_644 Depth=1
	s_or_b64 exec, exec, s[24:25]
	v_lshrrev_b32_e32 v6, 16, v12
	v_lshrrev_b32_e32 v7, 16, v11
	;; [unrolled: 1-line block ×8, first 2 shown]
	s_and_saveexec_b64 s[24:25], s[4:5]
	s_cbranch_execz .LBB399_986
; %bb.985:                              ;   in Loop: Header=BB399_644 Depth=1
	v_accvgpr_read_b32 v12, a26
	v_cmp_lt_i32_e64 s[6:7], v12, v33
	v_add_u32_e32 v12, -6, v17
	v_cndmask_b32_e64 v11, 0, v11, s[6:7]
	v_cmp_lt_i32_e64 s[6:7], v12, v33
	v_add_u32_e32 v12, -5, v17
	v_cndmask_b32_e64 v10, 0, v10, s[6:7]
	v_cmp_lt_i32_e64 s[6:7], v12, v33
	v_add_u32_e32 v12, -4, v17
	v_cndmask_b32_e64 v9, 0, v9, s[6:7]
	v_cmp_lt_i32_e64 s[6:7], v12, v33
	v_add_u32_e32 v12, -3, v17
	v_cndmask_b32_e64 v8, 0, v8, s[6:7]
	v_cmp_lt_i32_e64 s[6:7], v12, v33
	v_add_u32_e32 v12, -2, v17
	v_cndmask_b32_e64 v7, 0, v7, s[6:7]
	v_cmp_lt_i32_e64 s[6:7], v12, v33
	v_add_u32_e32 v12, -1, v17
	v_cndmask_b32_e64 v6, 0, v6, s[6:7]
	v_cmp_lt_i32_e64 s[6:7], v12, v33
	v_cndmask_b32_e64 v5, 0, v5, s[6:7]
	v_cmp_lt_i32_e64 s[6:7], v17, v33
	v_cndmask_b32_e64 v4, 0, v4, s[6:7]
.LBB399_986:                            ;   in Loop: Header=BB399_644 Depth=1
	s_or_b64 exec, exec, s[24:25]
	v_lshlrev_b32_e32 v11, 16, v11
	v_mul_f32_e32 v11, v42, v11
	v_and_b32_e32 v12, 0x7f800000, v11
	v_cmp_ne_u32_e64 s[6:7], s9, v12
                                        ; implicit-def: $agpr0
	s_and_saveexec_b64 s[24:25], s[6:7]
	s_xor_b64 s[6:7], exec, s[24:25]
; %bb.987:                              ;   in Loop: Header=BB399_644 Depth=1
	v_bfe_u32 v12, v11, 16, 1
	v_add3_u32 v11, v11, v12, s15
	v_accvgpr_write_b32 a0, v11
                                        ; implicit-def: $vgpr11
; %bb.988:                              ;   in Loop: Header=BB399_644 Depth=1
	s_andn2_saveexec_b64 s[24:25], s[6:7]
; %bb.989:                              ;   in Loop: Header=BB399_644 Depth=1
	v_or_b32_e32 v12, 0x10000, v11
	v_cmp_eq_u32_sdwa s[6:7], v11, v31 src0_sel:WORD_0 src1_sel:DWORD
	v_cndmask_b32_e64 v11, v12, v11, s[6:7]
	v_accvgpr_write_b32 a0, v11
; %bb.990:                              ;   in Loop: Header=BB399_644 Depth=1
	s_or_b64 exec, exec, s[24:25]
	v_lshlrev_b32_e32 v10, 16, v10
	v_mul_f32_e32 v10, v43, v10
	v_and_b32_e32 v11, 0x7f800000, v10
	v_cmp_ne_u32_e64 s[6:7], s9, v11
                                        ; implicit-def: $agpr1
	s_and_saveexec_b64 s[24:25], s[6:7]
	s_xor_b64 s[6:7], exec, s[24:25]
; %bb.991:                              ;   in Loop: Header=BB399_644 Depth=1
	v_bfe_u32 v11, v10, 16, 1
	v_add3_u32 v10, v10, v11, s15
	v_accvgpr_write_b32 a1, v10
                                        ; implicit-def: $vgpr10
; %bb.992:                              ;   in Loop: Header=BB399_644 Depth=1
	s_andn2_saveexec_b64 s[24:25], s[6:7]
; %bb.993:                              ;   in Loop: Header=BB399_644 Depth=1
	v_or_b32_e32 v11, 0x10000, v10
	v_cmp_eq_u32_sdwa s[6:7], v10, v31 src0_sel:WORD_0 src1_sel:DWORD
	v_cndmask_b32_e64 v10, v11, v10, s[6:7]
	v_accvgpr_write_b32 a1, v10
; %bb.994:                              ;   in Loop: Header=BB399_644 Depth=1
	s_or_b64 exec, exec, s[24:25]
	v_lshlrev_b32_e32 v9, 16, v9
	v_mul_f32_e32 v9, v44, v9
	v_and_b32_e32 v10, 0x7f800000, v9
	v_cmp_ne_u32_e64 s[6:7], s9, v10
                                        ; implicit-def: $agpr2
	s_and_saveexec_b64 s[24:25], s[6:7]
	s_xor_b64 s[6:7], exec, s[24:25]
; %bb.995:                              ;   in Loop: Header=BB399_644 Depth=1
	v_bfe_u32 v10, v9, 16, 1
	v_add3_u32 v9, v9, v10, s15
	v_accvgpr_write_b32 a2, v9
                                        ; implicit-def: $vgpr9
; %bb.996:                              ;   in Loop: Header=BB399_644 Depth=1
	s_andn2_saveexec_b64 s[24:25], s[6:7]
; %bb.997:                              ;   in Loop: Header=BB399_644 Depth=1
	v_or_b32_e32 v10, 0x10000, v9
	v_cmp_eq_u32_sdwa s[6:7], v9, v31 src0_sel:WORD_0 src1_sel:DWORD
	v_cndmask_b32_e64 v9, v10, v9, s[6:7]
	v_accvgpr_write_b32 a2, v9
; %bb.998:                              ;   in Loop: Header=BB399_644 Depth=1
	s_or_b64 exec, exec, s[24:25]
	v_lshlrev_b32_e32 v8, 16, v8
	v_mul_f32_e32 v8, v45, v8
	v_and_b32_e32 v9, 0x7f800000, v8
	v_cmp_ne_u32_e64 s[6:7], s9, v9
                                        ; implicit-def: $agpr3
	s_and_saveexec_b64 s[24:25], s[6:7]
	s_xor_b64 s[6:7], exec, s[24:25]
; %bb.999:                              ;   in Loop: Header=BB399_644 Depth=1
	v_bfe_u32 v9, v8, 16, 1
	v_add3_u32 v8, v8, v9, s15
	v_accvgpr_write_b32 a3, v8
                                        ; implicit-def: $vgpr8
; %bb.1000:                             ;   in Loop: Header=BB399_644 Depth=1
	s_andn2_saveexec_b64 s[24:25], s[6:7]
; %bb.1001:                             ;   in Loop: Header=BB399_644 Depth=1
	v_or_b32_e32 v9, 0x10000, v8
	v_cmp_eq_u32_sdwa s[6:7], v8, v31 src0_sel:WORD_0 src1_sel:DWORD
	v_cndmask_b32_e64 v8, v9, v8, s[6:7]
	v_accvgpr_write_b32 a3, v8
; %bb.1002:                             ;   in Loop: Header=BB399_644 Depth=1
	s_or_b64 exec, exec, s[24:25]
	v_lshlrev_b32_e32 v7, 16, v7
	v_mul_f32_e32 v7, v46, v7
	v_and_b32_e32 v8, 0x7f800000, v7
	v_cmp_ne_u32_e64 s[6:7], s9, v8
                                        ; implicit-def: $agpr4
	s_and_saveexec_b64 s[24:25], s[6:7]
	s_xor_b64 s[6:7], exec, s[24:25]
; %bb.1003:                             ;   in Loop: Header=BB399_644 Depth=1
	v_bfe_u32 v8, v7, 16, 1
	v_add3_u32 v7, v7, v8, s15
	v_accvgpr_write_b32 a4, v7
                                        ; implicit-def: $vgpr7
; %bb.1004:                             ;   in Loop: Header=BB399_644 Depth=1
	s_andn2_saveexec_b64 s[24:25], s[6:7]
; %bb.1005:                             ;   in Loop: Header=BB399_644 Depth=1
	v_or_b32_e32 v8, 0x10000, v7
	v_cmp_eq_u32_sdwa s[6:7], v7, v31 src0_sel:WORD_0 src1_sel:DWORD
	v_cndmask_b32_e64 v7, v8, v7, s[6:7]
	v_accvgpr_write_b32 a4, v7
; %bb.1006:                             ;   in Loop: Header=BB399_644 Depth=1
	s_or_b64 exec, exec, s[24:25]
	v_lshlrev_b32_e32 v6, 16, v6
	v_mul_f32_e32 v6, v47, v6
	v_and_b32_e32 v7, 0x7f800000, v6
	v_cmp_ne_u32_e64 s[6:7], s9, v7
                                        ; implicit-def: $agpr5
	s_and_saveexec_b64 s[24:25], s[6:7]
	s_xor_b64 s[6:7], exec, s[24:25]
; %bb.1007:                             ;   in Loop: Header=BB399_644 Depth=1
	v_bfe_u32 v7, v6, 16, 1
	v_add3_u32 v6, v6, v7, s15
	v_accvgpr_write_b32 a5, v6
                                        ; implicit-def: $vgpr6
; %bb.1008:                             ;   in Loop: Header=BB399_644 Depth=1
	s_andn2_saveexec_b64 s[24:25], s[6:7]
; %bb.1009:                             ;   in Loop: Header=BB399_644 Depth=1
	v_or_b32_e32 v7, 0x10000, v6
	v_cmp_eq_u32_sdwa s[6:7], v6, v31 src0_sel:WORD_0 src1_sel:DWORD
	v_cndmask_b32_e64 v6, v7, v6, s[6:7]
	v_accvgpr_write_b32 a5, v6
; %bb.1010:                             ;   in Loop: Header=BB399_644 Depth=1
	s_or_b64 exec, exec, s[24:25]
	v_lshlrev_b32_e32 v5, 16, v5
	v_mul_f32_e32 v5, v56, v5
	v_and_b32_e32 v6, 0x7f800000, v5
	v_cmp_ne_u32_e64 s[6:7], s9, v6
                                        ; implicit-def: $agpr35
	s_and_saveexec_b64 s[24:25], s[6:7]
	s_xor_b64 s[6:7], exec, s[24:25]
; %bb.1011:                             ;   in Loop: Header=BB399_644 Depth=1
	v_bfe_u32 v6, v5, 16, 1
	v_add3_u32 v5, v5, v6, s15
	v_accvgpr_write_b32 a35, v5
                                        ; implicit-def: $vgpr5
; %bb.1012:                             ;   in Loop: Header=BB399_644 Depth=1
	s_andn2_saveexec_b64 s[24:25], s[6:7]
; %bb.1013:                             ;   in Loop: Header=BB399_644 Depth=1
	v_or_b32_e32 v6, 0x10000, v5
	v_cmp_eq_u32_sdwa s[6:7], v5, v31 src0_sel:WORD_0 src1_sel:DWORD
	v_cndmask_b32_e64 v5, v6, v5, s[6:7]
	v_accvgpr_write_b32 a35, v5
; %bb.1014:                             ;   in Loop: Header=BB399_644 Depth=1
	s_or_b64 exec, exec, s[24:25]
	v_lshlrev_b32_e32 v4, 16, v4
	v_mul_f32_e32 v4, v57, v4
	v_and_b32_e32 v5, 0x7f800000, v4
	v_cmp_ne_u32_e64 s[6:7], s9, v5
                                        ; implicit-def: $agpr36
	s_and_saveexec_b64 s[24:25], s[6:7]
	s_xor_b64 s[6:7], exec, s[24:25]
; %bb.1015:                             ;   in Loop: Header=BB399_644 Depth=1
	v_bfe_u32 v5, v4, 16, 1
	v_add3_u32 v4, v4, v5, s15
	v_accvgpr_write_b32 a36, v4
                                        ; implicit-def: $vgpr4
; %bb.1016:                             ;   in Loop: Header=BB399_644 Depth=1
	s_andn2_saveexec_b64 s[24:25], s[6:7]
; %bb.1017:                             ;   in Loop: Header=BB399_644 Depth=1
	v_or_b32_e32 v5, 0x10000, v4
	v_cmp_eq_u32_sdwa s[6:7], v4, v31 src0_sel:WORD_0 src1_sel:DWORD
	v_cndmask_b32_e64 v4, v5, v4, s[6:7]
	v_accvgpr_write_b32 a36, v4
; %bb.1018:                             ;   in Loop: Header=BB399_644 Depth=1
	s_or_b64 exec, exec, s[24:25]
	flat_load_dwordx2 v[6:7], v[2:3] offset:1536
	v_mov_b32_e32 v4, 0
	s_waitcnt vmcnt(0) lgkmcnt(0)
	v_cmp_ne_u16_sdwa s[6:7], v6, v31 src0_sel:BYTE_0 src1_sel:DWORD
	s_and_saveexec_b64 s[24:25], s[6:7]
	s_cbranch_execz .LBB399_1024
; %bb.1019:                             ;   in Loop: Header=BB399_644 Depth=1
	v_cmp_ne_u16_sdwa s[6:7], v6, s19 src0_sel:BYTE_0 src1_sel:DWORD
	v_bfrev_b32_e32 v4, 1
	s_and_saveexec_b64 s[26:27], s[6:7]
	s_cbranch_execz .LBB399_1023
; %bb.1020:                             ;   in Loop: Header=BB399_644 Depth=1
	v_and_b32_e32 v5, 0x7f, v6
	v_cmp_ne_u32_e64 s[6:7], s34, v5
	v_mov_b32_e32 v4, 0x7f800001
	s_and_saveexec_b64 s[28:29], s[6:7]
	s_cbranch_execz .LBB399_1022
; %bb.1021:                             ;   in Loop: Header=BB399_644 Depth=1
	v_and_b32_e32 v4, 7, v6
	v_ffbh_u32_e32 v4, v4
	v_min_u32_e32 v4, 32, v4
	v_lshrrev_b32_e32 v8, 3, v5
	v_subrev_u32_e32 v9, 28, v4
	v_sub_u32_e32 v4, 29, v4
	v_cmp_gt_u32_e64 s[6:7], 8, v5
	v_cndmask_b32_e64 v8, v8, v4, s[6:7]
	v_cndmask_b32_e64 v4, 0, v9, s[6:7]
	v_lshlrev_b64 v[4:5], v4, v[6:7]
	v_lshlrev_b32_e32 v4, 20, v4
	v_lshlrev_b32_e32 v5, 24, v6
	v_bfrev_b32_e32 v9, 60
	v_and_b32_e32 v4, 0x700000, v4
	v_and_b32_e32 v5, 0x80000000, v5
	v_lshl_add_u32 v8, v8, 23, v9
	v_or3_b32 v4, v5, v8, v4
.LBB399_1022:                           ;   in Loop: Header=BB399_644 Depth=1
	s_or_b64 exec, exec, s[28:29]
.LBB399_1023:                           ;   in Loop: Header=BB399_644 Depth=1
	s_or_b64 exec, exec, s[26:27]
.LBB399_1024:                           ;   in Loop: Header=BB399_644 Depth=1
	s_or_b64 exec, exec, s[24:25]
	v_mul_f32_e32 v5, v38, v4
	v_and_b32_e32 v4, 0x7f800000, v5
	v_cmp_ne_u32_e64 s[6:7], s9, v4
                                        ; implicit-def: $vgpr4
	s_and_saveexec_b64 s[24:25], s[6:7]
	s_xor_b64 s[6:7], exec, s[24:25]
; %bb.1025:                             ;   in Loop: Header=BB399_644 Depth=1
	v_bfe_u32 v4, v5, 16, 1
	v_add3_u32 v4, v5, v4, s15
                                        ; implicit-def: $vgpr5
; %bb.1026:                             ;   in Loop: Header=BB399_644 Depth=1
	s_andn2_saveexec_b64 s[24:25], s[6:7]
; %bb.1027:                             ;   in Loop: Header=BB399_644 Depth=1
	v_or_b32_e32 v4, 0x10000, v5
	v_cmp_eq_u32_sdwa s[6:7], v5, v31 src0_sel:WORD_0 src1_sel:DWORD
	v_cndmask_b32_e64 v4, v4, v5, s[6:7]
; %bb.1028:                             ;   in Loop: Header=BB399_644 Depth=1
	s_or_b64 exec, exec, s[24:25]
	v_lshrrev_b16_e32 v8, 8, v6
	v_cmp_ne_u16_e64 s[6:7], 0, v8
	v_mov_b32_e32 v5, 0
	s_and_saveexec_b64 s[24:25], s[6:7]
	s_cbranch_execz .LBB399_1034
; %bb.1029:                             ;   in Loop: Header=BB399_644 Depth=1
	v_cmp_ne_u16_e64 s[6:7], s19, v8
	v_bfrev_b32_e32 v5, 1
	s_and_saveexec_b64 s[26:27], s[6:7]
	s_cbranch_execz .LBB399_1033
; %bb.1030:                             ;   in Loop: Header=BB399_644 Depth=1
	v_and_b32_e32 v9, 0x7f, v8
	v_cmp_ne_u32_e64 s[6:7], s34, v9
	v_mov_b32_e32 v5, 0x7f800001
	s_and_saveexec_b64 s[28:29], s[6:7]
	s_cbranch_execz .LBB399_1032
; %bb.1031:                             ;   in Loop: Header=BB399_644 Depth=1
	v_and_b32_e32 v5, 7, v8
	v_ffbh_u32_e32 v10, v5
	v_min_u32_e32 v13, 32, v10
	v_subrev_u32_e32 v10, 28, v13
	v_lshlrev_b64 v[10:11], v10, v[8:9]
	v_lshrrev_b32_e32 v12, 3, v9
	v_sub_u32_e32 v8, 29, v13
	v_and_b32_e32 v10, 7, v10
	v_cmp_gt_u32_e64 s[6:7], 8, v9
	v_cndmask_b32_e64 v8, v12, v8, s[6:7]
	v_cndmask_b32_e64 v5, v5, v10, s[6:7]
	v_lshlrev_b32_e32 v9, 16, v6
	v_bfrev_b32_e32 v10, 60
	v_lshlrev_b32_e32 v5, 20, v5
	v_and_b32_e32 v9, 0x80000000, v9
	v_lshl_add_u32 v8, v8, 23, v10
	v_or3_b32 v5, v9, v8, v5
.LBB399_1032:                           ;   in Loop: Header=BB399_644 Depth=1
	s_or_b64 exec, exec, s[28:29]
.LBB399_1033:                           ;   in Loop: Header=BB399_644 Depth=1
	s_or_b64 exec, exec, s[26:27]
.LBB399_1034:                           ;   in Loop: Header=BB399_644 Depth=1
	s_or_b64 exec, exec, s[24:25]
	v_mul_f32_e32 v8, v38, v5
	v_and_b32_e32 v5, 0x7f800000, v8
	v_cmp_ne_u32_e64 s[6:7], s9, v5
                                        ; implicit-def: $vgpr5
	s_and_saveexec_b64 s[24:25], s[6:7]
	s_xor_b64 s[6:7], exec, s[24:25]
; %bb.1035:                             ;   in Loop: Header=BB399_644 Depth=1
	v_bfe_u32 v5, v8, 16, 1
	v_add3_u32 v5, v8, v5, s15
                                        ; implicit-def: $vgpr8
; %bb.1036:                             ;   in Loop: Header=BB399_644 Depth=1
	s_andn2_saveexec_b64 s[24:25], s[6:7]
; %bb.1037:                             ;   in Loop: Header=BB399_644 Depth=1
	v_or_b32_e32 v5, 0x10000, v8
	v_cmp_eq_u32_sdwa s[6:7], v8, v31 src0_sel:WORD_0 src1_sel:DWORD
	v_cndmask_b32_e64 v5, v5, v8, s[6:7]
; %bb.1038:                             ;   in Loop: Header=BB399_644 Depth=1
	s_or_b64 exec, exec, s[24:25]
	v_lshrrev_b32_e32 v8, 16, v6
	v_cmp_ne_u16_sdwa s[6:7], v8, v31 src0_sel:BYTE_0 src1_sel:DWORD
	v_mov_b32_e32 v9, 0
	s_and_saveexec_b64 s[24:25], s[6:7]
	s_cbranch_execz .LBB399_1044
; %bb.1039:                             ;   in Loop: Header=BB399_644 Depth=1
	v_cmp_ne_u16_sdwa s[6:7], v8, s19 src0_sel:BYTE_0 src1_sel:DWORD
	v_bfrev_b32_e32 v9, 1
	s_and_saveexec_b64 s[26:27], s[6:7]
	s_cbranch_execz .LBB399_1043
; %bb.1040:                             ;   in Loop: Header=BB399_644 Depth=1
	v_bfe_u32 v10, v6, 16, 7
	v_cmp_ne_u32_e64 s[6:7], s34, v10
	v_mov_b32_e32 v9, 0x7f800001
	s_and_saveexec_b64 s[28:29], s[6:7]
	s_cbranch_execz .LBB399_1042
; %bb.1041:                             ;   in Loop: Header=BB399_644 Depth=1
	v_and_b32_e32 v9, 7, v8
	v_ffbh_u32_e32 v12, v9
	v_min_u32_e32 v22, 32, v12
	v_subrev_u32_e32 v12, 28, v22
	v_lshlrev_b64 v[12:13], v12, v[8:9]
	v_lshrrev_b32_e32 v11, 3, v10
	v_sub_u32_e32 v13, 29, v22
	v_and_b32_e32 v12, 7, v12
	v_cmp_gt_u32_e64 s[6:7], 8, v10
	v_cndmask_b32_e64 v10, v11, v13, s[6:7]
	v_cndmask_b32_e64 v9, v9, v12, s[6:7]
	v_lshlrev_b32_e32 v8, 24, v8
	v_bfrev_b32_e32 v11, 60
	v_lshlrev_b32_e32 v9, 20, v9
	v_and_b32_e32 v8, 0x80000000, v8
	v_lshl_add_u32 v10, v10, 23, v11
	v_or3_b32 v9, v8, v10, v9
.LBB399_1042:                           ;   in Loop: Header=BB399_644 Depth=1
	s_or_b64 exec, exec, s[28:29]
.LBB399_1043:                           ;   in Loop: Header=BB399_644 Depth=1
	s_or_b64 exec, exec, s[26:27]
.LBB399_1044:                           ;   in Loop: Header=BB399_644 Depth=1
	s_or_b64 exec, exec, s[24:25]
	v_mul_f32_e32 v8, v38, v9
	v_and_b32_e32 v9, 0x7f800000, v8
	v_cmp_ne_u32_e64 s[6:7], s9, v9
                                        ; implicit-def: $vgpr9
	s_and_saveexec_b64 s[24:25], s[6:7]
	s_xor_b64 s[6:7], exec, s[24:25]
; %bb.1045:                             ;   in Loop: Header=BB399_644 Depth=1
	v_bfe_u32 v9, v8, 16, 1
	v_add3_u32 v9, v8, v9, s15
                                        ; implicit-def: $vgpr8
; %bb.1046:                             ;   in Loop: Header=BB399_644 Depth=1
	s_andn2_saveexec_b64 s[24:25], s[6:7]
; %bb.1047:                             ;   in Loop: Header=BB399_644 Depth=1
	v_or_b32_e32 v9, 0x10000, v8
	v_cmp_eq_u32_sdwa s[6:7], v8, v31 src0_sel:WORD_0 src1_sel:DWORD
	v_cndmask_b32_e64 v9, v9, v8, s[6:7]
; %bb.1048:                             ;   in Loop: Header=BB399_644 Depth=1
	s_or_b64 exec, exec, s[24:25]
	v_cmp_lt_u32_e64 s[6:7], s13, v6
	v_mov_b32_e32 v10, 0
	s_and_saveexec_b64 s[24:25], s[6:7]
	s_cbranch_execz .LBB399_1054
; %bb.1049:                             ;   in Loop: Header=BB399_644 Depth=1
	v_lshrrev_b32_e32 v8, 24, v6
	v_cmp_ne_u32_e64 s[6:7], s19, v8
	v_bfrev_b32_e32 v10, 1
	s_and_saveexec_b64 s[26:27], s[6:7]
	s_cbranch_execz .LBB399_1053
; %bb.1050:                             ;   in Loop: Header=BB399_644 Depth=1
	v_bfe_u32 v11, v6, 24, 7
	v_cmp_ne_u32_e64 s[6:7], s34, v11
	v_mov_b32_e32 v10, 0x7f800001
	s_and_saveexec_b64 s[28:29], s[6:7]
	s_cbranch_execz .LBB399_1052
; %bb.1051:                             ;   in Loop: Header=BB399_644 Depth=1
	v_and_b32_e32 v10, 7, v8
	v_ffbh_u32_e32 v12, v10
	v_min_u32_e32 v23, 32, v12
	v_subrev_u32_e32 v12, 28, v23
	v_lshlrev_b64 v[12:13], v12, v[8:9]
	v_lshrrev_b32_e32 v22, 3, v11
	v_sub_u32_e32 v13, 29, v23
	v_and_b32_e32 v12, 7, v12
	v_cmp_gt_u32_e64 s[6:7], 8, v11
	v_cndmask_b32_e64 v11, v22, v13, s[6:7]
	v_cndmask_b32_e64 v10, v10, v12, s[6:7]
	v_lshlrev_b32_e32 v8, 24, v8
	v_bfrev_b32_e32 v12, 60
	v_lshlrev_b32_e32 v10, 20, v10
	v_and_b32_e32 v8, 0x80000000, v8
	v_lshl_add_u32 v11, v11, 23, v12
	v_or3_b32 v10, v8, v11, v10
.LBB399_1052:                           ;   in Loop: Header=BB399_644 Depth=1
	s_or_b64 exec, exec, s[28:29]
.LBB399_1053:                           ;   in Loop: Header=BB399_644 Depth=1
	s_or_b64 exec, exec, s[26:27]
.LBB399_1054:                           ;   in Loop: Header=BB399_644 Depth=1
	s_or_b64 exec, exec, s[24:25]
	v_mul_f32_e32 v8, v38, v10
	v_and_b32_e32 v10, 0x7f800000, v8
	v_cmp_ne_u32_e64 s[6:7], s9, v10
                                        ; implicit-def: $vgpr10
	s_and_saveexec_b64 s[24:25], s[6:7]
	s_xor_b64 s[6:7], exec, s[24:25]
; %bb.1055:                             ;   in Loop: Header=BB399_644 Depth=1
	v_bfe_u32 v10, v8, 16, 1
	v_add3_u32 v10, v8, v10, s15
                                        ; implicit-def: $vgpr8
; %bb.1056:                             ;   in Loop: Header=BB399_644 Depth=1
	s_andn2_saveexec_b64 s[24:25], s[6:7]
; %bb.1057:                             ;   in Loop: Header=BB399_644 Depth=1
	v_or_b32_e32 v10, 0x10000, v8
	v_cmp_eq_u32_sdwa s[6:7], v8, v31 src0_sel:WORD_0 src1_sel:DWORD
	v_cndmask_b32_e64 v10, v10, v8, s[6:7]
; %bb.1058:                             ;   in Loop: Header=BB399_644 Depth=1
	s_or_b64 exec, exec, s[24:25]
	v_mov_b32_e32 v30, v7
	v_cmp_ne_u16_sdwa s[6:7], v7, v31 src0_sel:BYTE_0 src1_sel:DWORD
	v_mov_b32_e32 v8, 0
	s_and_saveexec_b64 s[24:25], s[6:7]
	s_cbranch_execz .LBB399_1064
; %bb.1059:                             ;   in Loop: Header=BB399_644 Depth=1
	v_cmp_ne_u16_sdwa s[6:7], v7, s19 src0_sel:BYTE_0 src1_sel:DWORD
	v_bfrev_b32_e32 v8, 1
	s_and_saveexec_b64 s[26:27], s[6:7]
	s_cbranch_execz .LBB399_1063
; %bb.1060:                             ;   in Loop: Header=BB399_644 Depth=1
	v_and_b32_e32 v11, 0x7f, v7
	v_cmp_ne_u32_e64 s[6:7], s34, v11
	v_mov_b32_e32 v8, 0x7f800001
	s_and_saveexec_b64 s[28:29], s[6:7]
	s_cbranch_execz .LBB399_1062
; %bb.1061:                             ;   in Loop: Header=BB399_644 Depth=1
	v_and_b32_e32 v8, 7, v7
	v_ffbh_u32_e32 v8, v8
	v_min_u32_e32 v8, 32, v8
	v_subrev_u32_e32 v13, 28, v8
	v_cmp_gt_u32_e64 s[6:7], 8, v11
	v_lshrrev_b32_e32 v12, 3, v11
	v_sub_u32_e32 v8, 29, v8
	v_cndmask_b32_e64 v11, 0, v13, s[6:7]
	v_cndmask_b32_e64 v8, v12, v8, s[6:7]
	v_lshlrev_b64 v[12:13], v11, v[30:31]
	v_lshlrev_b32_e32 v11, 20, v12
	v_lshlrev_b32_e32 v12, 24, v30
	v_bfrev_b32_e32 v13, 60
	v_and_b32_e32 v11, 0x700000, v11
	v_and_b32_e32 v12, 0x80000000, v12
	v_lshl_add_u32 v8, v8, 23, v13
	v_or3_b32 v8, v12, v8, v11
.LBB399_1062:                           ;   in Loop: Header=BB399_644 Depth=1
	s_or_b64 exec, exec, s[28:29]
.LBB399_1063:                           ;   in Loop: Header=BB399_644 Depth=1
	s_or_b64 exec, exec, s[26:27]
.LBB399_1064:                           ;   in Loop: Header=BB399_644 Depth=1
	s_or_b64 exec, exec, s[24:25]
	v_mul_f32_e32 v8, v38, v8
	v_and_b32_e32 v11, 0x7f800000, v8
	v_cmp_ne_u32_e64 s[6:7], s9, v11
                                        ; implicit-def: $vgpr11
	s_and_saveexec_b64 s[24:25], s[6:7]
	s_xor_b64 s[6:7], exec, s[24:25]
; %bb.1065:                             ;   in Loop: Header=BB399_644 Depth=1
	v_bfe_u32 v11, v8, 16, 1
	v_add3_u32 v11, v8, v11, s15
                                        ; implicit-def: $vgpr8
; %bb.1066:                             ;   in Loop: Header=BB399_644 Depth=1
	s_andn2_saveexec_b64 s[24:25], s[6:7]
; %bb.1067:                             ;   in Loop: Header=BB399_644 Depth=1
	v_or_b32_e32 v11, 0x10000, v8
	v_cmp_eq_u32_sdwa s[6:7], v8, v31 src0_sel:WORD_0 src1_sel:DWORD
	v_cndmask_b32_e64 v11, v11, v8, s[6:7]
; %bb.1068:                             ;   in Loop: Header=BB399_644 Depth=1
	s_or_b64 exec, exec, s[24:25]
	v_lshrrev_b16_e32 v8, 8, v30
	v_cmp_ne_u16_e64 s[6:7], 0, v8
	v_mov_b32_e32 v12, 0
	s_and_saveexec_b64 s[24:25], s[6:7]
	s_cbranch_execz .LBB399_1074
; %bb.1069:                             ;   in Loop: Header=BB399_644 Depth=1
	v_cmp_ne_u16_e64 s[6:7], s19, v8
	v_bfrev_b32_e32 v12, 1
	s_and_saveexec_b64 s[26:27], s[6:7]
	s_cbranch_execz .LBB399_1073
; %bb.1070:                             ;   in Loop: Header=BB399_644 Depth=1
	v_and_b32_e32 v13, 0x7f, v8
	v_cmp_ne_u32_e64 s[6:7], s34, v13
	v_mov_b32_e32 v12, 0x7f800001
	s_and_saveexec_b64 s[28:29], s[6:7]
	s_cbranch_execz .LBB399_1072
; %bb.1071:                             ;   in Loop: Header=BB399_644 Depth=1
	v_and_b32_e32 v12, 7, v8
	v_ffbh_u32_e32 v22, v12
	v_min_u32_e32 v27, 32, v22
	v_subrev_u32_e32 v22, 28, v27
	v_lshlrev_b64 v[22:23], v22, v[8:9]
	v_lshrrev_b32_e32 v26, 3, v13
	v_sub_u32_e32 v8, 29, v27
	v_and_b32_e32 v22, 7, v22
	v_cmp_gt_u32_e64 s[6:7], 8, v13
	v_cndmask_b32_e64 v8, v26, v8, s[6:7]
	v_cndmask_b32_e64 v12, v12, v22, s[6:7]
	v_lshlrev_b32_e32 v13, 16, v30
	v_bfrev_b32_e32 v22, 60
	v_lshlrev_b32_e32 v12, 20, v12
	v_and_b32_e32 v13, 0x80000000, v13
	v_lshl_add_u32 v8, v8, 23, v22
	v_or3_b32 v12, v13, v8, v12
.LBB399_1072:                           ;   in Loop: Header=BB399_644 Depth=1
	s_or_b64 exec, exec, s[28:29]
.LBB399_1073:                           ;   in Loop: Header=BB399_644 Depth=1
	s_or_b64 exec, exec, s[26:27]
.LBB399_1074:                           ;   in Loop: Header=BB399_644 Depth=1
	s_or_b64 exec, exec, s[24:25]
	v_mul_f32_e32 v8, v38, v12
	v_and_b32_e32 v12, 0x7f800000, v8
	v_cmp_ne_u32_e64 s[6:7], s9, v12
                                        ; implicit-def: $vgpr12
	s_and_saveexec_b64 s[24:25], s[6:7]
	s_xor_b64 s[6:7], exec, s[24:25]
; %bb.1075:                             ;   in Loop: Header=BB399_644 Depth=1
	v_bfe_u32 v12, v8, 16, 1
	v_add3_u32 v12, v8, v12, s15
                                        ; implicit-def: $vgpr8
; %bb.1076:                             ;   in Loop: Header=BB399_644 Depth=1
	s_andn2_saveexec_b64 s[24:25], s[6:7]
; %bb.1077:                             ;   in Loop: Header=BB399_644 Depth=1
	v_or_b32_e32 v12, 0x10000, v8
	v_cmp_eq_u32_sdwa s[6:7], v8, v31 src0_sel:WORD_0 src1_sel:DWORD
	v_cndmask_b32_e64 v12, v12, v8, s[6:7]
; %bb.1078:                             ;   in Loop: Header=BB399_644 Depth=1
	s_or_b64 exec, exec, s[24:25]
	v_lshrrev_b32_e32 v8, 16, v7
	v_cmp_ne_u16_sdwa s[6:7], v8, v31 src0_sel:BYTE_0 src1_sel:DWORD
	v_mov_b32_e32 v13, 0
	s_and_saveexec_b64 s[24:25], s[6:7]
	s_cbranch_execz .LBB399_1084
; %bb.1079:                             ;   in Loop: Header=BB399_644 Depth=1
	v_cmp_ne_u16_sdwa s[6:7], v8, s19 src0_sel:BYTE_0 src1_sel:DWORD
	v_bfrev_b32_e32 v13, 1
	s_and_saveexec_b64 s[26:27], s[6:7]
	s_cbranch_execz .LBB399_1083
; %bb.1080:                             ;   in Loop: Header=BB399_644 Depth=1
	v_bfe_u32 v22, v7, 16, 7
	v_cmp_ne_u32_e64 s[6:7], s34, v22
	v_mov_b32_e32 v13, 0x7f800001
	s_and_saveexec_b64 s[28:29], s[6:7]
	s_cbranch_execz .LBB399_1082
; %bb.1081:                             ;   in Loop: Header=BB399_644 Depth=1
	v_and_b32_e32 v13, 7, v8
	v_ffbh_u32_e32 v26, v13
	v_min_u32_e32 v28, 32, v26
	v_subrev_u32_e32 v26, 28, v28
	v_lshlrev_b64 v[26:27], v26, v[8:9]
	v_lshrrev_b32_e32 v23, 3, v22
	v_sub_u32_e32 v27, 29, v28
	v_and_b32_e32 v26, 7, v26
	v_cmp_gt_u32_e64 s[6:7], 8, v22
	v_cndmask_b32_e64 v22, v23, v27, s[6:7]
	v_cndmask_b32_e64 v13, v13, v26, s[6:7]
	v_lshlrev_b32_e32 v8, 24, v8
	v_bfrev_b32_e32 v23, 60
	v_lshlrev_b32_e32 v13, 20, v13
	v_and_b32_e32 v8, 0x80000000, v8
	v_lshl_add_u32 v22, v22, 23, v23
	v_or3_b32 v13, v8, v22, v13
.LBB399_1082:                           ;   in Loop: Header=BB399_644 Depth=1
	s_or_b64 exec, exec, s[28:29]
.LBB399_1083:                           ;   in Loop: Header=BB399_644 Depth=1
	s_or_b64 exec, exec, s[26:27]
.LBB399_1084:                           ;   in Loop: Header=BB399_644 Depth=1
	s_or_b64 exec, exec, s[24:25]
	v_mul_f32_e32 v8, v38, v13
	v_and_b32_e32 v13, 0x7f800000, v8
	v_cmp_ne_u32_e64 s[6:7], s9, v13
                                        ; implicit-def: $vgpr13
	s_and_saveexec_b64 s[24:25], s[6:7]
	s_xor_b64 s[6:7], exec, s[24:25]
; %bb.1085:                             ;   in Loop: Header=BB399_644 Depth=1
	v_bfe_u32 v13, v8, 16, 1
	v_add3_u32 v13, v8, v13, s15
                                        ; implicit-def: $vgpr8
; %bb.1086:                             ;   in Loop: Header=BB399_644 Depth=1
	s_andn2_saveexec_b64 s[24:25], s[6:7]
; %bb.1087:                             ;   in Loop: Header=BB399_644 Depth=1
	v_or_b32_e32 v13, 0x10000, v8
	v_cmp_eq_u32_sdwa s[6:7], v8, v31 src0_sel:WORD_0 src1_sel:DWORD
	v_cndmask_b32_e64 v13, v13, v8, s[6:7]
; %bb.1088:                             ;   in Loop: Header=BB399_644 Depth=1
	s_or_b64 exec, exec, s[24:25]
	v_cmp_lt_u64_e64 s[6:7], s[12:13], v[6:7]
	v_mov_b32_e32 v8, 0
	s_and_saveexec_b64 s[24:25], s[6:7]
	s_cbranch_execz .LBB399_1094
; %bb.1089:                             ;   in Loop: Header=BB399_644 Depth=1
	v_lshrrev_b32_e32 v6, 24, v7
	v_cmp_ne_u32_e64 s[6:7], s19, v6
	v_bfrev_b32_e32 v8, 1
	s_and_saveexec_b64 s[26:27], s[6:7]
	s_cbranch_execz .LBB399_1093
; %bb.1090:                             ;   in Loop: Header=BB399_644 Depth=1
	v_bfe_u32 v7, v7, 24, 7
	v_cmp_ne_u32_e64 s[6:7], s34, v7
	v_mov_b32_e32 v8, 0x7f800001
	s_and_saveexec_b64 s[28:29], s[6:7]
	s_cbranch_execz .LBB399_1092
; %bb.1091:                             ;   in Loop: Header=BB399_644 Depth=1
	v_and_b32_e32 v8, 7, v6
	v_ffbh_u32_e32 v22, v8
	v_min_u32_e32 v27, 32, v22
	v_subrev_u32_e32 v22, 28, v27
	v_lshlrev_b64 v[22:23], v22, v[6:7]
	v_lshrrev_b32_e32 v26, 3, v7
	v_sub_u32_e32 v23, 29, v27
	v_and_b32_e32 v22, 7, v22
	v_cmp_gt_u32_e64 s[6:7], 8, v7
	v_cndmask_b32_e64 v7, v26, v23, s[6:7]
	v_cndmask_b32_e64 v8, v8, v22, s[6:7]
	v_lshlrev_b32_e32 v6, 24, v6
	v_bfrev_b32_e32 v22, 60
	v_lshlrev_b32_e32 v8, 20, v8
	v_and_b32_e32 v6, 0x80000000, v6
	v_lshl_add_u32 v7, v7, 23, v22
	v_or3_b32 v8, v6, v7, v8
.LBB399_1092:                           ;   in Loop: Header=BB399_644 Depth=1
	s_or_b64 exec, exec, s[28:29]
.LBB399_1093:                           ;   in Loop: Header=BB399_644 Depth=1
	s_or_b64 exec, exec, s[26:27]
.LBB399_1094:                           ;   in Loop: Header=BB399_644 Depth=1
	s_or_b64 exec, exec, s[24:25]
	v_mul_f32_e32 v6, v38, v8
	v_and_b32_e32 v7, 0x7f800000, v6
	v_cmp_ne_u32_e64 s[6:7], s9, v7
                                        ; implicit-def: $vgpr22
	s_and_saveexec_b64 s[24:25], s[6:7]
	s_xor_b64 s[6:7], exec, s[24:25]
; %bb.1095:                             ;   in Loop: Header=BB399_644 Depth=1
	v_bfe_u32 v7, v6, 16, 1
	v_add3_u32 v22, v6, v7, s15
                                        ; implicit-def: $vgpr6
; %bb.1096:                             ;   in Loop: Header=BB399_644 Depth=1
	s_andn2_saveexec_b64 s[24:25], s[6:7]
; %bb.1097:                             ;   in Loop: Header=BB399_644 Depth=1
	v_or_b32_e32 v7, 0x10000, v6
	v_cmp_eq_u32_sdwa s[6:7], v6, v31 src0_sel:WORD_0 src1_sel:DWORD
	v_cndmask_b32_e64 v22, v7, v6, s[6:7]
; %bb.1098:                             ;   in Loop: Header=BB399_644 Depth=1
	s_or_b64 exec, exec, s[24:25]
	v_lshrrev_b32_e32 v6, 16, v12
	v_lshrrev_b32_e32 v7, 16, v11
	;; [unrolled: 1-line block ×8, first 2 shown]
	s_and_saveexec_b64 s[24:25], s[4:5]
	s_cbranch_execz .LBB399_1100
; %bb.1099:                             ;   in Loop: Header=BB399_644 Depth=1
	v_accvgpr_read_b32 v12, a26
	v_cmp_lt_i32_e64 s[6:7], v12, v33
	v_add_u32_e32 v12, -6, v17
	v_cndmask_b32_e64 v11, 0, v11, s[6:7]
	v_cmp_lt_i32_e64 s[6:7], v12, v33
	v_add_u32_e32 v12, -5, v17
	v_cndmask_b32_e64 v10, 0, v10, s[6:7]
	;; [unrolled: 3-line block ×6, first 2 shown]
	v_cmp_lt_i32_e64 s[6:7], v12, v33
	v_cndmask_b32_e64 v5, 0, v5, s[6:7]
	v_cmp_lt_i32_e64 s[6:7], v17, v33
	v_cndmask_b32_e64 v4, 0, v4, s[6:7]
.LBB399_1100:                           ;   in Loop: Header=BB399_644 Depth=1
	s_or_b64 exec, exec, s[24:25]
	v_lshlrev_b32_e32 v11, 16, v11
	v_mul_f32_e32 v11, v42, v11
	v_and_b32_e32 v12, 0x7f800000, v11
	v_cmp_ne_u32_e64 s[6:7], s9, v12
                                        ; implicit-def: $agpr37
	s_and_saveexec_b64 s[24:25], s[6:7]
	s_xor_b64 s[6:7], exec, s[24:25]
; %bb.1101:                             ;   in Loop: Header=BB399_644 Depth=1
	v_bfe_u32 v12, v11, 16, 1
	v_add3_u32 v11, v11, v12, s15
	v_accvgpr_write_b32 a37, v11
                                        ; implicit-def: $vgpr11
; %bb.1102:                             ;   in Loop: Header=BB399_644 Depth=1
	s_andn2_saveexec_b64 s[24:25], s[6:7]
; %bb.1103:                             ;   in Loop: Header=BB399_644 Depth=1
	v_or_b32_e32 v12, 0x10000, v11
	v_cmp_eq_u32_sdwa s[6:7], v11, v31 src0_sel:WORD_0 src1_sel:DWORD
	v_cndmask_b32_e64 v11, v12, v11, s[6:7]
	v_accvgpr_write_b32 a37, v11
; %bb.1104:                             ;   in Loop: Header=BB399_644 Depth=1
	s_or_b64 exec, exec, s[24:25]
	v_lshlrev_b32_e32 v10, 16, v10
	v_mul_f32_e32 v10, v43, v10
	v_and_b32_e32 v11, 0x7f800000, v10
	v_cmp_ne_u32_e64 s[6:7], s9, v11
                                        ; implicit-def: $agpr38
	s_and_saveexec_b64 s[24:25], s[6:7]
	s_xor_b64 s[6:7], exec, s[24:25]
; %bb.1105:                             ;   in Loop: Header=BB399_644 Depth=1
	v_bfe_u32 v11, v10, 16, 1
	v_add3_u32 v10, v10, v11, s15
	v_accvgpr_write_b32 a38, v10
                                        ; implicit-def: $vgpr10
; %bb.1106:                             ;   in Loop: Header=BB399_644 Depth=1
	s_andn2_saveexec_b64 s[24:25], s[6:7]
; %bb.1107:                             ;   in Loop: Header=BB399_644 Depth=1
	v_or_b32_e32 v11, 0x10000, v10
	v_cmp_eq_u32_sdwa s[6:7], v10, v31 src0_sel:WORD_0 src1_sel:DWORD
	v_cndmask_b32_e64 v10, v11, v10, s[6:7]
	v_accvgpr_write_b32 a38, v10
; %bb.1108:                             ;   in Loop: Header=BB399_644 Depth=1
	s_or_b64 exec, exec, s[24:25]
	v_lshlrev_b32_e32 v9, 16, v9
	v_mul_f32_e32 v9, v44, v9
	v_and_b32_e32 v10, 0x7f800000, v9
	v_cmp_ne_u32_e64 s[6:7], s9, v10
                                        ; implicit-def: $agpr39
	s_and_saveexec_b64 s[24:25], s[6:7]
	s_xor_b64 s[6:7], exec, s[24:25]
; %bb.1109:                             ;   in Loop: Header=BB399_644 Depth=1
	v_bfe_u32 v10, v9, 16, 1
	v_add3_u32 v9, v9, v10, s15
	v_accvgpr_write_b32 a39, v9
                                        ; implicit-def: $vgpr9
; %bb.1110:                             ;   in Loop: Header=BB399_644 Depth=1
	s_andn2_saveexec_b64 s[24:25], s[6:7]
; %bb.1111:                             ;   in Loop: Header=BB399_644 Depth=1
	v_or_b32_e32 v10, 0x10000, v9
	v_cmp_eq_u32_sdwa s[6:7], v9, v31 src0_sel:WORD_0 src1_sel:DWORD
	v_cndmask_b32_e64 v9, v10, v9, s[6:7]
	v_accvgpr_write_b32 a39, v9
; %bb.1112:                             ;   in Loop: Header=BB399_644 Depth=1
	s_or_b64 exec, exec, s[24:25]
	v_lshlrev_b32_e32 v8, 16, v8
	v_mul_f32_e32 v8, v45, v8
	v_and_b32_e32 v9, 0x7f800000, v8
	v_cmp_ne_u32_e64 s[6:7], s9, v9
                                        ; implicit-def: $agpr40
	s_and_saveexec_b64 s[24:25], s[6:7]
	s_xor_b64 s[6:7], exec, s[24:25]
; %bb.1113:                             ;   in Loop: Header=BB399_644 Depth=1
	v_bfe_u32 v9, v8, 16, 1
	v_add3_u32 v8, v8, v9, s15
	v_accvgpr_write_b32 a40, v8
                                        ; implicit-def: $vgpr8
; %bb.1114:                             ;   in Loop: Header=BB399_644 Depth=1
	s_andn2_saveexec_b64 s[24:25], s[6:7]
; %bb.1115:                             ;   in Loop: Header=BB399_644 Depth=1
	v_or_b32_e32 v9, 0x10000, v8
	v_cmp_eq_u32_sdwa s[6:7], v8, v31 src0_sel:WORD_0 src1_sel:DWORD
	v_cndmask_b32_e64 v8, v9, v8, s[6:7]
	v_accvgpr_write_b32 a40, v8
; %bb.1116:                             ;   in Loop: Header=BB399_644 Depth=1
	s_or_b64 exec, exec, s[24:25]
	v_lshlrev_b32_e32 v7, 16, v7
	v_mul_f32_e32 v7, v46, v7
	v_and_b32_e32 v8, 0x7f800000, v7
	v_cmp_ne_u32_e64 s[6:7], s9, v8
                                        ; implicit-def: $agpr41
	s_and_saveexec_b64 s[24:25], s[6:7]
	s_xor_b64 s[6:7], exec, s[24:25]
; %bb.1117:                             ;   in Loop: Header=BB399_644 Depth=1
	v_bfe_u32 v8, v7, 16, 1
	v_add3_u32 v7, v7, v8, s15
	v_accvgpr_write_b32 a41, v7
                                        ; implicit-def: $vgpr7
; %bb.1118:                             ;   in Loop: Header=BB399_644 Depth=1
	s_andn2_saveexec_b64 s[24:25], s[6:7]
; %bb.1119:                             ;   in Loop: Header=BB399_644 Depth=1
	v_or_b32_e32 v8, 0x10000, v7
	v_cmp_eq_u32_sdwa s[6:7], v7, v31 src0_sel:WORD_0 src1_sel:DWORD
	v_cndmask_b32_e64 v7, v8, v7, s[6:7]
	v_accvgpr_write_b32 a41, v7
; %bb.1120:                             ;   in Loop: Header=BB399_644 Depth=1
	s_or_b64 exec, exec, s[24:25]
	v_lshlrev_b32_e32 v6, 16, v6
	v_mul_f32_e32 v6, v47, v6
	v_and_b32_e32 v7, 0x7f800000, v6
	v_cmp_ne_u32_e64 s[6:7], s9, v7
                                        ; implicit-def: $agpr42
	s_and_saveexec_b64 s[24:25], s[6:7]
	s_xor_b64 s[6:7], exec, s[24:25]
; %bb.1121:                             ;   in Loop: Header=BB399_644 Depth=1
	v_bfe_u32 v7, v6, 16, 1
	v_add3_u32 v6, v6, v7, s15
	v_accvgpr_write_b32 a42, v6
                                        ; implicit-def: $vgpr6
; %bb.1122:                             ;   in Loop: Header=BB399_644 Depth=1
	s_andn2_saveexec_b64 s[24:25], s[6:7]
; %bb.1123:                             ;   in Loop: Header=BB399_644 Depth=1
	v_or_b32_e32 v7, 0x10000, v6
	v_cmp_eq_u32_sdwa s[6:7], v6, v31 src0_sel:WORD_0 src1_sel:DWORD
	v_cndmask_b32_e64 v6, v7, v6, s[6:7]
	v_accvgpr_write_b32 a42, v6
; %bb.1124:                             ;   in Loop: Header=BB399_644 Depth=1
	s_or_b64 exec, exec, s[24:25]
	v_lshlrev_b32_e32 v5, 16, v5
	v_mul_f32_e32 v5, v56, v5
	v_and_b32_e32 v6, 0x7f800000, v5
	v_cmp_ne_u32_e64 s[6:7], s9, v6
                                        ; implicit-def: $agpr43
	s_and_saveexec_b64 s[24:25], s[6:7]
	s_xor_b64 s[6:7], exec, s[24:25]
; %bb.1125:                             ;   in Loop: Header=BB399_644 Depth=1
	v_bfe_u32 v6, v5, 16, 1
	v_add3_u32 v5, v5, v6, s15
	v_accvgpr_write_b32 a43, v5
                                        ; implicit-def: $vgpr5
; %bb.1126:                             ;   in Loop: Header=BB399_644 Depth=1
	s_andn2_saveexec_b64 s[24:25], s[6:7]
; %bb.1127:                             ;   in Loop: Header=BB399_644 Depth=1
	v_or_b32_e32 v6, 0x10000, v5
	v_cmp_eq_u32_sdwa s[6:7], v5, v31 src0_sel:WORD_0 src1_sel:DWORD
	v_cndmask_b32_e64 v5, v6, v5, s[6:7]
	v_accvgpr_write_b32 a43, v5
; %bb.1128:                             ;   in Loop: Header=BB399_644 Depth=1
	s_or_b64 exec, exec, s[24:25]
	v_lshlrev_b32_e32 v4, 16, v4
	v_mul_f32_e32 v4, v57, v4
	v_and_b32_e32 v5, 0x7f800000, v4
	v_cmp_ne_u32_e64 s[6:7], s9, v5
                                        ; implicit-def: $vgpr22
	s_and_saveexec_b64 s[24:25], s[6:7]
	s_xor_b64 s[6:7], exec, s[24:25]
; %bb.1129:                             ;   in Loop: Header=BB399_644 Depth=1
	v_bfe_u32 v5, v4, 16, 1
	v_add3_u32 v22, v4, v5, s15
                                        ; implicit-def: $vgpr4
; %bb.1130:                             ;   in Loop: Header=BB399_644 Depth=1
	s_andn2_saveexec_b64 s[24:25], s[6:7]
; %bb.1131:                             ;   in Loop: Header=BB399_644 Depth=1
	v_or_b32_e32 v5, 0x10000, v4
	v_cmp_eq_u32_sdwa s[6:7], v4, v31 src0_sel:WORD_0 src1_sel:DWORD
	v_cndmask_b32_e64 v22, v5, v4, s[6:7]
; %bb.1132:                             ;   in Loop: Header=BB399_644 Depth=1
	s_or_b64 exec, exec, s[24:25]
	flat_load_dwordx2 v[6:7], v[2:3] offset:2048
	v_mov_b32_e32 v4, 0
	s_waitcnt vmcnt(0) lgkmcnt(0)
	v_cmp_ne_u16_sdwa s[6:7], v6, v31 src0_sel:BYTE_0 src1_sel:DWORD
	s_and_saveexec_b64 s[24:25], s[6:7]
	s_cbranch_execz .LBB399_1138
; %bb.1133:                             ;   in Loop: Header=BB399_644 Depth=1
	v_cmp_ne_u16_sdwa s[6:7], v6, s19 src0_sel:BYTE_0 src1_sel:DWORD
	v_bfrev_b32_e32 v4, 1
	s_and_saveexec_b64 s[26:27], s[6:7]
	s_cbranch_execz .LBB399_1137
; %bb.1134:                             ;   in Loop: Header=BB399_644 Depth=1
	v_and_b32_e32 v5, 0x7f, v6
	v_cmp_ne_u32_e64 s[6:7], s34, v5
	v_mov_b32_e32 v4, 0x7f800001
	s_and_saveexec_b64 s[28:29], s[6:7]
	s_cbranch_execz .LBB399_1136
; %bb.1135:                             ;   in Loop: Header=BB399_644 Depth=1
	v_and_b32_e32 v4, 7, v6
	v_ffbh_u32_e32 v4, v4
	v_min_u32_e32 v4, 32, v4
	v_lshrrev_b32_e32 v8, 3, v5
	v_subrev_u32_e32 v10, 28, v4
	v_sub_u32_e32 v4, 29, v4
	v_cmp_gt_u32_e64 s[6:7], 8, v5
	v_cndmask_b32_e64 v8, v8, v4, s[6:7]
	v_cndmask_b32_e64 v4, 0, v10, s[6:7]
	v_lshlrev_b64 v[4:5], v4, v[6:7]
	v_lshlrev_b32_e32 v4, 20, v4
	v_lshlrev_b32_e32 v5, 24, v6
	v_bfrev_b32_e32 v9, 60
	v_and_b32_e32 v4, 0x700000, v4
	v_and_b32_e32 v5, 0x80000000, v5
	v_lshl_add_u32 v8, v8, 23, v9
	v_or3_b32 v4, v5, v8, v4
.LBB399_1136:                           ;   in Loop: Header=BB399_644 Depth=1
	s_or_b64 exec, exec, s[28:29]
.LBB399_1137:                           ;   in Loop: Header=BB399_644 Depth=1
	s_or_b64 exec, exec, s[26:27]
.LBB399_1138:                           ;   in Loop: Header=BB399_644 Depth=1
	s_or_b64 exec, exec, s[24:25]
	v_mul_f32_e32 v5, v38, v4
	v_and_b32_e32 v4, 0x7f800000, v5
	v_cmp_ne_u32_e64 s[6:7], s9, v4
                                        ; implicit-def: $vgpr4
	s_and_saveexec_b64 s[24:25], s[6:7]
	s_xor_b64 s[6:7], exec, s[24:25]
; %bb.1139:                             ;   in Loop: Header=BB399_644 Depth=1
	v_bfe_u32 v4, v5, 16, 1
	v_add3_u32 v4, v5, v4, s15
                                        ; implicit-def: $vgpr5
; %bb.1140:                             ;   in Loop: Header=BB399_644 Depth=1
	s_andn2_saveexec_b64 s[24:25], s[6:7]
; %bb.1141:                             ;   in Loop: Header=BB399_644 Depth=1
	v_or_b32_e32 v4, 0x10000, v5
	v_cmp_eq_u32_sdwa s[6:7], v5, v31 src0_sel:WORD_0 src1_sel:DWORD
	v_cndmask_b32_e64 v4, v4, v5, s[6:7]
; %bb.1142:                             ;   in Loop: Header=BB399_644 Depth=1
	s_or_b64 exec, exec, s[24:25]
	v_lshrrev_b16_e32 v8, 8, v6
	v_cmp_ne_u16_e64 s[6:7], 0, v8
	v_mov_b32_e32 v5, 0
	s_and_saveexec_b64 s[24:25], s[6:7]
	s_cbranch_execz .LBB399_1148
; %bb.1143:                             ;   in Loop: Header=BB399_644 Depth=1
	v_cmp_ne_u16_e64 s[6:7], s19, v8
	v_bfrev_b32_e32 v5, 1
	s_and_saveexec_b64 s[26:27], s[6:7]
	s_cbranch_execz .LBB399_1147
; %bb.1144:                             ;   in Loop: Header=BB399_644 Depth=1
	v_and_b32_e32 v12, 0x7f, v8
	v_cmp_ne_u32_e64 s[6:7], s34, v12
	v_mov_b32_e32 v5, 0x7f800001
	s_and_saveexec_b64 s[28:29], s[6:7]
	s_cbranch_execz .LBB399_1146
; %bb.1145:                             ;   in Loop: Header=BB399_644 Depth=1
	v_and_b32_e32 v5, 7, v8
	v_ffbh_u32_e32 v11, v5
	v_min_u32_e32 v11, 32, v11
	v_subrev_u32_e32 v13, 28, v11
	v_lshlrev_b64 v[26:27], v13, v[8:9]
	v_lshrrev_b32_e32 v10, 3, v12
	v_sub_u32_e32 v8, 29, v11
	v_and_b32_e32 v11, 7, v26
	v_cmp_gt_u32_e64 s[6:7], 8, v12
	v_cndmask_b32_e64 v8, v10, v8, s[6:7]
	v_cndmask_b32_e64 v5, v5, v11, s[6:7]
	v_lshlrev_b32_e32 v10, 16, v6
	v_bfrev_b32_e32 v9, 60
	v_lshlrev_b32_e32 v5, 20, v5
	v_and_b32_e32 v10, 0x80000000, v10
	v_lshl_add_u32 v8, v8, 23, v9
	v_or3_b32 v5, v10, v8, v5
.LBB399_1146:                           ;   in Loop: Header=BB399_644 Depth=1
	s_or_b64 exec, exec, s[28:29]
.LBB399_1147:                           ;   in Loop: Header=BB399_644 Depth=1
	s_or_b64 exec, exec, s[26:27]
.LBB399_1148:                           ;   in Loop: Header=BB399_644 Depth=1
	s_or_b64 exec, exec, s[24:25]
	v_mul_f32_e32 v8, v38, v5
	v_and_b32_e32 v5, 0x7f800000, v8
	v_cmp_ne_u32_e64 s[6:7], s9, v5
                                        ; implicit-def: $vgpr5
	s_and_saveexec_b64 s[24:25], s[6:7]
	s_xor_b64 s[6:7], exec, s[24:25]
; %bb.1149:                             ;   in Loop: Header=BB399_644 Depth=1
	v_bfe_u32 v5, v8, 16, 1
	v_add3_u32 v5, v8, v5, s15
                                        ; implicit-def: $vgpr8
; %bb.1150:                             ;   in Loop: Header=BB399_644 Depth=1
	s_andn2_saveexec_b64 s[24:25], s[6:7]
; %bb.1151:                             ;   in Loop: Header=BB399_644 Depth=1
	v_or_b32_e32 v5, 0x10000, v8
	v_cmp_eq_u32_sdwa s[6:7], v8, v31 src0_sel:WORD_0 src1_sel:DWORD
	v_cndmask_b32_e64 v5, v5, v8, s[6:7]
; %bb.1152:                             ;   in Loop: Header=BB399_644 Depth=1
	s_or_b64 exec, exec, s[24:25]
	v_lshrrev_b32_e32 v8, 16, v6
	v_cmp_ne_u16_sdwa s[6:7], v8, v31 src0_sel:BYTE_0 src1_sel:DWORD
	v_mov_b32_e32 v12, 0
	s_and_saveexec_b64 s[24:25], s[6:7]
	s_cbranch_execz .LBB399_1158
; %bb.1153:                             ;   in Loop: Header=BB399_644 Depth=1
	v_cmp_ne_u16_sdwa s[6:7], v8, s19 src0_sel:BYTE_0 src1_sel:DWORD
	v_bfrev_b32_e32 v12, 1
	s_and_saveexec_b64 s[26:27], s[6:7]
	s_cbranch_execz .LBB399_1157
; %bb.1154:                             ;   in Loop: Header=BB399_644 Depth=1
	v_bfe_u32 v13, v6, 16, 7
	v_cmp_ne_u32_e64 s[6:7], s34, v13
	v_mov_b32_e32 v12, 0x7f800001
	s_and_saveexec_b64 s[28:29], s[6:7]
	s_cbranch_execz .LBB399_1156
; %bb.1155:                             ;   in Loop: Header=BB399_644 Depth=1
	v_and_b32_e32 v10, 7, v8
	v_ffbh_u32_e32 v12, v10
	v_min_u32_e32 v12, 32, v12
	v_subrev_u32_e32 v23, 28, v12
	v_lshlrev_b64 v[26:27], v23, v[8:9]
	v_lshrrev_b32_e32 v11, 3, v13
	v_sub_u32_e32 v12, 29, v12
	v_and_b32_e32 v23, 7, v26
	v_cmp_gt_u32_e64 s[6:7], 8, v13
	v_cndmask_b32_e64 v11, v11, v12, s[6:7]
	v_cndmask_b32_e64 v10, v10, v23, s[6:7]
	v_lshlrev_b32_e32 v8, 24, v8
	v_bfrev_b32_e32 v9, 60
	v_lshlrev_b32_e32 v10, 20, v10
	v_and_b32_e32 v8, 0x80000000, v8
	v_lshl_add_u32 v11, v11, 23, v9
	v_or3_b32 v12, v8, v11, v10
.LBB399_1156:                           ;   in Loop: Header=BB399_644 Depth=1
	s_or_b64 exec, exec, s[28:29]
.LBB399_1157:                           ;   in Loop: Header=BB399_644 Depth=1
	s_or_b64 exec, exec, s[26:27]
.LBB399_1158:                           ;   in Loop: Header=BB399_644 Depth=1
	s_or_b64 exec, exec, s[24:25]
	v_mul_f32_e32 v8, v38, v12
	v_and_b32_e32 v10, 0x7f800000, v8
	v_cmp_ne_u32_e64 s[6:7], s9, v10
                                        ; implicit-def: $vgpr12
	s_and_saveexec_b64 s[24:25], s[6:7]
	s_xor_b64 s[6:7], exec, s[24:25]
; %bb.1159:                             ;   in Loop: Header=BB399_644 Depth=1
	v_bfe_u32 v10, v8, 16, 1
	v_add3_u32 v12, v8, v10, s15
                                        ; implicit-def: $vgpr8
; %bb.1160:                             ;   in Loop: Header=BB399_644 Depth=1
	s_andn2_saveexec_b64 s[24:25], s[6:7]
; %bb.1161:                             ;   in Loop: Header=BB399_644 Depth=1
	v_or_b32_e32 v10, 0x10000, v8
	v_cmp_eq_u32_sdwa s[6:7], v8, v31 src0_sel:WORD_0 src1_sel:DWORD
	v_cndmask_b32_e64 v12, v10, v8, s[6:7]
; %bb.1162:                             ;   in Loop: Header=BB399_644 Depth=1
	s_or_b64 exec, exec, s[24:25]
	v_cmp_lt_u32_e64 s[6:7], s13, v6
	v_mov_b32_e32 v13, 0
	s_and_saveexec_b64 s[24:25], s[6:7]
	s_cbranch_execz .LBB399_1168
; %bb.1163:                             ;   in Loop: Header=BB399_644 Depth=1
	v_lshrrev_b32_e32 v8, 24, v6
	v_cmp_ne_u32_e64 s[6:7], s19, v8
	v_bfrev_b32_e32 v13, 1
	s_and_saveexec_b64 s[26:27], s[6:7]
	s_cbranch_execz .LBB399_1167
; %bb.1164:                             ;   in Loop: Header=BB399_644 Depth=1
	v_bfe_u32 v23, v6, 24, 7
	v_cmp_ne_u32_e64 s[6:7], s34, v23
	v_mov_b32_e32 v13, 0x7f800001
	s_and_saveexec_b64 s[28:29], s[6:7]
	s_cbranch_execz .LBB399_1166
; %bb.1165:                             ;   in Loop: Header=BB399_644 Depth=1
	v_and_b32_e32 v10, 7, v8
	v_ffbh_u32_e32 v13, v10
	v_min_u32_e32 v13, 32, v13
	v_subrev_u32_e32 v26, 28, v13
	v_lshlrev_b64 v[26:27], v26, v[8:9]
	v_lshrrev_b32_e32 v11, 3, v23
	v_sub_u32_e32 v13, 29, v13
	v_and_b32_e32 v26, 7, v26
	v_cmp_gt_u32_e64 s[6:7], 8, v23
	v_cndmask_b32_e64 v11, v11, v13, s[6:7]
	v_cndmask_b32_e64 v10, v10, v26, s[6:7]
	v_lshlrev_b32_e32 v8, 24, v8
	v_bfrev_b32_e32 v9, 60
	v_lshlrev_b32_e32 v10, 20, v10
	v_and_b32_e32 v8, 0x80000000, v8
	v_lshl_add_u32 v11, v11, 23, v9
	v_or3_b32 v13, v8, v11, v10
.LBB399_1166:                           ;   in Loop: Header=BB399_644 Depth=1
	s_or_b64 exec, exec, s[28:29]
.LBB399_1167:                           ;   in Loop: Header=BB399_644 Depth=1
	s_or_b64 exec, exec, s[26:27]
.LBB399_1168:                           ;   in Loop: Header=BB399_644 Depth=1
	s_or_b64 exec, exec, s[24:25]
	v_mul_f32_e32 v8, v38, v13
	v_and_b32_e32 v10, 0x7f800000, v8
	v_cmp_ne_u32_e64 s[6:7], s9, v10
                                        ; implicit-def: $vgpr13
	s_and_saveexec_b64 s[24:25], s[6:7]
	s_xor_b64 s[6:7], exec, s[24:25]
; %bb.1169:                             ;   in Loop: Header=BB399_644 Depth=1
	v_bfe_u32 v10, v8, 16, 1
	v_add3_u32 v13, v8, v10, s15
                                        ; implicit-def: $vgpr8
; %bb.1170:                             ;   in Loop: Header=BB399_644 Depth=1
	s_andn2_saveexec_b64 s[24:25], s[6:7]
; %bb.1171:                             ;   in Loop: Header=BB399_644 Depth=1
	v_or_b32_e32 v10, 0x10000, v8
	v_cmp_eq_u32_sdwa s[6:7], v8, v31 src0_sel:WORD_0 src1_sel:DWORD
	v_cndmask_b32_e64 v13, v10, v8, s[6:7]
; %bb.1172:                             ;   in Loop: Header=BB399_644 Depth=1
	s_or_b64 exec, exec, s[24:25]
	v_mov_b32_e32 v30, v7
	v_cmp_ne_u16_sdwa s[6:7], v7, v31 src0_sel:BYTE_0 src1_sel:DWORD
	v_mov_b32_e32 v8, 0
	s_and_saveexec_b64 s[24:25], s[6:7]
	s_cbranch_execz .LBB399_1178
; %bb.1173:                             ;   in Loop: Header=BB399_644 Depth=1
	v_cmp_ne_u16_sdwa s[6:7], v7, s19 src0_sel:BYTE_0 src1_sel:DWORD
	v_bfrev_b32_e32 v8, 1
	s_and_saveexec_b64 s[26:27], s[6:7]
	s_cbranch_execz .LBB399_1177
; %bb.1174:                             ;   in Loop: Header=BB399_644 Depth=1
	v_and_b32_e32 v10, 0x7f, v7
	v_cmp_ne_u32_e64 s[6:7], s34, v10
	v_mov_b32_e32 v8, 0x7f800001
	s_and_saveexec_b64 s[28:29], s[6:7]
	s_cbranch_execz .LBB399_1176
; %bb.1175:                             ;   in Loop: Header=BB399_644 Depth=1
	v_and_b32_e32 v8, 7, v7
	v_ffbh_u32_e32 v8, v8
	v_min_u32_e32 v8, 32, v8
	v_subrev_u32_e32 v23, 28, v8
	v_cmp_gt_u32_e64 s[6:7], 8, v10
	v_lshrrev_b32_e32 v11, 3, v10
	v_cndmask_b32_e64 v10, 0, v23, s[6:7]
	v_sub_u32_e32 v8, 29, v8
	v_lshlrev_b64 v[26:27], v10, v[30:31]
	v_cndmask_b32_e64 v8, v11, v8, s[6:7]
	v_lshlrev_b32_e32 v10, 20, v26
	v_lshlrev_b32_e32 v11, 24, v30
	v_bfrev_b32_e32 v9, 60
	v_and_b32_e32 v10, 0x700000, v10
	v_and_b32_e32 v11, 0x80000000, v11
	v_lshl_add_u32 v8, v8, 23, v9
	v_or3_b32 v8, v11, v8, v10
.LBB399_1176:                           ;   in Loop: Header=BB399_644 Depth=1
	s_or_b64 exec, exec, s[28:29]
.LBB399_1177:                           ;   in Loop: Header=BB399_644 Depth=1
	s_or_b64 exec, exec, s[26:27]
.LBB399_1178:                           ;   in Loop: Header=BB399_644 Depth=1
	s_or_b64 exec, exec, s[24:25]
	v_mul_f32_e32 v8, v38, v8
	v_and_b32_e32 v10, 0x7f800000, v8
	v_cmp_ne_u32_e64 s[6:7], s9, v10
                                        ; implicit-def: $vgpr23
	s_and_saveexec_b64 s[24:25], s[6:7]
	s_xor_b64 s[6:7], exec, s[24:25]
; %bb.1179:                             ;   in Loop: Header=BB399_644 Depth=1
	v_bfe_u32 v10, v8, 16, 1
	v_add3_u32 v23, v8, v10, s15
                                        ; implicit-def: $vgpr8
; %bb.1180:                             ;   in Loop: Header=BB399_644 Depth=1
	s_andn2_saveexec_b64 s[24:25], s[6:7]
; %bb.1181:                             ;   in Loop: Header=BB399_644 Depth=1
	v_or_b32_e32 v10, 0x10000, v8
	v_cmp_eq_u32_sdwa s[6:7], v8, v31 src0_sel:WORD_0 src1_sel:DWORD
	v_cndmask_b32_e64 v23, v10, v8, s[6:7]
; %bb.1182:                             ;   in Loop: Header=BB399_644 Depth=1
	s_or_b64 exec, exec, s[24:25]
	v_lshrrev_b16_e32 v8, 8, v30
	v_cmp_ne_u16_e64 s[6:7], 0, v8
	v_mov_b32_e32 v26, 0
	s_and_saveexec_b64 s[24:25], s[6:7]
	s_cbranch_execz .LBB399_1188
; %bb.1183:                             ;   in Loop: Header=BB399_644 Depth=1
	v_cmp_ne_u16_e64 s[6:7], s19, v8
	v_bfrev_b32_e32 v26, 1
	s_and_saveexec_b64 s[26:27], s[6:7]
	s_cbranch_execz .LBB399_1187
; %bb.1184:                             ;   in Loop: Header=BB399_644 Depth=1
	v_and_b32_e32 v27, 0x7f, v8
	v_cmp_ne_u32_e64 s[6:7], s34, v27
	v_mov_b32_e32 v26, 0x7f800001
	s_and_saveexec_b64 s[28:29], s[6:7]
	s_cbranch_execz .LBB399_1186
; %bb.1185:                             ;   in Loop: Header=BB399_644 Depth=1
	v_and_b32_e32 v10, 7, v8
	v_ffbh_u32_e32 v26, v10
	v_min_u32_e32 v26, 32, v26
	v_subrev_u32_e32 v28, 28, v26
	v_lshlrev_b64 v[28:29], v28, v[8:9]
	v_lshrrev_b32_e32 v11, 3, v27
	v_sub_u32_e32 v8, 29, v26
	v_and_b32_e32 v26, 7, v28
	v_cmp_gt_u32_e64 s[6:7], 8, v27
	v_cndmask_b32_e64 v8, v11, v8, s[6:7]
	v_cndmask_b32_e64 v10, v10, v26, s[6:7]
	v_lshlrev_b32_e32 v11, 16, v30
	v_bfrev_b32_e32 v9, 60
	v_lshlrev_b32_e32 v10, 20, v10
	v_and_b32_e32 v11, 0x80000000, v11
	v_lshl_add_u32 v8, v8, 23, v9
	v_or3_b32 v26, v11, v8, v10
.LBB399_1186:                           ;   in Loop: Header=BB399_644 Depth=1
	s_or_b64 exec, exec, s[28:29]
.LBB399_1187:                           ;   in Loop: Header=BB399_644 Depth=1
	s_or_b64 exec, exec, s[26:27]
.LBB399_1188:                           ;   in Loop: Header=BB399_644 Depth=1
	s_or_b64 exec, exec, s[24:25]
	v_mul_f32_e32 v8, v38, v26
	v_and_b32_e32 v10, 0x7f800000, v8
	v_cmp_ne_u32_e64 s[6:7], s9, v10
                                        ; implicit-def: $vgpr26
	s_and_saveexec_b64 s[24:25], s[6:7]
	s_xor_b64 s[6:7], exec, s[24:25]
; %bb.1189:                             ;   in Loop: Header=BB399_644 Depth=1
	v_bfe_u32 v10, v8, 16, 1
	v_add3_u32 v26, v8, v10, s15
                                        ; implicit-def: $vgpr8
; %bb.1190:                             ;   in Loop: Header=BB399_644 Depth=1
	s_andn2_saveexec_b64 s[24:25], s[6:7]
; %bb.1191:                             ;   in Loop: Header=BB399_644 Depth=1
	v_or_b32_e32 v10, 0x10000, v8
	v_cmp_eq_u32_sdwa s[6:7], v8, v31 src0_sel:WORD_0 src1_sel:DWORD
	v_cndmask_b32_e64 v26, v10, v8, s[6:7]
; %bb.1192:                             ;   in Loop: Header=BB399_644 Depth=1
	s_or_b64 exec, exec, s[24:25]
	v_lshrrev_b32_e32 v8, 16, v7
	v_cmp_ne_u16_sdwa s[6:7], v8, v31 src0_sel:BYTE_0 src1_sel:DWORD
	v_mov_b32_e32 v27, 0
	s_and_saveexec_b64 s[24:25], s[6:7]
	s_cbranch_execz .LBB399_1198
; %bb.1193:                             ;   in Loop: Header=BB399_644 Depth=1
	v_cmp_ne_u16_sdwa s[6:7], v8, s19 src0_sel:BYTE_0 src1_sel:DWORD
	v_bfrev_b32_e32 v27, 1
	s_and_saveexec_b64 s[26:27], s[6:7]
	s_cbranch_execz .LBB399_1197
; %bb.1194:                             ;   in Loop: Header=BB399_644 Depth=1
	v_bfe_u32 v28, v7, 16, 7
	v_cmp_ne_u32_e64 s[6:7], s34, v28
	v_mov_b32_e32 v27, 0x7f800001
	s_and_saveexec_b64 s[28:29], s[6:7]
	s_cbranch_execz .LBB399_1196
; %bb.1195:                             ;   in Loop: Header=BB399_644 Depth=1
	v_and_b32_e32 v10, 7, v8
	v_ffbh_u32_e32 v27, v10
	v_min_u32_e32 v27, 32, v27
	v_subrev_u32_e32 v29, 28, v27
	v_lshlrev_b64 v[34:35], v29, v[8:9]
	v_lshrrev_b32_e32 v11, 3, v28
	v_sub_u32_e32 v27, 29, v27
	v_and_b32_e32 v29, 7, v34
	v_cmp_gt_u32_e64 s[6:7], 8, v28
	v_cndmask_b32_e64 v11, v11, v27, s[6:7]
	v_cndmask_b32_e64 v10, v10, v29, s[6:7]
	v_lshlrev_b32_e32 v8, 24, v8
	v_bfrev_b32_e32 v9, 60
	v_lshlrev_b32_e32 v10, 20, v10
	v_and_b32_e32 v8, 0x80000000, v8
	v_lshl_add_u32 v11, v11, 23, v9
	v_or3_b32 v27, v8, v11, v10
.LBB399_1196:                           ;   in Loop: Header=BB399_644 Depth=1
	s_or_b64 exec, exec, s[28:29]
.LBB399_1197:                           ;   in Loop: Header=BB399_644 Depth=1
	s_or_b64 exec, exec, s[26:27]
.LBB399_1198:                           ;   in Loop: Header=BB399_644 Depth=1
	s_or_b64 exec, exec, s[24:25]
	v_mul_f32_e32 v8, v38, v27
	v_and_b32_e32 v10, 0x7f800000, v8
	v_cmp_ne_u32_e64 s[6:7], s9, v10
                                        ; implicit-def: $vgpr27
	s_and_saveexec_b64 s[24:25], s[6:7]
	s_xor_b64 s[6:7], exec, s[24:25]
; %bb.1199:                             ;   in Loop: Header=BB399_644 Depth=1
	v_bfe_u32 v10, v8, 16, 1
	v_add3_u32 v27, v8, v10, s15
                                        ; implicit-def: $vgpr8
; %bb.1200:                             ;   in Loop: Header=BB399_644 Depth=1
	s_andn2_saveexec_b64 s[24:25], s[6:7]
; %bb.1201:                             ;   in Loop: Header=BB399_644 Depth=1
	v_or_b32_e32 v10, 0x10000, v8
	v_cmp_eq_u32_sdwa s[6:7], v8, v31 src0_sel:WORD_0 src1_sel:DWORD
	v_cndmask_b32_e64 v27, v10, v8, s[6:7]
; %bb.1202:                             ;   in Loop: Header=BB399_644 Depth=1
	s_or_b64 exec, exec, s[24:25]
	v_cmp_lt_u64_e64 s[6:7], s[12:13], v[6:7]
	v_mov_b32_e32 v8, 0
	s_and_saveexec_b64 s[24:25], s[6:7]
	s_cbranch_execz .LBB399_1208
; %bb.1203:                             ;   in Loop: Header=BB399_644 Depth=1
	v_lshrrev_b32_e32 v6, 24, v7
	v_cmp_ne_u32_e64 s[6:7], s19, v6
	v_bfrev_b32_e32 v8, 1
	s_and_saveexec_b64 s[26:27], s[6:7]
	s_cbranch_execz .LBB399_1207
; %bb.1204:                             ;   in Loop: Header=BB399_644 Depth=1
	v_bfe_u32 v7, v7, 24, 7
	v_cmp_ne_u32_e64 s[6:7], s34, v7
	v_mov_b32_e32 v8, 0x7f800001
	s_and_saveexec_b64 s[28:29], s[6:7]
	s_cbranch_execz .LBB399_1206
; %bb.1205:                             ;   in Loop: Header=BB399_644 Depth=1
	v_and_b32_e32 v8, 7, v6
	v_ffbh_u32_e32 v11, v8
	v_min_u32_e32 v11, 32, v11
	v_subrev_u32_e32 v28, 28, v11
	v_lshlrev_b64 v[28:29], v28, v[6:7]
	v_lshrrev_b32_e32 v10, 3, v7
	v_sub_u32_e32 v11, 29, v11
	v_and_b32_e32 v28, 7, v28
	v_cmp_gt_u32_e64 s[6:7], 8, v7
	v_cndmask_b32_e64 v7, v10, v11, s[6:7]
	v_cndmask_b32_e64 v8, v8, v28, s[6:7]
	v_lshlrev_b32_e32 v6, 24, v6
	v_bfrev_b32_e32 v9, 60
	v_lshlrev_b32_e32 v8, 20, v8
	v_and_b32_e32 v6, 0x80000000, v6
	v_lshl_add_u32 v7, v7, 23, v9
	v_or3_b32 v8, v6, v7, v8
.LBB399_1206:                           ;   in Loop: Header=BB399_644 Depth=1
	s_or_b64 exec, exec, s[28:29]
.LBB399_1207:                           ;   in Loop: Header=BB399_644 Depth=1
	s_or_b64 exec, exec, s[26:27]
.LBB399_1208:                           ;   in Loop: Header=BB399_644 Depth=1
	s_or_b64 exec, exec, s[24:25]
	v_mul_f32_e32 v6, v38, v8
	v_and_b32_e32 v7, 0x7f800000, v6
	v_cmp_ne_u32_e64 s[6:7], s9, v7
                                        ; implicit-def: $vgpr28
	s_and_saveexec_b64 s[24:25], s[6:7]
	s_xor_b64 s[6:7], exec, s[24:25]
; %bb.1209:                             ;   in Loop: Header=BB399_644 Depth=1
	v_bfe_u32 v7, v6, 16, 1
	v_add3_u32 v28, v6, v7, s15
                                        ; implicit-def: $vgpr6
; %bb.1210:                             ;   in Loop: Header=BB399_644 Depth=1
	s_andn2_saveexec_b64 s[24:25], s[6:7]
; %bb.1211:                             ;   in Loop: Header=BB399_644 Depth=1
	v_or_b32_e32 v7, 0x10000, v6
	v_cmp_eq_u32_sdwa s[6:7], v6, v31 src0_sel:WORD_0 src1_sel:DWORD
	v_cndmask_b32_e64 v28, v7, v6, s[6:7]
; %bb.1212:                             ;   in Loop: Header=BB399_644 Depth=1
	s_or_b64 exec, exec, s[24:25]
	v_lshrrev_b32_e32 v6, 16, v26
	v_lshrrev_b32_e32 v7, 16, v23
	;; [unrolled: 1-line block ×8, first 2 shown]
	s_and_saveexec_b64 s[24:25], s[4:5]
	s_cbranch_execz .LBB399_1214
; %bb.1213:                             ;   in Loop: Header=BB399_644 Depth=1
	v_accvgpr_read_b32 v9, a26
	v_cmp_lt_i32_e64 s[6:7], v9, v33
	v_add_u32_e32 v10, -6, v17
	v_cndmask_b32_e64 v23, 0, v23, s[6:7]
	v_cmp_lt_i32_e64 s[6:7], v10, v33
	v_add_u32_e32 v10, -5, v17
	v_cndmask_b32_e64 v13, 0, v13, s[6:7]
	;; [unrolled: 3-line block ×6, first 2 shown]
	v_cmp_lt_i32_e64 s[6:7], v10, v33
	v_cndmask_b32_e64 v5, 0, v5, s[6:7]
	v_cmp_lt_i32_e64 s[6:7], v17, v33
	v_cndmask_b32_e64 v4, 0, v4, s[6:7]
.LBB399_1214:                           ;   in Loop: Header=BB399_644 Depth=1
	s_or_b64 exec, exec, s[24:25]
	v_lshlrev_b32_e32 v10, 16, v23
	v_mul_f32_e32 v23, v42, v10
	v_and_b32_e32 v10, 0x7f800000, v23
	v_cmp_ne_u32_e64 s[6:7], s9, v10
                                        ; implicit-def: $vgpr52
	s_and_saveexec_b64 s[24:25], s[6:7]
	s_xor_b64 s[6:7], exec, s[24:25]
; %bb.1215:                             ;   in Loop: Header=BB399_644 Depth=1
	v_bfe_u32 v10, v23, 16, 1
	v_add3_u32 v52, v23, v10, s15
                                        ; implicit-def: $vgpr23
; %bb.1216:                             ;   in Loop: Header=BB399_644 Depth=1
	s_andn2_saveexec_b64 s[24:25], s[6:7]
; %bb.1217:                             ;   in Loop: Header=BB399_644 Depth=1
	v_or_b32_e32 v10, 0x10000, v23
	v_cmp_eq_u32_sdwa s[6:7], v23, v31 src0_sel:WORD_0 src1_sel:DWORD
	v_cndmask_b32_e64 v52, v10, v23, s[6:7]
; %bb.1218:                             ;   in Loop: Header=BB399_644 Depth=1
	s_or_b64 exec, exec, s[24:25]
	v_lshlrev_b32_e32 v10, 16, v13
	v_mul_f32_e32 v13, v43, v10
	v_and_b32_e32 v10, 0x7f800000, v13
	v_cmp_ne_u32_e64 s[6:7], s9, v10
                                        ; implicit-def: $vgpr53
	s_and_saveexec_b64 s[24:25], s[6:7]
	s_xor_b64 s[6:7], exec, s[24:25]
; %bb.1219:                             ;   in Loop: Header=BB399_644 Depth=1
	v_bfe_u32 v10, v13, 16, 1
	v_add3_u32 v53, v13, v10, s15
                                        ; implicit-def: $vgpr13
; %bb.1220:                             ;   in Loop: Header=BB399_644 Depth=1
	s_andn2_saveexec_b64 s[24:25], s[6:7]
; %bb.1221:                             ;   in Loop: Header=BB399_644 Depth=1
	v_or_b32_e32 v10, 0x10000, v13
	v_cmp_eq_u32_sdwa s[6:7], v13, v31 src0_sel:WORD_0 src1_sel:DWORD
	v_cndmask_b32_e64 v53, v10, v13, s[6:7]
; %bb.1222:                             ;   in Loop: Header=BB399_644 Depth=1
	s_or_b64 exec, exec, s[24:25]
	v_lshlrev_b32_e32 v10, 16, v12
	v_mul_f32_e32 v12, v44, v10
	v_and_b32_e32 v10, 0x7f800000, v12
	v_cmp_ne_u32_e64 s[6:7], s9, v10
                                        ; implicit-def: $vgpr54
	s_and_saveexec_b64 s[24:25], s[6:7]
	s_xor_b64 s[6:7], exec, s[24:25]
; %bb.1223:                             ;   in Loop: Header=BB399_644 Depth=1
	v_bfe_u32 v10, v12, 16, 1
	v_add3_u32 v54, v12, v10, s15
                                        ; implicit-def: $vgpr12
; %bb.1224:                             ;   in Loop: Header=BB399_644 Depth=1
	s_andn2_saveexec_b64 s[24:25], s[6:7]
; %bb.1225:                             ;   in Loop: Header=BB399_644 Depth=1
	v_or_b32_e32 v10, 0x10000, v12
	v_cmp_eq_u32_sdwa s[6:7], v12, v31 src0_sel:WORD_0 src1_sel:DWORD
	v_cndmask_b32_e64 v54, v10, v12, s[6:7]
; %bb.1226:                             ;   in Loop: Header=BB399_644 Depth=1
	s_or_b64 exec, exec, s[24:25]
	v_lshlrev_b32_e32 v8, 16, v8
	v_mul_f32_e32 v8, v45, v8
	v_and_b32_e32 v10, 0x7f800000, v8
	v_cmp_ne_u32_e64 s[6:7], s9, v10
                                        ; implicit-def: $vgpr55
	s_and_saveexec_b64 s[24:25], s[6:7]
	s_xor_b64 s[6:7], exec, s[24:25]
; %bb.1227:                             ;   in Loop: Header=BB399_644 Depth=1
	v_bfe_u32 v10, v8, 16, 1
	v_add3_u32 v55, v8, v10, s15
                                        ; implicit-def: $vgpr8
; %bb.1228:                             ;   in Loop: Header=BB399_644 Depth=1
	s_andn2_saveexec_b64 s[24:25], s[6:7]
; %bb.1229:                             ;   in Loop: Header=BB399_644 Depth=1
	v_or_b32_e32 v10, 0x10000, v8
	v_cmp_eq_u32_sdwa s[6:7], v8, v31 src0_sel:WORD_0 src1_sel:DWORD
	v_cndmask_b32_e64 v55, v10, v8, s[6:7]
; %bb.1230:                             ;   in Loop: Header=BB399_644 Depth=1
	s_or_b64 exec, exec, s[24:25]
	v_lshlrev_b32_e32 v7, 16, v7
	v_mul_f32_e32 v7, v46, v7
	v_and_b32_e32 v8, 0x7f800000, v7
	v_cmp_ne_u32_e64 s[6:7], s9, v8
                                        ; implicit-def: $vgpr40
	s_and_saveexec_b64 s[24:25], s[6:7]
	s_xor_b64 s[6:7], exec, s[24:25]
; %bb.1231:                             ;   in Loop: Header=BB399_644 Depth=1
	v_bfe_u32 v8, v7, 16, 1
	v_add3_u32 v40, v7, v8, s15
                                        ; implicit-def: $vgpr7
; %bb.1232:                             ;   in Loop: Header=BB399_644 Depth=1
	s_andn2_saveexec_b64 s[24:25], s[6:7]
; %bb.1233:                             ;   in Loop: Header=BB399_644 Depth=1
	v_or_b32_e32 v8, 0x10000, v7
	v_cmp_eq_u32_sdwa s[6:7], v7, v31 src0_sel:WORD_0 src1_sel:DWORD
	v_cndmask_b32_e64 v40, v8, v7, s[6:7]
; %bb.1234:                             ;   in Loop: Header=BB399_644 Depth=1
	s_or_b64 exec, exec, s[24:25]
	v_lshlrev_b32_e32 v6, 16, v6
	v_mul_f32_e32 v6, v47, v6
	v_and_b32_e32 v7, 0x7f800000, v6
	v_cmp_ne_u32_e64 s[6:7], s9, v7
                                        ; implicit-def: $vgpr58
	s_and_saveexec_b64 s[24:25], s[6:7]
	s_xor_b64 s[6:7], exec, s[24:25]
; %bb.1235:                             ;   in Loop: Header=BB399_644 Depth=1
	v_bfe_u32 v7, v6, 16, 1
	v_add3_u32 v58, v6, v7, s15
                                        ; implicit-def: $vgpr6
; %bb.1236:                             ;   in Loop: Header=BB399_644 Depth=1
	s_andn2_saveexec_b64 s[24:25], s[6:7]
; %bb.1237:                             ;   in Loop: Header=BB399_644 Depth=1
	v_or_b32_e32 v7, 0x10000, v6
	v_cmp_eq_u32_sdwa s[6:7], v6, v31 src0_sel:WORD_0 src1_sel:DWORD
	v_cndmask_b32_e64 v58, v7, v6, s[6:7]
; %bb.1238:                             ;   in Loop: Header=BB399_644 Depth=1
	s_or_b64 exec, exec, s[24:25]
	v_lshlrev_b32_e32 v5, 16, v5
	v_mul_f32_e32 v5, v56, v5
	v_and_b32_e32 v6, 0x7f800000, v5
	v_cmp_ne_u32_e64 s[6:7], s9, v6
                                        ; implicit-def: $vgpr59
	s_and_saveexec_b64 s[24:25], s[6:7]
	s_xor_b64 s[6:7], exec, s[24:25]
; %bb.1239:                             ;   in Loop: Header=BB399_644 Depth=1
	v_bfe_u32 v6, v5, 16, 1
	v_add3_u32 v59, v5, v6, s15
                                        ; implicit-def: $vgpr5
; %bb.1240:                             ;   in Loop: Header=BB399_644 Depth=1
	s_andn2_saveexec_b64 s[24:25], s[6:7]
; %bb.1241:                             ;   in Loop: Header=BB399_644 Depth=1
	v_or_b32_e32 v6, 0x10000, v5
	v_cmp_eq_u32_sdwa s[6:7], v5, v31 src0_sel:WORD_0 src1_sel:DWORD
	v_cndmask_b32_e64 v59, v6, v5, s[6:7]
; %bb.1242:                             ;   in Loop: Header=BB399_644 Depth=1
	s_or_b64 exec, exec, s[24:25]
	v_lshlrev_b32_e32 v4, 16, v4
	v_mul_f32_e32 v4, v57, v4
	v_and_b32_e32 v5, 0x7f800000, v4
	v_cmp_ne_u32_e64 s[6:7], s9, v5
                                        ; implicit-def: $vgpr60
	s_and_saveexec_b64 s[24:25], s[6:7]
	s_xor_b64 s[6:7], exec, s[24:25]
; %bb.1243:                             ;   in Loop: Header=BB399_644 Depth=1
	v_bfe_u32 v5, v4, 16, 1
	v_add3_u32 v60, v4, v5, s15
                                        ; implicit-def: $vgpr4
; %bb.1244:                             ;   in Loop: Header=BB399_644 Depth=1
	s_andn2_saveexec_b64 s[24:25], s[6:7]
; %bb.1245:                             ;   in Loop: Header=BB399_644 Depth=1
	v_or_b32_e32 v5, 0x10000, v4
	v_cmp_eq_u32_sdwa s[6:7], v4, v31 src0_sel:WORD_0 src1_sel:DWORD
	v_cndmask_b32_e64 v60, v5, v4, s[6:7]
; %bb.1246:                             ;   in Loop: Header=BB399_644 Depth=1
	s_or_b64 exec, exec, s[24:25]
	flat_load_dwordx2 v[6:7], v[2:3] offset:2560
	v_mov_b32_e32 v4, 0
	s_waitcnt vmcnt(0) lgkmcnt(0)
	v_cmp_ne_u16_sdwa s[6:7], v6, v31 src0_sel:BYTE_0 src1_sel:DWORD
	s_and_saveexec_b64 s[24:25], s[6:7]
	s_cbranch_execz .LBB399_1252
; %bb.1247:                             ;   in Loop: Header=BB399_644 Depth=1
	v_cmp_ne_u16_sdwa s[6:7], v6, s19 src0_sel:BYTE_0 src1_sel:DWORD
	v_bfrev_b32_e32 v4, 1
	s_and_saveexec_b64 s[26:27], s[6:7]
	s_cbranch_execz .LBB399_1251
; %bb.1248:                             ;   in Loop: Header=BB399_644 Depth=1
	v_and_b32_e32 v5, 0x7f, v6
	v_cmp_ne_u32_e64 s[6:7], s34, v5
	v_mov_b32_e32 v4, 0x7f800001
	s_and_saveexec_b64 s[28:29], s[6:7]
	s_cbranch_execz .LBB399_1250
; %bb.1249:                             ;   in Loop: Header=BB399_644 Depth=1
	v_and_b32_e32 v4, 7, v6
	v_ffbh_u32_e32 v4, v4
	v_min_u32_e32 v4, 32, v4
	v_lshrrev_b32_e32 v8, 3, v5
	v_subrev_u32_e32 v10, 28, v4
	v_sub_u32_e32 v4, 29, v4
	v_cmp_gt_u32_e64 s[6:7], 8, v5
	v_cndmask_b32_e64 v8, v8, v4, s[6:7]
	v_cndmask_b32_e64 v4, 0, v10, s[6:7]
	v_lshlrev_b64 v[4:5], v4, v[6:7]
	v_lshlrev_b32_e32 v4, 20, v4
	v_lshlrev_b32_e32 v5, 24, v6
	v_bfrev_b32_e32 v9, 60
	v_and_b32_e32 v4, 0x700000, v4
	v_and_b32_e32 v5, 0x80000000, v5
	v_lshl_add_u32 v8, v8, 23, v9
	v_or3_b32 v4, v5, v8, v4
.LBB399_1250:                           ;   in Loop: Header=BB399_644 Depth=1
	s_or_b64 exec, exec, s[28:29]
.LBB399_1251:                           ;   in Loop: Header=BB399_644 Depth=1
	s_or_b64 exec, exec, s[26:27]
.LBB399_1252:                           ;   in Loop: Header=BB399_644 Depth=1
	s_or_b64 exec, exec, s[24:25]
	v_mul_f32_e32 v5, v38, v4
	v_and_b32_e32 v4, 0x7f800000, v5
	v_cmp_ne_u32_e64 s[6:7], s9, v4
                                        ; implicit-def: $vgpr4
	s_and_saveexec_b64 s[24:25], s[6:7]
	s_xor_b64 s[6:7], exec, s[24:25]
; %bb.1253:                             ;   in Loop: Header=BB399_644 Depth=1
	v_bfe_u32 v4, v5, 16, 1
	v_add3_u32 v4, v5, v4, s15
                                        ; implicit-def: $vgpr5
; %bb.1254:                             ;   in Loop: Header=BB399_644 Depth=1
	s_andn2_saveexec_b64 s[24:25], s[6:7]
; %bb.1255:                             ;   in Loop: Header=BB399_644 Depth=1
	v_or_b32_e32 v4, 0x10000, v5
	v_cmp_eq_u32_sdwa s[6:7], v5, v31 src0_sel:WORD_0 src1_sel:DWORD
	v_cndmask_b32_e64 v4, v4, v5, s[6:7]
; %bb.1256:                             ;   in Loop: Header=BB399_644 Depth=1
	s_or_b64 exec, exec, s[24:25]
	v_lshrrev_b16_e32 v8, 8, v6
	v_cmp_ne_u16_e64 s[6:7], 0, v8
	v_mov_b32_e32 v5, 0
	s_and_saveexec_b64 s[24:25], s[6:7]
	s_cbranch_execz .LBB399_1262
; %bb.1257:                             ;   in Loop: Header=BB399_644 Depth=1
	v_cmp_ne_u16_e64 s[6:7], s19, v8
	v_bfrev_b32_e32 v5, 1
	s_and_saveexec_b64 s[26:27], s[6:7]
	s_cbranch_execz .LBB399_1261
; %bb.1258:                             ;   in Loop: Header=BB399_644 Depth=1
	v_and_b32_e32 v12, 0x7f, v8
	v_cmp_ne_u32_e64 s[6:7], s34, v12
	v_mov_b32_e32 v5, 0x7f800001
	s_and_saveexec_b64 s[28:29], s[6:7]
	s_cbranch_execz .LBB399_1260
; %bb.1259:                             ;   in Loop: Header=BB399_644 Depth=1
	v_and_b32_e32 v5, 7, v8
	v_ffbh_u32_e32 v11, v5
	v_min_u32_e32 v11, 32, v11
	v_subrev_u32_e32 v13, 28, v11
	v_lshlrev_b64 v[26:27], v13, v[8:9]
	v_lshrrev_b32_e32 v10, 3, v12
	v_sub_u32_e32 v8, 29, v11
	v_and_b32_e32 v11, 7, v26
	v_cmp_gt_u32_e64 s[6:7], 8, v12
	v_cndmask_b32_e64 v8, v10, v8, s[6:7]
	v_cndmask_b32_e64 v5, v5, v11, s[6:7]
	v_lshlrev_b32_e32 v10, 16, v6
	v_bfrev_b32_e32 v9, 60
	v_lshlrev_b32_e32 v5, 20, v5
	v_and_b32_e32 v10, 0x80000000, v10
	v_lshl_add_u32 v8, v8, 23, v9
	v_or3_b32 v5, v10, v8, v5
.LBB399_1260:                           ;   in Loop: Header=BB399_644 Depth=1
	s_or_b64 exec, exec, s[28:29]
.LBB399_1261:                           ;   in Loop: Header=BB399_644 Depth=1
	s_or_b64 exec, exec, s[26:27]
.LBB399_1262:                           ;   in Loop: Header=BB399_644 Depth=1
	s_or_b64 exec, exec, s[24:25]
	v_mul_f32_e32 v8, v38, v5
	v_and_b32_e32 v5, 0x7f800000, v8
	v_cmp_ne_u32_e64 s[6:7], s9, v5
                                        ; implicit-def: $vgpr5
	s_and_saveexec_b64 s[24:25], s[6:7]
	s_xor_b64 s[6:7], exec, s[24:25]
; %bb.1263:                             ;   in Loop: Header=BB399_644 Depth=1
	v_bfe_u32 v5, v8, 16, 1
	v_add3_u32 v5, v8, v5, s15
                                        ; implicit-def: $vgpr8
; %bb.1264:                             ;   in Loop: Header=BB399_644 Depth=1
	s_andn2_saveexec_b64 s[24:25], s[6:7]
; %bb.1265:                             ;   in Loop: Header=BB399_644 Depth=1
	v_or_b32_e32 v5, 0x10000, v8
	v_cmp_eq_u32_sdwa s[6:7], v8, v31 src0_sel:WORD_0 src1_sel:DWORD
	v_cndmask_b32_e64 v5, v5, v8, s[6:7]
; %bb.1266:                             ;   in Loop: Header=BB399_644 Depth=1
	s_or_b64 exec, exec, s[24:25]
	v_lshrrev_b32_e32 v8, 16, v6
	v_cmp_ne_u16_sdwa s[6:7], v8, v31 src0_sel:BYTE_0 src1_sel:DWORD
	v_mov_b32_e32 v12, 0
	s_and_saveexec_b64 s[24:25], s[6:7]
	s_cbranch_execz .LBB399_1272
; %bb.1267:                             ;   in Loop: Header=BB399_644 Depth=1
	v_cmp_ne_u16_sdwa s[6:7], v8, s19 src0_sel:BYTE_0 src1_sel:DWORD
	v_bfrev_b32_e32 v12, 1
	s_and_saveexec_b64 s[26:27], s[6:7]
	s_cbranch_execz .LBB399_1271
; %bb.1268:                             ;   in Loop: Header=BB399_644 Depth=1
	v_bfe_u32 v13, v6, 16, 7
	v_cmp_ne_u32_e64 s[6:7], s34, v13
	v_mov_b32_e32 v12, 0x7f800001
	s_and_saveexec_b64 s[28:29], s[6:7]
	s_cbranch_execz .LBB399_1270
; %bb.1269:                             ;   in Loop: Header=BB399_644 Depth=1
	v_and_b32_e32 v10, 7, v8
	v_ffbh_u32_e32 v12, v10
	v_min_u32_e32 v12, 32, v12
	v_subrev_u32_e32 v23, 28, v12
	v_lshlrev_b64 v[26:27], v23, v[8:9]
	v_lshrrev_b32_e32 v11, 3, v13
	v_sub_u32_e32 v12, 29, v12
	v_and_b32_e32 v23, 7, v26
	v_cmp_gt_u32_e64 s[6:7], 8, v13
	v_cndmask_b32_e64 v11, v11, v12, s[6:7]
	v_cndmask_b32_e64 v10, v10, v23, s[6:7]
	v_lshlrev_b32_e32 v8, 24, v8
	v_bfrev_b32_e32 v9, 60
	v_lshlrev_b32_e32 v10, 20, v10
	v_and_b32_e32 v8, 0x80000000, v8
	v_lshl_add_u32 v11, v11, 23, v9
	v_or3_b32 v12, v8, v11, v10
.LBB399_1270:                           ;   in Loop: Header=BB399_644 Depth=1
	s_or_b64 exec, exec, s[28:29]
.LBB399_1271:                           ;   in Loop: Header=BB399_644 Depth=1
	s_or_b64 exec, exec, s[26:27]
.LBB399_1272:                           ;   in Loop: Header=BB399_644 Depth=1
	s_or_b64 exec, exec, s[24:25]
	v_mul_f32_e32 v8, v38, v12
	v_and_b32_e32 v10, 0x7f800000, v8
	v_cmp_ne_u32_e64 s[6:7], s9, v10
                                        ; implicit-def: $vgpr12
	s_and_saveexec_b64 s[24:25], s[6:7]
	s_xor_b64 s[6:7], exec, s[24:25]
; %bb.1273:                             ;   in Loop: Header=BB399_644 Depth=1
	v_bfe_u32 v10, v8, 16, 1
	v_add3_u32 v12, v8, v10, s15
                                        ; implicit-def: $vgpr8
; %bb.1274:                             ;   in Loop: Header=BB399_644 Depth=1
	s_andn2_saveexec_b64 s[24:25], s[6:7]
; %bb.1275:                             ;   in Loop: Header=BB399_644 Depth=1
	v_or_b32_e32 v10, 0x10000, v8
	v_cmp_eq_u32_sdwa s[6:7], v8, v31 src0_sel:WORD_0 src1_sel:DWORD
	v_cndmask_b32_e64 v12, v10, v8, s[6:7]
; %bb.1276:                             ;   in Loop: Header=BB399_644 Depth=1
	s_or_b64 exec, exec, s[24:25]
	v_cmp_lt_u32_e64 s[6:7], s13, v6
	v_mov_b32_e32 v13, 0
	s_and_saveexec_b64 s[24:25], s[6:7]
	s_cbranch_execz .LBB399_1282
; %bb.1277:                             ;   in Loop: Header=BB399_644 Depth=1
	v_lshrrev_b32_e32 v8, 24, v6
	v_cmp_ne_u32_e64 s[6:7], s19, v8
	v_bfrev_b32_e32 v13, 1
	s_and_saveexec_b64 s[26:27], s[6:7]
	s_cbranch_execz .LBB399_1281
; %bb.1278:                             ;   in Loop: Header=BB399_644 Depth=1
	v_bfe_u32 v23, v6, 24, 7
	v_cmp_ne_u32_e64 s[6:7], s34, v23
	v_mov_b32_e32 v13, 0x7f800001
	s_and_saveexec_b64 s[28:29], s[6:7]
	s_cbranch_execz .LBB399_1280
; %bb.1279:                             ;   in Loop: Header=BB399_644 Depth=1
	v_and_b32_e32 v10, 7, v8
	v_ffbh_u32_e32 v13, v10
	v_min_u32_e32 v13, 32, v13
	v_subrev_u32_e32 v26, 28, v13
	v_lshlrev_b64 v[26:27], v26, v[8:9]
	v_lshrrev_b32_e32 v11, 3, v23
	v_sub_u32_e32 v13, 29, v13
	v_and_b32_e32 v26, 7, v26
	v_cmp_gt_u32_e64 s[6:7], 8, v23
	v_cndmask_b32_e64 v11, v11, v13, s[6:7]
	v_cndmask_b32_e64 v10, v10, v26, s[6:7]
	v_lshlrev_b32_e32 v8, 24, v8
	v_bfrev_b32_e32 v9, 60
	v_lshlrev_b32_e32 v10, 20, v10
	v_and_b32_e32 v8, 0x80000000, v8
	v_lshl_add_u32 v11, v11, 23, v9
	v_or3_b32 v13, v8, v11, v10
.LBB399_1280:                           ;   in Loop: Header=BB399_644 Depth=1
	s_or_b64 exec, exec, s[28:29]
.LBB399_1281:                           ;   in Loop: Header=BB399_644 Depth=1
	s_or_b64 exec, exec, s[26:27]
.LBB399_1282:                           ;   in Loop: Header=BB399_644 Depth=1
	s_or_b64 exec, exec, s[24:25]
	v_mul_f32_e32 v8, v38, v13
	v_and_b32_e32 v10, 0x7f800000, v8
	v_cmp_ne_u32_e64 s[6:7], s9, v10
                                        ; implicit-def: $vgpr13
	s_and_saveexec_b64 s[24:25], s[6:7]
	s_xor_b64 s[6:7], exec, s[24:25]
; %bb.1283:                             ;   in Loop: Header=BB399_644 Depth=1
	v_bfe_u32 v10, v8, 16, 1
	v_add3_u32 v13, v8, v10, s15
                                        ; implicit-def: $vgpr8
; %bb.1284:                             ;   in Loop: Header=BB399_644 Depth=1
	s_andn2_saveexec_b64 s[24:25], s[6:7]
; %bb.1285:                             ;   in Loop: Header=BB399_644 Depth=1
	v_or_b32_e32 v10, 0x10000, v8
	v_cmp_eq_u32_sdwa s[6:7], v8, v31 src0_sel:WORD_0 src1_sel:DWORD
	v_cndmask_b32_e64 v13, v10, v8, s[6:7]
; %bb.1286:                             ;   in Loop: Header=BB399_644 Depth=1
	s_or_b64 exec, exec, s[24:25]
	v_mov_b32_e32 v30, v7
	v_cmp_ne_u16_sdwa s[6:7], v7, v31 src0_sel:BYTE_0 src1_sel:DWORD
	v_mov_b32_e32 v8, 0
	s_and_saveexec_b64 s[24:25], s[6:7]
	s_cbranch_execz .LBB399_1292
; %bb.1287:                             ;   in Loop: Header=BB399_644 Depth=1
	v_cmp_ne_u16_sdwa s[6:7], v7, s19 src0_sel:BYTE_0 src1_sel:DWORD
	v_bfrev_b32_e32 v8, 1
	s_and_saveexec_b64 s[26:27], s[6:7]
	s_cbranch_execz .LBB399_1291
; %bb.1288:                             ;   in Loop: Header=BB399_644 Depth=1
	v_and_b32_e32 v10, 0x7f, v7
	v_cmp_ne_u32_e64 s[6:7], s34, v10
	v_mov_b32_e32 v8, 0x7f800001
	s_and_saveexec_b64 s[28:29], s[6:7]
	s_cbranch_execz .LBB399_1290
; %bb.1289:                             ;   in Loop: Header=BB399_644 Depth=1
	v_and_b32_e32 v8, 7, v7
	v_ffbh_u32_e32 v8, v8
	v_min_u32_e32 v8, 32, v8
	v_subrev_u32_e32 v23, 28, v8
	v_cmp_gt_u32_e64 s[6:7], 8, v10
	v_lshrrev_b32_e32 v11, 3, v10
	v_cndmask_b32_e64 v10, 0, v23, s[6:7]
	v_sub_u32_e32 v8, 29, v8
	v_lshlrev_b64 v[26:27], v10, v[30:31]
	v_cndmask_b32_e64 v8, v11, v8, s[6:7]
	v_lshlrev_b32_e32 v10, 20, v26
	v_lshlrev_b32_e32 v11, 24, v30
	v_bfrev_b32_e32 v9, 60
	v_and_b32_e32 v10, 0x700000, v10
	v_and_b32_e32 v11, 0x80000000, v11
	v_lshl_add_u32 v8, v8, 23, v9
	v_or3_b32 v8, v11, v8, v10
.LBB399_1290:                           ;   in Loop: Header=BB399_644 Depth=1
	s_or_b64 exec, exec, s[28:29]
.LBB399_1291:                           ;   in Loop: Header=BB399_644 Depth=1
	s_or_b64 exec, exec, s[26:27]
.LBB399_1292:                           ;   in Loop: Header=BB399_644 Depth=1
	s_or_b64 exec, exec, s[24:25]
	v_mul_f32_e32 v8, v38, v8
	v_and_b32_e32 v10, 0x7f800000, v8
	v_cmp_ne_u32_e64 s[6:7], s9, v10
                                        ; implicit-def: $vgpr23
	s_and_saveexec_b64 s[24:25], s[6:7]
	s_xor_b64 s[6:7], exec, s[24:25]
; %bb.1293:                             ;   in Loop: Header=BB399_644 Depth=1
	v_bfe_u32 v10, v8, 16, 1
	v_add3_u32 v23, v8, v10, s15
                                        ; implicit-def: $vgpr8
; %bb.1294:                             ;   in Loop: Header=BB399_644 Depth=1
	s_andn2_saveexec_b64 s[24:25], s[6:7]
; %bb.1295:                             ;   in Loop: Header=BB399_644 Depth=1
	v_or_b32_e32 v10, 0x10000, v8
	v_cmp_eq_u32_sdwa s[6:7], v8, v31 src0_sel:WORD_0 src1_sel:DWORD
	v_cndmask_b32_e64 v23, v10, v8, s[6:7]
; %bb.1296:                             ;   in Loop: Header=BB399_644 Depth=1
	s_or_b64 exec, exec, s[24:25]
	v_lshrrev_b16_e32 v8, 8, v30
	v_cmp_ne_u16_e64 s[6:7], 0, v8
	v_mov_b32_e32 v26, 0
	s_and_saveexec_b64 s[24:25], s[6:7]
	s_cbranch_execz .LBB399_1302
; %bb.1297:                             ;   in Loop: Header=BB399_644 Depth=1
	v_cmp_ne_u16_e64 s[6:7], s19, v8
	v_bfrev_b32_e32 v26, 1
	s_and_saveexec_b64 s[26:27], s[6:7]
	s_cbranch_execz .LBB399_1301
; %bb.1298:                             ;   in Loop: Header=BB399_644 Depth=1
	v_and_b32_e32 v27, 0x7f, v8
	v_cmp_ne_u32_e64 s[6:7], s34, v27
	v_mov_b32_e32 v26, 0x7f800001
	s_and_saveexec_b64 s[28:29], s[6:7]
	s_cbranch_execz .LBB399_1300
; %bb.1299:                             ;   in Loop: Header=BB399_644 Depth=1
	v_and_b32_e32 v10, 7, v8
	v_ffbh_u32_e32 v26, v10
	v_min_u32_e32 v26, 32, v26
	v_subrev_u32_e32 v28, 28, v26
	v_lshlrev_b64 v[28:29], v28, v[8:9]
	v_lshrrev_b32_e32 v11, 3, v27
	v_sub_u32_e32 v8, 29, v26
	v_and_b32_e32 v26, 7, v28
	v_cmp_gt_u32_e64 s[6:7], 8, v27
	v_cndmask_b32_e64 v8, v11, v8, s[6:7]
	v_cndmask_b32_e64 v10, v10, v26, s[6:7]
	v_lshlrev_b32_e32 v11, 16, v30
	v_bfrev_b32_e32 v9, 60
	v_lshlrev_b32_e32 v10, 20, v10
	v_and_b32_e32 v11, 0x80000000, v11
	v_lshl_add_u32 v8, v8, 23, v9
	v_or3_b32 v26, v11, v8, v10
.LBB399_1300:                           ;   in Loop: Header=BB399_644 Depth=1
	s_or_b64 exec, exec, s[28:29]
.LBB399_1301:                           ;   in Loop: Header=BB399_644 Depth=1
	s_or_b64 exec, exec, s[26:27]
.LBB399_1302:                           ;   in Loop: Header=BB399_644 Depth=1
	s_or_b64 exec, exec, s[24:25]
	v_mul_f32_e32 v8, v38, v26
	v_and_b32_e32 v10, 0x7f800000, v8
	v_cmp_ne_u32_e64 s[6:7], s9, v10
                                        ; implicit-def: $vgpr26
	s_and_saveexec_b64 s[24:25], s[6:7]
	s_xor_b64 s[6:7], exec, s[24:25]
; %bb.1303:                             ;   in Loop: Header=BB399_644 Depth=1
	v_bfe_u32 v10, v8, 16, 1
	v_add3_u32 v26, v8, v10, s15
                                        ; implicit-def: $vgpr8
; %bb.1304:                             ;   in Loop: Header=BB399_644 Depth=1
	s_andn2_saveexec_b64 s[24:25], s[6:7]
; %bb.1305:                             ;   in Loop: Header=BB399_644 Depth=1
	v_or_b32_e32 v10, 0x10000, v8
	v_cmp_eq_u32_sdwa s[6:7], v8, v31 src0_sel:WORD_0 src1_sel:DWORD
	v_cndmask_b32_e64 v26, v10, v8, s[6:7]
; %bb.1306:                             ;   in Loop: Header=BB399_644 Depth=1
	s_or_b64 exec, exec, s[24:25]
	v_lshrrev_b32_e32 v8, 16, v7
	v_cmp_ne_u16_sdwa s[6:7], v8, v31 src0_sel:BYTE_0 src1_sel:DWORD
	v_mov_b32_e32 v27, 0
	s_and_saveexec_b64 s[24:25], s[6:7]
	s_cbranch_execz .LBB399_1312
; %bb.1307:                             ;   in Loop: Header=BB399_644 Depth=1
	v_cmp_ne_u16_sdwa s[6:7], v8, s19 src0_sel:BYTE_0 src1_sel:DWORD
	v_bfrev_b32_e32 v27, 1
	s_and_saveexec_b64 s[26:27], s[6:7]
	s_cbranch_execz .LBB399_1311
; %bb.1308:                             ;   in Loop: Header=BB399_644 Depth=1
	v_bfe_u32 v28, v7, 16, 7
	v_cmp_ne_u32_e64 s[6:7], s34, v28
	v_mov_b32_e32 v27, 0x7f800001
	s_and_saveexec_b64 s[28:29], s[6:7]
	s_cbranch_execz .LBB399_1310
; %bb.1309:                             ;   in Loop: Header=BB399_644 Depth=1
	v_and_b32_e32 v10, 7, v8
	v_ffbh_u32_e32 v27, v10
	v_min_u32_e32 v27, 32, v27
	v_subrev_u32_e32 v29, 28, v27
	v_lshlrev_b64 v[34:35], v29, v[8:9]
	v_lshrrev_b32_e32 v11, 3, v28
	v_sub_u32_e32 v27, 29, v27
	v_and_b32_e32 v29, 7, v34
	v_cmp_gt_u32_e64 s[6:7], 8, v28
	v_cndmask_b32_e64 v11, v11, v27, s[6:7]
	v_cndmask_b32_e64 v10, v10, v29, s[6:7]
	v_lshlrev_b32_e32 v8, 24, v8
	v_bfrev_b32_e32 v9, 60
	v_lshlrev_b32_e32 v10, 20, v10
	v_and_b32_e32 v8, 0x80000000, v8
	v_lshl_add_u32 v11, v11, 23, v9
	v_or3_b32 v27, v8, v11, v10
.LBB399_1310:                           ;   in Loop: Header=BB399_644 Depth=1
	s_or_b64 exec, exec, s[28:29]
.LBB399_1311:                           ;   in Loop: Header=BB399_644 Depth=1
	s_or_b64 exec, exec, s[26:27]
.LBB399_1312:                           ;   in Loop: Header=BB399_644 Depth=1
	s_or_b64 exec, exec, s[24:25]
	v_mul_f32_e32 v27, v38, v27
	v_and_b32_e32 v8, 0x7f800000, v27
	v_cmp_ne_u32_e64 s[6:7], s9, v8
                                        ; implicit-def: $vgpr8
	s_and_saveexec_b64 s[24:25], s[6:7]
	s_xor_b64 s[6:7], exec, s[24:25]
; %bb.1313:                             ;   in Loop: Header=BB399_644 Depth=1
	v_bfe_u32 v8, v27, 16, 1
	v_add3_u32 v8, v27, v8, s15
                                        ; implicit-def: $vgpr27
; %bb.1314:                             ;   in Loop: Header=BB399_644 Depth=1
	s_andn2_saveexec_b64 s[24:25], s[6:7]
; %bb.1315:                             ;   in Loop: Header=BB399_644 Depth=1
	v_or_b32_e32 v8, 0x10000, v27
	v_cmp_eq_u32_sdwa s[6:7], v27, v31 src0_sel:WORD_0 src1_sel:DWORD
	v_cndmask_b32_e64 v8, v8, v27, s[6:7]
; %bb.1316:                             ;   in Loop: Header=BB399_644 Depth=1
	s_or_b64 exec, exec, s[24:25]
	v_cmp_lt_u64_e64 s[6:7], s[12:13], v[6:7]
	v_mov_b32_e32 v27, 0
	s_and_saveexec_b64 s[24:25], s[6:7]
	s_cbranch_execz .LBB399_1322
; %bb.1317:                             ;   in Loop: Header=BB399_644 Depth=1
	v_lshrrev_b32_e32 v6, 24, v7
	v_cmp_ne_u32_e64 s[6:7], s19, v6
	v_bfrev_b32_e32 v27, 1
	s_and_saveexec_b64 s[26:27], s[6:7]
	s_cbranch_execz .LBB399_1321
; %bb.1318:                             ;   in Loop: Header=BB399_644 Depth=1
	v_bfe_u32 v7, v7, 24, 7
	v_cmp_ne_u32_e64 s[6:7], s34, v7
	v_mov_b32_e32 v27, 0x7f800001
	s_and_saveexec_b64 s[28:29], s[6:7]
	s_cbranch_execz .LBB399_1320
; %bb.1319:                             ;   in Loop: Header=BB399_644 Depth=1
	v_and_b32_e32 v10, 7, v6
	v_ffbh_u32_e32 v27, v10
	v_min_u32_e32 v27, 32, v27
	v_subrev_u32_e32 v28, 28, v27
	v_lshlrev_b64 v[28:29], v28, v[6:7]
	v_lshrrev_b32_e32 v11, 3, v7
	v_sub_u32_e32 v27, 29, v27
	v_and_b32_e32 v28, 7, v28
	v_cmp_gt_u32_e64 s[6:7], 8, v7
	v_cndmask_b32_e64 v7, v11, v27, s[6:7]
	v_cndmask_b32_e64 v10, v10, v28, s[6:7]
	v_lshlrev_b32_e32 v6, 24, v6
	v_bfrev_b32_e32 v9, 60
	v_lshlrev_b32_e32 v10, 20, v10
	v_and_b32_e32 v6, 0x80000000, v6
	v_lshl_add_u32 v7, v7, 23, v9
	v_or3_b32 v27, v6, v7, v10
.LBB399_1320:                           ;   in Loop: Header=BB399_644 Depth=1
	s_or_b64 exec, exec, s[28:29]
.LBB399_1321:                           ;   in Loop: Header=BB399_644 Depth=1
	s_or_b64 exec, exec, s[26:27]
.LBB399_1322:                           ;   in Loop: Header=BB399_644 Depth=1
	s_or_b64 exec, exec, s[24:25]
	v_mul_f32_e32 v7, v38, v27
	v_and_b32_e32 v6, 0x7f800000, v7
	v_cmp_ne_u32_e64 s[6:7], s9, v6
                                        ; implicit-def: $vgpr6
	s_and_saveexec_b64 s[24:25], s[6:7]
	s_xor_b64 s[6:7], exec, s[24:25]
; %bb.1323:                             ;   in Loop: Header=BB399_644 Depth=1
	v_bfe_u32 v6, v7, 16, 1
	v_add3_u32 v6, v7, v6, s15
                                        ; implicit-def: $vgpr7
; %bb.1324:                             ;   in Loop: Header=BB399_644 Depth=1
	s_andn2_saveexec_b64 s[24:25], s[6:7]
; %bb.1325:                             ;   in Loop: Header=BB399_644 Depth=1
	v_or_b32_e32 v6, 0x10000, v7
	v_cmp_eq_u32_sdwa s[6:7], v7, v31 src0_sel:WORD_0 src1_sel:DWORD
	v_cndmask_b32_e64 v6, v6, v7, s[6:7]
; %bb.1326:                             ;   in Loop: Header=BB399_644 Depth=1
	s_or_b64 exec, exec, s[24:25]
	v_lshrrev_b32_e32 v26, 16, v26
	v_lshrrev_b32_e32 v23, 16, v23
	;; [unrolled: 1-line block ×8, first 2 shown]
	s_and_saveexec_b64 s[24:25], s[4:5]
	s_cbranch_execz .LBB399_1328
; %bb.1327:                             ;   in Loop: Header=BB399_644 Depth=1
	v_accvgpr_read_b32 v8, a26
	v_cmp_lt_i32_e64 s[6:7], v8, v33
	v_add_u32_e32 v8, -6, v17
	v_cndmask_b32_e64 v7, 0, v7, s[6:7]
	v_cmp_lt_i32_e64 s[6:7], v8, v33
	v_add_u32_e32 v8, -5, v17
	v_cndmask_b32_e64 v5, 0, v5, s[6:7]
	;; [unrolled: 3-line block ×6, first 2 shown]
	v_cmp_lt_i32_e64 s[6:7], v8, v33
	v_cndmask_b32_e64 v4, 0, v4, s[6:7]
	v_cmp_lt_i32_e64 s[6:7], v17, v33
	v_cndmask_b32_e64 v6, 0, v6, s[6:7]
.LBB399_1328:                           ;   in Loop: Header=BB399_644 Depth=1
	s_or_b64 exec, exec, s[24:25]
	v_lshlrev_b32_e32 v7, 16, v7
	v_mul_f32_e32 v8, v42, v7
	v_and_b32_e32 v7, 0x7f800000, v8
	v_cmp_ne_u32_e64 s[6:7], s9, v7
                                        ; implicit-def: $vgpr7
	s_and_saveexec_b64 s[24:25], s[6:7]
	s_xor_b64 s[6:7], exec, s[24:25]
; %bb.1329:                             ;   in Loop: Header=BB399_644 Depth=1
	v_bfe_u32 v7, v8, 16, 1
	v_add3_u32 v7, v8, v7, s15
                                        ; implicit-def: $vgpr8
; %bb.1330:                             ;   in Loop: Header=BB399_644 Depth=1
	s_andn2_saveexec_b64 s[24:25], s[6:7]
; %bb.1331:                             ;   in Loop: Header=BB399_644 Depth=1
	v_or_b32_e32 v7, 0x10000, v8
	v_cmp_eq_u32_sdwa s[6:7], v8, v31 src0_sel:WORD_0 src1_sel:DWORD
	v_cndmask_b32_e64 v7, v7, v8, s[6:7]
; %bb.1332:                             ;   in Loop: Header=BB399_644 Depth=1
	s_or_b64 exec, exec, s[24:25]
	v_lshlrev_b32_e32 v5, 16, v5
	v_mul_f32_e32 v5, v43, v5
	v_and_b32_e32 v8, 0x7f800000, v5
	v_cmp_ne_u32_e64 s[6:7], s9, v8
                                        ; implicit-def: $vgpr8
	s_and_saveexec_b64 s[24:25], s[6:7]
	s_xor_b64 s[6:7], exec, s[24:25]
; %bb.1333:                             ;   in Loop: Header=BB399_644 Depth=1
	v_bfe_u32 v8, v5, 16, 1
	v_add3_u32 v8, v5, v8, s15
                                        ; implicit-def: $vgpr5
; %bb.1334:                             ;   in Loop: Header=BB399_644 Depth=1
	s_andn2_saveexec_b64 s[24:25], s[6:7]
; %bb.1335:                             ;   in Loop: Header=BB399_644 Depth=1
	v_or_b32_e32 v8, 0x10000, v5
	v_cmp_eq_u32_sdwa s[6:7], v5, v31 src0_sel:WORD_0 src1_sel:DWORD
	v_cndmask_b32_e64 v8, v8, v5, s[6:7]
; %bb.1336:                             ;   in Loop: Header=BB399_644 Depth=1
	s_or_b64 exec, exec, s[24:25]
	v_lshlrev_b32_e32 v5, 16, v12
	v_mul_f32_e32 v5, v44, v5
	v_and_b32_e32 v10, 0x7f800000, v5
	v_cmp_ne_u32_e64 s[6:7], s9, v10
                                        ; implicit-def: $vgpr61
	s_and_saveexec_b64 s[24:25], s[6:7]
	s_xor_b64 s[6:7], exec, s[24:25]
; %bb.1337:                             ;   in Loop: Header=BB399_644 Depth=1
	v_bfe_u32 v10, v5, 16, 1
	v_add3_u32 v61, v5, v10, s15
                                        ; implicit-def: $vgpr5
; %bb.1338:                             ;   in Loop: Header=BB399_644 Depth=1
	s_andn2_saveexec_b64 s[24:25], s[6:7]
; %bb.1339:                             ;   in Loop: Header=BB399_644 Depth=1
	v_or_b32_e32 v10, 0x10000, v5
	v_cmp_eq_u32_sdwa s[6:7], v5, v31 src0_sel:WORD_0 src1_sel:DWORD
	v_cndmask_b32_e64 v61, v10, v5, s[6:7]
; %bb.1340:                             ;   in Loop: Header=BB399_644 Depth=1
	s_or_b64 exec, exec, s[24:25]
	v_lshlrev_b32_e32 v5, 16, v13
	v_mul_f32_e32 v5, v45, v5
	v_and_b32_e32 v10, 0x7f800000, v5
	v_cmp_ne_u32_e64 s[6:7], s9, v10
                                        ; implicit-def: $vgpr62
	s_and_saveexec_b64 s[24:25], s[6:7]
	s_xor_b64 s[6:7], exec, s[24:25]
; %bb.1341:                             ;   in Loop: Header=BB399_644 Depth=1
	v_bfe_u32 v10, v5, 16, 1
	v_add3_u32 v62, v5, v10, s15
                                        ; implicit-def: $vgpr5
; %bb.1342:                             ;   in Loop: Header=BB399_644 Depth=1
	s_andn2_saveexec_b64 s[24:25], s[6:7]
; %bb.1343:                             ;   in Loop: Header=BB399_644 Depth=1
	v_or_b32_e32 v10, 0x10000, v5
	v_cmp_eq_u32_sdwa s[6:7], v5, v31 src0_sel:WORD_0 src1_sel:DWORD
	v_cndmask_b32_e64 v62, v10, v5, s[6:7]
; %bb.1344:                             ;   in Loop: Header=BB399_644 Depth=1
	s_or_b64 exec, exec, s[24:25]
	v_lshlrev_b32_e32 v5, 16, v23
	v_mul_f32_e32 v5, v46, v5
	v_and_b32_e32 v10, 0x7f800000, v5
	v_cmp_ne_u32_e64 s[6:7], s9, v10
                                        ; implicit-def: $vgpr36
	s_and_saveexec_b64 s[24:25], s[6:7]
	s_xor_b64 s[6:7], exec, s[24:25]
; %bb.1345:                             ;   in Loop: Header=BB399_644 Depth=1
	v_bfe_u32 v10, v5, 16, 1
	v_add3_u32 v36, v5, v10, s15
                                        ; implicit-def: $vgpr5
; %bb.1346:                             ;   in Loop: Header=BB399_644 Depth=1
	s_andn2_saveexec_b64 s[24:25], s[6:7]
; %bb.1347:                             ;   in Loop: Header=BB399_644 Depth=1
	v_or_b32_e32 v10, 0x10000, v5
	v_cmp_eq_u32_sdwa s[6:7], v5, v31 src0_sel:WORD_0 src1_sel:DWORD
	v_cndmask_b32_e64 v36, v10, v5, s[6:7]
; %bb.1348:                             ;   in Loop: Header=BB399_644 Depth=1
	s_or_b64 exec, exec, s[24:25]
	v_lshlrev_b32_e32 v5, 16, v26
	v_mul_f32_e32 v12, v47, v5
	v_and_b32_e32 v5, 0x7f800000, v12
	v_cmp_ne_u32_e64 s[6:7], s9, v5
                                        ; implicit-def: $vgpr5
	s_and_saveexec_b64 s[24:25], s[6:7]
	s_xor_b64 s[6:7], exec, s[24:25]
; %bb.1349:                             ;   in Loop: Header=BB399_644 Depth=1
	v_bfe_u32 v5, v12, 16, 1
	v_add3_u32 v5, v12, v5, s15
                                        ; implicit-def: $vgpr12
; %bb.1350:                             ;   in Loop: Header=BB399_644 Depth=1
	s_andn2_saveexec_b64 s[24:25], s[6:7]
; %bb.1351:                             ;   in Loop: Header=BB399_644 Depth=1
	v_or_b32_e32 v5, 0x10000, v12
	v_cmp_eq_u32_sdwa s[6:7], v12, v31 src0_sel:WORD_0 src1_sel:DWORD
	v_cndmask_b32_e64 v5, v5, v12, s[6:7]
; %bb.1352:                             ;   in Loop: Header=BB399_644 Depth=1
	s_or_b64 exec, exec, s[24:25]
	v_lshlrev_b32_e32 v4, 16, v4
	v_mul_f32_e32 v12, v56, v4
	v_and_b32_e32 v4, 0x7f800000, v12
	v_cmp_ne_u32_e64 s[6:7], s9, v4
                                        ; implicit-def: $vgpr4
	s_and_saveexec_b64 s[24:25], s[6:7]
	s_xor_b64 s[6:7], exec, s[24:25]
; %bb.1353:                             ;   in Loop: Header=BB399_644 Depth=1
	v_bfe_u32 v4, v12, 16, 1
	v_add3_u32 v4, v12, v4, s15
                                        ; implicit-def: $vgpr12
; %bb.1354:                             ;   in Loop: Header=BB399_644 Depth=1
	s_andn2_saveexec_b64 s[24:25], s[6:7]
; %bb.1355:                             ;   in Loop: Header=BB399_644 Depth=1
	v_or_b32_e32 v4, 0x10000, v12
	v_cmp_eq_u32_sdwa s[6:7], v12, v31 src0_sel:WORD_0 src1_sel:DWORD
	v_cndmask_b32_e64 v4, v4, v12, s[6:7]
; %bb.1356:                             ;   in Loop: Header=BB399_644 Depth=1
	s_or_b64 exec, exec, s[24:25]
	v_lshlrev_b32_e32 v6, 16, v6
	v_mul_f32_e32 v6, v57, v6
	v_and_b32_e32 v10, 0x7f800000, v6
	v_cmp_ne_u32_e64 s[6:7], s9, v10
                                        ; implicit-def: $vgpr41
	s_and_saveexec_b64 s[24:25], s[6:7]
	s_xor_b64 s[6:7], exec, s[24:25]
; %bb.1357:                             ;   in Loop: Header=BB399_644 Depth=1
	v_bfe_u32 v10, v6, 16, 1
	v_add3_u32 v41, v6, v10, s15
                                        ; implicit-def: $vgpr6
; %bb.1358:                             ;   in Loop: Header=BB399_644 Depth=1
	s_andn2_saveexec_b64 s[24:25], s[6:7]
; %bb.1359:                             ;   in Loop: Header=BB399_644 Depth=1
	v_or_b32_e32 v10, 0x10000, v6
	v_cmp_eq_u32_sdwa s[6:7], v6, v31 src0_sel:WORD_0 src1_sel:DWORD
	v_cndmask_b32_e64 v41, v10, v6, s[6:7]
; %bb.1360:                             ;   in Loop: Header=BB399_644 Depth=1
	s_or_b64 exec, exec, s[24:25]
	flat_load_dwordx2 v[2:3], v[2:3] offset:3072
	v_mov_b32_e32 v6, 0
	s_waitcnt vmcnt(0) lgkmcnt(0)
	v_cmp_ne_u16_sdwa s[6:7], v2, v31 src0_sel:BYTE_0 src1_sel:DWORD
	s_and_saveexec_b64 s[24:25], s[6:7]
	s_cbranch_execz .LBB399_1366
; %bb.1361:                             ;   in Loop: Header=BB399_644 Depth=1
	v_cmp_ne_u16_sdwa s[6:7], v2, s19 src0_sel:BYTE_0 src1_sel:DWORD
	v_bfrev_b32_e32 v6, 1
	s_and_saveexec_b64 s[26:27], s[6:7]
	s_cbranch_execz .LBB399_1365
; %bb.1362:                             ;   in Loop: Header=BB399_644 Depth=1
	v_and_b32_e32 v10, 0x7f, v2
	v_cmp_ne_u32_e64 s[6:7], s34, v10
	v_mov_b32_e32 v6, 0x7f800001
	s_and_saveexec_b64 s[28:29], s[6:7]
	s_cbranch_execz .LBB399_1364
; %bb.1363:                             ;   in Loop: Header=BB399_644 Depth=1
	v_and_b32_e32 v6, 7, v2
	v_ffbh_u32_e32 v6, v6
	v_min_u32_e32 v6, 32, v6
	v_subrev_u32_e32 v12, 28, v6
	v_cmp_gt_u32_e64 s[6:7], 8, v10
	v_lshrrev_b32_e32 v11, 3, v10
	v_cndmask_b32_e64 v10, 0, v12, s[6:7]
	v_sub_u32_e32 v6, 29, v6
	v_lshlrev_b64 v[12:13], v10, v[2:3]
	v_cndmask_b32_e64 v6, v11, v6, s[6:7]
	v_lshlrev_b32_e32 v10, 20, v12
	v_lshlrev_b32_e32 v11, 24, v2
	v_bfrev_b32_e32 v9, 60
	v_and_b32_e32 v10, 0x700000, v10
	v_and_b32_e32 v11, 0x80000000, v11
	v_lshl_add_u32 v6, v6, 23, v9
	v_or3_b32 v6, v11, v6, v10
.LBB399_1364:                           ;   in Loop: Header=BB399_644 Depth=1
	s_or_b64 exec, exec, s[28:29]
.LBB399_1365:                           ;   in Loop: Header=BB399_644 Depth=1
	s_or_b64 exec, exec, s[26:27]
.LBB399_1366:                           ;   in Loop: Header=BB399_644 Depth=1
	s_or_b64 exec, exec, s[24:25]
	v_mul_f32_e32 v6, v38, v6
	v_and_b32_e32 v10, 0x7f800000, v6
	v_cmp_ne_u32_e64 s[6:7], s9, v10
                                        ; implicit-def: $vgpr23
	s_and_saveexec_b64 s[24:25], s[6:7]
	s_xor_b64 s[6:7], exec, s[24:25]
; %bb.1367:                             ;   in Loop: Header=BB399_644 Depth=1
	v_bfe_u32 v10, v6, 16, 1
	v_add3_u32 v23, v6, v10, s15
                                        ; implicit-def: $vgpr6
; %bb.1368:                             ;   in Loop: Header=BB399_644 Depth=1
	s_andn2_saveexec_b64 s[24:25], s[6:7]
; %bb.1369:                             ;   in Loop: Header=BB399_644 Depth=1
	v_or_b32_e32 v10, 0x10000, v6
	v_cmp_eq_u32_sdwa s[6:7], v6, v31 src0_sel:WORD_0 src1_sel:DWORD
	v_cndmask_b32_e64 v23, v10, v6, s[6:7]
; %bb.1370:                             ;   in Loop: Header=BB399_644 Depth=1
	s_or_b64 exec, exec, s[24:25]
	v_lshrrev_b16_e32 v6, 8, v2
	v_cmp_ne_u16_e64 s[6:7], 0, v6
	v_mov_b32_e32 v12, 0
	s_and_saveexec_b64 s[24:25], s[6:7]
	s_cbranch_execz .LBB399_1376
; %bb.1371:                             ;   in Loop: Header=BB399_644 Depth=1
	v_cmp_ne_u16_e64 s[6:7], s19, v6
	v_bfrev_b32_e32 v12, 1
	s_and_saveexec_b64 s[26:27], s[6:7]
	s_cbranch_execz .LBB399_1375
; %bb.1372:                             ;   in Loop: Header=BB399_644 Depth=1
	v_and_b32_e32 v13, 0x7f, v6
	v_cmp_ne_u32_e64 s[6:7], s34, v13
	v_mov_b32_e32 v12, 0x7f800001
	s_and_saveexec_b64 s[28:29], s[6:7]
	s_cbranch_execz .LBB399_1374
; %bb.1373:                             ;   in Loop: Header=BB399_644 Depth=1
	v_and_b32_e32 v10, 7, v6
	v_ffbh_u32_e32 v12, v10
	v_min_u32_e32 v12, 32, v12
	v_subrev_u32_e32 v26, 28, v12
	v_lshlrev_b64 v[26:27], v26, v[6:7]
	v_lshrrev_b32_e32 v11, 3, v13
	v_sub_u32_e32 v6, 29, v12
	v_and_b32_e32 v12, 7, v26
	v_cmp_gt_u32_e64 s[6:7], 8, v13
	v_cndmask_b32_e64 v6, v11, v6, s[6:7]
	v_cndmask_b32_e64 v10, v10, v12, s[6:7]
	v_lshlrev_b32_e32 v11, 16, v2
	v_bfrev_b32_e32 v9, 60
	v_lshlrev_b32_e32 v10, 20, v10
	v_and_b32_e32 v11, 0x80000000, v11
	v_lshl_add_u32 v6, v6, 23, v9
	v_or3_b32 v12, v11, v6, v10
.LBB399_1374:                           ;   in Loop: Header=BB399_644 Depth=1
	s_or_b64 exec, exec, s[28:29]
.LBB399_1375:                           ;   in Loop: Header=BB399_644 Depth=1
	s_or_b64 exec, exec, s[26:27]
.LBB399_1376:                           ;   in Loop: Header=BB399_644 Depth=1
	s_or_b64 exec, exec, s[24:25]
	v_mul_f32_e32 v6, v38, v12
	v_and_b32_e32 v10, 0x7f800000, v6
	v_cmp_ne_u32_e64 s[6:7], s9, v10
                                        ; implicit-def: $vgpr26
	s_and_saveexec_b64 s[24:25], s[6:7]
	s_xor_b64 s[6:7], exec, s[24:25]
; %bb.1377:                             ;   in Loop: Header=BB399_644 Depth=1
	v_bfe_u32 v10, v6, 16, 1
	v_add3_u32 v26, v6, v10, s15
                                        ; implicit-def: $vgpr6
; %bb.1378:                             ;   in Loop: Header=BB399_644 Depth=1
	s_andn2_saveexec_b64 s[24:25], s[6:7]
; %bb.1379:                             ;   in Loop: Header=BB399_644 Depth=1
	v_or_b32_e32 v10, 0x10000, v6
	v_cmp_eq_u32_sdwa s[6:7], v6, v31 src0_sel:WORD_0 src1_sel:DWORD
	v_cndmask_b32_e64 v26, v10, v6, s[6:7]
; %bb.1380:                             ;   in Loop: Header=BB399_644 Depth=1
	s_or_b64 exec, exec, s[24:25]
	v_lshrrev_b32_e32 v6, 16, v2
	v_cmp_ne_u16_sdwa s[6:7], v6, v31 src0_sel:BYTE_0 src1_sel:DWORD
	v_mov_b32_e32 v12, 0
	s_and_saveexec_b64 s[24:25], s[6:7]
	s_cbranch_execz .LBB399_1386
; %bb.1381:                             ;   in Loop: Header=BB399_644 Depth=1
	v_cmp_ne_u16_sdwa s[6:7], v6, s19 src0_sel:BYTE_0 src1_sel:DWORD
	v_bfrev_b32_e32 v12, 1
	s_and_saveexec_b64 s[26:27], s[6:7]
	s_cbranch_execz .LBB399_1385
; %bb.1382:                             ;   in Loop: Header=BB399_644 Depth=1
	v_bfe_u32 v13, v2, 16, 7
	v_cmp_ne_u32_e64 s[6:7], s34, v13
	v_mov_b32_e32 v12, 0x7f800001
	s_and_saveexec_b64 s[28:29], s[6:7]
	s_cbranch_execz .LBB399_1384
; %bb.1383:                             ;   in Loop: Header=BB399_644 Depth=1
	v_and_b32_e32 v10, 7, v6
	v_ffbh_u32_e32 v12, v10
	v_min_u32_e32 v12, 32, v12
	v_subrev_u32_e32 v27, 28, v12
	v_lshlrev_b64 v[28:29], v27, v[6:7]
	v_lshrrev_b32_e32 v11, 3, v13
	v_sub_u32_e32 v12, 29, v12
	v_and_b32_e32 v27, 7, v28
	v_cmp_gt_u32_e64 s[6:7], 8, v13
	v_cndmask_b32_e64 v11, v11, v12, s[6:7]
	v_cndmask_b32_e64 v10, v10, v27, s[6:7]
	v_lshlrev_b32_e32 v6, 24, v6
	v_bfrev_b32_e32 v9, 60
	v_lshlrev_b32_e32 v10, 20, v10
	v_and_b32_e32 v6, 0x80000000, v6
	v_lshl_add_u32 v11, v11, 23, v9
	v_or3_b32 v12, v6, v11, v10
.LBB399_1384:                           ;   in Loop: Header=BB399_644 Depth=1
	s_or_b64 exec, exec, s[28:29]
.LBB399_1385:                           ;   in Loop: Header=BB399_644 Depth=1
	s_or_b64 exec, exec, s[26:27]
.LBB399_1386:                           ;   in Loop: Header=BB399_644 Depth=1
	s_or_b64 exec, exec, s[24:25]
	v_mul_f32_e32 v6, v38, v12
	v_and_b32_e32 v10, 0x7f800000, v6
	v_cmp_ne_u32_e64 s[6:7], s9, v10
                                        ; implicit-def: $vgpr12
	s_and_saveexec_b64 s[24:25], s[6:7]
	s_xor_b64 s[6:7], exec, s[24:25]
; %bb.1387:                             ;   in Loop: Header=BB399_644 Depth=1
	v_bfe_u32 v10, v6, 16, 1
	v_add3_u32 v12, v6, v10, s15
                                        ; implicit-def: $vgpr6
; %bb.1388:                             ;   in Loop: Header=BB399_644 Depth=1
	s_andn2_saveexec_b64 s[24:25], s[6:7]
; %bb.1389:                             ;   in Loop: Header=BB399_644 Depth=1
	v_or_b32_e32 v10, 0x10000, v6
	v_cmp_eq_u32_sdwa s[6:7], v6, v31 src0_sel:WORD_0 src1_sel:DWORD
	v_cndmask_b32_e64 v12, v10, v6, s[6:7]
; %bb.1390:                             ;   in Loop: Header=BB399_644 Depth=1
	s_or_b64 exec, exec, s[24:25]
	v_cmp_lt_u32_e64 s[6:7], s13, v2
	v_mov_b32_e32 v13, 0
	s_and_saveexec_b64 s[24:25], s[6:7]
	s_cbranch_execz .LBB399_1396
; %bb.1391:                             ;   in Loop: Header=BB399_644 Depth=1
	v_lshrrev_b32_e32 v6, 24, v2
	v_cmp_ne_u32_e64 s[6:7], s19, v6
	v_bfrev_b32_e32 v13, 1
	s_and_saveexec_b64 s[26:27], s[6:7]
	s_cbranch_execz .LBB399_1395
; %bb.1392:                             ;   in Loop: Header=BB399_644 Depth=1
	v_bfe_u32 v27, v2, 24, 7
	v_cmp_ne_u32_e64 s[6:7], s34, v27
	v_mov_b32_e32 v13, 0x7f800001
	s_and_saveexec_b64 s[28:29], s[6:7]
	s_cbranch_execz .LBB399_1394
; %bb.1393:                             ;   in Loop: Header=BB399_644 Depth=1
	v_and_b32_e32 v10, 7, v6
	v_ffbh_u32_e32 v13, v10
	v_min_u32_e32 v13, 32, v13
	v_subrev_u32_e32 v28, 28, v13
	v_lshlrev_b64 v[28:29], v28, v[6:7]
	v_lshrrev_b32_e32 v11, 3, v27
	v_sub_u32_e32 v13, 29, v13
	v_and_b32_e32 v28, 7, v28
	v_cmp_gt_u32_e64 s[6:7], 8, v27
	v_cndmask_b32_e64 v11, v11, v13, s[6:7]
	v_cndmask_b32_e64 v10, v10, v28, s[6:7]
	v_lshlrev_b32_e32 v6, 24, v6
	v_bfrev_b32_e32 v9, 60
	v_lshlrev_b32_e32 v10, 20, v10
	v_and_b32_e32 v6, 0x80000000, v6
	v_lshl_add_u32 v11, v11, 23, v9
	v_or3_b32 v13, v6, v11, v10
.LBB399_1394:                           ;   in Loop: Header=BB399_644 Depth=1
	s_or_b64 exec, exec, s[28:29]
.LBB399_1395:                           ;   in Loop: Header=BB399_644 Depth=1
	s_or_b64 exec, exec, s[26:27]
.LBB399_1396:                           ;   in Loop: Header=BB399_644 Depth=1
	s_or_b64 exec, exec, s[24:25]
	v_mul_f32_e32 v6, v38, v13
	v_and_b32_e32 v10, 0x7f800000, v6
	v_cmp_ne_u32_e64 s[6:7], s9, v10
                                        ; implicit-def: $vgpr13
	s_and_saveexec_b64 s[24:25], s[6:7]
	s_xor_b64 s[6:7], exec, s[24:25]
; %bb.1397:                             ;   in Loop: Header=BB399_644 Depth=1
	v_bfe_u32 v10, v6, 16, 1
	v_add3_u32 v13, v6, v10, s15
                                        ; implicit-def: $vgpr6
; %bb.1398:                             ;   in Loop: Header=BB399_644 Depth=1
	s_andn2_saveexec_b64 s[24:25], s[6:7]
; %bb.1399:                             ;   in Loop: Header=BB399_644 Depth=1
	v_or_b32_e32 v10, 0x10000, v6
	v_cmp_eq_u32_sdwa s[6:7], v6, v31 src0_sel:WORD_0 src1_sel:DWORD
	v_cndmask_b32_e64 v13, v10, v6, s[6:7]
; %bb.1400:                             ;   in Loop: Header=BB399_644 Depth=1
	s_or_b64 exec, exec, s[24:25]
	v_mov_b32_e32 v30, v3
	v_cmp_ne_u16_sdwa s[6:7], v3, v31 src0_sel:BYTE_0 src1_sel:DWORD
	v_mov_b32_e32 v6, 0
	s_and_saveexec_b64 s[24:25], s[6:7]
	s_cbranch_execz .LBB399_1406
; %bb.1401:                             ;   in Loop: Header=BB399_644 Depth=1
	v_cmp_ne_u16_sdwa s[6:7], v3, s19 src0_sel:BYTE_0 src1_sel:DWORD
	v_bfrev_b32_e32 v6, 1
	s_and_saveexec_b64 s[26:27], s[6:7]
	s_cbranch_execz .LBB399_1405
; %bb.1402:                             ;   in Loop: Header=BB399_644 Depth=1
	v_and_b32_e32 v10, 0x7f, v3
	v_cmp_ne_u32_e64 s[6:7], s34, v10
	v_mov_b32_e32 v6, 0x7f800001
	s_and_saveexec_b64 s[28:29], s[6:7]
	s_cbranch_execz .LBB399_1404
; %bb.1403:                             ;   in Loop: Header=BB399_644 Depth=1
	v_and_b32_e32 v6, 7, v3
	v_ffbh_u32_e32 v6, v6
	v_min_u32_e32 v6, 32, v6
	v_subrev_u32_e32 v27, 28, v6
	v_cmp_gt_u32_e64 s[6:7], 8, v10
	v_lshrrev_b32_e32 v11, 3, v10
	v_cndmask_b32_e64 v10, 0, v27, s[6:7]
	v_sub_u32_e32 v6, 29, v6
	v_lshlrev_b64 v[28:29], v10, v[30:31]
	v_cndmask_b32_e64 v6, v11, v6, s[6:7]
	v_lshlrev_b32_e32 v10, 20, v28
	v_lshlrev_b32_e32 v11, 24, v30
	v_bfrev_b32_e32 v9, 60
	v_and_b32_e32 v10, 0x700000, v10
	v_and_b32_e32 v11, 0x80000000, v11
	v_lshl_add_u32 v6, v6, 23, v9
	v_or3_b32 v6, v11, v6, v10
.LBB399_1404:                           ;   in Loop: Header=BB399_644 Depth=1
	s_or_b64 exec, exec, s[28:29]
.LBB399_1405:                           ;   in Loop: Header=BB399_644 Depth=1
	s_or_b64 exec, exec, s[26:27]
.LBB399_1406:                           ;   in Loop: Header=BB399_644 Depth=1
	s_or_b64 exec, exec, s[24:25]
	v_mul_f32_e32 v6, v38, v6
	v_and_b32_e32 v10, 0x7f800000, v6
	v_cmp_ne_u32_e64 s[6:7], s9, v10
                                        ; implicit-def: $vgpr27
	s_and_saveexec_b64 s[24:25], s[6:7]
	s_xor_b64 s[6:7], exec, s[24:25]
; %bb.1407:                             ;   in Loop: Header=BB399_644 Depth=1
	v_bfe_u32 v10, v6, 16, 1
	v_add3_u32 v27, v6, v10, s15
                                        ; implicit-def: $vgpr6
; %bb.1408:                             ;   in Loop: Header=BB399_644 Depth=1
	s_andn2_saveexec_b64 s[24:25], s[6:7]
; %bb.1409:                             ;   in Loop: Header=BB399_644 Depth=1
	v_or_b32_e32 v10, 0x10000, v6
	v_cmp_eq_u32_sdwa s[6:7], v6, v31 src0_sel:WORD_0 src1_sel:DWORD
	v_cndmask_b32_e64 v27, v10, v6, s[6:7]
; %bb.1410:                             ;   in Loop: Header=BB399_644 Depth=1
	s_or_b64 exec, exec, s[24:25]
	v_lshrrev_b16_e32 v6, 8, v30
	v_cmp_ne_u16_e64 s[6:7], 0, v6
	v_mov_b32_e32 v29, 0
	s_and_saveexec_b64 s[24:25], s[6:7]
	s_cbranch_execz .LBB399_1416
; %bb.1411:                             ;   in Loop: Header=BB399_644 Depth=1
	v_cmp_ne_u16_e64 s[6:7], s19, v6
	v_bfrev_b32_e32 v29, 1
	s_and_saveexec_b64 s[26:27], s[6:7]
	s_cbranch_execz .LBB399_1415
; %bb.1412:                             ;   in Loop: Header=BB399_644 Depth=1
	v_and_b32_e32 v28, 0x7f, v6
	v_cmp_ne_u32_e64 s[6:7], s34, v28
	v_mov_b32_e32 v29, 0x7f800001
	s_and_saveexec_b64 s[28:29], s[6:7]
	s_cbranch_execz .LBB399_1414
; %bb.1413:                             ;   in Loop: Header=BB399_644 Depth=1
	v_and_b32_e32 v10, 7, v6
	v_ffbh_u32_e32 v29, v10
	v_min_u32_e32 v29, 32, v29
	v_subrev_u32_e32 v32, 28, v29
	v_lshlrev_b64 v[34:35], v32, v[6:7]
	v_lshrrev_b32_e32 v11, 3, v28
	v_sub_u32_e32 v6, 29, v29
	v_and_b32_e32 v29, 7, v34
	v_cmp_gt_u32_e64 s[6:7], 8, v28
	v_cndmask_b32_e64 v6, v11, v6, s[6:7]
	v_cndmask_b32_e64 v10, v10, v29, s[6:7]
	v_lshlrev_b32_e32 v11, 16, v30
	v_bfrev_b32_e32 v9, 60
	v_lshlrev_b32_e32 v10, 20, v10
	v_and_b32_e32 v11, 0x80000000, v11
	v_lshl_add_u32 v6, v6, 23, v9
	v_or3_b32 v29, v11, v6, v10
.LBB399_1414:                           ;   in Loop: Header=BB399_644 Depth=1
	s_or_b64 exec, exec, s[28:29]
.LBB399_1415:                           ;   in Loop: Header=BB399_644 Depth=1
	s_or_b64 exec, exec, s[26:27]
.LBB399_1416:                           ;   in Loop: Header=BB399_644 Depth=1
	s_or_b64 exec, exec, s[24:25]
	v_mul_f32_e32 v6, v38, v29
	v_and_b32_e32 v10, 0x7f800000, v6
	v_cmp_ne_u32_e64 s[6:7], s9, v10
                                        ; implicit-def: $vgpr29
	s_and_saveexec_b64 s[24:25], s[6:7]
	s_xor_b64 s[6:7], exec, s[24:25]
; %bb.1417:                             ;   in Loop: Header=BB399_644 Depth=1
	v_bfe_u32 v10, v6, 16, 1
	v_add3_u32 v29, v6, v10, s15
                                        ; implicit-def: $vgpr6
; %bb.1418:                             ;   in Loop: Header=BB399_644 Depth=1
	s_andn2_saveexec_b64 s[24:25], s[6:7]
; %bb.1419:                             ;   in Loop: Header=BB399_644 Depth=1
	v_or_b32_e32 v10, 0x10000, v6
	v_cmp_eq_u32_sdwa s[6:7], v6, v31 src0_sel:WORD_0 src1_sel:DWORD
	v_cndmask_b32_e64 v29, v10, v6, s[6:7]
; %bb.1420:                             ;   in Loop: Header=BB399_644 Depth=1
	s_or_b64 exec, exec, s[24:25]
	v_lshrrev_b32_e32 v6, 16, v3
	v_cmp_ne_u16_sdwa s[6:7], v6, v31 src0_sel:BYTE_0 src1_sel:DWORD
	v_mov_b32_e32 v30, 0
	s_and_saveexec_b64 s[24:25], s[6:7]
	s_cbranch_execz .LBB399_1426
; %bb.1421:                             ;   in Loop: Header=BB399_644 Depth=1
	v_cmp_ne_u16_sdwa s[6:7], v6, s19 src0_sel:BYTE_0 src1_sel:DWORD
	v_bfrev_b32_e32 v30, 1
	s_and_saveexec_b64 s[26:27], s[6:7]
	s_cbranch_execz .LBB399_1425
; %bb.1422:                             ;   in Loop: Header=BB399_644 Depth=1
	v_bfe_u32 v28, v3, 16, 7
	v_cmp_ne_u32_e64 s[6:7], s34, v28
	v_mov_b32_e32 v30, 0x7f800001
	s_and_saveexec_b64 s[28:29], s[6:7]
	s_cbranch_execz .LBB399_1424
; %bb.1423:                             ;   in Loop: Header=BB399_644 Depth=1
	v_and_b32_e32 v10, 7, v6
	v_ffbh_u32_e32 v30, v10
	v_min_u32_e32 v30, 32, v30
	v_subrev_u32_e32 v32, 28, v30
	v_lshlrev_b64 v[34:35], v32, v[6:7]
	v_lshrrev_b32_e32 v11, 3, v28
	v_sub_u32_e32 v30, 29, v30
	v_and_b32_e32 v32, 7, v34
	v_cmp_gt_u32_e64 s[6:7], 8, v28
	v_cndmask_b32_e64 v11, v11, v30, s[6:7]
	v_cndmask_b32_e64 v10, v10, v32, s[6:7]
	v_lshlrev_b32_e32 v6, 24, v6
	v_bfrev_b32_e32 v9, 60
	v_lshlrev_b32_e32 v10, 20, v10
	v_and_b32_e32 v6, 0x80000000, v6
	v_lshl_add_u32 v11, v11, 23, v9
	v_or3_b32 v30, v6, v11, v10
.LBB399_1424:                           ;   in Loop: Header=BB399_644 Depth=1
	s_or_b64 exec, exec, s[28:29]
.LBB399_1425:                           ;   in Loop: Header=BB399_644 Depth=1
	s_or_b64 exec, exec, s[26:27]
.LBB399_1426:                           ;   in Loop: Header=BB399_644 Depth=1
	s_or_b64 exec, exec, s[24:25]
	v_mul_f32_e32 v28, v38, v30
	v_and_b32_e32 v6, 0x7f800000, v28
	v_cmp_ne_u32_e64 s[6:7], s9, v6
                                        ; implicit-def: $vgpr6
	s_and_saveexec_b64 s[24:25], s[6:7]
	s_xor_b64 s[6:7], exec, s[24:25]
; %bb.1427:                             ;   in Loop: Header=BB399_644 Depth=1
	v_bfe_u32 v6, v28, 16, 1
	v_add3_u32 v6, v28, v6, s15
                                        ; implicit-def: $vgpr28
; %bb.1428:                             ;   in Loop: Header=BB399_644 Depth=1
	s_andn2_saveexec_b64 s[24:25], s[6:7]
; %bb.1429:                             ;   in Loop: Header=BB399_644 Depth=1
	v_or_b32_e32 v6, 0x10000, v28
	v_cmp_eq_u32_sdwa s[6:7], v28, v31 src0_sel:WORD_0 src1_sel:DWORD
	v_cndmask_b32_e64 v6, v6, v28, s[6:7]
; %bb.1430:                             ;   in Loop: Header=BB399_644 Depth=1
	s_or_b64 exec, exec, s[24:25]
	v_cmp_lt_u64_e64 s[6:7], s[12:13], v[2:3]
	v_mov_b32_e32 v30, 0
	s_and_saveexec_b64 s[24:25], s[6:7]
	s_cbranch_execz .LBB399_1436
; %bb.1431:                             ;   in Loop: Header=BB399_644 Depth=1
	v_lshrrev_b32_e32 v2, 24, v3
	v_cmp_ne_u32_e64 s[6:7], s19, v2
	v_bfrev_b32_e32 v30, 1
	s_and_saveexec_b64 s[26:27], s[6:7]
	s_cbranch_execz .LBB399_1435
; %bb.1432:                             ;   in Loop: Header=BB399_644 Depth=1
	v_bfe_u32 v3, v3, 24, 7
	v_cmp_ne_u32_e64 s[6:7], s34, v3
	v_mov_b32_e32 v30, 0x7f800001
	s_and_saveexec_b64 s[28:29], s[6:7]
	s_cbranch_execz .LBB399_1434
; %bb.1433:                             ;   in Loop: Header=BB399_644 Depth=1
	v_and_b32_e32 v10, 7, v2
	v_ffbh_u32_e32 v28, v10
	v_min_u32_e32 v28, 32, v28
	v_subrev_u32_e32 v30, 28, v28
	v_lshlrev_b64 v[34:35], v30, v[2:3]
	v_lshrrev_b32_e32 v11, 3, v3
	v_sub_u32_e32 v28, 29, v28
	v_and_b32_e32 v30, 7, v34
	v_cmp_gt_u32_e64 s[6:7], 8, v3
	v_cndmask_b32_e64 v3, v11, v28, s[6:7]
	v_cndmask_b32_e64 v10, v10, v30, s[6:7]
	v_lshlrev_b32_e32 v2, 24, v2
	v_bfrev_b32_e32 v9, 60
	v_lshlrev_b32_e32 v10, 20, v10
	v_and_b32_e32 v2, 0x80000000, v2
	v_lshl_add_u32 v3, v3, 23, v9
	v_or3_b32 v30, v2, v3, v10
.LBB399_1434:                           ;   in Loop: Header=BB399_644 Depth=1
	s_or_b64 exec, exec, s[28:29]
.LBB399_1435:                           ;   in Loop: Header=BB399_644 Depth=1
	s_or_b64 exec, exec, s[26:27]
.LBB399_1436:                           ;   in Loop: Header=BB399_644 Depth=1
	s_or_b64 exec, exec, s[24:25]
	v_mul_f32_e32 v3, v38, v30
	v_and_b32_e32 v2, 0x7f800000, v3
	v_cmp_ne_u32_e64 s[6:7], s9, v2
                                        ; implicit-def: $vgpr2
	s_and_saveexec_b64 s[24:25], s[6:7]
	s_xor_b64 s[6:7], exec, s[24:25]
; %bb.1437:                             ;   in Loop: Header=BB399_644 Depth=1
	v_bfe_u32 v2, v3, 16, 1
	v_add3_u32 v2, v3, v2, s15
                                        ; implicit-def: $vgpr3
; %bb.1438:                             ;   in Loop: Header=BB399_644 Depth=1
	s_andn2_saveexec_b64 s[24:25], s[6:7]
; %bb.1439:                             ;   in Loop: Header=BB399_644 Depth=1
	v_or_b32_e32 v2, 0x10000, v3
	v_cmp_eq_u32_sdwa s[6:7], v3, v31 src0_sel:WORD_0 src1_sel:DWORD
	v_cndmask_b32_e64 v2, v2, v3, s[6:7]
; %bb.1440:                             ;   in Loop: Header=BB399_644 Depth=1
	s_or_b64 exec, exec, s[24:25]
	v_lshrrev_b32_e32 v30, 16, v29
	v_lshrrev_b32_e32 v29, 16, v27
	;; [unrolled: 1-line block ×8, first 2 shown]
	s_and_saveexec_b64 s[24:25], s[4:5]
	s_cbranch_execz .LBB399_1442
; %bb.1441:                             ;   in Loop: Header=BB399_644 Depth=1
	v_accvgpr_read_b32 v6, a26
	v_cmp_lt_i32_e64 s[6:7], v6, v33
	v_add_u32_e32 v6, -6, v17
	v_cndmask_b32_e64 v3, 0, v3, s[6:7]
	v_cmp_lt_i32_e64 s[6:7], v6, v33
	v_add_u32_e32 v6, -5, v17
	v_cndmask_b32_e64 v26, 0, v26, s[6:7]
	;; [unrolled: 3-line block ×6, first 2 shown]
	v_cmp_lt_i32_e64 s[6:7], v6, v33
	v_cndmask_b32_e64 v12, 0, v12, s[6:7]
	v_cmp_lt_i32_e64 s[6:7], v17, v33
	v_cndmask_b32_e64 v2, 0, v2, s[6:7]
.LBB399_1442:                           ;   in Loop: Header=BB399_644 Depth=1
	s_or_b64 exec, exec, s[24:25]
	v_lshlrev_b32_e32 v3, 16, v3
	v_mul_f32_e32 v6, v42, v3
	v_and_b32_e32 v3, 0x7f800000, v6
	v_cmp_ne_u32_e64 s[6:7], s9, v3
                                        ; implicit-def: $vgpr3
	s_and_saveexec_b64 s[24:25], s[6:7]
	s_xor_b64 s[6:7], exec, s[24:25]
; %bb.1443:                             ;   in Loop: Header=BB399_644 Depth=1
	v_bfe_u32 v3, v6, 16, 1
	v_add3_u32 v3, v6, v3, s15
                                        ; implicit-def: $vgpr6
; %bb.1444:                             ;   in Loop: Header=BB399_644 Depth=1
	s_andn2_saveexec_b64 s[24:25], s[6:7]
; %bb.1445:                             ;   in Loop: Header=BB399_644 Depth=1
	v_or_b32_e32 v3, 0x10000, v6
	v_cmp_eq_u32_sdwa s[6:7], v6, v31 src0_sel:WORD_0 src1_sel:DWORD
	v_cndmask_b32_e64 v3, v3, v6, s[6:7]
; %bb.1446:                             ;   in Loop: Header=BB399_644 Depth=1
	s_or_b64 exec, exec, s[24:25]
	v_lshlrev_b32_e32 v6, 16, v26
	v_mul_f32_e32 v23, v43, v6
	v_and_b32_e32 v6, 0x7f800000, v23
	v_cmp_ne_u32_e64 s[6:7], s9, v6
                                        ; implicit-def: $vgpr6
	s_and_saveexec_b64 s[24:25], s[6:7]
	s_xor_b64 s[6:7], exec, s[24:25]
; %bb.1447:                             ;   in Loop: Header=BB399_644 Depth=1
	v_bfe_u32 v6, v23, 16, 1
	v_add3_u32 v6, v23, v6, s15
                                        ; implicit-def: $vgpr23
; %bb.1448:                             ;   in Loop: Header=BB399_644 Depth=1
	s_andn2_saveexec_b64 s[24:25], s[6:7]
; %bb.1449:                             ;   in Loop: Header=BB399_644 Depth=1
	v_or_b32_e32 v6, 0x10000, v23
	v_cmp_eq_u32_sdwa s[6:7], v23, v31 src0_sel:WORD_0 src1_sel:DWORD
	v_cndmask_b32_e64 v6, v6, v23, s[6:7]
; %bb.1450:                             ;   in Loop: Header=BB399_644 Depth=1
	s_or_b64 exec, exec, s[24:25]
	v_lshlrev_b32_e32 v10, 16, v27
	v_mul_f32_e32 v23, v44, v10
	v_and_b32_e32 v10, 0x7f800000, v23
	v_cmp_ne_u32_e64 s[6:7], s9, v10
                                        ; implicit-def: $vgpr26
	s_and_saveexec_b64 s[24:25], s[6:7]
	s_xor_b64 s[6:7], exec, s[24:25]
; %bb.1451:                             ;   in Loop: Header=BB399_644 Depth=1
	v_bfe_u32 v10, v23, 16, 1
	v_add3_u32 v26, v23, v10, s15
                                        ; implicit-def: $vgpr23
; %bb.1452:                             ;   in Loop: Header=BB399_644 Depth=1
	s_andn2_saveexec_b64 s[24:25], s[6:7]
; %bb.1453:                             ;   in Loop: Header=BB399_644 Depth=1
	v_or_b32_e32 v10, 0x10000, v23
	v_cmp_eq_u32_sdwa s[6:7], v23, v31 src0_sel:WORD_0 src1_sel:DWORD
	v_cndmask_b32_e64 v26, v10, v23, s[6:7]
; %bb.1454:                             ;   in Loop: Header=BB399_644 Depth=1
	s_or_b64 exec, exec, s[24:25]
	v_lshlrev_b32_e32 v10, 16, v13
	v_mul_f32_e32 v13, v45, v10
	v_and_b32_e32 v10, 0x7f800000, v13
	v_cmp_ne_u32_e64 s[6:7], s9, v10
                                        ; implicit-def: $vgpr27
	s_and_saveexec_b64 s[24:25], s[6:7]
	s_xor_b64 s[6:7], exec, s[24:25]
; %bb.1455:                             ;   in Loop: Header=BB399_644 Depth=1
	v_bfe_u32 v10, v13, 16, 1
	v_add3_u32 v27, v13, v10, s15
                                        ; implicit-def: $vgpr13
; %bb.1456:                             ;   in Loop: Header=BB399_644 Depth=1
	s_andn2_saveexec_b64 s[24:25], s[6:7]
; %bb.1457:                             ;   in Loop: Header=BB399_644 Depth=1
	v_or_b32_e32 v10, 0x10000, v13
	v_cmp_eq_u32_sdwa s[6:7], v13, v31 src0_sel:WORD_0 src1_sel:DWORD
	v_cndmask_b32_e64 v27, v10, v13, s[6:7]
; %bb.1458:                             ;   in Loop: Header=BB399_644 Depth=1
	s_or_b64 exec, exec, s[24:25]
	v_lshlrev_b32_e32 v10, 16, v29
	v_mul_f32_e32 v13, v46, v10
	v_and_b32_e32 v10, 0x7f800000, v13
	v_cmp_ne_u32_e64 s[6:7], s9, v10
                                        ; implicit-def: $vgpr29
	s_and_saveexec_b64 s[24:25], s[6:7]
	s_xor_b64 s[6:7], exec, s[24:25]
; %bb.1459:                             ;   in Loop: Header=BB399_644 Depth=1
	v_bfe_u32 v10, v13, 16, 1
	v_add3_u32 v29, v13, v10, s15
                                        ; implicit-def: $vgpr13
; %bb.1460:                             ;   in Loop: Header=BB399_644 Depth=1
	s_andn2_saveexec_b64 s[24:25], s[6:7]
; %bb.1461:                             ;   in Loop: Header=BB399_644 Depth=1
	v_or_b32_e32 v10, 0x10000, v13
	v_cmp_eq_u32_sdwa s[6:7], v13, v31 src0_sel:WORD_0 src1_sel:DWORD
	v_cndmask_b32_e64 v29, v10, v13, s[6:7]
; %bb.1462:                             ;   in Loop: Header=BB399_644 Depth=1
	s_or_b64 exec, exec, s[24:25]
	v_lshlrev_b32_e32 v10, 16, v30
	v_mul_f32_e32 v13, v47, v10
	v_and_b32_e32 v10, 0x7f800000, v13
	v_cmp_ne_u32_e64 s[6:7], s9, v10
                                        ; implicit-def: $vgpr34
	s_and_saveexec_b64 s[24:25], s[6:7]
	s_xor_b64 s[6:7], exec, s[24:25]
; %bb.1463:                             ;   in Loop: Header=BB399_644 Depth=1
	v_bfe_u32 v10, v13, 16, 1
	v_add3_u32 v34, v13, v10, s15
                                        ; implicit-def: $vgpr13
; %bb.1464:                             ;   in Loop: Header=BB399_644 Depth=1
	s_andn2_saveexec_b64 s[24:25], s[6:7]
; %bb.1465:                             ;   in Loop: Header=BB399_644 Depth=1
	v_or_b32_e32 v10, 0x10000, v13
	v_cmp_eq_u32_sdwa s[6:7], v13, v31 src0_sel:WORD_0 src1_sel:DWORD
	v_cndmask_b32_e64 v34, v10, v13, s[6:7]
; %bb.1466:                             ;   in Loop: Header=BB399_644 Depth=1
	s_or_b64 exec, exec, s[24:25]
	v_lshlrev_b32_e32 v10, 16, v12
	v_mul_f32_e32 v12, v56, v10
	v_and_b32_e32 v10, 0x7f800000, v12
	v_cmp_ne_u32_e64 s[6:7], s9, v10
                                        ; implicit-def: $vgpr37
	s_and_saveexec_b64 s[24:25], s[6:7]
	s_xor_b64 s[6:7], exec, s[24:25]
; %bb.1467:                             ;   in Loop: Header=BB399_644 Depth=1
	v_bfe_u32 v10, v12, 16, 1
	v_add3_u32 v37, v12, v10, s15
                                        ; implicit-def: $vgpr12
; %bb.1468:                             ;   in Loop: Header=BB399_644 Depth=1
	s_andn2_saveexec_b64 s[24:25], s[6:7]
; %bb.1469:                             ;   in Loop: Header=BB399_644 Depth=1
	v_or_b32_e32 v10, 0x10000, v12
	v_cmp_eq_u32_sdwa s[6:7], v12, v31 src0_sel:WORD_0 src1_sel:DWORD
	v_cndmask_b32_e64 v37, v10, v12, s[6:7]
; %bb.1470:                             ;   in Loop: Header=BB399_644 Depth=1
	s_or_b64 exec, exec, s[24:25]
	v_lshlrev_b32_e32 v2, 16, v2
	v_mul_f32_e32 v2, v57, v2
	v_and_b32_e32 v10, 0x7f800000, v2
	v_cmp_ne_u32_e64 s[6:7], s9, v10
                                        ; implicit-def: $vgpr32
	s_and_saveexec_b64 s[24:25], s[6:7]
	s_xor_b64 s[6:7], exec, s[24:25]
	s_cbranch_execnz .LBB399_1473
; %bb.1471:                             ;   in Loop: Header=BB399_644 Depth=1
	s_andn2_saveexec_b64 s[24:25], s[6:7]
	s_cbranch_execnz .LBB399_1474
.LBB399_1472:                           ;   in Loop: Header=BB399_644 Depth=1
	s_or_b64 exec, exec, s[24:25]
	s_and_saveexec_b64 s[24:25], vcc
	s_cbranch_execz .LBB399_643
	s_branch .LBB399_1475
.LBB399_1473:                           ;   in Loop: Header=BB399_644 Depth=1
	v_bfe_u32 v10, v2, 16, 1
	v_add3_u32 v32, v2, v10, s15
                                        ; implicit-def: $vgpr2
	s_andn2_saveexec_b64 s[24:25], s[6:7]
	s_cbranch_execz .LBB399_1472
.LBB399_1474:                           ;   in Loop: Header=BB399_644 Depth=1
	v_or_b32_e32 v10, 0x10000, v2
	v_cmp_eq_u32_sdwa s[6:7], v2, v31 src0_sel:WORD_0 src1_sel:DWORD
	v_cndmask_b32_e64 v32, v10, v2, s[6:7]
	s_or_b64 exec, exec, s[24:25]
	s_and_saveexec_b64 s[24:25], vcc
	s_cbranch_execz .LBB399_643
.LBB399_1475:                           ;   in Loop: Header=BB399_644 Depth=1
	v_accvgpr_read_b32 v2, a18
	v_add_co_u32_e64 v0, s[6:7], v0, v2
	v_addc_co_u32_e64 v1, s[6:7], 0, v1, s[6:7]
	flat_load_dwordx2 v[0:1], v[0:1]
	s_nop 0
	buffer_load_dword v10, off, s[0:3], s32 offset:264 ; 4-byte Folded Reload
	buffer_load_dword v11, off, s[0:3], s32 offset:268 ; 4-byte Folded Reload
	v_mov_b32_e32 v2, 0
	s_waitcnt vmcnt(0) lgkmcnt(0)
	v_cmp_ne_u16_sdwa s[6:7], v0, v31 src0_sel:BYTE_0 src1_sel:DWORD
	flat_load_dword v23, v[10:11]
	s_and_saveexec_b64 s[26:27], s[6:7]
	s_cbranch_execz .LBB399_1481
; %bb.1476:                             ;   in Loop: Header=BB399_644 Depth=1
	v_cmp_ne_u16_sdwa s[6:7], v0, s19 src0_sel:BYTE_0 src1_sel:DWORD
	v_bfrev_b32_e32 v2, 1
	s_and_saveexec_b64 s[28:29], s[6:7]
	s_cbranch_execz .LBB399_1480
; %bb.1477:                             ;   in Loop: Header=BB399_644 Depth=1
	v_and_b32_e32 v10, 0x7f, v0
	v_cmp_ne_u32_e64 s[6:7], s34, v10
	v_mov_b32_e32 v2, 0x7f800001
	s_and_saveexec_b64 s[30:31], s[6:7]
	s_cbranch_execz .LBB399_1479
; %bb.1478:                             ;   in Loop: Header=BB399_644 Depth=1
	v_and_b32_e32 v2, 7, v0
	v_ffbh_u32_e32 v2, v2
	v_min_u32_e32 v2, 32, v2
	v_subrev_u32_e32 v12, 28, v2
	v_cmp_gt_u32_e64 s[6:7], 8, v10
	v_lshrrev_b32_e32 v11, 3, v10
	v_cndmask_b32_e64 v10, 0, v12, s[6:7]
	v_sub_u32_e32 v2, 29, v2
	v_lshlrev_b64 v[12:13], v10, v[0:1]
	v_cndmask_b32_e64 v2, v11, v2, s[6:7]
	v_lshlrev_b32_e32 v10, 20, v12
	v_lshlrev_b32_e32 v11, 24, v0
	v_bfrev_b32_e32 v9, 60
	v_and_b32_e32 v10, 0x700000, v10
	v_and_b32_e32 v11, 0x80000000, v11
	v_lshl_add_u32 v2, v2, 23, v9
	v_or3_b32 v2, v11, v2, v10
.LBB399_1479:                           ;   in Loop: Header=BB399_644 Depth=1
	s_or_b64 exec, exec, s[30:31]
.LBB399_1480:                           ;   in Loop: Header=BB399_644 Depth=1
	s_or_b64 exec, exec, s[28:29]
.LBB399_1481:                           ;   in Loop: Header=BB399_644 Depth=1
	s_or_b64 exec, exec, s[26:27]
	s_waitcnt vmcnt(0) lgkmcnt(0)
	v_mul_f32_e32 v2, v23, v2
	v_and_b32_e32 v10, 0x7f800000, v2
	v_cmp_ne_u32_e64 s[6:7], s9, v10
                                        ; implicit-def: $vgpr35
	s_and_saveexec_b64 s[26:27], s[6:7]
	s_xor_b64 s[6:7], exec, s[26:27]
; %bb.1482:                             ;   in Loop: Header=BB399_644 Depth=1
	v_bfe_u32 v10, v2, 16, 1
	v_add3_u32 v35, v2, v10, s15
                                        ; implicit-def: $vgpr2
; %bb.1483:                             ;   in Loop: Header=BB399_644 Depth=1
	s_andn2_saveexec_b64 s[26:27], s[6:7]
; %bb.1484:                             ;   in Loop: Header=BB399_644 Depth=1
	v_or_b32_e32 v10, 0x10000, v2
	v_cmp_eq_u32_sdwa s[6:7], v2, v31 src0_sel:WORD_0 src1_sel:DWORD
	v_cndmask_b32_e64 v35, v10, v2, s[6:7]
; %bb.1485:                             ;   in Loop: Header=BB399_644 Depth=1
	s_or_b64 exec, exec, s[26:27]
	v_lshrrev_b16_e32 v2, 8, v0
	v_cmp_ne_u16_e64 s[6:7], 0, v2
	v_mov_b32_e32 v12, 0
	s_and_saveexec_b64 s[26:27], s[6:7]
	s_cbranch_execz .LBB399_1491
; %bb.1486:                             ;   in Loop: Header=BB399_644 Depth=1
	v_cmp_ne_u16_e64 s[6:7], s19, v2
	v_bfrev_b32_e32 v12, 1
	s_and_saveexec_b64 s[28:29], s[6:7]
	s_cbranch_execz .LBB399_1490
; %bb.1487:                             ;   in Loop: Header=BB399_644 Depth=1
	v_and_b32_e32 v13, 0x7f, v2
	v_cmp_ne_u32_e64 s[6:7], s34, v13
	v_mov_b32_e32 v12, 0x7f800001
	s_and_saveexec_b64 s[30:31], s[6:7]
	s_cbranch_execz .LBB399_1489
; %bb.1488:                             ;   in Loop: Header=BB399_644 Depth=1
	v_and_b32_e32 v12, 7, v2
	v_ffbh_u32_e32 v10, v12
	v_min_u32_e32 v30, 32, v10
	v_subrev_u32_e32 v10, 28, v30
	v_lshlrev_b64 v[10:11], v10, v[2:3]
	v_lshrrev_b32_e32 v28, 3, v13
	v_sub_u32_e32 v2, 29, v30
	v_and_b32_e32 v10, 7, v10
	v_cmp_gt_u32_e64 s[6:7], 8, v13
	v_cndmask_b32_e64 v2, v28, v2, s[6:7]
	v_cndmask_b32_e64 v10, v12, v10, s[6:7]
	v_lshlrev_b32_e32 v11, 16, v0
	v_bfrev_b32_e32 v9, 60
	v_lshlrev_b32_e32 v10, 20, v10
	v_and_b32_e32 v11, 0x80000000, v11
	v_lshl_add_u32 v2, v2, 23, v9
	v_or3_b32 v12, v11, v2, v10
.LBB399_1489:                           ;   in Loop: Header=BB399_644 Depth=1
	s_or_b64 exec, exec, s[30:31]
.LBB399_1490:                           ;   in Loop: Header=BB399_644 Depth=1
	s_or_b64 exec, exec, s[28:29]
.LBB399_1491:                           ;   in Loop: Header=BB399_644 Depth=1
	s_or_b64 exec, exec, s[26:27]
	v_mul_f32_e32 v2, v23, v12
	v_and_b32_e32 v10, 0x7f800000, v2
	v_cmp_ne_u32_e64 s[6:7], s9, v10
                                        ; implicit-def: $vgpr12
	s_and_saveexec_b64 s[26:27], s[6:7]
	s_xor_b64 s[6:7], exec, s[26:27]
; %bb.1492:                             ;   in Loop: Header=BB399_644 Depth=1
	v_bfe_u32 v10, v2, 16, 1
	v_add3_u32 v12, v2, v10, s15
                                        ; implicit-def: $vgpr2
; %bb.1493:                             ;   in Loop: Header=BB399_644 Depth=1
	s_andn2_saveexec_b64 s[26:27], s[6:7]
; %bb.1494:                             ;   in Loop: Header=BB399_644 Depth=1
	v_or_b32_e32 v10, 0x10000, v2
	v_cmp_eq_u32_sdwa s[6:7], v2, v31 src0_sel:WORD_0 src1_sel:DWORD
	v_cndmask_b32_e64 v12, v10, v2, s[6:7]
; %bb.1495:                             ;   in Loop: Header=BB399_644 Depth=1
	s_or_b64 exec, exec, s[26:27]
	v_lshrrev_b32_e32 v2, 16, v0
	v_cmp_ne_u16_sdwa s[6:7], v2, v31 src0_sel:BYTE_0 src1_sel:DWORD
	v_mov_b32_e32 v13, 0
	s_and_saveexec_b64 s[26:27], s[6:7]
	s_cbranch_execz .LBB399_1501
; %bb.1496:                             ;   in Loop: Header=BB399_644 Depth=1
	v_cmp_ne_u16_sdwa s[6:7], v2, s19 src0_sel:BYTE_0 src1_sel:DWORD
	v_bfrev_b32_e32 v13, 1
	s_and_saveexec_b64 s[28:29], s[6:7]
	s_cbranch_execz .LBB399_1500
; %bb.1497:                             ;   in Loop: Header=BB399_644 Depth=1
	v_bfe_u32 v28, v0, 16, 7
	v_cmp_ne_u32_e64 s[6:7], s34, v28
	v_mov_b32_e32 v13, 0x7f800001
	s_and_saveexec_b64 s[30:31], s[6:7]
	s_cbranch_execz .LBB399_1499
; %bb.1498:                             ;   in Loop: Header=BB399_644 Depth=1
	v_and_b32_e32 v13, 7, v2
	v_ffbh_u32_e32 v10, v13
	v_min_u32_e32 v39, 32, v10
	v_subrev_u32_e32 v10, 28, v39
	v_lshlrev_b64 v[10:11], v10, v[2:3]
	v_lshrrev_b32_e32 v30, 3, v28
	v_sub_u32_e32 v11, 29, v39
	v_and_b32_e32 v10, 7, v10
	v_cmp_gt_u32_e64 s[6:7], 8, v28
	v_cndmask_b32_e64 v11, v30, v11, s[6:7]
	v_cndmask_b32_e64 v10, v13, v10, s[6:7]
	v_lshlrev_b32_e32 v2, 24, v2
	v_bfrev_b32_e32 v9, 60
	v_lshlrev_b32_e32 v10, 20, v10
	v_and_b32_e32 v2, 0x80000000, v2
	v_lshl_add_u32 v11, v11, 23, v9
	v_or3_b32 v13, v2, v11, v10
.LBB399_1499:                           ;   in Loop: Header=BB399_644 Depth=1
	s_or_b64 exec, exec, s[30:31]
.LBB399_1500:                           ;   in Loop: Header=BB399_644 Depth=1
	s_or_b64 exec, exec, s[28:29]
.LBB399_1501:                           ;   in Loop: Header=BB399_644 Depth=1
	s_or_b64 exec, exec, s[26:27]
	v_mul_f32_e32 v2, v23, v13
	v_and_b32_e32 v10, 0x7f800000, v2
	v_cmp_ne_u32_e64 s[6:7], s9, v10
                                        ; implicit-def: $vgpr13
	s_and_saveexec_b64 s[26:27], s[6:7]
	s_xor_b64 s[6:7], exec, s[26:27]
; %bb.1502:                             ;   in Loop: Header=BB399_644 Depth=1
	v_bfe_u32 v10, v2, 16, 1
	v_add3_u32 v13, v2, v10, s15
                                        ; implicit-def: $vgpr2
; %bb.1503:                             ;   in Loop: Header=BB399_644 Depth=1
	s_andn2_saveexec_b64 s[26:27], s[6:7]
; %bb.1504:                             ;   in Loop: Header=BB399_644 Depth=1
	v_or_b32_e32 v10, 0x10000, v2
	v_cmp_eq_u32_sdwa s[6:7], v2, v31 src0_sel:WORD_0 src1_sel:DWORD
	v_cndmask_b32_e64 v13, v10, v2, s[6:7]
; %bb.1505:                             ;   in Loop: Header=BB399_644 Depth=1
	s_or_b64 exec, exec, s[26:27]
	v_cmp_lt_u32_e64 s[6:7], s13, v0
	v_mov_b32_e32 v30, 0
	s_and_saveexec_b64 s[26:27], s[6:7]
	s_cbranch_execz .LBB399_1511
; %bb.1506:                             ;   in Loop: Header=BB399_644 Depth=1
	v_lshrrev_b32_e32 v2, 24, v0
	v_cmp_ne_u32_e64 s[6:7], s19, v2
	v_bfrev_b32_e32 v30, 1
	s_and_saveexec_b64 s[28:29], s[6:7]
	s_cbranch_execz .LBB399_1510
; %bb.1507:                             ;   in Loop: Header=BB399_644 Depth=1
	v_bfe_u32 v28, v0, 24, 7
	v_cmp_ne_u32_e64 s[6:7], s34, v28
	v_mov_b32_e32 v30, 0x7f800001
	s_and_saveexec_b64 s[30:31], s[6:7]
	s_cbranch_execz .LBB399_1509
; %bb.1508:                             ;   in Loop: Header=BB399_644 Depth=1
	v_and_b32_e32 v30, 7, v2
	v_ffbh_u32_e32 v10, v30
	v_min_u32_e32 v49, 32, v10
	v_subrev_u32_e32 v10, 28, v49
	v_lshlrev_b64 v[10:11], v10, v[2:3]
	v_lshrrev_b32_e32 v39, 3, v28
	v_sub_u32_e32 v11, 29, v49
	v_and_b32_e32 v10, 7, v10
	v_cmp_gt_u32_e64 s[6:7], 8, v28
	v_cndmask_b32_e64 v11, v39, v11, s[6:7]
	v_cndmask_b32_e64 v10, v30, v10, s[6:7]
	v_lshlrev_b32_e32 v2, 24, v2
	v_bfrev_b32_e32 v9, 60
	v_lshlrev_b32_e32 v10, 20, v10
	v_and_b32_e32 v2, 0x80000000, v2
	v_lshl_add_u32 v11, v11, 23, v9
	v_or3_b32 v30, v2, v11, v10
.LBB399_1509:                           ;   in Loop: Header=BB399_644 Depth=1
	s_or_b64 exec, exec, s[30:31]
.LBB399_1510:                           ;   in Loop: Header=BB399_644 Depth=1
	s_or_b64 exec, exec, s[28:29]
.LBB399_1511:                           ;   in Loop: Header=BB399_644 Depth=1
	s_or_b64 exec, exec, s[26:27]
	v_mul_f32_e32 v2, v23, v30
	v_and_b32_e32 v10, 0x7f800000, v2
	v_cmp_ne_u32_e64 s[6:7], s9, v10
                                        ; implicit-def: $vgpr49
	s_and_saveexec_b64 s[26:27], s[6:7]
	s_xor_b64 s[6:7], exec, s[26:27]
; %bb.1512:                             ;   in Loop: Header=BB399_644 Depth=1
	v_bfe_u32 v10, v2, 16, 1
	v_add3_u32 v49, v2, v10, s15
                                        ; implicit-def: $vgpr2
; %bb.1513:                             ;   in Loop: Header=BB399_644 Depth=1
	s_andn2_saveexec_b64 s[26:27], s[6:7]
; %bb.1514:                             ;   in Loop: Header=BB399_644 Depth=1
	v_or_b32_e32 v10, 0x10000, v2
	v_cmp_eq_u32_sdwa s[6:7], v2, v31 src0_sel:WORD_0 src1_sel:DWORD
	v_cndmask_b32_e64 v49, v10, v2, s[6:7]
; %bb.1515:                             ;   in Loop: Header=BB399_644 Depth=1
	s_or_b64 exec, exec, s[26:27]
	v_mov_b32_e32 v30, v1
	v_cmp_ne_u16_sdwa s[6:7], v1, v31 src0_sel:BYTE_0 src1_sel:DWORD
	v_mov_b32_e32 v2, 0
	s_and_saveexec_b64 s[26:27], s[6:7]
	s_cbranch_execz .LBB399_1521
; %bb.1516:                             ;   in Loop: Header=BB399_644 Depth=1
	v_cmp_ne_u16_sdwa s[6:7], v1, s19 src0_sel:BYTE_0 src1_sel:DWORD
	v_bfrev_b32_e32 v2, 1
	s_and_saveexec_b64 s[28:29], s[6:7]
	s_cbranch_execz .LBB399_1520
; %bb.1517:                             ;   in Loop: Header=BB399_644 Depth=1
	v_and_b32_e32 v10, 0x7f, v1
	v_cmp_ne_u32_e64 s[6:7], s34, v10
	v_mov_b32_e32 v2, 0x7f800001
	s_and_saveexec_b64 s[30:31], s[6:7]
	s_cbranch_execz .LBB399_1519
; %bb.1518:                             ;   in Loop: Header=BB399_644 Depth=1
	v_and_b32_e32 v2, 7, v1
	v_ffbh_u32_e32 v2, v2
	v_min_u32_e32 v2, 32, v2
	v_subrev_u32_e32 v28, 28, v2
	v_cmp_gt_u32_e64 s[6:7], 8, v10
	v_lshrrev_b32_e32 v11, 3, v10
	v_sub_u32_e32 v2, 29, v2
	v_cndmask_b32_e64 v10, 0, v28, s[6:7]
	v_cndmask_b32_e64 v2, v11, v2, s[6:7]
	v_lshlrev_b64 v[10:11], v10, v[30:31]
	v_lshlrev_b32_e32 v10, 20, v10
	v_lshlrev_b32_e32 v11, 24, v30
	v_bfrev_b32_e32 v9, 60
	v_and_b32_e32 v10, 0x700000, v10
	v_and_b32_e32 v11, 0x80000000, v11
	v_lshl_add_u32 v2, v2, 23, v9
	v_or3_b32 v2, v11, v2, v10
.LBB399_1519:                           ;   in Loop: Header=BB399_644 Depth=1
	s_or_b64 exec, exec, s[30:31]
.LBB399_1520:                           ;   in Loop: Header=BB399_644 Depth=1
	s_or_b64 exec, exec, s[28:29]
.LBB399_1521:                           ;   in Loop: Header=BB399_644 Depth=1
	s_or_b64 exec, exec, s[26:27]
	v_mul_f32_e32 v2, v23, v2
	v_and_b32_e32 v10, 0x7f800000, v2
	v_cmp_ne_u32_e64 s[6:7], s9, v10
                                        ; implicit-def: $vgpr39
	s_and_saveexec_b64 s[26:27], s[6:7]
	s_xor_b64 s[6:7], exec, s[26:27]
; %bb.1522:                             ;   in Loop: Header=BB399_644 Depth=1
	v_bfe_u32 v10, v2, 16, 1
	v_add3_u32 v39, v2, v10, s15
                                        ; implicit-def: $vgpr2
; %bb.1523:                             ;   in Loop: Header=BB399_644 Depth=1
	s_andn2_saveexec_b64 s[26:27], s[6:7]
; %bb.1524:                             ;   in Loop: Header=BB399_644 Depth=1
	v_or_b32_e32 v10, 0x10000, v2
	v_cmp_eq_u32_sdwa s[6:7], v2, v31 src0_sel:WORD_0 src1_sel:DWORD
	v_cndmask_b32_e64 v39, v10, v2, s[6:7]
; %bb.1525:                             ;   in Loop: Header=BB399_644 Depth=1
	s_or_b64 exec, exec, s[26:27]
	v_lshrrev_b16_e32 v2, 8, v30
	v_mov_b32_e32 v28, 0
	v_cmp_ne_u16_e64 s[6:7], 0, v2
	s_mov_b64 s[26:27], exec
	v_accvgpr_write_b32 a12, v50
	s_and_b64 s[6:7], s[26:27], s[6:7]
	v_accvgpr_write_b32 a13, v51
	s_mov_b64 exec, s[6:7]
	s_cbranch_execz .LBB399_1531
; %bb.1526:                             ;   in Loop: Header=BB399_644 Depth=1
	v_cmp_ne_u16_e64 s[6:7], s19, v2
	v_bfrev_b32_e32 v28, 1
	s_and_saveexec_b64 s[28:29], s[6:7]
	s_cbranch_execz .LBB399_1530
; %bb.1527:                             ;   in Loop: Header=BB399_644 Depth=1
	v_and_b32_e32 v10, 0x7f, v2
	v_cmp_ne_u32_e64 s[6:7], s34, v10
	v_mov_b32_e32 v28, 0x7f800001
	s_and_saveexec_b64 s[30:31], s[6:7]
	s_cbranch_execz .LBB399_1529
; %bb.1528:                             ;   in Loop: Header=BB399_644 Depth=1
	v_and_b32_e32 v11, 7, v2
	v_ffbh_u32_e32 v50, v11
	v_min_u32_e32 v9, 32, v50
	v_subrev_u32_e32 v50, 28, v9
	v_lshlrev_b64 v[50:51], v50, v[2:3]
	v_lshrrev_b32_e32 v28, 3, v10
	v_sub_u32_e32 v2, 29, v9
	v_and_b32_e32 v9, 7, v50
	v_cmp_gt_u32_e64 s[6:7], 8, v10
	v_cndmask_b32_e64 v2, v28, v2, s[6:7]
	v_cndmask_b32_e64 v9, v11, v9, s[6:7]
	v_lshlrev_b32_e32 v10, 16, v30
	v_bfrev_b32_e32 v11, 60
	v_lshlrev_b32_e32 v9, 20, v9
	v_and_b32_e32 v10, 0x80000000, v10
	v_lshl_add_u32 v2, v2, 23, v11
	v_or3_b32 v28, v10, v2, v9
.LBB399_1529:                           ;   in Loop: Header=BB399_644 Depth=1
	s_or_b64 exec, exec, s[30:31]
.LBB399_1530:                           ;   in Loop: Header=BB399_644 Depth=1
	s_or_b64 exec, exec, s[28:29]
.LBB399_1531:                           ;   in Loop: Header=BB399_644 Depth=1
	s_or_b64 exec, exec, s[26:27]
	v_mul_f32_e32 v2, v23, v28
	v_and_b32_e32 v9, 0x7f800000, v2
	v_cmp_ne_u32_e64 s[6:7], s9, v9
                                        ; implicit-def: $vgpr30
	s_and_saveexec_b64 s[26:27], s[6:7]
	s_xor_b64 s[6:7], exec, s[26:27]
; %bb.1532:                             ;   in Loop: Header=BB399_644 Depth=1
	v_bfe_u32 v9, v2, 16, 1
	v_add3_u32 v30, v2, v9, s15
                                        ; implicit-def: $vgpr2
; %bb.1533:                             ;   in Loop: Header=BB399_644 Depth=1
	s_andn2_saveexec_b64 s[26:27], s[6:7]
; %bb.1534:                             ;   in Loop: Header=BB399_644 Depth=1
	v_or_b32_e32 v9, 0x10000, v2
	v_cmp_eq_u32_sdwa s[6:7], v2, v31 src0_sel:WORD_0 src1_sel:DWORD
	v_cndmask_b32_e64 v30, v9, v2, s[6:7]
; %bb.1535:                             ;   in Loop: Header=BB399_644 Depth=1
	s_or_b64 exec, exec, s[26:27]
	v_lshrrev_b32_e32 v2, 16, v1
	v_cmp_ne_u16_sdwa s[6:7], v2, v31 src0_sel:BYTE_0 src1_sel:DWORD
	v_mov_b32_e32 v28, 0
	s_and_saveexec_b64 s[26:27], s[6:7]
	s_cbranch_execz .LBB399_1541
; %bb.1536:                             ;   in Loop: Header=BB399_644 Depth=1
	v_cmp_ne_u16_sdwa s[6:7], v2, s19 src0_sel:BYTE_0 src1_sel:DWORD
	v_bfrev_b32_e32 v28, 1
	s_and_saveexec_b64 s[28:29], s[6:7]
	s_cbranch_execz .LBB399_1540
; %bb.1537:                             ;   in Loop: Header=BB399_644 Depth=1
	v_bfe_u32 v10, v1, 16, 7
	v_cmp_ne_u32_e64 s[6:7], s34, v10
	v_mov_b32_e32 v28, 0x7f800001
	s_and_saveexec_b64 s[30:31], s[6:7]
	s_cbranch_execz .LBB399_1539
; %bb.1538:                             ;   in Loop: Header=BB399_644 Depth=1
	v_and_b32_e32 v9, 7, v2
	v_ffbh_u32_e32 v28, v9
	v_min_u32_e32 v28, 32, v28
	v_subrev_u32_e32 v50, 28, v28
	v_lshlrev_b64 v[50:51], v50, v[2:3]
	v_lshrrev_b32_e32 v11, 3, v10
	v_sub_u32_e32 v28, 29, v28
	v_and_b32_e32 v50, 7, v50
	v_cmp_gt_u32_e64 s[6:7], 8, v10
	v_cndmask_b32_e64 v10, v11, v28, s[6:7]
	v_cndmask_b32_e64 v9, v9, v50, s[6:7]
	v_lshlrev_b32_e32 v2, 24, v2
	v_bfrev_b32_e32 v11, 60
	v_lshlrev_b32_e32 v9, 20, v9
	v_and_b32_e32 v2, 0x80000000, v2
	v_lshl_add_u32 v10, v10, 23, v11
	v_or3_b32 v28, v2, v10, v9
.LBB399_1539:                           ;   in Loop: Header=BB399_644 Depth=1
	s_or_b64 exec, exec, s[30:31]
.LBB399_1540:                           ;   in Loop: Header=BB399_644 Depth=1
	s_or_b64 exec, exec, s[28:29]
.LBB399_1541:                           ;   in Loop: Header=BB399_644 Depth=1
	s_or_b64 exec, exec, s[26:27]
	v_mul_f32_e32 v28, v23, v28
	v_and_b32_e32 v2, 0x7f800000, v28
	v_cmp_ne_u32_e64 s[6:7], s9, v2
                                        ; implicit-def: $vgpr2
	s_and_saveexec_b64 s[26:27], s[6:7]
	s_xor_b64 s[6:7], exec, s[26:27]
; %bb.1542:                             ;   in Loop: Header=BB399_644 Depth=1
	v_bfe_u32 v2, v28, 16, 1
	v_add3_u32 v2, v28, v2, s15
                                        ; implicit-def: $vgpr28
; %bb.1543:                             ;   in Loop: Header=BB399_644 Depth=1
	s_andn2_saveexec_b64 s[26:27], s[6:7]
; %bb.1544:                             ;   in Loop: Header=BB399_644 Depth=1
	v_or_b32_e32 v2, 0x10000, v28
	v_cmp_eq_u32_sdwa s[6:7], v28, v31 src0_sel:WORD_0 src1_sel:DWORD
	v_cndmask_b32_e64 v2, v2, v28, s[6:7]
; %bb.1545:                             ;   in Loop: Header=BB399_644 Depth=1
	s_or_b64 exec, exec, s[26:27]
	v_cmp_lt_u64_e64 s[6:7], s[12:13], v[0:1]
	v_mov_b32_e32 v28, 0
	s_and_saveexec_b64 s[26:27], s[6:7]
	s_cbranch_execz .LBB399_1551
; %bb.1546:                             ;   in Loop: Header=BB399_644 Depth=1
	v_lshrrev_b32_e32 v0, 24, v1
	v_cmp_ne_u32_e64 s[6:7], s19, v0
	v_bfrev_b32_e32 v28, 1
	s_and_saveexec_b64 s[28:29], s[6:7]
	s_cbranch_execz .LBB399_1550
; %bb.1547:                             ;   in Loop: Header=BB399_644 Depth=1
	v_bfe_u32 v1, v1, 24, 7
	v_cmp_ne_u32_e64 s[6:7], s34, v1
	v_mov_b32_e32 v28, 0x7f800001
	s_and_saveexec_b64 s[30:31], s[6:7]
	s_cbranch_execz .LBB399_1549
; %bb.1548:                             ;   in Loop: Header=BB399_644 Depth=1
	v_and_b32_e32 v9, 7, v0
	v_ffbh_u32_e32 v10, v9
	v_min_u32_e32 v50, 32, v10
	v_subrev_u32_e32 v10, 28, v50
	v_lshlrev_b64 v[10:11], v10, v[0:1]
	v_lshrrev_b32_e32 v28, 3, v1
	v_sub_u32_e32 v11, 29, v50
	v_and_b32_e32 v10, 7, v10
	v_cmp_gt_u32_e64 s[6:7], 8, v1
	v_cndmask_b32_e64 v1, v28, v11, s[6:7]
	v_cndmask_b32_e64 v9, v9, v10, s[6:7]
	v_lshlrev_b32_e32 v0, 24, v0
	v_bfrev_b32_e32 v10, 60
	v_lshlrev_b32_e32 v9, 20, v9
	v_and_b32_e32 v0, 0x80000000, v0
	v_lshl_add_u32 v1, v1, 23, v10
	v_or3_b32 v28, v0, v1, v9
.LBB399_1549:                           ;   in Loop: Header=BB399_644 Depth=1
	s_or_b64 exec, exec, s[30:31]
.LBB399_1550:                           ;   in Loop: Header=BB399_644 Depth=1
	s_or_b64 exec, exec, s[28:29]
.LBB399_1551:                           ;   in Loop: Header=BB399_644 Depth=1
	s_or_b64 exec, exec, s[26:27]
	v_mul_f32_e32 v1, v23, v28
	v_and_b32_e32 v0, 0x7f800000, v1
	v_cmp_ne_u32_e64 s[6:7], s9, v0
                                        ; implicit-def: $vgpr0
	s_and_saveexec_b64 s[26:27], s[6:7]
	s_xor_b64 s[6:7], exec, s[26:27]
; %bb.1552:                             ;   in Loop: Header=BB399_644 Depth=1
	v_bfe_u32 v0, v1, 16, 1
	v_add3_u32 v0, v1, v0, s15
                                        ; implicit-def: $vgpr1
; %bb.1553:                             ;   in Loop: Header=BB399_644 Depth=1
	s_andn2_saveexec_b64 s[26:27], s[6:7]
; %bb.1554:                             ;   in Loop: Header=BB399_644 Depth=1
	v_or_b32_e32 v0, 0x10000, v1
	v_cmp_eq_u32_sdwa s[6:7], v1, v31 src0_sel:WORD_0 src1_sel:DWORD
	v_cndmask_b32_e64 v0, v0, v1, s[6:7]
; %bb.1555:                             ;   in Loop: Header=BB399_644 Depth=1
	s_or_b64 exec, exec, s[26:27]
	v_lshrrev_b32_e32 v23, 16, v30
	v_lshrrev_b32_e32 v30, 16, v39
	;; [unrolled: 1-line block ×8, first 2 shown]
	s_and_saveexec_b64 s[6:7], s[4:5]
	s_cbranch_execz .LBB399_1557
; %bb.1556:                             ;   in Loop: Header=BB399_644 Depth=1
	v_accvgpr_read_b32 v9, a26
	v_cmp_lt_i32_e64 s[4:5], v9, v33
	v_add_u32_e32 v9, -6, v17
	v_cndmask_b32_e64 v1, 0, v1, s[4:5]
	v_cmp_lt_i32_e64 s[4:5], v9, v33
	v_add_u32_e32 v9, -5, v17
	v_cndmask_b32_e64 v12, 0, v12, s[4:5]
	;; [unrolled: 3-line block ×6, first 2 shown]
	v_cmp_lt_i32_e64 s[4:5], v9, v33
	v_cndmask_b32_e64 v2, 0, v2, s[4:5]
	v_cmp_lt_i32_e64 s[4:5], v17, v33
	v_cndmask_b32_e64 v0, 0, v0, s[4:5]
.LBB399_1557:                           ;   in Loop: Header=BB399_644 Depth=1
	s_or_b64 exec, exec, s[6:7]
	v_lshlrev_b32_e32 v1, 16, v1
	v_mul_f32_e32 v28, v42, v1
	v_and_b32_e32 v1, 0x7f800000, v28
	v_cmp_ne_u32_e64 s[4:5], s9, v1
                                        ; implicit-def: $vgpr1
	s_and_saveexec_b64 s[6:7], s[4:5]
	s_xor_b64 s[4:5], exec, s[6:7]
; %bb.1558:                             ;   in Loop: Header=BB399_644 Depth=1
	v_bfe_u32 v1, v28, 16, 1
	v_add3_u32 v1, v28, v1, s15
                                        ; implicit-def: $vgpr28
; %bb.1559:                             ;   in Loop: Header=BB399_644 Depth=1
	s_andn2_saveexec_b64 s[6:7], s[4:5]
; %bb.1560:                             ;   in Loop: Header=BB399_644 Depth=1
	v_or_b32_e32 v1, 0x10000, v28
	v_cmp_eq_u32_sdwa s[4:5], v28, v31 src0_sel:WORD_0 src1_sel:DWORD
	v_cndmask_b32_e64 v1, v1, v28, s[4:5]
; %bb.1561:                             ;   in Loop: Header=BB399_644 Depth=1
	s_or_b64 exec, exec, s[6:7]
	v_lshlrev_b32_e32 v9, 16, v12
	v_mul_f32_e32 v28, v43, v9
	v_and_b32_e32 v9, 0x7f800000, v28
	v_cmp_ne_u32_e64 s[4:5], s9, v9
                                        ; implicit-def: $vgpr12
	s_and_saveexec_b64 s[6:7], s[4:5]
	s_xor_b64 s[4:5], exec, s[6:7]
; %bb.1562:                             ;   in Loop: Header=BB399_644 Depth=1
	v_bfe_u32 v9, v28, 16, 1
	v_add3_u32 v12, v28, v9, s15
                                        ; implicit-def: $vgpr28
; %bb.1563:                             ;   in Loop: Header=BB399_644 Depth=1
	s_andn2_saveexec_b64 s[6:7], s[4:5]
; %bb.1564:                             ;   in Loop: Header=BB399_644 Depth=1
	v_or_b32_e32 v9, 0x10000, v28
	v_cmp_eq_u32_sdwa s[4:5], v28, v31 src0_sel:WORD_0 src1_sel:DWORD
	v_cndmask_b32_e64 v12, v9, v28, s[4:5]
; %bb.1565:                             ;   in Loop: Header=BB399_644 Depth=1
	s_or_b64 exec, exec, s[6:7]
	v_lshlrev_b32_e32 v9, 16, v13
	v_mul_f32_e32 v28, v44, v9
	v_and_b32_e32 v9, 0x7f800000, v28
	v_cmp_ne_u32_e64 s[4:5], s9, v9
                                        ; implicit-def: $vgpr13
	s_and_saveexec_b64 s[6:7], s[4:5]
	s_xor_b64 s[4:5], exec, s[6:7]
; %bb.1566:                             ;   in Loop: Header=BB399_644 Depth=1
	v_bfe_u32 v9, v28, 16, 1
	v_add3_u32 v13, v28, v9, s15
                                        ; implicit-def: $vgpr28
; %bb.1567:                             ;   in Loop: Header=BB399_644 Depth=1
	s_andn2_saveexec_b64 s[6:7], s[4:5]
; %bb.1568:                             ;   in Loop: Header=BB399_644 Depth=1
	v_or_b32_e32 v9, 0x10000, v28
	v_cmp_eq_u32_sdwa s[4:5], v28, v31 src0_sel:WORD_0 src1_sel:DWORD
	v_cndmask_b32_e64 v13, v9, v28, s[4:5]
; %bb.1569:                             ;   in Loop: Header=BB399_644 Depth=1
	s_or_b64 exec, exec, s[6:7]
	v_lshlrev_b32_e32 v9, 16, v39
	v_mul_f32_e32 v28, v45, v9
	v_and_b32_e32 v9, 0x7f800000, v28
	v_cmp_ne_u32_e64 s[4:5], s9, v9
                                        ; implicit-def: $vgpr35
	s_and_saveexec_b64 s[6:7], s[4:5]
	s_xor_b64 s[4:5], exec, s[6:7]
; %bb.1570:                             ;   in Loop: Header=BB399_644 Depth=1
	v_bfe_u32 v9, v28, 16, 1
	v_add3_u32 v35, v28, v9, s15
                                        ; implicit-def: $vgpr28
; %bb.1571:                             ;   in Loop: Header=BB399_644 Depth=1
	s_andn2_saveexec_b64 s[6:7], s[4:5]
; %bb.1572:                             ;   in Loop: Header=BB399_644 Depth=1
	v_or_b32_e32 v9, 0x10000, v28
	v_cmp_eq_u32_sdwa s[4:5], v28, v31 src0_sel:WORD_0 src1_sel:DWORD
	v_cndmask_b32_e64 v35, v9, v28, s[4:5]
; %bb.1573:                             ;   in Loop: Header=BB399_644 Depth=1
	s_or_b64 exec, exec, s[6:7]
	v_lshlrev_b32_e32 v9, 16, v30
	v_mul_f32_e32 v28, v46, v9
	v_and_b32_e32 v9, 0x7f800000, v28
	v_cmp_ne_u32_e64 s[4:5], s9, v9
                                        ; implicit-def: $vgpr30
	s_and_saveexec_b64 s[6:7], s[4:5]
	s_xor_b64 s[4:5], exec, s[6:7]
; %bb.1574:                             ;   in Loop: Header=BB399_644 Depth=1
	v_bfe_u32 v9, v28, 16, 1
	v_add3_u32 v30, v28, v9, s15
                                        ; implicit-def: $vgpr28
; %bb.1575:                             ;   in Loop: Header=BB399_644 Depth=1
	s_andn2_saveexec_b64 s[6:7], s[4:5]
; %bb.1576:                             ;   in Loop: Header=BB399_644 Depth=1
	v_or_b32_e32 v9, 0x10000, v28
	v_cmp_eq_u32_sdwa s[4:5], v28, v31 src0_sel:WORD_0 src1_sel:DWORD
	v_cndmask_b32_e64 v30, v9, v28, s[4:5]
; %bb.1577:                             ;   in Loop: Header=BB399_644 Depth=1
	s_or_b64 exec, exec, s[6:7]
	v_lshlrev_b32_e32 v9, 16, v23
	v_mul_f32_e32 v28, v47, v9
	v_and_b32_e32 v9, 0x7f800000, v28
	v_cmp_ne_u32_e64 s[4:5], s9, v9
                                        ; implicit-def: $vgpr23
	s_and_saveexec_b64 s[6:7], s[4:5]
	s_xor_b64 s[4:5], exec, s[6:7]
; %bb.1578:                             ;   in Loop: Header=BB399_644 Depth=1
	v_bfe_u32 v9, v28, 16, 1
	v_add3_u32 v23, v28, v9, s15
                                        ; implicit-def: $vgpr28
; %bb.1579:                             ;   in Loop: Header=BB399_644 Depth=1
	s_andn2_saveexec_b64 s[6:7], s[4:5]
; %bb.1580:                             ;   in Loop: Header=BB399_644 Depth=1
	v_or_b32_e32 v9, 0x10000, v28
	v_cmp_eq_u32_sdwa s[4:5], v28, v31 src0_sel:WORD_0 src1_sel:DWORD
	v_cndmask_b32_e64 v23, v9, v28, s[4:5]
; %bb.1581:                             ;   in Loop: Header=BB399_644 Depth=1
	s_or_b64 exec, exec, s[6:7]
	v_lshlrev_b32_e32 v2, 16, v2
	v_mul_f32_e32 v28, v56, v2
	v_and_b32_e32 v2, 0x7f800000, v28
	v_cmp_ne_u32_e64 s[4:5], s9, v2
                                        ; implicit-def: $vgpr2
	s_and_saveexec_b64 s[6:7], s[4:5]
	s_xor_b64 s[4:5], exec, s[6:7]
; %bb.1582:                             ;   in Loop: Header=BB399_644 Depth=1
	v_bfe_u32 v2, v28, 16, 1
	v_add3_u32 v2, v28, v2, s15
                                        ; implicit-def: $vgpr28
; %bb.1583:                             ;   in Loop: Header=BB399_644 Depth=1
	s_andn2_saveexec_b64 s[6:7], s[4:5]
; %bb.1584:                             ;   in Loop: Header=BB399_644 Depth=1
	v_or_b32_e32 v2, 0x10000, v28
	v_cmp_eq_u32_sdwa s[4:5], v28, v31 src0_sel:WORD_0 src1_sel:DWORD
	v_cndmask_b32_e64 v2, v2, v28, s[4:5]
; %bb.1585:                             ;   in Loop: Header=BB399_644 Depth=1
	s_or_b64 exec, exec, s[6:7]
	v_lshlrev_b32_e32 v0, 16, v0
	v_mul_f32_e32 v0, v57, v0
	v_and_b32_e32 v9, 0x7f800000, v0
	v_cmp_ne_u32_e64 s[4:5], s9, v9
                                        ; implicit-def: $vgpr28
	s_and_saveexec_b64 s[6:7], s[4:5]
	s_xor_b64 s[4:5], exec, s[6:7]
; %bb.1586:                             ;   in Loop: Header=BB399_644 Depth=1
	v_bfe_u32 v9, v0, 16, 1
	v_add3_u32 v28, v0, v9, s15
                                        ; implicit-def: $vgpr0
; %bb.1587:                             ;   in Loop: Header=BB399_644 Depth=1
	s_andn2_saveexec_b64 s[6:7], s[4:5]
	s_cbranch_execz .LBB399_642
; %bb.1588:                             ;   in Loop: Header=BB399_644 Depth=1
	v_or_b32_e32 v9, 0x10000, v0
	v_cmp_eq_u32_sdwa s[4:5], v0, v31 src0_sel:WORD_0 src1_sel:DWORD
	v_cndmask_b32_e64 v28, v9, v0, s[4:5]
	s_branch .LBB399_642
.LBB399_1589:
	s_or_b64 exec, exec, s[22:23]
	v_accvgpr_read_b32 v22, a7
	v_accvgpr_read_b32 v23, a8
	;; [unrolled: 1-line block ×4, first 2 shown]
.LBB399_1590:
	s_or_b64 exec, exec, s[10:11]
	ds_bpermute_b32 v0, v22, v24
	ds_bpermute_b32 v1, v22, v25
	ds_bpermute_b32 v8, v22, v50
	ds_bpermute_b32 v9, v22, v51
	s_waitcnt lgkmcnt(0)
	s_barrier
	v_pk_add_f32 v[0:1], v[24:25], v[0:1]
	ds_bpermute_b32 v4, v23, v0
	ds_bpermute_b32 v5, v23, v1
	v_pk_add_f32 v[14:15], v[50:51], v[8:9]
	s_waitcnt lgkmcnt(0)
	ds_bpermute_b32 v2, v22, v20
	ds_bpermute_b32 v3, v22, v21
	v_pk_add_f32 v[8:9], v[0:1], v[4:5]
	buffer_load_dword v5, off, s[0:3], s32 offset:276 ; 4-byte Folded Reload
	ds_bpermute_b32 v6, v22, v18
	ds_bpermute_b32 v7, v22, v19
	s_waitcnt lgkmcnt(0)
	v_pk_add_f32 v[2:3], v[20:21], v[2:3]
	ds_bpermute_b32 v10, v23, v2
	ds_bpermute_b32 v11, v23, v3
	;; [unrolled: 1-line block ×3, first 2 shown]
	v_pk_add_f32 v[6:7], v[18:19], v[6:7]
	ds_bpermute_b32 v12, v23, v6
	ds_bpermute_b32 v13, v23, v7
	ds_bpermute_b32 v17, v23, v15
	s_waitcnt lgkmcnt(0)
	v_pk_add_f32 v[2:3], v[2:3], v[10:11]
	v_pk_add_f32 v[0:1], v[6:7], v[12:13]
	;; [unrolled: 1-line block ×3, first 2 shown]
	s_waitcnt vmcnt(0)
	v_and_b32_e32 v4, 0x3c0, v5
	v_cmp_eq_u32_e32 vcc, 64, v4
	s_and_saveexec_b64 s[6:7], vcc
	s_cbranch_execz .LBB399_1595
; %bb.1591:
	v_cmp_eq_u32_e32 vcc, 0, v26
	s_and_saveexec_b64 s[4:5], vcc
	s_cbranch_execz .LBB399_1593
; %bb.1592:
	s_ashr_i32 s19, s18, 31
	s_lshl_b64 s[10:11], s[18:19], 2
	s_getpc_b64 s[12:13]
	s_add_u32 s12, s12, llvm.amdgcn.dynlds.offset.table@rel32@lo+4
	s_addc_u32 s13, s13, llvm.amdgcn.dynlds.offset.table@rel32@hi+12
	s_add_u32 s10, s10, s12
	s_addc_u32 s11, s11, s13
	s_load_dword s9, s[10:11], 0x0
	s_waitcnt lgkmcnt(0)
	v_lshl_add_u32 v4, v27, 2, s9
	ds_write2_b32 v4, v8, v9 offset1:16
	ds_write2_b32 v4, v2, v3 offset0:32 offset1:48
	ds_write2_b32 v4, v0, v1 offset0:64 offset1:80
	ds_write_b32 v4, v6 offset:384
.LBB399_1593:
	s_or_b64 exec, exec, s[4:5]
	v_or_b32_e32 v4, 0x70, v27
	s_movk_i32 s4, 0x78
	v_cmp_gt_u32_e64 s[4:5], s4, v4
	s_and_b64 s[4:5], vcc, s[4:5]
	s_and_b64 exec, exec, s[4:5]
	s_cbranch_execz .LBB399_1595
; %bb.1594:
	s_ashr_i32 s19, s18, 31
	s_lshl_b64 s[4:5], s[18:19], 2
	s_getpc_b64 s[10:11]
	s_add_u32 s10, s10, llvm.amdgcn.dynlds.offset.table@rel32@lo+4
	s_addc_u32 s11, s11, llvm.amdgcn.dynlds.offset.table@rel32@hi+12
	s_add_u32 s4, s4, s10
	s_addc_u32 s5, s5, s11
	s_load_dword s4, s[4:5], 0x0
	s_waitcnt lgkmcnt(0)
	v_lshl_add_u32 v4, v27, 2, s4
	ds_write_b32 v4, v7 offset:448
.LBB399_1595:
	s_or_b64 exec, exec, s[6:7]
	v_cmp_gt_u32_e32 vcc, 64, v5
	v_lshrrev_b32_e32 v10, 2, v5
	s_waitcnt lgkmcnt(0)
	s_barrier
	s_and_saveexec_b64 s[10:11], vcc
	s_cbranch_execz .LBB399_1607
; %bb.1596:
	v_cmp_eq_u32_e64 s[4:5], 0, v26
	s_and_saveexec_b64 s[6:7], s[4:5]
	s_cbranch_execnz .LBB399_1645
; %bb.1597:
	s_or_b64 exec, exec, s[6:7]
	s_and_saveexec_b64 s[6:7], s[4:5]
	s_cbranch_execnz .LBB399_1646
.LBB399_1598:
	s_or_b64 exec, exec, s[6:7]
	s_and_saveexec_b64 s[6:7], s[4:5]
	s_cbranch_execnz .LBB399_1647
.LBB399_1599:
	s_or_b64 exec, exec, s[6:7]
	s_and_saveexec_b64 s[6:7], s[4:5]
	s_cbranch_execnz .LBB399_1648
.LBB399_1600:
	s_or_b64 exec, exec, s[6:7]
	s_and_saveexec_b64 s[6:7], s[4:5]
	s_cbranch_execnz .LBB399_1649
.LBB399_1601:
	s_or_b64 exec, exec, s[6:7]
	s_and_saveexec_b64 s[6:7], s[4:5]
	s_cbranch_execnz .LBB399_1650
.LBB399_1602:
	s_or_b64 exec, exec, s[6:7]
	s_and_saveexec_b64 s[6:7], s[4:5]
	s_cbranch_execz .LBB399_1604
.LBB399_1603:
	s_ashr_i32 s19, s18, 31
	s_lshl_b64 s[12:13], s[18:19], 2
	s_getpc_b64 s[22:23]
	s_add_u32 s22, s22, llvm.amdgcn.dynlds.offset.table@rel32@lo+4
	s_addc_u32 s23, s23, llvm.amdgcn.dynlds.offset.table@rel32@hi+12
	s_add_u32 s12, s12, s22
	s_addc_u32 s13, s13, s23
	s_load_dword s9, s[12:13], 0x0
	s_waitcnt lgkmcnt(0)
	v_lshl_add_u32 v4, v10, 2, s9
	ds_read_b32 v4, v4 offset:384
	s_waitcnt lgkmcnt(0)
	v_add_f32_e32 v6, v6, v4
.LBB399_1604:
	s_or_b64 exec, exec, s[6:7]
	v_or_b32_e32 v4, 0x70, v10
	s_movk_i32 s6, 0x78
	v_cmp_gt_u32_e64 s[6:7], s6, v4
	s_and_b64 s[6:7], s[4:5], s[6:7]
	s_and_saveexec_b64 s[4:5], s[6:7]
	s_cbranch_execz .LBB399_1606
; %bb.1605:
	s_ashr_i32 s19, s18, 31
	s_lshl_b64 s[6:7], s[18:19], 2
	s_getpc_b64 s[12:13]
	s_add_u32 s12, s12, llvm.amdgcn.dynlds.offset.table@rel32@lo+4
	s_addc_u32 s13, s13, llvm.amdgcn.dynlds.offset.table@rel32@hi+12
	s_add_u32 s6, s6, s12
	s_addc_u32 s7, s7, s13
	s_load_dword s6, s[6:7], 0x0
	s_waitcnt lgkmcnt(0)
	v_lshl_add_u32 v4, v10, 2, s6
	ds_read_b32 v4, v4 offset:448
	s_waitcnt lgkmcnt(0)
	v_add_f32_e32 v7, v7, v4
.LBB399_1606:
	s_or_b64 exec, exec, s[4:5]
.LBB399_1607:
	s_or_b64 exec, exec, s[10:11]
	s_barrier
	s_and_b64 exec, exec, vcc
	s_cbranch_execz .LBB399_1644
; %bb.1608:
	buffer_load_dword v5, off, s[0:3], s32 offset:284 ; 4-byte Folded Reload
	s_mul_i32 s4, s8, 0x78
	s_mul_i32 s6, s20, s21
	;; [unrolled: 1-line block ×3, first 2 shown]
	s_ashr_i32 s5, s4, 31
	s_ashr_i32 s7, s6, 31
	;; [unrolled: 1-line block ×3, first 2 shown]
	s_lshl_b64 s[4:5], s[4:5], 1
	s_lshl_b64 s[6:7], s[6:7], 1
	;; [unrolled: 1-line block ×3, first 2 shown]
	s_add_u32 s6, s8, s6
	s_addc_u32 s7, s9, s7
	s_add_u32 s4, s6, s4
	s_addc_u32 s5, s7, s5
	v_mov_b32_e32 v4, s5
	s_waitcnt vmcnt(0)
	v_add_co_u32_e32 v11, vcc, s4, v5
	buffer_load_dword v5, off, s[0:3], s32 offset:280 ; 4-byte Folded Reload
	s_waitcnt vmcnt(0)
	v_addc_co_u32_e32 v12, vcc, v4, v5, vcc
	v_cmp_eq_u32_e32 vcc, 0, v26
	s_and_saveexec_b64 s[6:7], vcc
	s_cbranch_execz .LBB399_1638
; %bb.1609:
	s_mov_b32 s4, 0x7f800000
	v_and_b32_e32 v4, 0x7f800000, v8
	v_cmp_ne_u32_e64 s[4:5], s4, v4
                                        ; implicit-def: $vgpr13
	s_and_saveexec_b64 s[8:9], s[4:5]
	s_xor_b64 s[4:5], exec, s[8:9]
; %bb.1610:
	v_bfe_u32 v4, v8, 16, 1
	s_movk_i32 s8, 0x7fff
	v_add3_u32 v13, v8, v4, s8
; %bb.1611:
	s_andn2_saveexec_b64 s[8:9], s[4:5]
; %bb.1612:
	v_mov_b32_e32 v4, 0
	v_or_b32_e32 v5, 0x10000, v8
	v_cmp_eq_u32_sdwa s[4:5], v8, v4 src0_sel:WORD_0 src1_sel:DWORD
	v_cndmask_b32_e64 v13, v5, v8, s[4:5]
; %bb.1613:
	s_or_b64 exec, exec, s[8:9]
	v_lshlrev_b32_e32 v4, 1, v10
	v_add_co_u32_e64 v4, s[4:5], v11, v4
	v_addc_co_u32_e64 v5, s[4:5], 0, v12, s[4:5]
	s_mov_b32 s4, 0x7f800000
	v_and_b32_e32 v8, 0x7f800000, v9
	v_cmp_ne_u32_e64 s[4:5], s4, v8
	flat_store_short_d16_hi v[4:5], v13
                                        ; implicit-def: $vgpr8
	s_and_saveexec_b64 s[8:9], s[4:5]
	s_xor_b64 s[4:5], exec, s[8:9]
; %bb.1614:
	v_bfe_u32 v8, v9, 16, 1
	s_movk_i32 s8, 0x7fff
	v_add3_u32 v8, v9, v8, s8
; %bb.1615:
	s_andn2_saveexec_b64 s[8:9], s[4:5]
; %bb.1616:
	v_mov_b32_e32 v8, 0
	v_or_b32_e32 v13, 0x10000, v9
	v_cmp_eq_u32_sdwa s[4:5], v9, v8 src0_sel:WORD_0 src1_sel:DWORD
	v_cndmask_b32_e64 v8, v13, v9, s[4:5]
; %bb.1617:
	s_or_b64 exec, exec, s[8:9]
	flat_store_short_d16_hi v[4:5], v8 offset:32
	s_mov_b32 s4, 0x7f800000
	v_and_b32_e32 v8, 0x7f800000, v2
	v_cmp_ne_u32_e64 s[4:5], s4, v8
                                        ; implicit-def: $vgpr8
	s_and_saveexec_b64 s[8:9], s[4:5]
	s_xor_b64 s[4:5], exec, s[8:9]
; %bb.1618:
	v_bfe_u32 v8, v2, 16, 1
	s_movk_i32 s8, 0x7fff
	v_add3_u32 v8, v2, v8, s8
; %bb.1619:
	s_andn2_saveexec_b64 s[8:9], s[4:5]
; %bb.1620:
	v_mov_b32_e32 v8, 0
	v_or_b32_e32 v9, 0x10000, v2
	v_cmp_eq_u32_sdwa s[4:5], v2, v8 src0_sel:WORD_0 src1_sel:DWORD
	v_cndmask_b32_e64 v8, v9, v2, s[4:5]
; %bb.1621:
	s_or_b64 exec, exec, s[8:9]
	s_mov_b32 s4, 0x7f800000
	v_and_b32_e32 v2, 0x7f800000, v3
	v_cmp_ne_u32_e64 s[4:5], s4, v2
	flat_store_short_d16_hi v[4:5], v8 offset:64
                                        ; implicit-def: $vgpr2
	s_and_saveexec_b64 s[8:9], s[4:5]
	s_xor_b64 s[4:5], exec, s[8:9]
; %bb.1622:
	v_bfe_u32 v2, v3, 16, 1
	s_movk_i32 s8, 0x7fff
	v_add3_u32 v2, v3, v2, s8
; %bb.1623:
	s_andn2_saveexec_b64 s[8:9], s[4:5]
; %bb.1624:
	v_mov_b32_e32 v2, 0
	v_or_b32_e32 v8, 0x10000, v3
	v_cmp_eq_u32_sdwa s[4:5], v3, v2 src0_sel:WORD_0 src1_sel:DWORD
	v_cndmask_b32_e64 v2, v8, v3, s[4:5]
; %bb.1625:
	s_or_b64 exec, exec, s[8:9]
	flat_store_short_d16_hi v[4:5], v2 offset:96
	s_mov_b32 s4, 0x7f800000
	v_and_b32_e32 v2, 0x7f800000, v0
	v_cmp_ne_u32_e64 s[4:5], s4, v2
                                        ; implicit-def: $vgpr2
	s_and_saveexec_b64 s[8:9], s[4:5]
	s_xor_b64 s[4:5], exec, s[8:9]
; %bb.1626:
	v_bfe_u32 v2, v0, 16, 1
	s_movk_i32 s8, 0x7fff
	v_add3_u32 v2, v0, v2, s8
; %bb.1627:
	s_andn2_saveexec_b64 s[8:9], s[4:5]
; %bb.1628:
	v_mov_b32_e32 v2, 0
	v_or_b32_e32 v3, 0x10000, v0
	v_cmp_eq_u32_sdwa s[4:5], v0, v2 src0_sel:WORD_0 src1_sel:DWORD
	v_cndmask_b32_e64 v2, v3, v0, s[4:5]
; %bb.1629:
	s_or_b64 exec, exec, s[8:9]
	s_mov_b32 s4, 0x7f800000
	v_and_b32_e32 v0, 0x7f800000, v1
	v_cmp_ne_u32_e64 s[4:5], s4, v0
	flat_store_short_d16_hi v[4:5], v2 offset:128
                                        ; implicit-def: $vgpr0
	s_and_saveexec_b64 s[8:9], s[4:5]
	s_xor_b64 s[4:5], exec, s[8:9]
; %bb.1630:
	v_bfe_u32 v0, v1, 16, 1
	s_movk_i32 s8, 0x7fff
	v_add3_u32 v0, v1, v0, s8
; %bb.1631:
	s_andn2_saveexec_b64 s[8:9], s[4:5]
; %bb.1632:
	v_mov_b32_e32 v0, 0
	v_or_b32_e32 v2, 0x10000, v1
	v_cmp_eq_u32_sdwa s[4:5], v1, v0 src0_sel:WORD_0 src1_sel:DWORD
	v_cndmask_b32_e64 v0, v2, v1, s[4:5]
; %bb.1633:
	s_or_b64 exec, exec, s[8:9]
	flat_store_short_d16_hi v[4:5], v0 offset:160
	s_mov_b32 s4, 0x7f800000
	v_and_b32_e32 v0, 0x7f800000, v6
	v_cmp_ne_u32_e64 s[4:5], s4, v0
                                        ; implicit-def: $vgpr0
	s_and_saveexec_b64 s[8:9], s[4:5]
	s_xor_b64 s[4:5], exec, s[8:9]
; %bb.1634:
	v_bfe_u32 v0, v6, 16, 1
	s_movk_i32 s8, 0x7fff
	v_add3_u32 v0, v6, v0, s8
; %bb.1635:
	s_andn2_saveexec_b64 s[8:9], s[4:5]
; %bb.1636:
	v_mov_b32_e32 v0, 0
	v_or_b32_e32 v1, 0x10000, v6
	v_cmp_eq_u32_sdwa s[4:5], v6, v0 src0_sel:WORD_0 src1_sel:DWORD
	v_cndmask_b32_e64 v0, v1, v6, s[4:5]
; %bb.1637:
	s_or_b64 exec, exec, s[8:9]
	flat_store_short_d16_hi v[4:5], v0 offset:192
.LBB399_1638:
	s_or_b64 exec, exec, s[6:7]
	v_or_b32_e32 v0, 0x70, v10
	s_movk_i32 s4, 0x78
	v_cmp_gt_u32_e64 s[4:5], s4, v0
	s_and_b64 s[4:5], vcc, s[4:5]
	s_and_b64 exec, exec, s[4:5]
	s_cbranch_execz .LBB399_1644
; %bb.1639:
	s_mov_b32 s4, 0x7f800000
	v_and_b32_e32 v0, 0x7f800000, v7
	v_cmp_ne_u32_e32 vcc, s4, v0
                                        ; implicit-def: $vgpr8
	s_and_saveexec_b64 s[4:5], vcc
	s_xor_b64 s[4:5], exec, s[4:5]
; %bb.1640:
	v_bfe_u32 v0, v7, 16, 1
	s_movk_i32 s6, 0x7fff
	v_add3_u32 v8, v7, v0, s6
                                        ; implicit-def: $vgpr0_vgpr1_vgpr2_vgpr3_vgpr4_vgpr5_vgpr6_vgpr7
; %bb.1641:
	s_andn2_saveexec_b64 s[4:5], s[4:5]
; %bb.1642:
	v_mov_b32_e32 v0, 0
	v_or_b32_e32 v1, 0x10000, v7
	v_cmp_eq_u32_sdwa vcc, v7, v0 src0_sel:WORD_0 src1_sel:DWORD
	v_cndmask_b32_e32 v8, v1, v7, vcc
; %bb.1643:
	s_or_b64 exec, exec, s[4:5]
	v_lshlrev_b32_e32 v0, 1, v10
	v_add_co_u32_e32 v0, vcc, v11, v0
	v_addc_co_u32_e32 v1, vcc, 0, v12, vcc
	flat_store_short_d16_hi v[0:1], v8 offset:224
.LBB399_1644:
	s_or_b64 exec, exec, s[16:17]
	buffer_load_dword a63, off, s[0:3], s32 ; 4-byte Folded Reload
	buffer_load_dword a62, off, s[0:3], s32 offset:4 ; 4-byte Folded Reload
	buffer_load_dword a61, off, s[0:3], s32 offset:8 ; 4-byte Folded Reload
	;; [unrolled: 1-line block ×46, first 2 shown]
	v_readlane_b32 s30, v63, 7
	v_readlane_b32 s31, v63, 8
	;; [unrolled: 1-line block ×9, first 2 shown]
	s_or_saveexec_b64 s[4:5], -1
	buffer_load_dword v63, off, s[0:3], s32 offset:356 ; 4-byte Folded Reload
	s_mov_b64 exec, s[4:5]
	s_waitcnt vmcnt(0) lgkmcnt(0)
	s_setpc_b64 s[30:31]
.LBB399_1645:
	s_ashr_i32 s19, s18, 31
	s_lshl_b64 s[12:13], s[18:19], 2
	s_getpc_b64 s[22:23]
	s_add_u32 s22, s22, llvm.amdgcn.dynlds.offset.table@rel32@lo+4
	s_addc_u32 s23, s23, llvm.amdgcn.dynlds.offset.table@rel32@hi+12
	s_add_u32 s12, s12, s22
	s_addc_u32 s13, s13, s23
	s_load_dword s9, s[12:13], 0x0
	s_waitcnt lgkmcnt(0)
	v_lshl_add_u32 v4, v10, 2, s9
	ds_read_b32 v4, v4
	s_waitcnt lgkmcnt(0)
	v_add_f32_e32 v8, v8, v4
	s_or_b64 exec, exec, s[6:7]
	s_and_saveexec_b64 s[6:7], s[4:5]
	s_cbranch_execz .LBB399_1598
.LBB399_1646:
	s_ashr_i32 s19, s18, 31
	s_lshl_b64 s[12:13], s[18:19], 2
	s_getpc_b64 s[22:23]
	s_add_u32 s22, s22, llvm.amdgcn.dynlds.offset.table@rel32@lo+4
	s_addc_u32 s23, s23, llvm.amdgcn.dynlds.offset.table@rel32@hi+12
	s_add_u32 s12, s12, s22
	s_addc_u32 s13, s13, s23
	s_load_dword s9, s[12:13], 0x0
	s_waitcnt lgkmcnt(0)
	v_lshl_add_u32 v4, v10, 2, s9
	ds_read_b32 v4, v4 offset:64
	s_waitcnt lgkmcnt(0)
	v_add_f32_e32 v9, v9, v4
	s_or_b64 exec, exec, s[6:7]
	s_and_saveexec_b64 s[6:7], s[4:5]
	s_cbranch_execz .LBB399_1599
.LBB399_1647:
	s_ashr_i32 s19, s18, 31
	s_lshl_b64 s[12:13], s[18:19], 2
	s_getpc_b64 s[22:23]
	s_add_u32 s22, s22, llvm.amdgcn.dynlds.offset.table@rel32@lo+4
	s_addc_u32 s23, s23, llvm.amdgcn.dynlds.offset.table@rel32@hi+12
	s_add_u32 s12, s12, s22
	s_addc_u32 s13, s13, s23
	s_load_dword s9, s[12:13], 0x0
	s_waitcnt lgkmcnt(0)
	v_lshl_add_u32 v4, v10, 2, s9
	ds_read_b32 v4, v4 offset:128
	s_waitcnt lgkmcnt(0)
	v_add_f32_e32 v2, v2, v4
	s_or_b64 exec, exec, s[6:7]
	s_and_saveexec_b64 s[6:7], s[4:5]
	s_cbranch_execz .LBB399_1600
.LBB399_1648:
	s_ashr_i32 s19, s18, 31
	s_lshl_b64 s[12:13], s[18:19], 2
	s_getpc_b64 s[22:23]
	s_add_u32 s22, s22, llvm.amdgcn.dynlds.offset.table@rel32@lo+4
	s_addc_u32 s23, s23, llvm.amdgcn.dynlds.offset.table@rel32@hi+12
	s_add_u32 s12, s12, s22
	s_addc_u32 s13, s13, s23
	s_load_dword s9, s[12:13], 0x0
	s_waitcnt lgkmcnt(0)
	v_lshl_add_u32 v4, v10, 2, s9
	ds_read_b32 v4, v4 offset:192
	s_waitcnt lgkmcnt(0)
	v_add_f32_e32 v3, v3, v4
	s_or_b64 exec, exec, s[6:7]
	s_and_saveexec_b64 s[6:7], s[4:5]
	s_cbranch_execz .LBB399_1601
.LBB399_1649:
	s_ashr_i32 s19, s18, 31
	s_lshl_b64 s[12:13], s[18:19], 2
	s_getpc_b64 s[22:23]
	s_add_u32 s22, s22, llvm.amdgcn.dynlds.offset.table@rel32@lo+4
	s_addc_u32 s23, s23, llvm.amdgcn.dynlds.offset.table@rel32@hi+12
	s_add_u32 s12, s12, s22
	s_addc_u32 s13, s13, s23
	s_load_dword s9, s[12:13], 0x0
	s_waitcnt lgkmcnt(0)
	v_lshl_add_u32 v4, v10, 2, s9
	ds_read_b32 v4, v4 offset:256
	s_waitcnt lgkmcnt(0)
	v_add_f32_e32 v0, v0, v4
	s_or_b64 exec, exec, s[6:7]
	s_and_saveexec_b64 s[6:7], s[4:5]
	s_cbranch_execz .LBB399_1602
.LBB399_1650:
	s_ashr_i32 s19, s18, 31
	s_lshl_b64 s[12:13], s[18:19], 2
	s_getpc_b64 s[22:23]
	s_add_u32 s22, s22, llvm.amdgcn.dynlds.offset.table@rel32@lo+4
	s_addc_u32 s23, s23, llvm.amdgcn.dynlds.offset.table@rel32@hi+12
	s_add_u32 s12, s12, s22
	s_addc_u32 s13, s13, s23
	s_load_dword s9, s[12:13], 0x0
	s_waitcnt lgkmcnt(0)
	v_lshl_add_u32 v4, v10, 2, s9
	ds_read_b32 v4, v4 offset:320
	s_waitcnt lgkmcnt(0)
	v_add_f32_e32 v1, v1, v4
	s_or_b64 exec, exec, s[6:7]
	s_and_saveexec_b64 s[6:7], s[4:5]
	s_cbranch_execnz .LBB399_1603
	s_branch .LBB399_1604
.Lfunc_end399:
	.size	_ZN4vllm22paged_attention_kernelI14__hip_bfloat16hLi120ELi32ELi128ELNS_18Fp8KVCacheDataTypeE1ELb0ELi512EEEvPfS3_PT_PKS4_PKT0_SA_ifPKiSC_iPKfiiiSE_SE_iiiii, .Lfunc_end399-_ZN4vllm22paged_attention_kernelI14__hip_bfloat16hLi120ELi32ELi128ELNS_18Fp8KVCacheDataTypeE1ELb0ELi512EEEvPfS3_PT_PKS4_PKT0_SA_ifPKiSC_iPKfiiiSE_SE_iiiii
                                        ; -- End function
	.section	.AMDGPU.csdata,"",@progbits
; Function info:
; codeLenInByte = 50992
; NumSgprs: 45
; NumVgprs: 64
; NumAgprs: 64
; TotalNumVgprs: 128
; ScratchSize: 364
; MemoryBound: 0
	.section	.text._ZN4vllm25paged_attention_v2_kernelI14__hip_bfloat16hLi120ELi32ELi128ELNS_18Fp8KVCacheDataTypeE1ELb0ELi512EEEvPfS3_PT_PKS4_PKT0_SA_ifPKiSC_iPKfiiiSE_SE_iiiii,"axG",@progbits,_ZN4vllm25paged_attention_v2_kernelI14__hip_bfloat16hLi120ELi32ELi128ELNS_18Fp8KVCacheDataTypeE1ELb0ELi512EEEvPfS3_PT_PKS4_PKT0_SA_ifPKiSC_iPKfiiiSE_SE_iiiii,comdat
	.protected	_ZN4vllm25paged_attention_v2_kernelI14__hip_bfloat16hLi120ELi32ELi128ELNS_18Fp8KVCacheDataTypeE1ELb0ELi512EEEvPfS3_PT_PKS4_PKT0_SA_ifPKiSC_iPKfiiiSE_SE_iiiii ; -- Begin function _ZN4vllm25paged_attention_v2_kernelI14__hip_bfloat16hLi120ELi32ELi128ELNS_18Fp8KVCacheDataTypeE1ELb0ELi512EEEvPfS3_PT_PKS4_PKT0_SA_ifPKiSC_iPKfiiiSE_SE_iiiii
	.globl	_ZN4vllm25paged_attention_v2_kernelI14__hip_bfloat16hLi120ELi32ELi128ELNS_18Fp8KVCacheDataTypeE1ELb0ELi512EEEvPfS3_PT_PKS4_PKT0_SA_ifPKiSC_iPKfiiiSE_SE_iiiii
	.p2align	8
	.type	_ZN4vllm25paged_attention_v2_kernelI14__hip_bfloat16hLi120ELi32ELi128ELNS_18Fp8KVCacheDataTypeE1ELb0ELi512EEEvPfS3_PT_PKS4_PKT0_SA_ifPKiSC_iPKfiiiSE_SE_iiiii,@function
_ZN4vllm25paged_attention_v2_kernelI14__hip_bfloat16hLi120ELi32ELi128ELNS_18Fp8KVCacheDataTypeE1ELb0ELi512EEEvPfS3_PT_PKS4_PKT0_SA_ifPKiSC_iPKfiiiSE_SE_iiiii: ; @_ZN4vllm25paged_attention_v2_kernelI14__hip_bfloat16hLi120ELi32ELi128ELNS_18Fp8KVCacheDataTypeE1ELb0ELi512EEEvPfS3_PT_PKS4_PKT0_SA_ifPKiSC_iPKfiiiSE_SE_iiiii
; %bb.0:
	s_add_u32 flat_scratch_lo, s6, s11
	s_addc_u32 flat_scratch_hi, s7, 0
	s_add_u32 s0, s0, s11
	s_load_dwordx8 s[24:31], s[4:5], 0x0
	s_load_dwordx8 s[16:23], s[4:5], 0x20
	s_load_dwordx2 s[6:7], s[4:5], 0x40
	s_load_dwordx2 s[34:35], s[4:5], 0x50
	s_load_dword s11, s[4:5], 0x48
	s_load_dwordx8 s[36:43], s[4:5], 0x58
	s_addc_u32 s1, s1, 0
	s_mov_b32 s12, s8
	s_add_u32 s8, s4, 0x90
	s_mov_b32 s13, s9
	s_addc_u32 s9, s5, 0
	s_mov_b32 s14, s10
	s_mov_b32 s15, 6
	v_mov_b32_e32 v31, v0
	s_waitcnt lgkmcnt(0)
	v_mov_b32_e32 v0, s24
	v_mov_b32_e32 v1, s25
	;; [unrolled: 1-line block ×28, first 2 shown]
	s_mov_b32 s32, 0
	s_getpc_b64 s[4:5]
	s_add_u32 s4, s4, _ZN4vllm22paged_attention_kernelI14__hip_bfloat16hLi120ELi32ELi128ELNS_18Fp8KVCacheDataTypeE1ELb0ELi512EEEvPfS3_PT_PKS4_PKT0_SA_ifPKiSC_iPKfiiiSE_SE_iiiii@rel32@lo+4
	s_addc_u32 s5, s5, _ZN4vllm22paged_attention_kernelI14__hip_bfloat16hLi120ELi32ELi128ELNS_18Fp8KVCacheDataTypeE1ELb0ELi512EEEvPfS3_PT_PKS4_PKT0_SA_ifPKiSC_iPKfiiiSE_SE_iiiii@rel32@hi+12
	s_swappc_b64 s[30:31], s[4:5]
	s_endpgm
	.section	.rodata,"a",@progbits
	.p2align	6, 0x0
	.amdhsa_kernel _ZN4vllm25paged_attention_v2_kernelI14__hip_bfloat16hLi120ELi32ELi128ELNS_18Fp8KVCacheDataTypeE1ELb0ELi512EEEvPfS3_PT_PKS4_PKT0_SA_ifPKiSC_iPKfiiiSE_SE_iiiii
		.amdhsa_group_segment_fixed_size 256
		.amdhsa_private_segment_fixed_size 364
		.amdhsa_kernarg_size 400
		.amdhsa_user_sgpr_count 8
		.amdhsa_user_sgpr_private_segment_buffer 1
		.amdhsa_user_sgpr_dispatch_ptr 0
		.amdhsa_user_sgpr_queue_ptr 0
		.amdhsa_user_sgpr_kernarg_segment_ptr 1
		.amdhsa_user_sgpr_dispatch_id 0
		.amdhsa_user_sgpr_flat_scratch_init 1
		.amdhsa_user_sgpr_kernarg_preload_length 0
		.amdhsa_user_sgpr_kernarg_preload_offset 0
		.amdhsa_user_sgpr_private_segment_size 0
		.amdhsa_uses_dynamic_stack 0
		.amdhsa_system_sgpr_private_segment_wavefront_offset 1
		.amdhsa_system_sgpr_workgroup_id_x 1
		.amdhsa_system_sgpr_workgroup_id_y 1
		.amdhsa_system_sgpr_workgroup_id_z 1
		.amdhsa_system_sgpr_workgroup_info 0
		.amdhsa_system_vgpr_workitem_id 0
		.amdhsa_next_free_vgpr 128
		.amdhsa_next_free_sgpr 44
		.amdhsa_accum_offset 64
		.amdhsa_reserve_vcc 1
		.amdhsa_reserve_flat_scratch 1
		.amdhsa_float_round_mode_32 0
		.amdhsa_float_round_mode_16_64 0
		.amdhsa_float_denorm_mode_32 3
		.amdhsa_float_denorm_mode_16_64 3
		.amdhsa_dx10_clamp 1
		.amdhsa_ieee_mode 1
		.amdhsa_fp16_overflow 0
		.amdhsa_tg_split 0
		.amdhsa_exception_fp_ieee_invalid_op 0
		.amdhsa_exception_fp_denorm_src 0
		.amdhsa_exception_fp_ieee_div_zero 0
		.amdhsa_exception_fp_ieee_overflow 0
		.amdhsa_exception_fp_ieee_underflow 0
		.amdhsa_exception_fp_ieee_inexact 0
		.amdhsa_exception_int_div_zero 0
	.end_amdhsa_kernel
	.section	.text._ZN4vllm25paged_attention_v2_kernelI14__hip_bfloat16hLi120ELi32ELi128ELNS_18Fp8KVCacheDataTypeE1ELb0ELi512EEEvPfS3_PT_PKS4_PKT0_SA_ifPKiSC_iPKfiiiSE_SE_iiiii,"axG",@progbits,_ZN4vllm25paged_attention_v2_kernelI14__hip_bfloat16hLi120ELi32ELi128ELNS_18Fp8KVCacheDataTypeE1ELb0ELi512EEEvPfS3_PT_PKS4_PKT0_SA_ifPKiSC_iPKfiiiSE_SE_iiiii,comdat
.Lfunc_end400:
	.size	_ZN4vllm25paged_attention_v2_kernelI14__hip_bfloat16hLi120ELi32ELi128ELNS_18Fp8KVCacheDataTypeE1ELb0ELi512EEEvPfS3_PT_PKS4_PKT0_SA_ifPKiSC_iPKfiiiSE_SE_iiiii, .Lfunc_end400-_ZN4vllm25paged_attention_v2_kernelI14__hip_bfloat16hLi120ELi32ELi128ELNS_18Fp8KVCacheDataTypeE1ELb0ELi512EEEvPfS3_PT_PKS4_PKT0_SA_ifPKiSC_iPKfiiiSE_SE_iiiii
                                        ; -- End function
	.section	.AMDGPU.csdata,"",@progbits
; Kernel info:
; codeLenInByte = 244
; NumSgprs: 50
; NumVgprs: 64
; NumAgprs: 64
; TotalNumVgprs: 128
; ScratchSize: 364
; MemoryBound: 0
; FloatMode: 240
; IeeeMode: 1
; LDSByteSize: 256 bytes/workgroup (compile time only)
; SGPRBlocks: 6
; VGPRBlocks: 15
; NumSGPRsForWavesPerEU: 50
; NumVGPRsForWavesPerEU: 128
; AccumOffset: 64
; Occupancy: 4
; WaveLimiterHint : 1
; COMPUTE_PGM_RSRC2:SCRATCH_EN: 1
; COMPUTE_PGM_RSRC2:USER_SGPR: 8
; COMPUTE_PGM_RSRC2:TRAP_HANDLER: 0
; COMPUTE_PGM_RSRC2:TGID_X_EN: 1
; COMPUTE_PGM_RSRC2:TGID_Y_EN: 1
; COMPUTE_PGM_RSRC2:TGID_Z_EN: 1
; COMPUTE_PGM_RSRC2:TIDIG_COMP_CNT: 0
; COMPUTE_PGM_RSRC3_GFX90A:ACCUM_OFFSET: 15
; COMPUTE_PGM_RSRC3_GFX90A:TG_SPLIT: 0
	.text
	.p2align	2                               ; -- Begin function _ZN4vllm22paged_attention_kernelI14__hip_bfloat16hLi128ELi32ELi128ELNS_18Fp8KVCacheDataTypeE1ELb0ELi512EEEvPfS3_PT_PKS4_PKT0_SA_ifPKiSC_iPKfiiiSE_SE_iiiii
	.type	_ZN4vllm22paged_attention_kernelI14__hip_bfloat16hLi128ELi32ELi128ELNS_18Fp8KVCacheDataTypeE1ELb0ELi512EEEvPfS3_PT_PKS4_PKT0_SA_ifPKiSC_iPKfiiiSE_SE_iiiii,@function
_ZN4vllm22paged_attention_kernelI14__hip_bfloat16hLi128ELi32ELi128ELNS_18Fp8KVCacheDataTypeE1ELb0ELi512EEEvPfS3_PT_PKS4_PKT0_SA_ifPKiSC_iPKfiiiSE_SE_iiiii: ; @_ZN4vllm22paged_attention_kernelI14__hip_bfloat16hLi128ELi32ELi128ELNS_18Fp8KVCacheDataTypeE1ELb0ELi512EEEvPfS3_PT_PKS4_PKT0_SA_ifPKiSC_iPKfiiiSE_SE_iiiii
; %bb.0:
	s_waitcnt vmcnt(0) expcnt(0) lgkmcnt(0)
	s_or_saveexec_b64 s[4:5], -1
	buffer_store_dword v63, off, s[0:3], s32 offset:384 ; 4-byte Folded Spill
	s_mov_b64 exec, s[4:5]
	buffer_store_dword v40, off, s[0:3], s32 offset:184 ; 4-byte Folded Spill
	buffer_store_dword v41, off, s[0:3], s32 offset:180 ; 4-byte Folded Spill
	;; [unrolled: 1-line block ×46, first 2 shown]
	buffer_store_dword a63, off, s[0:3], s32 ; 4-byte Folded Spill
	v_writelane_b32 v63, s34, 0
	v_writelane_b32 v63, s35, 1
	;; [unrolled: 1-line block ×9, first 2 shown]
	s_mov_b32 s18, s13
	s_ashr_i32 s19, s13, 31
	s_lshl_b64 s[4:5], s[18:19], 2
	v_mov_b32_e32 v33, v1
	v_mov_b32_e32 v34, v0
	;; [unrolled: 1-line block ×3, first 2 shown]
	v_add_co_u32_e32 v0, vcc, s4, v16
	buffer_store_dword v5, off, s[0:3], s32 offset:300 ; 4-byte Folded Spill
	buffer_store_dword v4, off, s[0:3], s32 offset:304 ; 4-byte Folded Spill
	v_addc_co_u32_e32 v1, vcc, v17, v1, vcc
	flat_load_dword v32, v[0:1]
	v_accvgpr_write_b32 a22, v24
	s_lshl_b32 s36, s14, 9
	v_accvgpr_write_b32 a23, v25
	v_accvgpr_write_b32 a4, v22
	v_mov_b32_e32 v29, v20
	v_mov_b32_e32 v28, v19
	;; [unrolled: 1-line block ×3, first 2 shown]
	v_accvgpr_write_b32 a24, v13
	v_mov_b32_e32 v35, v3
	v_mov_b32_e32 v36, v2
	s_waitcnt vmcnt(0) lgkmcnt(0)
	v_cmp_lt_i32_e32 vcc, s36, v32
	s_and_saveexec_b64 s[16:17], vcc
	s_cbranch_execz .LBB401_1676
; %bb.1:
	v_sub_u32_e32 v0, 0, v12
	v_max_i32_e32 v0, v12, v0
	v_cvt_f32_u32_e32 v1, v0
	s_load_dword s4, s[8:9], 0x10
	s_load_dword s6, s[8:9], 0x0
	v_sub_u32_e32 v3, 0, v0
	s_mov_b32 s20, s15
	v_rcp_iflag_f32_e32 v1, v1
	s_waitcnt lgkmcnt(0)
	s_lshr_b32 s4, s4, 16
	s_cmp_lg_u32 s4, 0
	s_cselect_b64 s[4:5], -1, 0
	v_mul_f32_e32 v1, 0x4f7ffffe, v1
	v_cvt_u32_f32_e32 v1, v1
	s_cmp_lg_u64 s[4:5], 0
	s_addc_u32 s19, s6, 0
	s_abs_i32 s4, s19
	v_mul_lo_u32 v3, v3, v1
	v_mul_hi_u32 v3, v1, v3
	v_add_u32_e32 v1, v1, v3
	v_mul_hi_u32 v1, s4, v1
	v_mul_lo_u32 v3, v1, v0
	v_sub_u32_e32 v3, s4, v3
	v_add_u32_e32 v4, 1, v1
	v_cmp_ge_u32_e32 vcc, v3, v0
	v_cndmask_b32_e32 v1, v1, v4, vcc
	v_sub_u32_e32 v4, v3, v0
	v_cndmask_b32_e32 v3, v3, v4, vcc
	v_xor_b32_e32 v2, s19, v12
	v_add_u32_e32 v4, 1, v1
	v_cmp_ge_u32_e32 vcc, v3, v0
	v_ashrrev_i32_e32 v2, 31, v2
	v_cndmask_b32_e32 v0, v1, v4, vcc
	v_xor_b32_e32 v0, v0, v2
	v_sub_u32_e32 v0, v0, v2
	v_sub_u32_e32 v1, 0, v0
	v_max_i32_e32 v1, v0, v1
	v_cvt_f32_u32_e32 v2, v1
	v_sub_u32_e32 v3, 0, v1
	s_abs_i32 s6, s12
	v_cmp_ne_u64_e32 vcc, 0, v[28:29]
	v_rcp_iflag_f32_e32 v2, v2
	v_mul_f32_e32 v2, 0x4f7ffffe, v2
	v_cvt_u32_f32_e32 v2, v2
	v_mul_lo_u32 v3, v3, v2
	v_mul_hi_u32 v3, v2, v3
	v_add_u32_e32 v2, v2, v3
	v_mad_u64_u32 v[16:17], s[4:5], s6, v2, 0
	v_mov_b32_e32 v2, 0
	buffer_store_dword v2, off, s[0:3], s32 offset:292 ; 4-byte Folded Spill
	s_and_saveexec_b64 s[4:5], vcc
	s_cbranch_execz .LBB401_3
; %bb.2:
	s_ashr_i32 s13, s12, 31
	s_lshl_b64 s[10:11], s[12:13], 2
	v_mov_b32_e32 v3, s11
	v_add_co_u32_e32 v2, vcc, s10, v28
	v_addc_co_u32_e32 v3, vcc, v29, v3, vcc
	flat_load_dword v2, v[2:3]
	s_waitcnt vmcnt(0) lgkmcnt(0)
	buffer_store_dword v2, off, s[0:3], s32 offset:292 ; 4-byte Folded Spill
.LBB401_3:
	s_or_b64 exec, exec, s[4:5]
	v_and_b32_e32 v14, 0x3ff, v31
	s_ashr_i32 s7, s12, 31
	v_ashrrev_i32_e32 v2, 31, v0
	v_and_b32_e32 v0, 1, v14
	s_lshl_b32 s22, s12, 7
	v_cmp_gt_u32_e32 vcc, 32, v14
	v_lshlrev_b32_e32 v31, 3, v14
	s_and_saveexec_b64 s[4:5], vcc
	s_cbranch_execz .LBB401_5
; %bb.4:
	v_mul_lo_u32 v4, s18, v21
	v_ashrrev_i32_e32 v5, 31, v4
	v_lshlrev_b64 v[4:5], 1, v[4:5]
	v_add_co_u32_e32 v3, vcc, v6, v4
	s_ashr_i32 s23, s22, 31
	v_addc_co_u32_e32 v4, vcc, v7, v5, vcc
	s_lshl_b64 s[10:11], s[22:23], 1
	v_mov_b32_e32 v5, s11
	v_add_co_u32_e32 v3, vcc, s10, v3
	v_addc_co_u32_e32 v5, vcc, v4, v5, vcc
	v_add_co_u32_e32 v4, vcc, v3, v31
	v_addc_co_u32_e32 v5, vcc, 0, v5, vcc
	flat_load_dwordx2 v[4:5], v[4:5]
	v_lshlrev_b32_e32 v3, 2, v14
	v_and_b32_e32 v3, 0xff8, v3
	v_lshl_add_u32 v3, v0, 7, v3
	s_waitcnt vmcnt(0) lgkmcnt(0)
	ds_write_b64 v3, v[4:5]
.LBB401_5:
	s_or_b64 exec, exec, s[4:5]
	v_add_u32_e32 v3, 31, v32
	v_ashrrev_i32_e32 v4, 31, v3
	v_lshrrev_b32_e32 v4, 27, v4
	v_add_u32_e32 v3, v3, v4
	v_ashrrev_i32_e32 v38, 5, v3
	v_mul_lo_u32 v3, v17, v1
	v_sub_u32_e32 v3, s6, v3
	v_add_u32_e32 v4, 1, v17
	v_cmp_ge_u32_e32 vcc, v3, v1
	v_sub_u32_e32 v5, v3, v1
	v_cndmask_b32_e32 v4, v17, v4, vcc
	v_cndmask_b32_e32 v3, v3, v5, vcc
	s_lshl_b32 s15, s14, 4
	v_add_u32_e32 v5, 1, v4
	v_cmp_ge_u32_e32 vcc, v3, v1
	s_add_i32 s4, s15, 16
	v_lshrrev_b32_e32 v37, 6, v14
	v_xor_b32_e32 v2, s7, v2
	v_cndmask_b32_e32 v1, v4, v5, vcc
	v_min_i32_e32 v12, s4, v38
	v_xor_b32_e32 v1, v1, v2
	v_mul_lo_u32 v6, s18, v18
	v_or_b32_e32 v16, s15, v37
	v_sub_u32_e32 v2, v1, v2
	v_ashrrev_i32_e32 v7, 31, v6
	v_cmp_lt_i32_e64 s[4:5], v16, v12
	v_mov_b32_e32 v4, v16
	v_cmp_ge_i32_e32 vcc, v16, v12
	v_mbcnt_lo_u32_b32 v1, -1, 0
	s_waitcnt lgkmcnt(0)
	s_barrier
	buffer_store_dword v12, off, s[0:3], s32 offset:188 ; 4-byte Folded Spill
                                        ; implicit-def: $sgpr21
                                        ; implicit-def: $vgpr12
                                        ; implicit-def: $vgpr18
	s_and_saveexec_b64 s[6:7], vcc
	s_xor_b64 s[6:7], exec, s[6:7]
; %bb.6:
	v_mbcnt_hi_u32_b32 v12, -1, v1
	v_and_b32_e32 v0, 64, v12
	v_add_u32_e32 v18, 64, v0
	s_mov_b32 s21, 0xff7fffff
                                        ; implicit-def: $vgpr0
                                        ; kill: killed $vgpr0
                                        ; implicit-def: $agpr24
                                        ; implicit-def: $agpr22
                                        ; implicit-def: $vgpr8
                                        ; implicit-def: $vgpr9
                                        ; implicit-def: $vgpr0
                                        ; implicit-def: $vgpr1
; %bb.7:
	s_or_saveexec_b64 s[10:11], s[6:7]
	s_load_dword s23, s[8:9], 0x14
	s_load_dword s13, s[8:9], 0x8
	v_ashrrev_i32_e32 v5, 31, v4
	v_mul_lo_u32 v39, v2, v23
	v_accvgpr_write_b32 a41, v5
	v_mov_b32_e32 v13, s21
	v_accvgpr_write_b32 a40, v4
	v_ashrrev_i32_e32 v50, 31, v39
	v_lshlrev_b64 v[48:49], 2, v[6:7]
	buffer_store_dword v14, off, s[0:3], s32 offset:296 ; 4-byte Folded Spill
	s_xor_b64 exec, exec, s[10:11]
	s_cbranch_execz .LBB401_653
; %bb.8:
	buffer_store_dword v38, off, s[0:3], s32 offset:308 ; 4-byte Folded Spill
	buffer_store_dword v31, off, s[0:3], s32 offset:312 ; 4-byte Folded Spill
	;; [unrolled: 1-line block ×9, first 2 shown]
	s_nop 0
	buffer_store_dword v27, off, s[0:3], s32 offset:372 ; 4-byte Folded Spill
	v_lshlrev_b32_e32 v6, 7, v0
	ds_read_b128 v[2:5], v6
	ds_read_b128 v[26:29], v6 offset:16
	ds_read_b128 v[18:21], v6 offset:32
	;; [unrolled: 1-line block ×3, first 2 shown]
	s_ashr_i32 s21, s20, 31
	s_waitcnt lgkmcnt(0)
	v_lshlrev_b32_e32 v7, 16, v2
	v_and_b32_e32 v2, 0xffff0000, v2
	buffer_store_dword v2, off, s[0:3], s32 offset:200 ; 4-byte Folded Spill
	v_lshlrev_b32_e32 v2, 16, v3
	buffer_store_dword v2, off, s[0:3], s32 offset:204 ; 4-byte Folded Spill
	v_and_b32_e32 v2, 0xffff0000, v3
	buffer_store_dword v2, off, s[0:3], s32 offset:208 ; 4-byte Folded Spill
	v_lshlrev_b32_e32 v2, 16, v4
	buffer_store_dword v2, off, s[0:3], s32 offset:212 ; 4-byte Folded Spill
	;; [unrolled: 4-line block ×11, first 2 shown]
	v_and_b32_e32 v2, 0xffff0000, v21
	buffer_store_dword v2, off, s[0:3], s32 offset:288 ; 4-byte Folded Spill
	v_lshlrev_b32_e32 v2, 16, v22
	v_accvgpr_write_b32 a51, v2
	v_and_b32_e32 v2, 0xffff0000, v22
	v_accvgpr_write_b32 a52, v2
	v_lshlrev_b32_e32 v2, 16, v23
	v_accvgpr_write_b32 a53, v2
	v_and_b32_e32 v2, 0xffff0000, v23
	v_accvgpr_write_b32 a54, v2
	v_lshlrev_b32_e32 v2, 16, v24
	v_accvgpr_write_b32 a55, v2
	ds_read_b128 v[2:5], v6 offset:64
	ds_read_b128 v[18:21], v6 offset:80
	buffer_store_dword v7, off, s[0:3], s32 offset:196 ; 4-byte Folded Spill
	v_and_b32_e32 v7, 0xffff0000, v24
	v_accvgpr_write_b32 a56, v7
	v_lshlrev_b32_e32 v7, 16, v25
	v_accvgpr_write_b32 a57, v7
	v_and_b32_e32 v7, 0xffff0000, v25
	v_accvgpr_write_b32 a58, v7
	s_waitcnt lgkmcnt(1)
	v_lshlrev_b32_e32 v7, 16, v2
	v_and_b32_e32 v2, 0xffff0000, v2
	v_accvgpr_write_b32 a60, v2
	v_lshlrev_b32_e32 v2, 16, v3
	v_accvgpr_write_b32 a61, v2
	v_and_b32_e32 v2, 0xffff0000, v3
	v_accvgpr_write_b32 a62, v2
	v_lshlrev_b32_e32 v2, 16, v4
	v_accvgpr_write_b32 a63, v2
	;; [unrolled: 4-line block ×3, first 2 shown]
	v_and_b32_e32 v2, 0xffff0000, v5
	v_accvgpr_write_b32 a20, v2
	s_waitcnt lgkmcnt(0)
	v_lshlrev_b32_e32 v2, 16, v18
	v_accvgpr_write_b32 a21, v2
	v_and_b32_e32 v2, 0xffff0000, v18
	v_accvgpr_write_b32 a18, v2
	v_lshlrev_b32_e32 v2, 16, v19
	v_accvgpr_write_b32 a19, v2
	v_and_b32_e32 v2, 0xffff0000, v19
	v_accvgpr_write_b32 a26, v2
	;; [unrolled: 4-line block ×4, first 2 shown]
	ds_read_b128 v[2:5], v6 offset:96
	ds_read_b128 v[18:21], v6 offset:112
	v_accvgpr_write_b32 a59, v7
	buffer_store_dword v39, off, s[0:3], s32 offset:316 ; 4-byte Folded Spill
	buffer_store_dword v50, off, s[0:3], s32 offset:320 ; 4-byte Folded Spill
	s_waitcnt lgkmcnt(1)
	v_lshlrev_b32_e32 v6, 16, v2
	v_and_b32_e32 v2, 0xffff0000, v2
	v_accvgpr_write_b32 a13, v2
	v_lshlrev_b32_e32 v2, 16, v3
	v_accvgpr_write_b32 a14, v2
	v_and_b32_e32 v2, 0xffff0000, v3
	v_accvgpr_write_b32 a11, v2
	v_lshlrev_b32_e32 v2, 16, v4
	v_accvgpr_write_b32 a12, v2
	;; [unrolled: 4-line block ×3, first 2 shown]
	v_and_b32_e32 v2, 0xffff0000, v5
	v_accvgpr_write_b32 a8, v2
	s_waitcnt lgkmcnt(0)
	v_lshlrev_b32_e32 v2, 16, v18
	v_accvgpr_write_b32 a9, v2
	v_and_b32_e32 v2, 0xffff0000, v18
	v_accvgpr_write_b32 a6, v2
	v_lshlrev_b32_e32 v2, 16, v19
	v_accvgpr_write_b32 a5, v2
	v_and_b32_e32 v2, 0xffff0000, v19
	v_accvgpr_write_b32 a3, v2
	;; [unrolled: 4-line block ×4, first 2 shown]
	v_add_co_u32_e32 v2, vcc, v8, v39
	v_bfe_u32 v4, v14, 1, 5
	v_addc_co_u32_e32 v3, vcc, v9, v50, vcc
	v_lshlrev_b32_e32 v5, 4, v4
	v_add_co_u32_e32 v2, vcc, v2, v5
	v_accvgpr_write_b32 a1, v6
	v_addc_co_u32_e32 v3, vcc, 0, v3, vcc
	v_accvgpr_read_b32 v6, a40
	v_accvgpr_write_b32 a33, v3
	v_accvgpr_read_b32 v7, a41
	v_accvgpr_write_b32 a32, v2
	v_lshlrev_b64 v[2:3], 2, v[6:7]
	v_add_co_u32_e32 v2, vcc, v48, v2
	buffer_store_dword v48, off, s[0:3], s32 offset:324 ; 4-byte Folded Spill
	s_nop 0
	buffer_store_dword v49, off, s[0:3], s32 offset:328 ; 4-byte Folded Spill
	s_lshl_b64 s[8:9], s[20:21], 2
	s_getpc_b64 s[24:25]
	s_add_u32 s24, s24, llvm.amdgcn.dynlds.offset.table@rel32@lo+4
	s_addc_u32 s25, s25, llvm.amdgcn.dynlds.offset.table@rel32@hi+12
	s_add_u32 s24, s8, s24
	s_addc_u32 s25, s9, s25
	s_mov_b64 s[26:27], 0
	s_movk_i32 s21, 0x80
	s_movk_i32 s37, 0x7f
	s_mov_b32 s38, 0x7f800000
	s_movk_i32 s39, 0x7fff
	s_mov_b32 s40, 0xffffff
	v_mov_b32_e32 v62, 0
	v_bfrev_b32_e32 v39, 60
	buffer_store_dword v30, off, s[0:3], s32 offset:376 ; 4-byte Folded Spill
	buffer_store_dword v15, off, s[0:3], s32 offset:380 ; 4-byte Folded Spill
	;; [unrolled: 1-line block ×3, first 2 shown]
	v_addc_co_u32_e32 v3, vcc, v49, v3, vcc
	v_add_co_u32_e32 v18, vcc, v30, v2
	v_mbcnt_hi_u32_b32 v2, -1, v1
	v_and_b32_e32 v1, 64, v2
	v_addc_co_u32_e32 v19, vcc, v15, v3, vcc
	v_add_u32_e32 v3, 64, v1
	v_xor_b32_e32 v1, 1, v2
	v_cmp_lt_i32_e32 vcc, v1, v3
	v_cndmask_b32_e32 v1, v2, v1, vcc
	v_lshlrev_b32_e32 v1, 2, v1
	v_accvgpr_write_b32 a31, v1
	buffer_load_dword v1, off, s[0:3], s32 offset:292 ; 4-byte Folded Reload
	v_cmp_eq_u32_e32 vcc, 0, v0
	v_lshlrev_b32_e32 v0, 2, v0
	v_accvgpr_write_b32 a34, v0
	v_mov_b32_e32 v0, 0xff7fffff
	buffer_store_dword v3, off, s[0:3], s32 offset:332 ; 4-byte Folded Spill
	buffer_store_dword v2, off, s[0:3], s32 offset:336 ; 4-byte Folded Spill
	;; [unrolled: 1-line block ×3, first 2 shown]
	s_waitcnt vmcnt(3)
	v_cmp_neq_f32_e64 s[6:7], 0, v1
	v_lshlrev_b32_e32 v1, 5, v37
	v_add3_u32 v61, s36, v1, v4
	v_lshlrev_b32_e32 v1, 2, v4
	v_lshl_or_b32 v5, v37, 7, v1
	v_mov_b32_e32 v4, v6
	s_branch .LBB401_10
.LBB401_9:                              ;   in Loop: Header=BB401_10 Depth=1
	s_or_b64 exec, exec, s[28:29]
	buffer_load_dword v0, off, s[0:3], s32 offset:188 ; 4-byte Folded Reload
	v_add_co_u32_e64 v18, s[8:9], 8, v18
	v_add_u32_e32 v4, 2, v4
	v_addc_co_u32_e64 v19, s[8:9], 0, v19, s[8:9]
	v_add_u32_e32 v61, 64, v61
	v_add_u32_e32 v5, 0x100, v5
	s_waitcnt vmcnt(0)
	v_cmp_ge_i32_e64 s[8:9], v4, v0
	s_or_b64 s[26:27], s[8:9], s[26:27]
	s_andn2_b64 exec, exec, s[26:27]
	s_cbranch_execz .LBB401_652
.LBB401_10:                             ; =>This Inner Loop Header: Depth=1
	flat_load_dword v0, v[18:19]
	v_accvgpr_read_b32 v6, a32
	v_accvgpr_read_b32 v2, a4
	;; [unrolled: 1-line block ×3, first 2 shown]
	s_waitcnt vmcnt(0) lgkmcnt(0)
	v_mad_i64_i32 v[0:1], s[8:9], v0, v2, v[6:7]
	v_accvgpr_read_b32 v2, a34
	v_add_co_u32_e64 v20, s[8:9], v0, v2
	v_addc_co_u32_e64 v21, s[8:9], 0, v1, s[8:9]
	v_accvgpr_read_b32 v0, a22
	flat_load_dword v28, v[20:21]
	v_accvgpr_read_b32 v1, a23
	flat_load_dword v35, v[0:1]
	v_mov_b32_e32 v0, 0
	s_waitcnt vmcnt(0) lgkmcnt(0)
	v_cmp_ne_u16_sdwa s[8:9], v28, v62 src0_sel:BYTE_0 src1_sel:DWORD
	s_and_saveexec_b64 s[28:29], s[8:9]
	s_cbranch_execz .LBB401_16
; %bb.11:                               ;   in Loop: Header=BB401_10 Depth=1
	v_cmp_ne_u16_sdwa s[8:9], v28, s21 src0_sel:BYTE_0 src1_sel:DWORD
	v_bfrev_b32_e32 v0, 1
	s_and_saveexec_b64 s[30:31], s[8:9]
	s_cbranch_execz .LBB401_15
; %bb.12:                               ;   in Loop: Header=BB401_10 Depth=1
	v_and_b32_e32 v1, 0x7f, v28
	v_cmp_ne_u32_e64 s[8:9], s37, v1
	v_mov_b32_e32 v0, 0x7f800001
	s_and_saveexec_b64 s[34:35], s[8:9]
	s_cbranch_execz .LBB401_14
; %bb.13:                               ;   in Loop: Header=BB401_10 Depth=1
	v_and_b32_e32 v0, 7, v28
	v_ffbh_u32_e32 v2, v0
	v_min_u32_e32 v7, 32, v2
	v_subrev_u32_e32 v2, 28, v7
	v_lshlrev_b64 v[2:3], v2, v[28:29]
	v_lshrrev_b32_e32 v6, 3, v1
	v_sub_u32_e32 v3, 29, v7
	v_and_b32_e32 v2, 7, v2
	v_cmp_gt_u32_e64 s[8:9], 8, v1
	v_cndmask_b32_e64 v1, v6, v3, s[8:9]
	v_cndmask_b32_e64 v0, v0, v2, s[8:9]
	v_lshlrev_b32_e32 v2, 24, v28
	v_lshlrev_b32_e32 v0, 20, v0
	v_and_b32_e32 v2, 0x80000000, v2
	v_lshl_add_u32 v1, v1, 23, v39
	v_or3_b32 v0, v2, v1, v0
.LBB401_14:                             ;   in Loop: Header=BB401_10 Depth=1
	s_or_b64 exec, exec, s[34:35]
.LBB401_15:                             ;   in Loop: Header=BB401_10 Depth=1
	s_or_b64 exec, exec, s[30:31]
.LBB401_16:                             ;   in Loop: Header=BB401_10 Depth=1
	s_or_b64 exec, exec, s[28:29]
	v_mul_f32_e32 v0, v35, v0
	v_and_b32_e32 v1, 0x7f800000, v0
	v_cmp_ne_u32_e64 s[8:9], s38, v1
                                        ; implicit-def: $vgpr22
	s_and_saveexec_b64 s[28:29], s[8:9]
	s_xor_b64 s[8:9], exec, s[28:29]
; %bb.17:                               ;   in Loop: Header=BB401_10 Depth=1
	v_bfe_u32 v1, v0, 16, 1
	v_add3_u32 v22, v0, v1, s39
                                        ; implicit-def: $vgpr0
; %bb.18:                               ;   in Loop: Header=BB401_10 Depth=1
	s_andn2_saveexec_b64 s[28:29], s[8:9]
; %bb.19:                               ;   in Loop: Header=BB401_10 Depth=1
	v_or_b32_e32 v1, 0x10000, v0
	v_cmp_eq_u32_sdwa s[8:9], v0, v62 src0_sel:WORD_0 src1_sel:DWORD
	v_cndmask_b32_e64 v22, v1, v0, s[8:9]
; %bb.20:                               ;   in Loop: Header=BB401_10 Depth=1
	s_or_b64 exec, exec, s[28:29]
	v_lshrrev_b16_e32 v30, 8, v28
	v_cmp_ne_u16_e64 s[8:9], 0, v30
	v_mov_b32_e32 v0, 0
	s_and_saveexec_b64 s[28:29], s[8:9]
	s_cbranch_execz .LBB401_26
; %bb.21:                               ;   in Loop: Header=BB401_10 Depth=1
	v_cmp_ne_u16_e64 s[8:9], s21, v30
	v_bfrev_b32_e32 v0, 1
	s_and_saveexec_b64 s[30:31], s[8:9]
	s_cbranch_execz .LBB401_25
; %bb.22:                               ;   in Loop: Header=BB401_10 Depth=1
	v_and_b32_e32 v1, 0x7f, v30
	v_cmp_ne_u32_e64 s[8:9], s37, v1
	v_mov_b32_e32 v0, 0x7f800001
	s_and_saveexec_b64 s[34:35], s[8:9]
	s_cbranch_execz .LBB401_24
; %bb.23:                               ;   in Loop: Header=BB401_10 Depth=1
	v_and_b32_e32 v0, 7, v30
	v_ffbh_u32_e32 v2, v0
	v_min_u32_e32 v7, 32, v2
	v_subrev_u32_e32 v2, 28, v7
	v_lshlrev_b64 v[2:3], v2, v[30:31]
	v_lshrrev_b32_e32 v6, 3, v1
	v_sub_u32_e32 v3, 29, v7
	v_and_b32_e32 v2, 7, v2
	v_cmp_gt_u32_e64 s[8:9], 8, v1
	v_cndmask_b32_e64 v1, v6, v3, s[8:9]
	v_cndmask_b32_e64 v0, v0, v2, s[8:9]
	v_lshlrev_b32_e32 v2, 16, v28
	v_lshlrev_b32_e32 v0, 20, v0
	v_and_b32_e32 v2, 0x80000000, v2
	v_lshl_add_u32 v1, v1, 23, v39
	v_or3_b32 v0, v2, v1, v0
.LBB401_24:                             ;   in Loop: Header=BB401_10 Depth=1
	s_or_b64 exec, exec, s[34:35]
.LBB401_25:                             ;   in Loop: Header=BB401_10 Depth=1
	s_or_b64 exec, exec, s[30:31]
.LBB401_26:                             ;   in Loop: Header=BB401_10 Depth=1
	s_or_b64 exec, exec, s[28:29]
	v_mul_f32_e32 v0, v35, v0
	v_and_b32_e32 v1, 0x7f800000, v0
	v_cmp_ne_u32_e64 s[8:9], s38, v1
                                        ; implicit-def: $vgpr48
	s_and_saveexec_b64 s[28:29], s[8:9]
	s_xor_b64 s[8:9], exec, s[28:29]
; %bb.27:                               ;   in Loop: Header=BB401_10 Depth=1
	v_bfe_u32 v1, v0, 16, 1
	v_add3_u32 v48, v0, v1, s39
                                        ; implicit-def: $vgpr0
; %bb.28:                               ;   in Loop: Header=BB401_10 Depth=1
	s_andn2_saveexec_b64 s[28:29], s[8:9]
; %bb.29:                               ;   in Loop: Header=BB401_10 Depth=1
	v_or_b32_e32 v1, 0x10000, v0
	v_cmp_eq_u32_sdwa s[8:9], v0, v62 src0_sel:WORD_0 src1_sel:DWORD
	v_cndmask_b32_e64 v48, v1, v0, s[8:9]
; %bb.30:                               ;   in Loop: Header=BB401_10 Depth=1
	s_or_b64 exec, exec, s[28:29]
	v_lshrrev_b32_e32 v30, 16, v28
	v_cmp_ne_u16_sdwa s[8:9], v30, v62 src0_sel:BYTE_0 src1_sel:DWORD
	v_mov_b32_e32 v0, 0
	s_and_saveexec_b64 s[28:29], s[8:9]
	s_cbranch_execz .LBB401_36
; %bb.31:                               ;   in Loop: Header=BB401_10 Depth=1
	v_cmp_ne_u16_sdwa s[8:9], v30, s21 src0_sel:BYTE_0 src1_sel:DWORD
	v_bfrev_b32_e32 v0, 1
	s_and_saveexec_b64 s[30:31], s[8:9]
	s_cbranch_execz .LBB401_35
; %bb.32:                               ;   in Loop: Header=BB401_10 Depth=1
	v_bfe_u32 v1, v28, 16, 7
	v_cmp_ne_u32_e64 s[8:9], s37, v1
	v_mov_b32_e32 v0, 0x7f800001
	s_and_saveexec_b64 s[34:35], s[8:9]
	s_cbranch_execz .LBB401_34
; %bb.33:                               ;   in Loop: Header=BB401_10 Depth=1
	v_and_b32_e32 v0, 7, v30
	v_ffbh_u32_e32 v2, v0
	v_min_u32_e32 v7, 32, v2
	v_subrev_u32_e32 v2, 28, v7
	v_lshlrev_b64 v[2:3], v2, v[30:31]
	v_lshrrev_b32_e32 v6, 3, v1
	v_sub_u32_e32 v3, 29, v7
	v_and_b32_e32 v2, 7, v2
	v_cmp_gt_u32_e64 s[8:9], 8, v1
	v_cndmask_b32_e64 v1, v6, v3, s[8:9]
	v_cndmask_b32_e64 v0, v0, v2, s[8:9]
	v_lshlrev_b32_e32 v2, 24, v30
	v_lshlrev_b32_e32 v0, 20, v0
	v_and_b32_e32 v2, 0x80000000, v2
	v_lshl_add_u32 v1, v1, 23, v39
	v_or3_b32 v0, v2, v1, v0
.LBB401_34:                             ;   in Loop: Header=BB401_10 Depth=1
	s_or_b64 exec, exec, s[34:35]
.LBB401_35:                             ;   in Loop: Header=BB401_10 Depth=1
	s_or_b64 exec, exec, s[30:31]
.LBB401_36:                             ;   in Loop: Header=BB401_10 Depth=1
	s_or_b64 exec, exec, s[28:29]
	v_mul_f32_e32 v0, v35, v0
	v_and_b32_e32 v1, 0x7f800000, v0
	v_cmp_ne_u32_e64 s[8:9], s38, v1
                                        ; implicit-def: $vgpr26
	s_and_saveexec_b64 s[28:29], s[8:9]
	s_xor_b64 s[8:9], exec, s[28:29]
; %bb.37:                               ;   in Loop: Header=BB401_10 Depth=1
	v_bfe_u32 v1, v0, 16, 1
	v_add3_u32 v26, v0, v1, s39
                                        ; implicit-def: $vgpr0
; %bb.38:                               ;   in Loop: Header=BB401_10 Depth=1
	s_andn2_saveexec_b64 s[28:29], s[8:9]
; %bb.39:                               ;   in Loop: Header=BB401_10 Depth=1
	v_or_b32_e32 v1, 0x10000, v0
	v_cmp_eq_u32_sdwa s[8:9], v0, v62 src0_sel:WORD_0 src1_sel:DWORD
	v_cndmask_b32_e64 v26, v1, v0, s[8:9]
; %bb.40:                               ;   in Loop: Header=BB401_10 Depth=1
	s_or_b64 exec, exec, s[28:29]
	v_cmp_lt_u32_e64 s[8:9], s40, v28
	v_mov_b32_e32 v0, 0
	s_and_saveexec_b64 s[28:29], s[8:9]
	s_cbranch_execz .LBB401_46
; %bb.41:                               ;   in Loop: Header=BB401_10 Depth=1
	v_lshrrev_b32_e32 v30, 24, v28
	v_cmp_ne_u32_e64 s[8:9], s21, v30
	v_bfrev_b32_e32 v0, 1
	s_and_saveexec_b64 s[30:31], s[8:9]
	s_cbranch_execz .LBB401_45
; %bb.42:                               ;   in Loop: Header=BB401_10 Depth=1
	v_bfe_u32 v1, v28, 24, 7
	v_cmp_ne_u32_e64 s[8:9], s37, v1
	v_mov_b32_e32 v0, 0x7f800001
	s_and_saveexec_b64 s[34:35], s[8:9]
	s_cbranch_execz .LBB401_44
; %bb.43:                               ;   in Loop: Header=BB401_10 Depth=1
	v_and_b32_e32 v0, 7, v30
	v_ffbh_u32_e32 v2, v0
	v_min_u32_e32 v7, 32, v2
	v_subrev_u32_e32 v2, 28, v7
	v_lshlrev_b64 v[2:3], v2, v[30:31]
	v_lshrrev_b32_e32 v6, 3, v1
	v_sub_u32_e32 v3, 29, v7
	v_and_b32_e32 v2, 7, v2
	v_cmp_gt_u32_e64 s[8:9], 8, v1
	v_cndmask_b32_e64 v1, v6, v3, s[8:9]
	v_cndmask_b32_e64 v0, v0, v2, s[8:9]
	v_lshlrev_b32_e32 v2, 24, v30
	v_lshlrev_b32_e32 v0, 20, v0
	v_and_b32_e32 v2, 0x80000000, v2
	v_lshl_add_u32 v1, v1, 23, v39
	v_or3_b32 v0, v2, v1, v0
.LBB401_44:                             ;   in Loop: Header=BB401_10 Depth=1
	s_or_b64 exec, exec, s[34:35]
.LBB401_45:                             ;   in Loop: Header=BB401_10 Depth=1
	s_or_b64 exec, exec, s[30:31]
.LBB401_46:                             ;   in Loop: Header=BB401_10 Depth=1
	s_or_b64 exec, exec, s[28:29]
	v_mul_f32_e32 v0, v35, v0
	v_and_b32_e32 v1, 0x7f800000, v0
	v_cmp_ne_u32_e64 s[8:9], s38, v1
                                        ; implicit-def: $vgpr13
	s_and_saveexec_b64 s[28:29], s[8:9]
	s_xor_b64 s[8:9], exec, s[28:29]
; %bb.47:                               ;   in Loop: Header=BB401_10 Depth=1
	v_bfe_u32 v1, v0, 16, 1
	v_add3_u32 v13, v0, v1, s39
                                        ; implicit-def: $vgpr0
; %bb.48:                               ;   in Loop: Header=BB401_10 Depth=1
	s_andn2_saveexec_b64 s[28:29], s[8:9]
; %bb.49:                               ;   in Loop: Header=BB401_10 Depth=1
	v_or_b32_e32 v1, 0x10000, v0
	v_cmp_eq_u32_sdwa s[8:9], v0, v62 src0_sel:WORD_0 src1_sel:DWORD
	v_cndmask_b32_e64 v13, v1, v0, s[8:9]
; %bb.50:                               ;   in Loop: Header=BB401_10 Depth=1
	s_or_b64 exec, exec, s[28:29]
	flat_load_dword v28, v[20:21] offset:8
	v_mov_b32_e32 v0, 0
	s_waitcnt vmcnt(0) lgkmcnt(0)
	v_cmp_ne_u16_sdwa s[8:9], v28, v62 src0_sel:BYTE_0 src1_sel:DWORD
	s_and_saveexec_b64 s[28:29], s[8:9]
	s_cbranch_execz .LBB401_56
; %bb.51:                               ;   in Loop: Header=BB401_10 Depth=1
	v_cmp_ne_u16_sdwa s[8:9], v28, s21 src0_sel:BYTE_0 src1_sel:DWORD
	v_bfrev_b32_e32 v0, 1
	s_and_saveexec_b64 s[30:31], s[8:9]
	s_cbranch_execz .LBB401_55
; %bb.52:                               ;   in Loop: Header=BB401_10 Depth=1
	v_and_b32_e32 v1, 0x7f, v28
	v_cmp_ne_u32_e64 s[8:9], s37, v1
	v_mov_b32_e32 v0, 0x7f800001
	s_and_saveexec_b64 s[34:35], s[8:9]
	s_cbranch_execz .LBB401_54
; %bb.53:                               ;   in Loop: Header=BB401_10 Depth=1
	v_and_b32_e32 v0, 7, v28
	v_ffbh_u32_e32 v2, v0
	v_min_u32_e32 v7, 32, v2
	v_subrev_u32_e32 v2, 28, v7
	v_lshlrev_b64 v[2:3], v2, v[28:29]
	v_lshrrev_b32_e32 v6, 3, v1
	v_sub_u32_e32 v3, 29, v7
	v_and_b32_e32 v2, 7, v2
	v_cmp_gt_u32_e64 s[8:9], 8, v1
	v_cndmask_b32_e64 v1, v6, v3, s[8:9]
	v_cndmask_b32_e64 v0, v0, v2, s[8:9]
	v_lshlrev_b32_e32 v2, 24, v28
	v_lshlrev_b32_e32 v0, 20, v0
	v_and_b32_e32 v2, 0x80000000, v2
	v_lshl_add_u32 v1, v1, 23, v39
	v_or3_b32 v0, v2, v1, v0
.LBB401_54:                             ;   in Loop: Header=BB401_10 Depth=1
	s_or_b64 exec, exec, s[34:35]
.LBB401_55:                             ;   in Loop: Header=BB401_10 Depth=1
	s_or_b64 exec, exec, s[30:31]
.LBB401_56:                             ;   in Loop: Header=BB401_10 Depth=1
	s_or_b64 exec, exec, s[28:29]
	v_mul_f32_e32 v0, v35, v0
	v_and_b32_e32 v1, 0x7f800000, v0
	v_cmp_ne_u32_e64 s[8:9], s38, v1
                                        ; implicit-def: $vgpr23
	s_and_saveexec_b64 s[28:29], s[8:9]
	s_xor_b64 s[8:9], exec, s[28:29]
; %bb.57:                               ;   in Loop: Header=BB401_10 Depth=1
	v_bfe_u32 v1, v0, 16, 1
	v_add3_u32 v23, v0, v1, s39
                                        ; implicit-def: $vgpr0
; %bb.58:                               ;   in Loop: Header=BB401_10 Depth=1
	s_andn2_saveexec_b64 s[28:29], s[8:9]
; %bb.59:                               ;   in Loop: Header=BB401_10 Depth=1
	v_or_b32_e32 v1, 0x10000, v0
	v_cmp_eq_u32_sdwa s[8:9], v0, v62 src0_sel:WORD_0 src1_sel:DWORD
	v_cndmask_b32_e64 v23, v1, v0, s[8:9]
; %bb.60:                               ;   in Loop: Header=BB401_10 Depth=1
	s_or_b64 exec, exec, s[28:29]
	v_lshrrev_b16_e32 v30, 8, v28
	v_cmp_ne_u16_e64 s[8:9], 0, v30
	v_mov_b32_e32 v0, 0
	s_and_saveexec_b64 s[28:29], s[8:9]
	s_cbranch_execz .LBB401_66
; %bb.61:                               ;   in Loop: Header=BB401_10 Depth=1
	v_cmp_ne_u16_e64 s[8:9], s21, v30
	v_bfrev_b32_e32 v0, 1
	s_and_saveexec_b64 s[30:31], s[8:9]
	s_cbranch_execz .LBB401_65
; %bb.62:                               ;   in Loop: Header=BB401_10 Depth=1
	v_and_b32_e32 v1, 0x7f, v30
	v_cmp_ne_u32_e64 s[8:9], s37, v1
	v_mov_b32_e32 v0, 0x7f800001
	s_and_saveexec_b64 s[34:35], s[8:9]
	s_cbranch_execz .LBB401_64
; %bb.63:                               ;   in Loop: Header=BB401_10 Depth=1
	v_and_b32_e32 v0, 7, v30
	v_ffbh_u32_e32 v2, v0
	v_min_u32_e32 v7, 32, v2
	v_subrev_u32_e32 v2, 28, v7
	v_lshlrev_b64 v[2:3], v2, v[30:31]
	v_lshrrev_b32_e32 v6, 3, v1
	v_sub_u32_e32 v3, 29, v7
	v_and_b32_e32 v2, 7, v2
	v_cmp_gt_u32_e64 s[8:9], 8, v1
	v_cndmask_b32_e64 v1, v6, v3, s[8:9]
	v_cndmask_b32_e64 v0, v0, v2, s[8:9]
	v_lshlrev_b32_e32 v2, 16, v28
	v_lshlrev_b32_e32 v0, 20, v0
	v_and_b32_e32 v2, 0x80000000, v2
	v_lshl_add_u32 v1, v1, 23, v39
	v_or3_b32 v0, v2, v1, v0
.LBB401_64:                             ;   in Loop: Header=BB401_10 Depth=1
	s_or_b64 exec, exec, s[34:35]
.LBB401_65:                             ;   in Loop: Header=BB401_10 Depth=1
	s_or_b64 exec, exec, s[30:31]
.LBB401_66:                             ;   in Loop: Header=BB401_10 Depth=1
	s_or_b64 exec, exec, s[28:29]
	v_mul_f32_e32 v0, v35, v0
	v_and_b32_e32 v1, 0x7f800000, v0
	v_cmp_ne_u32_e64 s[8:9], s38, v1
                                        ; implicit-def: $vgpr49
	s_and_saveexec_b64 s[28:29], s[8:9]
	s_xor_b64 s[8:9], exec, s[28:29]
; %bb.67:                               ;   in Loop: Header=BB401_10 Depth=1
	v_bfe_u32 v1, v0, 16, 1
	v_add3_u32 v49, v0, v1, s39
                                        ; implicit-def: $vgpr0
; %bb.68:                               ;   in Loop: Header=BB401_10 Depth=1
	s_andn2_saveexec_b64 s[28:29], s[8:9]
; %bb.69:                               ;   in Loop: Header=BB401_10 Depth=1
	v_or_b32_e32 v1, 0x10000, v0
	v_cmp_eq_u32_sdwa s[8:9], v0, v62 src0_sel:WORD_0 src1_sel:DWORD
	v_cndmask_b32_e64 v49, v1, v0, s[8:9]
; %bb.70:                               ;   in Loop: Header=BB401_10 Depth=1
	s_or_b64 exec, exec, s[28:29]
	v_lshrrev_b32_e32 v30, 16, v28
	v_cmp_ne_u16_sdwa s[8:9], v30, v62 src0_sel:BYTE_0 src1_sel:DWORD
	v_mov_b32_e32 v0, 0
	s_and_saveexec_b64 s[28:29], s[8:9]
	s_cbranch_execz .LBB401_76
; %bb.71:                               ;   in Loop: Header=BB401_10 Depth=1
	v_cmp_ne_u16_sdwa s[8:9], v30, s21 src0_sel:BYTE_0 src1_sel:DWORD
	v_bfrev_b32_e32 v0, 1
	s_and_saveexec_b64 s[30:31], s[8:9]
	s_cbranch_execz .LBB401_75
; %bb.72:                               ;   in Loop: Header=BB401_10 Depth=1
	v_bfe_u32 v1, v28, 16, 7
	v_cmp_ne_u32_e64 s[8:9], s37, v1
	v_mov_b32_e32 v0, 0x7f800001
	s_and_saveexec_b64 s[34:35], s[8:9]
	s_cbranch_execz .LBB401_74
; %bb.73:                               ;   in Loop: Header=BB401_10 Depth=1
	v_and_b32_e32 v0, 7, v30
	v_ffbh_u32_e32 v2, v0
	v_min_u32_e32 v7, 32, v2
	v_subrev_u32_e32 v2, 28, v7
	v_lshlrev_b64 v[2:3], v2, v[30:31]
	v_lshrrev_b32_e32 v6, 3, v1
	v_sub_u32_e32 v3, 29, v7
	v_and_b32_e32 v2, 7, v2
	v_cmp_gt_u32_e64 s[8:9], 8, v1
	v_cndmask_b32_e64 v1, v6, v3, s[8:9]
	v_cndmask_b32_e64 v0, v0, v2, s[8:9]
	v_lshlrev_b32_e32 v2, 24, v30
	v_lshlrev_b32_e32 v0, 20, v0
	v_and_b32_e32 v2, 0x80000000, v2
	v_lshl_add_u32 v1, v1, 23, v39
	v_or3_b32 v0, v2, v1, v0
.LBB401_74:                             ;   in Loop: Header=BB401_10 Depth=1
	s_or_b64 exec, exec, s[34:35]
.LBB401_75:                             ;   in Loop: Header=BB401_10 Depth=1
	s_or_b64 exec, exec, s[30:31]
.LBB401_76:                             ;   in Loop: Header=BB401_10 Depth=1
	s_or_b64 exec, exec, s[28:29]
	v_mul_f32_e32 v0, v35, v0
	v_and_b32_e32 v1, 0x7f800000, v0
	v_cmp_ne_u32_e64 s[8:9], s38, v1
                                        ; implicit-def: $vgpr50
	s_and_saveexec_b64 s[28:29], s[8:9]
	s_xor_b64 s[8:9], exec, s[28:29]
; %bb.77:                               ;   in Loop: Header=BB401_10 Depth=1
	v_bfe_u32 v1, v0, 16, 1
	v_add3_u32 v50, v0, v1, s39
                                        ; implicit-def: $vgpr0
; %bb.78:                               ;   in Loop: Header=BB401_10 Depth=1
	s_andn2_saveexec_b64 s[28:29], s[8:9]
; %bb.79:                               ;   in Loop: Header=BB401_10 Depth=1
	v_or_b32_e32 v1, 0x10000, v0
	v_cmp_eq_u32_sdwa s[8:9], v0, v62 src0_sel:WORD_0 src1_sel:DWORD
	v_cndmask_b32_e64 v50, v1, v0, s[8:9]
; %bb.80:                               ;   in Loop: Header=BB401_10 Depth=1
	s_or_b64 exec, exec, s[28:29]
	v_cmp_lt_u32_e64 s[8:9], s40, v28
	v_mov_b32_e32 v0, 0
	s_and_saveexec_b64 s[28:29], s[8:9]
	s_cbranch_execz .LBB401_86
; %bb.81:                               ;   in Loop: Header=BB401_10 Depth=1
	v_lshrrev_b32_e32 v30, 24, v28
	v_cmp_ne_u32_e64 s[8:9], s21, v30
	v_bfrev_b32_e32 v0, 1
	s_and_saveexec_b64 s[30:31], s[8:9]
	s_cbranch_execz .LBB401_85
; %bb.82:                               ;   in Loop: Header=BB401_10 Depth=1
	v_bfe_u32 v1, v28, 24, 7
	v_cmp_ne_u32_e64 s[8:9], s37, v1
	v_mov_b32_e32 v0, 0x7f800001
	s_and_saveexec_b64 s[34:35], s[8:9]
	s_cbranch_execz .LBB401_84
; %bb.83:                               ;   in Loop: Header=BB401_10 Depth=1
	v_and_b32_e32 v0, 7, v30
	v_ffbh_u32_e32 v2, v0
	v_min_u32_e32 v7, 32, v2
	v_subrev_u32_e32 v2, 28, v7
	v_lshlrev_b64 v[2:3], v2, v[30:31]
	v_lshrrev_b32_e32 v6, 3, v1
	v_sub_u32_e32 v3, 29, v7
	v_and_b32_e32 v2, 7, v2
	v_cmp_gt_u32_e64 s[8:9], 8, v1
	v_cndmask_b32_e64 v1, v6, v3, s[8:9]
	v_cndmask_b32_e64 v0, v0, v2, s[8:9]
	v_lshlrev_b32_e32 v2, 24, v30
	v_lshlrev_b32_e32 v0, 20, v0
	v_and_b32_e32 v2, 0x80000000, v2
	v_lshl_add_u32 v1, v1, 23, v39
	v_or3_b32 v0, v2, v1, v0
.LBB401_84:                             ;   in Loop: Header=BB401_10 Depth=1
	s_or_b64 exec, exec, s[34:35]
.LBB401_85:                             ;   in Loop: Header=BB401_10 Depth=1
	s_or_b64 exec, exec, s[30:31]
.LBB401_86:                             ;   in Loop: Header=BB401_10 Depth=1
	s_or_b64 exec, exec, s[28:29]
	v_mul_f32_e32 v0, v35, v0
	v_and_b32_e32 v1, 0x7f800000, v0
	v_cmp_ne_u32_e64 s[8:9], s38, v1
                                        ; implicit-def: $vgpr51
	s_and_saveexec_b64 s[28:29], s[8:9]
	s_xor_b64 s[8:9], exec, s[28:29]
; %bb.87:                               ;   in Loop: Header=BB401_10 Depth=1
	v_bfe_u32 v1, v0, 16, 1
	v_add3_u32 v51, v0, v1, s39
                                        ; implicit-def: $vgpr0
; %bb.88:                               ;   in Loop: Header=BB401_10 Depth=1
	s_andn2_saveexec_b64 s[28:29], s[8:9]
; %bb.89:                               ;   in Loop: Header=BB401_10 Depth=1
	v_or_b32_e32 v1, 0x10000, v0
	v_cmp_eq_u32_sdwa s[8:9], v0, v62 src0_sel:WORD_0 src1_sel:DWORD
	v_cndmask_b32_e64 v51, v1, v0, s[8:9]
; %bb.90:                               ;   in Loop: Header=BB401_10 Depth=1
	s_or_b64 exec, exec, s[28:29]
	flat_load_dword v28, v[20:21] offset:512
	v_mov_b32_e32 v0, 0
	s_waitcnt vmcnt(0) lgkmcnt(0)
	v_cmp_ne_u16_sdwa s[8:9], v28, v62 src0_sel:BYTE_0 src1_sel:DWORD
	s_and_saveexec_b64 s[28:29], s[8:9]
	s_cbranch_execz .LBB401_96
; %bb.91:                               ;   in Loop: Header=BB401_10 Depth=1
	v_cmp_ne_u16_sdwa s[8:9], v28, s21 src0_sel:BYTE_0 src1_sel:DWORD
	v_bfrev_b32_e32 v0, 1
	s_and_saveexec_b64 s[30:31], s[8:9]
	s_cbranch_execz .LBB401_95
; %bb.92:                               ;   in Loop: Header=BB401_10 Depth=1
	v_and_b32_e32 v1, 0x7f, v28
	v_cmp_ne_u32_e64 s[8:9], s37, v1
	v_mov_b32_e32 v0, 0x7f800001
	s_and_saveexec_b64 s[34:35], s[8:9]
	s_cbranch_execz .LBB401_94
; %bb.93:                               ;   in Loop: Header=BB401_10 Depth=1
	v_and_b32_e32 v0, 7, v28
	v_ffbh_u32_e32 v2, v0
	v_min_u32_e32 v7, 32, v2
	v_subrev_u32_e32 v2, 28, v7
	v_lshlrev_b64 v[2:3], v2, v[28:29]
	v_lshrrev_b32_e32 v6, 3, v1
	v_sub_u32_e32 v3, 29, v7
	v_and_b32_e32 v2, 7, v2
	v_cmp_gt_u32_e64 s[8:9], 8, v1
	v_cndmask_b32_e64 v1, v6, v3, s[8:9]
	v_cndmask_b32_e64 v0, v0, v2, s[8:9]
	v_lshlrev_b32_e32 v2, 24, v28
	v_lshlrev_b32_e32 v0, 20, v0
	v_and_b32_e32 v2, 0x80000000, v2
	v_lshl_add_u32 v1, v1, 23, v39
	v_or3_b32 v0, v2, v1, v0
.LBB401_94:                             ;   in Loop: Header=BB401_10 Depth=1
	s_or_b64 exec, exec, s[34:35]
.LBB401_95:                             ;   in Loop: Header=BB401_10 Depth=1
	s_or_b64 exec, exec, s[30:31]
.LBB401_96:                             ;   in Loop: Header=BB401_10 Depth=1
	s_or_b64 exec, exec, s[28:29]
	v_mul_f32_e32 v0, v35, v0
	v_and_b32_e32 v1, 0x7f800000, v0
	v_cmp_ne_u32_e64 s[8:9], s38, v1
                                        ; implicit-def: $vgpr52
	s_and_saveexec_b64 s[28:29], s[8:9]
	s_xor_b64 s[8:9], exec, s[28:29]
; %bb.97:                               ;   in Loop: Header=BB401_10 Depth=1
	v_bfe_u32 v1, v0, 16, 1
	v_add3_u32 v52, v0, v1, s39
                                        ; implicit-def: $vgpr0
; %bb.98:                               ;   in Loop: Header=BB401_10 Depth=1
	s_andn2_saveexec_b64 s[28:29], s[8:9]
; %bb.99:                               ;   in Loop: Header=BB401_10 Depth=1
	v_or_b32_e32 v1, 0x10000, v0
	v_cmp_eq_u32_sdwa s[8:9], v0, v62 src0_sel:WORD_0 src1_sel:DWORD
	v_cndmask_b32_e64 v52, v1, v0, s[8:9]
; %bb.100:                              ;   in Loop: Header=BB401_10 Depth=1
	s_or_b64 exec, exec, s[28:29]
	v_lshrrev_b16_e32 v30, 8, v28
	v_cmp_ne_u16_e64 s[8:9], 0, v30
	v_mov_b32_e32 v0, 0
	s_and_saveexec_b64 s[28:29], s[8:9]
	s_cbranch_execz .LBB401_106
; %bb.101:                              ;   in Loop: Header=BB401_10 Depth=1
	v_cmp_ne_u16_e64 s[8:9], s21, v30
	v_bfrev_b32_e32 v0, 1
	s_and_saveexec_b64 s[30:31], s[8:9]
	s_cbranch_execz .LBB401_105
; %bb.102:                              ;   in Loop: Header=BB401_10 Depth=1
	v_and_b32_e32 v1, 0x7f, v30
	v_cmp_ne_u32_e64 s[8:9], s37, v1
	v_mov_b32_e32 v0, 0x7f800001
	s_and_saveexec_b64 s[34:35], s[8:9]
	s_cbranch_execz .LBB401_104
; %bb.103:                              ;   in Loop: Header=BB401_10 Depth=1
	v_and_b32_e32 v2, 7, v30
	v_ffbh_u32_e32 v0, v2
	v_min_u32_e32 v6, 32, v0
	v_subrev_u32_e32 v0, 28, v6
	v_lshrrev_b32_e32 v3, 3, v1
	v_cmp_gt_u32_e64 s[8:9], 8, v1
	v_lshlrev_b64 v[0:1], v0, v[30:31]
	v_sub_u32_e32 v1, 29, v6
	v_and_b32_e32 v0, 7, v0
	v_cndmask_b32_e64 v1, v3, v1, s[8:9]
	v_cndmask_b32_e64 v0, v2, v0, s[8:9]
	v_lshlrev_b32_e32 v2, 16, v28
	v_lshlrev_b32_e32 v0, 20, v0
	v_and_b32_e32 v2, 0x80000000, v2
	v_lshl_add_u32 v1, v1, 23, v39
	v_or3_b32 v0, v2, v1, v0
.LBB401_104:                            ;   in Loop: Header=BB401_10 Depth=1
	s_or_b64 exec, exec, s[34:35]
.LBB401_105:                            ;   in Loop: Header=BB401_10 Depth=1
	s_or_b64 exec, exec, s[30:31]
.LBB401_106:                            ;   in Loop: Header=BB401_10 Depth=1
	s_or_b64 exec, exec, s[28:29]
	v_mul_f32_e32 v0, v35, v0
	v_and_b32_e32 v1, 0x7f800000, v0
	v_cmp_ne_u32_e64 s[8:9], s38, v1
                                        ; implicit-def: $vgpr53
	s_and_saveexec_b64 s[28:29], s[8:9]
	s_xor_b64 s[8:9], exec, s[28:29]
; %bb.107:                              ;   in Loop: Header=BB401_10 Depth=1
	v_bfe_u32 v1, v0, 16, 1
	v_add3_u32 v53, v0, v1, s39
                                        ; implicit-def: $vgpr0
; %bb.108:                              ;   in Loop: Header=BB401_10 Depth=1
	s_andn2_saveexec_b64 s[28:29], s[8:9]
; %bb.109:                              ;   in Loop: Header=BB401_10 Depth=1
	v_or_b32_e32 v1, 0x10000, v0
	v_cmp_eq_u32_sdwa s[8:9], v0, v62 src0_sel:WORD_0 src1_sel:DWORD
	v_cndmask_b32_e64 v53, v1, v0, s[8:9]
; %bb.110:                              ;   in Loop: Header=BB401_10 Depth=1
	s_or_b64 exec, exec, s[28:29]
	v_lshrrev_b32_e32 v30, 16, v28
	v_cmp_ne_u16_sdwa s[8:9], v30, v62 src0_sel:BYTE_0 src1_sel:DWORD
	v_mov_b32_e32 v0, 0
	s_and_saveexec_b64 s[28:29], s[8:9]
	s_cbranch_execz .LBB401_116
; %bb.111:                              ;   in Loop: Header=BB401_10 Depth=1
	v_cmp_ne_u16_sdwa s[8:9], v30, s21 src0_sel:BYTE_0 src1_sel:DWORD
	v_bfrev_b32_e32 v0, 1
	s_and_saveexec_b64 s[30:31], s[8:9]
	s_cbranch_execz .LBB401_115
; %bb.112:                              ;   in Loop: Header=BB401_10 Depth=1
	v_bfe_u32 v1, v28, 16, 7
	v_cmp_ne_u32_e64 s[8:9], s37, v1
	v_mov_b32_e32 v0, 0x7f800001
	s_and_saveexec_b64 s[34:35], s[8:9]
	s_cbranch_execz .LBB401_114
; %bb.113:                              ;   in Loop: Header=BB401_10 Depth=1
	v_and_b32_e32 v2, 7, v30
	v_ffbh_u32_e32 v0, v2
	v_min_u32_e32 v6, 32, v0
	v_subrev_u32_e32 v0, 28, v6
	v_lshrrev_b32_e32 v3, 3, v1
	v_cmp_gt_u32_e64 s[8:9], 8, v1
	v_lshlrev_b64 v[0:1], v0, v[30:31]
	v_sub_u32_e32 v1, 29, v6
	v_and_b32_e32 v0, 7, v0
	v_cndmask_b32_e64 v1, v3, v1, s[8:9]
	v_cndmask_b32_e64 v0, v2, v0, s[8:9]
	v_lshlrev_b32_e32 v2, 24, v30
	v_lshlrev_b32_e32 v0, 20, v0
	v_and_b32_e32 v2, 0x80000000, v2
	v_lshl_add_u32 v1, v1, 23, v39
	v_or3_b32 v0, v2, v1, v0
.LBB401_114:                            ;   in Loop: Header=BB401_10 Depth=1
	s_or_b64 exec, exec, s[34:35]
.LBB401_115:                            ;   in Loop: Header=BB401_10 Depth=1
	s_or_b64 exec, exec, s[30:31]
.LBB401_116:                            ;   in Loop: Header=BB401_10 Depth=1
	s_or_b64 exec, exec, s[28:29]
	v_mul_f32_e32 v0, v35, v0
	v_and_b32_e32 v1, 0x7f800000, v0
	v_cmp_ne_u32_e64 s[8:9], s38, v1
                                        ; implicit-def: $vgpr16
	s_and_saveexec_b64 s[28:29], s[8:9]
	s_xor_b64 s[8:9], exec, s[28:29]
; %bb.117:                              ;   in Loop: Header=BB401_10 Depth=1
	v_bfe_u32 v1, v0, 16, 1
	v_add3_u32 v16, v0, v1, s39
                                        ; implicit-def: $vgpr0
; %bb.118:                              ;   in Loop: Header=BB401_10 Depth=1
	s_andn2_saveexec_b64 s[28:29], s[8:9]
; %bb.119:                              ;   in Loop: Header=BB401_10 Depth=1
	v_or_b32_e32 v1, 0x10000, v0
	v_cmp_eq_u32_sdwa s[8:9], v0, v62 src0_sel:WORD_0 src1_sel:DWORD
	v_cndmask_b32_e64 v16, v1, v0, s[8:9]
; %bb.120:                              ;   in Loop: Header=BB401_10 Depth=1
	s_or_b64 exec, exec, s[28:29]
	v_cmp_lt_u32_e64 s[8:9], s40, v28
	v_mov_b32_e32 v0, 0
	s_and_saveexec_b64 s[28:29], s[8:9]
	s_cbranch_execz .LBB401_126
; %bb.121:                              ;   in Loop: Header=BB401_10 Depth=1
	v_lshrrev_b32_e32 v30, 24, v28
	v_cmp_ne_u32_e64 s[8:9], s21, v30
	v_bfrev_b32_e32 v0, 1
	s_and_saveexec_b64 s[30:31], s[8:9]
	s_cbranch_execz .LBB401_125
; %bb.122:                              ;   in Loop: Header=BB401_10 Depth=1
	v_bfe_u32 v1, v28, 24, 7
	v_cmp_ne_u32_e64 s[8:9], s37, v1
	v_mov_b32_e32 v0, 0x7f800001
	s_and_saveexec_b64 s[34:35], s[8:9]
	s_cbranch_execz .LBB401_124
; %bb.123:                              ;   in Loop: Header=BB401_10 Depth=1
	v_and_b32_e32 v2, 7, v30
	v_ffbh_u32_e32 v0, v2
	v_min_u32_e32 v6, 32, v0
	v_subrev_u32_e32 v0, 28, v6
	v_lshrrev_b32_e32 v3, 3, v1
	v_cmp_gt_u32_e64 s[8:9], 8, v1
	v_lshlrev_b64 v[0:1], v0, v[30:31]
	v_sub_u32_e32 v1, 29, v6
	v_and_b32_e32 v0, 7, v0
	v_cndmask_b32_e64 v1, v3, v1, s[8:9]
	v_cndmask_b32_e64 v0, v2, v0, s[8:9]
	v_lshlrev_b32_e32 v2, 24, v30
	v_lshlrev_b32_e32 v0, 20, v0
	v_and_b32_e32 v2, 0x80000000, v2
	v_lshl_add_u32 v1, v1, 23, v39
	v_or3_b32 v0, v2, v1, v0
.LBB401_124:                            ;   in Loop: Header=BB401_10 Depth=1
	s_or_b64 exec, exec, s[34:35]
.LBB401_125:                            ;   in Loop: Header=BB401_10 Depth=1
	s_or_b64 exec, exec, s[30:31]
.LBB401_126:                            ;   in Loop: Header=BB401_10 Depth=1
	s_or_b64 exec, exec, s[28:29]
	v_mul_f32_e32 v0, v35, v0
	v_and_b32_e32 v1, 0x7f800000, v0
	v_cmp_ne_u32_e64 s[8:9], s38, v1
                                        ; implicit-def: $vgpr17
	s_and_saveexec_b64 s[28:29], s[8:9]
	s_xor_b64 s[8:9], exec, s[28:29]
; %bb.127:                              ;   in Loop: Header=BB401_10 Depth=1
	v_bfe_u32 v1, v0, 16, 1
	v_add3_u32 v17, v0, v1, s39
                                        ; implicit-def: $vgpr0
; %bb.128:                              ;   in Loop: Header=BB401_10 Depth=1
	s_andn2_saveexec_b64 s[28:29], s[8:9]
; %bb.129:                              ;   in Loop: Header=BB401_10 Depth=1
	v_or_b32_e32 v1, 0x10000, v0
	v_cmp_eq_u32_sdwa s[8:9], v0, v62 src0_sel:WORD_0 src1_sel:DWORD
	v_cndmask_b32_e64 v17, v1, v0, s[8:9]
; %bb.130:                              ;   in Loop: Header=BB401_10 Depth=1
	s_or_b64 exec, exec, s[28:29]
	flat_load_dword v28, v[20:21] offset:520
	v_mov_b32_e32 v0, 0
	s_waitcnt vmcnt(0) lgkmcnt(0)
	v_cmp_ne_u16_sdwa s[8:9], v28, v62 src0_sel:BYTE_0 src1_sel:DWORD
	s_and_saveexec_b64 s[28:29], s[8:9]
	s_cbranch_execz .LBB401_136
; %bb.131:                              ;   in Loop: Header=BB401_10 Depth=1
	v_cmp_ne_u16_sdwa s[8:9], v28, s21 src0_sel:BYTE_0 src1_sel:DWORD
	v_bfrev_b32_e32 v0, 1
	s_and_saveexec_b64 s[30:31], s[8:9]
	s_cbranch_execz .LBB401_135
; %bb.132:                              ;   in Loop: Header=BB401_10 Depth=1
	v_and_b32_e32 v1, 0x7f, v28
	v_cmp_ne_u32_e64 s[8:9], s37, v1
	v_mov_b32_e32 v0, 0x7f800001
	s_and_saveexec_b64 s[34:35], s[8:9]
	s_cbranch_execz .LBB401_134
; %bb.133:                              ;   in Loop: Header=BB401_10 Depth=1
	v_and_b32_e32 v2, 7, v28
	v_ffbh_u32_e32 v0, v2
	v_min_u32_e32 v6, 32, v0
	v_subrev_u32_e32 v0, 28, v6
	v_lshrrev_b32_e32 v3, 3, v1
	v_cmp_gt_u32_e64 s[8:9], 8, v1
	v_lshlrev_b64 v[0:1], v0, v[28:29]
	v_sub_u32_e32 v1, 29, v6
	v_and_b32_e32 v0, 7, v0
	v_cndmask_b32_e64 v1, v3, v1, s[8:9]
	v_cndmask_b32_e64 v0, v2, v0, s[8:9]
	v_lshlrev_b32_e32 v2, 24, v28
	v_lshlrev_b32_e32 v0, 20, v0
	v_and_b32_e32 v2, 0x80000000, v2
	v_lshl_add_u32 v1, v1, 23, v39
	v_or3_b32 v0, v2, v1, v0
.LBB401_134:                            ;   in Loop: Header=BB401_10 Depth=1
	s_or_b64 exec, exec, s[34:35]
.LBB401_135:                            ;   in Loop: Header=BB401_10 Depth=1
	s_or_b64 exec, exec, s[30:31]
.LBB401_136:                            ;   in Loop: Header=BB401_10 Depth=1
	s_or_b64 exec, exec, s[28:29]
	v_mul_f32_e32 v0, v35, v0
	v_and_b32_e32 v1, 0x7f800000, v0
	v_cmp_ne_u32_e64 s[8:9], s38, v1
                                        ; implicit-def: $vgpr54
	s_and_saveexec_b64 s[28:29], s[8:9]
	s_xor_b64 s[8:9], exec, s[28:29]
; %bb.137:                              ;   in Loop: Header=BB401_10 Depth=1
	v_bfe_u32 v1, v0, 16, 1
	v_add3_u32 v54, v0, v1, s39
                                        ; implicit-def: $vgpr0
; %bb.138:                              ;   in Loop: Header=BB401_10 Depth=1
	s_andn2_saveexec_b64 s[28:29], s[8:9]
; %bb.139:                              ;   in Loop: Header=BB401_10 Depth=1
	v_or_b32_e32 v1, 0x10000, v0
	v_cmp_eq_u32_sdwa s[8:9], v0, v62 src0_sel:WORD_0 src1_sel:DWORD
	v_cndmask_b32_e64 v54, v1, v0, s[8:9]
; %bb.140:                              ;   in Loop: Header=BB401_10 Depth=1
	s_or_b64 exec, exec, s[28:29]
	v_lshrrev_b16_e32 v30, 8, v28
	v_cmp_ne_u16_e64 s[8:9], 0, v30
	v_mov_b32_e32 v0, 0
	s_and_saveexec_b64 s[28:29], s[8:9]
	s_cbranch_execz .LBB401_146
; %bb.141:                              ;   in Loop: Header=BB401_10 Depth=1
	v_cmp_ne_u16_e64 s[8:9], s21, v30
	v_bfrev_b32_e32 v0, 1
	s_and_saveexec_b64 s[30:31], s[8:9]
	s_cbranch_execz .LBB401_145
; %bb.142:                              ;   in Loop: Header=BB401_10 Depth=1
	v_and_b32_e32 v1, 0x7f, v30
	v_cmp_ne_u32_e64 s[8:9], s37, v1
	v_mov_b32_e32 v0, 0x7f800001
	s_and_saveexec_b64 s[34:35], s[8:9]
	s_cbranch_execz .LBB401_144
; %bb.143:                              ;   in Loop: Header=BB401_10 Depth=1
	v_and_b32_e32 v2, 7, v30
	v_ffbh_u32_e32 v0, v2
	v_min_u32_e32 v6, 32, v0
	v_subrev_u32_e32 v0, 28, v6
	v_lshrrev_b32_e32 v3, 3, v1
	v_cmp_gt_u32_e64 s[8:9], 8, v1
	v_lshlrev_b64 v[0:1], v0, v[30:31]
	v_sub_u32_e32 v1, 29, v6
	v_and_b32_e32 v0, 7, v0
	v_cndmask_b32_e64 v1, v3, v1, s[8:9]
	v_cndmask_b32_e64 v0, v2, v0, s[8:9]
	v_lshlrev_b32_e32 v2, 16, v28
	v_lshlrev_b32_e32 v0, 20, v0
	v_and_b32_e32 v2, 0x80000000, v2
	v_lshl_add_u32 v1, v1, 23, v39
	v_or3_b32 v0, v2, v1, v0
.LBB401_144:                            ;   in Loop: Header=BB401_10 Depth=1
	s_or_b64 exec, exec, s[34:35]
.LBB401_145:                            ;   in Loop: Header=BB401_10 Depth=1
	s_or_b64 exec, exec, s[30:31]
.LBB401_146:                            ;   in Loop: Header=BB401_10 Depth=1
	s_or_b64 exec, exec, s[28:29]
	v_mul_f32_e32 v0, v35, v0
	v_and_b32_e32 v1, 0x7f800000, v0
	v_cmp_ne_u32_e64 s[8:9], s38, v1
                                        ; implicit-def: $vgpr55
	s_and_saveexec_b64 s[28:29], s[8:9]
	s_xor_b64 s[8:9], exec, s[28:29]
; %bb.147:                              ;   in Loop: Header=BB401_10 Depth=1
	v_bfe_u32 v1, v0, 16, 1
	v_add3_u32 v55, v0, v1, s39
                                        ; implicit-def: $vgpr0
; %bb.148:                              ;   in Loop: Header=BB401_10 Depth=1
	s_andn2_saveexec_b64 s[28:29], s[8:9]
; %bb.149:                              ;   in Loop: Header=BB401_10 Depth=1
	v_or_b32_e32 v1, 0x10000, v0
	v_cmp_eq_u32_sdwa s[8:9], v0, v62 src0_sel:WORD_0 src1_sel:DWORD
	v_cndmask_b32_e64 v55, v1, v0, s[8:9]
; %bb.150:                              ;   in Loop: Header=BB401_10 Depth=1
	s_or_b64 exec, exec, s[28:29]
	v_lshrrev_b32_e32 v30, 16, v28
	v_cmp_ne_u16_sdwa s[8:9], v30, v62 src0_sel:BYTE_0 src1_sel:DWORD
	v_mov_b32_e32 v0, 0
	s_and_saveexec_b64 s[28:29], s[8:9]
	s_cbranch_execz .LBB401_156
; %bb.151:                              ;   in Loop: Header=BB401_10 Depth=1
	v_cmp_ne_u16_sdwa s[8:9], v30, s21 src0_sel:BYTE_0 src1_sel:DWORD
	v_bfrev_b32_e32 v0, 1
	s_and_saveexec_b64 s[30:31], s[8:9]
	s_cbranch_execz .LBB401_155
; %bb.152:                              ;   in Loop: Header=BB401_10 Depth=1
	v_bfe_u32 v1, v28, 16, 7
	v_cmp_ne_u32_e64 s[8:9], s37, v1
	v_mov_b32_e32 v0, 0x7f800001
	s_and_saveexec_b64 s[34:35], s[8:9]
	s_cbranch_execz .LBB401_154
; %bb.153:                              ;   in Loop: Header=BB401_10 Depth=1
	v_and_b32_e32 v2, 7, v30
	v_ffbh_u32_e32 v0, v2
	v_min_u32_e32 v6, 32, v0
	v_subrev_u32_e32 v0, 28, v6
	v_lshrrev_b32_e32 v3, 3, v1
	v_cmp_gt_u32_e64 s[8:9], 8, v1
	v_lshlrev_b64 v[0:1], v0, v[30:31]
	v_sub_u32_e32 v1, 29, v6
	v_and_b32_e32 v0, 7, v0
	v_cndmask_b32_e64 v1, v3, v1, s[8:9]
	v_cndmask_b32_e64 v0, v2, v0, s[8:9]
	v_lshlrev_b32_e32 v2, 24, v30
	v_lshlrev_b32_e32 v0, 20, v0
	v_and_b32_e32 v2, 0x80000000, v2
	v_lshl_add_u32 v1, v1, 23, v39
	v_or3_b32 v0, v2, v1, v0
.LBB401_154:                            ;   in Loop: Header=BB401_10 Depth=1
	s_or_b64 exec, exec, s[34:35]
.LBB401_155:                            ;   in Loop: Header=BB401_10 Depth=1
	s_or_b64 exec, exec, s[30:31]
.LBB401_156:                            ;   in Loop: Header=BB401_10 Depth=1
	s_or_b64 exec, exec, s[28:29]
	v_mul_f32_e32 v0, v35, v0
	v_and_b32_e32 v1, 0x7f800000, v0
	v_cmp_ne_u32_e64 s[8:9], s38, v1
                                        ; implicit-def: $vgpr40
	s_and_saveexec_b64 s[28:29], s[8:9]
	s_xor_b64 s[8:9], exec, s[28:29]
; %bb.157:                              ;   in Loop: Header=BB401_10 Depth=1
	v_bfe_u32 v1, v0, 16, 1
	v_add3_u32 v40, v0, v1, s39
                                        ; implicit-def: $vgpr0
; %bb.158:                              ;   in Loop: Header=BB401_10 Depth=1
	s_andn2_saveexec_b64 s[28:29], s[8:9]
; %bb.159:                              ;   in Loop: Header=BB401_10 Depth=1
	v_or_b32_e32 v1, 0x10000, v0
	v_cmp_eq_u32_sdwa s[8:9], v0, v62 src0_sel:WORD_0 src1_sel:DWORD
	v_cndmask_b32_e64 v40, v1, v0, s[8:9]
; %bb.160:                              ;   in Loop: Header=BB401_10 Depth=1
	s_or_b64 exec, exec, s[28:29]
	v_cmp_lt_u32_e64 s[8:9], s40, v28
	v_mov_b32_e32 v0, 0
	s_and_saveexec_b64 s[28:29], s[8:9]
	s_cbranch_execz .LBB401_166
; %bb.161:                              ;   in Loop: Header=BB401_10 Depth=1
	v_lshrrev_b32_e32 v30, 24, v28
	v_cmp_ne_u32_e64 s[8:9], s21, v30
	v_bfrev_b32_e32 v0, 1
	s_and_saveexec_b64 s[30:31], s[8:9]
	s_cbranch_execz .LBB401_165
; %bb.162:                              ;   in Loop: Header=BB401_10 Depth=1
	v_bfe_u32 v1, v28, 24, 7
	v_cmp_ne_u32_e64 s[8:9], s37, v1
	v_mov_b32_e32 v0, 0x7f800001
	s_and_saveexec_b64 s[34:35], s[8:9]
	s_cbranch_execz .LBB401_164
; %bb.163:                              ;   in Loop: Header=BB401_10 Depth=1
	v_and_b32_e32 v2, 7, v30
	v_ffbh_u32_e32 v0, v2
	v_min_u32_e32 v6, 32, v0
	v_subrev_u32_e32 v0, 28, v6
	v_lshrrev_b32_e32 v3, 3, v1
	v_cmp_gt_u32_e64 s[8:9], 8, v1
	v_lshlrev_b64 v[0:1], v0, v[30:31]
	v_sub_u32_e32 v1, 29, v6
	v_and_b32_e32 v0, 7, v0
	v_cndmask_b32_e64 v1, v3, v1, s[8:9]
	v_cndmask_b32_e64 v0, v2, v0, s[8:9]
	v_lshlrev_b32_e32 v2, 24, v30
	v_lshlrev_b32_e32 v0, 20, v0
	v_and_b32_e32 v2, 0x80000000, v2
	v_lshl_add_u32 v1, v1, 23, v39
	v_or3_b32 v0, v2, v1, v0
.LBB401_164:                            ;   in Loop: Header=BB401_10 Depth=1
	s_or_b64 exec, exec, s[34:35]
.LBB401_165:                            ;   in Loop: Header=BB401_10 Depth=1
	s_or_b64 exec, exec, s[30:31]
.LBB401_166:                            ;   in Loop: Header=BB401_10 Depth=1
	s_or_b64 exec, exec, s[28:29]
	v_mul_f32_e32 v0, v35, v0
	v_and_b32_e32 v1, 0x7f800000, v0
	v_cmp_ne_u32_e64 s[8:9], s38, v1
                                        ; implicit-def: $vgpr41
	s_and_saveexec_b64 s[28:29], s[8:9]
	s_xor_b64 s[8:9], exec, s[28:29]
; %bb.167:                              ;   in Loop: Header=BB401_10 Depth=1
	v_bfe_u32 v1, v0, 16, 1
	v_add3_u32 v41, v0, v1, s39
                                        ; implicit-def: $vgpr0
; %bb.168:                              ;   in Loop: Header=BB401_10 Depth=1
	s_andn2_saveexec_b64 s[28:29], s[8:9]
; %bb.169:                              ;   in Loop: Header=BB401_10 Depth=1
	v_or_b32_e32 v1, 0x10000, v0
	v_cmp_eq_u32_sdwa s[8:9], v0, v62 src0_sel:WORD_0 src1_sel:DWORD
	v_cndmask_b32_e64 v41, v1, v0, s[8:9]
; %bb.170:                              ;   in Loop: Header=BB401_10 Depth=1
	s_or_b64 exec, exec, s[28:29]
	flat_load_dword v28, v[20:21] offset:1024
	v_mov_b32_e32 v0, 0
	s_waitcnt vmcnt(0) lgkmcnt(0)
	v_cmp_ne_u16_sdwa s[8:9], v28, v62 src0_sel:BYTE_0 src1_sel:DWORD
	s_and_saveexec_b64 s[28:29], s[8:9]
	s_cbranch_execz .LBB401_176
; %bb.171:                              ;   in Loop: Header=BB401_10 Depth=1
	v_cmp_ne_u16_sdwa s[8:9], v28, s21 src0_sel:BYTE_0 src1_sel:DWORD
	v_bfrev_b32_e32 v0, 1
	s_and_saveexec_b64 s[30:31], s[8:9]
	s_cbranch_execz .LBB401_175
; %bb.172:                              ;   in Loop: Header=BB401_10 Depth=1
	v_and_b32_e32 v1, 0x7f, v28
	v_cmp_ne_u32_e64 s[8:9], s37, v1
	v_mov_b32_e32 v0, 0x7f800001
	s_and_saveexec_b64 s[34:35], s[8:9]
	s_cbranch_execz .LBB401_174
; %bb.173:                              ;   in Loop: Header=BB401_10 Depth=1
	v_and_b32_e32 v2, 7, v28
	v_ffbh_u32_e32 v0, v2
	v_min_u32_e32 v6, 32, v0
	v_subrev_u32_e32 v0, 28, v6
	v_lshrrev_b32_e32 v3, 3, v1
	v_cmp_gt_u32_e64 s[8:9], 8, v1
	v_lshlrev_b64 v[0:1], v0, v[28:29]
	v_sub_u32_e32 v1, 29, v6
	v_and_b32_e32 v0, 7, v0
	v_cndmask_b32_e64 v1, v3, v1, s[8:9]
	v_cndmask_b32_e64 v0, v2, v0, s[8:9]
	v_lshlrev_b32_e32 v2, 24, v28
	v_lshlrev_b32_e32 v0, 20, v0
	v_and_b32_e32 v2, 0x80000000, v2
	v_lshl_add_u32 v1, v1, 23, v39
	v_or3_b32 v0, v2, v1, v0
.LBB401_174:                            ;   in Loop: Header=BB401_10 Depth=1
	s_or_b64 exec, exec, s[34:35]
.LBB401_175:                            ;   in Loop: Header=BB401_10 Depth=1
	s_or_b64 exec, exec, s[30:31]
.LBB401_176:                            ;   in Loop: Header=BB401_10 Depth=1
	s_or_b64 exec, exec, s[28:29]
	v_mul_f32_e32 v0, v35, v0
	v_and_b32_e32 v1, 0x7f800000, v0
	v_cmp_ne_u32_e64 s[8:9], s38, v1
                                        ; implicit-def: $vgpr42
	s_and_saveexec_b64 s[28:29], s[8:9]
	s_xor_b64 s[8:9], exec, s[28:29]
; %bb.177:                              ;   in Loop: Header=BB401_10 Depth=1
	v_bfe_u32 v1, v0, 16, 1
	v_add3_u32 v42, v0, v1, s39
                                        ; implicit-def: $vgpr0
; %bb.178:                              ;   in Loop: Header=BB401_10 Depth=1
	s_andn2_saveexec_b64 s[28:29], s[8:9]
; %bb.179:                              ;   in Loop: Header=BB401_10 Depth=1
	v_or_b32_e32 v1, 0x10000, v0
	v_cmp_eq_u32_sdwa s[8:9], v0, v62 src0_sel:WORD_0 src1_sel:DWORD
	v_cndmask_b32_e64 v42, v1, v0, s[8:9]
; %bb.180:                              ;   in Loop: Header=BB401_10 Depth=1
	s_or_b64 exec, exec, s[28:29]
	v_lshrrev_b16_e32 v30, 8, v28
	v_cmp_ne_u16_e64 s[8:9], 0, v30
	v_mov_b32_e32 v0, 0
	s_and_saveexec_b64 s[28:29], s[8:9]
	s_cbranch_execz .LBB401_186
; %bb.181:                              ;   in Loop: Header=BB401_10 Depth=1
	v_cmp_ne_u16_e64 s[8:9], s21, v30
	v_bfrev_b32_e32 v0, 1
	s_and_saveexec_b64 s[30:31], s[8:9]
	s_cbranch_execz .LBB401_185
; %bb.182:                              ;   in Loop: Header=BB401_10 Depth=1
	v_and_b32_e32 v1, 0x7f, v30
	v_cmp_ne_u32_e64 s[8:9], s37, v1
	v_mov_b32_e32 v0, 0x7f800001
	s_and_saveexec_b64 s[34:35], s[8:9]
	s_cbranch_execz .LBB401_184
; %bb.183:                              ;   in Loop: Header=BB401_10 Depth=1
	v_and_b32_e32 v2, 7, v30
	v_ffbh_u32_e32 v0, v2
	v_min_u32_e32 v6, 32, v0
	v_subrev_u32_e32 v0, 28, v6
	v_lshrrev_b32_e32 v3, 3, v1
	v_cmp_gt_u32_e64 s[8:9], 8, v1
	v_lshlrev_b64 v[0:1], v0, v[30:31]
	v_sub_u32_e32 v1, 29, v6
	v_and_b32_e32 v0, 7, v0
	v_cndmask_b32_e64 v1, v3, v1, s[8:9]
	v_cndmask_b32_e64 v0, v2, v0, s[8:9]
	v_lshlrev_b32_e32 v2, 16, v28
	v_lshlrev_b32_e32 v0, 20, v0
	v_and_b32_e32 v2, 0x80000000, v2
	v_lshl_add_u32 v1, v1, 23, v39
	v_or3_b32 v0, v2, v1, v0
.LBB401_184:                            ;   in Loop: Header=BB401_10 Depth=1
	s_or_b64 exec, exec, s[34:35]
.LBB401_185:                            ;   in Loop: Header=BB401_10 Depth=1
	s_or_b64 exec, exec, s[30:31]
.LBB401_186:                            ;   in Loop: Header=BB401_10 Depth=1
	s_or_b64 exec, exec, s[28:29]
	v_mul_f32_e32 v0, v35, v0
	v_and_b32_e32 v1, 0x7f800000, v0
	v_cmp_ne_u32_e64 s[8:9], s38, v1
                                        ; implicit-def: $vgpr43
	s_and_saveexec_b64 s[28:29], s[8:9]
	s_xor_b64 s[8:9], exec, s[28:29]
; %bb.187:                              ;   in Loop: Header=BB401_10 Depth=1
	v_bfe_u32 v1, v0, 16, 1
	v_add3_u32 v43, v0, v1, s39
                                        ; implicit-def: $vgpr0
; %bb.188:                              ;   in Loop: Header=BB401_10 Depth=1
	s_andn2_saveexec_b64 s[28:29], s[8:9]
; %bb.189:                              ;   in Loop: Header=BB401_10 Depth=1
	v_or_b32_e32 v1, 0x10000, v0
	v_cmp_eq_u32_sdwa s[8:9], v0, v62 src0_sel:WORD_0 src1_sel:DWORD
	v_cndmask_b32_e64 v43, v1, v0, s[8:9]
; %bb.190:                              ;   in Loop: Header=BB401_10 Depth=1
	s_or_b64 exec, exec, s[28:29]
	v_lshrrev_b32_e32 v30, 16, v28
	v_cmp_ne_u16_sdwa s[8:9], v30, v62 src0_sel:BYTE_0 src1_sel:DWORD
	v_mov_b32_e32 v0, 0
	s_and_saveexec_b64 s[28:29], s[8:9]
	s_cbranch_execz .LBB401_196
; %bb.191:                              ;   in Loop: Header=BB401_10 Depth=1
	v_cmp_ne_u16_sdwa s[8:9], v30, s21 src0_sel:BYTE_0 src1_sel:DWORD
	v_bfrev_b32_e32 v0, 1
	s_and_saveexec_b64 s[30:31], s[8:9]
	s_cbranch_execz .LBB401_195
; %bb.192:                              ;   in Loop: Header=BB401_10 Depth=1
	v_bfe_u32 v1, v28, 16, 7
	v_cmp_ne_u32_e64 s[8:9], s37, v1
	v_mov_b32_e32 v0, 0x7f800001
	s_and_saveexec_b64 s[34:35], s[8:9]
	s_cbranch_execz .LBB401_194
; %bb.193:                              ;   in Loop: Header=BB401_10 Depth=1
	v_and_b32_e32 v2, 7, v30
	v_ffbh_u32_e32 v0, v2
	v_min_u32_e32 v6, 32, v0
	v_subrev_u32_e32 v0, 28, v6
	v_lshrrev_b32_e32 v3, 3, v1
	v_cmp_gt_u32_e64 s[8:9], 8, v1
	v_lshlrev_b64 v[0:1], v0, v[30:31]
	v_sub_u32_e32 v1, 29, v6
	v_and_b32_e32 v0, 7, v0
	v_cndmask_b32_e64 v1, v3, v1, s[8:9]
	v_cndmask_b32_e64 v0, v2, v0, s[8:9]
	v_lshlrev_b32_e32 v2, 24, v30
	v_lshlrev_b32_e32 v0, 20, v0
	v_and_b32_e32 v2, 0x80000000, v2
	v_lshl_add_u32 v1, v1, 23, v39
	v_or3_b32 v0, v2, v1, v0
.LBB401_194:                            ;   in Loop: Header=BB401_10 Depth=1
	s_or_b64 exec, exec, s[34:35]
.LBB401_195:                            ;   in Loop: Header=BB401_10 Depth=1
	s_or_b64 exec, exec, s[30:31]
.LBB401_196:                            ;   in Loop: Header=BB401_10 Depth=1
	s_or_b64 exec, exec, s[28:29]
	v_mul_f32_e32 v0, v35, v0
	v_and_b32_e32 v1, 0x7f800000, v0
	v_cmp_ne_u32_e64 s[8:9], s38, v1
                                        ; implicit-def: $vgpr44
	s_and_saveexec_b64 s[28:29], s[8:9]
	s_xor_b64 s[8:9], exec, s[28:29]
; %bb.197:                              ;   in Loop: Header=BB401_10 Depth=1
	v_bfe_u32 v1, v0, 16, 1
	v_add3_u32 v44, v0, v1, s39
                                        ; implicit-def: $vgpr0
; %bb.198:                              ;   in Loop: Header=BB401_10 Depth=1
	s_andn2_saveexec_b64 s[28:29], s[8:9]
; %bb.199:                              ;   in Loop: Header=BB401_10 Depth=1
	v_or_b32_e32 v1, 0x10000, v0
	v_cmp_eq_u32_sdwa s[8:9], v0, v62 src0_sel:WORD_0 src1_sel:DWORD
	v_cndmask_b32_e64 v44, v1, v0, s[8:9]
; %bb.200:                              ;   in Loop: Header=BB401_10 Depth=1
	s_or_b64 exec, exec, s[28:29]
	v_cmp_lt_u32_e64 s[8:9], s40, v28
	v_mov_b32_e32 v0, 0
	s_and_saveexec_b64 s[28:29], s[8:9]
	s_cbranch_execz .LBB401_206
; %bb.201:                              ;   in Loop: Header=BB401_10 Depth=1
	v_lshrrev_b32_e32 v30, 24, v28
	v_cmp_ne_u32_e64 s[8:9], s21, v30
	v_bfrev_b32_e32 v0, 1
	s_and_saveexec_b64 s[30:31], s[8:9]
	s_cbranch_execz .LBB401_205
; %bb.202:                              ;   in Loop: Header=BB401_10 Depth=1
	v_bfe_u32 v1, v28, 24, 7
	v_cmp_ne_u32_e64 s[8:9], s37, v1
	v_mov_b32_e32 v0, 0x7f800001
	s_and_saveexec_b64 s[34:35], s[8:9]
	s_cbranch_execz .LBB401_204
; %bb.203:                              ;   in Loop: Header=BB401_10 Depth=1
	v_and_b32_e32 v2, 7, v30
	v_ffbh_u32_e32 v0, v2
	v_min_u32_e32 v6, 32, v0
	v_subrev_u32_e32 v0, 28, v6
	v_lshrrev_b32_e32 v3, 3, v1
	v_cmp_gt_u32_e64 s[8:9], 8, v1
	v_lshlrev_b64 v[0:1], v0, v[30:31]
	v_sub_u32_e32 v1, 29, v6
	v_and_b32_e32 v0, 7, v0
	v_cndmask_b32_e64 v1, v3, v1, s[8:9]
	v_cndmask_b32_e64 v0, v2, v0, s[8:9]
	v_lshlrev_b32_e32 v2, 24, v30
	v_lshlrev_b32_e32 v0, 20, v0
	v_and_b32_e32 v2, 0x80000000, v2
	v_lshl_add_u32 v1, v1, 23, v39
	v_or3_b32 v0, v2, v1, v0
.LBB401_204:                            ;   in Loop: Header=BB401_10 Depth=1
	s_or_b64 exec, exec, s[34:35]
.LBB401_205:                            ;   in Loop: Header=BB401_10 Depth=1
	s_or_b64 exec, exec, s[30:31]
.LBB401_206:                            ;   in Loop: Header=BB401_10 Depth=1
	s_or_b64 exec, exec, s[28:29]
	v_mul_f32_e32 v0, v35, v0
	v_and_b32_e32 v1, 0x7f800000, v0
	v_cmp_ne_u32_e64 s[8:9], s38, v1
                                        ; implicit-def: $agpr38
	s_and_saveexec_b64 s[28:29], s[8:9]
	s_xor_b64 s[8:9], exec, s[28:29]
; %bb.207:                              ;   in Loop: Header=BB401_10 Depth=1
	v_bfe_u32 v1, v0, 16, 1
	v_add3_u32 v0, v0, v1, s39
	v_accvgpr_write_b32 a38, v0
                                        ; implicit-def: $vgpr0
; %bb.208:                              ;   in Loop: Header=BB401_10 Depth=1
	s_andn2_saveexec_b64 s[28:29], s[8:9]
; %bb.209:                              ;   in Loop: Header=BB401_10 Depth=1
	v_or_b32_e32 v1, 0x10000, v0
	v_cmp_eq_u32_sdwa s[8:9], v0, v62 src0_sel:WORD_0 src1_sel:DWORD
	v_cndmask_b32_e64 v0, v1, v0, s[8:9]
	v_accvgpr_write_b32 a38, v0
; %bb.210:                              ;   in Loop: Header=BB401_10 Depth=1
	s_or_b64 exec, exec, s[28:29]
	flat_load_dword v28, v[20:21] offset:1032
	v_mov_b32_e32 v0, 0
	s_waitcnt vmcnt(0) lgkmcnt(0)
	v_cmp_ne_u16_sdwa s[8:9], v28, v62 src0_sel:BYTE_0 src1_sel:DWORD
	s_and_saveexec_b64 s[28:29], s[8:9]
	s_cbranch_execz .LBB401_216
; %bb.211:                              ;   in Loop: Header=BB401_10 Depth=1
	v_cmp_ne_u16_sdwa s[8:9], v28, s21 src0_sel:BYTE_0 src1_sel:DWORD
	v_bfrev_b32_e32 v0, 1
	s_and_saveexec_b64 s[30:31], s[8:9]
	s_cbranch_execz .LBB401_215
; %bb.212:                              ;   in Loop: Header=BB401_10 Depth=1
	v_and_b32_e32 v1, 0x7f, v28
	v_cmp_ne_u32_e64 s[8:9], s37, v1
	v_mov_b32_e32 v0, 0x7f800001
	s_and_saveexec_b64 s[34:35], s[8:9]
	s_cbranch_execz .LBB401_214
; %bb.213:                              ;   in Loop: Header=BB401_10 Depth=1
	v_and_b32_e32 v2, 7, v28
	v_ffbh_u32_e32 v0, v2
	v_min_u32_e32 v6, 32, v0
	v_subrev_u32_e32 v0, 28, v6
	v_lshrrev_b32_e32 v3, 3, v1
	v_cmp_gt_u32_e64 s[8:9], 8, v1
	v_lshlrev_b64 v[0:1], v0, v[28:29]
	v_sub_u32_e32 v1, 29, v6
	v_and_b32_e32 v0, 7, v0
	v_cndmask_b32_e64 v1, v3, v1, s[8:9]
	v_cndmask_b32_e64 v0, v2, v0, s[8:9]
	v_lshlrev_b32_e32 v2, 24, v28
	v_lshlrev_b32_e32 v0, 20, v0
	v_and_b32_e32 v2, 0x80000000, v2
	v_lshl_add_u32 v1, v1, 23, v39
	v_or3_b32 v0, v2, v1, v0
.LBB401_214:                            ;   in Loop: Header=BB401_10 Depth=1
	s_or_b64 exec, exec, s[34:35]
.LBB401_215:                            ;   in Loop: Header=BB401_10 Depth=1
	s_or_b64 exec, exec, s[30:31]
.LBB401_216:                            ;   in Loop: Header=BB401_10 Depth=1
	s_or_b64 exec, exec, s[28:29]
	v_mul_f32_e32 v0, v35, v0
	v_and_b32_e32 v1, 0x7f800000, v0
	v_cmp_ne_u32_e64 s[8:9], s38, v1
                                        ; implicit-def: $agpr39
	s_and_saveexec_b64 s[28:29], s[8:9]
	s_xor_b64 s[8:9], exec, s[28:29]
; %bb.217:                              ;   in Loop: Header=BB401_10 Depth=1
	v_bfe_u32 v1, v0, 16, 1
	v_add3_u32 v0, v0, v1, s39
	v_accvgpr_write_b32 a39, v0
                                        ; implicit-def: $vgpr0
; %bb.218:                              ;   in Loop: Header=BB401_10 Depth=1
	s_andn2_saveexec_b64 s[28:29], s[8:9]
; %bb.219:                              ;   in Loop: Header=BB401_10 Depth=1
	v_or_b32_e32 v1, 0x10000, v0
	v_cmp_eq_u32_sdwa s[8:9], v0, v62 src0_sel:WORD_0 src1_sel:DWORD
	v_cndmask_b32_e64 v0, v1, v0, s[8:9]
	v_accvgpr_write_b32 a39, v0
; %bb.220:                              ;   in Loop: Header=BB401_10 Depth=1
	s_or_b64 exec, exec, s[28:29]
	v_lshrrev_b16_e32 v30, 8, v28
	v_cmp_ne_u16_e64 s[8:9], 0, v30
	v_mov_b32_e32 v0, 0
	s_and_saveexec_b64 s[28:29], s[8:9]
	s_cbranch_execz .LBB401_226
; %bb.221:                              ;   in Loop: Header=BB401_10 Depth=1
	v_cmp_ne_u16_e64 s[8:9], s21, v30
	v_bfrev_b32_e32 v0, 1
	s_and_saveexec_b64 s[30:31], s[8:9]
	s_cbranch_execz .LBB401_225
; %bb.222:                              ;   in Loop: Header=BB401_10 Depth=1
	v_and_b32_e32 v1, 0x7f, v30
	v_cmp_ne_u32_e64 s[8:9], s37, v1
	v_mov_b32_e32 v0, 0x7f800001
	s_and_saveexec_b64 s[34:35], s[8:9]
	s_cbranch_execz .LBB401_224
; %bb.223:                              ;   in Loop: Header=BB401_10 Depth=1
	v_and_b32_e32 v2, 7, v30
	v_ffbh_u32_e32 v0, v2
	v_min_u32_e32 v6, 32, v0
	v_subrev_u32_e32 v0, 28, v6
	v_lshrrev_b32_e32 v3, 3, v1
	v_cmp_gt_u32_e64 s[8:9], 8, v1
	v_lshlrev_b64 v[0:1], v0, v[30:31]
	v_sub_u32_e32 v1, 29, v6
	v_and_b32_e32 v0, 7, v0
	v_cndmask_b32_e64 v1, v3, v1, s[8:9]
	v_cndmask_b32_e64 v0, v2, v0, s[8:9]
	v_lshlrev_b32_e32 v2, 16, v28
	v_lshlrev_b32_e32 v0, 20, v0
	v_and_b32_e32 v2, 0x80000000, v2
	v_lshl_add_u32 v1, v1, 23, v39
	v_or3_b32 v0, v2, v1, v0
.LBB401_224:                            ;   in Loop: Header=BB401_10 Depth=1
	s_or_b64 exec, exec, s[34:35]
.LBB401_225:                            ;   in Loop: Header=BB401_10 Depth=1
	s_or_b64 exec, exec, s[30:31]
.LBB401_226:                            ;   in Loop: Header=BB401_10 Depth=1
	s_or_b64 exec, exec, s[28:29]
	v_mul_f32_e32 v0, v35, v0
	v_and_b32_e32 v1, 0x7f800000, v0
	v_cmp_ne_u32_e64 s[8:9], s38, v1
                                        ; implicit-def: $agpr37
	s_and_saveexec_b64 s[28:29], s[8:9]
	s_xor_b64 s[8:9], exec, s[28:29]
; %bb.227:                              ;   in Loop: Header=BB401_10 Depth=1
	v_bfe_u32 v1, v0, 16, 1
	v_add3_u32 v0, v0, v1, s39
	v_accvgpr_write_b32 a37, v0
                                        ; implicit-def: $vgpr0
; %bb.228:                              ;   in Loop: Header=BB401_10 Depth=1
	s_andn2_saveexec_b64 s[28:29], s[8:9]
; %bb.229:                              ;   in Loop: Header=BB401_10 Depth=1
	v_or_b32_e32 v1, 0x10000, v0
	v_cmp_eq_u32_sdwa s[8:9], v0, v62 src0_sel:WORD_0 src1_sel:DWORD
	v_cndmask_b32_e64 v0, v1, v0, s[8:9]
	v_accvgpr_write_b32 a37, v0
; %bb.230:                              ;   in Loop: Header=BB401_10 Depth=1
	s_or_b64 exec, exec, s[28:29]
	v_lshrrev_b32_e32 v30, 16, v28
	v_cmp_ne_u16_sdwa s[8:9], v30, v62 src0_sel:BYTE_0 src1_sel:DWORD
	v_mov_b32_e32 v0, 0
	s_and_saveexec_b64 s[28:29], s[8:9]
	s_cbranch_execz .LBB401_236
; %bb.231:                              ;   in Loop: Header=BB401_10 Depth=1
	v_cmp_ne_u16_sdwa s[8:9], v30, s21 src0_sel:BYTE_0 src1_sel:DWORD
	v_bfrev_b32_e32 v0, 1
	s_and_saveexec_b64 s[30:31], s[8:9]
	s_cbranch_execz .LBB401_235
; %bb.232:                              ;   in Loop: Header=BB401_10 Depth=1
	v_bfe_u32 v1, v28, 16, 7
	v_cmp_ne_u32_e64 s[8:9], s37, v1
	v_mov_b32_e32 v0, 0x7f800001
	s_and_saveexec_b64 s[34:35], s[8:9]
	s_cbranch_execz .LBB401_234
; %bb.233:                              ;   in Loop: Header=BB401_10 Depth=1
	v_and_b32_e32 v2, 7, v30
	v_ffbh_u32_e32 v0, v2
	v_min_u32_e32 v6, 32, v0
	v_subrev_u32_e32 v0, 28, v6
	v_lshrrev_b32_e32 v3, 3, v1
	v_cmp_gt_u32_e64 s[8:9], 8, v1
	v_lshlrev_b64 v[0:1], v0, v[30:31]
	v_sub_u32_e32 v1, 29, v6
	v_and_b32_e32 v0, 7, v0
	v_cndmask_b32_e64 v1, v3, v1, s[8:9]
	v_cndmask_b32_e64 v0, v2, v0, s[8:9]
	v_lshlrev_b32_e32 v2, 24, v30
	v_lshlrev_b32_e32 v0, 20, v0
	v_and_b32_e32 v2, 0x80000000, v2
	v_lshl_add_u32 v1, v1, 23, v39
	v_or3_b32 v0, v2, v1, v0
.LBB401_234:                            ;   in Loop: Header=BB401_10 Depth=1
	s_or_b64 exec, exec, s[34:35]
.LBB401_235:                            ;   in Loop: Header=BB401_10 Depth=1
	s_or_b64 exec, exec, s[30:31]
.LBB401_236:                            ;   in Loop: Header=BB401_10 Depth=1
	s_or_b64 exec, exec, s[28:29]
	v_mul_f32_e32 v0, v35, v0
	v_and_b32_e32 v1, 0x7f800000, v0
	v_cmp_ne_u32_e64 s[8:9], s38, v1
                                        ; implicit-def: $agpr36
	s_and_saveexec_b64 s[28:29], s[8:9]
	s_xor_b64 s[8:9], exec, s[28:29]
; %bb.237:                              ;   in Loop: Header=BB401_10 Depth=1
	v_bfe_u32 v1, v0, 16, 1
	v_add3_u32 v0, v0, v1, s39
	v_accvgpr_write_b32 a36, v0
                                        ; implicit-def: $vgpr0
; %bb.238:                              ;   in Loop: Header=BB401_10 Depth=1
	s_andn2_saveexec_b64 s[28:29], s[8:9]
; %bb.239:                              ;   in Loop: Header=BB401_10 Depth=1
	v_or_b32_e32 v1, 0x10000, v0
	v_cmp_eq_u32_sdwa s[8:9], v0, v62 src0_sel:WORD_0 src1_sel:DWORD
	v_cndmask_b32_e64 v0, v1, v0, s[8:9]
	v_accvgpr_write_b32 a36, v0
; %bb.240:                              ;   in Loop: Header=BB401_10 Depth=1
	s_or_b64 exec, exec, s[28:29]
	v_cmp_lt_u32_e64 s[8:9], s40, v28
	v_mov_b32_e32 v0, 0
	s_and_saveexec_b64 s[28:29], s[8:9]
	s_cbranch_execz .LBB401_246
; %bb.241:                              ;   in Loop: Header=BB401_10 Depth=1
	v_lshrrev_b32_e32 v30, 24, v28
	v_cmp_ne_u32_e64 s[8:9], s21, v30
	v_bfrev_b32_e32 v0, 1
	s_and_saveexec_b64 s[30:31], s[8:9]
	s_cbranch_execz .LBB401_245
; %bb.242:                              ;   in Loop: Header=BB401_10 Depth=1
	v_bfe_u32 v1, v28, 24, 7
	v_cmp_ne_u32_e64 s[8:9], s37, v1
	v_mov_b32_e32 v0, 0x7f800001
	s_and_saveexec_b64 s[34:35], s[8:9]
	s_cbranch_execz .LBB401_244
; %bb.243:                              ;   in Loop: Header=BB401_10 Depth=1
	v_and_b32_e32 v2, 7, v30
	v_ffbh_u32_e32 v0, v2
	v_min_u32_e32 v6, 32, v0
	v_subrev_u32_e32 v0, 28, v6
	v_lshrrev_b32_e32 v3, 3, v1
	v_cmp_gt_u32_e64 s[8:9], 8, v1
	v_lshlrev_b64 v[0:1], v0, v[30:31]
	v_sub_u32_e32 v1, 29, v6
	v_and_b32_e32 v0, 7, v0
	v_cndmask_b32_e64 v1, v3, v1, s[8:9]
	v_cndmask_b32_e64 v0, v2, v0, s[8:9]
	v_lshlrev_b32_e32 v2, 24, v30
	v_lshlrev_b32_e32 v0, 20, v0
	v_and_b32_e32 v2, 0x80000000, v2
	v_lshl_add_u32 v1, v1, 23, v39
	v_or3_b32 v0, v2, v1, v0
.LBB401_244:                            ;   in Loop: Header=BB401_10 Depth=1
	s_or_b64 exec, exec, s[34:35]
.LBB401_245:                            ;   in Loop: Header=BB401_10 Depth=1
	s_or_b64 exec, exec, s[30:31]
.LBB401_246:                            ;   in Loop: Header=BB401_10 Depth=1
	s_or_b64 exec, exec, s[28:29]
	v_mul_f32_e32 v0, v35, v0
	v_and_b32_e32 v1, 0x7f800000, v0
	v_cmp_ne_u32_e64 s[8:9], s38, v1
                                        ; implicit-def: $agpr42
	s_and_saveexec_b64 s[28:29], s[8:9]
	s_xor_b64 s[8:9], exec, s[28:29]
; %bb.247:                              ;   in Loop: Header=BB401_10 Depth=1
	v_bfe_u32 v1, v0, 16, 1
	v_add3_u32 v0, v0, v1, s39
	v_accvgpr_write_b32 a42, v0
                                        ; implicit-def: $vgpr0
; %bb.248:                              ;   in Loop: Header=BB401_10 Depth=1
	s_andn2_saveexec_b64 s[28:29], s[8:9]
; %bb.249:                              ;   in Loop: Header=BB401_10 Depth=1
	v_or_b32_e32 v1, 0x10000, v0
	v_cmp_eq_u32_sdwa s[8:9], v0, v62 src0_sel:WORD_0 src1_sel:DWORD
	v_cndmask_b32_e64 v0, v1, v0, s[8:9]
	v_accvgpr_write_b32 a42, v0
; %bb.250:                              ;   in Loop: Header=BB401_10 Depth=1
	s_or_b64 exec, exec, s[28:29]
	flat_load_dword v28, v[20:21] offset:1536
	v_mov_b32_e32 v0, 0
	s_waitcnt vmcnt(0) lgkmcnt(0)
	v_cmp_ne_u16_sdwa s[8:9], v28, v62 src0_sel:BYTE_0 src1_sel:DWORD
	s_and_saveexec_b64 s[28:29], s[8:9]
	s_cbranch_execz .LBB401_256
; %bb.251:                              ;   in Loop: Header=BB401_10 Depth=1
	v_cmp_ne_u16_sdwa s[8:9], v28, s21 src0_sel:BYTE_0 src1_sel:DWORD
	v_bfrev_b32_e32 v0, 1
	s_and_saveexec_b64 s[30:31], s[8:9]
	s_cbranch_execz .LBB401_255
; %bb.252:                              ;   in Loop: Header=BB401_10 Depth=1
	v_and_b32_e32 v1, 0x7f, v28
	v_cmp_ne_u32_e64 s[8:9], s37, v1
	v_mov_b32_e32 v0, 0x7f800001
	s_and_saveexec_b64 s[34:35], s[8:9]
	s_cbranch_execz .LBB401_254
; %bb.253:                              ;   in Loop: Header=BB401_10 Depth=1
	v_and_b32_e32 v2, 7, v28
	v_ffbh_u32_e32 v0, v2
	v_min_u32_e32 v6, 32, v0
	v_subrev_u32_e32 v0, 28, v6
	v_lshrrev_b32_e32 v3, 3, v1
	v_cmp_gt_u32_e64 s[8:9], 8, v1
	v_lshlrev_b64 v[0:1], v0, v[28:29]
	v_sub_u32_e32 v1, 29, v6
	v_and_b32_e32 v0, 7, v0
	v_cndmask_b32_e64 v1, v3, v1, s[8:9]
	v_cndmask_b32_e64 v0, v2, v0, s[8:9]
	v_lshlrev_b32_e32 v2, 24, v28
	v_lshlrev_b32_e32 v0, 20, v0
	v_and_b32_e32 v2, 0x80000000, v2
	v_lshl_add_u32 v1, v1, 23, v39
	v_or3_b32 v0, v2, v1, v0
.LBB401_254:                            ;   in Loop: Header=BB401_10 Depth=1
	s_or_b64 exec, exec, s[34:35]
.LBB401_255:                            ;   in Loop: Header=BB401_10 Depth=1
	s_or_b64 exec, exec, s[30:31]
.LBB401_256:                            ;   in Loop: Header=BB401_10 Depth=1
	s_or_b64 exec, exec, s[28:29]
	v_mul_f32_e32 v0, v35, v0
	v_and_b32_e32 v1, 0x7f800000, v0
	v_cmp_ne_u32_e64 s[8:9], s38, v1
                                        ; implicit-def: $agpr43
	s_and_saveexec_b64 s[28:29], s[8:9]
	s_xor_b64 s[8:9], exec, s[28:29]
; %bb.257:                              ;   in Loop: Header=BB401_10 Depth=1
	v_bfe_u32 v1, v0, 16, 1
	v_add3_u32 v0, v0, v1, s39
	v_accvgpr_write_b32 a43, v0
                                        ; implicit-def: $vgpr0
; %bb.258:                              ;   in Loop: Header=BB401_10 Depth=1
	s_andn2_saveexec_b64 s[28:29], s[8:9]
; %bb.259:                              ;   in Loop: Header=BB401_10 Depth=1
	v_or_b32_e32 v1, 0x10000, v0
	v_cmp_eq_u32_sdwa s[8:9], v0, v62 src0_sel:WORD_0 src1_sel:DWORD
	v_cndmask_b32_e64 v0, v1, v0, s[8:9]
	v_accvgpr_write_b32 a43, v0
; %bb.260:                              ;   in Loop: Header=BB401_10 Depth=1
	s_or_b64 exec, exec, s[28:29]
	v_lshrrev_b16_e32 v30, 8, v28
	v_cmp_ne_u16_e64 s[8:9], 0, v30
	v_mov_b32_e32 v0, 0
	s_and_saveexec_b64 s[28:29], s[8:9]
	s_cbranch_execz .LBB401_266
; %bb.261:                              ;   in Loop: Header=BB401_10 Depth=1
	v_cmp_ne_u16_e64 s[8:9], s21, v30
	v_bfrev_b32_e32 v0, 1
	s_and_saveexec_b64 s[30:31], s[8:9]
	s_cbranch_execz .LBB401_265
; %bb.262:                              ;   in Loop: Header=BB401_10 Depth=1
	v_and_b32_e32 v1, 0x7f, v30
	v_cmp_ne_u32_e64 s[8:9], s37, v1
	v_mov_b32_e32 v0, 0x7f800001
	s_and_saveexec_b64 s[34:35], s[8:9]
	s_cbranch_execz .LBB401_264
; %bb.263:                              ;   in Loop: Header=BB401_10 Depth=1
	v_and_b32_e32 v2, 7, v30
	v_ffbh_u32_e32 v0, v2
	v_min_u32_e32 v6, 32, v0
	v_subrev_u32_e32 v0, 28, v6
	v_lshrrev_b32_e32 v3, 3, v1
	v_cmp_gt_u32_e64 s[8:9], 8, v1
	v_lshlrev_b64 v[0:1], v0, v[30:31]
	v_sub_u32_e32 v1, 29, v6
	v_and_b32_e32 v0, 7, v0
	v_cndmask_b32_e64 v1, v3, v1, s[8:9]
	v_cndmask_b32_e64 v0, v2, v0, s[8:9]
	v_lshlrev_b32_e32 v2, 16, v28
	v_lshlrev_b32_e32 v0, 20, v0
	v_and_b32_e32 v2, 0x80000000, v2
	v_lshl_add_u32 v1, v1, 23, v39
	v_or3_b32 v0, v2, v1, v0
.LBB401_264:                            ;   in Loop: Header=BB401_10 Depth=1
	s_or_b64 exec, exec, s[34:35]
.LBB401_265:                            ;   in Loop: Header=BB401_10 Depth=1
	s_or_b64 exec, exec, s[30:31]
.LBB401_266:                            ;   in Loop: Header=BB401_10 Depth=1
	s_or_b64 exec, exec, s[28:29]
	v_mul_f32_e32 v0, v35, v0
	v_and_b32_e32 v1, 0x7f800000, v0
	v_cmp_ne_u32_e64 s[8:9], s38, v1
                                        ; implicit-def: $agpr44
	s_and_saveexec_b64 s[28:29], s[8:9]
	s_xor_b64 s[8:9], exec, s[28:29]
; %bb.267:                              ;   in Loop: Header=BB401_10 Depth=1
	v_bfe_u32 v1, v0, 16, 1
	v_add3_u32 v0, v0, v1, s39
	v_accvgpr_write_b32 a44, v0
                                        ; implicit-def: $vgpr0
; %bb.268:                              ;   in Loop: Header=BB401_10 Depth=1
	s_andn2_saveexec_b64 s[28:29], s[8:9]
; %bb.269:                              ;   in Loop: Header=BB401_10 Depth=1
	v_or_b32_e32 v1, 0x10000, v0
	v_cmp_eq_u32_sdwa s[8:9], v0, v62 src0_sel:WORD_0 src1_sel:DWORD
	v_cndmask_b32_e64 v0, v1, v0, s[8:9]
	v_accvgpr_write_b32 a44, v0
; %bb.270:                              ;   in Loop: Header=BB401_10 Depth=1
	s_or_b64 exec, exec, s[28:29]
	v_lshrrev_b32_e32 v30, 16, v28
	v_cmp_ne_u16_sdwa s[8:9], v30, v62 src0_sel:BYTE_0 src1_sel:DWORD
	v_mov_b32_e32 v0, 0
	s_and_saveexec_b64 s[28:29], s[8:9]
	s_cbranch_execz .LBB401_276
; %bb.271:                              ;   in Loop: Header=BB401_10 Depth=1
	v_cmp_ne_u16_sdwa s[8:9], v30, s21 src0_sel:BYTE_0 src1_sel:DWORD
	v_bfrev_b32_e32 v0, 1
	s_and_saveexec_b64 s[30:31], s[8:9]
	s_cbranch_execz .LBB401_275
; %bb.272:                              ;   in Loop: Header=BB401_10 Depth=1
	v_bfe_u32 v1, v28, 16, 7
	v_cmp_ne_u32_e64 s[8:9], s37, v1
	v_mov_b32_e32 v0, 0x7f800001
	s_and_saveexec_b64 s[34:35], s[8:9]
	s_cbranch_execz .LBB401_274
; %bb.273:                              ;   in Loop: Header=BB401_10 Depth=1
	v_and_b32_e32 v2, 7, v30
	v_ffbh_u32_e32 v0, v2
	v_min_u32_e32 v6, 32, v0
	v_subrev_u32_e32 v0, 28, v6
	v_lshrrev_b32_e32 v3, 3, v1
	v_cmp_gt_u32_e64 s[8:9], 8, v1
	v_lshlrev_b64 v[0:1], v0, v[30:31]
	v_sub_u32_e32 v1, 29, v6
	v_and_b32_e32 v0, 7, v0
	v_cndmask_b32_e64 v1, v3, v1, s[8:9]
	v_cndmask_b32_e64 v0, v2, v0, s[8:9]
	v_lshlrev_b32_e32 v2, 24, v30
	v_lshlrev_b32_e32 v0, 20, v0
	v_and_b32_e32 v2, 0x80000000, v2
	v_lshl_add_u32 v1, v1, 23, v39
	v_or3_b32 v0, v2, v1, v0
.LBB401_274:                            ;   in Loop: Header=BB401_10 Depth=1
	s_or_b64 exec, exec, s[34:35]
.LBB401_275:                            ;   in Loop: Header=BB401_10 Depth=1
	s_or_b64 exec, exec, s[30:31]
.LBB401_276:                            ;   in Loop: Header=BB401_10 Depth=1
	s_or_b64 exec, exec, s[28:29]
	v_mul_f32_e32 v0, v35, v0
	v_and_b32_e32 v1, 0x7f800000, v0
	v_cmp_ne_u32_e64 s[8:9], s38, v1
                                        ; implicit-def: $agpr45
	s_and_saveexec_b64 s[28:29], s[8:9]
	s_xor_b64 s[8:9], exec, s[28:29]
; %bb.277:                              ;   in Loop: Header=BB401_10 Depth=1
	v_bfe_u32 v1, v0, 16, 1
	v_add3_u32 v0, v0, v1, s39
	v_accvgpr_write_b32 a45, v0
                                        ; implicit-def: $vgpr0
; %bb.278:                              ;   in Loop: Header=BB401_10 Depth=1
	s_andn2_saveexec_b64 s[28:29], s[8:9]
; %bb.279:                              ;   in Loop: Header=BB401_10 Depth=1
	v_or_b32_e32 v1, 0x10000, v0
	v_cmp_eq_u32_sdwa s[8:9], v0, v62 src0_sel:WORD_0 src1_sel:DWORD
	v_cndmask_b32_e64 v0, v1, v0, s[8:9]
	v_accvgpr_write_b32 a45, v0
; %bb.280:                              ;   in Loop: Header=BB401_10 Depth=1
	s_or_b64 exec, exec, s[28:29]
	v_cmp_lt_u32_e64 s[8:9], s40, v28
	v_mov_b32_e32 v0, 0
	s_and_saveexec_b64 s[28:29], s[8:9]
	s_cbranch_execz .LBB401_286
; %bb.281:                              ;   in Loop: Header=BB401_10 Depth=1
	v_lshrrev_b32_e32 v30, 24, v28
	v_cmp_ne_u32_e64 s[8:9], s21, v30
	v_bfrev_b32_e32 v0, 1
	s_and_saveexec_b64 s[30:31], s[8:9]
	s_cbranch_execz .LBB401_285
; %bb.282:                              ;   in Loop: Header=BB401_10 Depth=1
	v_bfe_u32 v1, v28, 24, 7
	v_cmp_ne_u32_e64 s[8:9], s37, v1
	v_mov_b32_e32 v0, 0x7f800001
	s_and_saveexec_b64 s[34:35], s[8:9]
	s_cbranch_execz .LBB401_284
; %bb.283:                              ;   in Loop: Header=BB401_10 Depth=1
	v_and_b32_e32 v2, 7, v30
	v_ffbh_u32_e32 v0, v2
	v_min_u32_e32 v6, 32, v0
	v_subrev_u32_e32 v0, 28, v6
	v_lshrrev_b32_e32 v3, 3, v1
	v_cmp_gt_u32_e64 s[8:9], 8, v1
	v_lshlrev_b64 v[0:1], v0, v[30:31]
	v_sub_u32_e32 v1, 29, v6
	v_and_b32_e32 v0, 7, v0
	v_cndmask_b32_e64 v1, v3, v1, s[8:9]
	v_cndmask_b32_e64 v0, v2, v0, s[8:9]
	v_lshlrev_b32_e32 v2, 24, v30
	v_lshlrev_b32_e32 v0, 20, v0
	v_and_b32_e32 v2, 0x80000000, v2
	v_lshl_add_u32 v1, v1, 23, v39
	v_or3_b32 v0, v2, v1, v0
.LBB401_284:                            ;   in Loop: Header=BB401_10 Depth=1
	s_or_b64 exec, exec, s[34:35]
.LBB401_285:                            ;   in Loop: Header=BB401_10 Depth=1
	s_or_b64 exec, exec, s[30:31]
.LBB401_286:                            ;   in Loop: Header=BB401_10 Depth=1
	s_or_b64 exec, exec, s[28:29]
	v_mul_f32_e32 v0, v35, v0
	v_and_b32_e32 v1, 0x7f800000, v0
	v_cmp_ne_u32_e64 s[8:9], s38, v1
                                        ; implicit-def: $agpr46
	s_and_saveexec_b64 s[28:29], s[8:9]
	s_xor_b64 s[8:9], exec, s[28:29]
; %bb.287:                              ;   in Loop: Header=BB401_10 Depth=1
	v_bfe_u32 v1, v0, 16, 1
	v_add3_u32 v0, v0, v1, s39
	v_accvgpr_write_b32 a46, v0
                                        ; implicit-def: $vgpr0
; %bb.288:                              ;   in Loop: Header=BB401_10 Depth=1
	s_andn2_saveexec_b64 s[28:29], s[8:9]
; %bb.289:                              ;   in Loop: Header=BB401_10 Depth=1
	v_or_b32_e32 v1, 0x10000, v0
	v_cmp_eq_u32_sdwa s[8:9], v0, v62 src0_sel:WORD_0 src1_sel:DWORD
	v_cndmask_b32_e64 v0, v1, v0, s[8:9]
	v_accvgpr_write_b32 a46, v0
; %bb.290:                              ;   in Loop: Header=BB401_10 Depth=1
	s_or_b64 exec, exec, s[28:29]
	flat_load_dword v28, v[20:21] offset:1544
	v_mov_b32_e32 v0, 0
	s_waitcnt vmcnt(0) lgkmcnt(0)
	v_cmp_ne_u16_sdwa s[8:9], v28, v62 src0_sel:BYTE_0 src1_sel:DWORD
	s_and_saveexec_b64 s[28:29], s[8:9]
	s_cbranch_execz .LBB401_296
; %bb.291:                              ;   in Loop: Header=BB401_10 Depth=1
	v_cmp_ne_u16_sdwa s[8:9], v28, s21 src0_sel:BYTE_0 src1_sel:DWORD
	v_bfrev_b32_e32 v0, 1
	s_and_saveexec_b64 s[30:31], s[8:9]
	s_cbranch_execz .LBB401_295
; %bb.292:                              ;   in Loop: Header=BB401_10 Depth=1
	v_and_b32_e32 v1, 0x7f, v28
	v_cmp_ne_u32_e64 s[8:9], s37, v1
	v_mov_b32_e32 v0, 0x7f800001
	s_and_saveexec_b64 s[34:35], s[8:9]
	s_cbranch_execz .LBB401_294
; %bb.293:                              ;   in Loop: Header=BB401_10 Depth=1
	v_and_b32_e32 v2, 7, v28
	v_ffbh_u32_e32 v0, v2
	v_min_u32_e32 v6, 32, v0
	v_subrev_u32_e32 v0, 28, v6
	v_lshrrev_b32_e32 v3, 3, v1
	v_cmp_gt_u32_e64 s[8:9], 8, v1
	v_lshlrev_b64 v[0:1], v0, v[28:29]
	v_sub_u32_e32 v1, 29, v6
	v_and_b32_e32 v0, 7, v0
	v_cndmask_b32_e64 v1, v3, v1, s[8:9]
	v_cndmask_b32_e64 v0, v2, v0, s[8:9]
	v_lshlrev_b32_e32 v2, 24, v28
	v_lshlrev_b32_e32 v0, 20, v0
	v_and_b32_e32 v2, 0x80000000, v2
	v_lshl_add_u32 v1, v1, 23, v39
	v_or3_b32 v0, v2, v1, v0
.LBB401_294:                            ;   in Loop: Header=BB401_10 Depth=1
	s_or_b64 exec, exec, s[34:35]
.LBB401_295:                            ;   in Loop: Header=BB401_10 Depth=1
	s_or_b64 exec, exec, s[30:31]
.LBB401_296:                            ;   in Loop: Header=BB401_10 Depth=1
	s_or_b64 exec, exec, s[28:29]
	v_mul_f32_e32 v0, v35, v0
	v_and_b32_e32 v1, 0x7f800000, v0
	v_cmp_ne_u32_e64 s[8:9], s38, v1
                                        ; implicit-def: $agpr47
	s_and_saveexec_b64 s[28:29], s[8:9]
	s_xor_b64 s[8:9], exec, s[28:29]
; %bb.297:                              ;   in Loop: Header=BB401_10 Depth=1
	v_bfe_u32 v1, v0, 16, 1
	v_add3_u32 v0, v0, v1, s39
	v_accvgpr_write_b32 a47, v0
                                        ; implicit-def: $vgpr0
; %bb.298:                              ;   in Loop: Header=BB401_10 Depth=1
	s_andn2_saveexec_b64 s[28:29], s[8:9]
; %bb.299:                              ;   in Loop: Header=BB401_10 Depth=1
	v_or_b32_e32 v1, 0x10000, v0
	v_cmp_eq_u32_sdwa s[8:9], v0, v62 src0_sel:WORD_0 src1_sel:DWORD
	v_cndmask_b32_e64 v0, v1, v0, s[8:9]
	v_accvgpr_write_b32 a47, v0
; %bb.300:                              ;   in Loop: Header=BB401_10 Depth=1
	s_or_b64 exec, exec, s[28:29]
	v_lshrrev_b16_e32 v30, 8, v28
	v_cmp_ne_u16_e64 s[8:9], 0, v30
	v_mov_b32_e32 v0, 0
	s_and_saveexec_b64 s[28:29], s[8:9]
	s_cbranch_execz .LBB401_306
; %bb.301:                              ;   in Loop: Header=BB401_10 Depth=1
	v_cmp_ne_u16_e64 s[8:9], s21, v30
	v_bfrev_b32_e32 v0, 1
	s_and_saveexec_b64 s[30:31], s[8:9]
	s_cbranch_execz .LBB401_305
; %bb.302:                              ;   in Loop: Header=BB401_10 Depth=1
	v_and_b32_e32 v1, 0x7f, v30
	v_cmp_ne_u32_e64 s[8:9], s37, v1
	v_mov_b32_e32 v0, 0x7f800001
	s_and_saveexec_b64 s[34:35], s[8:9]
	s_cbranch_execz .LBB401_304
; %bb.303:                              ;   in Loop: Header=BB401_10 Depth=1
	v_and_b32_e32 v2, 7, v30
	v_ffbh_u32_e32 v0, v2
	v_min_u32_e32 v6, 32, v0
	v_subrev_u32_e32 v0, 28, v6
	v_lshrrev_b32_e32 v3, 3, v1
	v_cmp_gt_u32_e64 s[8:9], 8, v1
	v_lshlrev_b64 v[0:1], v0, v[30:31]
	v_sub_u32_e32 v1, 29, v6
	v_and_b32_e32 v0, 7, v0
	v_cndmask_b32_e64 v1, v3, v1, s[8:9]
	v_cndmask_b32_e64 v0, v2, v0, s[8:9]
	v_lshlrev_b32_e32 v2, 16, v28
	v_lshlrev_b32_e32 v0, 20, v0
	v_and_b32_e32 v2, 0x80000000, v2
	v_lshl_add_u32 v1, v1, 23, v39
	v_or3_b32 v0, v2, v1, v0
.LBB401_304:                            ;   in Loop: Header=BB401_10 Depth=1
	s_or_b64 exec, exec, s[34:35]
.LBB401_305:                            ;   in Loop: Header=BB401_10 Depth=1
	s_or_b64 exec, exec, s[30:31]
.LBB401_306:                            ;   in Loop: Header=BB401_10 Depth=1
	s_or_b64 exec, exec, s[28:29]
	v_mul_f32_e32 v0, v35, v0
	v_and_b32_e32 v1, 0x7f800000, v0
	v_cmp_ne_u32_e64 s[8:9], s38, v1
                                        ; implicit-def: $agpr48
	s_and_saveexec_b64 s[28:29], s[8:9]
	s_xor_b64 s[8:9], exec, s[28:29]
; %bb.307:                              ;   in Loop: Header=BB401_10 Depth=1
	v_bfe_u32 v1, v0, 16, 1
	v_add3_u32 v0, v0, v1, s39
	v_accvgpr_write_b32 a48, v0
                                        ; implicit-def: $vgpr0
; %bb.308:                              ;   in Loop: Header=BB401_10 Depth=1
	s_andn2_saveexec_b64 s[28:29], s[8:9]
; %bb.309:                              ;   in Loop: Header=BB401_10 Depth=1
	v_or_b32_e32 v1, 0x10000, v0
	v_cmp_eq_u32_sdwa s[8:9], v0, v62 src0_sel:WORD_0 src1_sel:DWORD
	v_cndmask_b32_e64 v0, v1, v0, s[8:9]
	v_accvgpr_write_b32 a48, v0
; %bb.310:                              ;   in Loop: Header=BB401_10 Depth=1
	s_or_b64 exec, exec, s[28:29]
	v_lshrrev_b32_e32 v30, 16, v28
	v_cmp_ne_u16_sdwa s[8:9], v30, v62 src0_sel:BYTE_0 src1_sel:DWORD
	v_mov_b32_e32 v0, 0
	s_and_saveexec_b64 s[28:29], s[8:9]
	s_cbranch_execz .LBB401_316
; %bb.311:                              ;   in Loop: Header=BB401_10 Depth=1
	v_cmp_ne_u16_sdwa s[8:9], v30, s21 src0_sel:BYTE_0 src1_sel:DWORD
	v_bfrev_b32_e32 v0, 1
	s_and_saveexec_b64 s[30:31], s[8:9]
	s_cbranch_execz .LBB401_315
; %bb.312:                              ;   in Loop: Header=BB401_10 Depth=1
	v_bfe_u32 v1, v28, 16, 7
	v_cmp_ne_u32_e64 s[8:9], s37, v1
	v_mov_b32_e32 v0, 0x7f800001
	s_and_saveexec_b64 s[34:35], s[8:9]
	s_cbranch_execz .LBB401_314
; %bb.313:                              ;   in Loop: Header=BB401_10 Depth=1
	v_and_b32_e32 v2, 7, v30
	v_ffbh_u32_e32 v0, v2
	v_min_u32_e32 v6, 32, v0
	v_subrev_u32_e32 v0, 28, v6
	v_lshrrev_b32_e32 v3, 3, v1
	v_cmp_gt_u32_e64 s[8:9], 8, v1
	v_lshlrev_b64 v[0:1], v0, v[30:31]
	v_sub_u32_e32 v1, 29, v6
	v_and_b32_e32 v0, 7, v0
	v_cndmask_b32_e64 v1, v3, v1, s[8:9]
	v_cndmask_b32_e64 v0, v2, v0, s[8:9]
	v_lshlrev_b32_e32 v2, 24, v30
	v_lshlrev_b32_e32 v0, 20, v0
	v_and_b32_e32 v2, 0x80000000, v2
	v_lshl_add_u32 v1, v1, 23, v39
	v_or3_b32 v0, v2, v1, v0
.LBB401_314:                            ;   in Loop: Header=BB401_10 Depth=1
	s_or_b64 exec, exec, s[34:35]
.LBB401_315:                            ;   in Loop: Header=BB401_10 Depth=1
	s_or_b64 exec, exec, s[30:31]
.LBB401_316:                            ;   in Loop: Header=BB401_10 Depth=1
	s_or_b64 exec, exec, s[28:29]
	v_mul_f32_e32 v0, v35, v0
	v_and_b32_e32 v1, 0x7f800000, v0
	v_cmp_ne_u32_e64 s[8:9], s38, v1
                                        ; implicit-def: $agpr49
	s_and_saveexec_b64 s[28:29], s[8:9]
	s_xor_b64 s[8:9], exec, s[28:29]
; %bb.317:                              ;   in Loop: Header=BB401_10 Depth=1
	v_bfe_u32 v1, v0, 16, 1
	v_add3_u32 v0, v0, v1, s39
	v_accvgpr_write_b32 a49, v0
                                        ; implicit-def: $vgpr0
; %bb.318:                              ;   in Loop: Header=BB401_10 Depth=1
	s_andn2_saveexec_b64 s[28:29], s[8:9]
; %bb.319:                              ;   in Loop: Header=BB401_10 Depth=1
	v_or_b32_e32 v1, 0x10000, v0
	v_cmp_eq_u32_sdwa s[8:9], v0, v62 src0_sel:WORD_0 src1_sel:DWORD
	v_cndmask_b32_e64 v0, v1, v0, s[8:9]
	v_accvgpr_write_b32 a49, v0
; %bb.320:                              ;   in Loop: Header=BB401_10 Depth=1
	s_or_b64 exec, exec, s[28:29]
	v_cmp_lt_u32_e64 s[8:9], s40, v28
	v_mov_b32_e32 v0, 0
	s_and_saveexec_b64 s[28:29], s[8:9]
	s_cbranch_execz .LBB401_326
; %bb.321:                              ;   in Loop: Header=BB401_10 Depth=1
	v_lshrrev_b32_e32 v30, 24, v28
	v_cmp_ne_u32_e64 s[8:9], s21, v30
	v_bfrev_b32_e32 v0, 1
	s_and_saveexec_b64 s[30:31], s[8:9]
	s_cbranch_execz .LBB401_325
; %bb.322:                              ;   in Loop: Header=BB401_10 Depth=1
	v_bfe_u32 v1, v28, 24, 7
	v_cmp_ne_u32_e64 s[8:9], s37, v1
	v_mov_b32_e32 v0, 0x7f800001
	s_and_saveexec_b64 s[34:35], s[8:9]
	s_cbranch_execz .LBB401_324
; %bb.323:                              ;   in Loop: Header=BB401_10 Depth=1
	v_and_b32_e32 v2, 7, v30
	v_ffbh_u32_e32 v0, v2
	v_min_u32_e32 v6, 32, v0
	v_subrev_u32_e32 v0, 28, v6
	v_lshrrev_b32_e32 v3, 3, v1
	v_cmp_gt_u32_e64 s[8:9], 8, v1
	v_lshlrev_b64 v[0:1], v0, v[30:31]
	v_sub_u32_e32 v1, 29, v6
	v_and_b32_e32 v0, 7, v0
	v_cndmask_b32_e64 v1, v3, v1, s[8:9]
	v_cndmask_b32_e64 v0, v2, v0, s[8:9]
	v_lshlrev_b32_e32 v2, 24, v30
	v_lshlrev_b32_e32 v0, 20, v0
	v_and_b32_e32 v2, 0x80000000, v2
	v_lshl_add_u32 v1, v1, 23, v39
	v_or3_b32 v0, v2, v1, v0
.LBB401_324:                            ;   in Loop: Header=BB401_10 Depth=1
	s_or_b64 exec, exec, s[34:35]
.LBB401_325:                            ;   in Loop: Header=BB401_10 Depth=1
	s_or_b64 exec, exec, s[30:31]
.LBB401_326:                            ;   in Loop: Header=BB401_10 Depth=1
	s_or_b64 exec, exec, s[28:29]
	v_mul_f32_e32 v0, v35, v0
	v_and_b32_e32 v1, 0x7f800000, v0
	v_cmp_ne_u32_e64 s[8:9], s38, v1
                                        ; implicit-def: $agpr50
	s_and_saveexec_b64 s[28:29], s[8:9]
	s_xor_b64 s[8:9], exec, s[28:29]
; %bb.327:                              ;   in Loop: Header=BB401_10 Depth=1
	v_bfe_u32 v1, v0, 16, 1
	v_add3_u32 v0, v0, v1, s39
	v_accvgpr_write_b32 a50, v0
                                        ; implicit-def: $vgpr0
; %bb.328:                              ;   in Loop: Header=BB401_10 Depth=1
	s_andn2_saveexec_b64 s[28:29], s[8:9]
; %bb.329:                              ;   in Loop: Header=BB401_10 Depth=1
	v_or_b32_e32 v1, 0x10000, v0
	v_cmp_eq_u32_sdwa s[8:9], v0, v62 src0_sel:WORD_0 src1_sel:DWORD
	v_cndmask_b32_e64 v0, v1, v0, s[8:9]
	v_accvgpr_write_b32 a50, v0
; %bb.330:                              ;   in Loop: Header=BB401_10 Depth=1
	s_or_b64 exec, exec, s[28:29]
	flat_load_dword v28, v[20:21] offset:2048
	v_mov_b32_e32 v0, 0
	s_waitcnt vmcnt(0) lgkmcnt(0)
	v_cmp_ne_u16_sdwa s[8:9], v28, v62 src0_sel:BYTE_0 src1_sel:DWORD
	s_and_saveexec_b64 s[28:29], s[8:9]
	s_cbranch_execz .LBB401_336
; %bb.331:                              ;   in Loop: Header=BB401_10 Depth=1
	v_cmp_ne_u16_sdwa s[8:9], v28, s21 src0_sel:BYTE_0 src1_sel:DWORD
	v_bfrev_b32_e32 v0, 1
	s_and_saveexec_b64 s[30:31], s[8:9]
	s_cbranch_execz .LBB401_335
; %bb.332:                              ;   in Loop: Header=BB401_10 Depth=1
	v_and_b32_e32 v1, 0x7f, v28
	v_cmp_ne_u32_e64 s[8:9], s37, v1
	v_mov_b32_e32 v0, 0x7f800001
	s_and_saveexec_b64 s[34:35], s[8:9]
	s_cbranch_execz .LBB401_334
; %bb.333:                              ;   in Loop: Header=BB401_10 Depth=1
	v_and_b32_e32 v2, 7, v28
	v_ffbh_u32_e32 v0, v2
	v_min_u32_e32 v6, 32, v0
	v_subrev_u32_e32 v0, 28, v6
	v_lshrrev_b32_e32 v3, 3, v1
	v_cmp_gt_u32_e64 s[8:9], 8, v1
	v_lshlrev_b64 v[0:1], v0, v[28:29]
	v_sub_u32_e32 v1, 29, v6
	v_and_b32_e32 v0, 7, v0
	v_cndmask_b32_e64 v1, v3, v1, s[8:9]
	v_cndmask_b32_e64 v0, v2, v0, s[8:9]
	v_lshlrev_b32_e32 v2, 24, v28
	v_lshlrev_b32_e32 v0, 20, v0
	v_and_b32_e32 v2, 0x80000000, v2
	v_lshl_add_u32 v1, v1, 23, v39
	v_or3_b32 v0, v2, v1, v0
.LBB401_334:                            ;   in Loop: Header=BB401_10 Depth=1
	s_or_b64 exec, exec, s[34:35]
.LBB401_335:                            ;   in Loop: Header=BB401_10 Depth=1
	s_or_b64 exec, exec, s[30:31]
.LBB401_336:                            ;   in Loop: Header=BB401_10 Depth=1
	s_or_b64 exec, exec, s[28:29]
	v_mul_f32_e32 v0, v35, v0
	v_and_b32_e32 v1, 0x7f800000, v0
	v_cmp_ne_u32_e64 s[8:9], s38, v1
                                        ; implicit-def: $vgpr45
	s_and_saveexec_b64 s[28:29], s[8:9]
	s_xor_b64 s[8:9], exec, s[28:29]
; %bb.337:                              ;   in Loop: Header=BB401_10 Depth=1
	v_bfe_u32 v1, v0, 16, 1
	v_add3_u32 v45, v0, v1, s39
                                        ; implicit-def: $vgpr0
; %bb.338:                              ;   in Loop: Header=BB401_10 Depth=1
	s_andn2_saveexec_b64 s[28:29], s[8:9]
; %bb.339:                              ;   in Loop: Header=BB401_10 Depth=1
	v_or_b32_e32 v1, 0x10000, v0
	v_cmp_eq_u32_sdwa s[8:9], v0, v62 src0_sel:WORD_0 src1_sel:DWORD
	v_cndmask_b32_e64 v45, v1, v0, s[8:9]
; %bb.340:                              ;   in Loop: Header=BB401_10 Depth=1
	s_or_b64 exec, exec, s[28:29]
	v_lshrrev_b16_e32 v30, 8, v28
	v_cmp_ne_u16_e64 s[8:9], 0, v30
	v_mov_b32_e32 v0, 0
	s_and_saveexec_b64 s[28:29], s[8:9]
	s_cbranch_execz .LBB401_346
; %bb.341:                              ;   in Loop: Header=BB401_10 Depth=1
	v_cmp_ne_u16_e64 s[8:9], s21, v30
	v_bfrev_b32_e32 v0, 1
	s_and_saveexec_b64 s[30:31], s[8:9]
	s_cbranch_execz .LBB401_345
; %bb.342:                              ;   in Loop: Header=BB401_10 Depth=1
	v_and_b32_e32 v1, 0x7f, v30
	v_cmp_ne_u32_e64 s[8:9], s37, v1
	v_mov_b32_e32 v0, 0x7f800001
	s_and_saveexec_b64 s[34:35], s[8:9]
	s_cbranch_execz .LBB401_344
; %bb.343:                              ;   in Loop: Header=BB401_10 Depth=1
	v_and_b32_e32 v2, 7, v30
	v_ffbh_u32_e32 v0, v2
	v_min_u32_e32 v6, 32, v0
	v_subrev_u32_e32 v0, 28, v6
	v_lshrrev_b32_e32 v3, 3, v1
	v_cmp_gt_u32_e64 s[8:9], 8, v1
	v_lshlrev_b64 v[0:1], v0, v[30:31]
	v_sub_u32_e32 v1, 29, v6
	v_and_b32_e32 v0, 7, v0
	v_cndmask_b32_e64 v1, v3, v1, s[8:9]
	v_cndmask_b32_e64 v0, v2, v0, s[8:9]
	v_lshlrev_b32_e32 v2, 16, v28
	v_lshlrev_b32_e32 v0, 20, v0
	v_and_b32_e32 v2, 0x80000000, v2
	v_lshl_add_u32 v1, v1, 23, v39
	v_or3_b32 v0, v2, v1, v0
.LBB401_344:                            ;   in Loop: Header=BB401_10 Depth=1
	s_or_b64 exec, exec, s[34:35]
.LBB401_345:                            ;   in Loop: Header=BB401_10 Depth=1
	s_or_b64 exec, exec, s[30:31]
.LBB401_346:                            ;   in Loop: Header=BB401_10 Depth=1
	s_or_b64 exec, exec, s[28:29]
	v_mul_f32_e32 v0, v35, v0
	v_and_b32_e32 v1, 0x7f800000, v0
	v_cmp_ne_u32_e64 s[8:9], s38, v1
                                        ; implicit-def: $vgpr46
	s_and_saveexec_b64 s[28:29], s[8:9]
	s_xor_b64 s[8:9], exec, s[28:29]
; %bb.347:                              ;   in Loop: Header=BB401_10 Depth=1
	v_bfe_u32 v1, v0, 16, 1
	v_add3_u32 v46, v0, v1, s39
                                        ; implicit-def: $vgpr0
; %bb.348:                              ;   in Loop: Header=BB401_10 Depth=1
	s_andn2_saveexec_b64 s[28:29], s[8:9]
; %bb.349:                              ;   in Loop: Header=BB401_10 Depth=1
	v_or_b32_e32 v1, 0x10000, v0
	v_cmp_eq_u32_sdwa s[8:9], v0, v62 src0_sel:WORD_0 src1_sel:DWORD
	v_cndmask_b32_e64 v46, v1, v0, s[8:9]
; %bb.350:                              ;   in Loop: Header=BB401_10 Depth=1
	s_or_b64 exec, exec, s[28:29]
	v_lshrrev_b32_e32 v30, 16, v28
	v_cmp_ne_u16_sdwa s[8:9], v30, v62 src0_sel:BYTE_0 src1_sel:DWORD
	v_mov_b32_e32 v0, 0
	s_and_saveexec_b64 s[28:29], s[8:9]
	s_cbranch_execz .LBB401_356
; %bb.351:                              ;   in Loop: Header=BB401_10 Depth=1
	v_cmp_ne_u16_sdwa s[8:9], v30, s21 src0_sel:BYTE_0 src1_sel:DWORD
	v_bfrev_b32_e32 v0, 1
	s_and_saveexec_b64 s[30:31], s[8:9]
	s_cbranch_execz .LBB401_355
; %bb.352:                              ;   in Loop: Header=BB401_10 Depth=1
	v_bfe_u32 v1, v28, 16, 7
	v_cmp_ne_u32_e64 s[8:9], s37, v1
	v_mov_b32_e32 v0, 0x7f800001
	s_and_saveexec_b64 s[34:35], s[8:9]
	s_cbranch_execz .LBB401_354
; %bb.353:                              ;   in Loop: Header=BB401_10 Depth=1
	v_and_b32_e32 v2, 7, v30
	v_ffbh_u32_e32 v0, v2
	v_min_u32_e32 v6, 32, v0
	v_subrev_u32_e32 v0, 28, v6
	v_lshrrev_b32_e32 v3, 3, v1
	v_cmp_gt_u32_e64 s[8:9], 8, v1
	v_lshlrev_b64 v[0:1], v0, v[30:31]
	v_sub_u32_e32 v1, 29, v6
	v_and_b32_e32 v0, 7, v0
	v_cndmask_b32_e64 v1, v3, v1, s[8:9]
	v_cndmask_b32_e64 v0, v2, v0, s[8:9]
	v_lshlrev_b32_e32 v2, 24, v30
	v_lshlrev_b32_e32 v0, 20, v0
	v_and_b32_e32 v2, 0x80000000, v2
	v_lshl_add_u32 v1, v1, 23, v39
	v_or3_b32 v0, v2, v1, v0
.LBB401_354:                            ;   in Loop: Header=BB401_10 Depth=1
	s_or_b64 exec, exec, s[34:35]
.LBB401_355:                            ;   in Loop: Header=BB401_10 Depth=1
	s_or_b64 exec, exec, s[30:31]
.LBB401_356:                            ;   in Loop: Header=BB401_10 Depth=1
	s_or_b64 exec, exec, s[28:29]
	v_mul_f32_e32 v0, v35, v0
	v_and_b32_e32 v1, 0x7f800000, v0
	v_cmp_ne_u32_e64 s[8:9], s38, v1
                                        ; implicit-def: $vgpr47
	s_and_saveexec_b64 s[28:29], s[8:9]
	s_xor_b64 s[8:9], exec, s[28:29]
; %bb.357:                              ;   in Loop: Header=BB401_10 Depth=1
	v_bfe_u32 v1, v0, 16, 1
	v_add3_u32 v47, v0, v1, s39
                                        ; implicit-def: $vgpr0
; %bb.358:                              ;   in Loop: Header=BB401_10 Depth=1
	s_andn2_saveexec_b64 s[28:29], s[8:9]
; %bb.359:                              ;   in Loop: Header=BB401_10 Depth=1
	v_or_b32_e32 v1, 0x10000, v0
	v_cmp_eq_u32_sdwa s[8:9], v0, v62 src0_sel:WORD_0 src1_sel:DWORD
	v_cndmask_b32_e64 v47, v1, v0, s[8:9]
; %bb.360:                              ;   in Loop: Header=BB401_10 Depth=1
	s_or_b64 exec, exec, s[28:29]
	v_cmp_lt_u32_e64 s[8:9], s40, v28
	v_mov_b32_e32 v0, 0
	s_and_saveexec_b64 s[28:29], s[8:9]
	s_cbranch_execz .LBB401_366
; %bb.361:                              ;   in Loop: Header=BB401_10 Depth=1
	v_lshrrev_b32_e32 v30, 24, v28
	v_cmp_ne_u32_e64 s[8:9], s21, v30
	v_bfrev_b32_e32 v0, 1
	s_and_saveexec_b64 s[30:31], s[8:9]
	s_cbranch_execz .LBB401_365
; %bb.362:                              ;   in Loop: Header=BB401_10 Depth=1
	v_bfe_u32 v1, v28, 24, 7
	v_cmp_ne_u32_e64 s[8:9], s37, v1
	v_mov_b32_e32 v0, 0x7f800001
	s_and_saveexec_b64 s[34:35], s[8:9]
	s_cbranch_execz .LBB401_364
; %bb.363:                              ;   in Loop: Header=BB401_10 Depth=1
	v_and_b32_e32 v2, 7, v30
	v_ffbh_u32_e32 v0, v2
	v_min_u32_e32 v6, 32, v0
	v_subrev_u32_e32 v0, 28, v6
	v_lshrrev_b32_e32 v3, 3, v1
	v_cmp_gt_u32_e64 s[8:9], 8, v1
	v_lshlrev_b64 v[0:1], v0, v[30:31]
	v_sub_u32_e32 v1, 29, v6
	v_and_b32_e32 v0, 7, v0
	v_cndmask_b32_e64 v1, v3, v1, s[8:9]
	v_cndmask_b32_e64 v0, v2, v0, s[8:9]
	v_lshlrev_b32_e32 v2, 24, v30
	v_lshlrev_b32_e32 v0, 20, v0
	v_and_b32_e32 v2, 0x80000000, v2
	v_lshl_add_u32 v1, v1, 23, v39
	v_or3_b32 v0, v2, v1, v0
.LBB401_364:                            ;   in Loop: Header=BB401_10 Depth=1
	s_or_b64 exec, exec, s[34:35]
.LBB401_365:                            ;   in Loop: Header=BB401_10 Depth=1
	s_or_b64 exec, exec, s[30:31]
.LBB401_366:                            ;   in Loop: Header=BB401_10 Depth=1
	s_or_b64 exec, exec, s[28:29]
	v_mul_f32_e32 v0, v35, v0
	v_and_b32_e32 v1, 0x7f800000, v0
	v_cmp_ne_u32_e64 s[8:9], s38, v1
                                        ; implicit-def: $vgpr56
	s_and_saveexec_b64 s[28:29], s[8:9]
	s_xor_b64 s[8:9], exec, s[28:29]
; %bb.367:                              ;   in Loop: Header=BB401_10 Depth=1
	v_bfe_u32 v1, v0, 16, 1
	v_add3_u32 v56, v0, v1, s39
                                        ; implicit-def: $vgpr0
; %bb.368:                              ;   in Loop: Header=BB401_10 Depth=1
	s_andn2_saveexec_b64 s[28:29], s[8:9]
; %bb.369:                              ;   in Loop: Header=BB401_10 Depth=1
	v_or_b32_e32 v1, 0x10000, v0
	v_cmp_eq_u32_sdwa s[8:9], v0, v62 src0_sel:WORD_0 src1_sel:DWORD
	v_cndmask_b32_e64 v56, v1, v0, s[8:9]
; %bb.370:                              ;   in Loop: Header=BB401_10 Depth=1
	s_or_b64 exec, exec, s[28:29]
	flat_load_dword v28, v[20:21] offset:2056
	v_mov_b32_e32 v0, 0
	s_waitcnt vmcnt(0) lgkmcnt(0)
	v_cmp_ne_u16_sdwa s[8:9], v28, v62 src0_sel:BYTE_0 src1_sel:DWORD
	s_and_saveexec_b64 s[28:29], s[8:9]
	s_cbranch_execz .LBB401_376
; %bb.371:                              ;   in Loop: Header=BB401_10 Depth=1
	v_cmp_ne_u16_sdwa s[8:9], v28, s21 src0_sel:BYTE_0 src1_sel:DWORD
	v_bfrev_b32_e32 v0, 1
	s_and_saveexec_b64 s[30:31], s[8:9]
	s_cbranch_execz .LBB401_375
; %bb.372:                              ;   in Loop: Header=BB401_10 Depth=1
	v_and_b32_e32 v1, 0x7f, v28
	v_cmp_ne_u32_e64 s[8:9], s37, v1
	v_mov_b32_e32 v0, 0x7f800001
	s_and_saveexec_b64 s[34:35], s[8:9]
	s_cbranch_execz .LBB401_374
; %bb.373:                              ;   in Loop: Header=BB401_10 Depth=1
	v_and_b32_e32 v2, 7, v28
	v_ffbh_u32_e32 v0, v2
	v_min_u32_e32 v6, 32, v0
	v_subrev_u32_e32 v0, 28, v6
	v_lshrrev_b32_e32 v3, 3, v1
	v_cmp_gt_u32_e64 s[8:9], 8, v1
	v_lshlrev_b64 v[0:1], v0, v[28:29]
	v_sub_u32_e32 v1, 29, v6
	v_and_b32_e32 v0, 7, v0
	v_cndmask_b32_e64 v1, v3, v1, s[8:9]
	v_cndmask_b32_e64 v0, v2, v0, s[8:9]
	v_lshlrev_b32_e32 v2, 24, v28
	v_lshlrev_b32_e32 v0, 20, v0
	v_and_b32_e32 v2, 0x80000000, v2
	v_lshl_add_u32 v1, v1, 23, v39
	v_or3_b32 v0, v2, v1, v0
.LBB401_374:                            ;   in Loop: Header=BB401_10 Depth=1
	s_or_b64 exec, exec, s[34:35]
.LBB401_375:                            ;   in Loop: Header=BB401_10 Depth=1
	s_or_b64 exec, exec, s[30:31]
.LBB401_376:                            ;   in Loop: Header=BB401_10 Depth=1
	s_or_b64 exec, exec, s[28:29]
	v_mul_f32_e32 v0, v35, v0
	v_and_b32_e32 v1, 0x7f800000, v0
	v_cmp_ne_u32_e64 s[8:9], s38, v1
                                        ; implicit-def: $vgpr57
	s_and_saveexec_b64 s[28:29], s[8:9]
	s_xor_b64 s[8:9], exec, s[28:29]
; %bb.377:                              ;   in Loop: Header=BB401_10 Depth=1
	v_bfe_u32 v1, v0, 16, 1
	v_add3_u32 v57, v0, v1, s39
                                        ; implicit-def: $vgpr0
; %bb.378:                              ;   in Loop: Header=BB401_10 Depth=1
	s_andn2_saveexec_b64 s[28:29], s[8:9]
; %bb.379:                              ;   in Loop: Header=BB401_10 Depth=1
	v_or_b32_e32 v1, 0x10000, v0
	v_cmp_eq_u32_sdwa s[8:9], v0, v62 src0_sel:WORD_0 src1_sel:DWORD
	v_cndmask_b32_e64 v57, v1, v0, s[8:9]
; %bb.380:                              ;   in Loop: Header=BB401_10 Depth=1
	s_or_b64 exec, exec, s[28:29]
	v_lshrrev_b16_e32 v30, 8, v28
	v_cmp_ne_u16_e64 s[8:9], 0, v30
	v_mov_b32_e32 v0, 0
	s_and_saveexec_b64 s[28:29], s[8:9]
	s_cbranch_execz .LBB401_386
; %bb.381:                              ;   in Loop: Header=BB401_10 Depth=1
	v_cmp_ne_u16_e64 s[8:9], s21, v30
	v_bfrev_b32_e32 v0, 1
	s_and_saveexec_b64 s[30:31], s[8:9]
	s_cbranch_execz .LBB401_385
; %bb.382:                              ;   in Loop: Header=BB401_10 Depth=1
	v_and_b32_e32 v1, 0x7f, v30
	v_cmp_ne_u32_e64 s[8:9], s37, v1
	v_mov_b32_e32 v0, 0x7f800001
	s_and_saveexec_b64 s[34:35], s[8:9]
	s_cbranch_execz .LBB401_384
; %bb.383:                              ;   in Loop: Header=BB401_10 Depth=1
	v_and_b32_e32 v2, 7, v30
	v_ffbh_u32_e32 v0, v2
	v_min_u32_e32 v6, 32, v0
	v_subrev_u32_e32 v0, 28, v6
	v_lshrrev_b32_e32 v3, 3, v1
	v_cmp_gt_u32_e64 s[8:9], 8, v1
	v_lshlrev_b64 v[0:1], v0, v[30:31]
	v_sub_u32_e32 v1, 29, v6
	v_and_b32_e32 v0, 7, v0
	v_cndmask_b32_e64 v1, v3, v1, s[8:9]
	v_cndmask_b32_e64 v0, v2, v0, s[8:9]
	v_lshlrev_b32_e32 v2, 16, v28
	v_lshlrev_b32_e32 v0, 20, v0
	v_and_b32_e32 v2, 0x80000000, v2
	v_lshl_add_u32 v1, v1, 23, v39
	v_or3_b32 v0, v2, v1, v0
.LBB401_384:                            ;   in Loop: Header=BB401_10 Depth=1
	s_or_b64 exec, exec, s[34:35]
.LBB401_385:                            ;   in Loop: Header=BB401_10 Depth=1
	s_or_b64 exec, exec, s[30:31]
.LBB401_386:                            ;   in Loop: Header=BB401_10 Depth=1
	s_or_b64 exec, exec, s[28:29]
	v_mul_f32_e32 v0, v35, v0
	v_and_b32_e32 v1, 0x7f800000, v0
	v_cmp_ne_u32_e64 s[8:9], s38, v1
                                        ; implicit-def: $vgpr58
	s_and_saveexec_b64 s[28:29], s[8:9]
	s_xor_b64 s[8:9], exec, s[28:29]
; %bb.387:                              ;   in Loop: Header=BB401_10 Depth=1
	v_bfe_u32 v1, v0, 16, 1
	v_add3_u32 v58, v0, v1, s39
                                        ; implicit-def: $vgpr0
; %bb.388:                              ;   in Loop: Header=BB401_10 Depth=1
	s_andn2_saveexec_b64 s[28:29], s[8:9]
; %bb.389:                              ;   in Loop: Header=BB401_10 Depth=1
	v_or_b32_e32 v1, 0x10000, v0
	v_cmp_eq_u32_sdwa s[8:9], v0, v62 src0_sel:WORD_0 src1_sel:DWORD
	v_cndmask_b32_e64 v58, v1, v0, s[8:9]
; %bb.390:                              ;   in Loop: Header=BB401_10 Depth=1
	s_or_b64 exec, exec, s[28:29]
	v_lshrrev_b32_e32 v30, 16, v28
	v_cmp_ne_u16_sdwa s[8:9], v30, v62 src0_sel:BYTE_0 src1_sel:DWORD
	v_mov_b32_e32 v0, 0
	s_and_saveexec_b64 s[28:29], s[8:9]
	s_cbranch_execz .LBB401_396
; %bb.391:                              ;   in Loop: Header=BB401_10 Depth=1
	v_cmp_ne_u16_sdwa s[8:9], v30, s21 src0_sel:BYTE_0 src1_sel:DWORD
	v_bfrev_b32_e32 v0, 1
	s_and_saveexec_b64 s[30:31], s[8:9]
	s_cbranch_execz .LBB401_395
; %bb.392:                              ;   in Loop: Header=BB401_10 Depth=1
	v_bfe_u32 v1, v28, 16, 7
	v_cmp_ne_u32_e64 s[8:9], s37, v1
	v_mov_b32_e32 v0, 0x7f800001
	s_and_saveexec_b64 s[34:35], s[8:9]
	s_cbranch_execz .LBB401_394
; %bb.393:                              ;   in Loop: Header=BB401_10 Depth=1
	v_and_b32_e32 v2, 7, v30
	v_ffbh_u32_e32 v0, v2
	v_min_u32_e32 v6, 32, v0
	v_subrev_u32_e32 v0, 28, v6
	v_lshrrev_b32_e32 v3, 3, v1
	v_cmp_gt_u32_e64 s[8:9], 8, v1
	v_lshlrev_b64 v[0:1], v0, v[30:31]
	v_sub_u32_e32 v1, 29, v6
	v_and_b32_e32 v0, 7, v0
	v_cndmask_b32_e64 v1, v3, v1, s[8:9]
	v_cndmask_b32_e64 v0, v2, v0, s[8:9]
	v_lshlrev_b32_e32 v2, 24, v30
	v_lshlrev_b32_e32 v0, 20, v0
	v_and_b32_e32 v2, 0x80000000, v2
	v_lshl_add_u32 v1, v1, 23, v39
	v_or3_b32 v0, v2, v1, v0
.LBB401_394:                            ;   in Loop: Header=BB401_10 Depth=1
	s_or_b64 exec, exec, s[34:35]
.LBB401_395:                            ;   in Loop: Header=BB401_10 Depth=1
	s_or_b64 exec, exec, s[30:31]
.LBB401_396:                            ;   in Loop: Header=BB401_10 Depth=1
	s_or_b64 exec, exec, s[28:29]
	v_mul_f32_e32 v0, v35, v0
	v_and_b32_e32 v1, 0x7f800000, v0
	v_cmp_ne_u32_e64 s[8:9], s38, v1
                                        ; implicit-def: $vgpr60
	s_and_saveexec_b64 s[28:29], s[8:9]
	s_xor_b64 s[8:9], exec, s[28:29]
; %bb.397:                              ;   in Loop: Header=BB401_10 Depth=1
	v_bfe_u32 v1, v0, 16, 1
	v_add3_u32 v60, v0, v1, s39
                                        ; implicit-def: $vgpr0
; %bb.398:                              ;   in Loop: Header=BB401_10 Depth=1
	s_andn2_saveexec_b64 s[28:29], s[8:9]
; %bb.399:                              ;   in Loop: Header=BB401_10 Depth=1
	v_or_b32_e32 v1, 0x10000, v0
	v_cmp_eq_u32_sdwa s[8:9], v0, v62 src0_sel:WORD_0 src1_sel:DWORD
	v_cndmask_b32_e64 v60, v1, v0, s[8:9]
; %bb.400:                              ;   in Loop: Header=BB401_10 Depth=1
	s_or_b64 exec, exec, s[28:29]
	v_cmp_lt_u32_e64 s[8:9], s40, v28
	v_mov_b32_e32 v0, 0
	s_and_saveexec_b64 s[28:29], s[8:9]
	s_cbranch_execz .LBB401_406
; %bb.401:                              ;   in Loop: Header=BB401_10 Depth=1
	v_lshrrev_b32_e32 v30, 24, v28
	v_cmp_ne_u32_e64 s[8:9], s21, v30
	v_bfrev_b32_e32 v0, 1
	s_and_saveexec_b64 s[30:31], s[8:9]
	s_cbranch_execz .LBB401_405
; %bb.402:                              ;   in Loop: Header=BB401_10 Depth=1
	v_bfe_u32 v1, v28, 24, 7
	v_cmp_ne_u32_e64 s[8:9], s37, v1
	v_mov_b32_e32 v0, 0x7f800001
	s_and_saveexec_b64 s[34:35], s[8:9]
	s_cbranch_execz .LBB401_404
; %bb.403:                              ;   in Loop: Header=BB401_10 Depth=1
	v_and_b32_e32 v2, 7, v30
	v_ffbh_u32_e32 v0, v2
	v_min_u32_e32 v6, 32, v0
	v_subrev_u32_e32 v0, 28, v6
	v_lshrrev_b32_e32 v3, 3, v1
	v_cmp_gt_u32_e64 s[8:9], 8, v1
	v_lshlrev_b64 v[0:1], v0, v[30:31]
	v_sub_u32_e32 v1, 29, v6
	v_and_b32_e32 v0, 7, v0
	v_cndmask_b32_e64 v1, v3, v1, s[8:9]
	v_cndmask_b32_e64 v0, v2, v0, s[8:9]
	v_lshlrev_b32_e32 v2, 24, v30
	v_lshlrev_b32_e32 v0, 20, v0
	v_and_b32_e32 v2, 0x80000000, v2
	v_lshl_add_u32 v1, v1, 23, v39
	v_or3_b32 v0, v2, v1, v0
.LBB401_404:                            ;   in Loop: Header=BB401_10 Depth=1
	s_or_b64 exec, exec, s[34:35]
.LBB401_405:                            ;   in Loop: Header=BB401_10 Depth=1
	s_or_b64 exec, exec, s[30:31]
.LBB401_406:                            ;   in Loop: Header=BB401_10 Depth=1
	s_or_b64 exec, exec, s[28:29]
	v_mul_f32_e32 v0, v35, v0
	v_and_b32_e32 v1, 0x7f800000, v0
	v_cmp_ne_u32_e64 s[8:9], s38, v1
                                        ; implicit-def: $vgpr12
	s_and_saveexec_b64 s[28:29], s[8:9]
	s_xor_b64 s[8:9], exec, s[28:29]
; %bb.407:                              ;   in Loop: Header=BB401_10 Depth=1
	v_bfe_u32 v1, v0, 16, 1
	v_add3_u32 v12, v0, v1, s39
                                        ; implicit-def: $vgpr0
; %bb.408:                              ;   in Loop: Header=BB401_10 Depth=1
	s_andn2_saveexec_b64 s[28:29], s[8:9]
; %bb.409:                              ;   in Loop: Header=BB401_10 Depth=1
	v_or_b32_e32 v1, 0x10000, v0
	v_cmp_eq_u32_sdwa s[8:9], v0, v62 src0_sel:WORD_0 src1_sel:DWORD
	v_cndmask_b32_e64 v12, v1, v0, s[8:9]
; %bb.410:                              ;   in Loop: Header=BB401_10 Depth=1
	s_or_b64 exec, exec, s[28:29]
	flat_load_dword v28, v[20:21] offset:2560
	v_mov_b32_e32 v0, 0
	s_waitcnt vmcnt(0) lgkmcnt(0)
	v_cmp_ne_u16_sdwa s[8:9], v28, v62 src0_sel:BYTE_0 src1_sel:DWORD
	s_and_saveexec_b64 s[28:29], s[8:9]
	s_cbranch_execz .LBB401_416
; %bb.411:                              ;   in Loop: Header=BB401_10 Depth=1
	v_cmp_ne_u16_sdwa s[8:9], v28, s21 src0_sel:BYTE_0 src1_sel:DWORD
	v_bfrev_b32_e32 v0, 1
	s_and_saveexec_b64 s[30:31], s[8:9]
	s_cbranch_execz .LBB401_415
; %bb.412:                              ;   in Loop: Header=BB401_10 Depth=1
	v_and_b32_e32 v1, 0x7f, v28
	v_cmp_ne_u32_e64 s[8:9], s37, v1
	v_mov_b32_e32 v0, 0x7f800001
	s_and_saveexec_b64 s[34:35], s[8:9]
	s_cbranch_execz .LBB401_414
; %bb.413:                              ;   in Loop: Header=BB401_10 Depth=1
	v_and_b32_e32 v2, 7, v28
	v_ffbh_u32_e32 v0, v2
	v_min_u32_e32 v6, 32, v0
	v_subrev_u32_e32 v0, 28, v6
	v_lshrrev_b32_e32 v3, 3, v1
	v_cmp_gt_u32_e64 s[8:9], 8, v1
	v_lshlrev_b64 v[0:1], v0, v[28:29]
	v_sub_u32_e32 v1, 29, v6
	v_and_b32_e32 v0, 7, v0
	v_cndmask_b32_e64 v1, v3, v1, s[8:9]
	v_cndmask_b32_e64 v0, v2, v0, s[8:9]
	v_lshlrev_b32_e32 v2, 24, v28
	v_lshlrev_b32_e32 v0, 20, v0
	v_and_b32_e32 v2, 0x80000000, v2
	v_lshl_add_u32 v1, v1, 23, v39
	v_or3_b32 v0, v2, v1, v0
.LBB401_414:                            ;   in Loop: Header=BB401_10 Depth=1
	s_or_b64 exec, exec, s[34:35]
.LBB401_415:                            ;   in Loop: Header=BB401_10 Depth=1
	s_or_b64 exec, exec, s[30:31]
.LBB401_416:                            ;   in Loop: Header=BB401_10 Depth=1
	s_or_b64 exec, exec, s[28:29]
	v_mul_f32_e32 v0, v35, v0
	v_and_b32_e32 v1, 0x7f800000, v0
	v_cmp_ne_u32_e64 s[8:9], s38, v1
                                        ; implicit-def: $vgpr33
	s_and_saveexec_b64 s[28:29], s[8:9]
	s_xor_b64 s[8:9], exec, s[28:29]
; %bb.417:                              ;   in Loop: Header=BB401_10 Depth=1
	v_bfe_u32 v1, v0, 16, 1
	v_add3_u32 v33, v0, v1, s39
                                        ; implicit-def: $vgpr0
; %bb.418:                              ;   in Loop: Header=BB401_10 Depth=1
	s_andn2_saveexec_b64 s[28:29], s[8:9]
; %bb.419:                              ;   in Loop: Header=BB401_10 Depth=1
	v_or_b32_e32 v1, 0x10000, v0
	v_cmp_eq_u32_sdwa s[8:9], v0, v62 src0_sel:WORD_0 src1_sel:DWORD
	v_cndmask_b32_e64 v33, v1, v0, s[8:9]
; %bb.420:                              ;   in Loop: Header=BB401_10 Depth=1
	s_or_b64 exec, exec, s[28:29]
	v_lshrrev_b16_e32 v30, 8, v28
	v_cmp_ne_u16_e64 s[8:9], 0, v30
	v_mov_b32_e32 v0, 0
	s_and_saveexec_b64 s[28:29], s[8:9]
	s_cbranch_execz .LBB401_426
; %bb.421:                              ;   in Loop: Header=BB401_10 Depth=1
	v_cmp_ne_u16_e64 s[8:9], s21, v30
	v_bfrev_b32_e32 v0, 1
	s_and_saveexec_b64 s[30:31], s[8:9]
	s_cbranch_execz .LBB401_425
; %bb.422:                              ;   in Loop: Header=BB401_10 Depth=1
	v_and_b32_e32 v1, 0x7f, v30
	v_cmp_ne_u32_e64 s[8:9], s37, v1
	v_mov_b32_e32 v0, 0x7f800001
	s_and_saveexec_b64 s[34:35], s[8:9]
	s_cbranch_execz .LBB401_424
; %bb.423:                              ;   in Loop: Header=BB401_10 Depth=1
	v_and_b32_e32 v2, 7, v30
	v_ffbh_u32_e32 v0, v2
	v_min_u32_e32 v6, 32, v0
	v_subrev_u32_e32 v0, 28, v6
	v_lshrrev_b32_e32 v3, 3, v1
	v_cmp_gt_u32_e64 s[8:9], 8, v1
	v_lshlrev_b64 v[0:1], v0, v[30:31]
	v_sub_u32_e32 v1, 29, v6
	v_and_b32_e32 v0, 7, v0
	v_cndmask_b32_e64 v1, v3, v1, s[8:9]
	v_cndmask_b32_e64 v0, v2, v0, s[8:9]
	v_lshlrev_b32_e32 v2, 16, v28
	v_lshlrev_b32_e32 v0, 20, v0
	v_and_b32_e32 v2, 0x80000000, v2
	v_lshl_add_u32 v1, v1, 23, v39
	v_or3_b32 v0, v2, v1, v0
.LBB401_424:                            ;   in Loop: Header=BB401_10 Depth=1
	s_or_b64 exec, exec, s[34:35]
.LBB401_425:                            ;   in Loop: Header=BB401_10 Depth=1
	s_or_b64 exec, exec, s[30:31]
.LBB401_426:                            ;   in Loop: Header=BB401_10 Depth=1
	s_or_b64 exec, exec, s[28:29]
	v_mul_f32_e32 v0, v35, v0
	v_and_b32_e32 v1, 0x7f800000, v0
	v_cmp_ne_u32_e64 s[8:9], s38, v1
                                        ; implicit-def: $vgpr27
	s_and_saveexec_b64 s[28:29], s[8:9]
	s_xor_b64 s[8:9], exec, s[28:29]
; %bb.427:                              ;   in Loop: Header=BB401_10 Depth=1
	v_bfe_u32 v1, v0, 16, 1
	v_add3_u32 v27, v0, v1, s39
                                        ; implicit-def: $vgpr0
; %bb.428:                              ;   in Loop: Header=BB401_10 Depth=1
	s_andn2_saveexec_b64 s[28:29], s[8:9]
; %bb.429:                              ;   in Loop: Header=BB401_10 Depth=1
	v_or_b32_e32 v1, 0x10000, v0
	v_cmp_eq_u32_sdwa s[8:9], v0, v62 src0_sel:WORD_0 src1_sel:DWORD
	v_cndmask_b32_e64 v27, v1, v0, s[8:9]
; %bb.430:                              ;   in Loop: Header=BB401_10 Depth=1
	s_or_b64 exec, exec, s[28:29]
	v_lshrrev_b32_e32 v30, 16, v28
	v_cmp_ne_u16_sdwa s[8:9], v30, v62 src0_sel:BYTE_0 src1_sel:DWORD
	v_mov_b32_e32 v0, 0
	s_and_saveexec_b64 s[28:29], s[8:9]
	s_cbranch_execz .LBB401_436
; %bb.431:                              ;   in Loop: Header=BB401_10 Depth=1
	v_cmp_ne_u16_sdwa s[8:9], v30, s21 src0_sel:BYTE_0 src1_sel:DWORD
	v_bfrev_b32_e32 v0, 1
	s_and_saveexec_b64 s[30:31], s[8:9]
	s_cbranch_execz .LBB401_435
; %bb.432:                              ;   in Loop: Header=BB401_10 Depth=1
	v_bfe_u32 v1, v28, 16, 7
	v_cmp_ne_u32_e64 s[8:9], s37, v1
	v_mov_b32_e32 v0, 0x7f800001
	s_and_saveexec_b64 s[34:35], s[8:9]
	s_cbranch_execz .LBB401_434
; %bb.433:                              ;   in Loop: Header=BB401_10 Depth=1
	v_and_b32_e32 v2, 7, v30
	v_ffbh_u32_e32 v0, v2
	v_min_u32_e32 v6, 32, v0
	v_subrev_u32_e32 v0, 28, v6
	v_lshrrev_b32_e32 v3, 3, v1
	v_cmp_gt_u32_e64 s[8:9], 8, v1
	v_lshlrev_b64 v[0:1], v0, v[30:31]
	v_sub_u32_e32 v1, 29, v6
	v_and_b32_e32 v0, 7, v0
	v_cndmask_b32_e64 v1, v3, v1, s[8:9]
	v_cndmask_b32_e64 v0, v2, v0, s[8:9]
	v_lshlrev_b32_e32 v2, 24, v30
	v_lshlrev_b32_e32 v0, 20, v0
	v_and_b32_e32 v2, 0x80000000, v2
	v_lshl_add_u32 v1, v1, 23, v39
	v_or3_b32 v0, v2, v1, v0
.LBB401_434:                            ;   in Loop: Header=BB401_10 Depth=1
	s_or_b64 exec, exec, s[34:35]
.LBB401_435:                            ;   in Loop: Header=BB401_10 Depth=1
	s_or_b64 exec, exec, s[30:31]
.LBB401_436:                            ;   in Loop: Header=BB401_10 Depth=1
	s_or_b64 exec, exec, s[28:29]
	v_mul_f32_e32 v0, v35, v0
	v_and_b32_e32 v1, 0x7f800000, v0
	v_cmp_ne_u32_e64 s[8:9], s38, v1
                                        ; implicit-def: $vgpr34
	s_and_saveexec_b64 s[28:29], s[8:9]
	s_xor_b64 s[8:9], exec, s[28:29]
; %bb.437:                              ;   in Loop: Header=BB401_10 Depth=1
	v_bfe_u32 v1, v0, 16, 1
	v_add3_u32 v34, v0, v1, s39
                                        ; implicit-def: $vgpr0
; %bb.438:                              ;   in Loop: Header=BB401_10 Depth=1
	s_andn2_saveexec_b64 s[28:29], s[8:9]
; %bb.439:                              ;   in Loop: Header=BB401_10 Depth=1
	v_or_b32_e32 v1, 0x10000, v0
	v_cmp_eq_u32_sdwa s[8:9], v0, v62 src0_sel:WORD_0 src1_sel:DWORD
	v_cndmask_b32_e64 v34, v1, v0, s[8:9]
; %bb.440:                              ;   in Loop: Header=BB401_10 Depth=1
	s_or_b64 exec, exec, s[28:29]
	v_cmp_lt_u32_e64 s[8:9], s40, v28
	v_mov_b32_e32 v0, 0
	s_and_saveexec_b64 s[28:29], s[8:9]
	s_cbranch_execz .LBB401_446
; %bb.441:                              ;   in Loop: Header=BB401_10 Depth=1
	v_lshrrev_b32_e32 v30, 24, v28
	v_cmp_ne_u32_e64 s[8:9], s21, v30
	v_bfrev_b32_e32 v0, 1
	s_and_saveexec_b64 s[30:31], s[8:9]
	s_cbranch_execz .LBB401_445
; %bb.442:                              ;   in Loop: Header=BB401_10 Depth=1
	v_bfe_u32 v1, v28, 24, 7
	v_cmp_ne_u32_e64 s[8:9], s37, v1
	v_mov_b32_e32 v0, 0x7f800001
	s_and_saveexec_b64 s[34:35], s[8:9]
	s_cbranch_execz .LBB401_444
; %bb.443:                              ;   in Loop: Header=BB401_10 Depth=1
	v_and_b32_e32 v2, 7, v30
	v_ffbh_u32_e32 v0, v2
	v_min_u32_e32 v6, 32, v0
	v_subrev_u32_e32 v0, 28, v6
	v_lshrrev_b32_e32 v3, 3, v1
	v_cmp_gt_u32_e64 s[8:9], 8, v1
	v_lshlrev_b64 v[0:1], v0, v[30:31]
	v_sub_u32_e32 v1, 29, v6
	v_and_b32_e32 v0, 7, v0
	v_cndmask_b32_e64 v1, v3, v1, s[8:9]
	v_cndmask_b32_e64 v0, v2, v0, s[8:9]
	v_lshlrev_b32_e32 v2, 24, v30
	v_lshlrev_b32_e32 v0, 20, v0
	v_and_b32_e32 v2, 0x80000000, v2
	v_lshl_add_u32 v1, v1, 23, v39
	v_or3_b32 v0, v2, v1, v0
.LBB401_444:                            ;   in Loop: Header=BB401_10 Depth=1
	s_or_b64 exec, exec, s[34:35]
.LBB401_445:                            ;   in Loop: Header=BB401_10 Depth=1
	s_or_b64 exec, exec, s[30:31]
.LBB401_446:                            ;   in Loop: Header=BB401_10 Depth=1
	s_or_b64 exec, exec, s[28:29]
	v_mul_f32_e32 v0, v35, v0
	v_and_b32_e32 v1, 0x7f800000, v0
	v_cmp_ne_u32_e64 s[8:9], s38, v1
                                        ; implicit-def: $vgpr8
	s_and_saveexec_b64 s[28:29], s[8:9]
	s_xor_b64 s[8:9], exec, s[28:29]
; %bb.447:                              ;   in Loop: Header=BB401_10 Depth=1
	v_bfe_u32 v1, v0, 16, 1
	v_add3_u32 v8, v0, v1, s39
                                        ; implicit-def: $vgpr0
; %bb.448:                              ;   in Loop: Header=BB401_10 Depth=1
	s_andn2_saveexec_b64 s[28:29], s[8:9]
; %bb.449:                              ;   in Loop: Header=BB401_10 Depth=1
	v_or_b32_e32 v1, 0x10000, v0
	v_cmp_eq_u32_sdwa s[8:9], v0, v62 src0_sel:WORD_0 src1_sel:DWORD
	v_cndmask_b32_e64 v8, v1, v0, s[8:9]
; %bb.450:                              ;   in Loop: Header=BB401_10 Depth=1
	s_or_b64 exec, exec, s[28:29]
	flat_load_dword v28, v[20:21] offset:2568
	v_mov_b32_e32 v0, 0
	s_waitcnt vmcnt(0) lgkmcnt(0)
	v_cmp_ne_u16_sdwa s[8:9], v28, v62 src0_sel:BYTE_0 src1_sel:DWORD
	s_and_saveexec_b64 s[28:29], s[8:9]
	s_cbranch_execz .LBB401_456
; %bb.451:                              ;   in Loop: Header=BB401_10 Depth=1
	v_cmp_ne_u16_sdwa s[8:9], v28, s21 src0_sel:BYTE_0 src1_sel:DWORD
	v_bfrev_b32_e32 v0, 1
	s_and_saveexec_b64 s[30:31], s[8:9]
	s_cbranch_execz .LBB401_455
; %bb.452:                              ;   in Loop: Header=BB401_10 Depth=1
	v_and_b32_e32 v1, 0x7f, v28
	v_cmp_ne_u32_e64 s[8:9], s37, v1
	v_mov_b32_e32 v0, 0x7f800001
	s_and_saveexec_b64 s[34:35], s[8:9]
	s_cbranch_execz .LBB401_454
; %bb.453:                              ;   in Loop: Header=BB401_10 Depth=1
	v_and_b32_e32 v2, 7, v28
	v_ffbh_u32_e32 v0, v2
	v_min_u32_e32 v6, 32, v0
	v_subrev_u32_e32 v0, 28, v6
	v_lshrrev_b32_e32 v3, 3, v1
	v_cmp_gt_u32_e64 s[8:9], 8, v1
	v_lshlrev_b64 v[0:1], v0, v[28:29]
	v_sub_u32_e32 v1, 29, v6
	v_and_b32_e32 v0, 7, v0
	v_cndmask_b32_e64 v1, v3, v1, s[8:9]
	v_cndmask_b32_e64 v0, v2, v0, s[8:9]
	v_lshlrev_b32_e32 v2, 24, v28
	v_lshlrev_b32_e32 v0, 20, v0
	v_and_b32_e32 v2, 0x80000000, v2
	v_lshl_add_u32 v1, v1, 23, v39
	v_or3_b32 v0, v2, v1, v0
.LBB401_454:                            ;   in Loop: Header=BB401_10 Depth=1
	s_or_b64 exec, exec, s[34:35]
.LBB401_455:                            ;   in Loop: Header=BB401_10 Depth=1
	s_or_b64 exec, exec, s[30:31]
.LBB401_456:                            ;   in Loop: Header=BB401_10 Depth=1
	s_or_b64 exec, exec, s[28:29]
	v_mul_f32_e32 v0, v35, v0
	v_and_b32_e32 v1, 0x7f800000, v0
	v_cmp_ne_u32_e64 s[8:9], s38, v1
                                        ; implicit-def: $vgpr9
	s_and_saveexec_b64 s[28:29], s[8:9]
	s_xor_b64 s[8:9], exec, s[28:29]
; %bb.457:                              ;   in Loop: Header=BB401_10 Depth=1
	v_bfe_u32 v1, v0, 16, 1
	v_add3_u32 v9, v0, v1, s39
                                        ; implicit-def: $vgpr0
; %bb.458:                              ;   in Loop: Header=BB401_10 Depth=1
	s_andn2_saveexec_b64 s[28:29], s[8:9]
; %bb.459:                              ;   in Loop: Header=BB401_10 Depth=1
	v_or_b32_e32 v1, 0x10000, v0
	v_cmp_eq_u32_sdwa s[8:9], v0, v62 src0_sel:WORD_0 src1_sel:DWORD
	v_cndmask_b32_e64 v9, v1, v0, s[8:9]
; %bb.460:                              ;   in Loop: Header=BB401_10 Depth=1
	s_or_b64 exec, exec, s[28:29]
	v_lshrrev_b16_e32 v30, 8, v28
	v_cmp_ne_u16_e64 s[8:9], 0, v30
	v_mov_b32_e32 v0, 0
	s_and_saveexec_b64 s[28:29], s[8:9]
	s_cbranch_execz .LBB401_466
; %bb.461:                              ;   in Loop: Header=BB401_10 Depth=1
	v_cmp_ne_u16_e64 s[8:9], s21, v30
	v_bfrev_b32_e32 v0, 1
	s_and_saveexec_b64 s[30:31], s[8:9]
	s_cbranch_execz .LBB401_465
; %bb.462:                              ;   in Loop: Header=BB401_10 Depth=1
	v_and_b32_e32 v1, 0x7f, v30
	v_cmp_ne_u32_e64 s[8:9], s37, v1
	v_mov_b32_e32 v0, 0x7f800001
	s_and_saveexec_b64 s[34:35], s[8:9]
	s_cbranch_execz .LBB401_464
; %bb.463:                              ;   in Loop: Header=BB401_10 Depth=1
	v_and_b32_e32 v2, 7, v30
	v_ffbh_u32_e32 v0, v2
	v_min_u32_e32 v6, 32, v0
	v_subrev_u32_e32 v0, 28, v6
	v_lshrrev_b32_e32 v3, 3, v1
	v_cmp_gt_u32_e64 s[8:9], 8, v1
	v_lshlrev_b64 v[0:1], v0, v[30:31]
	v_sub_u32_e32 v1, 29, v6
	v_and_b32_e32 v0, 7, v0
	v_cndmask_b32_e64 v1, v3, v1, s[8:9]
	v_cndmask_b32_e64 v0, v2, v0, s[8:9]
	v_lshlrev_b32_e32 v2, 16, v28
	v_lshlrev_b32_e32 v0, 20, v0
	v_and_b32_e32 v2, 0x80000000, v2
	v_lshl_add_u32 v1, v1, 23, v39
	v_or3_b32 v0, v2, v1, v0
.LBB401_464:                            ;   in Loop: Header=BB401_10 Depth=1
	s_or_b64 exec, exec, s[34:35]
.LBB401_465:                            ;   in Loop: Header=BB401_10 Depth=1
	s_or_b64 exec, exec, s[30:31]
.LBB401_466:                            ;   in Loop: Header=BB401_10 Depth=1
	s_or_b64 exec, exec, s[28:29]
	v_mul_f32_e32 v0, v35, v0
	v_and_b32_e32 v1, 0x7f800000, v0
	v_cmp_ne_u32_e64 s[8:9], s38, v1
                                        ; implicit-def: $vgpr59
	s_and_saveexec_b64 s[28:29], s[8:9]
	s_xor_b64 s[8:9], exec, s[28:29]
; %bb.467:                              ;   in Loop: Header=BB401_10 Depth=1
	v_bfe_u32 v1, v0, 16, 1
	v_add3_u32 v59, v0, v1, s39
                                        ; implicit-def: $vgpr0
; %bb.468:                              ;   in Loop: Header=BB401_10 Depth=1
	s_andn2_saveexec_b64 s[28:29], s[8:9]
; %bb.469:                              ;   in Loop: Header=BB401_10 Depth=1
	v_or_b32_e32 v1, 0x10000, v0
	v_cmp_eq_u32_sdwa s[8:9], v0, v62 src0_sel:WORD_0 src1_sel:DWORD
	v_cndmask_b32_e64 v59, v1, v0, s[8:9]
; %bb.470:                              ;   in Loop: Header=BB401_10 Depth=1
	s_or_b64 exec, exec, s[28:29]
	v_lshrrev_b32_e32 v30, 16, v28
	v_cmp_ne_u16_sdwa s[8:9], v30, v62 src0_sel:BYTE_0 src1_sel:DWORD
	v_mov_b32_e32 v0, 0
	s_and_saveexec_b64 s[28:29], s[8:9]
	s_cbranch_execz .LBB401_476
; %bb.471:                              ;   in Loop: Header=BB401_10 Depth=1
	v_cmp_ne_u16_sdwa s[8:9], v30, s21 src0_sel:BYTE_0 src1_sel:DWORD
	v_bfrev_b32_e32 v0, 1
	s_and_saveexec_b64 s[30:31], s[8:9]
	s_cbranch_execz .LBB401_475
; %bb.472:                              ;   in Loop: Header=BB401_10 Depth=1
	v_bfe_u32 v1, v28, 16, 7
	v_cmp_ne_u32_e64 s[8:9], s37, v1
	v_mov_b32_e32 v0, 0x7f800001
	s_and_saveexec_b64 s[34:35], s[8:9]
	s_cbranch_execz .LBB401_474
; %bb.473:                              ;   in Loop: Header=BB401_10 Depth=1
	v_and_b32_e32 v2, 7, v30
	v_ffbh_u32_e32 v0, v2
	v_min_u32_e32 v6, 32, v0
	v_subrev_u32_e32 v0, 28, v6
	v_lshrrev_b32_e32 v3, 3, v1
	v_cmp_gt_u32_e64 s[8:9], 8, v1
	v_lshlrev_b64 v[0:1], v0, v[30:31]
	v_sub_u32_e32 v1, 29, v6
	v_and_b32_e32 v0, 7, v0
	v_cndmask_b32_e64 v1, v3, v1, s[8:9]
	v_cndmask_b32_e64 v0, v2, v0, s[8:9]
	v_lshlrev_b32_e32 v2, 24, v30
	v_lshlrev_b32_e32 v0, 20, v0
	v_and_b32_e32 v2, 0x80000000, v2
	v_lshl_add_u32 v1, v1, 23, v39
	v_or3_b32 v0, v2, v1, v0
.LBB401_474:                            ;   in Loop: Header=BB401_10 Depth=1
	s_or_b64 exec, exec, s[34:35]
.LBB401_475:                            ;   in Loop: Header=BB401_10 Depth=1
	s_or_b64 exec, exec, s[30:31]
.LBB401_476:                            ;   in Loop: Header=BB401_10 Depth=1
	s_or_b64 exec, exec, s[28:29]
	v_mul_f32_e32 v0, v35, v0
	v_and_b32_e32 v1, 0x7f800000, v0
	v_cmp_ne_u32_e64 s[8:9], s38, v1
                                        ; implicit-def: $vgpr25
	s_and_saveexec_b64 s[28:29], s[8:9]
	s_xor_b64 s[8:9], exec, s[28:29]
; %bb.477:                              ;   in Loop: Header=BB401_10 Depth=1
	v_bfe_u32 v1, v0, 16, 1
	v_add3_u32 v25, v0, v1, s39
                                        ; implicit-def: $vgpr0
; %bb.478:                              ;   in Loop: Header=BB401_10 Depth=1
	s_andn2_saveexec_b64 s[28:29], s[8:9]
; %bb.479:                              ;   in Loop: Header=BB401_10 Depth=1
	v_or_b32_e32 v1, 0x10000, v0
	v_cmp_eq_u32_sdwa s[8:9], v0, v62 src0_sel:WORD_0 src1_sel:DWORD
	v_cndmask_b32_e64 v25, v1, v0, s[8:9]
; %bb.480:                              ;   in Loop: Header=BB401_10 Depth=1
	s_or_b64 exec, exec, s[28:29]
	v_cmp_lt_u32_e64 s[8:9], s40, v28
	v_mov_b32_e32 v0, 0
	s_and_saveexec_b64 s[28:29], s[8:9]
	s_cbranch_execz .LBB401_486
; %bb.481:                              ;   in Loop: Header=BB401_10 Depth=1
	v_lshrrev_b32_e32 v30, 24, v28
	v_cmp_ne_u32_e64 s[8:9], s21, v30
	v_bfrev_b32_e32 v0, 1
	s_and_saveexec_b64 s[30:31], s[8:9]
	s_cbranch_execz .LBB401_485
; %bb.482:                              ;   in Loop: Header=BB401_10 Depth=1
	v_bfe_u32 v1, v28, 24, 7
	v_cmp_ne_u32_e64 s[8:9], s37, v1
	v_mov_b32_e32 v0, 0x7f800001
	s_and_saveexec_b64 s[34:35], s[8:9]
	s_cbranch_execz .LBB401_484
; %bb.483:                              ;   in Loop: Header=BB401_10 Depth=1
	v_and_b32_e32 v2, 7, v30
	v_ffbh_u32_e32 v0, v2
	v_min_u32_e32 v6, 32, v0
	v_subrev_u32_e32 v0, 28, v6
	v_lshrrev_b32_e32 v3, 3, v1
	v_cmp_gt_u32_e64 s[8:9], 8, v1
	v_lshlrev_b64 v[0:1], v0, v[30:31]
	v_sub_u32_e32 v1, 29, v6
	v_and_b32_e32 v0, 7, v0
	v_cndmask_b32_e64 v1, v3, v1, s[8:9]
	v_cndmask_b32_e64 v0, v2, v0, s[8:9]
	v_lshlrev_b32_e32 v2, 24, v30
	v_lshlrev_b32_e32 v0, 20, v0
	v_and_b32_e32 v2, 0x80000000, v2
	v_lshl_add_u32 v1, v1, 23, v39
	v_or3_b32 v0, v2, v1, v0
.LBB401_484:                            ;   in Loop: Header=BB401_10 Depth=1
	s_or_b64 exec, exec, s[34:35]
.LBB401_485:                            ;   in Loop: Header=BB401_10 Depth=1
	s_or_b64 exec, exec, s[30:31]
.LBB401_486:                            ;   in Loop: Header=BB401_10 Depth=1
	s_or_b64 exec, exec, s[28:29]
	v_mul_f32_e32 v0, v35, v0
	v_and_b32_e32 v1, 0x7f800000, v0
	v_cmp_ne_u32_e64 s[8:9], s38, v1
                                        ; implicit-def: $vgpr24
	s_and_saveexec_b64 s[28:29], s[8:9]
	s_xor_b64 s[8:9], exec, s[28:29]
; %bb.487:                              ;   in Loop: Header=BB401_10 Depth=1
	v_bfe_u32 v1, v0, 16, 1
	v_add3_u32 v24, v0, v1, s39
                                        ; implicit-def: $vgpr0
; %bb.488:                              ;   in Loop: Header=BB401_10 Depth=1
	s_andn2_saveexec_b64 s[28:29], s[8:9]
; %bb.489:                              ;   in Loop: Header=BB401_10 Depth=1
	v_or_b32_e32 v1, 0x10000, v0
	v_cmp_eq_u32_sdwa s[8:9], v0, v62 src0_sel:WORD_0 src1_sel:DWORD
	v_cndmask_b32_e64 v24, v1, v0, s[8:9]
; %bb.490:                              ;   in Loop: Header=BB401_10 Depth=1
	s_or_b64 exec, exec, s[28:29]
	flat_load_dword v28, v[20:21] offset:3072
	v_mov_b32_e32 v0, 0
	s_waitcnt vmcnt(0) lgkmcnt(0)
	v_cmp_ne_u16_sdwa s[8:9], v28, v62 src0_sel:BYTE_0 src1_sel:DWORD
	s_and_saveexec_b64 s[28:29], s[8:9]
	s_cbranch_execz .LBB401_496
; %bb.491:                              ;   in Loop: Header=BB401_10 Depth=1
	v_cmp_ne_u16_sdwa s[8:9], v28, s21 src0_sel:BYTE_0 src1_sel:DWORD
	v_bfrev_b32_e32 v0, 1
	s_and_saveexec_b64 s[30:31], s[8:9]
	s_cbranch_execz .LBB401_495
; %bb.492:                              ;   in Loop: Header=BB401_10 Depth=1
	v_and_b32_e32 v1, 0x7f, v28
	v_cmp_ne_u32_e64 s[8:9], s37, v1
	v_mov_b32_e32 v0, 0x7f800001
	s_and_saveexec_b64 s[34:35], s[8:9]
	s_cbranch_execz .LBB401_494
; %bb.493:                              ;   in Loop: Header=BB401_10 Depth=1
	v_and_b32_e32 v2, 7, v28
	v_ffbh_u32_e32 v0, v2
	v_min_u32_e32 v6, 32, v0
	v_subrev_u32_e32 v0, 28, v6
	v_lshrrev_b32_e32 v3, 3, v1
	v_cmp_gt_u32_e64 s[8:9], 8, v1
	v_lshlrev_b64 v[0:1], v0, v[28:29]
	v_sub_u32_e32 v1, 29, v6
	v_and_b32_e32 v0, 7, v0
	v_cndmask_b32_e64 v1, v3, v1, s[8:9]
	v_cndmask_b32_e64 v0, v2, v0, s[8:9]
	v_lshlrev_b32_e32 v2, 24, v28
	v_lshlrev_b32_e32 v0, 20, v0
	v_and_b32_e32 v2, 0x80000000, v2
	v_lshl_add_u32 v1, v1, 23, v39
	v_or3_b32 v0, v2, v1, v0
.LBB401_494:                            ;   in Loop: Header=BB401_10 Depth=1
	s_or_b64 exec, exec, s[34:35]
.LBB401_495:                            ;   in Loop: Header=BB401_10 Depth=1
	s_or_b64 exec, exec, s[30:31]
.LBB401_496:                            ;   in Loop: Header=BB401_10 Depth=1
	s_or_b64 exec, exec, s[28:29]
	v_mul_f32_e32 v0, v35, v0
	v_and_b32_e32 v1, 0x7f800000, v0
	v_cmp_ne_u32_e64 s[8:9], s38, v1
                                        ; implicit-def: $vgpr36
	s_and_saveexec_b64 s[28:29], s[8:9]
	s_xor_b64 s[8:9], exec, s[28:29]
; %bb.497:                              ;   in Loop: Header=BB401_10 Depth=1
	v_bfe_u32 v1, v0, 16, 1
	v_add3_u32 v36, v0, v1, s39
                                        ; implicit-def: $vgpr0
; %bb.498:                              ;   in Loop: Header=BB401_10 Depth=1
	s_andn2_saveexec_b64 s[28:29], s[8:9]
; %bb.499:                              ;   in Loop: Header=BB401_10 Depth=1
	v_or_b32_e32 v1, 0x10000, v0
	v_cmp_eq_u32_sdwa s[8:9], v0, v62 src0_sel:WORD_0 src1_sel:DWORD
	v_cndmask_b32_e64 v36, v1, v0, s[8:9]
; %bb.500:                              ;   in Loop: Header=BB401_10 Depth=1
	s_or_b64 exec, exec, s[28:29]
	v_lshrrev_b16_e32 v30, 8, v28
	v_cmp_ne_u16_e64 s[8:9], 0, v30
	v_mov_b32_e32 v0, 0
	s_and_saveexec_b64 s[28:29], s[8:9]
	s_cbranch_execz .LBB401_506
; %bb.501:                              ;   in Loop: Header=BB401_10 Depth=1
	v_cmp_ne_u16_e64 s[8:9], s21, v30
	v_bfrev_b32_e32 v0, 1
	s_and_saveexec_b64 s[30:31], s[8:9]
	s_cbranch_execz .LBB401_505
; %bb.502:                              ;   in Loop: Header=BB401_10 Depth=1
	v_and_b32_e32 v1, 0x7f, v30
	v_cmp_ne_u32_e64 s[8:9], s37, v1
	v_mov_b32_e32 v0, 0x7f800001
	s_and_saveexec_b64 s[34:35], s[8:9]
	s_cbranch_execz .LBB401_504
; %bb.503:                              ;   in Loop: Header=BB401_10 Depth=1
	v_and_b32_e32 v2, 7, v30
	v_ffbh_u32_e32 v0, v2
	v_min_u32_e32 v6, 32, v0
	v_subrev_u32_e32 v0, 28, v6
	v_lshrrev_b32_e32 v3, 3, v1
	v_cmp_gt_u32_e64 s[8:9], 8, v1
	v_lshlrev_b64 v[0:1], v0, v[30:31]
	v_sub_u32_e32 v1, 29, v6
	v_and_b32_e32 v0, 7, v0
	v_cndmask_b32_e64 v1, v3, v1, s[8:9]
	v_cndmask_b32_e64 v0, v2, v0, s[8:9]
	v_lshlrev_b32_e32 v2, 16, v28
	v_lshlrev_b32_e32 v0, 20, v0
	v_and_b32_e32 v2, 0x80000000, v2
	v_lshl_add_u32 v1, v1, 23, v39
	v_or3_b32 v0, v2, v1, v0
.LBB401_504:                            ;   in Loop: Header=BB401_10 Depth=1
	s_or_b64 exec, exec, s[34:35]
.LBB401_505:                            ;   in Loop: Header=BB401_10 Depth=1
	s_or_b64 exec, exec, s[30:31]
.LBB401_506:                            ;   in Loop: Header=BB401_10 Depth=1
	s_or_b64 exec, exec, s[28:29]
	v_mul_f32_e32 v0, v35, v0
	v_and_b32_e32 v1, 0x7f800000, v0
	v_cmp_ne_u32_e64 s[8:9], s38, v1
                                        ; implicit-def: $vgpr6
	s_and_saveexec_b64 s[28:29], s[8:9]
	s_xor_b64 s[8:9], exec, s[28:29]
; %bb.507:                              ;   in Loop: Header=BB401_10 Depth=1
	v_bfe_u32 v1, v0, 16, 1
	v_add3_u32 v6, v0, v1, s39
                                        ; implicit-def: $vgpr0
; %bb.508:                              ;   in Loop: Header=BB401_10 Depth=1
	s_andn2_saveexec_b64 s[28:29], s[8:9]
; %bb.509:                              ;   in Loop: Header=BB401_10 Depth=1
	v_or_b32_e32 v1, 0x10000, v0
	v_cmp_eq_u32_sdwa s[8:9], v0, v62 src0_sel:WORD_0 src1_sel:DWORD
	v_cndmask_b32_e64 v6, v1, v0, s[8:9]
; %bb.510:                              ;   in Loop: Header=BB401_10 Depth=1
	s_or_b64 exec, exec, s[28:29]
	v_lshrrev_b32_e32 v30, 16, v28
	v_cmp_ne_u16_sdwa s[8:9], v30, v62 src0_sel:BYTE_0 src1_sel:DWORD
	v_mov_b32_e32 v0, 0
	s_and_saveexec_b64 s[28:29], s[8:9]
	s_cbranch_execz .LBB401_516
; %bb.511:                              ;   in Loop: Header=BB401_10 Depth=1
	v_cmp_ne_u16_sdwa s[8:9], v30, s21 src0_sel:BYTE_0 src1_sel:DWORD
	v_bfrev_b32_e32 v0, 1
	s_and_saveexec_b64 s[30:31], s[8:9]
	s_cbranch_execz .LBB401_515
; %bb.512:                              ;   in Loop: Header=BB401_10 Depth=1
	v_bfe_u32 v1, v28, 16, 7
	v_cmp_ne_u32_e64 s[8:9], s37, v1
	v_mov_b32_e32 v0, 0x7f800001
	s_and_saveexec_b64 s[34:35], s[8:9]
	s_cbranch_execz .LBB401_514
; %bb.513:                              ;   in Loop: Header=BB401_10 Depth=1
	v_and_b32_e32 v2, 7, v30
	v_ffbh_u32_e32 v0, v2
	v_min_u32_e32 v7, 32, v0
	v_subrev_u32_e32 v0, 28, v7
	v_lshrrev_b32_e32 v3, 3, v1
	v_cmp_gt_u32_e64 s[8:9], 8, v1
	v_lshlrev_b64 v[0:1], v0, v[30:31]
	v_sub_u32_e32 v1, 29, v7
	v_and_b32_e32 v0, 7, v0
	v_cndmask_b32_e64 v1, v3, v1, s[8:9]
	v_cndmask_b32_e64 v0, v2, v0, s[8:9]
	v_lshlrev_b32_e32 v2, 24, v30
	v_lshlrev_b32_e32 v0, 20, v0
	v_and_b32_e32 v2, 0x80000000, v2
	v_lshl_add_u32 v1, v1, 23, v39
	v_or3_b32 v0, v2, v1, v0
.LBB401_514:                            ;   in Loop: Header=BB401_10 Depth=1
	s_or_b64 exec, exec, s[34:35]
.LBB401_515:                            ;   in Loop: Header=BB401_10 Depth=1
	s_or_b64 exec, exec, s[30:31]
.LBB401_516:                            ;   in Loop: Header=BB401_10 Depth=1
	s_or_b64 exec, exec, s[28:29]
	v_mul_f32_e32 v0, v35, v0
	v_and_b32_e32 v1, 0x7f800000, v0
	v_cmp_ne_u32_e64 s[8:9], s38, v1
                                        ; implicit-def: $vgpr7
	s_and_saveexec_b64 s[28:29], s[8:9]
	s_xor_b64 s[8:9], exec, s[28:29]
; %bb.517:                              ;   in Loop: Header=BB401_10 Depth=1
	v_bfe_u32 v1, v0, 16, 1
	v_add3_u32 v7, v0, v1, s39
                                        ; implicit-def: $vgpr0
; %bb.518:                              ;   in Loop: Header=BB401_10 Depth=1
	s_andn2_saveexec_b64 s[28:29], s[8:9]
; %bb.519:                              ;   in Loop: Header=BB401_10 Depth=1
	v_or_b32_e32 v1, 0x10000, v0
	v_cmp_eq_u32_sdwa s[8:9], v0, v62 src0_sel:WORD_0 src1_sel:DWORD
	v_cndmask_b32_e64 v7, v1, v0, s[8:9]
; %bb.520:                              ;   in Loop: Header=BB401_10 Depth=1
	s_or_b64 exec, exec, s[28:29]
	v_cmp_lt_u32_e64 s[8:9], s40, v28
	v_mov_b32_e32 v0, 0
	s_and_saveexec_b64 s[28:29], s[8:9]
	s_cbranch_execz .LBB401_526
; %bb.521:                              ;   in Loop: Header=BB401_10 Depth=1
	v_lshrrev_b32_e32 v30, 24, v28
	v_cmp_ne_u32_e64 s[8:9], s21, v30
	v_bfrev_b32_e32 v0, 1
	s_and_saveexec_b64 s[30:31], s[8:9]
	s_cbranch_execz .LBB401_525
; %bb.522:                              ;   in Loop: Header=BB401_10 Depth=1
	v_bfe_u32 v1, v28, 24, 7
	v_cmp_ne_u32_e64 s[8:9], s37, v1
	v_mov_b32_e32 v0, 0x7f800001
	s_and_saveexec_b64 s[34:35], s[8:9]
	s_cbranch_execz .LBB401_524
; %bb.523:                              ;   in Loop: Header=BB401_10 Depth=1
	v_and_b32_e32 v2, 7, v30
	v_ffbh_u32_e32 v0, v2
	v_min_u32_e32 v10, 32, v0
	v_subrev_u32_e32 v0, 28, v10
	v_lshrrev_b32_e32 v3, 3, v1
	v_cmp_gt_u32_e64 s[8:9], 8, v1
	v_lshlrev_b64 v[0:1], v0, v[30:31]
	v_sub_u32_e32 v1, 29, v10
	v_and_b32_e32 v0, 7, v0
	v_cndmask_b32_e64 v1, v3, v1, s[8:9]
	v_cndmask_b32_e64 v0, v2, v0, s[8:9]
	v_lshlrev_b32_e32 v2, 24, v30
	v_lshlrev_b32_e32 v0, 20, v0
	v_and_b32_e32 v2, 0x80000000, v2
	v_lshl_add_u32 v1, v1, 23, v39
	v_or3_b32 v0, v2, v1, v0
.LBB401_524:                            ;   in Loop: Header=BB401_10 Depth=1
	s_or_b64 exec, exec, s[34:35]
.LBB401_525:                            ;   in Loop: Header=BB401_10 Depth=1
	s_or_b64 exec, exec, s[30:31]
.LBB401_526:                            ;   in Loop: Header=BB401_10 Depth=1
	s_or_b64 exec, exec, s[28:29]
	v_mul_f32_e32 v0, v35, v0
	v_and_b32_e32 v1, 0x7f800000, v0
	v_cmp_ne_u32_e64 s[8:9], s38, v1
                                        ; implicit-def: $vgpr38
	s_and_saveexec_b64 s[28:29], s[8:9]
	s_xor_b64 s[8:9], exec, s[28:29]
; %bb.527:                              ;   in Loop: Header=BB401_10 Depth=1
	v_bfe_u32 v1, v0, 16, 1
	v_add3_u32 v38, v0, v1, s39
                                        ; implicit-def: $vgpr0
; %bb.528:                              ;   in Loop: Header=BB401_10 Depth=1
	s_andn2_saveexec_b64 s[28:29], s[8:9]
; %bb.529:                              ;   in Loop: Header=BB401_10 Depth=1
	v_or_b32_e32 v1, 0x10000, v0
	v_cmp_eq_u32_sdwa s[8:9], v0, v62 src0_sel:WORD_0 src1_sel:DWORD
	v_cndmask_b32_e64 v38, v1, v0, s[8:9]
; %bb.530:                              ;   in Loop: Header=BB401_10 Depth=1
	s_or_b64 exec, exec, s[28:29]
	flat_load_dword v28, v[20:21] offset:3080
	v_mov_b32_e32 v0, 0
	s_waitcnt vmcnt(0) lgkmcnt(0)
	v_cmp_ne_u16_sdwa s[8:9], v28, v62 src0_sel:BYTE_0 src1_sel:DWORD
	s_and_saveexec_b64 s[28:29], s[8:9]
	s_cbranch_execz .LBB401_536
; %bb.531:                              ;   in Loop: Header=BB401_10 Depth=1
	v_cmp_ne_u16_sdwa s[8:9], v28, s21 src0_sel:BYTE_0 src1_sel:DWORD
	v_bfrev_b32_e32 v0, 1
	s_and_saveexec_b64 s[30:31], s[8:9]
	s_cbranch_execz .LBB401_535
; %bb.532:                              ;   in Loop: Header=BB401_10 Depth=1
	v_and_b32_e32 v1, 0x7f, v28
	v_cmp_ne_u32_e64 s[8:9], s37, v1
	v_mov_b32_e32 v0, 0x7f800001
	s_and_saveexec_b64 s[34:35], s[8:9]
	s_cbranch_execz .LBB401_534
; %bb.533:                              ;   in Loop: Header=BB401_10 Depth=1
	v_and_b32_e32 v2, 7, v28
	v_ffbh_u32_e32 v0, v2
	v_min_u32_e32 v10, 32, v0
	v_subrev_u32_e32 v0, 28, v10
	v_lshrrev_b32_e32 v3, 3, v1
	v_cmp_gt_u32_e64 s[8:9], 8, v1
	v_lshlrev_b64 v[0:1], v0, v[28:29]
	v_sub_u32_e32 v1, 29, v10
	v_and_b32_e32 v0, 7, v0
	v_cndmask_b32_e64 v1, v3, v1, s[8:9]
	v_cndmask_b32_e64 v0, v2, v0, s[8:9]
	v_lshlrev_b32_e32 v2, 24, v28
	v_lshlrev_b32_e32 v0, 20, v0
	v_and_b32_e32 v2, 0x80000000, v2
	v_lshl_add_u32 v1, v1, 23, v39
	v_or3_b32 v0, v2, v1, v0
.LBB401_534:                            ;   in Loop: Header=BB401_10 Depth=1
	s_or_b64 exec, exec, s[34:35]
.LBB401_535:                            ;   in Loop: Header=BB401_10 Depth=1
	s_or_b64 exec, exec, s[30:31]
.LBB401_536:                            ;   in Loop: Header=BB401_10 Depth=1
	s_or_b64 exec, exec, s[28:29]
	v_mul_f32_e32 v0, v35, v0
	v_and_b32_e32 v1, 0x7f800000, v0
	v_cmp_ne_u32_e64 s[8:9], s38, v1
                                        ; implicit-def: $vgpr37
	s_and_saveexec_b64 s[28:29], s[8:9]
	s_xor_b64 s[8:9], exec, s[28:29]
; %bb.537:                              ;   in Loop: Header=BB401_10 Depth=1
	v_bfe_u32 v1, v0, 16, 1
	v_add3_u32 v37, v0, v1, s39
                                        ; implicit-def: $vgpr0
; %bb.538:                              ;   in Loop: Header=BB401_10 Depth=1
	s_andn2_saveexec_b64 s[28:29], s[8:9]
; %bb.539:                              ;   in Loop: Header=BB401_10 Depth=1
	v_or_b32_e32 v1, 0x10000, v0
	v_cmp_eq_u32_sdwa s[8:9], v0, v62 src0_sel:WORD_0 src1_sel:DWORD
	v_cndmask_b32_e64 v37, v1, v0, s[8:9]
; %bb.540:                              ;   in Loop: Header=BB401_10 Depth=1
	s_or_b64 exec, exec, s[28:29]
	v_lshrrev_b16_e32 v30, 8, v28
	v_cmp_ne_u16_e64 s[8:9], 0, v30
	v_mov_b32_e32 v0, 0
	s_and_saveexec_b64 s[28:29], s[8:9]
	s_cbranch_execz .LBB401_546
; %bb.541:                              ;   in Loop: Header=BB401_10 Depth=1
	v_cmp_ne_u16_e64 s[8:9], s21, v30
	v_bfrev_b32_e32 v0, 1
	s_and_saveexec_b64 s[30:31], s[8:9]
	s_cbranch_execz .LBB401_545
; %bb.542:                              ;   in Loop: Header=BB401_10 Depth=1
	v_and_b32_e32 v1, 0x7f, v30
	v_cmp_ne_u32_e64 s[8:9], s37, v1
	v_mov_b32_e32 v0, 0x7f800001
	s_and_saveexec_b64 s[34:35], s[8:9]
	s_cbranch_execz .LBB401_544
; %bb.543:                              ;   in Loop: Header=BB401_10 Depth=1
	v_and_b32_e32 v2, 7, v30
	v_ffbh_u32_e32 v0, v2
	v_min_u32_e32 v10, 32, v0
	v_subrev_u32_e32 v0, 28, v10
	v_lshrrev_b32_e32 v3, 3, v1
	v_cmp_gt_u32_e64 s[8:9], 8, v1
	v_lshlrev_b64 v[0:1], v0, v[30:31]
	v_sub_u32_e32 v1, 29, v10
	v_and_b32_e32 v0, 7, v0
	v_cndmask_b32_e64 v1, v3, v1, s[8:9]
	v_cndmask_b32_e64 v0, v2, v0, s[8:9]
	v_lshlrev_b32_e32 v2, 16, v28
	v_lshlrev_b32_e32 v0, 20, v0
	v_and_b32_e32 v2, 0x80000000, v2
	v_lshl_add_u32 v1, v1, 23, v39
	v_or3_b32 v0, v2, v1, v0
.LBB401_544:                            ;   in Loop: Header=BB401_10 Depth=1
	s_or_b64 exec, exec, s[34:35]
.LBB401_545:                            ;   in Loop: Header=BB401_10 Depth=1
	s_or_b64 exec, exec, s[30:31]
.LBB401_546:                            ;   in Loop: Header=BB401_10 Depth=1
	s_or_b64 exec, exec, s[28:29]
	v_mul_f32_e32 v0, v35, v0
	v_and_b32_e32 v1, 0x7f800000, v0
	v_cmp_ne_u32_e64 s[8:9], s38, v1
                                        ; implicit-def: $vgpr11
	s_and_saveexec_b64 s[28:29], s[8:9]
	s_xor_b64 s[8:9], exec, s[28:29]
; %bb.547:                              ;   in Loop: Header=BB401_10 Depth=1
	v_bfe_u32 v1, v0, 16, 1
	v_add3_u32 v11, v0, v1, s39
                                        ; implicit-def: $vgpr0
; %bb.548:                              ;   in Loop: Header=BB401_10 Depth=1
	s_andn2_saveexec_b64 s[28:29], s[8:9]
; %bb.549:                              ;   in Loop: Header=BB401_10 Depth=1
	v_or_b32_e32 v1, 0x10000, v0
	v_cmp_eq_u32_sdwa s[8:9], v0, v62 src0_sel:WORD_0 src1_sel:DWORD
	v_cndmask_b32_e64 v11, v1, v0, s[8:9]
; %bb.550:                              ;   in Loop: Header=BB401_10 Depth=1
	s_or_b64 exec, exec, s[28:29]
	v_lshrrev_b32_e32 v30, 16, v28
	v_cmp_ne_u16_sdwa s[8:9], v30, v62 src0_sel:BYTE_0 src1_sel:DWORD
	v_mov_b32_e32 v0, 0
	s_and_saveexec_b64 s[28:29], s[8:9]
	s_cbranch_execz .LBB401_556
; %bb.551:                              ;   in Loop: Header=BB401_10 Depth=1
	v_cmp_ne_u16_sdwa s[8:9], v30, s21 src0_sel:BYTE_0 src1_sel:DWORD
	v_bfrev_b32_e32 v0, 1
	s_and_saveexec_b64 s[30:31], s[8:9]
	s_cbranch_execz .LBB401_555
; %bb.552:                              ;   in Loop: Header=BB401_10 Depth=1
	v_bfe_u32 v1, v28, 16, 7
	v_cmp_ne_u32_e64 s[8:9], s37, v1
	v_mov_b32_e32 v0, 0x7f800001
	s_and_saveexec_b64 s[34:35], s[8:9]
	s_cbranch_execz .LBB401_554
; %bb.553:                              ;   in Loop: Header=BB401_10 Depth=1
	v_and_b32_e32 v2, 7, v30
	v_ffbh_u32_e32 v0, v2
	v_min_u32_e32 v10, 32, v0
	v_subrev_u32_e32 v0, 28, v10
	v_lshrrev_b32_e32 v3, 3, v1
	v_cmp_gt_u32_e64 s[8:9], 8, v1
	v_lshlrev_b64 v[0:1], v0, v[30:31]
	v_sub_u32_e32 v1, 29, v10
	v_and_b32_e32 v0, 7, v0
	v_cndmask_b32_e64 v1, v3, v1, s[8:9]
	v_cndmask_b32_e64 v0, v2, v0, s[8:9]
	v_lshlrev_b32_e32 v2, 24, v30
	v_lshlrev_b32_e32 v0, 20, v0
	v_and_b32_e32 v2, 0x80000000, v2
	v_lshl_add_u32 v1, v1, 23, v39
	v_or3_b32 v0, v2, v1, v0
.LBB401_554:                            ;   in Loop: Header=BB401_10 Depth=1
	s_or_b64 exec, exec, s[34:35]
.LBB401_555:                            ;   in Loop: Header=BB401_10 Depth=1
	s_or_b64 exec, exec, s[30:31]
.LBB401_556:                            ;   in Loop: Header=BB401_10 Depth=1
	s_or_b64 exec, exec, s[28:29]
	v_mul_f32_e32 v0, v35, v0
	v_and_b32_e32 v1, 0x7f800000, v0
	v_cmp_ne_u32_e64 s[8:9], s38, v1
                                        ; implicit-def: $vgpr10
	s_and_saveexec_b64 s[28:29], s[8:9]
	s_xor_b64 s[8:9], exec, s[28:29]
; %bb.557:                              ;   in Loop: Header=BB401_10 Depth=1
	v_bfe_u32 v1, v0, 16, 1
	v_add3_u32 v10, v0, v1, s39
                                        ; implicit-def: $vgpr0
; %bb.558:                              ;   in Loop: Header=BB401_10 Depth=1
	s_andn2_saveexec_b64 s[28:29], s[8:9]
; %bb.559:                              ;   in Loop: Header=BB401_10 Depth=1
	v_or_b32_e32 v1, 0x10000, v0
	v_cmp_eq_u32_sdwa s[8:9], v0, v62 src0_sel:WORD_0 src1_sel:DWORD
	v_cndmask_b32_e64 v10, v1, v0, s[8:9]
; %bb.560:                              ;   in Loop: Header=BB401_10 Depth=1
	s_or_b64 exec, exec, s[28:29]
	v_cmp_lt_u32_e64 s[8:9], s40, v28
	v_mov_b32_e32 v0, 0
	s_and_saveexec_b64 s[28:29], s[8:9]
	s_cbranch_execz .LBB401_566
; %bb.561:                              ;   in Loop: Header=BB401_10 Depth=1
	v_lshrrev_b32_e32 v30, 24, v28
	v_cmp_ne_u32_e64 s[8:9], s21, v30
	v_bfrev_b32_e32 v0, 1
	s_and_saveexec_b64 s[30:31], s[8:9]
	s_cbranch_execz .LBB401_565
; %bb.562:                              ;   in Loop: Header=BB401_10 Depth=1
	v_bfe_u32 v1, v28, 24, 7
	v_cmp_ne_u32_e64 s[8:9], s37, v1
	v_mov_b32_e32 v0, 0x7f800001
	s_and_saveexec_b64 s[34:35], s[8:9]
	s_cbranch_execz .LBB401_564
; %bb.563:                              ;   in Loop: Header=BB401_10 Depth=1
	v_and_b32_e32 v2, 7, v30
	v_ffbh_u32_e32 v0, v2
	v_min_u32_e32 v14, 32, v0
	v_subrev_u32_e32 v0, 28, v14
	v_lshrrev_b32_e32 v3, 3, v1
	v_cmp_gt_u32_e64 s[8:9], 8, v1
	v_lshlrev_b64 v[0:1], v0, v[30:31]
	v_sub_u32_e32 v1, 29, v14
	v_and_b32_e32 v0, 7, v0
	v_cndmask_b32_e64 v1, v3, v1, s[8:9]
	v_cndmask_b32_e64 v0, v2, v0, s[8:9]
	v_lshlrev_b32_e32 v2, 24, v30
	v_lshlrev_b32_e32 v0, 20, v0
	v_and_b32_e32 v2, 0x80000000, v2
	v_lshl_add_u32 v1, v1, 23, v39
	v_or3_b32 v0, v2, v1, v0
.LBB401_564:                            ;   in Loop: Header=BB401_10 Depth=1
	s_or_b64 exec, exec, s[34:35]
.LBB401_565:                            ;   in Loop: Header=BB401_10 Depth=1
	s_or_b64 exec, exec, s[30:31]
.LBB401_566:                            ;   in Loop: Header=BB401_10 Depth=1
	s_or_b64 exec, exec, s[28:29]
	v_mul_f32_e32 v0, v35, v0
	v_and_b32_e32 v1, 0x7f800000, v0
	v_cmp_ne_u32_e64 s[8:9], s38, v1
                                        ; implicit-def: $vgpr1
	s_and_saveexec_b64 s[28:29], s[8:9]
	s_xor_b64 s[8:9], exec, s[28:29]
; %bb.567:                              ;   in Loop: Header=BB401_10 Depth=1
	v_bfe_u32 v1, v0, 16, 1
	v_add3_u32 v1, v0, v1, s39
                                        ; implicit-def: $vgpr0
; %bb.568:                              ;   in Loop: Header=BB401_10 Depth=1
	s_andn2_saveexec_b64 s[28:29], s[8:9]
; %bb.569:                              ;   in Loop: Header=BB401_10 Depth=1
	v_or_b32_e32 v1, 0x10000, v0
	v_cmp_eq_u32_sdwa s[8:9], v0, v62 src0_sel:WORD_0 src1_sel:DWORD
	v_cndmask_b32_e64 v1, v1, v0, s[8:9]
; %bb.570:                              ;   in Loop: Header=BB401_10 Depth=1
	s_or_b64 exec, exec, s[28:29]
	flat_load_dword v28, v[20:21] offset:3584
	v_mov_b32_e32 v0, 0
	s_waitcnt vmcnt(0) lgkmcnt(0)
	v_cmp_ne_u16_sdwa s[8:9], v28, v62 src0_sel:BYTE_0 src1_sel:DWORD
	s_and_saveexec_b64 s[28:29], s[8:9]
	s_cbranch_execz .LBB401_576
; %bb.571:                              ;   in Loop: Header=BB401_10 Depth=1
	v_cmp_ne_u16_sdwa s[8:9], v28, s21 src0_sel:BYTE_0 src1_sel:DWORD
	v_bfrev_b32_e32 v0, 1
	s_and_saveexec_b64 s[30:31], s[8:9]
	s_cbranch_execz .LBB401_575
; %bb.572:                              ;   in Loop: Header=BB401_10 Depth=1
	v_and_b32_e32 v2, 0x7f, v28
	v_cmp_ne_u32_e64 s[8:9], s37, v2
	v_mov_b32_e32 v0, 0x7f800001
	s_and_saveexec_b64 s[34:35], s[8:9]
	s_cbranch_execz .LBB401_574
; %bb.573:                              ;   in Loop: Header=BB401_10 Depth=1
	v_and_b32_e32 v0, 7, v28
	v_lshrrev_b32_e32 v14, 3, v2
	v_cmp_gt_u32_e64 s[8:9], 8, v2
	v_ffbh_u32_e32 v2, v0
	v_min_u32_e32 v15, 32, v2
	v_subrev_u32_e32 v2, 28, v15
	v_lshlrev_b64 v[2:3], v2, v[28:29]
	v_sub_u32_e32 v3, 29, v15
	v_and_b32_e32 v2, 7, v2
	v_cndmask_b32_e64 v3, v14, v3, s[8:9]
	v_cndmask_b32_e64 v0, v0, v2, s[8:9]
	v_lshlrev_b32_e32 v2, 24, v28
	v_lshlrev_b32_e32 v0, 20, v0
	v_and_b32_e32 v2, 0x80000000, v2
	v_lshl_add_u32 v3, v3, 23, v39
	v_or3_b32 v0, v2, v3, v0
.LBB401_574:                            ;   in Loop: Header=BB401_10 Depth=1
	s_or_b64 exec, exec, s[34:35]
.LBB401_575:                            ;   in Loop: Header=BB401_10 Depth=1
	s_or_b64 exec, exec, s[30:31]
.LBB401_576:                            ;   in Loop: Header=BB401_10 Depth=1
	s_or_b64 exec, exec, s[28:29]
	v_mul_f32_e32 v2, v35, v0
	v_and_b32_e32 v0, 0x7f800000, v2
	v_cmp_ne_u32_e64 s[8:9], s38, v0
                                        ; implicit-def: $vgpr0
	s_and_saveexec_b64 s[28:29], s[8:9]
	s_xor_b64 s[8:9], exec, s[28:29]
; %bb.577:                              ;   in Loop: Header=BB401_10 Depth=1
	v_bfe_u32 v0, v2, 16, 1
	v_add3_u32 v0, v2, v0, s39
                                        ; implicit-def: $vgpr2
; %bb.578:                              ;   in Loop: Header=BB401_10 Depth=1
	s_andn2_saveexec_b64 s[28:29], s[8:9]
; %bb.579:                              ;   in Loop: Header=BB401_10 Depth=1
	v_or_b32_e32 v0, 0x10000, v2
	v_cmp_eq_u32_sdwa s[8:9], v2, v62 src0_sel:WORD_0 src1_sel:DWORD
	v_cndmask_b32_e64 v0, v0, v2, s[8:9]
; %bb.580:                              ;   in Loop: Header=BB401_10 Depth=1
	s_or_b64 exec, exec, s[28:29]
	v_lshrrev_b16_e32 v30, 8, v28
	v_cmp_ne_u16_e64 s[8:9], 0, v30
	v_mov_b32_e32 v2, 0
	s_and_saveexec_b64 s[28:29], s[8:9]
	s_cbranch_execz .LBB401_586
; %bb.581:                              ;   in Loop: Header=BB401_10 Depth=1
	v_cmp_ne_u16_e64 s[8:9], s21, v30
	v_bfrev_b32_e32 v2, 1
	s_and_saveexec_b64 s[30:31], s[8:9]
	s_cbranch_execz .LBB401_585
; %bb.582:                              ;   in Loop: Header=BB401_10 Depth=1
	v_and_b32_e32 v3, 0x7f, v30
	v_cmp_ne_u32_e64 s[8:9], s37, v3
	v_mov_b32_e32 v2, 0x7f800001
	s_and_saveexec_b64 s[34:35], s[8:9]
	s_cbranch_execz .LBB401_584
; %bb.583:                              ;   in Loop: Header=BB401_10 Depth=1
	v_and_b32_e32 v14, 7, v30
	v_ffbh_u32_e32 v2, v14
	v_min_u32_e32 v29, 32, v2
	v_subrev_u32_e32 v2, 28, v29
	v_lshrrev_b32_e32 v15, 3, v3
	v_cmp_gt_u32_e64 s[8:9], 8, v3
	v_lshlrev_b64 v[2:3], v2, v[30:31]
	v_sub_u32_e32 v3, 29, v29
	v_and_b32_e32 v2, 7, v2
	v_cndmask_b32_e64 v3, v15, v3, s[8:9]
	v_cndmask_b32_e64 v2, v14, v2, s[8:9]
	v_lshlrev_b32_e32 v14, 16, v28
	v_lshlrev_b32_e32 v2, 20, v2
	v_and_b32_e32 v14, 0x80000000, v14
	v_lshl_add_u32 v3, v3, 23, v39
	v_or3_b32 v2, v14, v3, v2
.LBB401_584:                            ;   in Loop: Header=BB401_10 Depth=1
	s_or_b64 exec, exec, s[34:35]
.LBB401_585:                            ;   in Loop: Header=BB401_10 Depth=1
	s_or_b64 exec, exec, s[30:31]
.LBB401_586:                            ;   in Loop: Header=BB401_10 Depth=1
	s_or_b64 exec, exec, s[28:29]
	v_mul_f32_e32 v2, v35, v2
	v_and_b32_e32 v3, 0x7f800000, v2
	v_cmp_ne_u32_e64 s[8:9], s38, v3
                                        ; implicit-def: $vgpr3
	s_and_saveexec_b64 s[28:29], s[8:9]
	s_xor_b64 s[8:9], exec, s[28:29]
; %bb.587:                              ;   in Loop: Header=BB401_10 Depth=1
	v_bfe_u32 v3, v2, 16, 1
	v_add3_u32 v3, v2, v3, s39
                                        ; implicit-def: $vgpr2
; %bb.588:                              ;   in Loop: Header=BB401_10 Depth=1
	s_andn2_saveexec_b64 s[28:29], s[8:9]
; %bb.589:                              ;   in Loop: Header=BB401_10 Depth=1
	v_or_b32_e32 v3, 0x10000, v2
	v_cmp_eq_u32_sdwa s[8:9], v2, v62 src0_sel:WORD_0 src1_sel:DWORD
	v_cndmask_b32_e64 v3, v3, v2, s[8:9]
; %bb.590:                              ;   in Loop: Header=BB401_10 Depth=1
	s_or_b64 exec, exec, s[28:29]
	v_lshrrev_b32_e32 v30, 16, v28
	v_cmp_ne_u16_sdwa s[8:9], v30, v62 src0_sel:BYTE_0 src1_sel:DWORD
	v_mov_b32_e32 v2, 0
	s_and_saveexec_b64 s[28:29], s[8:9]
	s_cbranch_execz .LBB401_596
; %bb.591:                              ;   in Loop: Header=BB401_10 Depth=1
	v_cmp_ne_u16_sdwa s[8:9], v30, s21 src0_sel:BYTE_0 src1_sel:DWORD
	v_bfrev_b32_e32 v2, 1
	s_and_saveexec_b64 s[30:31], s[8:9]
	s_cbranch_execz .LBB401_595
; %bb.592:                              ;   in Loop: Header=BB401_10 Depth=1
	v_bfe_u32 v15, v28, 16, 7
	v_cmp_ne_u32_e64 s[8:9], s37, v15
	v_mov_b32_e32 v2, 0x7f800001
	s_and_saveexec_b64 s[34:35], s[8:9]
	s_cbranch_execz .LBB401_594
; %bb.593:                              ;   in Loop: Header=BB401_10 Depth=1
	v_and_b32_e32 v2, 7, v30
	v_ffbh_u32_e32 v14, v2
	v_min_u32_e32 v31, 32, v14
	v_subrev_u32_e32 v14, 28, v31
	v_lshrrev_b32_e32 v29, 3, v15
	v_cmp_gt_u32_e64 s[8:9], 8, v15
	v_lshlrev_b64 v[14:15], v14, v[30:31]
	v_sub_u32_e32 v15, 29, v31
	v_and_b32_e32 v14, 7, v14
	v_cndmask_b32_e64 v15, v29, v15, s[8:9]
	v_cndmask_b32_e64 v2, v2, v14, s[8:9]
	v_lshlrev_b32_e32 v14, 24, v30
	v_lshlrev_b32_e32 v2, 20, v2
	v_and_b32_e32 v14, 0x80000000, v14
	v_lshl_add_u32 v15, v15, 23, v39
	v_or3_b32 v2, v14, v15, v2
.LBB401_594:                            ;   in Loop: Header=BB401_10 Depth=1
	s_or_b64 exec, exec, s[34:35]
.LBB401_595:                            ;   in Loop: Header=BB401_10 Depth=1
	s_or_b64 exec, exec, s[30:31]
.LBB401_596:                            ;   in Loop: Header=BB401_10 Depth=1
	s_or_b64 exec, exec, s[28:29]
	v_mul_f32_e32 v15, v35, v2
	v_and_b32_e32 v2, 0x7f800000, v15
	v_cmp_ne_u32_e64 s[8:9], s38, v2
                                        ; implicit-def: $vgpr2
	s_and_saveexec_b64 s[28:29], s[8:9]
	s_xor_b64 s[8:9], exec, s[28:29]
; %bb.597:                              ;   in Loop: Header=BB401_10 Depth=1
	v_bfe_u32 v2, v15, 16, 1
	v_add3_u32 v2, v15, v2, s39
                                        ; implicit-def: $vgpr15
; %bb.598:                              ;   in Loop: Header=BB401_10 Depth=1
	s_andn2_saveexec_b64 s[28:29], s[8:9]
; %bb.599:                              ;   in Loop: Header=BB401_10 Depth=1
	v_or_b32_e32 v2, 0x10000, v15
	v_cmp_eq_u32_sdwa s[8:9], v15, v62 src0_sel:WORD_0 src1_sel:DWORD
	v_cndmask_b32_e64 v2, v2, v15, s[8:9]
; %bb.600:                              ;   in Loop: Header=BB401_10 Depth=1
	s_or_b64 exec, exec, s[28:29]
	v_cmp_lt_u32_e64 s[8:9], s40, v28
	v_mov_b32_e32 v15, 0
	s_and_saveexec_b64 s[28:29], s[8:9]
	s_cbranch_execz .LBB401_606
; %bb.601:                              ;   in Loop: Header=BB401_10 Depth=1
	v_lshrrev_b32_e32 v30, 24, v28
	v_cmp_ne_u32_e64 s[8:9], s21, v30
	v_bfrev_b32_e32 v15, 1
	s_and_saveexec_b64 s[30:31], s[8:9]
	s_cbranch_execz .LBB401_605
; %bb.602:                              ;   in Loop: Header=BB401_10 Depth=1
	v_bfe_u32 v28, v28, 24, 7
	v_cmp_ne_u32_e64 s[8:9], s37, v28
	v_mov_b32_e32 v15, 0x7f800001
	s_and_saveexec_b64 s[34:35], s[8:9]
	s_cbranch_execz .LBB401_604
; %bb.603:                              ;   in Loop: Header=BB401_10 Depth=1
	v_and_b32_e32 v29, 7, v30
	v_ffbh_u32_e32 v14, v29
	v_lshrrev_b32_e32 v31, 3, v28
	v_cmp_gt_u32_e64 s[8:9], 8, v28
	v_min_u32_e32 v28, 32, v14
	v_subrev_u32_e32 v14, 28, v28
	v_lshlrev_b64 v[14:15], v14, v[30:31]
	v_sub_u32_e32 v15, 29, v28
	v_and_b32_e32 v14, 7, v14
	v_cndmask_b32_e64 v15, v31, v15, s[8:9]
	v_cndmask_b32_e64 v14, v29, v14, s[8:9]
	v_lshlrev_b32_e32 v28, 24, v30
	v_lshlrev_b32_e32 v14, 20, v14
	v_and_b32_e32 v28, 0x80000000, v28
	v_lshl_add_u32 v15, v15, 23, v39
	v_or3_b32 v15, v28, v15, v14
.LBB401_604:                            ;   in Loop: Header=BB401_10 Depth=1
	s_or_b64 exec, exec, s[34:35]
.LBB401_605:                            ;   in Loop: Header=BB401_10 Depth=1
	s_or_b64 exec, exec, s[30:31]
.LBB401_606:                            ;   in Loop: Header=BB401_10 Depth=1
	s_or_b64 exec, exec, s[28:29]
	v_mul_f32_e32 v15, v35, v15
	v_and_b32_e32 v14, 0x7f800000, v15
	v_cmp_ne_u32_e64 s[8:9], s38, v14
                                        ; implicit-def: $vgpr30
	s_and_saveexec_b64 s[28:29], s[8:9]
	s_xor_b64 s[8:9], exec, s[28:29]
; %bb.607:                              ;   in Loop: Header=BB401_10 Depth=1
	v_bfe_u32 v14, v15, 16, 1
	v_add3_u32 v30, v15, v14, s39
                                        ; implicit-def: $vgpr15
; %bb.608:                              ;   in Loop: Header=BB401_10 Depth=1
	s_andn2_saveexec_b64 s[28:29], s[8:9]
; %bb.609:                              ;   in Loop: Header=BB401_10 Depth=1
	v_or_b32_e32 v14, 0x10000, v15
	v_cmp_eq_u32_sdwa s[8:9], v15, v62 src0_sel:WORD_0 src1_sel:DWORD
	v_cndmask_b32_e64 v30, v14, v15, s[8:9]
; %bb.610:                              ;   in Loop: Header=BB401_10 Depth=1
	s_or_b64 exec, exec, s[28:29]
	flat_load_dword v20, v[20:21] offset:3592
	v_mov_b32_e32 v15, 0
	s_waitcnt vmcnt(0) lgkmcnt(0)
	v_cmp_ne_u16_sdwa s[8:9], v20, v62 src0_sel:BYTE_0 src1_sel:DWORD
	s_and_saveexec_b64 s[28:29], s[8:9]
	s_cbranch_execz .LBB401_616
; %bb.611:                              ;   in Loop: Header=BB401_10 Depth=1
	v_cmp_ne_u16_sdwa s[8:9], v20, s21 src0_sel:BYTE_0 src1_sel:DWORD
	v_bfrev_b32_e32 v15, 1
	s_and_saveexec_b64 s[30:31], s[8:9]
	s_cbranch_execz .LBB401_615
; %bb.612:                              ;   in Loop: Header=BB401_10 Depth=1
	v_and_b32_e32 v21, 0x7f, v20
	v_cmp_ne_u32_e64 s[8:9], s37, v21
	v_mov_b32_e32 v15, 0x7f800001
	s_and_saveexec_b64 s[34:35], s[8:9]
	s_cbranch_execz .LBB401_614
; %bb.613:                              ;   in Loop: Header=BB401_10 Depth=1
	v_and_b32_e32 v28, 7, v20
	v_ffbh_u32_e32 v14, v28
	v_lshrrev_b32_e32 v29, 3, v21
	v_cmp_gt_u32_e64 s[8:9], 8, v21
	v_min_u32_e32 v21, 32, v14
	v_subrev_u32_e32 v14, 28, v21
	v_lshlrev_b64 v[14:15], v14, v[20:21]
	v_sub_u32_e32 v15, 29, v21
	v_and_b32_e32 v14, 7, v14
	v_cndmask_b32_e64 v15, v29, v15, s[8:9]
	v_cndmask_b32_e64 v14, v28, v14, s[8:9]
	v_lshlrev_b32_e32 v21, 24, v20
	v_lshlrev_b32_e32 v14, 20, v14
	v_and_b32_e32 v21, 0x80000000, v21
	v_lshl_add_u32 v15, v15, 23, v39
	v_or3_b32 v15, v21, v15, v14
.LBB401_614:                            ;   in Loop: Header=BB401_10 Depth=1
	s_or_b64 exec, exec, s[34:35]
.LBB401_615:                            ;   in Loop: Header=BB401_10 Depth=1
	s_or_b64 exec, exec, s[30:31]
.LBB401_616:                            ;   in Loop: Header=BB401_10 Depth=1
	s_or_b64 exec, exec, s[28:29]
	v_mul_f32_e32 v15, v35, v15
	v_and_b32_e32 v14, 0x7f800000, v15
	v_cmp_ne_u32_e64 s[8:9], s38, v14
                                        ; implicit-def: $vgpr21
	s_and_saveexec_b64 s[28:29], s[8:9]
	s_xor_b64 s[8:9], exec, s[28:29]
; %bb.617:                              ;   in Loop: Header=BB401_10 Depth=1
	v_bfe_u32 v14, v15, 16, 1
	v_add3_u32 v21, v15, v14, s39
                                        ; implicit-def: $vgpr15
; %bb.618:                              ;   in Loop: Header=BB401_10 Depth=1
	s_andn2_saveexec_b64 s[28:29], s[8:9]
; %bb.619:                              ;   in Loop: Header=BB401_10 Depth=1
	v_or_b32_e32 v14, 0x10000, v15
	v_cmp_eq_u32_sdwa s[8:9], v15, v62 src0_sel:WORD_0 src1_sel:DWORD
	v_cndmask_b32_e64 v21, v14, v15, s[8:9]
; %bb.620:                              ;   in Loop: Header=BB401_10 Depth=1
	s_or_b64 exec, exec, s[28:29]
	v_lshrrev_b16_e32 v28, 8, v20
	v_cmp_ne_u16_e64 s[8:9], 0, v28
	v_mov_b32_e32 v15, 0
	s_and_saveexec_b64 s[28:29], s[8:9]
	s_cbranch_execz .LBB401_626
; %bb.621:                              ;   in Loop: Header=BB401_10 Depth=1
	v_cmp_ne_u16_e64 s[8:9], s21, v28
	v_bfrev_b32_e32 v15, 1
	s_and_saveexec_b64 s[30:31], s[8:9]
	s_cbranch_execz .LBB401_625
; %bb.622:                              ;   in Loop: Header=BB401_10 Depth=1
	v_and_b32_e32 v29, 0x7f, v28
	v_cmp_ne_u32_e64 s[8:9], s37, v29
	v_mov_b32_e32 v15, 0x7f800001
	s_and_saveexec_b64 s[34:35], s[8:9]
	s_cbranch_execz .LBB401_624
; %bb.623:                              ;   in Loop: Header=BB401_10 Depth=1
	v_and_b32_e32 v31, 7, v28
	v_ffbh_u32_e32 v14, v31
	v_accvgpr_write_b32 a35, v48
	v_lshrrev_b32_e32 v48, 3, v29
	v_cmp_gt_u32_e64 s[8:9], 8, v29
	v_min_u32_e32 v29, 32, v14
	v_subrev_u32_e32 v14, 28, v29
	v_lshlrev_b64 v[14:15], v14, v[28:29]
	v_sub_u32_e32 v15, 29, v29
	v_and_b32_e32 v14, 7, v14
	v_cndmask_b32_e64 v15, v48, v15, s[8:9]
	v_cndmask_b32_e64 v14, v31, v14, s[8:9]
	v_lshlrev_b32_e32 v28, 16, v20
	v_lshlrev_b32_e32 v14, 20, v14
	v_and_b32_e32 v28, 0x80000000, v28
	v_lshl_add_u32 v15, v15, 23, v39
	v_accvgpr_read_b32 v48, a35
	v_or3_b32 v15, v28, v15, v14
.LBB401_624:                            ;   in Loop: Header=BB401_10 Depth=1
	s_or_b64 exec, exec, s[34:35]
.LBB401_625:                            ;   in Loop: Header=BB401_10 Depth=1
	s_or_b64 exec, exec, s[30:31]
.LBB401_626:                            ;   in Loop: Header=BB401_10 Depth=1
	s_or_b64 exec, exec, s[28:29]
	v_mul_f32_e32 v15, v35, v15
	v_and_b32_e32 v14, 0x7f800000, v15
	v_cmp_ne_u32_e64 s[8:9], s38, v14
                                        ; implicit-def: $vgpr29
	s_and_saveexec_b64 s[28:29], s[8:9]
	s_xor_b64 s[8:9], exec, s[28:29]
; %bb.627:                              ;   in Loop: Header=BB401_10 Depth=1
	v_bfe_u32 v14, v15, 16, 1
	v_add3_u32 v29, v15, v14, s39
                                        ; implicit-def: $vgpr15
; %bb.628:                              ;   in Loop: Header=BB401_10 Depth=1
	s_andn2_saveexec_b64 s[28:29], s[8:9]
; %bb.629:                              ;   in Loop: Header=BB401_10 Depth=1
	v_or_b32_e32 v14, 0x10000, v15
	v_cmp_eq_u32_sdwa s[8:9], v15, v62 src0_sel:WORD_0 src1_sel:DWORD
	v_cndmask_b32_e64 v29, v14, v15, s[8:9]
; %bb.630:                              ;   in Loop: Header=BB401_10 Depth=1
	s_or_b64 exec, exec, s[28:29]
	v_lshrrev_b32_e32 v28, 16, v20
	v_cmp_ne_u16_sdwa s[8:9], v28, v62 src0_sel:BYTE_0 src1_sel:DWORD
	v_mov_b32_e32 v15, 0
	s_and_saveexec_b64 s[28:29], s[8:9]
	s_cbranch_execz .LBB401_636
; %bb.631:                              ;   in Loop: Header=BB401_10 Depth=1
	v_cmp_ne_u16_sdwa s[8:9], v28, s21 src0_sel:BYTE_0 src1_sel:DWORD
	v_bfrev_b32_e32 v15, 1
	s_and_saveexec_b64 s[30:31], s[8:9]
	s_cbranch_execz .LBB401_635
; %bb.632:                              ;   in Loop: Header=BB401_10 Depth=1
	v_bfe_u32 v31, v20, 16, 7
	v_cmp_ne_u32_e64 s[8:9], s37, v31
	v_mov_b32_e32 v15, 0x7f800001
	s_and_saveexec_b64 s[34:35], s[8:9]
	s_cbranch_execz .LBB401_634
; %bb.633:                              ;   in Loop: Header=BB401_10 Depth=1
	v_and_b32_e32 v39, 7, v28
	v_ffbh_u32_e32 v14, v39
	v_accvgpr_write_b32 a35, v22
	v_lshrrev_b32_e32 v22, 3, v31
	v_cmp_gt_u32_e64 s[8:9], 8, v31
	v_min_u32_e32 v31, 32, v14
	v_subrev_u32_e32 v14, 28, v31
	v_lshlrev_b64 v[14:15], v14, v[28:29]
	v_sub_u32_e32 v15, 29, v31
	v_and_b32_e32 v14, 7, v14
	v_cndmask_b32_e64 v15, v22, v15, s[8:9]
	v_cndmask_b32_e64 v14, v39, v14, s[8:9]
	v_bfrev_b32_e32 v39, 60
	v_lshlrev_b32_e32 v22, 24, v28
	v_lshlrev_b32_e32 v14, 20, v14
	v_and_b32_e32 v22, 0x80000000, v22
	v_lshl_add_u32 v15, v15, 23, v39
	v_or3_b32 v15, v22, v15, v14
	v_accvgpr_read_b32 v22, a35
.LBB401_634:                            ;   in Loop: Header=BB401_10 Depth=1
	s_or_b64 exec, exec, s[34:35]
.LBB401_635:                            ;   in Loop: Header=BB401_10 Depth=1
	s_or_b64 exec, exec, s[30:31]
.LBB401_636:                            ;   in Loop: Header=BB401_10 Depth=1
	s_or_b64 exec, exec, s[28:29]
	v_mul_f32_e32 v15, v35, v15
	v_and_b32_e32 v14, 0x7f800000, v15
	v_cmp_ne_u32_e64 s[8:9], s38, v14
                                        ; implicit-def: $vgpr31
	s_and_saveexec_b64 s[28:29], s[8:9]
	s_xor_b64 s[8:9], exec, s[28:29]
; %bb.637:                              ;   in Loop: Header=BB401_10 Depth=1
	v_bfe_u32 v14, v15, 16, 1
	v_add3_u32 v31, v15, v14, s39
                                        ; implicit-def: $vgpr15
; %bb.638:                              ;   in Loop: Header=BB401_10 Depth=1
	s_andn2_saveexec_b64 s[28:29], s[8:9]
; %bb.639:                              ;   in Loop: Header=BB401_10 Depth=1
	v_or_b32_e32 v14, 0x10000, v15
	v_cmp_eq_u32_sdwa s[8:9], v15, v62 src0_sel:WORD_0 src1_sel:DWORD
	v_cndmask_b32_e64 v31, v14, v15, s[8:9]
; %bb.640:                              ;   in Loop: Header=BB401_10 Depth=1
	s_or_b64 exec, exec, s[28:29]
	v_cmp_lt_u32_e64 s[8:9], s40, v20
	v_mov_b32_e32 v15, 0
	s_and_saveexec_b64 s[28:29], s[8:9]
	s_cbranch_execz .LBB401_646
; %bb.641:                              ;   in Loop: Header=BB401_10 Depth=1
	v_lshrrev_b32_e32 v28, 24, v20
	v_cmp_ne_u32_e64 s[8:9], s21, v28
	v_bfrev_b32_e32 v15, 1
	s_and_saveexec_b64 s[30:31], s[8:9]
	s_cbranch_execz .LBB401_645
; %bb.642:                              ;   in Loop: Header=BB401_10 Depth=1
	v_bfe_u32 v20, v20, 24, 7
	v_cmp_ne_u32_e64 s[8:9], s37, v20
	v_mov_b32_e32 v15, 0x7f800001
	s_and_saveexec_b64 s[34:35], s[8:9]
	s_cbranch_execz .LBB401_644
; %bb.643:                              ;   in Loop: Header=BB401_10 Depth=1
	v_accvgpr_write_b32 a35, v22
	v_and_b32_e32 v22, 7, v28
	v_ffbh_u32_e32 v14, v22
	v_lshrrev_b32_e32 v39, 3, v20
	v_cmp_gt_u32_e64 s[8:9], 8, v20
	v_min_u32_e32 v20, 32, v14
	v_subrev_u32_e32 v14, 28, v20
	v_lshlrev_b64 v[14:15], v14, v[28:29]
	v_sub_u32_e32 v15, 29, v20
	v_and_b32_e32 v14, 7, v14
	v_cndmask_b32_e64 v15, v39, v15, s[8:9]
	v_bfrev_b32_e32 v39, 60
	v_cndmask_b32_e64 v14, v22, v14, s[8:9]
	v_lshlrev_b32_e32 v20, 24, v28
	v_lshlrev_b32_e32 v14, 20, v14
	v_and_b32_e32 v20, 0x80000000, v20
	v_lshl_add_u32 v15, v15, 23, v39
	v_accvgpr_read_b32 v22, a35
	v_or3_b32 v15, v20, v15, v14
.LBB401_644:                            ;   in Loop: Header=BB401_10 Depth=1
	s_or_b64 exec, exec, s[34:35]
.LBB401_645:                            ;   in Loop: Header=BB401_10 Depth=1
	s_or_b64 exec, exec, s[30:31]
.LBB401_646:                            ;   in Loop: Header=BB401_10 Depth=1
	s_or_b64 exec, exec, s[28:29]
	v_mul_f32_e32 v15, v35, v15
	v_and_b32_e32 v14, 0x7f800000, v15
	v_cmp_ne_u32_e64 s[8:9], s38, v14
                                        ; implicit-def: $vgpr20
	s_and_saveexec_b64 s[28:29], s[8:9]
	s_xor_b64 s[8:9], exec, s[28:29]
; %bb.647:                              ;   in Loop: Header=BB401_10 Depth=1
	v_bfe_u32 v14, v15, 16, 1
	v_add3_u32 v20, v15, v14, s39
                                        ; implicit-def: $vgpr15
; %bb.648:                              ;   in Loop: Header=BB401_10 Depth=1
	s_andn2_saveexec_b64 s[28:29], s[8:9]
; %bb.649:                              ;   in Loop: Header=BB401_10 Depth=1
	v_or_b32_e32 v14, 0x10000, v15
	v_cmp_eq_u32_sdwa s[8:9], v15, v62 src0_sel:WORD_0 src1_sel:DWORD
	v_cndmask_b32_e64 v20, v14, v15, s[8:9]
; %bb.650:                              ;   in Loop: Header=BB401_10 Depth=1
	s_or_b64 exec, exec, s[28:29]
	v_and_b32_e32 v15, 0xffff0000, v22
	buffer_load_dword v22, off, s[0:3], s32 offset:212 ; 4-byte Folded Reload
	v_and_b32_e32 v14, 0xffff0000, v23
	v_and_b32_e32 v12, 0xffff0000, v12
	;; [unrolled: 1-line block ×6, first 2 shown]
	s_waitcnt vmcnt(0)
	v_mul_f32_e32 v28, v22, v14
	buffer_load_dword v14, off, s[0:3], s32 offset:196 ; 4-byte Folded Reload
	buffer_load_dword v22, off, s[0:3], s32 offset:220 ; 4-byte Folded Reload
	s_waitcnt vmcnt(1)
	v_fmac_f32_e32 v28, v14, v15
	v_and_b32_e32 v14, 0xffff0000, v49
	s_waitcnt vmcnt(0)
	v_mul_f32_e32 v35, v22, v14
	buffer_load_dword v14, off, s[0:3], s32 offset:200 ; 4-byte Folded Reload
	buffer_load_dword v22, off, s[0:3], s32 offset:216 ; 4-byte Folded Reload
	v_and_b32_e32 v15, 0xffff0000, v48
	s_waitcnt vmcnt(1)
	v_fmac_f32_e32 v35, v14, v15
	v_and_b32_e32 v14, 0xffff0000, v50
	s_waitcnt vmcnt(0)
	v_mul_f32_e32 v48, v22, v14
	buffer_load_dword v14, off, s[0:3], s32 offset:204 ; 4-byte Folded Reload
	v_and_b32_e32 v15, 0xffff0000, v26
	v_and_b32_e32 v22, 0xffff0000, v13
	buffer_load_dword v13, off, s[0:3], s32 offset:232 ; 4-byte Folded Reload
	s_waitcnt vmcnt(1)
	v_fmac_f32_e32 v48, v14, v15
	buffer_load_dword v15, off, s[0:3], s32 offset:228 ; 4-byte Folded Reload
	v_and_b32_e32 v14, 0xffff0000, v51
	s_waitcnt vmcnt(0)
	v_mul_f32_e32 v15, v15, v14
	buffer_load_dword v14, off, s[0:3], s32 offset:208 ; 4-byte Folded Reload
	s_waitcnt vmcnt(0)
	v_fmac_f32_e32 v15, v14, v22
	buffer_load_dword v22, off, s[0:3], s32 offset:224 ; 4-byte Folded Reload
	v_and_b32_e32 v14, 0xffff0000, v52
	s_waitcnt vmcnt(0)
	v_fmac_f32_e32 v28, v22, v14
	v_and_b32_e32 v14, 0xffff0000, v53
	v_fmac_f32_e32 v35, v13, v14
	buffer_load_dword v13, off, s[0:3], s32 offset:236 ; 4-byte Folded Reload
	v_and_b32_e32 v14, 0xffff0000, v16
	v_accvgpr_read_b32 v22, a51
	s_waitcnt vmcnt(0)
	v_fmac_f32_e32 v48, v13, v14
	buffer_load_dword v13, off, s[0:3], s32 offset:240 ; 4-byte Folded Reload
	v_and_b32_e32 v14, 0xffff0000, v17
	s_waitcnt vmcnt(0)
	v_fmac_f32_e32 v15, v13, v14
	buffer_load_dword v13, off, s[0:3], s32 offset:244 ; 4-byte Folded Reload
	v_and_b32_e32 v14, 0xffff0000, v54
	;; [unrolled: 4-line block ×8, first 2 shown]
	s_waitcnt vmcnt(0)
	v_fmac_f32_e32 v48, v13, v14
	v_accvgpr_read_b32 v13, a38
	v_and_b32_e32 v14, 0xffff0000, v13
	buffer_load_dword v13, off, s[0:3], s32 offset:272 ; 4-byte Folded Reload
	s_waitcnt vmcnt(0)
	v_fmac_f32_e32 v15, v13, v14
	v_accvgpr_read_b32 v13, a39
	v_and_b32_e32 v14, 0xffff0000, v13
	buffer_load_dword v13, off, s[0:3], s32 offset:276 ; 4-byte Folded Reload
	;; [unrolled: 5-line block ×5, first 2 shown]
	s_waitcnt vmcnt(0)
	v_fmac_f32_e32 v15, v13, v14
	v_accvgpr_read_b32 v13, a43
	v_and_b32_e32 v14, 0xffff0000, v13
	v_accvgpr_read_b32 v13, a44
	v_fmac_f32_e32 v28, v22, v14
	v_and_b32_e32 v14, 0xffff0000, v13
	v_accvgpr_read_b32 v22, a52
	v_accvgpr_read_b32 v13, a45
	v_fmac_f32_e32 v35, v22, v14
	v_and_b32_e32 v14, 0xffff0000, v13
	v_accvgpr_read_b32 v22, a53
	;; [unrolled: 4-line block ×7, first 2 shown]
	v_fmac_f32_e32 v15, v22, v14
	v_and_b32_e32 v14, 0xffff0000, v45
	v_accvgpr_read_b32 v22, a59
	v_fmac_f32_e32 v28, v22, v14
	v_and_b32_e32 v14, 0xffff0000, v46
	v_accvgpr_read_b32 v22, a60
	;; [unrolled: 3-line block ×7, first 2 shown]
	v_fmac_f32_e32 v48, v22, v14
	v_accvgpr_read_b32 v14, a20
	v_fmac_f32_e32 v15, v14, v12
	v_and_b32_e32 v12, 0xffff0000, v33
	v_accvgpr_read_b32 v14, a21
	v_fmac_f32_e32 v28, v14, v12
	v_and_b32_e32 v12, 0xffff0000, v27
	;; [unrolled: 3-line block ×3, first 2 shown]
	v_accvgpr_read_b32 v14, a19
	v_fmac_f32_e32 v48, v14, v12
	v_accvgpr_read_b32 v12, a26
	v_fmac_f32_e32 v15, v12, v8
	v_and_b32_e32 v8, 0xffff0000, v9
	v_accvgpr_read_b32 v9, a25
	v_fmac_f32_e32 v28, v9, v8
	v_and_b32_e32 v8, 0xffff0000, v59
	;; [unrolled: 3-line block ×5, first 2 shown]
	v_accvgpr_read_b32 v9, a1
	v_fmac_f32_e32 v28, v9, v8
	v_accvgpr_read_b32 v8, a13
	v_fmac_f32_e32 v35, v8, v6
	v_and_b32_e32 v6, 0xffff0000, v7
	v_accvgpr_read_b32 v7, a14
	v_fmac_f32_e32 v48, v7, v6
	v_and_b32_e32 v6, 0xffff0000, v38
	;; [unrolled: 3-line block ×5, first 2 shown]
	v_accvgpr_read_b32 v7, a10
	v_fmac_f32_e32 v48, v7, v6
	v_accvgpr_read_b32 v6, a8
	v_fmac_f32_e32 v15, v6, v1
	;; [unrolled: 2-line block ×3, first 2 shown]
	v_and_b32_e32 v0, 0xffff0000, v3
	v_accvgpr_read_b32 v1, a6
	v_fmac_f32_e32 v35, v1, v0
	v_and_b32_e32 v0, 0xffff0000, v2
	v_accvgpr_read_b32 v1, a5
	v_fmac_f32_e32 v48, v1, v0
	;; [unrolled: 3-line block ×7, first 2 shown]
	v_add_f32_e32 v0, v28, v35
	v_add_f32_e32 v0, v0, v48
	;; [unrolled: 1-line block ×3, first 2 shown]
	v_accvgpr_read_b32 v1, a31
	ds_bpermute_b32 v1, v1, v0
	s_and_saveexec_b64 s[28:29], vcc
	s_cbranch_execz .LBB401_9
; %bb.651:                              ;   in Loop: Header=BB401_10 Depth=1
	s_waitcnt lgkmcnt(0)
	v_add_f32_e32 v0, v0, v1
	buffer_load_dword v1, off, s[0:3], s32 offset:292 ; 4-byte Folded Reload
	v_sub_u32_e32 v2, 1, v32
	v_add_u32_e32 v2, v2, v61
	v_cvt_f32_i32_e32 v2, v2
	s_load_dword s8, s[24:25], 0x0
	v_accvgpr_read_b32 v3, a24
	s_waitcnt vmcnt(0)
	v_mul_f32_e32 v1, v1, v2
	v_cndmask_b32_e64 v1, 0, v1, s[6:7]
	s_waitcnt lgkmcnt(0)
	v_add_u32_e32 v2, s8, v5
	v_fmac_f32_e32 v1, v0, v3
	v_cmp_lt_i32_e64 s[8:9], v61, v32
	v_cndmask_b32_e64 v0, 0, v1, s[8:9]
	ds_write_b32 v2, v0
	buffer_load_dword v2, off, s[0:3], s32 offset:192 ; 4-byte Folded Reload
	s_waitcnt vmcnt(0)
	v_max_f32_e32 v0, v2, v2
	v_max_f32_e32 v0, v0, v1
	v_cndmask_b32_e64 v2, v2, v0, s[8:9]
	buffer_store_dword v2, off, s[0:3], s32 offset:192 ; 4-byte Folded Spill
	s_branch .LBB401_9
.LBB401_652:
	s_or_b64 exec, exec, s[26:27]
	buffer_load_dword v14, off, s[0:3], s32 offset:296 ; 4-byte Folded Reload
	buffer_load_dword v15, off, s[0:3], s32 offset:380 ; 4-byte Folded Reload
	buffer_load_dword v30, off, s[0:3], s32 offset:376 ; 4-byte Folded Reload
	buffer_load_dword v26, off, s[0:3], s32 offset:368 ; 4-byte Folded Reload
	buffer_load_dword v27, off, s[0:3], s32 offset:372 ; 4-byte Folded Reload
	buffer_load_dword v11, off, s[0:3], s32 offset:360 ; 4-byte Folded Reload
	buffer_load_dword v10, off, s[0:3], s32 offset:364 ; 4-byte Folded Reload
	buffer_load_dword v33, off, s[0:3], s32 offset:352 ; 4-byte Folded Reload
	buffer_load_dword v34, off, s[0:3], s32 offset:356 ; 4-byte Folded Reload
	buffer_load_dword v35, off, s[0:3], s32 offset:344 ; 4-byte Folded Reload
	buffer_load_dword v36, off, s[0:3], s32 offset:348 ; 4-byte Folded Reload
	buffer_load_dword v31, off, s[0:3], s32 offset:312 ; 4-byte Folded Reload
	buffer_load_dword v37, off, s[0:3], s32 offset:340 ; 4-byte Folded Reload
	buffer_load_dword v38, off, s[0:3], s32 offset:308 ; 4-byte Folded Reload
	buffer_load_dword v48, off, s[0:3], s32 offset:324 ; 4-byte Folded Reload
	buffer_load_dword v49, off, s[0:3], s32 offset:328 ; 4-byte Folded Reload
	buffer_load_dword v39, off, s[0:3], s32 offset:316 ; 4-byte Folded Reload
	buffer_load_dword v50, off, s[0:3], s32 offset:320 ; 4-byte Folded Reload
	buffer_load_dword v12, off, s[0:3], s32 offset:336 ; 4-byte Folded Reload
	buffer_load_dword v18, off, s[0:3], s32 offset:332 ; 4-byte Folded Reload
	buffer_load_dword v13, off, s[0:3], s32 offset:192 ; 4-byte Folded Reload
.LBB401_653:
	s_or_b64 exec, exec, s[10:11]
	s_waitcnt vmcnt(2)
	v_xor_b32_e32 v0, 32, v12
	s_waitcnt vmcnt(1)
	v_cmp_lt_i32_e32 vcc, v0, v18
	v_cndmask_b32_e32 v0, v12, v0, vcc
	v_lshlrev_b32_e32 v2, 2, v0
	s_waitcnt vmcnt(0)
	ds_bpermute_b32 v0, v2, v13
	v_xor_b32_e32 v3, 16, v12
	s_waitcnt lgkmcnt(0)
	v_max_f32_e32 v1, v13, v13
	v_cmp_lt_i32_e32 vcc, v3, v18
	v_xor_b32_e32 v4, 8, v12
	v_max_f32_e32 v0, v0, v0
	v_max_f32_e32 v0, v1, v0
	v_cndmask_b32_e32 v1, v12, v3, vcc
	v_lshlrev_b32_e32 v3, 2, v1
	ds_bpermute_b32 v1, v3, v0
	v_cmp_lt_i32_e32 vcc, v4, v18
	v_xor_b32_e32 v5, 4, v12
	v_xor_b32_e32 v6, 2, v12
	v_and_b32_e32 v22, 63, v14
	s_waitcnt lgkmcnt(0)
	v_max_f32_e32 v1, v1, v1
	v_max_f32_e32 v0, v0, v1
	v_cndmask_b32_e32 v1, v12, v4, vcc
	v_lshlrev_b32_e32 v4, 2, v1
	ds_bpermute_b32 v1, v4, v0
	v_cmp_lt_i32_e32 vcc, v5, v18
	s_lshr_b32 s23, s23, 16
	s_waitcnt lgkmcnt(0)
	v_max_f32_e32 v1, v1, v1
	v_max_f32_e32 v0, v0, v1
	v_cndmask_b32_e32 v1, v12, v5, vcc
	v_lshlrev_b32_e32 v5, 2, v1
	ds_bpermute_b32 v1, v5, v0
	v_cmp_lt_i32_e32 vcc, v6, v18
	s_waitcnt lgkmcnt(0)
	v_max_f32_e32 v1, v1, v1
	v_max_f32_e32 v0, v0, v1
	v_cndmask_b32_e32 v1, v12, v6, vcc
	v_lshlrev_b32_e32 v23, 2, v1
	ds_bpermute_b32 v1, v23, v0
	v_cmp_eq_u32_e32 vcc, 0, v22
	v_lshlrev_b32_e32 v6, 2, v37
	s_and_saveexec_b64 s[6:7], vcc
	s_cbranch_execz .LBB401_655
; %bb.654:
	s_waitcnt lgkmcnt(0)
	v_max_f32_e32 v1, v1, v1
	v_max_f32_e32 v0, v0, v0
	;; [unrolled: 1-line block ×3, first 2 shown]
	ds_write_b32 v6, v0 offset:256
.LBB401_655:
	s_or_b64 exec, exec, s[6:7]
	v_cmp_gt_u32_e64 s[6:7], 2, v22
	v_mov_b32_e32 v0, 0xff7fffff
	v_lshlrev_b32_e32 v7, 2, v22
	s_waitcnt lgkmcnt(0)
	s_barrier
	s_and_saveexec_b64 s[8:9], s[6:7]
	s_cbranch_execz .LBB401_657
; %bb.656:
	ds_read_b32 v0, v7 offset:256
.LBB401_657:
	s_or_b64 exec, exec, s[8:9]
	buffer_load_dword v8, off, s[0:3], s32 offset:188 ; 4-byte Folded Reload
	v_xor_b32_e32 v1, 1, v12
	v_cmp_lt_i32_e64 s[8:9], v1, v18
	v_cndmask_b32_e64 v1, v12, v1, s[8:9]
	v_lshlrev_b32_e32 v28, 2, v1
	s_waitcnt lgkmcnt(0)
	ds_bpermute_b32 v1, v28, v0
	v_max_f32_e32 v0, v0, v0
	v_mov_b32_e32 v19, 0
	s_waitcnt lgkmcnt(0)
	v_max_f32_e32 v1, v1, v1
	v_max_f32_e32 v0, v0, v1
	v_lshlrev_b32_e32 v1, 2, v12
	s_waitcnt vmcnt(0)
	v_subrev_u32_e32 v8, s15, v8
	v_lshl_add_u32 v9, v8, 5, s36
	v_and_b32_e32 v8, 0xffffff00, v1
	ds_bpermute_b32 v0, v8, v0
	v_min_i32_e32 v9, v9, v32
	v_subrev_u32_e32 v1, s36, v9
	v_cmp_lt_i32_e64 s[8:9], v14, v1
	s_and_saveexec_b64 s[24:25], s[8:9]
	s_cbranch_execz .LBB401_661
; %bb.658:
	s_ashr_i32 s21, s20, 31
	s_lshl_b64 s[10:11], s[20:21], 2
	s_getpc_b64 s[26:27]
	s_add_u32 s26, s26, llvm.amdgcn.dynlds.offset.table@rel32@lo+4
	s_addc_u32 s27, s27, llvm.amdgcn.dynlds.offset.table@rel32@hi+12
	s_add_u32 s10, s10, s26
	s_addc_u32 s11, s11, s27
	s_load_dword s10, s[10:11], 0x0
	s_mov_b64 s[26:27], 0
	v_mov_b32_e32 v19, 0
	v_mov_b32_e32 v12, v14
	s_waitcnt lgkmcnt(0)
	v_lshl_add_u32 v18, v14, 2, s10
.LBB401_659:                            ; =>This Inner Loop Header: Depth=1
	ds_read_b32 v13, v18
	v_add_u32_e32 v12, 0x80, v12
	v_cmp_ge_i32_e64 s[10:11], v12, v1
	s_or_b64 s[26:27], s[10:11], s[26:27]
	s_waitcnt lgkmcnt(0)
	v_sub_f32_e32 v13, v13, v0
	v_mul_f32_e32 v13, 0x3fb8aa3b, v13
	v_exp_f32_e32 v13, v13
	ds_write_b32 v18, v13
	v_add_f32_e32 v19, v19, v13
	v_add_u32_e32 v18, 0x200, v18
	s_andn2_b64 exec, exec, s[26:27]
	s_cbranch_execnz .LBB401_659
; %bb.660:
	s_or_b64 exec, exec, s[26:27]
.LBB401_661:
	s_or_b64 exec, exec, s[24:25]
	ds_bpermute_b32 v2, v2, v19
	s_waitcnt lgkmcnt(0)
	v_add_f32_e32 v2, v19, v2
	ds_bpermute_b32 v3, v3, v2
	s_waitcnt lgkmcnt(0)
	v_add_f32_e32 v2, v2, v3
	;; [unrolled: 3-line block ×6, first 2 shown]
	s_and_saveexec_b64 s[10:11], vcc
	s_cbranch_execz .LBB401_663
; %bb.662:
	ds_write_b32 v6, v2 offset:264
.LBB401_663:
	s_or_b64 exec, exec, s[10:11]
	s_waitcnt lgkmcnt(0)
	s_barrier
	s_and_saveexec_b64 s[10:11], s[6:7]
	s_cbranch_execz .LBB401_665
; %bb.664:
	ds_read_b32 v2, v7 offset:264
.LBB401_665:
	s_or_b64 exec, exec, s[10:11]
	s_waitcnt lgkmcnt(0)
	ds_bpermute_b32 v3, v28, v2
	s_waitcnt lgkmcnt(0)
	v_add_f32_e32 v2, v2, v3
	ds_bpermute_b32 v2, v8, v2
	s_and_saveexec_b64 s[6:7], s[8:9]
	s_cbranch_execz .LBB401_678
; %bb.666:
	s_waitcnt lgkmcnt(0)
	v_add_f32_e32 v3, 0x358637bd, v2
	v_div_scale_f32 v4, s[8:9], v3, v3, 1.0
	v_rcp_f32_e32 v5, v4
	v_div_scale_f32 v6, vcc, 1.0, v3, 1.0
	s_movk_i32 s8, 0x7f
	v_fma_f32 v7, -v4, v5, 1.0
	v_fmac_f32_e32 v5, v7, v5
	v_mul_f32_e32 v7, v6, v5
	v_fma_f32 v8, -v4, v7, v6
	v_fmac_f32_e32 v7, v8, v5
	v_fma_f32 v4, -v4, v7, v6
	v_div_fmas_f32 v4, v4, v5, v7
	v_div_fixup_f32 v8, v4, v3, 1.0
	v_xad_u32 v3, v14, -1, v9
	v_subrev_u32_e32 v4, s36, v3
	v_cmp_lt_u32_e32 vcc, s8, v4
	s_mov_b64 s[10:11], -1
	v_mov_b32_e32 v3, v14
	s_and_saveexec_b64 s[8:9], vcc
	s_cbranch_execz .LBB401_675
; %bb.667:
	v_lshrrev_b32_e32 v3, 7, v4
	v_add_u32_e32 v5, -1, v3
	v_lshrrev_b32_e32 v4, 1, v5
	v_mov_b32_e32 v9, v8
	v_add_u32_e32 v4, 1, v4
	v_cmp_lt_u32_e32 vcc, 13, v5
	v_mov_b32_e32 v7, 0
	s_and_saveexec_b64 s[10:11], vcc
	s_cbranch_execz .LBB401_671
; %bb.668:
	s_ashr_i32 s21, s20, 31
	s_lshl_b64 s[24:25], s[20:21], 2
	s_getpc_b64 s[26:27]
	s_add_u32 s26, s26, llvm.amdgcn.dynlds.offset.table@rel32@lo+4
	s_addc_u32 s27, s27, llvm.amdgcn.dynlds.offset.table@rel32@hi+12
	s_add_u32 s24, s24, s26
	s_addc_u32 s25, s25, s27
	s_load_dword s21, s[24:25], 0x0
	v_and_b32_e32 v5, -8, v4
	s_mov_b32 s15, 0
	s_mov_b64 s[24:25], 0
	s_waitcnt lgkmcnt(0)
	v_lshl_add_u32 v6, v14, 2, s21
.LBB401_669:                            ; =>This Inner Loop Header: Depth=1
	ds_read2st64_b32 v[24:25], v6 offset1:2
	ds_read2st64_b32 v[12:13], v6 offset0:4 offset1:6
	ds_read2st64_b32 v[20:21], v6 offset0:8 offset1:10
	;; [unrolled: 1-line block ×3, first 2 shown]
	v_add_u32_e32 v5, -8, v5
	s_waitcnt lgkmcnt(3)
	v_pk_mul_f32 v[24:25], v[8:9], v[24:25]
	s_waitcnt lgkmcnt(2)
	v_pk_mul_f32 v[12:13], v[8:9], v[12:13]
	ds_write2st64_b32 v6, v24, v25 offset1:2
	ds_write2st64_b32 v6, v12, v13 offset0:4 offset1:6
	ds_read2st64_b32 v[12:13], v6 offset0:16 offset1:18
	s_waitcnt lgkmcnt(4)
	v_pk_mul_f32 v[20:21], v[8:9], v[20:21]
	s_waitcnt lgkmcnt(3)
	v_pk_mul_f32 v[18:19], v[8:9], v[18:19]
	ds_write2st64_b32 v6, v20, v21 offset0:8 offset1:10
	ds_write2st64_b32 v6, v18, v19 offset0:12 offset1:14
	s_waitcnt lgkmcnt(2)
	v_pk_mul_f32 v[12:13], v[8:9], v[12:13]
	ds_read2st64_b32 v[20:21], v6 offset0:20 offset1:22
	ds_read2st64_b32 v[18:19], v6 offset0:24 offset1:26
	ds_write2st64_b32 v6, v12, v13 offset0:16 offset1:18
	ds_read2st64_b32 v[12:13], v6 offset0:28 offset1:30
	s_add_i32 s15, s15, 16
	s_waitcnt lgkmcnt(3)
	v_pk_mul_f32 v[20:21], v[8:9], v[20:21]
	s_waitcnt lgkmcnt(2)
	v_pk_mul_f32 v[18:19], v[8:9], v[18:19]
	v_cmp_eq_u32_e32 vcc, 0, v5
	s_waitcnt lgkmcnt(0)
	v_pk_mul_f32 v[12:13], v[8:9], v[12:13]
	ds_write2st64_b32 v6, v20, v21 offset0:20 offset1:22
	ds_write2st64_b32 v6, v18, v19 offset0:24 offset1:26
	;; [unrolled: 1-line block ×3, first 2 shown]
	v_add_u32_e32 v6, 0x2000, v6
	s_or_b64 s[24:25], vcc, s[24:25]
	v_mov_b32_e32 v7, s15
	s_andn2_b64 exec, exec, s[24:25]
	s_cbranch_execnz .LBB401_669
; %bb.670:
	s_or_b64 exec, exec, s[24:25]
	buffer_load_dword v14, off, s[0:3], s32 offset:296 ; 4-byte Folded Reload
.LBB401_671:
	s_or_b64 exec, exec, s[10:11]
	v_and_b32_e32 v4, 7, v4
	v_cmp_ne_u32_e32 vcc, 0, v4
	s_and_saveexec_b64 s[10:11], vcc
	s_cbranch_execz .LBB401_674
; %bb.672:
	s_ashr_i32 s21, s20, 31
	s_lshl_b64 s[24:25], s[20:21], 2
	s_getpc_b64 s[26:27]
	s_add_u32 s26, s26, llvm.amdgcn.dynlds.offset.table@rel32@lo+4
	s_addc_u32 s27, s27, llvm.amdgcn.dynlds.offset.table@rel32@hi+12
	s_add_u32 s24, s24, s26
	s_addc_u32 s25, s25, s27
	s_load_dword s15, s[24:25], 0x0
	v_lshlrev_b32_e32 v5, 9, v7
	s_waitcnt vmcnt(0)
	v_lshlrev_b32_e32 v6, 2, v14
	s_mov_b64 s[24:25], 0
	s_waitcnt lgkmcnt(0)
	v_add3_u32 v5, v5, v6, s15
.LBB401_673:                            ; =>This Inner Loop Header: Depth=1
	ds_read2st64_b32 v[6:7], v5 offset1:2
	v_add_u32_e32 v4, -1, v4
	v_cmp_eq_u32_e32 vcc, 0, v4
	s_or_b64 s[24:25], vcc, s[24:25]
	s_waitcnt lgkmcnt(0)
	v_pk_mul_f32 v[6:7], v[8:9], v[6:7]
	ds_write2st64_b32 v5, v6, v7 offset1:2
	v_add_u32_e32 v5, 0x400, v5
	s_andn2_b64 exec, exec, s[24:25]
	s_cbranch_execnz .LBB401_673
.LBB401_674:
	s_or_b64 exec, exec, s[10:11]
	v_add_u32_e32 v4, 1, v3
	v_and_b32_e32 v5, 0x3fffffe, v4
	v_cmp_ne_u32_e32 vcc, v4, v5
	s_waitcnt vmcnt(0)
	v_lshl_add_u32 v3, v5, 7, v14
	s_orn2_b64 s[10:11], vcc, exec
.LBB401_675:
	s_or_b64 exec, exec, s[8:9]
	s_and_b64 exec, exec, s[10:11]
	s_cbranch_execz .LBB401_678
; %bb.676:
	s_ashr_i32 s21, s20, 31
	s_lshl_b64 s[8:9], s[20:21], 2
	s_getpc_b64 s[10:11]
	s_add_u32 s10, s10, llvm.amdgcn.dynlds.offset.table@rel32@lo+4
	s_addc_u32 s11, s11, llvm.amdgcn.dynlds.offset.table@rel32@hi+12
	s_add_u32 s8, s8, s10
	s_addc_u32 s9, s9, s11
	s_load_dword s8, s[8:9], 0x0
	s_waitcnt lgkmcnt(0)
	v_lshl_add_u32 v4, v3, 2, s8
	s_mov_b64 s[8:9], 0
.LBB401_677:                            ; =>This Inner Loop Header: Depth=1
	ds_read_b32 v5, v4
	v_add_u32_e32 v3, 0x80, v3
	v_cmp_ge_i32_e32 vcc, v3, v1
	s_or_b64 s[8:9], vcc, s[8:9]
	s_waitcnt lgkmcnt(0)
	v_mul_f32_e32 v5, v8, v5
	ds_write_b32 v4, v5
	v_add_u32_e32 v4, 0x200, v4
	s_andn2_b64 exec, exec, s[8:9]
	s_cbranch_execnz .LBB401_677
.LBB401_678:
	s_or_b64 exec, exec, s[6:7]
	v_cmp_ne_u16_e64 s[6:7], s23, 0
	s_cmp_lg_u64 s[6:7], 0
	s_addc_u32 s23, s13, 0
	v_cmp_eq_u32_e32 vcc, 0, v14
	s_waitcnt lgkmcnt(0)
	s_barrier
	s_and_saveexec_b64 s[6:7], vcc
	s_cbranch_execz .LBB401_680
; %bb.679:
	s_mul_i32 s8, s23, s18
	s_mul_i32 s8, s8, s19
	;; [unrolled: 1-line block ×3, first 2 shown]
	s_ashr_i32 s9, s8, 31
	s_ashr_i32 s11, s10, 31
	;; [unrolled: 1-line block ×3, first 2 shown]
	s_lshl_b64 s[8:9], s[8:9], 2
	s_lshl_b64 s[10:11], s[10:11], 2
	;; [unrolled: 1-line block ×3, first 2 shown]
	s_add_u32 s10, s12, s10
	s_addc_u32 s11, s13, s11
	s_add_u32 s8, s10, s8
	s_addc_u32 s9, s11, s9
	v_mov_b32_e32 v1, s9
	v_add_co_u32_e32 v4, vcc, s8, v36
	v_addc_co_u32_e32 v5, vcc, v1, v35, vcc
	flat_store_dword v[4:5], v0
	v_add_co_u32_e32 v0, vcc, s8, v34
	v_addc_co_u32_e32 v1, vcc, v1, v33, vcc
	flat_store_dword v[0:1], v2
.LBB401_680:
	s_or_b64 exec, exec, s[6:7]
	v_mov_b32_e32 v13, 0
	v_and_b32_e32 v29, 3, v14
	v_mov_b32_e32 v12, 0
	v_mov_b32_e32 v19, 0
	;; [unrolled: 1-line block ×7, first 2 shown]
	s_and_saveexec_b64 s[6:7], s[4:5]
	s_cbranch_execz .LBB401_1628
; %bb.681:
	flat_load_dword v34, v[26:27]
	v_add_co_u32_e32 v0, vcc, v10, v39
	v_add_u32_e32 v3, -1, v38
	v_addc_co_u32_e32 v1, vcc, v11, v50, vcc
	v_accvgpr_write_b32 a9, v3
	v_and_b32_e32 v3, 0x1f8, v31
	v_add_co_u32_e32 v0, vcc, v0, v3
	s_ashr_i32 s21, s20, 31
	v_addc_co_u32_e32 v1, vcc, 0, v1, vcc
	s_lshl_b64 s[4:5], s[20:21], 2
	v_accvgpr_write_b32 a11, v1
	s_getpc_b64 s[8:9]
	s_add_u32 s8, s8, llvm.amdgcn.dynlds.offset.table@rel32@lo+4
	s_addc_u32 s9, s9, llvm.amdgcn.dynlds.offset.table@rel32@hi+12
	v_accvgpr_write_b32 a10, v0
	v_accvgpr_read_b32 v0, a40
	s_add_u32 s4, s4, s8
	v_accvgpr_read_b32 v1, a41
	s_addc_u32 s5, s5, s9
	v_lshlrev_b64 v[0:1], 2, v[0:1]
	s_load_dword s4, s[4:5], 0x0
	v_add_co_u32_e32 v0, vcc, v48, v0
	v_addc_co_u32_e32 v1, vcc, v49, v1, vcc
	v_and_b32_e32 v2, 24, v31
	v_add_co_u32_e32 v14, vcc, v30, v0
	v_lshl_add_u32 v0, v37, 5, s36
	v_add3_u32 v17, v0, v2, 7
	v_lshlrev_b32_e32 v0, 5, v29
	s_mov_b32 s8, -1
	v_lshl_or_b32 v0, v37, 7, v0
	v_accvgpr_write_b32 a7, v28
	v_accvgpr_write_b32 a6, v23
	;; [unrolled: 1-line block ×3, first 2 shown]
	s_mov_b32 s9, 0xffffff
	v_mov_b32_e32 v11, 0
	v_addc_co_u32_e32 v15, vcc, v15, v1, vcc
	v_accvgpr_write_b32 a8, v29
	s_waitcnt lgkmcnt(0)
	v_add_u32_e32 v36, s4, v0
	s_mov_b64 s[10:11], 0
	s_mov_b32 s15, 0x7f800000
	s_movk_i32 s21, 0x7fff
	s_movk_i32 s28, 0x80
	;; [unrolled: 1-line block ×3, first 2 shown]
	v_mov_b32_e32 v24, 0
	v_mov_b32_e32 v25, 0
	;; [unrolled: 1-line block ×8, first 2 shown]
	s_branch .LBB401_683
.LBB401_682:                            ;   in Loop: Header=BB401_683 Depth=1
	s_or_b64 exec, exec, s[4:5]
	v_and_b32_e32 v27, 0xffff0000, v39
	v_and_b32_e32 v26, 0xffff0000, v48
	;; [unrolled: 1-line block ×4, first 2 shown]
	v_accvgpr_read_b32 v37, a19
	v_pk_add_f32 v[26:27], v[38:39], v[26:27]
	v_and_b32_e32 v39, 0xffff0000, v37
	v_accvgpr_read_b32 v37, a17
	v_and_b32_e32 v38, 0xffff0000, v37
	v_accvgpr_read_b32 v37, a18
	;; [unrolled: 2-line block ×3, first 2 shown]
	v_and_b32_e32 v42, 0xffff0000, v37
	v_pk_add_f32 v[38:39], v[42:43], v[38:39]
	v_add_f32_e32 v26, v26, v27
	v_add_f32_e32 v26, v26, v38
	;; [unrolled: 1-line block ×3, first 2 shown]
	v_accvgpr_read_b32 v26, a30
	v_accvgpr_read_b32 v38, a29
	v_and_b32_e32 v27, 0xffff0000, v26
	v_accvgpr_read_b32 v26, a28
	v_and_b32_e32 v39, 0xffff0000, v38
	;; [unrolled: 2-line block ×3, first 2 shown]
	v_and_b32_e32 v38, 0xffff0000, v38
	v_pk_add_f32 v[26:27], v[38:39], v[26:27]
	v_accvgpr_read_b32 v38, a34
	v_accvgpr_read_b32 v48, a33
	v_and_b32_e32 v39, 0xffff0000, v38
	v_accvgpr_read_b32 v38, a32
	v_and_b32_e32 v43, 0xffff0000, v48
	;; [unrolled: 2-line block ×3, first 2 shown]
	v_and_b32_e32 v42, 0xffff0000, v48
	v_pk_add_f32 v[38:39], v[42:43], v[38:39]
	v_add_f32_e32 v26, v26, v27
	v_add_f32_e32 v26, v26, v38
	v_add_f32_e32 v48, v26, v39
	v_accvgpr_read_b32 v26, a3
	v_accvgpr_read_b32 v38, a2
	v_and_b32_e32 v27, 0xffff0000, v26
	v_accvgpr_read_b32 v26, a1
	v_and_b32_e32 v39, 0xffff0000, v38
	v_accvgpr_read_b32 v38, a0
	v_and_b32_e32 v26, 0xffff0000, v26
	v_and_b32_e32 v38, 0xffff0000, v38
	v_pk_add_f32 v[26:27], v[38:39], v[26:27]
	v_accvgpr_read_b32 v38, a38
	v_accvgpr_read_b32 v49, a37
	v_and_b32_e32 v39, 0xffff0000, v38
	v_accvgpr_read_b32 v38, a36
	v_and_b32_e32 v43, 0xffff0000, v49
	;; [unrolled: 2-line block ×3, first 2 shown]
	v_and_b32_e32 v42, 0xffff0000, v49
	v_pk_add_f32 v[38:39], v[42:43], v[38:39]
	v_add_f32_e32 v26, v26, v27
	v_add_f32_e32 v24, v24, v37
	;; [unrolled: 1-line block ×3, first 2 shown]
	v_accvgpr_read_b32 v37, a45
	v_add_f32_e32 v26, v26, v39
	v_and_b32_e32 v39, 0xffff0000, v37
	v_accvgpr_read_b32 v37, a43
	v_and_b32_e32 v38, 0xffff0000, v37
	v_accvgpr_read_b32 v37, a42
	;; [unrolled: 2-line block ×3, first 2 shown]
	v_add_f32_e32 v25, v25, v48
	v_add_f32_e32 v20, v20, v26
	v_accvgpr_read_b32 v26, a46
	v_and_b32_e32 v48, 0xffff0000, v37
	v_accvgpr_read_b32 v37, a41
	v_and_b32_e32 v27, 0xffff0000, v26
	;; [unrolled: 2-line block ×3, first 2 shown]
	v_and_b32_e32 v42, 0xffff0000, v16
	v_and_b32_e32 v26, 0xffff0000, v26
	v_pk_add_f32 v[48:49], v[42:43], v[48:49]
	v_pk_add_f32 v[26:27], v[38:39], v[26:27]
	v_add_f32_e32 v37, v48, v49
	v_add_f32_e32 v26, v37, v26
	;; [unrolled: 1-line block ×3, first 2 shown]
	v_and_b32_e32 v49, 0xffff0000, v60
	v_and_b32_e32 v48, 0xffff0000, v58
	;; [unrolled: 1-line block ×4, first 2 shown]
	v_add_f32_e32 v21, v21, v26
	v_and_b32_e32 v27, 0xffff0000, v23
	v_and_b32_e32 v26, 0xffff0000, v62
	;; [unrolled: 1-line block ×4, first 2 shown]
	v_pk_add_f32 v[48:49], v[42:43], v[48:49]
	v_pk_add_f32 v[26:27], v[38:39], v[26:27]
	v_add_f32_e32 v23, v48, v49
	v_add_f32_e32 v23, v23, v26
	v_and_b32_e32 v49, 0xffff0000, v53
	v_and_b32_e32 v48, 0xffff0000, v51
	;; [unrolled: 1-line block ×4, first 2 shown]
	v_add_f32_e32 v23, v23, v27
	v_and_b32_e32 v27, 0xffff0000, v41
	v_and_b32_e32 v26, 0xffff0000, v55
	;; [unrolled: 1-line block ×4, first 2 shown]
	v_pk_add_f32 v[48:49], v[50:51], v[48:49]
	v_pk_add_f32 v[26:27], v[38:39], v[26:27]
	v_add_f32_e32 v4, v48, v49
	v_add_f32_e32 v4, v4, v26
	;; [unrolled: 1-line block ×4, first 2 shown]
	v_and_b32_e32 v26, 0xffff0000, v28
	v_and_b32_e32 v38, 0xffff0000, v5
	;; [unrolled: 1-line block ×8, first 2 shown]
	v_pk_add_f32 v[4:5], v[28:29], v[4:5]
	v_pk_add_f32 v[26:27], v[38:39], v[26:27]
	v_add_f32_e32 v3, v4, v5
	v_add_f32_e32 v3, v3, v26
	v_and_b32_e32 v7, 0xffff0000, v7
	v_and_b32_e32 v6, 0xffff0000, v1
	;; [unrolled: 1-line block ×4, first 2 shown]
	v_add_f32_e32 v3, v3, v27
	v_and_b32_e32 v5, 0xffff0000, v10
	v_and_b32_e32 v4, 0xffff0000, v22
	;; [unrolled: 1-line block ×4, first 2 shown]
	v_pk_add_f32 v[0:1], v[0:1], v[6:7]
	v_add_f32_e32 v12, v12, v3
	v_pk_add_f32 v[2:3], v[8:9], v[4:5]
	v_add_f32_e32 v0, v0, v1
	v_add_f32_e32 v0, v0, v2
	;; [unrolled: 1-line block ×4, first 2 shown]
	buffer_load_dword v0, off, s[0:3], s32 offset:188 ; 4-byte Folded Reload
	v_accvgpr_read_b32 v2, a40
	v_add_co_u32_e32 v14, vcc, 8, v14
	v_add_u32_e32 v2, 2, v2
	v_addc_co_u32_e32 v15, vcc, 0, v15, vcc
	v_add_f32_e32 v18, v18, v23
	v_add_u32_e32 v17, 64, v17
	v_accvgpr_write_b32 a40, v2
	v_add_u32_e32 v36, 0x100, v36
	s_waitcnt vmcnt(0)
	v_cmp_ge_i32_e32 vcc, v2, v0
	s_or_b64 s[10:11], vcc, s[10:11]
	s_andn2_b64 exec, exec, s[10:11]
	s_cbranch_execz .LBB401_1627
.LBB401_683:                            ; =>This Inner Loop Header: Depth=1
	flat_load_dword v10, v[14:15]
	ds_read2_b64 v[6:9], v36 offset1:1
	ds_read2_b64 v[0:3], v36 offset0:2 offset1:3
                                        ; implicit-def: $vgpr27
	s_waitcnt lgkmcnt(0)
	v_and_b32_e32 v4, 0x7f800000, v6
	v_cmp_ne_u32_e32 vcc, s15, v4
	s_and_saveexec_b64 s[4:5], vcc
	s_xor_b64 s[4:5], exec, s[4:5]
; %bb.684:                              ;   in Loop: Header=BB401_683 Depth=1
	v_bfe_u32 v4, v6, 16, 1
	v_add3_u32 v27, v6, v4, s21
; %bb.685:                              ;   in Loop: Header=BB401_683 Depth=1
	s_andn2_saveexec_b64 s[4:5], s[4:5]
; %bb.686:                              ;   in Loop: Header=BB401_683 Depth=1
	v_or_b32_e32 v4, 0x10000, v6
	v_cmp_eq_u32_sdwa vcc, v6, v11 src0_sel:WORD_0 src1_sel:DWORD
	v_cndmask_b32_e32 v27, v4, v6, vcc
; %bb.687:                              ;   in Loop: Header=BB401_683 Depth=1
	s_or_b64 exec, exec, s[4:5]
	v_and_b32_e32 v4, 0x7f800000, v7
	v_cmp_ne_u32_e32 vcc, s15, v4
                                        ; implicit-def: $vgpr26
	s_and_saveexec_b64 s[4:5], vcc
	s_xor_b64 s[4:5], exec, s[4:5]
; %bb.688:                              ;   in Loop: Header=BB401_683 Depth=1
	v_bfe_u32 v4, v7, 16, 1
	v_add3_u32 v26, v7, v4, s21
; %bb.689:                              ;   in Loop: Header=BB401_683 Depth=1
	s_andn2_saveexec_b64 s[4:5], s[4:5]
; %bb.690:                              ;   in Loop: Header=BB401_683 Depth=1
	v_or_b32_e32 v4, 0x10000, v7
	v_cmp_eq_u32_sdwa vcc, v7, v11 src0_sel:WORD_0 src1_sel:DWORD
	v_cndmask_b32_e32 v26, v4, v7, vcc
; %bb.691:                              ;   in Loop: Header=BB401_683 Depth=1
	s_or_b64 exec, exec, s[4:5]
	v_and_b32_e32 v4, 0x7f800000, v8
	v_cmp_ne_u32_e32 vcc, s15, v4
                                        ; implicit-def: $vgpr23
	s_and_saveexec_b64 s[4:5], vcc
	s_xor_b64 s[4:5], exec, s[4:5]
; %bb.692:                              ;   in Loop: Header=BB401_683 Depth=1
	v_bfe_u32 v4, v8, 16, 1
	v_add3_u32 v23, v8, v4, s21
; %bb.693:                              ;   in Loop: Header=BB401_683 Depth=1
	s_andn2_saveexec_b64 s[4:5], s[4:5]
; %bb.694:                              ;   in Loop: Header=BB401_683 Depth=1
	v_or_b32_e32 v4, 0x10000, v8
	v_cmp_eq_u32_sdwa vcc, v8, v11 src0_sel:WORD_0 src1_sel:DWORD
	v_cndmask_b32_e32 v23, v4, v8, vcc
; %bb.695:                              ;   in Loop: Header=BB401_683 Depth=1
	s_or_b64 exec, exec, s[4:5]
	v_and_b32_e32 v4, 0x7f800000, v9
	v_cmp_ne_u32_e32 vcc, s15, v4
                                        ; implicit-def: $vgpr22
	s_and_saveexec_b64 s[4:5], vcc
	s_xor_b64 s[4:5], exec, s[4:5]
; %bb.696:                              ;   in Loop: Header=BB401_683 Depth=1
	v_bfe_u32 v4, v9, 16, 1
	v_add3_u32 v22, v9, v4, s21
                                        ; implicit-def: $vgpr6_vgpr7_vgpr8_vgpr9
; %bb.697:                              ;   in Loop: Header=BB401_683 Depth=1
	s_andn2_saveexec_b64 s[4:5], s[4:5]
; %bb.698:                              ;   in Loop: Header=BB401_683 Depth=1
	v_or_b32_e32 v4, 0x10000, v9
	v_cmp_eq_u32_sdwa vcc, v9, v11 src0_sel:WORD_0 src1_sel:DWORD
	v_cndmask_b32_e32 v22, v4, v9, vcc
; %bb.699:                              ;   in Loop: Header=BB401_683 Depth=1
	s_or_b64 exec, exec, s[4:5]
	v_and_b32_e32 v4, 0x7f800000, v0
	v_cmp_ne_u32_e32 vcc, s15, v4
                                        ; implicit-def: $vgpr8
	s_and_saveexec_b64 s[4:5], vcc
	s_xor_b64 s[4:5], exec, s[4:5]
; %bb.700:                              ;   in Loop: Header=BB401_683 Depth=1
	v_bfe_u32 v4, v0, 16, 1
	v_add3_u32 v8, v0, v4, s21
; %bb.701:                              ;   in Loop: Header=BB401_683 Depth=1
	s_andn2_saveexec_b64 s[4:5], s[4:5]
; %bb.702:                              ;   in Loop: Header=BB401_683 Depth=1
	v_or_b32_e32 v4, 0x10000, v0
	v_cmp_eq_u32_sdwa vcc, v0, v11 src0_sel:WORD_0 src1_sel:DWORD
	v_cndmask_b32_e32 v8, v4, v0, vcc
; %bb.703:                              ;   in Loop: Header=BB401_683 Depth=1
	s_or_b64 exec, exec, s[4:5]
	v_and_b32_e32 v0, 0x7f800000, v1
	v_cmp_ne_u32_e32 vcc, s15, v0
                                        ; implicit-def: $vgpr7
	s_and_saveexec_b64 s[4:5], vcc
	s_xor_b64 s[4:5], exec, s[4:5]
; %bb.704:                              ;   in Loop: Header=BB401_683 Depth=1
	v_bfe_u32 v0, v1, 16, 1
	v_add3_u32 v7, v1, v0, s21
; %bb.705:                              ;   in Loop: Header=BB401_683 Depth=1
	s_andn2_saveexec_b64 s[4:5], s[4:5]
; %bb.706:                              ;   in Loop: Header=BB401_683 Depth=1
	v_or_b32_e32 v0, 0x10000, v1
	v_cmp_eq_u32_sdwa vcc, v1, v11 src0_sel:WORD_0 src1_sel:DWORD
	v_cndmask_b32_e32 v7, v0, v1, vcc
; %bb.707:                              ;   in Loop: Header=BB401_683 Depth=1
	s_or_b64 exec, exec, s[4:5]
	v_and_b32_e32 v0, 0x7f800000, v2
	v_cmp_ne_u32_e32 vcc, s15, v0
                                        ; implicit-def: $vgpr5
	s_and_saveexec_b64 s[4:5], vcc
	s_xor_b64 s[4:5], exec, s[4:5]
; %bb.708:                              ;   in Loop: Header=BB401_683 Depth=1
	v_bfe_u32 v0, v2, 16, 1
	v_add3_u32 v5, v2, v0, s21
; %bb.709:                              ;   in Loop: Header=BB401_683 Depth=1
	s_andn2_saveexec_b64 s[4:5], s[4:5]
; %bb.710:                              ;   in Loop: Header=BB401_683 Depth=1
	v_or_b32_e32 v0, 0x10000, v2
	v_cmp_eq_u32_sdwa vcc, v2, v11 src0_sel:WORD_0 src1_sel:DWORD
	v_cndmask_b32_e32 v5, v0, v2, vcc
; %bb.711:                              ;   in Loop: Header=BB401_683 Depth=1
	s_or_b64 exec, exec, s[4:5]
	v_and_b32_e32 v0, 0x7f800000, v3
	v_cmp_ne_u32_e32 vcc, s15, v0
                                        ; implicit-def: $vgpr4
	s_and_saveexec_b64 s[4:5], vcc
	s_xor_b64 s[4:5], exec, s[4:5]
; %bb.712:                              ;   in Loop: Header=BB401_683 Depth=1
	v_bfe_u32 v0, v3, 16, 1
	v_add3_u32 v4, v3, v0, s21
                                        ; implicit-def: $vgpr0_vgpr1_vgpr2_vgpr3
; %bb.713:                              ;   in Loop: Header=BB401_683 Depth=1
	s_andn2_saveexec_b64 s[4:5], s[4:5]
; %bb.714:                              ;   in Loop: Header=BB401_683 Depth=1
	v_or_b32_e32 v0, 0x10000, v3
	v_cmp_eq_u32_sdwa vcc, v3, v11 src0_sel:WORD_0 src1_sel:DWORD
	v_cndmask_b32_e32 v4, v0, v3, vcc
; %bb.715:                              ;   in Loop: Header=BB401_683 Depth=1
	s_or_b64 exec, exec, s[4:5]
	v_accvgpr_read_b32 v2, a10
	v_accvgpr_read_b32 v0, a4
	;; [unrolled: 1-line block ×3, first 2 shown]
	s_waitcnt vmcnt(0)
	v_mad_i64_i32 v[0:1], s[4:5], v10, v0, v[2:3]
	flat_load_dwordx2 v[2:3], v[0:1]
	v_mov_b32_e32 v6, 0
	s_waitcnt vmcnt(0) lgkmcnt(0)
	v_cmp_ne_u16_sdwa s[12:13], v2, v11 src0_sel:BYTE_0 src1_sel:DWORD
	s_and_saveexec_b64 s[4:5], s[12:13]
	s_cbranch_execz .LBB401_721
; %bb.716:                              ;   in Loop: Header=BB401_683 Depth=1
	v_cmp_ne_u16_sdwa s[24:25], v2, s28 src0_sel:BYTE_0 src1_sel:DWORD
	v_bfrev_b32_e32 v6, 1
	s_and_saveexec_b64 s[12:13], s[24:25]
	s_cbranch_execz .LBB401_720
; %bb.717:                              ;   in Loop: Header=BB401_683 Depth=1
	v_and_b32_e32 v9, 0x7f, v2
	v_cmp_ne_u32_e32 vcc, s29, v9
	v_mov_b32_e32 v6, 0x7f800001
	s_and_saveexec_b64 s[24:25], vcc
	s_cbranch_execz .LBB401_719
; %bb.718:                              ;   in Loop: Header=BB401_683 Depth=1
	v_and_b32_e32 v6, 7, v2
	v_ffbh_u32_e32 v6, v6
	v_min_u32_e32 v6, 32, v6
	v_subrev_u32_e32 v28, 28, v6
	v_cmp_gt_u32_e32 vcc, 8, v9
	v_lshrrev_b32_e32 v10, 3, v9
	v_cndmask_b32_e32 v9, 0, v28, vcc
	v_sub_u32_e32 v6, 29, v6
	v_lshlrev_b64 v[28:29], v9, v[2:3]
	v_cndmask_b32_e32 v6, v10, v6, vcc
	v_lshlrev_b32_e32 v9, 20, v28
	v_lshlrev_b32_e32 v10, 24, v2
	v_bfrev_b32_e32 v28, 60
	v_and_b32_e32 v9, 0x700000, v9
	v_and_b32_e32 v10, 0x80000000, v10
	v_lshl_add_u32 v6, v6, 23, v28
	v_or3_b32 v6, v10, v6, v9
.LBB401_719:                            ;   in Loop: Header=BB401_683 Depth=1
	s_or_b64 exec, exec, s[24:25]
.LBB401_720:                            ;   in Loop: Header=BB401_683 Depth=1
	s_or_b64 exec, exec, s[12:13]
.LBB401_721:                            ;   in Loop: Header=BB401_683 Depth=1
	s_or_b64 exec, exec, s[4:5]
	v_mul_f32_e32 v6, v34, v6
	v_and_b32_e32 v9, 0x7f800000, v6
	v_cmp_ne_u32_e32 vcc, s15, v9
                                        ; implicit-def: $vgpr9
	s_and_saveexec_b64 s[4:5], vcc
	s_xor_b64 s[4:5], exec, s[4:5]
; %bb.722:                              ;   in Loop: Header=BB401_683 Depth=1
	v_bfe_u32 v9, v6, 16, 1
	v_add3_u32 v9, v6, v9, s21
                                        ; implicit-def: $vgpr6
; %bb.723:                              ;   in Loop: Header=BB401_683 Depth=1
	s_andn2_saveexec_b64 s[4:5], s[4:5]
; %bb.724:                              ;   in Loop: Header=BB401_683 Depth=1
	v_or_b32_e32 v9, 0x10000, v6
	v_cmp_eq_u32_sdwa vcc, v6, v11 src0_sel:WORD_0 src1_sel:DWORD
	v_cndmask_b32_e32 v9, v9, v6, vcc
; %bb.725:                              ;   in Loop: Header=BB401_683 Depth=1
	s_or_b64 exec, exec, s[4:5]
	v_lshrrev_b16_e32 v6, 8, v2
	v_cmp_ne_u16_e32 vcc, 0, v6
	v_mov_b32_e32 v10, 0
	s_and_saveexec_b64 s[4:5], vcc
	s_cbranch_execz .LBB401_731
; %bb.726:                              ;   in Loop: Header=BB401_683 Depth=1
	v_cmp_ne_u16_e32 vcc, s28, v6
	v_bfrev_b32_e32 v10, 1
	s_and_saveexec_b64 s[12:13], vcc
	s_cbranch_execz .LBB401_730
; %bb.727:                              ;   in Loop: Header=BB401_683 Depth=1
	v_and_b32_e32 v28, 0x7f, v6
	v_cmp_ne_u32_e32 vcc, s29, v28
	v_mov_b32_e32 v10, 0x7f800001
	s_and_saveexec_b64 s[24:25], vcc
	s_cbranch_execz .LBB401_729
; %bb.728:                              ;   in Loop: Header=BB401_683 Depth=1
	v_and_b32_e32 v10, 7, v6
	v_ffbh_u32_e32 v30, v10
	v_min_u32_e32 v33, 32, v30
	v_subrev_u32_e32 v30, 28, v33
	v_lshlrev_b64 v[30:31], v30, v[6:7]
	v_lshrrev_b32_e32 v29, 3, v28
	v_sub_u32_e32 v6, 29, v33
	v_and_b32_e32 v30, 7, v30
	v_cmp_gt_u32_e32 vcc, 8, v28
	v_cndmask_b32_e32 v6, v29, v6, vcc
	v_cndmask_b32_e32 v10, v10, v30, vcc
	v_lshlrev_b32_e32 v28, 16, v2
	v_bfrev_b32_e32 v29, 60
	v_lshlrev_b32_e32 v10, 20, v10
	v_and_b32_e32 v28, 0x80000000, v28
	v_lshl_add_u32 v6, v6, 23, v29
	v_or3_b32 v10, v28, v6, v10
.LBB401_729:                            ;   in Loop: Header=BB401_683 Depth=1
	s_or_b64 exec, exec, s[24:25]
.LBB401_730:                            ;   in Loop: Header=BB401_683 Depth=1
	s_or_b64 exec, exec, s[12:13]
.LBB401_731:                            ;   in Loop: Header=BB401_683 Depth=1
	s_or_b64 exec, exec, s[4:5]
	v_mul_f32_e32 v6, v34, v10
	v_and_b32_e32 v10, 0x7f800000, v6
	v_cmp_ne_u32_e32 vcc, s15, v10
                                        ; implicit-def: $vgpr28
	s_and_saveexec_b64 s[4:5], vcc
	s_xor_b64 s[4:5], exec, s[4:5]
; %bb.732:                              ;   in Loop: Header=BB401_683 Depth=1
	v_bfe_u32 v10, v6, 16, 1
	v_add3_u32 v28, v6, v10, s21
                                        ; implicit-def: $vgpr6
; %bb.733:                              ;   in Loop: Header=BB401_683 Depth=1
	s_andn2_saveexec_b64 s[4:5], s[4:5]
; %bb.734:                              ;   in Loop: Header=BB401_683 Depth=1
	v_or_b32_e32 v10, 0x10000, v6
	v_cmp_eq_u32_sdwa vcc, v6, v11 src0_sel:WORD_0 src1_sel:DWORD
	v_cndmask_b32_e32 v28, v10, v6, vcc
; %bb.735:                              ;   in Loop: Header=BB401_683 Depth=1
	s_or_b64 exec, exec, s[4:5]
	v_lshrrev_b32_e32 v6, 16, v2
	v_cmp_ne_u16_sdwa s[12:13], v6, v11 src0_sel:BYTE_0 src1_sel:DWORD
	v_mov_b32_e32 v10, 0
	s_and_saveexec_b64 s[4:5], s[12:13]
	s_cbranch_execz .LBB401_741
; %bb.736:                              ;   in Loop: Header=BB401_683 Depth=1
	v_cmp_ne_u16_sdwa s[24:25], v6, s28 src0_sel:BYTE_0 src1_sel:DWORD
	v_bfrev_b32_e32 v10, 1
	s_and_saveexec_b64 s[12:13], s[24:25]
	s_cbranch_execz .LBB401_740
; %bb.737:                              ;   in Loop: Header=BB401_683 Depth=1
	v_bfe_u32 v29, v2, 16, 7
	v_cmp_ne_u32_e32 vcc, s29, v29
	v_mov_b32_e32 v10, 0x7f800001
	s_and_saveexec_b64 s[24:25], vcc
	s_cbranch_execz .LBB401_739
; %bb.738:                              ;   in Loop: Header=BB401_683 Depth=1
	v_and_b32_e32 v10, 7, v6
	v_ffbh_u32_e32 v30, v10
	v_min_u32_e32 v35, 32, v30
	v_subrev_u32_e32 v30, 28, v35
	v_lshlrev_b64 v[30:31], v30, v[6:7]
	v_lshrrev_b32_e32 v33, 3, v29
	v_sub_u32_e32 v31, 29, v35
	v_and_b32_e32 v30, 7, v30
	v_cmp_gt_u32_e32 vcc, 8, v29
	v_cndmask_b32_e32 v29, v33, v31, vcc
	v_cndmask_b32_e32 v10, v10, v30, vcc
	v_lshlrev_b32_e32 v6, 24, v6
	v_bfrev_b32_e32 v30, 60
	v_lshlrev_b32_e32 v10, 20, v10
	v_and_b32_e32 v6, 0x80000000, v6
	v_lshl_add_u32 v29, v29, 23, v30
	v_or3_b32 v10, v6, v29, v10
.LBB401_739:                            ;   in Loop: Header=BB401_683 Depth=1
	s_or_b64 exec, exec, s[24:25]
.LBB401_740:                            ;   in Loop: Header=BB401_683 Depth=1
	s_or_b64 exec, exec, s[12:13]
.LBB401_741:                            ;   in Loop: Header=BB401_683 Depth=1
	s_or_b64 exec, exec, s[4:5]
	v_mul_f32_e32 v6, v34, v10
	v_and_b32_e32 v10, 0x7f800000, v6
	v_cmp_ne_u32_e32 vcc, s15, v10
                                        ; implicit-def: $vgpr29
	s_and_saveexec_b64 s[4:5], vcc
	s_xor_b64 s[4:5], exec, s[4:5]
; %bb.742:                              ;   in Loop: Header=BB401_683 Depth=1
	v_bfe_u32 v10, v6, 16, 1
	v_add3_u32 v29, v6, v10, s21
                                        ; implicit-def: $vgpr6
; %bb.743:                              ;   in Loop: Header=BB401_683 Depth=1
	s_andn2_saveexec_b64 s[4:5], s[4:5]
; %bb.744:                              ;   in Loop: Header=BB401_683 Depth=1
	v_or_b32_e32 v10, 0x10000, v6
	v_cmp_eq_u32_sdwa vcc, v6, v11 src0_sel:WORD_0 src1_sel:DWORD
	v_cndmask_b32_e32 v29, v10, v6, vcc
; %bb.745:                              ;   in Loop: Header=BB401_683 Depth=1
	s_or_b64 exec, exec, s[4:5]
	v_cmp_lt_u32_e32 vcc, s9, v2
	v_mov_b32_e32 v10, 0
	s_and_saveexec_b64 s[4:5], vcc
	s_cbranch_execz .LBB401_751
; %bb.746:                              ;   in Loop: Header=BB401_683 Depth=1
	v_lshrrev_b32_e32 v6, 24, v2
	v_cmp_ne_u32_e32 vcc, s28, v6
	v_bfrev_b32_e32 v10, 1
	s_and_saveexec_b64 s[12:13], vcc
	s_cbranch_execz .LBB401_750
; %bb.747:                              ;   in Loop: Header=BB401_683 Depth=1
	v_bfe_u32 v30, v2, 24, 7
	v_cmp_ne_u32_e32 vcc, s29, v30
	v_mov_b32_e32 v10, 0x7f800001
	s_and_saveexec_b64 s[24:25], vcc
	s_cbranch_execz .LBB401_749
; %bb.748:                              ;   in Loop: Header=BB401_683 Depth=1
	v_and_b32_e32 v10, 7, v6
	v_ffbh_u32_e32 v33, v10
	v_min_u32_e32 v33, 32, v33
	v_subrev_u32_e32 v35, 28, v33
	v_lshlrev_b64 v[38:39], v35, v[6:7]
	v_lshrrev_b32_e32 v31, 3, v30
	v_sub_u32_e32 v33, 29, v33
	v_and_b32_e32 v35, 7, v38
	v_cmp_gt_u32_e32 vcc, 8, v30
	v_cndmask_b32_e32 v30, v31, v33, vcc
	v_cndmask_b32_e32 v10, v10, v35, vcc
	v_lshlrev_b32_e32 v6, 24, v6
	v_bfrev_b32_e32 v31, 60
	v_lshlrev_b32_e32 v10, 20, v10
	v_and_b32_e32 v6, 0x80000000, v6
	v_lshl_add_u32 v30, v30, 23, v31
	v_or3_b32 v10, v6, v30, v10
.LBB401_749:                            ;   in Loop: Header=BB401_683 Depth=1
	s_or_b64 exec, exec, s[24:25]
.LBB401_750:                            ;   in Loop: Header=BB401_683 Depth=1
	s_or_b64 exec, exec, s[12:13]
.LBB401_751:                            ;   in Loop: Header=BB401_683 Depth=1
	s_or_b64 exec, exec, s[4:5]
	v_mul_f32_e32 v6, v34, v10
	v_and_b32_e32 v10, 0x7f800000, v6
	v_cmp_ne_u32_e32 vcc, s15, v10
                                        ; implicit-def: $vgpr30
	s_and_saveexec_b64 s[4:5], vcc
	s_xor_b64 s[4:5], exec, s[4:5]
; %bb.752:                              ;   in Loop: Header=BB401_683 Depth=1
	v_bfe_u32 v10, v6, 16, 1
	v_add3_u32 v30, v6, v10, s21
                                        ; implicit-def: $vgpr6
; %bb.753:                              ;   in Loop: Header=BB401_683 Depth=1
	s_andn2_saveexec_b64 s[4:5], s[4:5]
; %bb.754:                              ;   in Loop: Header=BB401_683 Depth=1
	v_or_b32_e32 v10, 0x10000, v6
	v_cmp_eq_u32_sdwa vcc, v6, v11 src0_sel:WORD_0 src1_sel:DWORD
	v_cndmask_b32_e32 v30, v10, v6, vcc
; %bb.755:                              ;   in Loop: Header=BB401_683 Depth=1
	s_or_b64 exec, exec, s[4:5]
	v_mov_b32_e32 v10, v3
	v_cmp_ne_u16_sdwa s[12:13], v3, v11 src0_sel:BYTE_0 src1_sel:DWORD
	v_mov_b32_e32 v6, 0
	s_and_saveexec_b64 s[4:5], s[12:13]
	s_cbranch_execz .LBB401_761
; %bb.756:                              ;   in Loop: Header=BB401_683 Depth=1
	v_cmp_ne_u16_sdwa s[24:25], v3, s28 src0_sel:BYTE_0 src1_sel:DWORD
	v_bfrev_b32_e32 v6, 1
	s_and_saveexec_b64 s[12:13], s[24:25]
	s_cbranch_execz .LBB401_760
; %bb.757:                              ;   in Loop: Header=BB401_683 Depth=1
	v_and_b32_e32 v31, 0x7f, v3
	v_cmp_ne_u32_e32 vcc, s29, v31
	v_mov_b32_e32 v6, 0x7f800001
	s_and_saveexec_b64 s[24:25], vcc
	s_cbranch_execz .LBB401_759
; %bb.758:                              ;   in Loop: Header=BB401_683 Depth=1
	v_and_b32_e32 v6, 7, v3
	v_ffbh_u32_e32 v6, v6
	v_min_u32_e32 v6, 32, v6
	v_subrev_u32_e32 v35, 28, v6
	v_cmp_gt_u32_e32 vcc, 8, v31
	v_lshrrev_b32_e32 v33, 3, v31
	v_cndmask_b32_e32 v31, 0, v35, vcc
	v_sub_u32_e32 v6, 29, v6
	v_lshlrev_b64 v[38:39], v31, v[10:11]
	v_cndmask_b32_e32 v6, v33, v6, vcc
	v_lshlrev_b32_e32 v31, 20, v38
	v_lshlrev_b32_e32 v33, 24, v10
	v_bfrev_b32_e32 v35, 60
	v_and_b32_e32 v31, 0x700000, v31
	v_and_b32_e32 v33, 0x80000000, v33
	v_lshl_add_u32 v6, v6, 23, v35
	v_or3_b32 v6, v33, v6, v31
.LBB401_759:                            ;   in Loop: Header=BB401_683 Depth=1
	s_or_b64 exec, exec, s[24:25]
.LBB401_760:                            ;   in Loop: Header=BB401_683 Depth=1
	s_or_b64 exec, exec, s[12:13]
.LBB401_761:                            ;   in Loop: Header=BB401_683 Depth=1
	s_or_b64 exec, exec, s[4:5]
	v_mul_f32_e32 v6, v34, v6
	v_and_b32_e32 v31, 0x7f800000, v6
	v_cmp_ne_u32_e32 vcc, s15, v31
                                        ; implicit-def: $vgpr31
	s_and_saveexec_b64 s[4:5], vcc
	s_xor_b64 s[4:5], exec, s[4:5]
; %bb.762:                              ;   in Loop: Header=BB401_683 Depth=1
	v_bfe_u32 v31, v6, 16, 1
	v_add3_u32 v31, v6, v31, s21
                                        ; implicit-def: $vgpr6
; %bb.763:                              ;   in Loop: Header=BB401_683 Depth=1
	s_andn2_saveexec_b64 s[4:5], s[4:5]
; %bb.764:                              ;   in Loop: Header=BB401_683 Depth=1
	v_or_b32_e32 v31, 0x10000, v6
	v_cmp_eq_u32_sdwa vcc, v6, v11 src0_sel:WORD_0 src1_sel:DWORD
	v_cndmask_b32_e32 v31, v31, v6, vcc
; %bb.765:                              ;   in Loop: Header=BB401_683 Depth=1
	s_or_b64 exec, exec, s[4:5]
	v_lshrrev_b16_e32 v6, 8, v10
	v_cmp_ne_u16_e32 vcc, 0, v6
	v_mov_b32_e32 v33, 0
	s_and_saveexec_b64 s[4:5], vcc
	s_cbranch_execz .LBB401_771
; %bb.766:                              ;   in Loop: Header=BB401_683 Depth=1
	v_cmp_ne_u16_e32 vcc, s28, v6
	v_bfrev_b32_e32 v33, 1
	s_and_saveexec_b64 s[12:13], vcc
	s_cbranch_execz .LBB401_770
; %bb.767:                              ;   in Loop: Header=BB401_683 Depth=1
	v_and_b32_e32 v35, 0x7f, v6
	v_cmp_ne_u32_e32 vcc, s29, v35
	v_mov_b32_e32 v33, 0x7f800001
	s_and_saveexec_b64 s[24:25], vcc
	s_cbranch_execz .LBB401_769
; %bb.768:                              ;   in Loop: Header=BB401_683 Depth=1
	v_and_b32_e32 v33, 7, v6
	v_ffbh_u32_e32 v38, v33
	v_min_u32_e32 v48, 32, v38
	v_subrev_u32_e32 v38, 28, v48
	v_lshlrev_b64 v[38:39], v38, v[6:7]
	v_lshrrev_b32_e32 v37, 3, v35
	v_sub_u32_e32 v6, 29, v48
	v_and_b32_e32 v38, 7, v38
	v_cmp_gt_u32_e32 vcc, 8, v35
	v_cndmask_b32_e32 v6, v37, v6, vcc
	v_cndmask_b32_e32 v33, v33, v38, vcc
	v_lshlrev_b32_e32 v10, 16, v10
	v_bfrev_b32_e32 v35, 60
	v_lshlrev_b32_e32 v33, 20, v33
	v_and_b32_e32 v10, 0x80000000, v10
	v_lshl_add_u32 v6, v6, 23, v35
	v_or3_b32 v33, v10, v6, v33
.LBB401_769:                            ;   in Loop: Header=BB401_683 Depth=1
	s_or_b64 exec, exec, s[24:25]
.LBB401_770:                            ;   in Loop: Header=BB401_683 Depth=1
	s_or_b64 exec, exec, s[12:13]
.LBB401_771:                            ;   in Loop: Header=BB401_683 Depth=1
	s_or_b64 exec, exec, s[4:5]
	v_mul_f32_e32 v6, v34, v33
	v_and_b32_e32 v10, 0x7f800000, v6
	v_cmp_ne_u32_e32 vcc, s15, v10
                                        ; implicit-def: $vgpr10
	s_and_saveexec_b64 s[4:5], vcc
	s_xor_b64 s[4:5], exec, s[4:5]
; %bb.772:                              ;   in Loop: Header=BB401_683 Depth=1
	v_bfe_u32 v10, v6, 16, 1
	v_add3_u32 v10, v6, v10, s21
                                        ; implicit-def: $vgpr6
; %bb.773:                              ;   in Loop: Header=BB401_683 Depth=1
	s_andn2_saveexec_b64 s[4:5], s[4:5]
; %bb.774:                              ;   in Loop: Header=BB401_683 Depth=1
	v_or_b32_e32 v10, 0x10000, v6
	v_cmp_eq_u32_sdwa vcc, v6, v11 src0_sel:WORD_0 src1_sel:DWORD
	v_cndmask_b32_e32 v10, v10, v6, vcc
; %bb.775:                              ;   in Loop: Header=BB401_683 Depth=1
	s_or_b64 exec, exec, s[4:5]
	v_lshrrev_b32_e32 v6, 16, v3
	v_cmp_ne_u16_sdwa s[12:13], v6, v11 src0_sel:BYTE_0 src1_sel:DWORD
	v_mov_b32_e32 v33, 0
	s_and_saveexec_b64 s[4:5], s[12:13]
	s_cbranch_execz .LBB401_781
; %bb.776:                              ;   in Loop: Header=BB401_683 Depth=1
	v_cmp_ne_u16_sdwa s[24:25], v6, s28 src0_sel:BYTE_0 src1_sel:DWORD
	v_bfrev_b32_e32 v33, 1
	s_and_saveexec_b64 s[12:13], s[24:25]
	s_cbranch_execz .LBB401_780
; %bb.777:                              ;   in Loop: Header=BB401_683 Depth=1
	v_bfe_u32 v35, v3, 16, 7
	v_cmp_ne_u32_e32 vcc, s29, v35
	v_mov_b32_e32 v33, 0x7f800001
	s_and_saveexec_b64 s[24:25], vcc
	s_cbranch_execz .LBB401_779
; %bb.778:                              ;   in Loop: Header=BB401_683 Depth=1
	v_and_b32_e32 v33, 7, v6
	v_ffbh_u32_e32 v38, v33
	v_min_u32_e32 v48, 32, v38
	v_subrev_u32_e32 v38, 28, v48
	v_lshlrev_b64 v[38:39], v38, v[6:7]
	v_lshrrev_b32_e32 v37, 3, v35
	v_sub_u32_e32 v39, 29, v48
	v_and_b32_e32 v38, 7, v38
	v_cmp_gt_u32_e32 vcc, 8, v35
	v_cndmask_b32_e32 v35, v37, v39, vcc
	v_cndmask_b32_e32 v33, v33, v38, vcc
	v_lshlrev_b32_e32 v6, 24, v6
	v_bfrev_b32_e32 v37, 60
	v_lshlrev_b32_e32 v33, 20, v33
	v_and_b32_e32 v6, 0x80000000, v6
	v_lshl_add_u32 v35, v35, 23, v37
	v_or3_b32 v33, v6, v35, v33
.LBB401_779:                            ;   in Loop: Header=BB401_683 Depth=1
	s_or_b64 exec, exec, s[24:25]
.LBB401_780:                            ;   in Loop: Header=BB401_683 Depth=1
	s_or_b64 exec, exec, s[12:13]
.LBB401_781:                            ;   in Loop: Header=BB401_683 Depth=1
	s_or_b64 exec, exec, s[4:5]
	v_mul_f32_e32 v6, v34, v33
	v_and_b32_e32 v33, 0x7f800000, v6
	v_cmp_ne_u32_e32 vcc, s15, v33
                                        ; implicit-def: $vgpr33
	s_and_saveexec_b64 s[4:5], vcc
	s_xor_b64 s[4:5], exec, s[4:5]
; %bb.782:                              ;   in Loop: Header=BB401_683 Depth=1
	v_bfe_u32 v33, v6, 16, 1
	v_add3_u32 v33, v6, v33, s21
                                        ; implicit-def: $vgpr6
; %bb.783:                              ;   in Loop: Header=BB401_683 Depth=1
	s_andn2_saveexec_b64 s[4:5], s[4:5]
; %bb.784:                              ;   in Loop: Header=BB401_683 Depth=1
	v_or_b32_e32 v33, 0x10000, v6
	v_cmp_eq_u32_sdwa vcc, v6, v11 src0_sel:WORD_0 src1_sel:DWORD
	v_cndmask_b32_e32 v33, v33, v6, vcc
; %bb.785:                              ;   in Loop: Header=BB401_683 Depth=1
	s_or_b64 exec, exec, s[4:5]
	v_cmp_lt_u64_e32 vcc, s[8:9], v[2:3]
	v_mov_b32_e32 v6, 0
	s_and_saveexec_b64 s[4:5], vcc
	s_cbranch_execz .LBB401_791
; %bb.786:                              ;   in Loop: Header=BB401_683 Depth=1
	v_lshrrev_b32_e32 v2, 24, v3
	v_cmp_ne_u32_e32 vcc, s28, v2
	v_bfrev_b32_e32 v6, 1
	s_and_saveexec_b64 s[12:13], vcc
	s_cbranch_execz .LBB401_790
; %bb.787:                              ;   in Loop: Header=BB401_683 Depth=1
	v_bfe_u32 v3, v3, 24, 7
	v_cmp_ne_u32_e32 vcc, s29, v3
	v_mov_b32_e32 v6, 0x7f800001
	s_and_saveexec_b64 s[24:25], vcc
	s_cbranch_execz .LBB401_789
; %bb.788:                              ;   in Loop: Header=BB401_683 Depth=1
	v_and_b32_e32 v6, 7, v2
	v_ffbh_u32_e32 v37, v6
	v_min_u32_e32 v37, 32, v37
	v_subrev_u32_e32 v38, 28, v37
	v_lshlrev_b64 v[38:39], v38, v[2:3]
	v_lshrrev_b32_e32 v35, 3, v3
	v_sub_u32_e32 v37, 29, v37
	v_and_b32_e32 v38, 7, v38
	v_cmp_gt_u32_e32 vcc, 8, v3
	v_cndmask_b32_e32 v3, v35, v37, vcc
	v_cndmask_b32_e32 v6, v6, v38, vcc
	v_lshlrev_b32_e32 v2, 24, v2
	v_bfrev_b32_e32 v35, 60
	v_lshlrev_b32_e32 v6, 20, v6
	v_and_b32_e32 v2, 0x80000000, v2
	v_lshl_add_u32 v3, v3, 23, v35
	v_or3_b32 v6, v2, v3, v6
.LBB401_789:                            ;   in Loop: Header=BB401_683 Depth=1
	s_or_b64 exec, exec, s[24:25]
.LBB401_790:                            ;   in Loop: Header=BB401_683 Depth=1
	s_or_b64 exec, exec, s[12:13]
.LBB401_791:                            ;   in Loop: Header=BB401_683 Depth=1
	s_or_b64 exec, exec, s[4:5]
	v_mul_f32_e32 v3, v34, v6
	v_and_b32_e32 v2, 0x7f800000, v3
	v_cmp_ne_u32_e32 vcc, s15, v2
                                        ; implicit-def: $vgpr2
	s_and_saveexec_b64 s[4:5], vcc
	s_xor_b64 s[4:5], exec, s[4:5]
; %bb.792:                              ;   in Loop: Header=BB401_683 Depth=1
	v_bfe_u32 v2, v3, 16, 1
	v_add3_u32 v2, v3, v2, s21
                                        ; implicit-def: $vgpr3
; %bb.793:                              ;   in Loop: Header=BB401_683 Depth=1
	s_andn2_saveexec_b64 s[4:5], s[4:5]
; %bb.794:                              ;   in Loop: Header=BB401_683 Depth=1
	v_or_b32_e32 v2, 0x10000, v3
	v_cmp_eq_u32_sdwa vcc, v3, v11 src0_sel:WORD_0 src1_sel:DWORD
	v_cndmask_b32_e32 v2, v2, v3, vcc
; %bb.795:                              ;   in Loop: Header=BB401_683 Depth=1
	s_or_b64 exec, exec, s[4:5]
	v_accvgpr_read_b32 v3, a9
	v_accvgpr_read_b32 v6, a40
	v_cmp_eq_u32_e32 vcc, v3, v6
	v_lshrrev_b32_e32 v6, 16, v10
	v_lshrrev_b32_e32 v10, 16, v31
	v_add_u32_e32 v31, -6, v17
	v_accvgpr_write_b32 a26, v31
	v_add_u32_e32 v31, -5, v17
	v_accvgpr_write_b32 a25, v31
	;; [unrolled: 2-line block ×5, first 2 shown]
	v_add_u32_e32 v31, -1, v17
	v_add_u32_e32 v37, -7, v17
	v_lshrrev_b32_e32 v30, 16, v30
	v_lshrrev_b32_e32 v29, 16, v29
	v_lshrrev_b32_e32 v28, 16, v28
	v_lshrrev_b32_e32 v9, 16, v9
	v_lshrrev_b32_e32 v3, 16, v33
	v_lshrrev_b32_e32 v2, 16, v2
	v_accvgpr_write_b32 a21, v31
	s_and_saveexec_b64 s[12:13], vcc
	s_cbranch_execz .LBB401_797
; %bb.796:                              ;   in Loop: Header=BB401_683 Depth=1
	v_cmp_lt_i32_e64 s[4:5], v37, v32
	v_accvgpr_read_b32 v31, a26
	v_cndmask_b32_e64 v9, 0, v9, s[4:5]
	v_cmp_lt_i32_e64 s[4:5], v31, v32
	v_accvgpr_read_b32 v31, a25
	v_cndmask_b32_e64 v28, 0, v28, s[4:5]
	;; [unrolled: 3-line block ×6, first 2 shown]
	v_cmp_lt_i32_e64 s[4:5], v31, v32
	v_cndmask_b32_e64 v3, 0, v3, s[4:5]
	v_cmp_lt_i32_e64 s[4:5], v17, v32
	v_cndmask_b32_e64 v2, 0, v2, s[4:5]
.LBB401_797:                            ;   in Loop: Header=BB401_683 Depth=1
	s_or_b64 exec, exec, s[12:13]
	v_and_b32_e32 v42, 0xffff0000, v27
	v_lshlrev_b32_e32 v9, 16, v9
	v_mul_f32_e32 v9, v42, v9
	v_and_b32_e32 v27, 0x7f800000, v9
	v_cmp_ne_u32_e64 s[4:5], s15, v27
                                        ; implicit-def: $vgpr49
	s_and_saveexec_b64 s[12:13], s[4:5]
	s_xor_b64 s[4:5], exec, s[12:13]
; %bb.798:                              ;   in Loop: Header=BB401_683 Depth=1
	v_bfe_u32 v27, v9, 16, 1
	v_add3_u32 v49, v9, v27, s21
                                        ; implicit-def: $vgpr9
; %bb.799:                              ;   in Loop: Header=BB401_683 Depth=1
	s_andn2_saveexec_b64 s[12:13], s[4:5]
; %bb.800:                              ;   in Loop: Header=BB401_683 Depth=1
	v_or_b32_e32 v27, 0x10000, v9
	v_cmp_eq_u32_sdwa s[4:5], v9, v11 src0_sel:WORD_0 src1_sel:DWORD
	v_cndmask_b32_e64 v49, v27, v9, s[4:5]
; %bb.801:                              ;   in Loop: Header=BB401_683 Depth=1
	s_or_b64 exec, exec, s[12:13]
	v_and_b32_e32 v43, 0xffff0000, v26
	v_lshlrev_b32_e32 v9, 16, v28
	v_mul_f32_e32 v9, v43, v9
	v_and_b32_e32 v26, 0x7f800000, v9
	v_cmp_ne_u32_e64 s[4:5], s15, v26
                                        ; implicit-def: $vgpr48
	s_and_saveexec_b64 s[12:13], s[4:5]
	s_xor_b64 s[4:5], exec, s[12:13]
; %bb.802:                              ;   in Loop: Header=BB401_683 Depth=1
	v_bfe_u32 v26, v9, 16, 1
	v_add3_u32 v48, v9, v26, s21
                                        ; implicit-def: $vgpr9
; %bb.803:                              ;   in Loop: Header=BB401_683 Depth=1
	s_andn2_saveexec_b64 s[12:13], s[4:5]
; %bb.804:                              ;   in Loop: Header=BB401_683 Depth=1
	v_or_b32_e32 v26, 0x10000, v9
	v_cmp_eq_u32_sdwa s[4:5], v9, v11 src0_sel:WORD_0 src1_sel:DWORD
	v_cndmask_b32_e64 v48, v26, v9, s[4:5]
; %bb.805:                              ;   in Loop: Header=BB401_683 Depth=1
	s_or_b64 exec, exec, s[12:13]
	v_and_b32_e32 v44, 0xffff0000, v23
	v_lshlrev_b32_e32 v9, 16, v29
	v_mul_f32_e32 v9, v44, v9
	v_and_b32_e32 v23, 0x7f800000, v9
	v_cmp_ne_u32_e64 s[4:5], s15, v23
                                        ; implicit-def: $vgpr38
	s_and_saveexec_b64 s[12:13], s[4:5]
	s_xor_b64 s[4:5], exec, s[12:13]
; %bb.806:                              ;   in Loop: Header=BB401_683 Depth=1
	v_bfe_u32 v23, v9, 16, 1
	v_add3_u32 v38, v9, v23, s21
                                        ; implicit-def: $vgpr9
; %bb.807:                              ;   in Loop: Header=BB401_683 Depth=1
	s_andn2_saveexec_b64 s[12:13], s[4:5]
; %bb.808:                              ;   in Loop: Header=BB401_683 Depth=1
	v_or_b32_e32 v23, 0x10000, v9
	v_cmp_eq_u32_sdwa s[4:5], v9, v11 src0_sel:WORD_0 src1_sel:DWORD
	v_cndmask_b32_e64 v38, v23, v9, s[4:5]
; %bb.809:                              ;   in Loop: Header=BB401_683 Depth=1
	s_or_b64 exec, exec, s[12:13]
	v_and_b32_e32 v45, 0xffff0000, v22
	v_lshlrev_b32_e32 v9, 16, v30
	v_mul_f32_e32 v9, v45, v9
	v_and_b32_e32 v22, 0x7f800000, v9
	v_cmp_ne_u32_e64 s[4:5], s15, v22
                                        ; implicit-def: $vgpr39
	s_and_saveexec_b64 s[12:13], s[4:5]
	s_xor_b64 s[4:5], exec, s[12:13]
; %bb.810:                              ;   in Loop: Header=BB401_683 Depth=1
	v_bfe_u32 v22, v9, 16, 1
	v_add3_u32 v39, v9, v22, s21
                                        ; implicit-def: $vgpr9
; %bb.811:                              ;   in Loop: Header=BB401_683 Depth=1
	s_andn2_saveexec_b64 s[12:13], s[4:5]
; %bb.812:                              ;   in Loop: Header=BB401_683 Depth=1
	v_or_b32_e32 v22, 0x10000, v9
	v_cmp_eq_u32_sdwa s[4:5], v9, v11 src0_sel:WORD_0 src1_sel:DWORD
	v_cndmask_b32_e64 v39, v22, v9, s[4:5]
; %bb.813:                              ;   in Loop: Header=BB401_683 Depth=1
	s_or_b64 exec, exec, s[12:13]
	v_and_b32_e32 v46, 0xffff0000, v8
	v_lshlrev_b32_e32 v8, 16, v10
	v_mul_f32_e32 v8, v46, v8
	v_and_b32_e32 v9, 0x7f800000, v8
	v_cmp_ne_u32_e64 s[4:5], s15, v9
                                        ; implicit-def: $agpr16
	s_and_saveexec_b64 s[12:13], s[4:5]
	s_xor_b64 s[4:5], exec, s[12:13]
; %bb.814:                              ;   in Loop: Header=BB401_683 Depth=1
	v_bfe_u32 v9, v8, 16, 1
	v_add3_u32 v8, v8, v9, s21
	v_accvgpr_write_b32 a16, v8
                                        ; implicit-def: $vgpr8
; %bb.815:                              ;   in Loop: Header=BB401_683 Depth=1
	s_andn2_saveexec_b64 s[12:13], s[4:5]
; %bb.816:                              ;   in Loop: Header=BB401_683 Depth=1
	v_or_b32_e32 v9, 0x10000, v8
	v_cmp_eq_u32_sdwa s[4:5], v8, v11 src0_sel:WORD_0 src1_sel:DWORD
	v_cndmask_b32_e64 v8, v9, v8, s[4:5]
	v_accvgpr_write_b32 a16, v8
; %bb.817:                              ;   in Loop: Header=BB401_683 Depth=1
	s_or_b64 exec, exec, s[12:13]
	v_and_b32_e32 v47, 0xffff0000, v7
	v_lshlrev_b32_e32 v6, 16, v6
	v_mul_f32_e32 v6, v47, v6
	v_and_b32_e32 v7, 0x7f800000, v6
	v_cmp_ne_u32_e64 s[4:5], s15, v7
                                        ; implicit-def: $agpr17
	s_and_saveexec_b64 s[12:13], s[4:5]
	s_xor_b64 s[4:5], exec, s[12:13]
; %bb.818:                              ;   in Loop: Header=BB401_683 Depth=1
	v_bfe_u32 v7, v6, 16, 1
	v_add3_u32 v6, v6, v7, s21
	v_accvgpr_write_b32 a17, v6
                                        ; implicit-def: $vgpr6
; %bb.819:                              ;   in Loop: Header=BB401_683 Depth=1
	s_andn2_saveexec_b64 s[12:13], s[4:5]
; %bb.820:                              ;   in Loop: Header=BB401_683 Depth=1
	v_or_b32_e32 v7, 0x10000, v6
	v_cmp_eq_u32_sdwa s[4:5], v6, v11 src0_sel:WORD_0 src1_sel:DWORD
	v_cndmask_b32_e64 v6, v7, v6, s[4:5]
	v_accvgpr_write_b32 a17, v6
; %bb.821:                              ;   in Loop: Header=BB401_683 Depth=1
	s_or_b64 exec, exec, s[12:13]
	v_and_b32_e32 v56, 0xffff0000, v5
	v_lshlrev_b32_e32 v3, 16, v3
	v_mul_f32_e32 v3, v56, v3
	v_and_b32_e32 v5, 0x7f800000, v3
	v_cmp_ne_u32_e64 s[4:5], s15, v5
                                        ; implicit-def: $agpr18
	s_and_saveexec_b64 s[12:13], s[4:5]
	s_xor_b64 s[4:5], exec, s[12:13]
; %bb.822:                              ;   in Loop: Header=BB401_683 Depth=1
	v_bfe_u32 v5, v3, 16, 1
	v_add3_u32 v3, v3, v5, s21
	v_accvgpr_write_b32 a18, v3
                                        ; implicit-def: $vgpr3
; %bb.823:                              ;   in Loop: Header=BB401_683 Depth=1
	s_andn2_saveexec_b64 s[12:13], s[4:5]
; %bb.824:                              ;   in Loop: Header=BB401_683 Depth=1
	v_or_b32_e32 v5, 0x10000, v3
	v_cmp_eq_u32_sdwa s[4:5], v3, v11 src0_sel:WORD_0 src1_sel:DWORD
	v_cndmask_b32_e64 v3, v5, v3, s[4:5]
	v_accvgpr_write_b32 a18, v3
; %bb.825:                              ;   in Loop: Header=BB401_683 Depth=1
	s_or_b64 exec, exec, s[12:13]
	v_and_b32_e32 v57, 0xffff0000, v4
	v_lshlrev_b32_e32 v2, 16, v2
	v_mul_f32_e32 v2, v57, v2
	v_and_b32_e32 v3, 0x7f800000, v2
	v_cmp_ne_u32_e64 s[4:5], s15, v3
                                        ; implicit-def: $agpr19
	s_and_saveexec_b64 s[12:13], s[4:5]
	s_xor_b64 s[4:5], exec, s[12:13]
; %bb.826:                              ;   in Loop: Header=BB401_683 Depth=1
	v_bfe_u32 v3, v2, 16, 1
	v_add3_u32 v2, v2, v3, s21
	v_accvgpr_write_b32 a19, v2
                                        ; implicit-def: $vgpr2
; %bb.827:                              ;   in Loop: Header=BB401_683 Depth=1
	s_andn2_saveexec_b64 s[12:13], s[4:5]
; %bb.828:                              ;   in Loop: Header=BB401_683 Depth=1
	v_or_b32_e32 v3, 0x10000, v2
	v_cmp_eq_u32_sdwa s[4:5], v2, v11 src0_sel:WORD_0 src1_sel:DWORD
	v_cndmask_b32_e64 v2, v3, v2, s[4:5]
	v_accvgpr_write_b32 a19, v2
; %bb.829:                              ;   in Loop: Header=BB401_683 Depth=1
	s_or_b64 exec, exec, s[12:13]
	flat_load_dwordx2 v[2:3], v[0:1] offset:512
	v_mov_b32_e32 v4, 0
	s_waitcnt vmcnt(0) lgkmcnt(0)
	v_cmp_ne_u16_sdwa s[4:5], v2, v11 src0_sel:BYTE_0 src1_sel:DWORD
	s_and_saveexec_b64 s[12:13], s[4:5]
	s_cbranch_execz .LBB401_835
; %bb.830:                              ;   in Loop: Header=BB401_683 Depth=1
	v_cmp_ne_u16_sdwa s[4:5], v2, s28 src0_sel:BYTE_0 src1_sel:DWORD
	v_bfrev_b32_e32 v4, 1
	s_and_saveexec_b64 s[24:25], s[4:5]
	s_cbranch_execz .LBB401_834
; %bb.831:                              ;   in Loop: Header=BB401_683 Depth=1
	v_and_b32_e32 v5, 0x7f, v2
	v_cmp_ne_u32_e64 s[4:5], s29, v5
	v_mov_b32_e32 v4, 0x7f800001
	s_and_saveexec_b64 s[26:27], s[4:5]
	s_cbranch_execz .LBB401_833
; %bb.832:                              ;   in Loop: Header=BB401_683 Depth=1
	v_and_b32_e32 v4, 7, v2
	v_ffbh_u32_e32 v4, v4
	v_min_u32_e32 v4, 32, v4
	v_lshrrev_b32_e32 v6, 3, v5
	v_subrev_u32_e32 v7, 28, v4
	v_sub_u32_e32 v4, 29, v4
	v_cmp_gt_u32_e64 s[4:5], 8, v5
	v_cndmask_b32_e64 v6, v6, v4, s[4:5]
	v_cndmask_b32_e64 v4, 0, v7, s[4:5]
	v_lshlrev_b64 v[4:5], v4, v[2:3]
	v_lshlrev_b32_e32 v4, 20, v4
	v_lshlrev_b32_e32 v5, 24, v2
	v_bfrev_b32_e32 v7, 60
	v_and_b32_e32 v4, 0x700000, v4
	v_and_b32_e32 v5, 0x80000000, v5
	v_lshl_add_u32 v6, v6, 23, v7
	v_or3_b32 v4, v5, v6, v4
.LBB401_833:                            ;   in Loop: Header=BB401_683 Depth=1
	s_or_b64 exec, exec, s[26:27]
.LBB401_834:                            ;   in Loop: Header=BB401_683 Depth=1
	s_or_b64 exec, exec, s[24:25]
.LBB401_835:                            ;   in Loop: Header=BB401_683 Depth=1
	s_or_b64 exec, exec, s[12:13]
	v_mul_f32_e32 v5, v34, v4
	v_and_b32_e32 v4, 0x7f800000, v5
	v_cmp_ne_u32_e64 s[4:5], s15, v4
                                        ; implicit-def: $vgpr4
	s_and_saveexec_b64 s[12:13], s[4:5]
	s_xor_b64 s[4:5], exec, s[12:13]
; %bb.836:                              ;   in Loop: Header=BB401_683 Depth=1
	v_bfe_u32 v4, v5, 16, 1
	v_add3_u32 v4, v5, v4, s21
                                        ; implicit-def: $vgpr5
; %bb.837:                              ;   in Loop: Header=BB401_683 Depth=1
	s_andn2_saveexec_b64 s[12:13], s[4:5]
; %bb.838:                              ;   in Loop: Header=BB401_683 Depth=1
	v_or_b32_e32 v4, 0x10000, v5
	v_cmp_eq_u32_sdwa s[4:5], v5, v11 src0_sel:WORD_0 src1_sel:DWORD
	v_cndmask_b32_e64 v4, v4, v5, s[4:5]
; %bb.839:                              ;   in Loop: Header=BB401_683 Depth=1
	s_or_b64 exec, exec, s[12:13]
	v_lshrrev_b16_e32 v6, 8, v2
	v_cmp_ne_u16_e64 s[4:5], 0, v6
	v_mov_b32_e32 v5, 0
	s_and_saveexec_b64 s[12:13], s[4:5]
	s_cbranch_execz .LBB401_845
; %bb.840:                              ;   in Loop: Header=BB401_683 Depth=1
	v_cmp_ne_u16_e64 s[4:5], s28, v6
	v_bfrev_b32_e32 v5, 1
	s_and_saveexec_b64 s[24:25], s[4:5]
	s_cbranch_execz .LBB401_844
; %bb.841:                              ;   in Loop: Header=BB401_683 Depth=1
	v_and_b32_e32 v7, 0x7f, v6
	v_cmp_ne_u32_e64 s[4:5], s29, v7
	v_mov_b32_e32 v5, 0x7f800001
	s_and_saveexec_b64 s[26:27], s[4:5]
	s_cbranch_execz .LBB401_843
; %bb.842:                              ;   in Loop: Header=BB401_683 Depth=1
	v_and_b32_e32 v5, 7, v6
	v_ffbh_u32_e32 v8, v5
	v_min_u32_e32 v22, 32, v8
	v_subrev_u32_e32 v8, 28, v22
	v_lshlrev_b64 v[8:9], v8, v[6:7]
	v_lshrrev_b32_e32 v10, 3, v7
	v_sub_u32_e32 v6, 29, v22
	v_and_b32_e32 v8, 7, v8
	v_cmp_gt_u32_e64 s[4:5], 8, v7
	v_cndmask_b32_e64 v6, v10, v6, s[4:5]
	v_cndmask_b32_e64 v5, v5, v8, s[4:5]
	v_lshlrev_b32_e32 v7, 16, v2
	v_bfrev_b32_e32 v8, 60
	v_lshlrev_b32_e32 v5, 20, v5
	v_and_b32_e32 v7, 0x80000000, v7
	v_lshl_add_u32 v6, v6, 23, v8
	v_or3_b32 v5, v7, v6, v5
.LBB401_843:                            ;   in Loop: Header=BB401_683 Depth=1
	s_or_b64 exec, exec, s[26:27]
.LBB401_844:                            ;   in Loop: Header=BB401_683 Depth=1
	s_or_b64 exec, exec, s[24:25]
.LBB401_845:                            ;   in Loop: Header=BB401_683 Depth=1
	s_or_b64 exec, exec, s[12:13]
	v_mul_f32_e32 v6, v34, v5
	v_and_b32_e32 v5, 0x7f800000, v6
	v_cmp_ne_u32_e64 s[4:5], s15, v5
                                        ; implicit-def: $vgpr5
	s_and_saveexec_b64 s[12:13], s[4:5]
	s_xor_b64 s[4:5], exec, s[12:13]
; %bb.846:                              ;   in Loop: Header=BB401_683 Depth=1
	v_bfe_u32 v5, v6, 16, 1
	v_add3_u32 v5, v6, v5, s21
                                        ; implicit-def: $vgpr6
; %bb.847:                              ;   in Loop: Header=BB401_683 Depth=1
	s_andn2_saveexec_b64 s[12:13], s[4:5]
; %bb.848:                              ;   in Loop: Header=BB401_683 Depth=1
	v_or_b32_e32 v5, 0x10000, v6
	v_cmp_eq_u32_sdwa s[4:5], v6, v11 src0_sel:WORD_0 src1_sel:DWORD
	v_cndmask_b32_e64 v5, v5, v6, s[4:5]
; %bb.849:                              ;   in Loop: Header=BB401_683 Depth=1
	s_or_b64 exec, exec, s[12:13]
	v_lshrrev_b32_e32 v6, 16, v2
	v_cmp_ne_u16_sdwa s[4:5], v6, v11 src0_sel:BYTE_0 src1_sel:DWORD
	v_mov_b32_e32 v7, 0
	s_and_saveexec_b64 s[12:13], s[4:5]
	s_cbranch_execz .LBB401_855
; %bb.850:                              ;   in Loop: Header=BB401_683 Depth=1
	v_cmp_ne_u16_sdwa s[4:5], v6, s28 src0_sel:BYTE_0 src1_sel:DWORD
	v_bfrev_b32_e32 v7, 1
	s_and_saveexec_b64 s[24:25], s[4:5]
	s_cbranch_execz .LBB401_854
; %bb.851:                              ;   in Loop: Header=BB401_683 Depth=1
	v_bfe_u32 v8, v2, 16, 7
	v_cmp_ne_u32_e64 s[4:5], s29, v8
	v_mov_b32_e32 v7, 0x7f800001
	s_and_saveexec_b64 s[26:27], s[4:5]
	s_cbranch_execz .LBB401_853
; %bb.852:                              ;   in Loop: Header=BB401_683 Depth=1
	v_and_b32_e32 v7, 7, v6
	v_ffbh_u32_e32 v10, v7
	v_min_u32_e32 v10, 32, v10
	v_subrev_u32_e32 v22, 28, v10
	v_lshlrev_b64 v[22:23], v22, v[6:7]
	v_lshrrev_b32_e32 v9, 3, v8
	v_sub_u32_e32 v10, 29, v10
	v_and_b32_e32 v22, 7, v22
	v_cmp_gt_u32_e64 s[4:5], 8, v8
	v_cndmask_b32_e64 v8, v9, v10, s[4:5]
	v_cndmask_b32_e64 v7, v7, v22, s[4:5]
	v_lshlrev_b32_e32 v6, 24, v6
	v_bfrev_b32_e32 v9, 60
	v_lshlrev_b32_e32 v7, 20, v7
	v_and_b32_e32 v6, 0x80000000, v6
	v_lshl_add_u32 v8, v8, 23, v9
	v_or3_b32 v7, v6, v8, v7
.LBB401_853:                            ;   in Loop: Header=BB401_683 Depth=1
	s_or_b64 exec, exec, s[26:27]
.LBB401_854:                            ;   in Loop: Header=BB401_683 Depth=1
	s_or_b64 exec, exec, s[24:25]
.LBB401_855:                            ;   in Loop: Header=BB401_683 Depth=1
	s_or_b64 exec, exec, s[12:13]
	v_mul_f32_e32 v6, v34, v7
	v_and_b32_e32 v7, 0x7f800000, v6
	v_cmp_ne_u32_e64 s[4:5], s15, v7
                                        ; implicit-def: $vgpr7
	s_and_saveexec_b64 s[12:13], s[4:5]
	s_xor_b64 s[4:5], exec, s[12:13]
; %bb.856:                              ;   in Loop: Header=BB401_683 Depth=1
	v_bfe_u32 v7, v6, 16, 1
	v_add3_u32 v7, v6, v7, s21
                                        ; implicit-def: $vgpr6
; %bb.857:                              ;   in Loop: Header=BB401_683 Depth=1
	s_andn2_saveexec_b64 s[12:13], s[4:5]
; %bb.858:                              ;   in Loop: Header=BB401_683 Depth=1
	v_or_b32_e32 v7, 0x10000, v6
	v_cmp_eq_u32_sdwa s[4:5], v6, v11 src0_sel:WORD_0 src1_sel:DWORD
	v_cndmask_b32_e64 v7, v7, v6, s[4:5]
; %bb.859:                              ;   in Loop: Header=BB401_683 Depth=1
	s_or_b64 exec, exec, s[12:13]
	v_cmp_lt_u32_e64 s[4:5], s9, v2
	v_mov_b32_e32 v8, 0
	s_and_saveexec_b64 s[12:13], s[4:5]
	s_cbranch_execz .LBB401_865
; %bb.860:                              ;   in Loop: Header=BB401_683 Depth=1
	v_lshrrev_b32_e32 v6, 24, v2
	v_cmp_ne_u32_e64 s[4:5], s28, v6
	v_bfrev_b32_e32 v8, 1
	s_and_saveexec_b64 s[24:25], s[4:5]
	s_cbranch_execz .LBB401_864
; %bb.861:                              ;   in Loop: Header=BB401_683 Depth=1
	v_bfe_u32 v9, v2, 24, 7
	v_cmp_ne_u32_e64 s[4:5], s29, v9
	v_mov_b32_e32 v8, 0x7f800001
	s_and_saveexec_b64 s[26:27], s[4:5]
	s_cbranch_execz .LBB401_863
; %bb.862:                              ;   in Loop: Header=BB401_683 Depth=1
	v_and_b32_e32 v8, 7, v6
	v_ffbh_u32_e32 v22, v8
	v_min_u32_e32 v26, 32, v22
	v_subrev_u32_e32 v22, 28, v26
	v_lshlrev_b64 v[22:23], v22, v[6:7]
	v_lshrrev_b32_e32 v10, 3, v9
	v_sub_u32_e32 v23, 29, v26
	v_and_b32_e32 v22, 7, v22
	v_cmp_gt_u32_e64 s[4:5], 8, v9
	v_cndmask_b32_e64 v9, v10, v23, s[4:5]
	v_cndmask_b32_e64 v8, v8, v22, s[4:5]
	v_lshlrev_b32_e32 v6, 24, v6
	v_bfrev_b32_e32 v10, 60
	v_lshlrev_b32_e32 v8, 20, v8
	v_and_b32_e32 v6, 0x80000000, v6
	v_lshl_add_u32 v9, v9, 23, v10
	v_or3_b32 v8, v6, v9, v8
.LBB401_863:                            ;   in Loop: Header=BB401_683 Depth=1
	s_or_b64 exec, exec, s[26:27]
.LBB401_864:                            ;   in Loop: Header=BB401_683 Depth=1
	s_or_b64 exec, exec, s[24:25]
.LBB401_865:                            ;   in Loop: Header=BB401_683 Depth=1
	s_or_b64 exec, exec, s[12:13]
	v_mul_f32_e32 v6, v34, v8
	v_and_b32_e32 v8, 0x7f800000, v6
	v_cmp_ne_u32_e64 s[4:5], s15, v8
                                        ; implicit-def: $vgpr8
	s_and_saveexec_b64 s[12:13], s[4:5]
	s_xor_b64 s[4:5], exec, s[12:13]
; %bb.866:                              ;   in Loop: Header=BB401_683 Depth=1
	v_bfe_u32 v8, v6, 16, 1
	v_add3_u32 v8, v6, v8, s21
                                        ; implicit-def: $vgpr6
; %bb.867:                              ;   in Loop: Header=BB401_683 Depth=1
	s_andn2_saveexec_b64 s[12:13], s[4:5]
; %bb.868:                              ;   in Loop: Header=BB401_683 Depth=1
	v_or_b32_e32 v8, 0x10000, v6
	v_cmp_eq_u32_sdwa s[4:5], v6, v11 src0_sel:WORD_0 src1_sel:DWORD
	v_cndmask_b32_e64 v8, v8, v6, s[4:5]
; %bb.869:                              ;   in Loop: Header=BB401_683 Depth=1
	s_or_b64 exec, exec, s[12:13]
	v_mov_b32_e32 v10, v3
	v_cmp_ne_u16_sdwa s[4:5], v3, v11 src0_sel:BYTE_0 src1_sel:DWORD
	v_mov_b32_e32 v6, 0
	s_and_saveexec_b64 s[12:13], s[4:5]
	s_cbranch_execz .LBB401_875
; %bb.870:                              ;   in Loop: Header=BB401_683 Depth=1
	v_cmp_ne_u16_sdwa s[4:5], v3, s28 src0_sel:BYTE_0 src1_sel:DWORD
	v_bfrev_b32_e32 v6, 1
	s_and_saveexec_b64 s[24:25], s[4:5]
	s_cbranch_execz .LBB401_874
; %bb.871:                              ;   in Loop: Header=BB401_683 Depth=1
	v_and_b32_e32 v9, 0x7f, v3
	v_cmp_ne_u32_e64 s[4:5], s29, v9
	v_mov_b32_e32 v6, 0x7f800001
	s_and_saveexec_b64 s[26:27], s[4:5]
	s_cbranch_execz .LBB401_873
; %bb.872:                              ;   in Loop: Header=BB401_683 Depth=1
	v_and_b32_e32 v6, 7, v3
	v_ffbh_u32_e32 v6, v6
	v_min_u32_e32 v6, 32, v6
	v_subrev_u32_e32 v23, 28, v6
	v_cmp_gt_u32_e64 s[4:5], 8, v9
	v_lshrrev_b32_e32 v22, 3, v9
	v_sub_u32_e32 v6, 29, v6
	v_cndmask_b32_e64 v9, 0, v23, s[4:5]
	v_cndmask_b32_e64 v6, v22, v6, s[4:5]
	v_lshlrev_b64 v[22:23], v9, v[10:11]
	v_lshlrev_b32_e32 v9, 20, v22
	v_lshlrev_b32_e32 v22, 24, v10
	v_bfrev_b32_e32 v23, 60
	v_and_b32_e32 v9, 0x700000, v9
	v_and_b32_e32 v22, 0x80000000, v22
	v_lshl_add_u32 v6, v6, 23, v23
	v_or3_b32 v6, v22, v6, v9
.LBB401_873:                            ;   in Loop: Header=BB401_683 Depth=1
	s_or_b64 exec, exec, s[26:27]
.LBB401_874:                            ;   in Loop: Header=BB401_683 Depth=1
	s_or_b64 exec, exec, s[24:25]
.LBB401_875:                            ;   in Loop: Header=BB401_683 Depth=1
	s_or_b64 exec, exec, s[12:13]
	v_mul_f32_e32 v6, v34, v6
	v_and_b32_e32 v9, 0x7f800000, v6
	v_cmp_ne_u32_e64 s[4:5], s15, v9
                                        ; implicit-def: $vgpr9
	s_and_saveexec_b64 s[12:13], s[4:5]
	s_xor_b64 s[4:5], exec, s[12:13]
; %bb.876:                              ;   in Loop: Header=BB401_683 Depth=1
	v_bfe_u32 v9, v6, 16, 1
	v_add3_u32 v9, v6, v9, s21
                                        ; implicit-def: $vgpr6
; %bb.877:                              ;   in Loop: Header=BB401_683 Depth=1
	s_andn2_saveexec_b64 s[12:13], s[4:5]
; %bb.878:                              ;   in Loop: Header=BB401_683 Depth=1
	v_or_b32_e32 v9, 0x10000, v6
	v_cmp_eq_u32_sdwa s[4:5], v6, v11 src0_sel:WORD_0 src1_sel:DWORD
	v_cndmask_b32_e64 v9, v9, v6, s[4:5]
; %bb.879:                              ;   in Loop: Header=BB401_683 Depth=1
	s_or_b64 exec, exec, s[12:13]
	v_lshrrev_b16_e32 v6, 8, v10
	v_cmp_ne_u16_e64 s[4:5], 0, v6
	v_mov_b32_e32 v22, 0
	s_and_saveexec_b64 s[12:13], s[4:5]
	s_cbranch_execz .LBB401_885
; %bb.880:                              ;   in Loop: Header=BB401_683 Depth=1
	v_cmp_ne_u16_e64 s[4:5], s28, v6
	v_bfrev_b32_e32 v22, 1
	s_and_saveexec_b64 s[24:25], s[4:5]
	s_cbranch_execz .LBB401_884
; %bb.881:                              ;   in Loop: Header=BB401_683 Depth=1
	v_and_b32_e32 v23, 0x7f, v6
	v_cmp_ne_u32_e64 s[4:5], s29, v23
	v_mov_b32_e32 v22, 0x7f800001
	s_and_saveexec_b64 s[26:27], s[4:5]
	s_cbranch_execz .LBB401_883
; %bb.882:                              ;   in Loop: Header=BB401_683 Depth=1
	v_and_b32_e32 v22, 7, v6
	v_ffbh_u32_e32 v26, v22
	v_min_u32_e32 v29, 32, v26
	v_subrev_u32_e32 v26, 28, v29
	v_lshlrev_b64 v[26:27], v26, v[6:7]
	v_lshrrev_b32_e32 v28, 3, v23
	v_sub_u32_e32 v6, 29, v29
	v_and_b32_e32 v26, 7, v26
	v_cmp_gt_u32_e64 s[4:5], 8, v23
	v_cndmask_b32_e64 v6, v28, v6, s[4:5]
	v_cndmask_b32_e64 v22, v22, v26, s[4:5]
	v_lshlrev_b32_e32 v10, 16, v10
	v_bfrev_b32_e32 v23, 60
	v_lshlrev_b32_e32 v22, 20, v22
	v_and_b32_e32 v10, 0x80000000, v10
	v_lshl_add_u32 v6, v6, 23, v23
	v_or3_b32 v22, v10, v6, v22
.LBB401_883:                            ;   in Loop: Header=BB401_683 Depth=1
	s_or_b64 exec, exec, s[26:27]
.LBB401_884:                            ;   in Loop: Header=BB401_683 Depth=1
	s_or_b64 exec, exec, s[24:25]
.LBB401_885:                            ;   in Loop: Header=BB401_683 Depth=1
	s_or_b64 exec, exec, s[12:13]
	v_mul_f32_e32 v6, v34, v22
	v_and_b32_e32 v10, 0x7f800000, v6
	v_cmp_ne_u32_e64 s[4:5], s15, v10
                                        ; implicit-def: $vgpr10
	s_and_saveexec_b64 s[12:13], s[4:5]
	s_xor_b64 s[4:5], exec, s[12:13]
; %bb.886:                              ;   in Loop: Header=BB401_683 Depth=1
	v_bfe_u32 v10, v6, 16, 1
	v_add3_u32 v10, v6, v10, s21
                                        ; implicit-def: $vgpr6
; %bb.887:                              ;   in Loop: Header=BB401_683 Depth=1
	s_andn2_saveexec_b64 s[12:13], s[4:5]
; %bb.888:                              ;   in Loop: Header=BB401_683 Depth=1
	v_or_b32_e32 v10, 0x10000, v6
	v_cmp_eq_u32_sdwa s[4:5], v6, v11 src0_sel:WORD_0 src1_sel:DWORD
	v_cndmask_b32_e64 v10, v10, v6, s[4:5]
; %bb.889:                              ;   in Loop: Header=BB401_683 Depth=1
	s_or_b64 exec, exec, s[12:13]
	v_lshrrev_b32_e32 v6, 16, v3
	v_cmp_ne_u16_sdwa s[4:5], v6, v11 src0_sel:BYTE_0 src1_sel:DWORD
	v_mov_b32_e32 v22, 0
	s_and_saveexec_b64 s[12:13], s[4:5]
	s_cbranch_execz .LBB401_895
; %bb.890:                              ;   in Loop: Header=BB401_683 Depth=1
	v_cmp_ne_u16_sdwa s[4:5], v6, s28 src0_sel:BYTE_0 src1_sel:DWORD
	v_bfrev_b32_e32 v22, 1
	s_and_saveexec_b64 s[24:25], s[4:5]
	s_cbranch_execz .LBB401_894
; %bb.891:                              ;   in Loop: Header=BB401_683 Depth=1
	v_bfe_u32 v23, v3, 16, 7
	v_cmp_ne_u32_e64 s[4:5], s29, v23
	v_mov_b32_e32 v22, 0x7f800001
	s_and_saveexec_b64 s[26:27], s[4:5]
	s_cbranch_execz .LBB401_893
; %bb.892:                              ;   in Loop: Header=BB401_683 Depth=1
	v_and_b32_e32 v22, 7, v6
	v_ffbh_u32_e32 v26, v22
	v_min_u32_e32 v29, 32, v26
	v_subrev_u32_e32 v26, 28, v29
	v_lshlrev_b64 v[26:27], v26, v[6:7]
	v_lshrrev_b32_e32 v28, 3, v23
	v_sub_u32_e32 v27, 29, v29
	v_and_b32_e32 v26, 7, v26
	v_cmp_gt_u32_e64 s[4:5], 8, v23
	v_cndmask_b32_e64 v23, v28, v27, s[4:5]
	v_cndmask_b32_e64 v22, v22, v26, s[4:5]
	v_lshlrev_b32_e32 v6, 24, v6
	v_bfrev_b32_e32 v26, 60
	v_lshlrev_b32_e32 v22, 20, v22
	v_and_b32_e32 v6, 0x80000000, v6
	v_lshl_add_u32 v23, v23, 23, v26
	v_or3_b32 v22, v6, v23, v22
.LBB401_893:                            ;   in Loop: Header=BB401_683 Depth=1
	s_or_b64 exec, exec, s[26:27]
.LBB401_894:                            ;   in Loop: Header=BB401_683 Depth=1
	s_or_b64 exec, exec, s[24:25]
.LBB401_895:                            ;   in Loop: Header=BB401_683 Depth=1
	s_or_b64 exec, exec, s[12:13]
	v_mul_f32_e32 v6, v34, v22
	v_and_b32_e32 v22, 0x7f800000, v6
	v_cmp_ne_u32_e64 s[4:5], s15, v22
                                        ; implicit-def: $vgpr22
	s_and_saveexec_b64 s[12:13], s[4:5]
	s_xor_b64 s[4:5], exec, s[12:13]
; %bb.896:                              ;   in Loop: Header=BB401_683 Depth=1
	v_bfe_u32 v22, v6, 16, 1
	v_add3_u32 v22, v6, v22, s21
                                        ; implicit-def: $vgpr6
; %bb.897:                              ;   in Loop: Header=BB401_683 Depth=1
	s_andn2_saveexec_b64 s[12:13], s[4:5]
; %bb.898:                              ;   in Loop: Header=BB401_683 Depth=1
	v_or_b32_e32 v22, 0x10000, v6
	v_cmp_eq_u32_sdwa s[4:5], v6, v11 src0_sel:WORD_0 src1_sel:DWORD
	v_cndmask_b32_e64 v22, v22, v6, s[4:5]
; %bb.899:                              ;   in Loop: Header=BB401_683 Depth=1
	s_or_b64 exec, exec, s[12:13]
	v_cmp_lt_u64_e64 s[4:5], s[8:9], v[2:3]
	v_mov_b32_e32 v6, 0
	s_and_saveexec_b64 s[12:13], s[4:5]
	s_cbranch_execz .LBB401_905
; %bb.900:                              ;   in Loop: Header=BB401_683 Depth=1
	v_lshrrev_b32_e32 v2, 24, v3
	v_cmp_ne_u32_e64 s[4:5], s28, v2
	v_bfrev_b32_e32 v6, 1
	s_and_saveexec_b64 s[24:25], s[4:5]
	s_cbranch_execz .LBB401_904
; %bb.901:                              ;   in Loop: Header=BB401_683 Depth=1
	v_bfe_u32 v3, v3, 24, 7
	v_cmp_ne_u32_e64 s[4:5], s29, v3
	v_mov_b32_e32 v6, 0x7f800001
	s_and_saveexec_b64 s[26:27], s[4:5]
	s_cbranch_execz .LBB401_903
; %bb.902:                              ;   in Loop: Header=BB401_683 Depth=1
	v_and_b32_e32 v6, 7, v2
	v_ffbh_u32_e32 v26, v6
	v_min_u32_e32 v28, 32, v26
	v_subrev_u32_e32 v26, 28, v28
	v_lshlrev_b64 v[26:27], v26, v[2:3]
	v_lshrrev_b32_e32 v23, 3, v3
	v_sub_u32_e32 v27, 29, v28
	v_and_b32_e32 v26, 7, v26
	v_cmp_gt_u32_e64 s[4:5], 8, v3
	v_cndmask_b32_e64 v3, v23, v27, s[4:5]
	v_cndmask_b32_e64 v6, v6, v26, s[4:5]
	v_lshlrev_b32_e32 v2, 24, v2
	v_bfrev_b32_e32 v23, 60
	v_lshlrev_b32_e32 v6, 20, v6
	v_and_b32_e32 v2, 0x80000000, v2
	v_lshl_add_u32 v3, v3, 23, v23
	v_or3_b32 v6, v2, v3, v6
.LBB401_903:                            ;   in Loop: Header=BB401_683 Depth=1
	s_or_b64 exec, exec, s[26:27]
.LBB401_904:                            ;   in Loop: Header=BB401_683 Depth=1
	s_or_b64 exec, exec, s[24:25]
.LBB401_905:                            ;   in Loop: Header=BB401_683 Depth=1
	s_or_b64 exec, exec, s[12:13]
	v_mul_f32_e32 v3, v34, v6
	v_and_b32_e32 v2, 0x7f800000, v3
	v_cmp_ne_u32_e64 s[4:5], s15, v2
                                        ; implicit-def: $vgpr2
	s_and_saveexec_b64 s[12:13], s[4:5]
	s_xor_b64 s[4:5], exec, s[12:13]
; %bb.906:                              ;   in Loop: Header=BB401_683 Depth=1
	v_bfe_u32 v2, v3, 16, 1
	v_add3_u32 v2, v3, v2, s21
                                        ; implicit-def: $vgpr3
; %bb.907:                              ;   in Loop: Header=BB401_683 Depth=1
	s_andn2_saveexec_b64 s[12:13], s[4:5]
; %bb.908:                              ;   in Loop: Header=BB401_683 Depth=1
	v_or_b32_e32 v2, 0x10000, v3
	v_cmp_eq_u32_sdwa s[4:5], v3, v11 src0_sel:WORD_0 src1_sel:DWORD
	v_cndmask_b32_e64 v2, v2, v3, s[4:5]
; %bb.909:                              ;   in Loop: Header=BB401_683 Depth=1
	s_or_b64 exec, exec, s[12:13]
	v_lshrrev_b32_e32 v6, 16, v10
	v_lshrrev_b32_e32 v9, 16, v9
	;; [unrolled: 1-line block ×8, first 2 shown]
	s_and_saveexec_b64 s[12:13], vcc
	s_cbranch_execz .LBB401_911
; %bb.910:                              ;   in Loop: Header=BB401_683 Depth=1
	v_cmp_lt_i32_e64 s[4:5], v37, v32
	v_accvgpr_read_b32 v10, a26
	v_cndmask_b32_e64 v4, 0, v4, s[4:5]
	v_cmp_lt_i32_e64 s[4:5], v10, v32
	v_accvgpr_read_b32 v10, a25
	v_cndmask_b32_e64 v5, 0, v5, s[4:5]
	;; [unrolled: 3-line block ×6, first 2 shown]
	v_cmp_lt_i32_e64 s[4:5], v10, v32
	v_cndmask_b32_e64 v3, 0, v3, s[4:5]
	v_cmp_lt_i32_e64 s[4:5], v17, v32
	v_cndmask_b32_e64 v2, 0, v2, s[4:5]
.LBB401_911:                            ;   in Loop: Header=BB401_683 Depth=1
	s_or_b64 exec, exec, s[12:13]
	v_lshlrev_b32_e32 v4, 16, v4
	v_mul_f32_e32 v4, v42, v4
	v_and_b32_e32 v10, 0x7f800000, v4
	v_cmp_ne_u32_e64 s[4:5], s15, v10
                                        ; implicit-def: $agpr27
	s_and_saveexec_b64 s[12:13], s[4:5]
	s_xor_b64 s[4:5], exec, s[12:13]
; %bb.912:                              ;   in Loop: Header=BB401_683 Depth=1
	v_bfe_u32 v10, v4, 16, 1
	v_add3_u32 v4, v4, v10, s21
	v_accvgpr_write_b32 a27, v4
                                        ; implicit-def: $vgpr4
; %bb.913:                              ;   in Loop: Header=BB401_683 Depth=1
	s_andn2_saveexec_b64 s[12:13], s[4:5]
; %bb.914:                              ;   in Loop: Header=BB401_683 Depth=1
	v_or_b32_e32 v10, 0x10000, v4
	v_cmp_eq_u32_sdwa s[4:5], v4, v11 src0_sel:WORD_0 src1_sel:DWORD
	v_cndmask_b32_e64 v4, v10, v4, s[4:5]
	v_accvgpr_write_b32 a27, v4
; %bb.915:                              ;   in Loop: Header=BB401_683 Depth=1
	s_or_b64 exec, exec, s[12:13]
	v_lshlrev_b32_e32 v4, 16, v5
	v_mul_f32_e32 v4, v43, v4
	v_and_b32_e32 v5, 0x7f800000, v4
	v_cmp_ne_u32_e64 s[4:5], s15, v5
                                        ; implicit-def: $agpr28
	s_and_saveexec_b64 s[12:13], s[4:5]
	s_xor_b64 s[4:5], exec, s[12:13]
; %bb.916:                              ;   in Loop: Header=BB401_683 Depth=1
	v_bfe_u32 v5, v4, 16, 1
	v_add3_u32 v4, v4, v5, s21
	v_accvgpr_write_b32 a28, v4
                                        ; implicit-def: $vgpr4
; %bb.917:                              ;   in Loop: Header=BB401_683 Depth=1
	s_andn2_saveexec_b64 s[12:13], s[4:5]
; %bb.918:                              ;   in Loop: Header=BB401_683 Depth=1
	v_or_b32_e32 v5, 0x10000, v4
	v_cmp_eq_u32_sdwa s[4:5], v4, v11 src0_sel:WORD_0 src1_sel:DWORD
	v_cndmask_b32_e64 v4, v5, v4, s[4:5]
	v_accvgpr_write_b32 a28, v4
; %bb.919:                              ;   in Loop: Header=BB401_683 Depth=1
	s_or_b64 exec, exec, s[12:13]
	v_lshlrev_b32_e32 v4, 16, v7
	v_mul_f32_e32 v4, v44, v4
	v_and_b32_e32 v5, 0x7f800000, v4
	v_cmp_ne_u32_e64 s[4:5], s15, v5
                                        ; implicit-def: $agpr29
	s_and_saveexec_b64 s[12:13], s[4:5]
	s_xor_b64 s[4:5], exec, s[12:13]
; %bb.920:                              ;   in Loop: Header=BB401_683 Depth=1
	v_bfe_u32 v5, v4, 16, 1
	v_add3_u32 v4, v4, v5, s21
	v_accvgpr_write_b32 a29, v4
                                        ; implicit-def: $vgpr4
; %bb.921:                              ;   in Loop: Header=BB401_683 Depth=1
	s_andn2_saveexec_b64 s[12:13], s[4:5]
; %bb.922:                              ;   in Loop: Header=BB401_683 Depth=1
	v_or_b32_e32 v5, 0x10000, v4
	v_cmp_eq_u32_sdwa s[4:5], v4, v11 src0_sel:WORD_0 src1_sel:DWORD
	v_cndmask_b32_e64 v4, v5, v4, s[4:5]
	v_accvgpr_write_b32 a29, v4
; %bb.923:                              ;   in Loop: Header=BB401_683 Depth=1
	s_or_b64 exec, exec, s[12:13]
	v_lshlrev_b32_e32 v4, 16, v8
	v_mul_f32_e32 v4, v45, v4
	v_and_b32_e32 v5, 0x7f800000, v4
	v_cmp_ne_u32_e64 s[4:5], s15, v5
                                        ; implicit-def: $agpr30
	s_and_saveexec_b64 s[12:13], s[4:5]
	s_xor_b64 s[4:5], exec, s[12:13]
; %bb.924:                              ;   in Loop: Header=BB401_683 Depth=1
	v_bfe_u32 v5, v4, 16, 1
	v_add3_u32 v4, v4, v5, s21
	v_accvgpr_write_b32 a30, v4
                                        ; implicit-def: $vgpr4
; %bb.925:                              ;   in Loop: Header=BB401_683 Depth=1
	s_andn2_saveexec_b64 s[12:13], s[4:5]
; %bb.926:                              ;   in Loop: Header=BB401_683 Depth=1
	v_or_b32_e32 v5, 0x10000, v4
	v_cmp_eq_u32_sdwa s[4:5], v4, v11 src0_sel:WORD_0 src1_sel:DWORD
	v_cndmask_b32_e64 v4, v5, v4, s[4:5]
	v_accvgpr_write_b32 a30, v4
; %bb.927:                              ;   in Loop: Header=BB401_683 Depth=1
	s_or_b64 exec, exec, s[12:13]
	v_lshlrev_b32_e32 v4, 16, v9
	v_mul_f32_e32 v4, v46, v4
	v_and_b32_e32 v5, 0x7f800000, v4
	v_cmp_ne_u32_e64 s[4:5], s15, v5
                                        ; implicit-def: $agpr31
	s_and_saveexec_b64 s[12:13], s[4:5]
	s_xor_b64 s[4:5], exec, s[12:13]
; %bb.928:                              ;   in Loop: Header=BB401_683 Depth=1
	v_bfe_u32 v5, v4, 16, 1
	v_add3_u32 v4, v4, v5, s21
	v_accvgpr_write_b32 a31, v4
                                        ; implicit-def: $vgpr4
; %bb.929:                              ;   in Loop: Header=BB401_683 Depth=1
	s_andn2_saveexec_b64 s[12:13], s[4:5]
; %bb.930:                              ;   in Loop: Header=BB401_683 Depth=1
	v_or_b32_e32 v5, 0x10000, v4
	v_cmp_eq_u32_sdwa s[4:5], v4, v11 src0_sel:WORD_0 src1_sel:DWORD
	v_cndmask_b32_e64 v4, v5, v4, s[4:5]
	v_accvgpr_write_b32 a31, v4
; %bb.931:                              ;   in Loop: Header=BB401_683 Depth=1
	s_or_b64 exec, exec, s[12:13]
	v_lshlrev_b32_e32 v4, 16, v6
	v_mul_f32_e32 v4, v47, v4
	v_and_b32_e32 v5, 0x7f800000, v4
	v_cmp_ne_u32_e64 s[4:5], s15, v5
                                        ; implicit-def: $agpr32
	s_and_saveexec_b64 s[12:13], s[4:5]
	s_xor_b64 s[4:5], exec, s[12:13]
; %bb.932:                              ;   in Loop: Header=BB401_683 Depth=1
	v_bfe_u32 v5, v4, 16, 1
	v_add3_u32 v4, v4, v5, s21
	v_accvgpr_write_b32 a32, v4
                                        ; implicit-def: $vgpr4
; %bb.933:                              ;   in Loop: Header=BB401_683 Depth=1
	s_andn2_saveexec_b64 s[12:13], s[4:5]
; %bb.934:                              ;   in Loop: Header=BB401_683 Depth=1
	v_or_b32_e32 v5, 0x10000, v4
	v_cmp_eq_u32_sdwa s[4:5], v4, v11 src0_sel:WORD_0 src1_sel:DWORD
	v_cndmask_b32_e64 v4, v5, v4, s[4:5]
	v_accvgpr_write_b32 a32, v4
; %bb.935:                              ;   in Loop: Header=BB401_683 Depth=1
	s_or_b64 exec, exec, s[12:13]
	v_lshlrev_b32_e32 v3, 16, v3
	v_mul_f32_e32 v3, v56, v3
	v_and_b32_e32 v4, 0x7f800000, v3
	v_cmp_ne_u32_e64 s[4:5], s15, v4
                                        ; implicit-def: $agpr33
	s_and_saveexec_b64 s[12:13], s[4:5]
	s_xor_b64 s[4:5], exec, s[12:13]
; %bb.936:                              ;   in Loop: Header=BB401_683 Depth=1
	v_bfe_u32 v4, v3, 16, 1
	v_add3_u32 v3, v3, v4, s21
	v_accvgpr_write_b32 a33, v3
                                        ; implicit-def: $vgpr3
; %bb.937:                              ;   in Loop: Header=BB401_683 Depth=1
	s_andn2_saveexec_b64 s[12:13], s[4:5]
; %bb.938:                              ;   in Loop: Header=BB401_683 Depth=1
	v_or_b32_e32 v4, 0x10000, v3
	v_cmp_eq_u32_sdwa s[4:5], v3, v11 src0_sel:WORD_0 src1_sel:DWORD
	v_cndmask_b32_e64 v3, v4, v3, s[4:5]
	v_accvgpr_write_b32 a33, v3
; %bb.939:                              ;   in Loop: Header=BB401_683 Depth=1
	s_or_b64 exec, exec, s[12:13]
	v_lshlrev_b32_e32 v2, 16, v2
	v_mul_f32_e32 v2, v57, v2
	v_and_b32_e32 v3, 0x7f800000, v2
	v_cmp_ne_u32_e64 s[4:5], s15, v3
                                        ; implicit-def: $agpr34
	s_and_saveexec_b64 s[12:13], s[4:5]
	s_xor_b64 s[4:5], exec, s[12:13]
; %bb.940:                              ;   in Loop: Header=BB401_683 Depth=1
	v_bfe_u32 v3, v2, 16, 1
	v_add3_u32 v2, v2, v3, s21
	v_accvgpr_write_b32 a34, v2
                                        ; implicit-def: $vgpr2
; %bb.941:                              ;   in Loop: Header=BB401_683 Depth=1
	s_andn2_saveexec_b64 s[12:13], s[4:5]
; %bb.942:                              ;   in Loop: Header=BB401_683 Depth=1
	v_or_b32_e32 v3, 0x10000, v2
	v_cmp_eq_u32_sdwa s[4:5], v2, v11 src0_sel:WORD_0 src1_sel:DWORD
	v_cndmask_b32_e64 v2, v3, v2, s[4:5]
	v_accvgpr_write_b32 a34, v2
; %bb.943:                              ;   in Loop: Header=BB401_683 Depth=1
	s_or_b64 exec, exec, s[12:13]
	flat_load_dwordx2 v[2:3], v[0:1] offset:1024
	v_mov_b32_e32 v4, 0
	s_waitcnt vmcnt(0) lgkmcnt(0)
	v_cmp_ne_u16_sdwa s[4:5], v2, v11 src0_sel:BYTE_0 src1_sel:DWORD
	s_and_saveexec_b64 s[12:13], s[4:5]
	s_cbranch_execz .LBB401_949
; %bb.944:                              ;   in Loop: Header=BB401_683 Depth=1
	v_cmp_ne_u16_sdwa s[4:5], v2, s28 src0_sel:BYTE_0 src1_sel:DWORD
	v_bfrev_b32_e32 v4, 1
	s_and_saveexec_b64 s[24:25], s[4:5]
	s_cbranch_execz .LBB401_948
; %bb.945:                              ;   in Loop: Header=BB401_683 Depth=1
	v_and_b32_e32 v5, 0x7f, v2
	v_cmp_ne_u32_e64 s[4:5], s29, v5
	v_mov_b32_e32 v4, 0x7f800001
	s_and_saveexec_b64 s[26:27], s[4:5]
	s_cbranch_execz .LBB401_947
; %bb.946:                              ;   in Loop: Header=BB401_683 Depth=1
	v_and_b32_e32 v4, 7, v2
	v_ffbh_u32_e32 v4, v4
	v_min_u32_e32 v4, 32, v4
	v_lshrrev_b32_e32 v6, 3, v5
	v_subrev_u32_e32 v7, 28, v4
	v_sub_u32_e32 v4, 29, v4
	v_cmp_gt_u32_e64 s[4:5], 8, v5
	v_cndmask_b32_e64 v6, v6, v4, s[4:5]
	v_cndmask_b32_e64 v4, 0, v7, s[4:5]
	v_lshlrev_b64 v[4:5], v4, v[2:3]
	v_lshlrev_b32_e32 v4, 20, v4
	v_lshlrev_b32_e32 v5, 24, v2
	v_bfrev_b32_e32 v7, 60
	v_and_b32_e32 v4, 0x700000, v4
	v_and_b32_e32 v5, 0x80000000, v5
	v_lshl_add_u32 v6, v6, 23, v7
	v_or3_b32 v4, v5, v6, v4
.LBB401_947:                            ;   in Loop: Header=BB401_683 Depth=1
	s_or_b64 exec, exec, s[26:27]
.LBB401_948:                            ;   in Loop: Header=BB401_683 Depth=1
	s_or_b64 exec, exec, s[24:25]
.LBB401_949:                            ;   in Loop: Header=BB401_683 Depth=1
	s_or_b64 exec, exec, s[12:13]
	v_mul_f32_e32 v5, v34, v4
	v_and_b32_e32 v4, 0x7f800000, v5
	v_cmp_ne_u32_e64 s[4:5], s15, v4
                                        ; implicit-def: $vgpr4
	s_and_saveexec_b64 s[12:13], s[4:5]
	s_xor_b64 s[4:5], exec, s[12:13]
; %bb.950:                              ;   in Loop: Header=BB401_683 Depth=1
	v_bfe_u32 v4, v5, 16, 1
	v_add3_u32 v4, v5, v4, s21
                                        ; implicit-def: $vgpr5
; %bb.951:                              ;   in Loop: Header=BB401_683 Depth=1
	s_andn2_saveexec_b64 s[12:13], s[4:5]
; %bb.952:                              ;   in Loop: Header=BB401_683 Depth=1
	v_or_b32_e32 v4, 0x10000, v5
	v_cmp_eq_u32_sdwa s[4:5], v5, v11 src0_sel:WORD_0 src1_sel:DWORD
	v_cndmask_b32_e64 v4, v4, v5, s[4:5]
; %bb.953:                              ;   in Loop: Header=BB401_683 Depth=1
	s_or_b64 exec, exec, s[12:13]
	v_lshrrev_b16_e32 v6, 8, v2
	v_cmp_ne_u16_e64 s[4:5], 0, v6
	v_mov_b32_e32 v5, 0
	s_and_saveexec_b64 s[12:13], s[4:5]
	s_cbranch_execz .LBB401_959
; %bb.954:                              ;   in Loop: Header=BB401_683 Depth=1
	v_cmp_ne_u16_e64 s[4:5], s28, v6
	v_bfrev_b32_e32 v5, 1
	s_and_saveexec_b64 s[24:25], s[4:5]
	s_cbranch_execz .LBB401_958
; %bb.955:                              ;   in Loop: Header=BB401_683 Depth=1
	v_and_b32_e32 v7, 0x7f, v6
	v_cmp_ne_u32_e64 s[4:5], s29, v7
	v_mov_b32_e32 v5, 0x7f800001
	s_and_saveexec_b64 s[26:27], s[4:5]
	s_cbranch_execz .LBB401_957
; %bb.956:                              ;   in Loop: Header=BB401_683 Depth=1
	v_and_b32_e32 v5, 7, v6
	v_ffbh_u32_e32 v8, v5
	v_min_u32_e32 v22, 32, v8
	v_subrev_u32_e32 v8, 28, v22
	v_lshlrev_b64 v[8:9], v8, v[6:7]
	v_lshrrev_b32_e32 v10, 3, v7
	v_sub_u32_e32 v6, 29, v22
	v_and_b32_e32 v8, 7, v8
	v_cmp_gt_u32_e64 s[4:5], 8, v7
	v_cndmask_b32_e64 v6, v10, v6, s[4:5]
	v_cndmask_b32_e64 v5, v5, v8, s[4:5]
	v_lshlrev_b32_e32 v7, 16, v2
	v_bfrev_b32_e32 v8, 60
	v_lshlrev_b32_e32 v5, 20, v5
	v_and_b32_e32 v7, 0x80000000, v7
	v_lshl_add_u32 v6, v6, 23, v8
	v_or3_b32 v5, v7, v6, v5
.LBB401_957:                            ;   in Loop: Header=BB401_683 Depth=1
	s_or_b64 exec, exec, s[26:27]
.LBB401_958:                            ;   in Loop: Header=BB401_683 Depth=1
	s_or_b64 exec, exec, s[24:25]
.LBB401_959:                            ;   in Loop: Header=BB401_683 Depth=1
	s_or_b64 exec, exec, s[12:13]
	v_mul_f32_e32 v6, v34, v5
	v_and_b32_e32 v5, 0x7f800000, v6
	v_cmp_ne_u32_e64 s[4:5], s15, v5
                                        ; implicit-def: $vgpr5
	s_and_saveexec_b64 s[12:13], s[4:5]
	s_xor_b64 s[4:5], exec, s[12:13]
; %bb.960:                              ;   in Loop: Header=BB401_683 Depth=1
	v_bfe_u32 v5, v6, 16, 1
	v_add3_u32 v5, v6, v5, s21
                                        ; implicit-def: $vgpr6
; %bb.961:                              ;   in Loop: Header=BB401_683 Depth=1
	s_andn2_saveexec_b64 s[12:13], s[4:5]
; %bb.962:                              ;   in Loop: Header=BB401_683 Depth=1
	v_or_b32_e32 v5, 0x10000, v6
	v_cmp_eq_u32_sdwa s[4:5], v6, v11 src0_sel:WORD_0 src1_sel:DWORD
	v_cndmask_b32_e64 v5, v5, v6, s[4:5]
; %bb.963:                              ;   in Loop: Header=BB401_683 Depth=1
	s_or_b64 exec, exec, s[12:13]
	v_lshrrev_b32_e32 v6, 16, v2
	v_cmp_ne_u16_sdwa s[4:5], v6, v11 src0_sel:BYTE_0 src1_sel:DWORD
	v_mov_b32_e32 v7, 0
	s_and_saveexec_b64 s[12:13], s[4:5]
	s_cbranch_execz .LBB401_969
; %bb.964:                              ;   in Loop: Header=BB401_683 Depth=1
	v_cmp_ne_u16_sdwa s[4:5], v6, s28 src0_sel:BYTE_0 src1_sel:DWORD
	v_bfrev_b32_e32 v7, 1
	s_and_saveexec_b64 s[24:25], s[4:5]
	s_cbranch_execz .LBB401_968
; %bb.965:                              ;   in Loop: Header=BB401_683 Depth=1
	v_bfe_u32 v8, v2, 16, 7
	v_cmp_ne_u32_e64 s[4:5], s29, v8
	v_mov_b32_e32 v7, 0x7f800001
	s_and_saveexec_b64 s[26:27], s[4:5]
	s_cbranch_execz .LBB401_967
; %bb.966:                              ;   in Loop: Header=BB401_683 Depth=1
	v_and_b32_e32 v7, 7, v6
	v_ffbh_u32_e32 v10, v7
	v_min_u32_e32 v10, 32, v10
	v_subrev_u32_e32 v22, 28, v10
	v_lshlrev_b64 v[22:23], v22, v[6:7]
	v_lshrrev_b32_e32 v9, 3, v8
	v_sub_u32_e32 v10, 29, v10
	v_and_b32_e32 v22, 7, v22
	v_cmp_gt_u32_e64 s[4:5], 8, v8
	v_cndmask_b32_e64 v8, v9, v10, s[4:5]
	v_cndmask_b32_e64 v7, v7, v22, s[4:5]
	v_lshlrev_b32_e32 v6, 24, v6
	v_bfrev_b32_e32 v9, 60
	v_lshlrev_b32_e32 v7, 20, v7
	v_and_b32_e32 v6, 0x80000000, v6
	v_lshl_add_u32 v8, v8, 23, v9
	v_or3_b32 v7, v6, v8, v7
.LBB401_967:                            ;   in Loop: Header=BB401_683 Depth=1
	s_or_b64 exec, exec, s[26:27]
.LBB401_968:                            ;   in Loop: Header=BB401_683 Depth=1
	s_or_b64 exec, exec, s[24:25]
.LBB401_969:                            ;   in Loop: Header=BB401_683 Depth=1
	s_or_b64 exec, exec, s[12:13]
	v_mul_f32_e32 v6, v34, v7
	v_and_b32_e32 v7, 0x7f800000, v6
	v_cmp_ne_u32_e64 s[4:5], s15, v7
                                        ; implicit-def: $vgpr7
	s_and_saveexec_b64 s[12:13], s[4:5]
	s_xor_b64 s[4:5], exec, s[12:13]
; %bb.970:                              ;   in Loop: Header=BB401_683 Depth=1
	v_bfe_u32 v7, v6, 16, 1
	v_add3_u32 v7, v6, v7, s21
                                        ; implicit-def: $vgpr6
; %bb.971:                              ;   in Loop: Header=BB401_683 Depth=1
	s_andn2_saveexec_b64 s[12:13], s[4:5]
; %bb.972:                              ;   in Loop: Header=BB401_683 Depth=1
	v_or_b32_e32 v7, 0x10000, v6
	v_cmp_eq_u32_sdwa s[4:5], v6, v11 src0_sel:WORD_0 src1_sel:DWORD
	v_cndmask_b32_e64 v7, v7, v6, s[4:5]
; %bb.973:                              ;   in Loop: Header=BB401_683 Depth=1
	s_or_b64 exec, exec, s[12:13]
	v_cmp_lt_u32_e64 s[4:5], s9, v2
	v_mov_b32_e32 v8, 0
	s_and_saveexec_b64 s[12:13], s[4:5]
	s_cbranch_execz .LBB401_979
; %bb.974:                              ;   in Loop: Header=BB401_683 Depth=1
	v_lshrrev_b32_e32 v6, 24, v2
	v_cmp_ne_u32_e64 s[4:5], s28, v6
	v_bfrev_b32_e32 v8, 1
	s_and_saveexec_b64 s[24:25], s[4:5]
	s_cbranch_execz .LBB401_978
; %bb.975:                              ;   in Loop: Header=BB401_683 Depth=1
	v_bfe_u32 v9, v2, 24, 7
	v_cmp_ne_u32_e64 s[4:5], s29, v9
	v_mov_b32_e32 v8, 0x7f800001
	s_and_saveexec_b64 s[26:27], s[4:5]
	s_cbranch_execz .LBB401_977
; %bb.976:                              ;   in Loop: Header=BB401_683 Depth=1
	v_and_b32_e32 v8, 7, v6
	v_ffbh_u32_e32 v22, v8
	v_min_u32_e32 v26, 32, v22
	v_subrev_u32_e32 v22, 28, v26
	v_lshlrev_b64 v[22:23], v22, v[6:7]
	v_lshrrev_b32_e32 v10, 3, v9
	v_sub_u32_e32 v23, 29, v26
	v_and_b32_e32 v22, 7, v22
	v_cmp_gt_u32_e64 s[4:5], 8, v9
	v_cndmask_b32_e64 v9, v10, v23, s[4:5]
	v_cndmask_b32_e64 v8, v8, v22, s[4:5]
	v_lshlrev_b32_e32 v6, 24, v6
	v_bfrev_b32_e32 v10, 60
	v_lshlrev_b32_e32 v8, 20, v8
	v_and_b32_e32 v6, 0x80000000, v6
	v_lshl_add_u32 v9, v9, 23, v10
	v_or3_b32 v8, v6, v9, v8
.LBB401_977:                            ;   in Loop: Header=BB401_683 Depth=1
	s_or_b64 exec, exec, s[26:27]
.LBB401_978:                            ;   in Loop: Header=BB401_683 Depth=1
	s_or_b64 exec, exec, s[24:25]
.LBB401_979:                            ;   in Loop: Header=BB401_683 Depth=1
	s_or_b64 exec, exec, s[12:13]
	v_mul_f32_e32 v6, v34, v8
	v_and_b32_e32 v8, 0x7f800000, v6
	v_cmp_ne_u32_e64 s[4:5], s15, v8
                                        ; implicit-def: $vgpr8
	s_and_saveexec_b64 s[12:13], s[4:5]
	s_xor_b64 s[4:5], exec, s[12:13]
; %bb.980:                              ;   in Loop: Header=BB401_683 Depth=1
	v_bfe_u32 v8, v6, 16, 1
	v_add3_u32 v8, v6, v8, s21
                                        ; implicit-def: $vgpr6
; %bb.981:                              ;   in Loop: Header=BB401_683 Depth=1
	s_andn2_saveexec_b64 s[12:13], s[4:5]
; %bb.982:                              ;   in Loop: Header=BB401_683 Depth=1
	v_or_b32_e32 v8, 0x10000, v6
	v_cmp_eq_u32_sdwa s[4:5], v6, v11 src0_sel:WORD_0 src1_sel:DWORD
	v_cndmask_b32_e64 v8, v8, v6, s[4:5]
; %bb.983:                              ;   in Loop: Header=BB401_683 Depth=1
	s_or_b64 exec, exec, s[12:13]
	v_mov_b32_e32 v10, v3
	v_cmp_ne_u16_sdwa s[4:5], v3, v11 src0_sel:BYTE_0 src1_sel:DWORD
	v_mov_b32_e32 v6, 0
	s_and_saveexec_b64 s[12:13], s[4:5]
	s_cbranch_execz .LBB401_989
; %bb.984:                              ;   in Loop: Header=BB401_683 Depth=1
	v_cmp_ne_u16_sdwa s[4:5], v3, s28 src0_sel:BYTE_0 src1_sel:DWORD
	v_bfrev_b32_e32 v6, 1
	s_and_saveexec_b64 s[24:25], s[4:5]
	s_cbranch_execz .LBB401_988
; %bb.985:                              ;   in Loop: Header=BB401_683 Depth=1
	v_and_b32_e32 v9, 0x7f, v3
	v_cmp_ne_u32_e64 s[4:5], s29, v9
	v_mov_b32_e32 v6, 0x7f800001
	s_and_saveexec_b64 s[26:27], s[4:5]
	s_cbranch_execz .LBB401_987
; %bb.986:                              ;   in Loop: Header=BB401_683 Depth=1
	v_and_b32_e32 v6, 7, v3
	v_ffbh_u32_e32 v6, v6
	v_min_u32_e32 v6, 32, v6
	v_subrev_u32_e32 v23, 28, v6
	v_cmp_gt_u32_e64 s[4:5], 8, v9
	v_lshrrev_b32_e32 v22, 3, v9
	v_sub_u32_e32 v6, 29, v6
	v_cndmask_b32_e64 v9, 0, v23, s[4:5]
	v_cndmask_b32_e64 v6, v22, v6, s[4:5]
	v_lshlrev_b64 v[22:23], v9, v[10:11]
	v_lshlrev_b32_e32 v9, 20, v22
	v_lshlrev_b32_e32 v22, 24, v10
	v_bfrev_b32_e32 v23, 60
	v_and_b32_e32 v9, 0x700000, v9
	v_and_b32_e32 v22, 0x80000000, v22
	v_lshl_add_u32 v6, v6, 23, v23
	v_or3_b32 v6, v22, v6, v9
.LBB401_987:                            ;   in Loop: Header=BB401_683 Depth=1
	s_or_b64 exec, exec, s[26:27]
.LBB401_988:                            ;   in Loop: Header=BB401_683 Depth=1
	s_or_b64 exec, exec, s[24:25]
.LBB401_989:                            ;   in Loop: Header=BB401_683 Depth=1
	s_or_b64 exec, exec, s[12:13]
	v_mul_f32_e32 v6, v34, v6
	v_and_b32_e32 v9, 0x7f800000, v6
	v_cmp_ne_u32_e64 s[4:5], s15, v9
                                        ; implicit-def: $vgpr9
	s_and_saveexec_b64 s[12:13], s[4:5]
	s_xor_b64 s[4:5], exec, s[12:13]
; %bb.990:                              ;   in Loop: Header=BB401_683 Depth=1
	v_bfe_u32 v9, v6, 16, 1
	v_add3_u32 v9, v6, v9, s21
                                        ; implicit-def: $vgpr6
; %bb.991:                              ;   in Loop: Header=BB401_683 Depth=1
	s_andn2_saveexec_b64 s[12:13], s[4:5]
; %bb.992:                              ;   in Loop: Header=BB401_683 Depth=1
	v_or_b32_e32 v9, 0x10000, v6
	v_cmp_eq_u32_sdwa s[4:5], v6, v11 src0_sel:WORD_0 src1_sel:DWORD
	v_cndmask_b32_e64 v9, v9, v6, s[4:5]
; %bb.993:                              ;   in Loop: Header=BB401_683 Depth=1
	s_or_b64 exec, exec, s[12:13]
	v_lshrrev_b16_e32 v6, 8, v10
	v_cmp_ne_u16_e64 s[4:5], 0, v6
	v_mov_b32_e32 v22, 0
	s_and_saveexec_b64 s[12:13], s[4:5]
	s_cbranch_execz .LBB401_999
; %bb.994:                              ;   in Loop: Header=BB401_683 Depth=1
	v_cmp_ne_u16_e64 s[4:5], s28, v6
	v_bfrev_b32_e32 v22, 1
	s_and_saveexec_b64 s[24:25], s[4:5]
	s_cbranch_execz .LBB401_998
; %bb.995:                              ;   in Loop: Header=BB401_683 Depth=1
	v_and_b32_e32 v23, 0x7f, v6
	v_cmp_ne_u32_e64 s[4:5], s29, v23
	v_mov_b32_e32 v22, 0x7f800001
	s_and_saveexec_b64 s[26:27], s[4:5]
	s_cbranch_execz .LBB401_997
; %bb.996:                              ;   in Loop: Header=BB401_683 Depth=1
	v_and_b32_e32 v22, 7, v6
	v_ffbh_u32_e32 v26, v22
	v_min_u32_e32 v29, 32, v26
	v_subrev_u32_e32 v26, 28, v29
	v_lshlrev_b64 v[26:27], v26, v[6:7]
	v_lshrrev_b32_e32 v28, 3, v23
	v_sub_u32_e32 v6, 29, v29
	v_and_b32_e32 v26, 7, v26
	v_cmp_gt_u32_e64 s[4:5], 8, v23
	v_cndmask_b32_e64 v6, v28, v6, s[4:5]
	v_cndmask_b32_e64 v22, v22, v26, s[4:5]
	v_lshlrev_b32_e32 v10, 16, v10
	v_bfrev_b32_e32 v23, 60
	v_lshlrev_b32_e32 v22, 20, v22
	v_and_b32_e32 v10, 0x80000000, v10
	v_lshl_add_u32 v6, v6, 23, v23
	v_or3_b32 v22, v10, v6, v22
.LBB401_997:                            ;   in Loop: Header=BB401_683 Depth=1
	s_or_b64 exec, exec, s[26:27]
.LBB401_998:                            ;   in Loop: Header=BB401_683 Depth=1
	s_or_b64 exec, exec, s[24:25]
.LBB401_999:                            ;   in Loop: Header=BB401_683 Depth=1
	s_or_b64 exec, exec, s[12:13]
	v_mul_f32_e32 v6, v34, v22
	v_and_b32_e32 v10, 0x7f800000, v6
	v_cmp_ne_u32_e64 s[4:5], s15, v10
                                        ; implicit-def: $vgpr10
	s_and_saveexec_b64 s[12:13], s[4:5]
	s_xor_b64 s[4:5], exec, s[12:13]
; %bb.1000:                             ;   in Loop: Header=BB401_683 Depth=1
	v_bfe_u32 v10, v6, 16, 1
	v_add3_u32 v10, v6, v10, s21
                                        ; implicit-def: $vgpr6
; %bb.1001:                             ;   in Loop: Header=BB401_683 Depth=1
	s_andn2_saveexec_b64 s[12:13], s[4:5]
; %bb.1002:                             ;   in Loop: Header=BB401_683 Depth=1
	v_or_b32_e32 v10, 0x10000, v6
	v_cmp_eq_u32_sdwa s[4:5], v6, v11 src0_sel:WORD_0 src1_sel:DWORD
	v_cndmask_b32_e64 v10, v10, v6, s[4:5]
; %bb.1003:                             ;   in Loop: Header=BB401_683 Depth=1
	s_or_b64 exec, exec, s[12:13]
	v_lshrrev_b32_e32 v6, 16, v3
	v_cmp_ne_u16_sdwa s[4:5], v6, v11 src0_sel:BYTE_0 src1_sel:DWORD
	v_mov_b32_e32 v22, 0
	s_and_saveexec_b64 s[12:13], s[4:5]
	s_cbranch_execz .LBB401_1009
; %bb.1004:                             ;   in Loop: Header=BB401_683 Depth=1
	v_cmp_ne_u16_sdwa s[4:5], v6, s28 src0_sel:BYTE_0 src1_sel:DWORD
	v_bfrev_b32_e32 v22, 1
	s_and_saveexec_b64 s[24:25], s[4:5]
	s_cbranch_execz .LBB401_1008
; %bb.1005:                             ;   in Loop: Header=BB401_683 Depth=1
	v_bfe_u32 v23, v3, 16, 7
	v_cmp_ne_u32_e64 s[4:5], s29, v23
	v_mov_b32_e32 v22, 0x7f800001
	s_and_saveexec_b64 s[26:27], s[4:5]
	s_cbranch_execz .LBB401_1007
; %bb.1006:                             ;   in Loop: Header=BB401_683 Depth=1
	v_and_b32_e32 v22, 7, v6
	v_ffbh_u32_e32 v26, v22
	v_min_u32_e32 v29, 32, v26
	v_subrev_u32_e32 v26, 28, v29
	v_lshlrev_b64 v[26:27], v26, v[6:7]
	v_lshrrev_b32_e32 v28, 3, v23
	v_sub_u32_e32 v27, 29, v29
	v_and_b32_e32 v26, 7, v26
	v_cmp_gt_u32_e64 s[4:5], 8, v23
	v_cndmask_b32_e64 v23, v28, v27, s[4:5]
	v_cndmask_b32_e64 v22, v22, v26, s[4:5]
	v_lshlrev_b32_e32 v6, 24, v6
	v_bfrev_b32_e32 v26, 60
	v_lshlrev_b32_e32 v22, 20, v22
	v_and_b32_e32 v6, 0x80000000, v6
	v_lshl_add_u32 v23, v23, 23, v26
	v_or3_b32 v22, v6, v23, v22
.LBB401_1007:                           ;   in Loop: Header=BB401_683 Depth=1
	s_or_b64 exec, exec, s[26:27]
.LBB401_1008:                           ;   in Loop: Header=BB401_683 Depth=1
	s_or_b64 exec, exec, s[24:25]
.LBB401_1009:                           ;   in Loop: Header=BB401_683 Depth=1
	s_or_b64 exec, exec, s[12:13]
	v_mul_f32_e32 v6, v34, v22
	v_and_b32_e32 v22, 0x7f800000, v6
	v_cmp_ne_u32_e64 s[4:5], s15, v22
                                        ; implicit-def: $vgpr22
	s_and_saveexec_b64 s[12:13], s[4:5]
	s_xor_b64 s[4:5], exec, s[12:13]
; %bb.1010:                             ;   in Loop: Header=BB401_683 Depth=1
	v_bfe_u32 v22, v6, 16, 1
	v_add3_u32 v22, v6, v22, s21
                                        ; implicit-def: $vgpr6
; %bb.1011:                             ;   in Loop: Header=BB401_683 Depth=1
	s_andn2_saveexec_b64 s[12:13], s[4:5]
; %bb.1012:                             ;   in Loop: Header=BB401_683 Depth=1
	v_or_b32_e32 v22, 0x10000, v6
	v_cmp_eq_u32_sdwa s[4:5], v6, v11 src0_sel:WORD_0 src1_sel:DWORD
	v_cndmask_b32_e64 v22, v22, v6, s[4:5]
; %bb.1013:                             ;   in Loop: Header=BB401_683 Depth=1
	s_or_b64 exec, exec, s[12:13]
	v_cmp_lt_u64_e64 s[4:5], s[8:9], v[2:3]
	v_mov_b32_e32 v6, 0
	s_and_saveexec_b64 s[12:13], s[4:5]
	s_cbranch_execz .LBB401_1019
; %bb.1014:                             ;   in Loop: Header=BB401_683 Depth=1
	v_lshrrev_b32_e32 v2, 24, v3
	v_cmp_ne_u32_e64 s[4:5], s28, v2
	v_bfrev_b32_e32 v6, 1
	s_and_saveexec_b64 s[24:25], s[4:5]
	s_cbranch_execz .LBB401_1018
; %bb.1015:                             ;   in Loop: Header=BB401_683 Depth=1
	v_bfe_u32 v3, v3, 24, 7
	v_cmp_ne_u32_e64 s[4:5], s29, v3
	v_mov_b32_e32 v6, 0x7f800001
	s_and_saveexec_b64 s[26:27], s[4:5]
	s_cbranch_execz .LBB401_1017
; %bb.1016:                             ;   in Loop: Header=BB401_683 Depth=1
	v_and_b32_e32 v6, 7, v2
	v_ffbh_u32_e32 v26, v6
	v_min_u32_e32 v28, 32, v26
	v_subrev_u32_e32 v26, 28, v28
	v_lshlrev_b64 v[26:27], v26, v[2:3]
	v_lshrrev_b32_e32 v23, 3, v3
	v_sub_u32_e32 v27, 29, v28
	v_and_b32_e32 v26, 7, v26
	v_cmp_gt_u32_e64 s[4:5], 8, v3
	v_cndmask_b32_e64 v3, v23, v27, s[4:5]
	v_cndmask_b32_e64 v6, v6, v26, s[4:5]
	v_lshlrev_b32_e32 v2, 24, v2
	v_bfrev_b32_e32 v23, 60
	v_lshlrev_b32_e32 v6, 20, v6
	v_and_b32_e32 v2, 0x80000000, v2
	v_lshl_add_u32 v3, v3, 23, v23
	v_or3_b32 v6, v2, v3, v6
.LBB401_1017:                           ;   in Loop: Header=BB401_683 Depth=1
	s_or_b64 exec, exec, s[26:27]
.LBB401_1018:                           ;   in Loop: Header=BB401_683 Depth=1
	s_or_b64 exec, exec, s[24:25]
.LBB401_1019:                           ;   in Loop: Header=BB401_683 Depth=1
	s_or_b64 exec, exec, s[12:13]
	v_mul_f32_e32 v3, v34, v6
	v_and_b32_e32 v2, 0x7f800000, v3
	v_cmp_ne_u32_e64 s[4:5], s15, v2
                                        ; implicit-def: $vgpr2
	s_and_saveexec_b64 s[12:13], s[4:5]
	s_xor_b64 s[4:5], exec, s[12:13]
; %bb.1020:                             ;   in Loop: Header=BB401_683 Depth=1
	v_bfe_u32 v2, v3, 16, 1
	v_add3_u32 v2, v3, v2, s21
                                        ; implicit-def: $vgpr3
; %bb.1021:                             ;   in Loop: Header=BB401_683 Depth=1
	s_andn2_saveexec_b64 s[12:13], s[4:5]
; %bb.1022:                             ;   in Loop: Header=BB401_683 Depth=1
	v_or_b32_e32 v2, 0x10000, v3
	v_cmp_eq_u32_sdwa s[4:5], v3, v11 src0_sel:WORD_0 src1_sel:DWORD
	v_cndmask_b32_e64 v2, v2, v3, s[4:5]
; %bb.1023:                             ;   in Loop: Header=BB401_683 Depth=1
	s_or_b64 exec, exec, s[12:13]
	v_lshrrev_b32_e32 v6, 16, v10
	v_lshrrev_b32_e32 v9, 16, v9
	;; [unrolled: 1-line block ×8, first 2 shown]
	s_and_saveexec_b64 s[12:13], vcc
	s_cbranch_execz .LBB401_1025
; %bb.1024:                             ;   in Loop: Header=BB401_683 Depth=1
	v_cmp_lt_i32_e64 s[4:5], v37, v32
	v_accvgpr_read_b32 v10, a26
	v_cndmask_b32_e64 v4, 0, v4, s[4:5]
	v_cmp_lt_i32_e64 s[4:5], v10, v32
	v_accvgpr_read_b32 v10, a25
	v_cndmask_b32_e64 v5, 0, v5, s[4:5]
	;; [unrolled: 3-line block ×6, first 2 shown]
	v_cmp_lt_i32_e64 s[4:5], v10, v32
	v_cndmask_b32_e64 v3, 0, v3, s[4:5]
	v_cmp_lt_i32_e64 s[4:5], v17, v32
	v_cndmask_b32_e64 v2, 0, v2, s[4:5]
.LBB401_1025:                           ;   in Loop: Header=BB401_683 Depth=1
	s_or_b64 exec, exec, s[12:13]
	v_lshlrev_b32_e32 v4, 16, v4
	v_mul_f32_e32 v4, v42, v4
	v_and_b32_e32 v10, 0x7f800000, v4
	v_cmp_ne_u32_e64 s[4:5], s15, v10
                                        ; implicit-def: $agpr0
	s_and_saveexec_b64 s[12:13], s[4:5]
	s_xor_b64 s[4:5], exec, s[12:13]
; %bb.1026:                             ;   in Loop: Header=BB401_683 Depth=1
	v_bfe_u32 v10, v4, 16, 1
	v_add3_u32 v4, v4, v10, s21
	v_accvgpr_write_b32 a0, v4
                                        ; implicit-def: $vgpr4
; %bb.1027:                             ;   in Loop: Header=BB401_683 Depth=1
	s_andn2_saveexec_b64 s[12:13], s[4:5]
; %bb.1028:                             ;   in Loop: Header=BB401_683 Depth=1
	v_or_b32_e32 v10, 0x10000, v4
	v_cmp_eq_u32_sdwa s[4:5], v4, v11 src0_sel:WORD_0 src1_sel:DWORD
	v_cndmask_b32_e64 v4, v10, v4, s[4:5]
	v_accvgpr_write_b32 a0, v4
; %bb.1029:                             ;   in Loop: Header=BB401_683 Depth=1
	s_or_b64 exec, exec, s[12:13]
	v_lshlrev_b32_e32 v4, 16, v5
	v_mul_f32_e32 v4, v43, v4
	v_and_b32_e32 v5, 0x7f800000, v4
	v_cmp_ne_u32_e64 s[4:5], s15, v5
                                        ; implicit-def: $agpr1
	s_and_saveexec_b64 s[12:13], s[4:5]
	s_xor_b64 s[4:5], exec, s[12:13]
; %bb.1030:                             ;   in Loop: Header=BB401_683 Depth=1
	v_bfe_u32 v5, v4, 16, 1
	v_add3_u32 v4, v4, v5, s21
	v_accvgpr_write_b32 a1, v4
                                        ; implicit-def: $vgpr4
; %bb.1031:                             ;   in Loop: Header=BB401_683 Depth=1
	s_andn2_saveexec_b64 s[12:13], s[4:5]
; %bb.1032:                             ;   in Loop: Header=BB401_683 Depth=1
	v_or_b32_e32 v5, 0x10000, v4
	v_cmp_eq_u32_sdwa s[4:5], v4, v11 src0_sel:WORD_0 src1_sel:DWORD
	v_cndmask_b32_e64 v4, v5, v4, s[4:5]
	v_accvgpr_write_b32 a1, v4
; %bb.1033:                             ;   in Loop: Header=BB401_683 Depth=1
	s_or_b64 exec, exec, s[12:13]
	v_lshlrev_b32_e32 v4, 16, v7
	v_mul_f32_e32 v4, v44, v4
	v_and_b32_e32 v5, 0x7f800000, v4
	v_cmp_ne_u32_e64 s[4:5], s15, v5
                                        ; implicit-def: $agpr2
	s_and_saveexec_b64 s[12:13], s[4:5]
	s_xor_b64 s[4:5], exec, s[12:13]
; %bb.1034:                             ;   in Loop: Header=BB401_683 Depth=1
	v_bfe_u32 v5, v4, 16, 1
	v_add3_u32 v4, v4, v5, s21
	v_accvgpr_write_b32 a2, v4
                                        ; implicit-def: $vgpr4
; %bb.1035:                             ;   in Loop: Header=BB401_683 Depth=1
	s_andn2_saveexec_b64 s[12:13], s[4:5]
; %bb.1036:                             ;   in Loop: Header=BB401_683 Depth=1
	v_or_b32_e32 v5, 0x10000, v4
	v_cmp_eq_u32_sdwa s[4:5], v4, v11 src0_sel:WORD_0 src1_sel:DWORD
	v_cndmask_b32_e64 v4, v5, v4, s[4:5]
	v_accvgpr_write_b32 a2, v4
; %bb.1037:                             ;   in Loop: Header=BB401_683 Depth=1
	s_or_b64 exec, exec, s[12:13]
	v_lshlrev_b32_e32 v4, 16, v8
	v_mul_f32_e32 v4, v45, v4
	v_and_b32_e32 v5, 0x7f800000, v4
	v_cmp_ne_u32_e64 s[4:5], s15, v5
                                        ; implicit-def: $agpr3
	s_and_saveexec_b64 s[12:13], s[4:5]
	s_xor_b64 s[4:5], exec, s[12:13]
; %bb.1038:                             ;   in Loop: Header=BB401_683 Depth=1
	v_bfe_u32 v5, v4, 16, 1
	v_add3_u32 v4, v4, v5, s21
	v_accvgpr_write_b32 a3, v4
                                        ; implicit-def: $vgpr4
; %bb.1039:                             ;   in Loop: Header=BB401_683 Depth=1
	s_andn2_saveexec_b64 s[12:13], s[4:5]
; %bb.1040:                             ;   in Loop: Header=BB401_683 Depth=1
	v_or_b32_e32 v5, 0x10000, v4
	v_cmp_eq_u32_sdwa s[4:5], v4, v11 src0_sel:WORD_0 src1_sel:DWORD
	v_cndmask_b32_e64 v4, v5, v4, s[4:5]
	v_accvgpr_write_b32 a3, v4
; %bb.1041:                             ;   in Loop: Header=BB401_683 Depth=1
	s_or_b64 exec, exec, s[12:13]
	v_lshlrev_b32_e32 v4, 16, v9
	v_mul_f32_e32 v4, v46, v4
	v_and_b32_e32 v5, 0x7f800000, v4
	v_cmp_ne_u32_e64 s[4:5], s15, v5
                                        ; implicit-def: $agpr35
	s_and_saveexec_b64 s[12:13], s[4:5]
	s_xor_b64 s[4:5], exec, s[12:13]
; %bb.1042:                             ;   in Loop: Header=BB401_683 Depth=1
	v_bfe_u32 v5, v4, 16, 1
	v_add3_u32 v4, v4, v5, s21
	v_accvgpr_write_b32 a35, v4
                                        ; implicit-def: $vgpr4
; %bb.1043:                             ;   in Loop: Header=BB401_683 Depth=1
	s_andn2_saveexec_b64 s[12:13], s[4:5]
; %bb.1044:                             ;   in Loop: Header=BB401_683 Depth=1
	v_or_b32_e32 v5, 0x10000, v4
	v_cmp_eq_u32_sdwa s[4:5], v4, v11 src0_sel:WORD_0 src1_sel:DWORD
	v_cndmask_b32_e64 v4, v5, v4, s[4:5]
	v_accvgpr_write_b32 a35, v4
; %bb.1045:                             ;   in Loop: Header=BB401_683 Depth=1
	s_or_b64 exec, exec, s[12:13]
	v_lshlrev_b32_e32 v4, 16, v6
	v_mul_f32_e32 v4, v47, v4
	v_and_b32_e32 v5, 0x7f800000, v4
	v_cmp_ne_u32_e64 s[4:5], s15, v5
                                        ; implicit-def: $agpr36
	s_and_saveexec_b64 s[12:13], s[4:5]
	s_xor_b64 s[4:5], exec, s[12:13]
; %bb.1046:                             ;   in Loop: Header=BB401_683 Depth=1
	v_bfe_u32 v5, v4, 16, 1
	v_add3_u32 v4, v4, v5, s21
	v_accvgpr_write_b32 a36, v4
                                        ; implicit-def: $vgpr4
; %bb.1047:                             ;   in Loop: Header=BB401_683 Depth=1
	s_andn2_saveexec_b64 s[12:13], s[4:5]
; %bb.1048:                             ;   in Loop: Header=BB401_683 Depth=1
	v_or_b32_e32 v5, 0x10000, v4
	v_cmp_eq_u32_sdwa s[4:5], v4, v11 src0_sel:WORD_0 src1_sel:DWORD
	v_cndmask_b32_e64 v4, v5, v4, s[4:5]
	v_accvgpr_write_b32 a36, v4
; %bb.1049:                             ;   in Loop: Header=BB401_683 Depth=1
	s_or_b64 exec, exec, s[12:13]
	v_lshlrev_b32_e32 v3, 16, v3
	v_mul_f32_e32 v3, v56, v3
	v_and_b32_e32 v4, 0x7f800000, v3
	v_cmp_ne_u32_e64 s[4:5], s15, v4
                                        ; implicit-def: $agpr37
	s_and_saveexec_b64 s[12:13], s[4:5]
	s_xor_b64 s[4:5], exec, s[12:13]
; %bb.1050:                             ;   in Loop: Header=BB401_683 Depth=1
	v_bfe_u32 v4, v3, 16, 1
	v_add3_u32 v3, v3, v4, s21
	v_accvgpr_write_b32 a37, v3
                                        ; implicit-def: $vgpr3
; %bb.1051:                             ;   in Loop: Header=BB401_683 Depth=1
	s_andn2_saveexec_b64 s[12:13], s[4:5]
; %bb.1052:                             ;   in Loop: Header=BB401_683 Depth=1
	v_or_b32_e32 v4, 0x10000, v3
	v_cmp_eq_u32_sdwa s[4:5], v3, v11 src0_sel:WORD_0 src1_sel:DWORD
	v_cndmask_b32_e64 v3, v4, v3, s[4:5]
	v_accvgpr_write_b32 a37, v3
; %bb.1053:                             ;   in Loop: Header=BB401_683 Depth=1
	s_or_b64 exec, exec, s[12:13]
	v_lshlrev_b32_e32 v2, 16, v2
	v_mul_f32_e32 v2, v57, v2
	v_and_b32_e32 v3, 0x7f800000, v2
	v_cmp_ne_u32_e64 s[4:5], s15, v3
                                        ; implicit-def: $agpr38
	s_and_saveexec_b64 s[12:13], s[4:5]
	s_xor_b64 s[4:5], exec, s[12:13]
; %bb.1054:                             ;   in Loop: Header=BB401_683 Depth=1
	v_bfe_u32 v3, v2, 16, 1
	v_add3_u32 v2, v2, v3, s21
	v_accvgpr_write_b32 a38, v2
                                        ; implicit-def: $vgpr2
; %bb.1055:                             ;   in Loop: Header=BB401_683 Depth=1
	s_andn2_saveexec_b64 s[12:13], s[4:5]
; %bb.1056:                             ;   in Loop: Header=BB401_683 Depth=1
	v_or_b32_e32 v3, 0x10000, v2
	v_cmp_eq_u32_sdwa s[4:5], v2, v11 src0_sel:WORD_0 src1_sel:DWORD
	v_cndmask_b32_e64 v2, v3, v2, s[4:5]
	v_accvgpr_write_b32 a38, v2
; %bb.1057:                             ;   in Loop: Header=BB401_683 Depth=1
	s_or_b64 exec, exec, s[12:13]
	flat_load_dwordx2 v[2:3], v[0:1] offset:1536
	v_mov_b32_e32 v4, 0
	s_waitcnt vmcnt(0) lgkmcnt(0)
	v_cmp_ne_u16_sdwa s[4:5], v2, v11 src0_sel:BYTE_0 src1_sel:DWORD
	s_and_saveexec_b64 s[12:13], s[4:5]
	s_cbranch_execz .LBB401_1063
; %bb.1058:                             ;   in Loop: Header=BB401_683 Depth=1
	v_cmp_ne_u16_sdwa s[4:5], v2, s28 src0_sel:BYTE_0 src1_sel:DWORD
	v_bfrev_b32_e32 v4, 1
	s_and_saveexec_b64 s[24:25], s[4:5]
	s_cbranch_execz .LBB401_1062
; %bb.1059:                             ;   in Loop: Header=BB401_683 Depth=1
	v_and_b32_e32 v5, 0x7f, v2
	v_cmp_ne_u32_e64 s[4:5], s29, v5
	v_mov_b32_e32 v4, 0x7f800001
	s_and_saveexec_b64 s[26:27], s[4:5]
	s_cbranch_execz .LBB401_1061
; %bb.1060:                             ;   in Loop: Header=BB401_683 Depth=1
	v_and_b32_e32 v4, 7, v2
	v_ffbh_u32_e32 v4, v4
	v_min_u32_e32 v4, 32, v4
	v_lshrrev_b32_e32 v6, 3, v5
	v_subrev_u32_e32 v7, 28, v4
	v_sub_u32_e32 v4, 29, v4
	v_cmp_gt_u32_e64 s[4:5], 8, v5
	v_cndmask_b32_e64 v6, v6, v4, s[4:5]
	v_cndmask_b32_e64 v4, 0, v7, s[4:5]
	v_lshlrev_b64 v[4:5], v4, v[2:3]
	v_lshlrev_b32_e32 v4, 20, v4
	v_lshlrev_b32_e32 v5, 24, v2
	v_bfrev_b32_e32 v7, 60
	v_and_b32_e32 v4, 0x700000, v4
	v_and_b32_e32 v5, 0x80000000, v5
	v_lshl_add_u32 v6, v6, 23, v7
	v_or3_b32 v4, v5, v6, v4
.LBB401_1061:                           ;   in Loop: Header=BB401_683 Depth=1
	s_or_b64 exec, exec, s[26:27]
.LBB401_1062:                           ;   in Loop: Header=BB401_683 Depth=1
	s_or_b64 exec, exec, s[24:25]
.LBB401_1063:                           ;   in Loop: Header=BB401_683 Depth=1
	s_or_b64 exec, exec, s[12:13]
	v_mul_f32_e32 v5, v34, v4
	v_and_b32_e32 v4, 0x7f800000, v5
	v_cmp_ne_u32_e64 s[4:5], s15, v4
                                        ; implicit-def: $vgpr4
	s_and_saveexec_b64 s[12:13], s[4:5]
	s_xor_b64 s[4:5], exec, s[12:13]
; %bb.1064:                             ;   in Loop: Header=BB401_683 Depth=1
	v_bfe_u32 v4, v5, 16, 1
	v_add3_u32 v4, v5, v4, s21
                                        ; implicit-def: $vgpr5
; %bb.1065:                             ;   in Loop: Header=BB401_683 Depth=1
	s_andn2_saveexec_b64 s[12:13], s[4:5]
; %bb.1066:                             ;   in Loop: Header=BB401_683 Depth=1
	v_or_b32_e32 v4, 0x10000, v5
	v_cmp_eq_u32_sdwa s[4:5], v5, v11 src0_sel:WORD_0 src1_sel:DWORD
	v_cndmask_b32_e64 v4, v4, v5, s[4:5]
; %bb.1067:                             ;   in Loop: Header=BB401_683 Depth=1
	s_or_b64 exec, exec, s[12:13]
	v_lshrrev_b16_e32 v6, 8, v2
	v_cmp_ne_u16_e64 s[4:5], 0, v6
	v_mov_b32_e32 v5, 0
	s_and_saveexec_b64 s[12:13], s[4:5]
	s_cbranch_execz .LBB401_1073
; %bb.1068:                             ;   in Loop: Header=BB401_683 Depth=1
	v_cmp_ne_u16_e64 s[4:5], s28, v6
	v_bfrev_b32_e32 v5, 1
	s_and_saveexec_b64 s[24:25], s[4:5]
	s_cbranch_execz .LBB401_1072
; %bb.1069:                             ;   in Loop: Header=BB401_683 Depth=1
	v_and_b32_e32 v7, 0x7f, v6
	v_cmp_ne_u32_e64 s[4:5], s29, v7
	v_mov_b32_e32 v5, 0x7f800001
	s_and_saveexec_b64 s[26:27], s[4:5]
	s_cbranch_execz .LBB401_1071
; %bb.1070:                             ;   in Loop: Header=BB401_683 Depth=1
	v_and_b32_e32 v5, 7, v6
	v_ffbh_u32_e32 v8, v5
	v_min_u32_e32 v22, 32, v8
	v_subrev_u32_e32 v8, 28, v22
	v_lshlrev_b64 v[8:9], v8, v[6:7]
	v_lshrrev_b32_e32 v10, 3, v7
	v_sub_u32_e32 v6, 29, v22
	v_and_b32_e32 v8, 7, v8
	v_cmp_gt_u32_e64 s[4:5], 8, v7
	v_cndmask_b32_e64 v6, v10, v6, s[4:5]
	v_cndmask_b32_e64 v5, v5, v8, s[4:5]
	v_lshlrev_b32_e32 v7, 16, v2
	v_bfrev_b32_e32 v8, 60
	v_lshlrev_b32_e32 v5, 20, v5
	v_and_b32_e32 v7, 0x80000000, v7
	v_lshl_add_u32 v6, v6, 23, v8
	v_or3_b32 v5, v7, v6, v5
.LBB401_1071:                           ;   in Loop: Header=BB401_683 Depth=1
	s_or_b64 exec, exec, s[26:27]
.LBB401_1072:                           ;   in Loop: Header=BB401_683 Depth=1
	s_or_b64 exec, exec, s[24:25]
.LBB401_1073:                           ;   in Loop: Header=BB401_683 Depth=1
	s_or_b64 exec, exec, s[12:13]
	v_mul_f32_e32 v6, v34, v5
	v_and_b32_e32 v5, 0x7f800000, v6
	v_cmp_ne_u32_e64 s[4:5], s15, v5
                                        ; implicit-def: $vgpr5
	s_and_saveexec_b64 s[12:13], s[4:5]
	s_xor_b64 s[4:5], exec, s[12:13]
; %bb.1074:                             ;   in Loop: Header=BB401_683 Depth=1
	v_bfe_u32 v5, v6, 16, 1
	v_add3_u32 v5, v6, v5, s21
                                        ; implicit-def: $vgpr6
; %bb.1075:                             ;   in Loop: Header=BB401_683 Depth=1
	s_andn2_saveexec_b64 s[12:13], s[4:5]
; %bb.1076:                             ;   in Loop: Header=BB401_683 Depth=1
	v_or_b32_e32 v5, 0x10000, v6
	v_cmp_eq_u32_sdwa s[4:5], v6, v11 src0_sel:WORD_0 src1_sel:DWORD
	v_cndmask_b32_e64 v5, v5, v6, s[4:5]
; %bb.1077:                             ;   in Loop: Header=BB401_683 Depth=1
	s_or_b64 exec, exec, s[12:13]
	v_lshrrev_b32_e32 v6, 16, v2
	v_cmp_ne_u16_sdwa s[4:5], v6, v11 src0_sel:BYTE_0 src1_sel:DWORD
	v_mov_b32_e32 v7, 0
	s_and_saveexec_b64 s[12:13], s[4:5]
	s_cbranch_execz .LBB401_1083
; %bb.1078:                             ;   in Loop: Header=BB401_683 Depth=1
	v_cmp_ne_u16_sdwa s[4:5], v6, s28 src0_sel:BYTE_0 src1_sel:DWORD
	v_bfrev_b32_e32 v7, 1
	s_and_saveexec_b64 s[24:25], s[4:5]
	s_cbranch_execz .LBB401_1082
; %bb.1079:                             ;   in Loop: Header=BB401_683 Depth=1
	v_bfe_u32 v8, v2, 16, 7
	v_cmp_ne_u32_e64 s[4:5], s29, v8
	v_mov_b32_e32 v7, 0x7f800001
	s_and_saveexec_b64 s[26:27], s[4:5]
	s_cbranch_execz .LBB401_1081
; %bb.1080:                             ;   in Loop: Header=BB401_683 Depth=1
	v_and_b32_e32 v7, 7, v6
	v_ffbh_u32_e32 v10, v7
	v_min_u32_e32 v10, 32, v10
	v_subrev_u32_e32 v22, 28, v10
	v_lshlrev_b64 v[22:23], v22, v[6:7]
	v_lshrrev_b32_e32 v9, 3, v8
	v_sub_u32_e32 v10, 29, v10
	v_and_b32_e32 v22, 7, v22
	v_cmp_gt_u32_e64 s[4:5], 8, v8
	v_cndmask_b32_e64 v8, v9, v10, s[4:5]
	v_cndmask_b32_e64 v7, v7, v22, s[4:5]
	v_lshlrev_b32_e32 v6, 24, v6
	v_bfrev_b32_e32 v9, 60
	v_lshlrev_b32_e32 v7, 20, v7
	v_and_b32_e32 v6, 0x80000000, v6
	v_lshl_add_u32 v8, v8, 23, v9
	v_or3_b32 v7, v6, v8, v7
.LBB401_1081:                           ;   in Loop: Header=BB401_683 Depth=1
	s_or_b64 exec, exec, s[26:27]
.LBB401_1082:                           ;   in Loop: Header=BB401_683 Depth=1
	s_or_b64 exec, exec, s[24:25]
.LBB401_1083:                           ;   in Loop: Header=BB401_683 Depth=1
	s_or_b64 exec, exec, s[12:13]
	v_mul_f32_e32 v6, v34, v7
	v_and_b32_e32 v7, 0x7f800000, v6
	v_cmp_ne_u32_e64 s[4:5], s15, v7
                                        ; implicit-def: $vgpr7
	s_and_saveexec_b64 s[12:13], s[4:5]
	s_xor_b64 s[4:5], exec, s[12:13]
; %bb.1084:                             ;   in Loop: Header=BB401_683 Depth=1
	v_bfe_u32 v7, v6, 16, 1
	v_add3_u32 v7, v6, v7, s21
                                        ; implicit-def: $vgpr6
; %bb.1085:                             ;   in Loop: Header=BB401_683 Depth=1
	s_andn2_saveexec_b64 s[12:13], s[4:5]
; %bb.1086:                             ;   in Loop: Header=BB401_683 Depth=1
	v_or_b32_e32 v7, 0x10000, v6
	v_cmp_eq_u32_sdwa s[4:5], v6, v11 src0_sel:WORD_0 src1_sel:DWORD
	v_cndmask_b32_e64 v7, v7, v6, s[4:5]
; %bb.1087:                             ;   in Loop: Header=BB401_683 Depth=1
	s_or_b64 exec, exec, s[12:13]
	v_cmp_lt_u32_e64 s[4:5], s9, v2
	v_mov_b32_e32 v8, 0
	s_and_saveexec_b64 s[12:13], s[4:5]
	s_cbranch_execz .LBB401_1093
; %bb.1088:                             ;   in Loop: Header=BB401_683 Depth=1
	v_lshrrev_b32_e32 v6, 24, v2
	v_cmp_ne_u32_e64 s[4:5], s28, v6
	v_bfrev_b32_e32 v8, 1
	s_and_saveexec_b64 s[24:25], s[4:5]
	s_cbranch_execz .LBB401_1092
; %bb.1089:                             ;   in Loop: Header=BB401_683 Depth=1
	v_bfe_u32 v9, v2, 24, 7
	v_cmp_ne_u32_e64 s[4:5], s29, v9
	v_mov_b32_e32 v8, 0x7f800001
	s_and_saveexec_b64 s[26:27], s[4:5]
	s_cbranch_execz .LBB401_1091
; %bb.1090:                             ;   in Loop: Header=BB401_683 Depth=1
	v_and_b32_e32 v8, 7, v6
	v_ffbh_u32_e32 v22, v8
	v_min_u32_e32 v26, 32, v22
	v_subrev_u32_e32 v22, 28, v26
	v_lshlrev_b64 v[22:23], v22, v[6:7]
	v_lshrrev_b32_e32 v10, 3, v9
	v_sub_u32_e32 v23, 29, v26
	v_and_b32_e32 v22, 7, v22
	v_cmp_gt_u32_e64 s[4:5], 8, v9
	v_cndmask_b32_e64 v9, v10, v23, s[4:5]
	v_cndmask_b32_e64 v8, v8, v22, s[4:5]
	v_lshlrev_b32_e32 v6, 24, v6
	v_bfrev_b32_e32 v10, 60
	v_lshlrev_b32_e32 v8, 20, v8
	v_and_b32_e32 v6, 0x80000000, v6
	v_lshl_add_u32 v9, v9, 23, v10
	v_or3_b32 v8, v6, v9, v8
.LBB401_1091:                           ;   in Loop: Header=BB401_683 Depth=1
	s_or_b64 exec, exec, s[26:27]
.LBB401_1092:                           ;   in Loop: Header=BB401_683 Depth=1
	s_or_b64 exec, exec, s[24:25]
.LBB401_1093:                           ;   in Loop: Header=BB401_683 Depth=1
	s_or_b64 exec, exec, s[12:13]
	v_mul_f32_e32 v6, v34, v8
	v_and_b32_e32 v8, 0x7f800000, v6
	v_cmp_ne_u32_e64 s[4:5], s15, v8
                                        ; implicit-def: $vgpr8
	s_and_saveexec_b64 s[12:13], s[4:5]
	s_xor_b64 s[4:5], exec, s[12:13]
; %bb.1094:                             ;   in Loop: Header=BB401_683 Depth=1
	v_bfe_u32 v8, v6, 16, 1
	v_add3_u32 v8, v6, v8, s21
                                        ; implicit-def: $vgpr6
; %bb.1095:                             ;   in Loop: Header=BB401_683 Depth=1
	s_andn2_saveexec_b64 s[12:13], s[4:5]
; %bb.1096:                             ;   in Loop: Header=BB401_683 Depth=1
	v_or_b32_e32 v8, 0x10000, v6
	v_cmp_eq_u32_sdwa s[4:5], v6, v11 src0_sel:WORD_0 src1_sel:DWORD
	v_cndmask_b32_e64 v8, v8, v6, s[4:5]
; %bb.1097:                             ;   in Loop: Header=BB401_683 Depth=1
	s_or_b64 exec, exec, s[12:13]
	v_mov_b32_e32 v10, v3
	v_cmp_ne_u16_sdwa s[4:5], v3, v11 src0_sel:BYTE_0 src1_sel:DWORD
	v_mov_b32_e32 v6, 0
	s_and_saveexec_b64 s[12:13], s[4:5]
	s_cbranch_execz .LBB401_1103
; %bb.1098:                             ;   in Loop: Header=BB401_683 Depth=1
	v_cmp_ne_u16_sdwa s[4:5], v3, s28 src0_sel:BYTE_0 src1_sel:DWORD
	v_bfrev_b32_e32 v6, 1
	s_and_saveexec_b64 s[24:25], s[4:5]
	s_cbranch_execz .LBB401_1102
; %bb.1099:                             ;   in Loop: Header=BB401_683 Depth=1
	v_and_b32_e32 v9, 0x7f, v3
	v_cmp_ne_u32_e64 s[4:5], s29, v9
	v_mov_b32_e32 v6, 0x7f800001
	s_and_saveexec_b64 s[26:27], s[4:5]
	s_cbranch_execz .LBB401_1101
; %bb.1100:                             ;   in Loop: Header=BB401_683 Depth=1
	v_and_b32_e32 v6, 7, v3
	v_ffbh_u32_e32 v6, v6
	v_min_u32_e32 v6, 32, v6
	v_subrev_u32_e32 v23, 28, v6
	v_cmp_gt_u32_e64 s[4:5], 8, v9
	v_lshrrev_b32_e32 v22, 3, v9
	v_sub_u32_e32 v6, 29, v6
	v_cndmask_b32_e64 v9, 0, v23, s[4:5]
	v_cndmask_b32_e64 v6, v22, v6, s[4:5]
	v_lshlrev_b64 v[22:23], v9, v[10:11]
	v_lshlrev_b32_e32 v9, 20, v22
	v_lshlrev_b32_e32 v22, 24, v10
	v_bfrev_b32_e32 v23, 60
	v_and_b32_e32 v9, 0x700000, v9
	v_and_b32_e32 v22, 0x80000000, v22
	v_lshl_add_u32 v6, v6, 23, v23
	v_or3_b32 v6, v22, v6, v9
.LBB401_1101:                           ;   in Loop: Header=BB401_683 Depth=1
	s_or_b64 exec, exec, s[26:27]
.LBB401_1102:                           ;   in Loop: Header=BB401_683 Depth=1
	s_or_b64 exec, exec, s[24:25]
.LBB401_1103:                           ;   in Loop: Header=BB401_683 Depth=1
	s_or_b64 exec, exec, s[12:13]
	v_mul_f32_e32 v6, v34, v6
	v_and_b32_e32 v9, 0x7f800000, v6
	v_cmp_ne_u32_e64 s[4:5], s15, v9
                                        ; implicit-def: $vgpr9
	s_and_saveexec_b64 s[12:13], s[4:5]
	s_xor_b64 s[4:5], exec, s[12:13]
; %bb.1104:                             ;   in Loop: Header=BB401_683 Depth=1
	v_bfe_u32 v9, v6, 16, 1
	v_add3_u32 v9, v6, v9, s21
                                        ; implicit-def: $vgpr6
; %bb.1105:                             ;   in Loop: Header=BB401_683 Depth=1
	s_andn2_saveexec_b64 s[12:13], s[4:5]
; %bb.1106:                             ;   in Loop: Header=BB401_683 Depth=1
	v_or_b32_e32 v9, 0x10000, v6
	v_cmp_eq_u32_sdwa s[4:5], v6, v11 src0_sel:WORD_0 src1_sel:DWORD
	v_cndmask_b32_e64 v9, v9, v6, s[4:5]
; %bb.1107:                             ;   in Loop: Header=BB401_683 Depth=1
	s_or_b64 exec, exec, s[12:13]
	v_lshrrev_b16_e32 v6, 8, v10
	v_cmp_ne_u16_e64 s[4:5], 0, v6
	v_mov_b32_e32 v22, 0
	s_and_saveexec_b64 s[12:13], s[4:5]
	s_cbranch_execz .LBB401_1113
; %bb.1108:                             ;   in Loop: Header=BB401_683 Depth=1
	v_cmp_ne_u16_e64 s[4:5], s28, v6
	v_bfrev_b32_e32 v22, 1
	s_and_saveexec_b64 s[24:25], s[4:5]
	s_cbranch_execz .LBB401_1112
; %bb.1109:                             ;   in Loop: Header=BB401_683 Depth=1
	v_and_b32_e32 v23, 0x7f, v6
	v_cmp_ne_u32_e64 s[4:5], s29, v23
	v_mov_b32_e32 v22, 0x7f800001
	s_and_saveexec_b64 s[26:27], s[4:5]
	s_cbranch_execz .LBB401_1111
; %bb.1110:                             ;   in Loop: Header=BB401_683 Depth=1
	v_and_b32_e32 v22, 7, v6
	v_ffbh_u32_e32 v26, v22
	v_min_u32_e32 v29, 32, v26
	v_subrev_u32_e32 v26, 28, v29
	v_lshlrev_b64 v[26:27], v26, v[6:7]
	v_lshrrev_b32_e32 v28, 3, v23
	v_sub_u32_e32 v6, 29, v29
	v_and_b32_e32 v26, 7, v26
	v_cmp_gt_u32_e64 s[4:5], 8, v23
	v_cndmask_b32_e64 v6, v28, v6, s[4:5]
	v_cndmask_b32_e64 v22, v22, v26, s[4:5]
	v_lshlrev_b32_e32 v10, 16, v10
	v_bfrev_b32_e32 v23, 60
	v_lshlrev_b32_e32 v22, 20, v22
	v_and_b32_e32 v10, 0x80000000, v10
	v_lshl_add_u32 v6, v6, 23, v23
	v_or3_b32 v22, v10, v6, v22
.LBB401_1111:                           ;   in Loop: Header=BB401_683 Depth=1
	s_or_b64 exec, exec, s[26:27]
.LBB401_1112:                           ;   in Loop: Header=BB401_683 Depth=1
	s_or_b64 exec, exec, s[24:25]
.LBB401_1113:                           ;   in Loop: Header=BB401_683 Depth=1
	s_or_b64 exec, exec, s[12:13]
	v_mul_f32_e32 v6, v34, v22
	v_and_b32_e32 v10, 0x7f800000, v6
	v_cmp_ne_u32_e64 s[4:5], s15, v10
                                        ; implicit-def: $vgpr10
	s_and_saveexec_b64 s[12:13], s[4:5]
	s_xor_b64 s[4:5], exec, s[12:13]
; %bb.1114:                             ;   in Loop: Header=BB401_683 Depth=1
	v_bfe_u32 v10, v6, 16, 1
	v_add3_u32 v10, v6, v10, s21
                                        ; implicit-def: $vgpr6
; %bb.1115:                             ;   in Loop: Header=BB401_683 Depth=1
	s_andn2_saveexec_b64 s[12:13], s[4:5]
; %bb.1116:                             ;   in Loop: Header=BB401_683 Depth=1
	v_or_b32_e32 v10, 0x10000, v6
	v_cmp_eq_u32_sdwa s[4:5], v6, v11 src0_sel:WORD_0 src1_sel:DWORD
	v_cndmask_b32_e64 v10, v10, v6, s[4:5]
; %bb.1117:                             ;   in Loop: Header=BB401_683 Depth=1
	s_or_b64 exec, exec, s[12:13]
	v_lshrrev_b32_e32 v6, 16, v3
	v_cmp_ne_u16_sdwa s[4:5], v6, v11 src0_sel:BYTE_0 src1_sel:DWORD
	v_mov_b32_e32 v22, 0
	s_and_saveexec_b64 s[12:13], s[4:5]
	s_cbranch_execz .LBB401_1123
; %bb.1118:                             ;   in Loop: Header=BB401_683 Depth=1
	v_cmp_ne_u16_sdwa s[4:5], v6, s28 src0_sel:BYTE_0 src1_sel:DWORD
	v_bfrev_b32_e32 v22, 1
	s_and_saveexec_b64 s[24:25], s[4:5]
	s_cbranch_execz .LBB401_1122
; %bb.1119:                             ;   in Loop: Header=BB401_683 Depth=1
	v_bfe_u32 v23, v3, 16, 7
	v_cmp_ne_u32_e64 s[4:5], s29, v23
	v_mov_b32_e32 v22, 0x7f800001
	s_and_saveexec_b64 s[26:27], s[4:5]
	s_cbranch_execz .LBB401_1121
; %bb.1120:                             ;   in Loop: Header=BB401_683 Depth=1
	v_and_b32_e32 v22, 7, v6
	v_ffbh_u32_e32 v26, v22
	v_min_u32_e32 v29, 32, v26
	v_subrev_u32_e32 v26, 28, v29
	v_lshlrev_b64 v[26:27], v26, v[6:7]
	v_lshrrev_b32_e32 v28, 3, v23
	v_sub_u32_e32 v27, 29, v29
	v_and_b32_e32 v26, 7, v26
	v_cmp_gt_u32_e64 s[4:5], 8, v23
	v_cndmask_b32_e64 v23, v28, v27, s[4:5]
	v_cndmask_b32_e64 v22, v22, v26, s[4:5]
	v_lshlrev_b32_e32 v6, 24, v6
	v_bfrev_b32_e32 v26, 60
	v_lshlrev_b32_e32 v22, 20, v22
	v_and_b32_e32 v6, 0x80000000, v6
	v_lshl_add_u32 v23, v23, 23, v26
	v_or3_b32 v22, v6, v23, v22
.LBB401_1121:                           ;   in Loop: Header=BB401_683 Depth=1
	s_or_b64 exec, exec, s[26:27]
.LBB401_1122:                           ;   in Loop: Header=BB401_683 Depth=1
	s_or_b64 exec, exec, s[24:25]
.LBB401_1123:                           ;   in Loop: Header=BB401_683 Depth=1
	s_or_b64 exec, exec, s[12:13]
	v_mul_f32_e32 v6, v34, v22
	v_and_b32_e32 v22, 0x7f800000, v6
	v_cmp_ne_u32_e64 s[4:5], s15, v22
                                        ; implicit-def: $vgpr22
	s_and_saveexec_b64 s[12:13], s[4:5]
	s_xor_b64 s[4:5], exec, s[12:13]
; %bb.1124:                             ;   in Loop: Header=BB401_683 Depth=1
	v_bfe_u32 v22, v6, 16, 1
	v_add3_u32 v22, v6, v22, s21
                                        ; implicit-def: $vgpr6
; %bb.1125:                             ;   in Loop: Header=BB401_683 Depth=1
	s_andn2_saveexec_b64 s[12:13], s[4:5]
; %bb.1126:                             ;   in Loop: Header=BB401_683 Depth=1
	v_or_b32_e32 v22, 0x10000, v6
	v_cmp_eq_u32_sdwa s[4:5], v6, v11 src0_sel:WORD_0 src1_sel:DWORD
	v_cndmask_b32_e64 v22, v22, v6, s[4:5]
; %bb.1127:                             ;   in Loop: Header=BB401_683 Depth=1
	s_or_b64 exec, exec, s[12:13]
	v_cmp_lt_u64_e64 s[4:5], s[8:9], v[2:3]
	v_mov_b32_e32 v6, 0
	s_and_saveexec_b64 s[12:13], s[4:5]
	s_cbranch_execz .LBB401_1133
; %bb.1128:                             ;   in Loop: Header=BB401_683 Depth=1
	v_lshrrev_b32_e32 v2, 24, v3
	v_cmp_ne_u32_e64 s[4:5], s28, v2
	v_bfrev_b32_e32 v6, 1
	s_and_saveexec_b64 s[24:25], s[4:5]
	s_cbranch_execz .LBB401_1132
; %bb.1129:                             ;   in Loop: Header=BB401_683 Depth=1
	v_bfe_u32 v3, v3, 24, 7
	v_cmp_ne_u32_e64 s[4:5], s29, v3
	v_mov_b32_e32 v6, 0x7f800001
	s_and_saveexec_b64 s[26:27], s[4:5]
	s_cbranch_execz .LBB401_1131
; %bb.1130:                             ;   in Loop: Header=BB401_683 Depth=1
	v_and_b32_e32 v6, 7, v2
	v_ffbh_u32_e32 v26, v6
	v_min_u32_e32 v28, 32, v26
	v_subrev_u32_e32 v26, 28, v28
	v_lshlrev_b64 v[26:27], v26, v[2:3]
	v_lshrrev_b32_e32 v23, 3, v3
	v_sub_u32_e32 v27, 29, v28
	v_and_b32_e32 v26, 7, v26
	v_cmp_gt_u32_e64 s[4:5], 8, v3
	v_cndmask_b32_e64 v3, v23, v27, s[4:5]
	v_cndmask_b32_e64 v6, v6, v26, s[4:5]
	v_lshlrev_b32_e32 v2, 24, v2
	v_bfrev_b32_e32 v23, 60
	v_lshlrev_b32_e32 v6, 20, v6
	v_and_b32_e32 v2, 0x80000000, v2
	v_lshl_add_u32 v3, v3, 23, v23
	v_or3_b32 v6, v2, v3, v6
.LBB401_1131:                           ;   in Loop: Header=BB401_683 Depth=1
	s_or_b64 exec, exec, s[26:27]
.LBB401_1132:                           ;   in Loop: Header=BB401_683 Depth=1
	s_or_b64 exec, exec, s[24:25]
.LBB401_1133:                           ;   in Loop: Header=BB401_683 Depth=1
	s_or_b64 exec, exec, s[12:13]
	v_mul_f32_e32 v3, v34, v6
	v_and_b32_e32 v2, 0x7f800000, v3
	v_cmp_ne_u32_e64 s[4:5], s15, v2
                                        ; implicit-def: $vgpr2
	s_and_saveexec_b64 s[12:13], s[4:5]
	s_xor_b64 s[4:5], exec, s[12:13]
; %bb.1134:                             ;   in Loop: Header=BB401_683 Depth=1
	v_bfe_u32 v2, v3, 16, 1
	v_add3_u32 v2, v3, v2, s21
                                        ; implicit-def: $vgpr3
; %bb.1135:                             ;   in Loop: Header=BB401_683 Depth=1
	s_andn2_saveexec_b64 s[12:13], s[4:5]
; %bb.1136:                             ;   in Loop: Header=BB401_683 Depth=1
	v_or_b32_e32 v2, 0x10000, v3
	v_cmp_eq_u32_sdwa s[4:5], v3, v11 src0_sel:WORD_0 src1_sel:DWORD
	v_cndmask_b32_e64 v2, v2, v3, s[4:5]
; %bb.1137:                             ;   in Loop: Header=BB401_683 Depth=1
	s_or_b64 exec, exec, s[12:13]
	v_lshrrev_b32_e32 v6, 16, v10
	v_lshrrev_b32_e32 v9, 16, v9
	;; [unrolled: 1-line block ×8, first 2 shown]
	s_and_saveexec_b64 s[12:13], vcc
	s_cbranch_execz .LBB401_1139
; %bb.1138:                             ;   in Loop: Header=BB401_683 Depth=1
	v_cmp_lt_i32_e64 s[4:5], v37, v32
	v_accvgpr_read_b32 v10, a26
	v_cndmask_b32_e64 v4, 0, v4, s[4:5]
	v_cmp_lt_i32_e64 s[4:5], v10, v32
	v_accvgpr_read_b32 v10, a25
	v_cndmask_b32_e64 v5, 0, v5, s[4:5]
	;; [unrolled: 3-line block ×6, first 2 shown]
	v_cmp_lt_i32_e64 s[4:5], v10, v32
	v_cndmask_b32_e64 v3, 0, v3, s[4:5]
	v_cmp_lt_i32_e64 s[4:5], v17, v32
	v_cndmask_b32_e64 v2, 0, v2, s[4:5]
.LBB401_1139:                           ;   in Loop: Header=BB401_683 Depth=1
	s_or_b64 exec, exec, s[12:13]
	v_lshlrev_b32_e32 v4, 16, v4
	v_mul_f32_e32 v4, v42, v4
	v_and_b32_e32 v10, 0x7f800000, v4
	v_cmp_ne_u32_e64 s[4:5], s15, v10
                                        ; implicit-def: $vgpr16
	s_and_saveexec_b64 s[12:13], s[4:5]
	s_xor_b64 s[4:5], exec, s[12:13]
; %bb.1140:                             ;   in Loop: Header=BB401_683 Depth=1
	v_bfe_u32 v10, v4, 16, 1
	v_add3_u32 v16, v4, v10, s21
                                        ; implicit-def: $vgpr4
; %bb.1141:                             ;   in Loop: Header=BB401_683 Depth=1
	s_andn2_saveexec_b64 s[12:13], s[4:5]
; %bb.1142:                             ;   in Loop: Header=BB401_683 Depth=1
	v_or_b32_e32 v10, 0x10000, v4
	v_cmp_eq_u32_sdwa s[4:5], v4, v11 src0_sel:WORD_0 src1_sel:DWORD
	v_cndmask_b32_e64 v16, v10, v4, s[4:5]
; %bb.1143:                             ;   in Loop: Header=BB401_683 Depth=1
	s_or_b64 exec, exec, s[12:13]
	v_lshlrev_b32_e32 v4, 16, v5
	v_mul_f32_e32 v4, v43, v4
	v_and_b32_e32 v5, 0x7f800000, v4
	v_cmp_ne_u32_e64 s[4:5], s15, v5
                                        ; implicit-def: $agpr39
	s_and_saveexec_b64 s[12:13], s[4:5]
	s_xor_b64 s[4:5], exec, s[12:13]
; %bb.1144:                             ;   in Loop: Header=BB401_683 Depth=1
	v_bfe_u32 v5, v4, 16, 1
	v_add3_u32 v4, v4, v5, s21
	v_accvgpr_write_b32 a39, v4
                                        ; implicit-def: $vgpr4
; %bb.1145:                             ;   in Loop: Header=BB401_683 Depth=1
	s_andn2_saveexec_b64 s[12:13], s[4:5]
; %bb.1146:                             ;   in Loop: Header=BB401_683 Depth=1
	v_or_b32_e32 v5, 0x10000, v4
	v_cmp_eq_u32_sdwa s[4:5], v4, v11 src0_sel:WORD_0 src1_sel:DWORD
	v_cndmask_b32_e64 v4, v5, v4, s[4:5]
	v_accvgpr_write_b32 a39, v4
; %bb.1147:                             ;   in Loop: Header=BB401_683 Depth=1
	s_or_b64 exec, exec, s[12:13]
	v_lshlrev_b32_e32 v4, 16, v7
	v_mul_f32_e32 v4, v44, v4
	v_and_b32_e32 v5, 0x7f800000, v4
	v_cmp_ne_u32_e64 s[4:5], s15, v5
                                        ; implicit-def: $agpr41
	s_and_saveexec_b64 s[12:13], s[4:5]
	s_xor_b64 s[4:5], exec, s[12:13]
; %bb.1148:                             ;   in Loop: Header=BB401_683 Depth=1
	v_bfe_u32 v5, v4, 16, 1
	v_add3_u32 v4, v4, v5, s21
	v_accvgpr_write_b32 a41, v4
                                        ; implicit-def: $vgpr4
; %bb.1149:                             ;   in Loop: Header=BB401_683 Depth=1
	s_andn2_saveexec_b64 s[12:13], s[4:5]
; %bb.1150:                             ;   in Loop: Header=BB401_683 Depth=1
	v_or_b32_e32 v5, 0x10000, v4
	v_cmp_eq_u32_sdwa s[4:5], v4, v11 src0_sel:WORD_0 src1_sel:DWORD
	v_cndmask_b32_e64 v4, v5, v4, s[4:5]
	v_accvgpr_write_b32 a41, v4
; %bb.1151:                             ;   in Loop: Header=BB401_683 Depth=1
	s_or_b64 exec, exec, s[12:13]
	v_lshlrev_b32_e32 v4, 16, v8
	v_mul_f32_e32 v4, v45, v4
	v_and_b32_e32 v5, 0x7f800000, v4
	v_cmp_ne_u32_e64 s[4:5], s15, v5
                                        ; implicit-def: $agpr42
	s_and_saveexec_b64 s[12:13], s[4:5]
	s_xor_b64 s[4:5], exec, s[12:13]
; %bb.1152:                             ;   in Loop: Header=BB401_683 Depth=1
	v_bfe_u32 v5, v4, 16, 1
	v_add3_u32 v4, v4, v5, s21
	v_accvgpr_write_b32 a42, v4
                                        ; implicit-def: $vgpr4
; %bb.1153:                             ;   in Loop: Header=BB401_683 Depth=1
	s_andn2_saveexec_b64 s[12:13], s[4:5]
; %bb.1154:                             ;   in Loop: Header=BB401_683 Depth=1
	v_or_b32_e32 v5, 0x10000, v4
	v_cmp_eq_u32_sdwa s[4:5], v4, v11 src0_sel:WORD_0 src1_sel:DWORD
	v_cndmask_b32_e64 v4, v5, v4, s[4:5]
	v_accvgpr_write_b32 a42, v4
; %bb.1155:                             ;   in Loop: Header=BB401_683 Depth=1
	s_or_b64 exec, exec, s[12:13]
	v_lshlrev_b32_e32 v4, 16, v9
	v_mul_f32_e32 v4, v46, v4
	v_and_b32_e32 v5, 0x7f800000, v4
	v_cmp_ne_u32_e64 s[4:5], s15, v5
                                        ; implicit-def: $agpr43
	s_and_saveexec_b64 s[12:13], s[4:5]
	s_xor_b64 s[4:5], exec, s[12:13]
; %bb.1156:                             ;   in Loop: Header=BB401_683 Depth=1
	v_bfe_u32 v5, v4, 16, 1
	v_add3_u32 v4, v4, v5, s21
	v_accvgpr_write_b32 a43, v4
                                        ; implicit-def: $vgpr4
; %bb.1157:                             ;   in Loop: Header=BB401_683 Depth=1
	s_andn2_saveexec_b64 s[12:13], s[4:5]
; %bb.1158:                             ;   in Loop: Header=BB401_683 Depth=1
	v_or_b32_e32 v5, 0x10000, v4
	v_cmp_eq_u32_sdwa s[4:5], v4, v11 src0_sel:WORD_0 src1_sel:DWORD
	v_cndmask_b32_e64 v4, v5, v4, s[4:5]
	v_accvgpr_write_b32 a43, v4
; %bb.1159:                             ;   in Loop: Header=BB401_683 Depth=1
	s_or_b64 exec, exec, s[12:13]
	v_lshlrev_b32_e32 v4, 16, v6
	v_mul_f32_e32 v4, v47, v4
	v_and_b32_e32 v5, 0x7f800000, v4
	v_cmp_ne_u32_e64 s[4:5], s15, v5
                                        ; implicit-def: $agpr44
	s_and_saveexec_b64 s[12:13], s[4:5]
	s_xor_b64 s[4:5], exec, s[12:13]
; %bb.1160:                             ;   in Loop: Header=BB401_683 Depth=1
	v_bfe_u32 v5, v4, 16, 1
	v_add3_u32 v4, v4, v5, s21
	v_accvgpr_write_b32 a44, v4
                                        ; implicit-def: $vgpr4
; %bb.1161:                             ;   in Loop: Header=BB401_683 Depth=1
	s_andn2_saveexec_b64 s[12:13], s[4:5]
; %bb.1162:                             ;   in Loop: Header=BB401_683 Depth=1
	v_or_b32_e32 v5, 0x10000, v4
	v_cmp_eq_u32_sdwa s[4:5], v4, v11 src0_sel:WORD_0 src1_sel:DWORD
	v_cndmask_b32_e64 v4, v5, v4, s[4:5]
	v_accvgpr_write_b32 a44, v4
; %bb.1163:                             ;   in Loop: Header=BB401_683 Depth=1
	s_or_b64 exec, exec, s[12:13]
	v_lshlrev_b32_e32 v3, 16, v3
	v_mul_f32_e32 v3, v56, v3
	v_and_b32_e32 v4, 0x7f800000, v3
	v_cmp_ne_u32_e64 s[4:5], s15, v4
                                        ; implicit-def: $agpr45
	s_and_saveexec_b64 s[12:13], s[4:5]
	s_xor_b64 s[4:5], exec, s[12:13]
; %bb.1164:                             ;   in Loop: Header=BB401_683 Depth=1
	v_bfe_u32 v4, v3, 16, 1
	v_add3_u32 v3, v3, v4, s21
	v_accvgpr_write_b32 a45, v3
                                        ; implicit-def: $vgpr3
; %bb.1165:                             ;   in Loop: Header=BB401_683 Depth=1
	s_andn2_saveexec_b64 s[12:13], s[4:5]
; %bb.1166:                             ;   in Loop: Header=BB401_683 Depth=1
	v_or_b32_e32 v4, 0x10000, v3
	v_cmp_eq_u32_sdwa s[4:5], v3, v11 src0_sel:WORD_0 src1_sel:DWORD
	v_cndmask_b32_e64 v3, v4, v3, s[4:5]
	v_accvgpr_write_b32 a45, v3
; %bb.1167:                             ;   in Loop: Header=BB401_683 Depth=1
	s_or_b64 exec, exec, s[12:13]
	v_lshlrev_b32_e32 v2, 16, v2
	v_mul_f32_e32 v2, v57, v2
	v_and_b32_e32 v3, 0x7f800000, v2
	v_cmp_ne_u32_e64 s[4:5], s15, v3
                                        ; implicit-def: $agpr46
	s_and_saveexec_b64 s[12:13], s[4:5]
	s_xor_b64 s[4:5], exec, s[12:13]
; %bb.1168:                             ;   in Loop: Header=BB401_683 Depth=1
	v_bfe_u32 v3, v2, 16, 1
	v_add3_u32 v2, v2, v3, s21
	v_accvgpr_write_b32 a46, v2
                                        ; implicit-def: $vgpr2
; %bb.1169:                             ;   in Loop: Header=BB401_683 Depth=1
	s_andn2_saveexec_b64 s[12:13], s[4:5]
; %bb.1170:                             ;   in Loop: Header=BB401_683 Depth=1
	v_or_b32_e32 v3, 0x10000, v2
	v_cmp_eq_u32_sdwa s[4:5], v2, v11 src0_sel:WORD_0 src1_sel:DWORD
	v_cndmask_b32_e64 v2, v3, v2, s[4:5]
	v_accvgpr_write_b32 a46, v2
; %bb.1171:                             ;   in Loop: Header=BB401_683 Depth=1
	s_or_b64 exec, exec, s[12:13]
	flat_load_dwordx2 v[2:3], v[0:1] offset:2048
	v_mov_b32_e32 v4, 0
	s_waitcnt vmcnt(0) lgkmcnt(0)
	v_cmp_ne_u16_sdwa s[4:5], v2, v11 src0_sel:BYTE_0 src1_sel:DWORD
	s_and_saveexec_b64 s[12:13], s[4:5]
	s_cbranch_execz .LBB401_1177
; %bb.1172:                             ;   in Loop: Header=BB401_683 Depth=1
	v_cmp_ne_u16_sdwa s[4:5], v2, s28 src0_sel:BYTE_0 src1_sel:DWORD
	v_bfrev_b32_e32 v4, 1
	s_and_saveexec_b64 s[24:25], s[4:5]
	s_cbranch_execz .LBB401_1176
; %bb.1173:                             ;   in Loop: Header=BB401_683 Depth=1
	v_and_b32_e32 v5, 0x7f, v2
	v_cmp_ne_u32_e64 s[4:5], s29, v5
	v_mov_b32_e32 v4, 0x7f800001
	s_and_saveexec_b64 s[26:27], s[4:5]
	s_cbranch_execz .LBB401_1175
; %bb.1174:                             ;   in Loop: Header=BB401_683 Depth=1
	v_and_b32_e32 v4, 7, v2
	v_ffbh_u32_e32 v4, v4
	v_min_u32_e32 v4, 32, v4
	v_lshrrev_b32_e32 v6, 3, v5
	v_subrev_u32_e32 v7, 28, v4
	v_sub_u32_e32 v4, 29, v4
	v_cmp_gt_u32_e64 s[4:5], 8, v5
	v_cndmask_b32_e64 v6, v6, v4, s[4:5]
	v_cndmask_b32_e64 v4, 0, v7, s[4:5]
	v_lshlrev_b64 v[4:5], v4, v[2:3]
	v_lshlrev_b32_e32 v4, 20, v4
	v_lshlrev_b32_e32 v5, 24, v2
	v_bfrev_b32_e32 v7, 60
	v_and_b32_e32 v4, 0x700000, v4
	v_and_b32_e32 v5, 0x80000000, v5
	v_lshl_add_u32 v6, v6, 23, v7
	v_or3_b32 v4, v5, v6, v4
.LBB401_1175:                           ;   in Loop: Header=BB401_683 Depth=1
	s_or_b64 exec, exec, s[26:27]
.LBB401_1176:                           ;   in Loop: Header=BB401_683 Depth=1
	s_or_b64 exec, exec, s[24:25]
.LBB401_1177:                           ;   in Loop: Header=BB401_683 Depth=1
	s_or_b64 exec, exec, s[12:13]
	v_mul_f32_e32 v5, v34, v4
	v_and_b32_e32 v4, 0x7f800000, v5
	v_cmp_ne_u32_e64 s[4:5], s15, v4
                                        ; implicit-def: $vgpr4
	s_and_saveexec_b64 s[12:13], s[4:5]
	s_xor_b64 s[4:5], exec, s[12:13]
; %bb.1178:                             ;   in Loop: Header=BB401_683 Depth=1
	v_bfe_u32 v4, v5, 16, 1
	v_add3_u32 v4, v5, v4, s21
                                        ; implicit-def: $vgpr5
; %bb.1179:                             ;   in Loop: Header=BB401_683 Depth=1
	s_andn2_saveexec_b64 s[12:13], s[4:5]
; %bb.1180:                             ;   in Loop: Header=BB401_683 Depth=1
	v_or_b32_e32 v4, 0x10000, v5
	v_cmp_eq_u32_sdwa s[4:5], v5, v11 src0_sel:WORD_0 src1_sel:DWORD
	v_cndmask_b32_e64 v4, v4, v5, s[4:5]
; %bb.1181:                             ;   in Loop: Header=BB401_683 Depth=1
	s_or_b64 exec, exec, s[12:13]
	v_lshrrev_b16_e32 v6, 8, v2
	v_cmp_ne_u16_e64 s[4:5], 0, v6
	v_mov_b32_e32 v5, 0
	s_and_saveexec_b64 s[12:13], s[4:5]
	s_cbranch_execz .LBB401_1187
; %bb.1182:                             ;   in Loop: Header=BB401_683 Depth=1
	v_cmp_ne_u16_e64 s[4:5], s28, v6
	v_bfrev_b32_e32 v5, 1
	s_and_saveexec_b64 s[24:25], s[4:5]
	s_cbranch_execz .LBB401_1186
; %bb.1183:                             ;   in Loop: Header=BB401_683 Depth=1
	v_and_b32_e32 v7, 0x7f, v6
	v_cmp_ne_u32_e64 s[4:5], s29, v7
	v_mov_b32_e32 v5, 0x7f800001
	s_and_saveexec_b64 s[26:27], s[4:5]
	s_cbranch_execz .LBB401_1185
; %bb.1184:                             ;   in Loop: Header=BB401_683 Depth=1
	v_and_b32_e32 v5, 7, v6
	v_ffbh_u32_e32 v8, v5
	v_min_u32_e32 v22, 32, v8
	v_subrev_u32_e32 v8, 28, v22
	v_lshlrev_b64 v[8:9], v8, v[6:7]
	v_lshrrev_b32_e32 v10, 3, v7
	v_sub_u32_e32 v6, 29, v22
	v_and_b32_e32 v8, 7, v8
	v_cmp_gt_u32_e64 s[4:5], 8, v7
	v_cndmask_b32_e64 v6, v10, v6, s[4:5]
	v_cndmask_b32_e64 v5, v5, v8, s[4:5]
	v_lshlrev_b32_e32 v7, 16, v2
	v_bfrev_b32_e32 v8, 60
	v_lshlrev_b32_e32 v5, 20, v5
	v_and_b32_e32 v7, 0x80000000, v7
	v_lshl_add_u32 v6, v6, 23, v8
	v_or3_b32 v5, v7, v6, v5
.LBB401_1185:                           ;   in Loop: Header=BB401_683 Depth=1
	s_or_b64 exec, exec, s[26:27]
.LBB401_1186:                           ;   in Loop: Header=BB401_683 Depth=1
	s_or_b64 exec, exec, s[24:25]
.LBB401_1187:                           ;   in Loop: Header=BB401_683 Depth=1
	s_or_b64 exec, exec, s[12:13]
	v_mul_f32_e32 v6, v34, v5
	v_and_b32_e32 v5, 0x7f800000, v6
	v_cmp_ne_u32_e64 s[4:5], s15, v5
                                        ; implicit-def: $vgpr5
	s_and_saveexec_b64 s[12:13], s[4:5]
	s_xor_b64 s[4:5], exec, s[12:13]
; %bb.1188:                             ;   in Loop: Header=BB401_683 Depth=1
	v_bfe_u32 v5, v6, 16, 1
	v_add3_u32 v5, v6, v5, s21
                                        ; implicit-def: $vgpr6
; %bb.1189:                             ;   in Loop: Header=BB401_683 Depth=1
	s_andn2_saveexec_b64 s[12:13], s[4:5]
; %bb.1190:                             ;   in Loop: Header=BB401_683 Depth=1
	v_or_b32_e32 v5, 0x10000, v6
	v_cmp_eq_u32_sdwa s[4:5], v6, v11 src0_sel:WORD_0 src1_sel:DWORD
	v_cndmask_b32_e64 v5, v5, v6, s[4:5]
; %bb.1191:                             ;   in Loop: Header=BB401_683 Depth=1
	s_or_b64 exec, exec, s[12:13]
	v_lshrrev_b32_e32 v6, 16, v2
	v_cmp_ne_u16_sdwa s[4:5], v6, v11 src0_sel:BYTE_0 src1_sel:DWORD
	v_mov_b32_e32 v7, 0
	s_and_saveexec_b64 s[12:13], s[4:5]
	s_cbranch_execz .LBB401_1197
; %bb.1192:                             ;   in Loop: Header=BB401_683 Depth=1
	v_cmp_ne_u16_sdwa s[4:5], v6, s28 src0_sel:BYTE_0 src1_sel:DWORD
	v_bfrev_b32_e32 v7, 1
	s_and_saveexec_b64 s[24:25], s[4:5]
	s_cbranch_execz .LBB401_1196
; %bb.1193:                             ;   in Loop: Header=BB401_683 Depth=1
	v_bfe_u32 v8, v2, 16, 7
	v_cmp_ne_u32_e64 s[4:5], s29, v8
	v_mov_b32_e32 v7, 0x7f800001
	s_and_saveexec_b64 s[26:27], s[4:5]
	s_cbranch_execz .LBB401_1195
; %bb.1194:                             ;   in Loop: Header=BB401_683 Depth=1
	v_and_b32_e32 v7, 7, v6
	v_ffbh_u32_e32 v10, v7
	v_min_u32_e32 v10, 32, v10
	v_subrev_u32_e32 v22, 28, v10
	v_lshlrev_b64 v[22:23], v22, v[6:7]
	v_lshrrev_b32_e32 v9, 3, v8
	v_sub_u32_e32 v10, 29, v10
	v_and_b32_e32 v22, 7, v22
	v_cmp_gt_u32_e64 s[4:5], 8, v8
	v_cndmask_b32_e64 v8, v9, v10, s[4:5]
	v_cndmask_b32_e64 v7, v7, v22, s[4:5]
	v_lshlrev_b32_e32 v6, 24, v6
	v_bfrev_b32_e32 v9, 60
	v_lshlrev_b32_e32 v7, 20, v7
	v_and_b32_e32 v6, 0x80000000, v6
	v_lshl_add_u32 v8, v8, 23, v9
	v_or3_b32 v7, v6, v8, v7
.LBB401_1195:                           ;   in Loop: Header=BB401_683 Depth=1
	s_or_b64 exec, exec, s[26:27]
.LBB401_1196:                           ;   in Loop: Header=BB401_683 Depth=1
	s_or_b64 exec, exec, s[24:25]
.LBB401_1197:                           ;   in Loop: Header=BB401_683 Depth=1
	s_or_b64 exec, exec, s[12:13]
	v_mul_f32_e32 v6, v34, v7
	v_and_b32_e32 v7, 0x7f800000, v6
	v_cmp_ne_u32_e64 s[4:5], s15, v7
                                        ; implicit-def: $vgpr23
	s_and_saveexec_b64 s[12:13], s[4:5]
	s_xor_b64 s[4:5], exec, s[12:13]
; %bb.1198:                             ;   in Loop: Header=BB401_683 Depth=1
	v_bfe_u32 v7, v6, 16, 1
	v_add3_u32 v23, v6, v7, s21
                                        ; implicit-def: $vgpr6
; %bb.1199:                             ;   in Loop: Header=BB401_683 Depth=1
	s_andn2_saveexec_b64 s[12:13], s[4:5]
; %bb.1200:                             ;   in Loop: Header=BB401_683 Depth=1
	v_or_b32_e32 v7, 0x10000, v6
	v_cmp_eq_u32_sdwa s[4:5], v6, v11 src0_sel:WORD_0 src1_sel:DWORD
	v_cndmask_b32_e64 v23, v7, v6, s[4:5]
; %bb.1201:                             ;   in Loop: Header=BB401_683 Depth=1
	s_or_b64 exec, exec, s[12:13]
	v_cmp_lt_u32_e64 s[4:5], s9, v2
	v_mov_b32_e32 v7, 0
	s_and_saveexec_b64 s[12:13], s[4:5]
	s_cbranch_execz .LBB401_1207
; %bb.1202:                             ;   in Loop: Header=BB401_683 Depth=1
	v_lshrrev_b32_e32 v6, 24, v2
	v_cmp_ne_u32_e64 s[4:5], s28, v6
	v_bfrev_b32_e32 v7, 1
	s_and_saveexec_b64 s[24:25], s[4:5]
	s_cbranch_execz .LBB401_1206
; %bb.1203:                             ;   in Loop: Header=BB401_683 Depth=1
	v_bfe_u32 v8, v2, 24, 7
	v_cmp_ne_u32_e64 s[4:5], s29, v8
	v_mov_b32_e32 v7, 0x7f800001
	s_and_saveexec_b64 s[26:27], s[4:5]
	s_cbranch_execz .LBB401_1205
; %bb.1204:                             ;   in Loop: Header=BB401_683 Depth=1
	v_and_b32_e32 v7, 7, v6
	v_ffbh_u32_e32 v10, v7
	v_min_u32_e32 v10, 32, v10
	v_subrev_u32_e32 v22, 28, v10
	v_lshlrev_b64 v[26:27], v22, v[6:7]
	v_lshrrev_b32_e32 v9, 3, v8
	v_sub_u32_e32 v10, 29, v10
	v_and_b32_e32 v22, 7, v26
	v_cmp_gt_u32_e64 s[4:5], 8, v8
	v_cndmask_b32_e64 v8, v9, v10, s[4:5]
	v_cndmask_b32_e64 v7, v7, v22, s[4:5]
	v_lshlrev_b32_e32 v6, 24, v6
	v_bfrev_b32_e32 v9, 60
	v_lshlrev_b32_e32 v7, 20, v7
	v_and_b32_e32 v6, 0x80000000, v6
	v_lshl_add_u32 v8, v8, 23, v9
	v_or3_b32 v7, v6, v8, v7
.LBB401_1205:                           ;   in Loop: Header=BB401_683 Depth=1
	s_or_b64 exec, exec, s[26:27]
.LBB401_1206:                           ;   in Loop: Header=BB401_683 Depth=1
	s_or_b64 exec, exec, s[24:25]
.LBB401_1207:                           ;   in Loop: Header=BB401_683 Depth=1
	s_or_b64 exec, exec, s[12:13]
	v_mul_f32_e32 v6, v34, v7
	v_and_b32_e32 v7, 0x7f800000, v6
	v_cmp_ne_u32_e64 s[4:5], s15, v7
                                        ; implicit-def: $vgpr7
	s_and_saveexec_b64 s[12:13], s[4:5]
	s_xor_b64 s[4:5], exec, s[12:13]
; %bb.1208:                             ;   in Loop: Header=BB401_683 Depth=1
	v_bfe_u32 v7, v6, 16, 1
	v_add3_u32 v7, v6, v7, s21
                                        ; implicit-def: $vgpr6
; %bb.1209:                             ;   in Loop: Header=BB401_683 Depth=1
	s_andn2_saveexec_b64 s[12:13], s[4:5]
; %bb.1210:                             ;   in Loop: Header=BB401_683 Depth=1
	v_or_b32_e32 v7, 0x10000, v6
	v_cmp_eq_u32_sdwa s[4:5], v6, v11 src0_sel:WORD_0 src1_sel:DWORD
	v_cndmask_b32_e64 v7, v7, v6, s[4:5]
; %bb.1211:                             ;   in Loop: Header=BB401_683 Depth=1
	s_or_b64 exec, exec, s[12:13]
	v_mov_b32_e32 v10, v3
	v_cmp_ne_u16_sdwa s[4:5], v3, v11 src0_sel:BYTE_0 src1_sel:DWORD
	v_mov_b32_e32 v6, 0
	s_and_saveexec_b64 s[12:13], s[4:5]
	s_cbranch_execz .LBB401_1217
; %bb.1212:                             ;   in Loop: Header=BB401_683 Depth=1
	v_cmp_ne_u16_sdwa s[4:5], v3, s28 src0_sel:BYTE_0 src1_sel:DWORD
	v_bfrev_b32_e32 v6, 1
	s_and_saveexec_b64 s[24:25], s[4:5]
	s_cbranch_execz .LBB401_1216
; %bb.1213:                             ;   in Loop: Header=BB401_683 Depth=1
	v_and_b32_e32 v8, 0x7f, v3
	v_cmp_ne_u32_e64 s[4:5], s29, v8
	v_mov_b32_e32 v6, 0x7f800001
	s_and_saveexec_b64 s[26:27], s[4:5]
	s_cbranch_execz .LBB401_1215
; %bb.1214:                             ;   in Loop: Header=BB401_683 Depth=1
	v_and_b32_e32 v6, 7, v3
	v_ffbh_u32_e32 v6, v6
	v_min_u32_e32 v6, 32, v6
	v_subrev_u32_e32 v22, 28, v6
	v_cmp_gt_u32_e64 s[4:5], 8, v8
	v_lshrrev_b32_e32 v9, 3, v8
	v_sub_u32_e32 v6, 29, v6
	v_cndmask_b32_e64 v8, 0, v22, s[4:5]
	v_cndmask_b32_e64 v6, v9, v6, s[4:5]
	v_lshlrev_b64 v[8:9], v8, v[10:11]
	v_lshlrev_b32_e32 v8, 20, v8
	v_lshlrev_b32_e32 v9, 24, v10
	v_bfrev_b32_e32 v22, 60
	v_and_b32_e32 v8, 0x700000, v8
	v_and_b32_e32 v9, 0x80000000, v9
	v_lshl_add_u32 v6, v6, 23, v22
	v_or3_b32 v6, v9, v6, v8
.LBB401_1215:                           ;   in Loop: Header=BB401_683 Depth=1
	s_or_b64 exec, exec, s[26:27]
.LBB401_1216:                           ;   in Loop: Header=BB401_683 Depth=1
	s_or_b64 exec, exec, s[24:25]
.LBB401_1217:                           ;   in Loop: Header=BB401_683 Depth=1
	s_or_b64 exec, exec, s[12:13]
	v_mul_f32_e32 v6, v34, v6
	v_and_b32_e32 v8, 0x7f800000, v6
	v_cmp_ne_u32_e64 s[4:5], s15, v8
                                        ; implicit-def: $vgpr22
	s_and_saveexec_b64 s[12:13], s[4:5]
	s_xor_b64 s[4:5], exec, s[12:13]
; %bb.1218:                             ;   in Loop: Header=BB401_683 Depth=1
	v_bfe_u32 v8, v6, 16, 1
	v_add3_u32 v22, v6, v8, s21
                                        ; implicit-def: $vgpr6
; %bb.1219:                             ;   in Loop: Header=BB401_683 Depth=1
	s_andn2_saveexec_b64 s[12:13], s[4:5]
; %bb.1220:                             ;   in Loop: Header=BB401_683 Depth=1
	v_or_b32_e32 v8, 0x10000, v6
	v_cmp_eq_u32_sdwa s[4:5], v6, v11 src0_sel:WORD_0 src1_sel:DWORD
	v_cndmask_b32_e64 v22, v8, v6, s[4:5]
; %bb.1221:                             ;   in Loop: Header=BB401_683 Depth=1
	s_or_b64 exec, exec, s[12:13]
	v_lshrrev_b16_e32 v6, 8, v10
	v_cmp_ne_u16_e64 s[4:5], 0, v6
	v_mov_b32_e32 v8, 0
	s_and_saveexec_b64 s[12:13], s[4:5]
	s_cbranch_execz .LBB401_1227
; %bb.1222:                             ;   in Loop: Header=BB401_683 Depth=1
	v_cmp_ne_u16_e64 s[4:5], s28, v6
	v_bfrev_b32_e32 v8, 1
	s_and_saveexec_b64 s[24:25], s[4:5]
	s_cbranch_execz .LBB401_1226
; %bb.1223:                             ;   in Loop: Header=BB401_683 Depth=1
	v_and_b32_e32 v9, 0x7f, v6
	v_cmp_ne_u32_e64 s[4:5], s29, v9
	v_mov_b32_e32 v8, 0x7f800001
	s_and_saveexec_b64 s[26:27], s[4:5]
	s_cbranch_execz .LBB401_1225
; %bb.1224:                             ;   in Loop: Header=BB401_683 Depth=1
	v_and_b32_e32 v8, 7, v6
	v_ffbh_u32_e32 v26, v8
	v_min_u32_e32 v29, 32, v26
	v_subrev_u32_e32 v26, 28, v29
	v_lshlrev_b64 v[26:27], v26, v[6:7]
	v_lshrrev_b32_e32 v28, 3, v9
	v_sub_u32_e32 v6, 29, v29
	v_and_b32_e32 v26, 7, v26
	v_cmp_gt_u32_e64 s[4:5], 8, v9
	v_cndmask_b32_e64 v6, v28, v6, s[4:5]
	v_cndmask_b32_e64 v8, v8, v26, s[4:5]
	v_lshlrev_b32_e32 v9, 16, v10
	v_bfrev_b32_e32 v10, 60
	v_lshlrev_b32_e32 v8, 20, v8
	v_and_b32_e32 v9, 0x80000000, v9
	v_lshl_add_u32 v6, v6, 23, v10
	v_or3_b32 v8, v9, v6, v8
.LBB401_1225:                           ;   in Loop: Header=BB401_683 Depth=1
	s_or_b64 exec, exec, s[26:27]
.LBB401_1226:                           ;   in Loop: Header=BB401_683 Depth=1
	s_or_b64 exec, exec, s[24:25]
.LBB401_1227:                           ;   in Loop: Header=BB401_683 Depth=1
	s_or_b64 exec, exec, s[12:13]
	v_mul_f32_e32 v6, v34, v8
	v_and_b32_e32 v8, 0x7f800000, v6
	v_cmp_ne_u32_e64 s[4:5], s15, v8
                                        ; implicit-def: $vgpr8
	s_and_saveexec_b64 s[12:13], s[4:5]
	s_xor_b64 s[4:5], exec, s[12:13]
; %bb.1228:                             ;   in Loop: Header=BB401_683 Depth=1
	v_bfe_u32 v8, v6, 16, 1
	v_add3_u32 v8, v6, v8, s21
                                        ; implicit-def: $vgpr6
; %bb.1229:                             ;   in Loop: Header=BB401_683 Depth=1
	s_andn2_saveexec_b64 s[12:13], s[4:5]
; %bb.1230:                             ;   in Loop: Header=BB401_683 Depth=1
	v_or_b32_e32 v8, 0x10000, v6
	v_cmp_eq_u32_sdwa s[4:5], v6, v11 src0_sel:WORD_0 src1_sel:DWORD
	v_cndmask_b32_e64 v8, v8, v6, s[4:5]
; %bb.1231:                             ;   in Loop: Header=BB401_683 Depth=1
	s_or_b64 exec, exec, s[12:13]
	v_lshrrev_b32_e32 v6, 16, v3
	v_cmp_ne_u16_sdwa s[4:5], v6, v11 src0_sel:BYTE_0 src1_sel:DWORD
	v_mov_b32_e32 v9, 0
	s_and_saveexec_b64 s[12:13], s[4:5]
	s_cbranch_execz .LBB401_1237
; %bb.1232:                             ;   in Loop: Header=BB401_683 Depth=1
	v_cmp_ne_u16_sdwa s[4:5], v6, s28 src0_sel:BYTE_0 src1_sel:DWORD
	v_bfrev_b32_e32 v9, 1
	s_and_saveexec_b64 s[24:25], s[4:5]
	s_cbranch_execz .LBB401_1236
; %bb.1233:                             ;   in Loop: Header=BB401_683 Depth=1
	v_bfe_u32 v10, v3, 16, 7
	v_cmp_ne_u32_e64 s[4:5], s29, v10
	v_mov_b32_e32 v9, 0x7f800001
	s_and_saveexec_b64 s[26:27], s[4:5]
	s_cbranch_execz .LBB401_1235
; %bb.1234:                             ;   in Loop: Header=BB401_683 Depth=1
	v_and_b32_e32 v9, 7, v6
	v_ffbh_u32_e32 v26, v9
	v_min_u32_e32 v29, 32, v26
	v_subrev_u32_e32 v26, 28, v29
	v_lshlrev_b64 v[26:27], v26, v[6:7]
	v_lshrrev_b32_e32 v28, 3, v10
	v_sub_u32_e32 v27, 29, v29
	v_and_b32_e32 v26, 7, v26
	v_cmp_gt_u32_e64 s[4:5], 8, v10
	v_cndmask_b32_e64 v10, v28, v27, s[4:5]
	v_cndmask_b32_e64 v9, v9, v26, s[4:5]
	v_lshlrev_b32_e32 v6, 24, v6
	v_bfrev_b32_e32 v26, 60
	v_lshlrev_b32_e32 v9, 20, v9
	v_and_b32_e32 v6, 0x80000000, v6
	v_lshl_add_u32 v10, v10, 23, v26
	v_or3_b32 v9, v6, v10, v9
.LBB401_1235:                           ;   in Loop: Header=BB401_683 Depth=1
	s_or_b64 exec, exec, s[26:27]
.LBB401_1236:                           ;   in Loop: Header=BB401_683 Depth=1
	s_or_b64 exec, exec, s[24:25]
.LBB401_1237:                           ;   in Loop: Header=BB401_683 Depth=1
	s_or_b64 exec, exec, s[12:13]
	v_mul_f32_e32 v6, v34, v9
	v_and_b32_e32 v9, 0x7f800000, v6
	v_cmp_ne_u32_e64 s[4:5], s15, v9
                                        ; implicit-def: $vgpr9
	s_and_saveexec_b64 s[12:13], s[4:5]
	s_xor_b64 s[4:5], exec, s[12:13]
; %bb.1238:                             ;   in Loop: Header=BB401_683 Depth=1
	v_bfe_u32 v9, v6, 16, 1
	v_add3_u32 v9, v6, v9, s21
                                        ; implicit-def: $vgpr6
; %bb.1239:                             ;   in Loop: Header=BB401_683 Depth=1
	s_andn2_saveexec_b64 s[12:13], s[4:5]
; %bb.1240:                             ;   in Loop: Header=BB401_683 Depth=1
	v_or_b32_e32 v9, 0x10000, v6
	v_cmp_eq_u32_sdwa s[4:5], v6, v11 src0_sel:WORD_0 src1_sel:DWORD
	v_cndmask_b32_e64 v9, v9, v6, s[4:5]
; %bb.1241:                             ;   in Loop: Header=BB401_683 Depth=1
	s_or_b64 exec, exec, s[12:13]
	v_cmp_lt_u64_e64 s[4:5], s[8:9], v[2:3]
	v_mov_b32_e32 v6, 0
	s_and_saveexec_b64 s[12:13], s[4:5]
	s_cbranch_execz .LBB401_1247
; %bb.1242:                             ;   in Loop: Header=BB401_683 Depth=1
	v_lshrrev_b32_e32 v2, 24, v3
	v_cmp_ne_u32_e64 s[4:5], s28, v2
	v_bfrev_b32_e32 v6, 1
	s_and_saveexec_b64 s[24:25], s[4:5]
	s_cbranch_execz .LBB401_1246
; %bb.1243:                             ;   in Loop: Header=BB401_683 Depth=1
	v_bfe_u32 v3, v3, 24, 7
	v_cmp_ne_u32_e64 s[4:5], s29, v3
	v_mov_b32_e32 v6, 0x7f800001
	s_and_saveexec_b64 s[26:27], s[4:5]
	s_cbranch_execz .LBB401_1245
; %bb.1244:                             ;   in Loop: Header=BB401_683 Depth=1
	v_and_b32_e32 v6, 7, v2
	v_ffbh_u32_e32 v26, v6
	v_min_u32_e32 v28, 32, v26
	v_subrev_u32_e32 v26, 28, v28
	v_lshlrev_b64 v[26:27], v26, v[2:3]
	v_lshrrev_b32_e32 v10, 3, v3
	v_sub_u32_e32 v27, 29, v28
	v_and_b32_e32 v26, 7, v26
	v_cmp_gt_u32_e64 s[4:5], 8, v3
	v_cndmask_b32_e64 v3, v10, v27, s[4:5]
	v_cndmask_b32_e64 v6, v6, v26, s[4:5]
	v_lshlrev_b32_e32 v2, 24, v2
	v_bfrev_b32_e32 v10, 60
	v_lshlrev_b32_e32 v6, 20, v6
	v_and_b32_e32 v2, 0x80000000, v2
	v_lshl_add_u32 v3, v3, 23, v10
	v_or3_b32 v6, v2, v3, v6
.LBB401_1245:                           ;   in Loop: Header=BB401_683 Depth=1
	s_or_b64 exec, exec, s[26:27]
.LBB401_1246:                           ;   in Loop: Header=BB401_683 Depth=1
	s_or_b64 exec, exec, s[24:25]
.LBB401_1247:                           ;   in Loop: Header=BB401_683 Depth=1
	s_or_b64 exec, exec, s[12:13]
	v_mul_f32_e32 v3, v34, v6
	v_and_b32_e32 v2, 0x7f800000, v3
	v_cmp_ne_u32_e64 s[4:5], s15, v2
                                        ; implicit-def: $vgpr2
	s_and_saveexec_b64 s[12:13], s[4:5]
	s_xor_b64 s[4:5], exec, s[12:13]
; %bb.1248:                             ;   in Loop: Header=BB401_683 Depth=1
	v_bfe_u32 v2, v3, 16, 1
	v_add3_u32 v2, v3, v2, s21
                                        ; implicit-def: $vgpr3
; %bb.1249:                             ;   in Loop: Header=BB401_683 Depth=1
	s_andn2_saveexec_b64 s[12:13], s[4:5]
; %bb.1250:                             ;   in Loop: Header=BB401_683 Depth=1
	v_or_b32_e32 v2, 0x10000, v3
	v_cmp_eq_u32_sdwa s[4:5], v3, v11 src0_sel:WORD_0 src1_sel:DWORD
	v_cndmask_b32_e64 v2, v2, v3, s[4:5]
; %bb.1251:                             ;   in Loop: Header=BB401_683 Depth=1
	s_or_b64 exec, exec, s[12:13]
	v_lshrrev_b32_e32 v6, 16, v8
	v_lshrrev_b32_e32 v8, 16, v22
	v_lshrrev_b32_e32 v7, 16, v7
	v_lshrrev_b32_e32 v10, 16, v23
	v_lshrrev_b32_e32 v5, 16, v5
	v_lshrrev_b32_e32 v4, 16, v4
	v_lshrrev_b32_e32 v3, 16, v9
	v_lshrrev_b32_e32 v2, 16, v2
	s_and_saveexec_b64 s[12:13], vcc
	s_cbranch_execz .LBB401_1253
; %bb.1252:                             ;   in Loop: Header=BB401_683 Depth=1
	v_cmp_lt_i32_e64 s[4:5], v37, v32
	v_accvgpr_read_b32 v9, a26
	v_cndmask_b32_e64 v4, 0, v4, s[4:5]
	v_cmp_lt_i32_e64 s[4:5], v9, v32
	v_accvgpr_read_b32 v9, a25
	v_cndmask_b32_e64 v5, 0, v5, s[4:5]
	;; [unrolled: 3-line block ×6, first 2 shown]
	v_cmp_lt_i32_e64 s[4:5], v9, v32
	v_cndmask_b32_e64 v3, 0, v3, s[4:5]
	v_cmp_lt_i32_e64 s[4:5], v17, v32
	v_cndmask_b32_e64 v2, 0, v2, s[4:5]
.LBB401_1253:                           ;   in Loop: Header=BB401_683 Depth=1
	s_or_b64 exec, exec, s[12:13]
	v_lshlrev_b32_e32 v4, 16, v4
	v_mul_f32_e32 v4, v42, v4
	v_and_b32_e32 v9, 0x7f800000, v4
	v_cmp_ne_u32_e64 s[4:5], s15, v9
                                        ; implicit-def: $vgpr50
	s_and_saveexec_b64 s[12:13], s[4:5]
	s_xor_b64 s[4:5], exec, s[12:13]
; %bb.1254:                             ;   in Loop: Header=BB401_683 Depth=1
	v_bfe_u32 v9, v4, 16, 1
	v_add3_u32 v50, v4, v9, s21
                                        ; implicit-def: $vgpr4
; %bb.1255:                             ;   in Loop: Header=BB401_683 Depth=1
	s_andn2_saveexec_b64 s[12:13], s[4:5]
; %bb.1256:                             ;   in Loop: Header=BB401_683 Depth=1
	v_or_b32_e32 v9, 0x10000, v4
	v_cmp_eq_u32_sdwa s[4:5], v4, v11 src0_sel:WORD_0 src1_sel:DWORD
	v_cndmask_b32_e64 v50, v9, v4, s[4:5]
; %bb.1257:                             ;   in Loop: Header=BB401_683 Depth=1
	s_or_b64 exec, exec, s[12:13]
	v_lshlrev_b32_e32 v4, 16, v5
	v_mul_f32_e32 v4, v43, v4
	v_and_b32_e32 v5, 0x7f800000, v4
	v_cmp_ne_u32_e64 s[4:5], s15, v5
                                        ; implicit-def: $vgpr58
	s_and_saveexec_b64 s[12:13], s[4:5]
	s_xor_b64 s[4:5], exec, s[12:13]
; %bb.1258:                             ;   in Loop: Header=BB401_683 Depth=1
	v_bfe_u32 v5, v4, 16, 1
	v_add3_u32 v58, v4, v5, s21
                                        ; implicit-def: $vgpr4
; %bb.1259:                             ;   in Loop: Header=BB401_683 Depth=1
	s_andn2_saveexec_b64 s[12:13], s[4:5]
; %bb.1260:                             ;   in Loop: Header=BB401_683 Depth=1
	v_or_b32_e32 v5, 0x10000, v4
	v_cmp_eq_u32_sdwa s[4:5], v4, v11 src0_sel:WORD_0 src1_sel:DWORD
	v_cndmask_b32_e64 v58, v5, v4, s[4:5]
; %bb.1261:                             ;   in Loop: Header=BB401_683 Depth=1
	s_or_b64 exec, exec, s[12:13]
	v_lshlrev_b32_e32 v4, 16, v10
	v_mul_f32_e32 v4, v44, v4
	v_and_b32_e32 v5, 0x7f800000, v4
	v_cmp_ne_u32_e64 s[4:5], s15, v5
                                        ; implicit-def: $vgpr59
	s_and_saveexec_b64 s[12:13], s[4:5]
	s_xor_b64 s[4:5], exec, s[12:13]
; %bb.1262:                             ;   in Loop: Header=BB401_683 Depth=1
	v_bfe_u32 v5, v4, 16, 1
	v_add3_u32 v59, v4, v5, s21
                                        ; implicit-def: $vgpr4
; %bb.1263:                             ;   in Loop: Header=BB401_683 Depth=1
	s_andn2_saveexec_b64 s[12:13], s[4:5]
; %bb.1264:                             ;   in Loop: Header=BB401_683 Depth=1
	v_or_b32_e32 v5, 0x10000, v4
	v_cmp_eq_u32_sdwa s[4:5], v4, v11 src0_sel:WORD_0 src1_sel:DWORD
	v_cndmask_b32_e64 v59, v5, v4, s[4:5]
; %bb.1265:                             ;   in Loop: Header=BB401_683 Depth=1
	s_or_b64 exec, exec, s[12:13]
	v_lshlrev_b32_e32 v4, 16, v7
	v_mul_f32_e32 v4, v45, v4
	v_and_b32_e32 v5, 0x7f800000, v4
	v_cmp_ne_u32_e64 s[4:5], s15, v5
                                        ; implicit-def: $vgpr60
	s_and_saveexec_b64 s[12:13], s[4:5]
	s_xor_b64 s[4:5], exec, s[12:13]
; %bb.1266:                             ;   in Loop: Header=BB401_683 Depth=1
	v_bfe_u32 v5, v4, 16, 1
	v_add3_u32 v60, v4, v5, s21
                                        ; implicit-def: $vgpr4
; %bb.1267:                             ;   in Loop: Header=BB401_683 Depth=1
	s_andn2_saveexec_b64 s[12:13], s[4:5]
; %bb.1268:                             ;   in Loop: Header=BB401_683 Depth=1
	v_or_b32_e32 v5, 0x10000, v4
	v_cmp_eq_u32_sdwa s[4:5], v4, v11 src0_sel:WORD_0 src1_sel:DWORD
	v_cndmask_b32_e64 v60, v5, v4, s[4:5]
; %bb.1269:                             ;   in Loop: Header=BB401_683 Depth=1
	s_or_b64 exec, exec, s[12:13]
	v_lshlrev_b32_e32 v4, 16, v8
	v_mul_f32_e32 v4, v46, v4
	v_and_b32_e32 v5, 0x7f800000, v4
	v_cmp_ne_u32_e64 s[4:5], s15, v5
                                        ; implicit-def: $vgpr61
	s_and_saveexec_b64 s[12:13], s[4:5]
	s_xor_b64 s[4:5], exec, s[12:13]
; %bb.1270:                             ;   in Loop: Header=BB401_683 Depth=1
	v_bfe_u32 v5, v4, 16, 1
	v_add3_u32 v61, v4, v5, s21
                                        ; implicit-def: $vgpr4
; %bb.1271:                             ;   in Loop: Header=BB401_683 Depth=1
	s_andn2_saveexec_b64 s[12:13], s[4:5]
; %bb.1272:                             ;   in Loop: Header=BB401_683 Depth=1
	v_or_b32_e32 v5, 0x10000, v4
	v_cmp_eq_u32_sdwa s[4:5], v4, v11 src0_sel:WORD_0 src1_sel:DWORD
	v_cndmask_b32_e64 v61, v5, v4, s[4:5]
; %bb.1273:                             ;   in Loop: Header=BB401_683 Depth=1
	s_or_b64 exec, exec, s[12:13]
	v_lshlrev_b32_e32 v4, 16, v6
	v_mul_f32_e32 v4, v47, v4
	v_and_b32_e32 v5, 0x7f800000, v4
	v_cmp_ne_u32_e64 s[4:5], s15, v5
                                        ; implicit-def: $vgpr62
	s_and_saveexec_b64 s[12:13], s[4:5]
	s_xor_b64 s[4:5], exec, s[12:13]
; %bb.1274:                             ;   in Loop: Header=BB401_683 Depth=1
	v_bfe_u32 v5, v4, 16, 1
	v_add3_u32 v62, v4, v5, s21
                                        ; implicit-def: $vgpr4
; %bb.1275:                             ;   in Loop: Header=BB401_683 Depth=1
	s_andn2_saveexec_b64 s[12:13], s[4:5]
; %bb.1276:                             ;   in Loop: Header=BB401_683 Depth=1
	v_or_b32_e32 v5, 0x10000, v4
	v_cmp_eq_u32_sdwa s[4:5], v4, v11 src0_sel:WORD_0 src1_sel:DWORD
	v_cndmask_b32_e64 v62, v5, v4, s[4:5]
; %bb.1277:                             ;   in Loop: Header=BB401_683 Depth=1
	s_or_b64 exec, exec, s[12:13]
	v_lshlrev_b32_e32 v3, 16, v3
	v_mul_f32_e32 v3, v56, v3
	v_and_b32_e32 v4, 0x7f800000, v3
	v_cmp_ne_u32_e64 s[4:5], s15, v4
                                        ; implicit-def: $vgpr33
	s_and_saveexec_b64 s[12:13], s[4:5]
	s_xor_b64 s[4:5], exec, s[12:13]
; %bb.1278:                             ;   in Loop: Header=BB401_683 Depth=1
	v_bfe_u32 v4, v3, 16, 1
	v_add3_u32 v33, v3, v4, s21
                                        ; implicit-def: $vgpr3
; %bb.1279:                             ;   in Loop: Header=BB401_683 Depth=1
	s_andn2_saveexec_b64 s[12:13], s[4:5]
; %bb.1280:                             ;   in Loop: Header=BB401_683 Depth=1
	v_or_b32_e32 v4, 0x10000, v3
	v_cmp_eq_u32_sdwa s[4:5], v3, v11 src0_sel:WORD_0 src1_sel:DWORD
	v_cndmask_b32_e64 v33, v4, v3, s[4:5]
; %bb.1281:                             ;   in Loop: Header=BB401_683 Depth=1
	s_or_b64 exec, exec, s[12:13]
	v_lshlrev_b32_e32 v2, 16, v2
	v_mul_f32_e32 v2, v57, v2
	v_and_b32_e32 v3, 0x7f800000, v2
	v_cmp_ne_u32_e64 s[4:5], s15, v3
                                        ; implicit-def: $vgpr23
	s_and_saveexec_b64 s[12:13], s[4:5]
	s_xor_b64 s[4:5], exec, s[12:13]
; %bb.1282:                             ;   in Loop: Header=BB401_683 Depth=1
	v_bfe_u32 v3, v2, 16, 1
	v_add3_u32 v23, v2, v3, s21
                                        ; implicit-def: $vgpr2
; %bb.1283:                             ;   in Loop: Header=BB401_683 Depth=1
	s_andn2_saveexec_b64 s[12:13], s[4:5]
; %bb.1284:                             ;   in Loop: Header=BB401_683 Depth=1
	v_or_b32_e32 v3, 0x10000, v2
	v_cmp_eq_u32_sdwa s[4:5], v2, v11 src0_sel:WORD_0 src1_sel:DWORD
	v_cndmask_b32_e64 v23, v3, v2, s[4:5]
; %bb.1285:                             ;   in Loop: Header=BB401_683 Depth=1
	s_or_b64 exec, exec, s[12:13]
	flat_load_dwordx2 v[2:3], v[0:1] offset:2560
	v_mov_b32_e32 v4, 0
	s_waitcnt vmcnt(0) lgkmcnt(0)
	v_cmp_ne_u16_sdwa s[4:5], v2, v11 src0_sel:BYTE_0 src1_sel:DWORD
	s_and_saveexec_b64 s[12:13], s[4:5]
	s_cbranch_execz .LBB401_1291
; %bb.1286:                             ;   in Loop: Header=BB401_683 Depth=1
	v_cmp_ne_u16_sdwa s[4:5], v2, s28 src0_sel:BYTE_0 src1_sel:DWORD
	v_bfrev_b32_e32 v4, 1
	s_and_saveexec_b64 s[24:25], s[4:5]
	s_cbranch_execz .LBB401_1290
; %bb.1287:                             ;   in Loop: Header=BB401_683 Depth=1
	v_and_b32_e32 v5, 0x7f, v2
	v_cmp_ne_u32_e64 s[4:5], s29, v5
	v_mov_b32_e32 v4, 0x7f800001
	s_and_saveexec_b64 s[26:27], s[4:5]
	s_cbranch_execz .LBB401_1289
; %bb.1288:                             ;   in Loop: Header=BB401_683 Depth=1
	v_and_b32_e32 v4, 7, v2
	v_ffbh_u32_e32 v4, v4
	v_min_u32_e32 v4, 32, v4
	v_lshrrev_b32_e32 v6, 3, v5
	v_subrev_u32_e32 v7, 28, v4
	v_sub_u32_e32 v4, 29, v4
	v_cmp_gt_u32_e64 s[4:5], 8, v5
	v_cndmask_b32_e64 v6, v6, v4, s[4:5]
	v_cndmask_b32_e64 v4, 0, v7, s[4:5]
	v_lshlrev_b64 v[4:5], v4, v[2:3]
	v_lshlrev_b32_e32 v4, 20, v4
	v_lshlrev_b32_e32 v5, 24, v2
	v_bfrev_b32_e32 v7, 60
	v_and_b32_e32 v4, 0x700000, v4
	v_and_b32_e32 v5, 0x80000000, v5
	v_lshl_add_u32 v6, v6, 23, v7
	v_or3_b32 v4, v5, v6, v4
.LBB401_1289:                           ;   in Loop: Header=BB401_683 Depth=1
	s_or_b64 exec, exec, s[26:27]
.LBB401_1290:                           ;   in Loop: Header=BB401_683 Depth=1
	s_or_b64 exec, exec, s[24:25]
.LBB401_1291:                           ;   in Loop: Header=BB401_683 Depth=1
	s_or_b64 exec, exec, s[12:13]
	v_mul_f32_e32 v5, v34, v4
	v_and_b32_e32 v4, 0x7f800000, v5
	v_cmp_ne_u32_e64 s[4:5], s15, v4
                                        ; implicit-def: $vgpr4
	s_and_saveexec_b64 s[12:13], s[4:5]
	s_xor_b64 s[4:5], exec, s[12:13]
; %bb.1292:                             ;   in Loop: Header=BB401_683 Depth=1
	v_bfe_u32 v4, v5, 16, 1
	v_add3_u32 v4, v5, v4, s21
                                        ; implicit-def: $vgpr5
; %bb.1293:                             ;   in Loop: Header=BB401_683 Depth=1
	s_andn2_saveexec_b64 s[12:13], s[4:5]
; %bb.1294:                             ;   in Loop: Header=BB401_683 Depth=1
	v_or_b32_e32 v4, 0x10000, v5
	v_cmp_eq_u32_sdwa s[4:5], v5, v11 src0_sel:WORD_0 src1_sel:DWORD
	v_cndmask_b32_e64 v4, v4, v5, s[4:5]
; %bb.1295:                             ;   in Loop: Header=BB401_683 Depth=1
	s_or_b64 exec, exec, s[12:13]
	v_lshrrev_b16_e32 v6, 8, v2
	v_cmp_ne_u16_e64 s[4:5], 0, v6
	v_mov_b32_e32 v5, 0
	s_and_saveexec_b64 s[12:13], s[4:5]
	s_cbranch_execz .LBB401_1301
; %bb.1296:                             ;   in Loop: Header=BB401_683 Depth=1
	v_cmp_ne_u16_e64 s[4:5], s28, v6
	v_bfrev_b32_e32 v5, 1
	s_and_saveexec_b64 s[24:25], s[4:5]
	s_cbranch_execz .LBB401_1300
; %bb.1297:                             ;   in Loop: Header=BB401_683 Depth=1
	v_and_b32_e32 v7, 0x7f, v6
	v_cmp_ne_u32_e64 s[4:5], s29, v7
	v_mov_b32_e32 v5, 0x7f800001
	s_and_saveexec_b64 s[26:27], s[4:5]
	s_cbranch_execz .LBB401_1299
; %bb.1298:                             ;   in Loop: Header=BB401_683 Depth=1
	v_and_b32_e32 v5, 7, v6
	v_ffbh_u32_e32 v8, v5
	v_min_u32_e32 v22, 32, v8
	v_subrev_u32_e32 v8, 28, v22
	v_lshlrev_b64 v[8:9], v8, v[6:7]
	v_lshrrev_b32_e32 v10, 3, v7
	v_sub_u32_e32 v6, 29, v22
	v_and_b32_e32 v8, 7, v8
	v_cmp_gt_u32_e64 s[4:5], 8, v7
	v_cndmask_b32_e64 v6, v10, v6, s[4:5]
	v_cndmask_b32_e64 v5, v5, v8, s[4:5]
	v_lshlrev_b32_e32 v7, 16, v2
	v_bfrev_b32_e32 v8, 60
	v_lshlrev_b32_e32 v5, 20, v5
	v_and_b32_e32 v7, 0x80000000, v7
	v_lshl_add_u32 v6, v6, 23, v8
	v_or3_b32 v5, v7, v6, v5
.LBB401_1299:                           ;   in Loop: Header=BB401_683 Depth=1
	s_or_b64 exec, exec, s[26:27]
.LBB401_1300:                           ;   in Loop: Header=BB401_683 Depth=1
	s_or_b64 exec, exec, s[24:25]
.LBB401_1301:                           ;   in Loop: Header=BB401_683 Depth=1
	s_or_b64 exec, exec, s[12:13]
	v_mul_f32_e32 v6, v34, v5
	v_and_b32_e32 v5, 0x7f800000, v6
	v_cmp_ne_u32_e64 s[4:5], s15, v5
                                        ; implicit-def: $vgpr5
	s_and_saveexec_b64 s[12:13], s[4:5]
	s_xor_b64 s[4:5], exec, s[12:13]
; %bb.1302:                             ;   in Loop: Header=BB401_683 Depth=1
	v_bfe_u32 v5, v6, 16, 1
	v_add3_u32 v5, v6, v5, s21
                                        ; implicit-def: $vgpr6
; %bb.1303:                             ;   in Loop: Header=BB401_683 Depth=1
	s_andn2_saveexec_b64 s[12:13], s[4:5]
; %bb.1304:                             ;   in Loop: Header=BB401_683 Depth=1
	v_or_b32_e32 v5, 0x10000, v6
	v_cmp_eq_u32_sdwa s[4:5], v6, v11 src0_sel:WORD_0 src1_sel:DWORD
	v_cndmask_b32_e64 v5, v5, v6, s[4:5]
; %bb.1305:                             ;   in Loop: Header=BB401_683 Depth=1
	s_or_b64 exec, exec, s[12:13]
	v_lshrrev_b32_e32 v6, 16, v2
	v_cmp_ne_u16_sdwa s[4:5], v6, v11 src0_sel:BYTE_0 src1_sel:DWORD
	v_mov_b32_e32 v7, 0
	s_and_saveexec_b64 s[12:13], s[4:5]
	s_cbranch_execz .LBB401_1311
; %bb.1306:                             ;   in Loop: Header=BB401_683 Depth=1
	v_cmp_ne_u16_sdwa s[4:5], v6, s28 src0_sel:BYTE_0 src1_sel:DWORD
	v_bfrev_b32_e32 v7, 1
	s_and_saveexec_b64 s[24:25], s[4:5]
	s_cbranch_execz .LBB401_1310
; %bb.1307:                             ;   in Loop: Header=BB401_683 Depth=1
	v_bfe_u32 v8, v2, 16, 7
	v_cmp_ne_u32_e64 s[4:5], s29, v8
	v_mov_b32_e32 v7, 0x7f800001
	s_and_saveexec_b64 s[26:27], s[4:5]
	s_cbranch_execz .LBB401_1309
; %bb.1308:                             ;   in Loop: Header=BB401_683 Depth=1
	v_and_b32_e32 v7, 7, v6
	v_ffbh_u32_e32 v10, v7
	v_min_u32_e32 v10, 32, v10
	v_subrev_u32_e32 v22, 28, v10
	v_lshlrev_b64 v[26:27], v22, v[6:7]
	v_lshrrev_b32_e32 v9, 3, v8
	v_sub_u32_e32 v10, 29, v10
	v_and_b32_e32 v22, 7, v26
	v_cmp_gt_u32_e64 s[4:5], 8, v8
	v_cndmask_b32_e64 v8, v9, v10, s[4:5]
	v_cndmask_b32_e64 v7, v7, v22, s[4:5]
	v_lshlrev_b32_e32 v6, 24, v6
	v_bfrev_b32_e32 v9, 60
	v_lshlrev_b32_e32 v7, 20, v7
	v_and_b32_e32 v6, 0x80000000, v6
	v_lshl_add_u32 v8, v8, 23, v9
	v_or3_b32 v7, v6, v8, v7
.LBB401_1309:                           ;   in Loop: Header=BB401_683 Depth=1
	s_or_b64 exec, exec, s[26:27]
.LBB401_1310:                           ;   in Loop: Header=BB401_683 Depth=1
	s_or_b64 exec, exec, s[24:25]
.LBB401_1311:                           ;   in Loop: Header=BB401_683 Depth=1
	s_or_b64 exec, exec, s[12:13]
	v_mul_f32_e32 v6, v34, v7
	v_and_b32_e32 v7, 0x7f800000, v6
	v_cmp_ne_u32_e64 s[4:5], s15, v7
                                        ; implicit-def: $vgpr26
	s_and_saveexec_b64 s[12:13], s[4:5]
	s_xor_b64 s[4:5], exec, s[12:13]
; %bb.1312:                             ;   in Loop: Header=BB401_683 Depth=1
	v_bfe_u32 v7, v6, 16, 1
	v_add3_u32 v26, v6, v7, s21
                                        ; implicit-def: $vgpr6
; %bb.1313:                             ;   in Loop: Header=BB401_683 Depth=1
	s_andn2_saveexec_b64 s[12:13], s[4:5]
; %bb.1314:                             ;   in Loop: Header=BB401_683 Depth=1
	v_or_b32_e32 v7, 0x10000, v6
	v_cmp_eq_u32_sdwa s[4:5], v6, v11 src0_sel:WORD_0 src1_sel:DWORD
	v_cndmask_b32_e64 v26, v7, v6, s[4:5]
; %bb.1315:                             ;   in Loop: Header=BB401_683 Depth=1
	s_or_b64 exec, exec, s[12:13]
	v_cmp_lt_u32_e64 s[4:5], s9, v2
	v_mov_b32_e32 v7, 0
	s_and_saveexec_b64 s[12:13], s[4:5]
	s_cbranch_execz .LBB401_1321
; %bb.1316:                             ;   in Loop: Header=BB401_683 Depth=1
	v_lshrrev_b32_e32 v6, 24, v2
	v_cmp_ne_u32_e64 s[4:5], s28, v6
	v_bfrev_b32_e32 v7, 1
	s_and_saveexec_b64 s[24:25], s[4:5]
	s_cbranch_execz .LBB401_1320
; %bb.1317:                             ;   in Loop: Header=BB401_683 Depth=1
	v_bfe_u32 v8, v2, 24, 7
	v_cmp_ne_u32_e64 s[4:5], s29, v8
	v_mov_b32_e32 v7, 0x7f800001
	s_and_saveexec_b64 s[26:27], s[4:5]
	s_cbranch_execz .LBB401_1319
; %bb.1318:                             ;   in Loop: Header=BB401_683 Depth=1
	v_and_b32_e32 v7, 7, v6
	v_ffbh_u32_e32 v10, v7
	v_min_u32_e32 v10, 32, v10
	v_subrev_u32_e32 v22, 28, v10
	v_lshlrev_b64 v[28:29], v22, v[6:7]
	v_lshrrev_b32_e32 v9, 3, v8
	v_sub_u32_e32 v10, 29, v10
	v_and_b32_e32 v22, 7, v28
	v_cmp_gt_u32_e64 s[4:5], 8, v8
	v_cndmask_b32_e64 v8, v9, v10, s[4:5]
	v_cndmask_b32_e64 v7, v7, v22, s[4:5]
	v_lshlrev_b32_e32 v6, 24, v6
	v_bfrev_b32_e32 v9, 60
	v_lshlrev_b32_e32 v7, 20, v7
	v_and_b32_e32 v6, 0x80000000, v6
	v_lshl_add_u32 v8, v8, 23, v9
	v_or3_b32 v7, v6, v8, v7
.LBB401_1319:                           ;   in Loop: Header=BB401_683 Depth=1
	s_or_b64 exec, exec, s[26:27]
.LBB401_1320:                           ;   in Loop: Header=BB401_683 Depth=1
	s_or_b64 exec, exec, s[24:25]
.LBB401_1321:                           ;   in Loop: Header=BB401_683 Depth=1
	s_or_b64 exec, exec, s[12:13]
	v_mul_f32_e32 v6, v34, v7
	v_and_b32_e32 v7, 0x7f800000, v6
	v_cmp_ne_u32_e64 s[4:5], s15, v7
                                        ; implicit-def: $vgpr7
	s_and_saveexec_b64 s[12:13], s[4:5]
	s_xor_b64 s[4:5], exec, s[12:13]
; %bb.1322:                             ;   in Loop: Header=BB401_683 Depth=1
	v_bfe_u32 v7, v6, 16, 1
	v_add3_u32 v7, v6, v7, s21
                                        ; implicit-def: $vgpr6
; %bb.1323:                             ;   in Loop: Header=BB401_683 Depth=1
	s_andn2_saveexec_b64 s[12:13], s[4:5]
; %bb.1324:                             ;   in Loop: Header=BB401_683 Depth=1
	v_or_b32_e32 v7, 0x10000, v6
	v_cmp_eq_u32_sdwa s[4:5], v6, v11 src0_sel:WORD_0 src1_sel:DWORD
	v_cndmask_b32_e64 v7, v7, v6, s[4:5]
; %bb.1325:                             ;   in Loop: Header=BB401_683 Depth=1
	s_or_b64 exec, exec, s[12:13]
	v_mov_b32_e32 v10, v3
	v_cmp_ne_u16_sdwa s[4:5], v3, v11 src0_sel:BYTE_0 src1_sel:DWORD
	v_mov_b32_e32 v6, 0
	s_and_saveexec_b64 s[12:13], s[4:5]
	s_cbranch_execz .LBB401_1331
; %bb.1326:                             ;   in Loop: Header=BB401_683 Depth=1
	v_cmp_ne_u16_sdwa s[4:5], v3, s28 src0_sel:BYTE_0 src1_sel:DWORD
	v_bfrev_b32_e32 v6, 1
	s_and_saveexec_b64 s[24:25], s[4:5]
	s_cbranch_execz .LBB401_1330
; %bb.1327:                             ;   in Loop: Header=BB401_683 Depth=1
	v_and_b32_e32 v8, 0x7f, v3
	v_cmp_ne_u32_e64 s[4:5], s29, v8
	v_mov_b32_e32 v6, 0x7f800001
	s_and_saveexec_b64 s[26:27], s[4:5]
	s_cbranch_execz .LBB401_1329
; %bb.1328:                             ;   in Loop: Header=BB401_683 Depth=1
	v_and_b32_e32 v6, 7, v3
	v_ffbh_u32_e32 v6, v6
	v_min_u32_e32 v6, 32, v6
	v_subrev_u32_e32 v22, 28, v6
	v_cmp_gt_u32_e64 s[4:5], 8, v8
	v_lshrrev_b32_e32 v9, 3, v8
	v_sub_u32_e32 v6, 29, v6
	v_cndmask_b32_e64 v8, 0, v22, s[4:5]
	v_cndmask_b32_e64 v6, v9, v6, s[4:5]
	v_lshlrev_b64 v[8:9], v8, v[10:11]
	v_lshlrev_b32_e32 v8, 20, v8
	v_lshlrev_b32_e32 v9, 24, v10
	v_bfrev_b32_e32 v22, 60
	v_and_b32_e32 v8, 0x700000, v8
	v_and_b32_e32 v9, 0x80000000, v9
	v_lshl_add_u32 v6, v6, 23, v22
	v_or3_b32 v6, v9, v6, v8
.LBB401_1329:                           ;   in Loop: Header=BB401_683 Depth=1
	s_or_b64 exec, exec, s[26:27]
.LBB401_1330:                           ;   in Loop: Header=BB401_683 Depth=1
	s_or_b64 exec, exec, s[24:25]
.LBB401_1331:                           ;   in Loop: Header=BB401_683 Depth=1
	s_or_b64 exec, exec, s[12:13]
	v_mul_f32_e32 v6, v34, v6
	v_and_b32_e32 v8, 0x7f800000, v6
	v_cmp_ne_u32_e64 s[4:5], s15, v8
                                        ; implicit-def: $vgpr22
	s_and_saveexec_b64 s[12:13], s[4:5]
	s_xor_b64 s[4:5], exec, s[12:13]
; %bb.1332:                             ;   in Loop: Header=BB401_683 Depth=1
	v_bfe_u32 v8, v6, 16, 1
	v_add3_u32 v22, v6, v8, s21
                                        ; implicit-def: $vgpr6
; %bb.1333:                             ;   in Loop: Header=BB401_683 Depth=1
	s_andn2_saveexec_b64 s[12:13], s[4:5]
; %bb.1334:                             ;   in Loop: Header=BB401_683 Depth=1
	v_or_b32_e32 v8, 0x10000, v6
	v_cmp_eq_u32_sdwa s[4:5], v6, v11 src0_sel:WORD_0 src1_sel:DWORD
	v_cndmask_b32_e64 v22, v8, v6, s[4:5]
; %bb.1335:                             ;   in Loop: Header=BB401_683 Depth=1
	s_or_b64 exec, exec, s[12:13]
	v_lshrrev_b16_e32 v6, 8, v10
	v_cmp_ne_u16_e64 s[4:5], 0, v6
	v_mov_b32_e32 v8, 0
	s_and_saveexec_b64 s[12:13], s[4:5]
	s_cbranch_execz .LBB401_1341
; %bb.1336:                             ;   in Loop: Header=BB401_683 Depth=1
	v_cmp_ne_u16_e64 s[4:5], s28, v6
	v_bfrev_b32_e32 v8, 1
	s_and_saveexec_b64 s[24:25], s[4:5]
	s_cbranch_execz .LBB401_1340
; %bb.1337:                             ;   in Loop: Header=BB401_683 Depth=1
	v_and_b32_e32 v9, 0x7f, v6
	v_cmp_ne_u32_e64 s[4:5], s29, v9
	v_mov_b32_e32 v8, 0x7f800001
	s_and_saveexec_b64 s[26:27], s[4:5]
	s_cbranch_execz .LBB401_1339
; %bb.1338:                             ;   in Loop: Header=BB401_683 Depth=1
	v_and_b32_e32 v8, 7, v6
	v_ffbh_u32_e32 v28, v8
	v_min_u32_e32 v30, 32, v28
	v_subrev_u32_e32 v28, 28, v30
	v_lshlrev_b64 v[28:29], v28, v[6:7]
	v_lshrrev_b32_e32 v27, 3, v9
	v_sub_u32_e32 v6, 29, v30
	v_and_b32_e32 v28, 7, v28
	v_cmp_gt_u32_e64 s[4:5], 8, v9
	v_cndmask_b32_e64 v6, v27, v6, s[4:5]
	v_cndmask_b32_e64 v8, v8, v28, s[4:5]
	v_lshlrev_b32_e32 v9, 16, v10
	v_bfrev_b32_e32 v10, 60
	v_lshlrev_b32_e32 v8, 20, v8
	v_and_b32_e32 v9, 0x80000000, v9
	v_lshl_add_u32 v6, v6, 23, v10
	v_or3_b32 v8, v9, v6, v8
.LBB401_1339:                           ;   in Loop: Header=BB401_683 Depth=1
	s_or_b64 exec, exec, s[26:27]
.LBB401_1340:                           ;   in Loop: Header=BB401_683 Depth=1
	s_or_b64 exec, exec, s[24:25]
.LBB401_1341:                           ;   in Loop: Header=BB401_683 Depth=1
	s_or_b64 exec, exec, s[12:13]
	v_mul_f32_e32 v6, v34, v8
	v_and_b32_e32 v8, 0x7f800000, v6
	v_cmp_ne_u32_e64 s[4:5], s15, v8
                                        ; implicit-def: $vgpr8
	s_and_saveexec_b64 s[12:13], s[4:5]
	s_xor_b64 s[4:5], exec, s[12:13]
; %bb.1342:                             ;   in Loop: Header=BB401_683 Depth=1
	v_bfe_u32 v8, v6, 16, 1
	v_add3_u32 v8, v6, v8, s21
                                        ; implicit-def: $vgpr6
; %bb.1343:                             ;   in Loop: Header=BB401_683 Depth=1
	s_andn2_saveexec_b64 s[12:13], s[4:5]
; %bb.1344:                             ;   in Loop: Header=BB401_683 Depth=1
	v_or_b32_e32 v8, 0x10000, v6
	v_cmp_eq_u32_sdwa s[4:5], v6, v11 src0_sel:WORD_0 src1_sel:DWORD
	v_cndmask_b32_e64 v8, v8, v6, s[4:5]
; %bb.1345:                             ;   in Loop: Header=BB401_683 Depth=1
	s_or_b64 exec, exec, s[12:13]
	v_lshrrev_b32_e32 v6, 16, v3
	v_cmp_ne_u16_sdwa s[4:5], v6, v11 src0_sel:BYTE_0 src1_sel:DWORD
	v_mov_b32_e32 v9, 0
	s_and_saveexec_b64 s[12:13], s[4:5]
	s_cbranch_execz .LBB401_1351
; %bb.1346:                             ;   in Loop: Header=BB401_683 Depth=1
	v_cmp_ne_u16_sdwa s[4:5], v6, s28 src0_sel:BYTE_0 src1_sel:DWORD
	v_bfrev_b32_e32 v9, 1
	s_and_saveexec_b64 s[24:25], s[4:5]
	s_cbranch_execz .LBB401_1350
; %bb.1347:                             ;   in Loop: Header=BB401_683 Depth=1
	v_bfe_u32 v10, v3, 16, 7
	v_cmp_ne_u32_e64 s[4:5], s29, v10
	v_mov_b32_e32 v9, 0x7f800001
	s_and_saveexec_b64 s[26:27], s[4:5]
	s_cbranch_execz .LBB401_1349
; %bb.1348:                             ;   in Loop: Header=BB401_683 Depth=1
	v_and_b32_e32 v9, 7, v6
	v_ffbh_u32_e32 v28, v9
	v_min_u32_e32 v30, 32, v28
	v_subrev_u32_e32 v28, 28, v30
	v_lshlrev_b64 v[28:29], v28, v[6:7]
	v_lshrrev_b32_e32 v27, 3, v10
	v_sub_u32_e32 v29, 29, v30
	v_and_b32_e32 v28, 7, v28
	v_cmp_gt_u32_e64 s[4:5], 8, v10
	v_cndmask_b32_e64 v10, v27, v29, s[4:5]
	v_cndmask_b32_e64 v9, v9, v28, s[4:5]
	v_lshlrev_b32_e32 v6, 24, v6
	v_bfrev_b32_e32 v27, 60
	v_lshlrev_b32_e32 v9, 20, v9
	v_and_b32_e32 v6, 0x80000000, v6
	v_lshl_add_u32 v10, v10, 23, v27
	v_or3_b32 v9, v6, v10, v9
.LBB401_1349:                           ;   in Loop: Header=BB401_683 Depth=1
	s_or_b64 exec, exec, s[26:27]
.LBB401_1350:                           ;   in Loop: Header=BB401_683 Depth=1
	s_or_b64 exec, exec, s[24:25]
.LBB401_1351:                           ;   in Loop: Header=BB401_683 Depth=1
	s_or_b64 exec, exec, s[12:13]
	v_mul_f32_e32 v6, v34, v9
	v_and_b32_e32 v9, 0x7f800000, v6
	v_cmp_ne_u32_e64 s[4:5], s15, v9
                                        ; implicit-def: $vgpr9
	s_and_saveexec_b64 s[12:13], s[4:5]
	s_xor_b64 s[4:5], exec, s[12:13]
; %bb.1352:                             ;   in Loop: Header=BB401_683 Depth=1
	v_bfe_u32 v9, v6, 16, 1
	v_add3_u32 v9, v6, v9, s21
                                        ; implicit-def: $vgpr6
; %bb.1353:                             ;   in Loop: Header=BB401_683 Depth=1
	s_andn2_saveexec_b64 s[12:13], s[4:5]
; %bb.1354:                             ;   in Loop: Header=BB401_683 Depth=1
	v_or_b32_e32 v9, 0x10000, v6
	v_cmp_eq_u32_sdwa s[4:5], v6, v11 src0_sel:WORD_0 src1_sel:DWORD
	v_cndmask_b32_e64 v9, v9, v6, s[4:5]
; %bb.1355:                             ;   in Loop: Header=BB401_683 Depth=1
	s_or_b64 exec, exec, s[12:13]
	v_cmp_lt_u64_e64 s[4:5], s[8:9], v[2:3]
	v_mov_b32_e32 v6, 0
	s_and_saveexec_b64 s[12:13], s[4:5]
	s_cbranch_execz .LBB401_1361
; %bb.1356:                             ;   in Loop: Header=BB401_683 Depth=1
	v_lshrrev_b32_e32 v2, 24, v3
	v_cmp_ne_u32_e64 s[4:5], s28, v2
	v_bfrev_b32_e32 v6, 1
	s_and_saveexec_b64 s[24:25], s[4:5]
	s_cbranch_execz .LBB401_1360
; %bb.1357:                             ;   in Loop: Header=BB401_683 Depth=1
	v_bfe_u32 v3, v3, 24, 7
	v_cmp_ne_u32_e64 s[4:5], s29, v3
	v_mov_b32_e32 v6, 0x7f800001
	s_and_saveexec_b64 s[26:27], s[4:5]
	s_cbranch_execz .LBB401_1359
; %bb.1358:                             ;   in Loop: Header=BB401_683 Depth=1
	v_and_b32_e32 v6, 7, v2
	v_ffbh_u32_e32 v27, v6
	v_min_u32_e32 v27, 32, v27
	v_subrev_u32_e32 v28, 28, v27
	v_lshlrev_b64 v[28:29], v28, v[2:3]
	v_lshrrev_b32_e32 v10, 3, v3
	v_sub_u32_e32 v27, 29, v27
	v_and_b32_e32 v28, 7, v28
	v_cmp_gt_u32_e64 s[4:5], 8, v3
	v_cndmask_b32_e64 v3, v10, v27, s[4:5]
	v_cndmask_b32_e64 v6, v6, v28, s[4:5]
	v_lshlrev_b32_e32 v2, 24, v2
	v_bfrev_b32_e32 v10, 60
	v_lshlrev_b32_e32 v6, 20, v6
	v_and_b32_e32 v2, 0x80000000, v2
	v_lshl_add_u32 v3, v3, 23, v10
	v_or3_b32 v6, v2, v3, v6
.LBB401_1359:                           ;   in Loop: Header=BB401_683 Depth=1
	s_or_b64 exec, exec, s[26:27]
.LBB401_1360:                           ;   in Loop: Header=BB401_683 Depth=1
	s_or_b64 exec, exec, s[24:25]
.LBB401_1361:                           ;   in Loop: Header=BB401_683 Depth=1
	s_or_b64 exec, exec, s[12:13]
	v_mul_f32_e32 v3, v34, v6
	v_and_b32_e32 v2, 0x7f800000, v3
	v_cmp_ne_u32_e64 s[4:5], s15, v2
                                        ; implicit-def: $vgpr2
	s_and_saveexec_b64 s[12:13], s[4:5]
	s_xor_b64 s[4:5], exec, s[12:13]
; %bb.1362:                             ;   in Loop: Header=BB401_683 Depth=1
	v_bfe_u32 v2, v3, 16, 1
	v_add3_u32 v2, v3, v2, s21
                                        ; implicit-def: $vgpr3
; %bb.1363:                             ;   in Loop: Header=BB401_683 Depth=1
	s_andn2_saveexec_b64 s[12:13], s[4:5]
; %bb.1364:                             ;   in Loop: Header=BB401_683 Depth=1
	v_or_b32_e32 v2, 0x10000, v3
	v_cmp_eq_u32_sdwa s[4:5], v3, v11 src0_sel:WORD_0 src1_sel:DWORD
	v_cndmask_b32_e64 v2, v2, v3, s[4:5]
; %bb.1365:                             ;   in Loop: Header=BB401_683 Depth=1
	s_or_b64 exec, exec, s[12:13]
	v_lshrrev_b32_e32 v6, 16, v8
	v_lshrrev_b32_e32 v8, 16, v22
	;; [unrolled: 1-line block ×8, first 2 shown]
	s_and_saveexec_b64 s[12:13], vcc
	s_cbranch_execz .LBB401_1367
; %bb.1366:                             ;   in Loop: Header=BB401_683 Depth=1
	v_cmp_lt_i32_e64 s[4:5], v37, v32
	v_accvgpr_read_b32 v9, a26
	v_cndmask_b32_e64 v4, 0, v4, s[4:5]
	v_cmp_lt_i32_e64 s[4:5], v9, v32
	v_accvgpr_read_b32 v9, a25
	v_cndmask_b32_e64 v5, 0, v5, s[4:5]
	;; [unrolled: 3-line block ×6, first 2 shown]
	v_cmp_lt_i32_e64 s[4:5], v9, v32
	v_cndmask_b32_e64 v3, 0, v3, s[4:5]
	v_cmp_lt_i32_e64 s[4:5], v17, v32
	v_cndmask_b32_e64 v2, 0, v2, s[4:5]
.LBB401_1367:                           ;   in Loop: Header=BB401_683 Depth=1
	s_or_b64 exec, exec, s[12:13]
	v_lshlrev_b32_e32 v4, 16, v4
	v_mul_f32_e32 v9, v42, v4
	v_and_b32_e32 v4, 0x7f800000, v9
	v_cmp_ne_u32_e64 s[4:5], s15, v4
                                        ; implicit-def: $vgpr4
	s_and_saveexec_b64 s[12:13], s[4:5]
	s_xor_b64 s[4:5], exec, s[12:13]
; %bb.1368:                             ;   in Loop: Header=BB401_683 Depth=1
	v_bfe_u32 v4, v9, 16, 1
	v_add3_u32 v4, v9, v4, s21
                                        ; implicit-def: $vgpr9
; %bb.1369:                             ;   in Loop: Header=BB401_683 Depth=1
	s_andn2_saveexec_b64 s[12:13], s[4:5]
; %bb.1370:                             ;   in Loop: Header=BB401_683 Depth=1
	v_or_b32_e32 v4, 0x10000, v9
	v_cmp_eq_u32_sdwa s[4:5], v9, v11 src0_sel:WORD_0 src1_sel:DWORD
	v_cndmask_b32_e64 v4, v4, v9, s[4:5]
; %bb.1371:                             ;   in Loop: Header=BB401_683 Depth=1
	s_or_b64 exec, exec, s[12:13]
	v_lshlrev_b32_e32 v5, 16, v5
	v_mul_f32_e32 v5, v43, v5
	v_and_b32_e32 v9, 0x7f800000, v5
	v_cmp_ne_u32_e64 s[4:5], s15, v9
                                        ; implicit-def: $vgpr51
	s_and_saveexec_b64 s[12:13], s[4:5]
	s_xor_b64 s[4:5], exec, s[12:13]
; %bb.1372:                             ;   in Loop: Header=BB401_683 Depth=1
	v_bfe_u32 v9, v5, 16, 1
	v_add3_u32 v51, v5, v9, s21
                                        ; implicit-def: $vgpr5
; %bb.1373:                             ;   in Loop: Header=BB401_683 Depth=1
	s_andn2_saveexec_b64 s[12:13], s[4:5]
; %bb.1374:                             ;   in Loop: Header=BB401_683 Depth=1
	v_or_b32_e32 v9, 0x10000, v5
	v_cmp_eq_u32_sdwa s[4:5], v5, v11 src0_sel:WORD_0 src1_sel:DWORD
	v_cndmask_b32_e64 v51, v9, v5, s[4:5]
; %bb.1375:                             ;   in Loop: Header=BB401_683 Depth=1
	s_or_b64 exec, exec, s[12:13]
	v_lshlrev_b32_e32 v5, 16, v10
	v_mul_f32_e32 v5, v44, v5
	v_and_b32_e32 v9, 0x7f800000, v5
	v_cmp_ne_u32_e64 s[4:5], s15, v9
                                        ; implicit-def: $vgpr52
	s_and_saveexec_b64 s[12:13], s[4:5]
	s_xor_b64 s[4:5], exec, s[12:13]
; %bb.1376:                             ;   in Loop: Header=BB401_683 Depth=1
	v_bfe_u32 v9, v5, 16, 1
	v_add3_u32 v52, v5, v9, s21
                                        ; implicit-def: $vgpr5
; %bb.1377:                             ;   in Loop: Header=BB401_683 Depth=1
	s_andn2_saveexec_b64 s[12:13], s[4:5]
; %bb.1378:                             ;   in Loop: Header=BB401_683 Depth=1
	v_or_b32_e32 v9, 0x10000, v5
	v_cmp_eq_u32_sdwa s[4:5], v5, v11 src0_sel:WORD_0 src1_sel:DWORD
	v_cndmask_b32_e64 v52, v9, v5, s[4:5]
; %bb.1379:                             ;   in Loop: Header=BB401_683 Depth=1
	s_or_b64 exec, exec, s[12:13]
	v_lshlrev_b32_e32 v5, 16, v7
	v_mul_f32_e32 v5, v45, v5
	v_and_b32_e32 v7, 0x7f800000, v5
	v_cmp_ne_u32_e64 s[4:5], s15, v7
                                        ; implicit-def: $vgpr53
	s_and_saveexec_b64 s[12:13], s[4:5]
	s_xor_b64 s[4:5], exec, s[12:13]
; %bb.1380:                             ;   in Loop: Header=BB401_683 Depth=1
	v_bfe_u32 v7, v5, 16, 1
	v_add3_u32 v53, v5, v7, s21
                                        ; implicit-def: $vgpr5
; %bb.1381:                             ;   in Loop: Header=BB401_683 Depth=1
	s_andn2_saveexec_b64 s[12:13], s[4:5]
; %bb.1382:                             ;   in Loop: Header=BB401_683 Depth=1
	v_or_b32_e32 v7, 0x10000, v5
	v_cmp_eq_u32_sdwa s[4:5], v5, v11 src0_sel:WORD_0 src1_sel:DWORD
	v_cndmask_b32_e64 v53, v7, v5, s[4:5]
; %bb.1383:                             ;   in Loop: Header=BB401_683 Depth=1
	s_or_b64 exec, exec, s[12:13]
	v_lshlrev_b32_e32 v5, 16, v8
	v_mul_f32_e32 v5, v46, v5
	v_and_b32_e32 v7, 0x7f800000, v5
	v_cmp_ne_u32_e64 s[4:5], s15, v7
                                        ; implicit-def: $vgpr54
	s_and_saveexec_b64 s[12:13], s[4:5]
	s_xor_b64 s[4:5], exec, s[12:13]
; %bb.1384:                             ;   in Loop: Header=BB401_683 Depth=1
	v_bfe_u32 v7, v5, 16, 1
	v_add3_u32 v54, v5, v7, s21
                                        ; implicit-def: $vgpr5
; %bb.1385:                             ;   in Loop: Header=BB401_683 Depth=1
	s_andn2_saveexec_b64 s[12:13], s[4:5]
; %bb.1386:                             ;   in Loop: Header=BB401_683 Depth=1
	v_or_b32_e32 v7, 0x10000, v5
	v_cmp_eq_u32_sdwa s[4:5], v5, v11 src0_sel:WORD_0 src1_sel:DWORD
	v_cndmask_b32_e64 v54, v7, v5, s[4:5]
; %bb.1387:                             ;   in Loop: Header=BB401_683 Depth=1
	s_or_b64 exec, exec, s[12:13]
	v_lshlrev_b32_e32 v5, 16, v6
	v_mul_f32_e32 v5, v47, v5
	v_and_b32_e32 v6, 0x7f800000, v5
	v_cmp_ne_u32_e64 s[4:5], s15, v6
                                        ; implicit-def: $vgpr55
	s_and_saveexec_b64 s[12:13], s[4:5]
	s_xor_b64 s[4:5], exec, s[12:13]
; %bb.1388:                             ;   in Loop: Header=BB401_683 Depth=1
	v_bfe_u32 v6, v5, 16, 1
	v_add3_u32 v55, v5, v6, s21
                                        ; implicit-def: $vgpr5
; %bb.1389:                             ;   in Loop: Header=BB401_683 Depth=1
	s_andn2_saveexec_b64 s[12:13], s[4:5]
; %bb.1390:                             ;   in Loop: Header=BB401_683 Depth=1
	v_or_b32_e32 v6, 0x10000, v5
	v_cmp_eq_u32_sdwa s[4:5], v5, v11 src0_sel:WORD_0 src1_sel:DWORD
	v_cndmask_b32_e64 v55, v6, v5, s[4:5]
; %bb.1391:                             ;   in Loop: Header=BB401_683 Depth=1
	s_or_b64 exec, exec, s[12:13]
	v_lshlrev_b32_e32 v3, 16, v3
	v_mul_f32_e32 v3, v56, v3
	v_and_b32_e32 v5, 0x7f800000, v3
	v_cmp_ne_u32_e64 s[4:5], s15, v5
                                        ; implicit-def: $vgpr40
	s_and_saveexec_b64 s[12:13], s[4:5]
	s_xor_b64 s[4:5], exec, s[12:13]
; %bb.1392:                             ;   in Loop: Header=BB401_683 Depth=1
	v_bfe_u32 v5, v3, 16, 1
	v_add3_u32 v40, v3, v5, s21
                                        ; implicit-def: $vgpr3
; %bb.1393:                             ;   in Loop: Header=BB401_683 Depth=1
	s_andn2_saveexec_b64 s[12:13], s[4:5]
; %bb.1394:                             ;   in Loop: Header=BB401_683 Depth=1
	v_or_b32_e32 v5, 0x10000, v3
	v_cmp_eq_u32_sdwa s[4:5], v3, v11 src0_sel:WORD_0 src1_sel:DWORD
	v_cndmask_b32_e64 v40, v5, v3, s[4:5]
; %bb.1395:                             ;   in Loop: Header=BB401_683 Depth=1
	s_or_b64 exec, exec, s[12:13]
	v_lshlrev_b32_e32 v2, 16, v2
	v_mul_f32_e32 v2, v57, v2
	v_and_b32_e32 v3, 0x7f800000, v2
	v_cmp_ne_u32_e64 s[4:5], s15, v3
                                        ; implicit-def: $vgpr41
	s_and_saveexec_b64 s[12:13], s[4:5]
	s_xor_b64 s[4:5], exec, s[12:13]
; %bb.1396:                             ;   in Loop: Header=BB401_683 Depth=1
	v_bfe_u32 v3, v2, 16, 1
	v_add3_u32 v41, v2, v3, s21
                                        ; implicit-def: $vgpr2
; %bb.1397:                             ;   in Loop: Header=BB401_683 Depth=1
	s_andn2_saveexec_b64 s[12:13], s[4:5]
; %bb.1398:                             ;   in Loop: Header=BB401_683 Depth=1
	v_or_b32_e32 v3, 0x10000, v2
	v_cmp_eq_u32_sdwa s[4:5], v2, v11 src0_sel:WORD_0 src1_sel:DWORD
	v_cndmask_b32_e64 v41, v3, v2, s[4:5]
; %bb.1399:                             ;   in Loop: Header=BB401_683 Depth=1
	s_or_b64 exec, exec, s[12:13]
	flat_load_dwordx2 v[2:3], v[0:1] offset:3072
	v_mov_b32_e32 v5, 0
	s_waitcnt vmcnt(0) lgkmcnt(0)
	v_cmp_ne_u16_sdwa s[4:5], v2, v11 src0_sel:BYTE_0 src1_sel:DWORD
	s_and_saveexec_b64 s[12:13], s[4:5]
	s_cbranch_execz .LBB401_1405
; %bb.1400:                             ;   in Loop: Header=BB401_683 Depth=1
	v_cmp_ne_u16_sdwa s[4:5], v2, s28 src0_sel:BYTE_0 src1_sel:DWORD
	v_bfrev_b32_e32 v5, 1
	s_and_saveexec_b64 s[24:25], s[4:5]
	s_cbranch_execz .LBB401_1404
; %bb.1401:                             ;   in Loop: Header=BB401_683 Depth=1
	v_and_b32_e32 v6, 0x7f, v2
	v_cmp_ne_u32_e64 s[4:5], s29, v6
	v_mov_b32_e32 v5, 0x7f800001
	s_and_saveexec_b64 s[26:27], s[4:5]
	s_cbranch_execz .LBB401_1403
; %bb.1402:                             ;   in Loop: Header=BB401_683 Depth=1
	v_and_b32_e32 v5, 7, v2
	v_ffbh_u32_e32 v5, v5
	v_min_u32_e32 v5, 32, v5
	v_subrev_u32_e32 v8, 28, v5
	v_cmp_gt_u32_e64 s[4:5], 8, v6
	v_lshrrev_b32_e32 v7, 3, v6
	v_sub_u32_e32 v5, 29, v5
	v_cndmask_b32_e64 v6, 0, v8, s[4:5]
	v_cndmask_b32_e64 v5, v7, v5, s[4:5]
	v_lshlrev_b64 v[6:7], v6, v[2:3]
	v_lshlrev_b32_e32 v6, 20, v6
	v_lshlrev_b32_e32 v7, 24, v2
	v_bfrev_b32_e32 v8, 60
	v_and_b32_e32 v6, 0x700000, v6
	v_and_b32_e32 v7, 0x80000000, v7
	v_lshl_add_u32 v5, v5, 23, v8
	v_or3_b32 v5, v7, v5, v6
.LBB401_1403:                           ;   in Loop: Header=BB401_683 Depth=1
	s_or_b64 exec, exec, s[26:27]
.LBB401_1404:                           ;   in Loop: Header=BB401_683 Depth=1
	s_or_b64 exec, exec, s[24:25]
.LBB401_1405:                           ;   in Loop: Header=BB401_683 Depth=1
	s_or_b64 exec, exec, s[12:13]
	v_mul_f32_e32 v6, v34, v5
	v_and_b32_e32 v5, 0x7f800000, v6
	v_cmp_ne_u32_e64 s[4:5], s15, v5
                                        ; implicit-def: $vgpr5
	s_and_saveexec_b64 s[12:13], s[4:5]
	s_xor_b64 s[4:5], exec, s[12:13]
; %bb.1406:                             ;   in Loop: Header=BB401_683 Depth=1
	v_bfe_u32 v5, v6, 16, 1
	v_add3_u32 v5, v6, v5, s21
                                        ; implicit-def: $vgpr6
; %bb.1407:                             ;   in Loop: Header=BB401_683 Depth=1
	s_andn2_saveexec_b64 s[12:13], s[4:5]
; %bb.1408:                             ;   in Loop: Header=BB401_683 Depth=1
	v_or_b32_e32 v5, 0x10000, v6
	v_cmp_eq_u32_sdwa s[4:5], v6, v11 src0_sel:WORD_0 src1_sel:DWORD
	v_cndmask_b32_e64 v5, v5, v6, s[4:5]
; %bb.1409:                             ;   in Loop: Header=BB401_683 Depth=1
	s_or_b64 exec, exec, s[12:13]
	v_lshrrev_b16_e32 v6, 8, v2
	v_cmp_ne_u16_e64 s[4:5], 0, v6
	v_mov_b32_e32 v7, 0
	s_and_saveexec_b64 s[12:13], s[4:5]
	s_cbranch_execz .LBB401_1415
; %bb.1410:                             ;   in Loop: Header=BB401_683 Depth=1
	v_cmp_ne_u16_e64 s[4:5], s28, v6
	v_bfrev_b32_e32 v7, 1
	s_and_saveexec_b64 s[24:25], s[4:5]
	s_cbranch_execz .LBB401_1414
; %bb.1411:                             ;   in Loop: Header=BB401_683 Depth=1
	v_and_b32_e32 v8, 0x7f, v6
	v_cmp_ne_u32_e64 s[4:5], s29, v8
	v_mov_b32_e32 v7, 0x7f800001
	s_and_saveexec_b64 s[26:27], s[4:5]
	s_cbranch_execz .LBB401_1413
; %bb.1412:                             ;   in Loop: Header=BB401_683 Depth=1
	v_and_b32_e32 v9, 7, v6
	v_ffbh_u32_e32 v7, v9
	v_min_u32_e32 v22, 32, v7
	v_subrev_u32_e32 v7, 28, v22
	v_lshlrev_b64 v[6:7], v7, v[6:7]
	v_lshrrev_b32_e32 v10, 3, v8
	v_sub_u32_e32 v7, 29, v22
	v_and_b32_e32 v6, 7, v6
	v_cmp_gt_u32_e64 s[4:5], 8, v8
	v_cndmask_b32_e64 v7, v10, v7, s[4:5]
	v_cndmask_b32_e64 v6, v9, v6, s[4:5]
	v_lshlrev_b32_e32 v8, 16, v2
	v_bfrev_b32_e32 v9, 60
	v_lshlrev_b32_e32 v6, 20, v6
	v_and_b32_e32 v8, 0x80000000, v8
	v_lshl_add_u32 v7, v7, 23, v9
	v_or3_b32 v7, v8, v7, v6
.LBB401_1413:                           ;   in Loop: Header=BB401_683 Depth=1
	s_or_b64 exec, exec, s[26:27]
.LBB401_1414:                           ;   in Loop: Header=BB401_683 Depth=1
	s_or_b64 exec, exec, s[24:25]
.LBB401_1415:                           ;   in Loop: Header=BB401_683 Depth=1
	s_or_b64 exec, exec, s[12:13]
	v_mul_f32_e32 v6, v34, v7
	v_and_b32_e32 v7, 0x7f800000, v6
	v_cmp_ne_u32_e64 s[4:5], s15, v7
                                        ; implicit-def: $vgpr26
	s_and_saveexec_b64 s[12:13], s[4:5]
	s_xor_b64 s[4:5], exec, s[12:13]
; %bb.1416:                             ;   in Loop: Header=BB401_683 Depth=1
	v_bfe_u32 v7, v6, 16, 1
	v_add3_u32 v26, v6, v7, s21
                                        ; implicit-def: $vgpr6
; %bb.1417:                             ;   in Loop: Header=BB401_683 Depth=1
	s_andn2_saveexec_b64 s[12:13], s[4:5]
; %bb.1418:                             ;   in Loop: Header=BB401_683 Depth=1
	v_or_b32_e32 v7, 0x10000, v6
	v_cmp_eq_u32_sdwa s[4:5], v6, v11 src0_sel:WORD_0 src1_sel:DWORD
	v_cndmask_b32_e64 v26, v7, v6, s[4:5]
; %bb.1419:                             ;   in Loop: Header=BB401_683 Depth=1
	s_or_b64 exec, exec, s[12:13]
	v_lshrrev_b32_e32 v6, 16, v2
	v_cmp_ne_u16_sdwa s[4:5], v6, v11 src0_sel:BYTE_0 src1_sel:DWORD
	v_mov_b32_e32 v7, 0
	s_and_saveexec_b64 s[12:13], s[4:5]
	s_cbranch_execz .LBB401_1425
; %bb.1420:                             ;   in Loop: Header=BB401_683 Depth=1
	v_cmp_ne_u16_sdwa s[4:5], v6, s28 src0_sel:BYTE_0 src1_sel:DWORD
	v_bfrev_b32_e32 v7, 1
	s_and_saveexec_b64 s[24:25], s[4:5]
	s_cbranch_execz .LBB401_1424
; %bb.1421:                             ;   in Loop: Header=BB401_683 Depth=1
	v_bfe_u32 v8, v2, 16, 7
	v_cmp_ne_u32_e64 s[4:5], s29, v8
	v_mov_b32_e32 v7, 0x7f800001
	s_and_saveexec_b64 s[26:27], s[4:5]
	s_cbranch_execz .LBB401_1423
; %bb.1422:                             ;   in Loop: Header=BB401_683 Depth=1
	v_and_b32_e32 v7, 7, v6
	v_ffbh_u32_e32 v10, v7
	v_min_u32_e32 v10, 32, v10
	v_subrev_u32_e32 v22, 28, v10
	v_lshlrev_b64 v[28:29], v22, v[6:7]
	v_lshrrev_b32_e32 v9, 3, v8
	v_sub_u32_e32 v10, 29, v10
	v_and_b32_e32 v22, 7, v28
	v_cmp_gt_u32_e64 s[4:5], 8, v8
	v_cndmask_b32_e64 v8, v9, v10, s[4:5]
	v_cndmask_b32_e64 v7, v7, v22, s[4:5]
	v_lshlrev_b32_e32 v6, 24, v6
	v_bfrev_b32_e32 v9, 60
	v_lshlrev_b32_e32 v7, 20, v7
	v_and_b32_e32 v6, 0x80000000, v6
	v_lshl_add_u32 v8, v8, 23, v9
	v_or3_b32 v7, v6, v8, v7
.LBB401_1423:                           ;   in Loop: Header=BB401_683 Depth=1
	s_or_b64 exec, exec, s[26:27]
.LBB401_1424:                           ;   in Loop: Header=BB401_683 Depth=1
	s_or_b64 exec, exec, s[24:25]
.LBB401_1425:                           ;   in Loop: Header=BB401_683 Depth=1
	s_or_b64 exec, exec, s[12:13]
	v_mul_f32_e32 v6, v34, v7
	v_and_b32_e32 v7, 0x7f800000, v6
	v_cmp_ne_u32_e64 s[4:5], s15, v7
                                        ; implicit-def: $vgpr27
	s_and_saveexec_b64 s[12:13], s[4:5]
	s_xor_b64 s[4:5], exec, s[12:13]
; %bb.1426:                             ;   in Loop: Header=BB401_683 Depth=1
	v_bfe_u32 v7, v6, 16, 1
	v_add3_u32 v27, v6, v7, s21
                                        ; implicit-def: $vgpr6
; %bb.1427:                             ;   in Loop: Header=BB401_683 Depth=1
	s_andn2_saveexec_b64 s[12:13], s[4:5]
; %bb.1428:                             ;   in Loop: Header=BB401_683 Depth=1
	v_or_b32_e32 v7, 0x10000, v6
	v_cmp_eq_u32_sdwa s[4:5], v6, v11 src0_sel:WORD_0 src1_sel:DWORD
	v_cndmask_b32_e64 v27, v7, v6, s[4:5]
; %bb.1429:                             ;   in Loop: Header=BB401_683 Depth=1
	s_or_b64 exec, exec, s[12:13]
	v_cmp_lt_u32_e64 s[4:5], s9, v2
	v_mov_b32_e32 v7, 0
	s_and_saveexec_b64 s[12:13], s[4:5]
	s_cbranch_execz .LBB401_1435
; %bb.1430:                             ;   in Loop: Header=BB401_683 Depth=1
	v_lshrrev_b32_e32 v6, 24, v2
	v_cmp_ne_u32_e64 s[4:5], s28, v6
	v_bfrev_b32_e32 v7, 1
	s_and_saveexec_b64 s[24:25], s[4:5]
	s_cbranch_execz .LBB401_1434
; %bb.1431:                             ;   in Loop: Header=BB401_683 Depth=1
	v_bfe_u32 v8, v2, 24, 7
	v_cmp_ne_u32_e64 s[4:5], s29, v8
	v_mov_b32_e32 v7, 0x7f800001
	s_and_saveexec_b64 s[26:27], s[4:5]
	s_cbranch_execz .LBB401_1433
; %bb.1432:                             ;   in Loop: Header=BB401_683 Depth=1
	v_and_b32_e32 v7, 7, v6
	v_ffbh_u32_e32 v10, v7
	v_min_u32_e32 v10, 32, v10
	v_subrev_u32_e32 v22, 28, v10
	v_lshlrev_b64 v[28:29], v22, v[6:7]
	v_lshrrev_b32_e32 v9, 3, v8
	v_sub_u32_e32 v10, 29, v10
	v_and_b32_e32 v22, 7, v28
	v_cmp_gt_u32_e64 s[4:5], 8, v8
	v_cndmask_b32_e64 v8, v9, v10, s[4:5]
	v_cndmask_b32_e64 v7, v7, v22, s[4:5]
	v_lshlrev_b32_e32 v6, 24, v6
	v_bfrev_b32_e32 v9, 60
	v_lshlrev_b32_e32 v7, 20, v7
	v_and_b32_e32 v6, 0x80000000, v6
	v_lshl_add_u32 v8, v8, 23, v9
	v_or3_b32 v7, v6, v8, v7
.LBB401_1433:                           ;   in Loop: Header=BB401_683 Depth=1
	s_or_b64 exec, exec, s[26:27]
.LBB401_1434:                           ;   in Loop: Header=BB401_683 Depth=1
	s_or_b64 exec, exec, s[24:25]
.LBB401_1435:                           ;   in Loop: Header=BB401_683 Depth=1
	s_or_b64 exec, exec, s[12:13]
	v_mul_f32_e32 v6, v34, v7
	v_and_b32_e32 v7, 0x7f800000, v6
	v_cmp_ne_u32_e64 s[4:5], s15, v7
                                        ; implicit-def: $vgpr7
	s_and_saveexec_b64 s[12:13], s[4:5]
	s_xor_b64 s[4:5], exec, s[12:13]
; %bb.1436:                             ;   in Loop: Header=BB401_683 Depth=1
	v_bfe_u32 v7, v6, 16, 1
	v_add3_u32 v7, v6, v7, s21
                                        ; implicit-def: $vgpr6
; %bb.1437:                             ;   in Loop: Header=BB401_683 Depth=1
	s_andn2_saveexec_b64 s[12:13], s[4:5]
; %bb.1438:                             ;   in Loop: Header=BB401_683 Depth=1
	v_or_b32_e32 v7, 0x10000, v6
	v_cmp_eq_u32_sdwa s[4:5], v6, v11 src0_sel:WORD_0 src1_sel:DWORD
	v_cndmask_b32_e64 v7, v7, v6, s[4:5]
; %bb.1439:                             ;   in Loop: Header=BB401_683 Depth=1
	s_or_b64 exec, exec, s[12:13]
	v_mov_b32_e32 v10, v3
	v_cmp_ne_u16_sdwa s[4:5], v3, v11 src0_sel:BYTE_0 src1_sel:DWORD
	v_mov_b32_e32 v6, 0
	s_and_saveexec_b64 s[12:13], s[4:5]
	s_cbranch_execz .LBB401_1445
; %bb.1440:                             ;   in Loop: Header=BB401_683 Depth=1
	v_cmp_ne_u16_sdwa s[4:5], v3, s28 src0_sel:BYTE_0 src1_sel:DWORD
	v_bfrev_b32_e32 v6, 1
	s_and_saveexec_b64 s[24:25], s[4:5]
	s_cbranch_execz .LBB401_1444
; %bb.1441:                             ;   in Loop: Header=BB401_683 Depth=1
	v_and_b32_e32 v8, 0x7f, v3
	v_cmp_ne_u32_e64 s[4:5], s29, v8
	v_mov_b32_e32 v6, 0x7f800001
	s_and_saveexec_b64 s[26:27], s[4:5]
	s_cbranch_execz .LBB401_1443
; %bb.1442:                             ;   in Loop: Header=BB401_683 Depth=1
	v_and_b32_e32 v6, 7, v3
	v_ffbh_u32_e32 v6, v6
	v_min_u32_e32 v6, 32, v6
	v_subrev_u32_e32 v22, 28, v6
	v_cmp_gt_u32_e64 s[4:5], 8, v8
	v_lshrrev_b32_e32 v9, 3, v8
	v_sub_u32_e32 v6, 29, v6
	v_cndmask_b32_e64 v8, 0, v22, s[4:5]
	v_cndmask_b32_e64 v6, v9, v6, s[4:5]
	v_lshlrev_b64 v[8:9], v8, v[10:11]
	v_lshlrev_b32_e32 v8, 20, v8
	v_lshlrev_b32_e32 v9, 24, v10
	v_bfrev_b32_e32 v22, 60
	v_and_b32_e32 v8, 0x700000, v8
	v_and_b32_e32 v9, 0x80000000, v9
	v_lshl_add_u32 v6, v6, 23, v22
	v_or3_b32 v6, v9, v6, v8
.LBB401_1443:                           ;   in Loop: Header=BB401_683 Depth=1
	s_or_b64 exec, exec, s[26:27]
.LBB401_1444:                           ;   in Loop: Header=BB401_683 Depth=1
	s_or_b64 exec, exec, s[24:25]
.LBB401_1445:                           ;   in Loop: Header=BB401_683 Depth=1
	s_or_b64 exec, exec, s[12:13]
	v_mul_f32_e32 v6, v34, v6
	v_and_b32_e32 v8, 0x7f800000, v6
	v_cmp_ne_u32_e64 s[4:5], s15, v8
                                        ; implicit-def: $vgpr22
	s_and_saveexec_b64 s[12:13], s[4:5]
	s_xor_b64 s[4:5], exec, s[12:13]
; %bb.1446:                             ;   in Loop: Header=BB401_683 Depth=1
	v_bfe_u32 v8, v6, 16, 1
	v_add3_u32 v22, v6, v8, s21
                                        ; implicit-def: $vgpr6
; %bb.1447:                             ;   in Loop: Header=BB401_683 Depth=1
	s_andn2_saveexec_b64 s[12:13], s[4:5]
; %bb.1448:                             ;   in Loop: Header=BB401_683 Depth=1
	v_or_b32_e32 v8, 0x10000, v6
	v_cmp_eq_u32_sdwa s[4:5], v6, v11 src0_sel:WORD_0 src1_sel:DWORD
	v_cndmask_b32_e64 v22, v8, v6, s[4:5]
; %bb.1449:                             ;   in Loop: Header=BB401_683 Depth=1
	s_or_b64 exec, exec, s[12:13]
	v_lshrrev_b16_e32 v6, 8, v10
	v_cmp_ne_u16_e64 s[4:5], 0, v6
	v_mov_b32_e32 v8, 0
	s_and_saveexec_b64 s[12:13], s[4:5]
	s_cbranch_execz .LBB401_1455
; %bb.1450:                             ;   in Loop: Header=BB401_683 Depth=1
	v_cmp_ne_u16_e64 s[4:5], s28, v6
	v_bfrev_b32_e32 v8, 1
	s_and_saveexec_b64 s[24:25], s[4:5]
	s_cbranch_execz .LBB401_1454
; %bb.1451:                             ;   in Loop: Header=BB401_683 Depth=1
	v_and_b32_e32 v9, 0x7f, v6
	v_cmp_ne_u32_e64 s[4:5], s29, v9
	v_mov_b32_e32 v8, 0x7f800001
	s_and_saveexec_b64 s[26:27], s[4:5]
	s_cbranch_execz .LBB401_1453
; %bb.1452:                             ;   in Loop: Header=BB401_683 Depth=1
	v_and_b32_e32 v8, 7, v6
	v_ffbh_u32_e32 v28, v8
	v_min_u32_e32 v31, 32, v28
	v_subrev_u32_e32 v28, 28, v31
	v_lshlrev_b64 v[28:29], v28, v[6:7]
	v_lshrrev_b32_e32 v30, 3, v9
	v_sub_u32_e32 v6, 29, v31
	v_and_b32_e32 v28, 7, v28
	v_cmp_gt_u32_e64 s[4:5], 8, v9
	v_cndmask_b32_e64 v6, v30, v6, s[4:5]
	v_cndmask_b32_e64 v8, v8, v28, s[4:5]
	v_lshlrev_b32_e32 v9, 16, v10
	v_bfrev_b32_e32 v10, 60
	v_lshlrev_b32_e32 v8, 20, v8
	v_and_b32_e32 v9, 0x80000000, v9
	v_lshl_add_u32 v6, v6, 23, v10
	v_or3_b32 v8, v9, v6, v8
.LBB401_1453:                           ;   in Loop: Header=BB401_683 Depth=1
	s_or_b64 exec, exec, s[26:27]
.LBB401_1454:                           ;   in Loop: Header=BB401_683 Depth=1
	s_or_b64 exec, exec, s[24:25]
.LBB401_1455:                           ;   in Loop: Header=BB401_683 Depth=1
	s_or_b64 exec, exec, s[12:13]
	v_mul_f32_e32 v6, v34, v8
	v_and_b32_e32 v8, 0x7f800000, v6
	v_cmp_ne_u32_e64 s[4:5], s15, v8
                                        ; implicit-def: $vgpr8
	s_and_saveexec_b64 s[12:13], s[4:5]
	s_xor_b64 s[4:5], exec, s[12:13]
; %bb.1456:                             ;   in Loop: Header=BB401_683 Depth=1
	v_bfe_u32 v8, v6, 16, 1
	v_add3_u32 v8, v6, v8, s21
                                        ; implicit-def: $vgpr6
; %bb.1457:                             ;   in Loop: Header=BB401_683 Depth=1
	s_andn2_saveexec_b64 s[12:13], s[4:5]
; %bb.1458:                             ;   in Loop: Header=BB401_683 Depth=1
	v_or_b32_e32 v8, 0x10000, v6
	v_cmp_eq_u32_sdwa s[4:5], v6, v11 src0_sel:WORD_0 src1_sel:DWORD
	v_cndmask_b32_e64 v8, v8, v6, s[4:5]
; %bb.1459:                             ;   in Loop: Header=BB401_683 Depth=1
	s_or_b64 exec, exec, s[12:13]
	v_lshrrev_b32_e32 v6, 16, v3
	v_cmp_ne_u16_sdwa s[4:5], v6, v11 src0_sel:BYTE_0 src1_sel:DWORD
	v_mov_b32_e32 v9, 0
	s_and_saveexec_b64 s[12:13], s[4:5]
	s_cbranch_execz .LBB401_1465
; %bb.1460:                             ;   in Loop: Header=BB401_683 Depth=1
	v_cmp_ne_u16_sdwa s[4:5], v6, s28 src0_sel:BYTE_0 src1_sel:DWORD
	v_bfrev_b32_e32 v9, 1
	s_and_saveexec_b64 s[24:25], s[4:5]
	s_cbranch_execz .LBB401_1464
; %bb.1461:                             ;   in Loop: Header=BB401_683 Depth=1
	v_bfe_u32 v10, v3, 16, 7
	v_cmp_ne_u32_e64 s[4:5], s29, v10
	v_mov_b32_e32 v9, 0x7f800001
	s_and_saveexec_b64 s[26:27], s[4:5]
	s_cbranch_execz .LBB401_1463
; %bb.1462:                             ;   in Loop: Header=BB401_683 Depth=1
	v_and_b32_e32 v9, 7, v6
	v_ffbh_u32_e32 v28, v9
	v_min_u32_e32 v31, 32, v28
	v_subrev_u32_e32 v28, 28, v31
	v_lshlrev_b64 v[28:29], v28, v[6:7]
	v_lshrrev_b32_e32 v30, 3, v10
	v_sub_u32_e32 v29, 29, v31
	v_and_b32_e32 v28, 7, v28
	v_cmp_gt_u32_e64 s[4:5], 8, v10
	v_cndmask_b32_e64 v10, v30, v29, s[4:5]
	v_cndmask_b32_e64 v9, v9, v28, s[4:5]
	v_lshlrev_b32_e32 v6, 24, v6
	v_bfrev_b32_e32 v28, 60
	v_lshlrev_b32_e32 v9, 20, v9
	v_and_b32_e32 v6, 0x80000000, v6
	v_lshl_add_u32 v10, v10, 23, v28
	v_or3_b32 v9, v6, v10, v9
.LBB401_1463:                           ;   in Loop: Header=BB401_683 Depth=1
	s_or_b64 exec, exec, s[26:27]
.LBB401_1464:                           ;   in Loop: Header=BB401_683 Depth=1
	s_or_b64 exec, exec, s[24:25]
.LBB401_1465:                           ;   in Loop: Header=BB401_683 Depth=1
	s_or_b64 exec, exec, s[12:13]
	v_mul_f32_e32 v9, v34, v9
	v_and_b32_e32 v6, 0x7f800000, v9
	v_cmp_ne_u32_e64 s[4:5], s15, v6
                                        ; implicit-def: $vgpr6
	s_and_saveexec_b64 s[12:13], s[4:5]
	s_xor_b64 s[4:5], exec, s[12:13]
; %bb.1466:                             ;   in Loop: Header=BB401_683 Depth=1
	v_bfe_u32 v6, v9, 16, 1
	v_add3_u32 v6, v9, v6, s21
                                        ; implicit-def: $vgpr9
; %bb.1467:                             ;   in Loop: Header=BB401_683 Depth=1
	s_andn2_saveexec_b64 s[12:13], s[4:5]
; %bb.1468:                             ;   in Loop: Header=BB401_683 Depth=1
	v_or_b32_e32 v6, 0x10000, v9
	v_cmp_eq_u32_sdwa s[4:5], v9, v11 src0_sel:WORD_0 src1_sel:DWORD
	v_cndmask_b32_e64 v6, v6, v9, s[4:5]
; %bb.1469:                             ;   in Loop: Header=BB401_683 Depth=1
	s_or_b64 exec, exec, s[12:13]
	v_cmp_lt_u64_e64 s[4:5], s[8:9], v[2:3]
	v_mov_b32_e32 v9, 0
	s_and_saveexec_b64 s[12:13], s[4:5]
	s_cbranch_execz .LBB401_1475
; %bb.1470:                             ;   in Loop: Header=BB401_683 Depth=1
	v_lshrrev_b32_e32 v2, 24, v3
	v_cmp_ne_u32_e64 s[4:5], s28, v2
	v_bfrev_b32_e32 v9, 1
	s_and_saveexec_b64 s[24:25], s[4:5]
	s_cbranch_execz .LBB401_1474
; %bb.1471:                             ;   in Loop: Header=BB401_683 Depth=1
	v_bfe_u32 v3, v3, 24, 7
	v_cmp_ne_u32_e64 s[4:5], s29, v3
	v_mov_b32_e32 v9, 0x7f800001
	s_and_saveexec_b64 s[26:27], s[4:5]
	s_cbranch_execz .LBB401_1473
; %bb.1472:                             ;   in Loop: Header=BB401_683 Depth=1
	v_and_b32_e32 v9, 7, v2
	v_ffbh_u32_e32 v28, v9
	v_min_u32_e32 v30, 32, v28
	v_subrev_u32_e32 v28, 28, v30
	v_lshlrev_b64 v[28:29], v28, v[2:3]
	v_lshrrev_b32_e32 v10, 3, v3
	v_sub_u32_e32 v29, 29, v30
	v_and_b32_e32 v28, 7, v28
	v_cmp_gt_u32_e64 s[4:5], 8, v3
	v_cndmask_b32_e64 v3, v10, v29, s[4:5]
	v_cndmask_b32_e64 v9, v9, v28, s[4:5]
	v_lshlrev_b32_e32 v2, 24, v2
	v_bfrev_b32_e32 v10, 60
	v_lshlrev_b32_e32 v9, 20, v9
	v_and_b32_e32 v2, 0x80000000, v2
	v_lshl_add_u32 v3, v3, 23, v10
	v_or3_b32 v9, v2, v3, v9
.LBB401_1473:                           ;   in Loop: Header=BB401_683 Depth=1
	s_or_b64 exec, exec, s[26:27]
.LBB401_1474:                           ;   in Loop: Header=BB401_683 Depth=1
	s_or_b64 exec, exec, s[24:25]
.LBB401_1475:                           ;   in Loop: Header=BB401_683 Depth=1
	s_or_b64 exec, exec, s[12:13]
	v_mul_f32_e32 v3, v34, v9
	v_and_b32_e32 v2, 0x7f800000, v3
	v_cmp_ne_u32_e64 s[4:5], s15, v2
                                        ; implicit-def: $vgpr2
	s_and_saveexec_b64 s[12:13], s[4:5]
	s_xor_b64 s[4:5], exec, s[12:13]
; %bb.1476:                             ;   in Loop: Header=BB401_683 Depth=1
	v_bfe_u32 v2, v3, 16, 1
	v_add3_u32 v2, v3, v2, s21
                                        ; implicit-def: $vgpr3
; %bb.1477:                             ;   in Loop: Header=BB401_683 Depth=1
	s_andn2_saveexec_b64 s[12:13], s[4:5]
; %bb.1478:                             ;   in Loop: Header=BB401_683 Depth=1
	v_or_b32_e32 v2, 0x10000, v3
	v_cmp_eq_u32_sdwa s[4:5], v3, v11 src0_sel:WORD_0 src1_sel:DWORD
	v_cndmask_b32_e64 v2, v2, v3, s[4:5]
; %bb.1479:                             ;   in Loop: Header=BB401_683 Depth=1
	s_or_b64 exec, exec, s[12:13]
	v_lshrrev_b32_e32 v8, 16, v8
	v_lshrrev_b32_e32 v9, 16, v22
	;; [unrolled: 1-line block ×8, first 2 shown]
	s_and_saveexec_b64 s[12:13], vcc
	s_cbranch_execz .LBB401_1481
; %bb.1480:                             ;   in Loop: Header=BB401_683 Depth=1
	v_cmp_lt_i32_e64 s[4:5], v37, v32
	v_accvgpr_read_b32 v5, a26
	v_cndmask_b32_e64 v3, 0, v3, s[4:5]
	v_cmp_lt_i32_e64 s[4:5], v5, v32
	v_accvgpr_read_b32 v5, a25
	v_cndmask_b32_e64 v26, 0, v26, s[4:5]
	;; [unrolled: 3-line block ×6, first 2 shown]
	v_cmp_lt_i32_e64 s[4:5], v5, v32
	v_cndmask_b32_e64 v7, 0, v7, s[4:5]
	v_cmp_lt_i32_e64 s[4:5], v17, v32
	v_cndmask_b32_e64 v2, 0, v2, s[4:5]
.LBB401_1481:                           ;   in Loop: Header=BB401_683 Depth=1
	s_or_b64 exec, exec, s[12:13]
	v_lshlrev_b32_e32 v3, 16, v3
	v_mul_f32_e32 v5, v42, v3
	v_and_b32_e32 v3, 0x7f800000, v5
	v_cmp_ne_u32_e64 s[4:5], s15, v3
                                        ; implicit-def: $vgpr3
	s_and_saveexec_b64 s[12:13], s[4:5]
	s_xor_b64 s[4:5], exec, s[12:13]
; %bb.1482:                             ;   in Loop: Header=BB401_683 Depth=1
	v_bfe_u32 v3, v5, 16, 1
	v_add3_u32 v3, v5, v3, s21
                                        ; implicit-def: $vgpr5
; %bb.1483:                             ;   in Loop: Header=BB401_683 Depth=1
	s_andn2_saveexec_b64 s[12:13], s[4:5]
; %bb.1484:                             ;   in Loop: Header=BB401_683 Depth=1
	v_or_b32_e32 v3, 0x10000, v5
	v_cmp_eq_u32_sdwa s[4:5], v5, v11 src0_sel:WORD_0 src1_sel:DWORD
	v_cndmask_b32_e64 v3, v3, v5, s[4:5]
; %bb.1485:                             ;   in Loop: Header=BB401_683 Depth=1
	s_or_b64 exec, exec, s[12:13]
	v_lshlrev_b32_e32 v5, 16, v26
	v_mul_f32_e32 v5, v43, v5
	v_and_b32_e32 v6, 0x7f800000, v5
	v_cmp_ne_u32_e64 s[4:5], s15, v6
                                        ; implicit-def: $vgpr6
	s_and_saveexec_b64 s[12:13], s[4:5]
	s_xor_b64 s[4:5], exec, s[12:13]
; %bb.1486:                             ;   in Loop: Header=BB401_683 Depth=1
	v_bfe_u32 v6, v5, 16, 1
	v_add3_u32 v6, v5, v6, s21
                                        ; implicit-def: $vgpr5
; %bb.1487:                             ;   in Loop: Header=BB401_683 Depth=1
	s_andn2_saveexec_b64 s[12:13], s[4:5]
; %bb.1488:                             ;   in Loop: Header=BB401_683 Depth=1
	v_or_b32_e32 v6, 0x10000, v5
	v_cmp_eq_u32_sdwa s[4:5], v5, v11 src0_sel:WORD_0 src1_sel:DWORD
	v_cndmask_b32_e64 v6, v6, v5, s[4:5]
; %bb.1489:                             ;   in Loop: Header=BB401_683 Depth=1
	s_or_b64 exec, exec, s[12:13]
	v_lshlrev_b32_e32 v5, 16, v22
	v_mul_f32_e32 v5, v44, v5
	v_and_b32_e32 v22, 0x7f800000, v5
	v_cmp_ne_u32_e64 s[4:5], s15, v22
                                        ; implicit-def: $vgpr29
	s_and_saveexec_b64 s[12:13], s[4:5]
	s_xor_b64 s[4:5], exec, s[12:13]
; %bb.1490:                             ;   in Loop: Header=BB401_683 Depth=1
	v_bfe_u32 v22, v5, 16, 1
	v_add3_u32 v29, v5, v22, s21
                                        ; implicit-def: $vgpr5
; %bb.1491:                             ;   in Loop: Header=BB401_683 Depth=1
	s_andn2_saveexec_b64 s[12:13], s[4:5]
; %bb.1492:                             ;   in Loop: Header=BB401_683 Depth=1
	v_or_b32_e32 v22, 0x10000, v5
	v_cmp_eq_u32_sdwa s[4:5], v5, v11 src0_sel:WORD_0 src1_sel:DWORD
	v_cndmask_b32_e64 v29, v22, v5, s[4:5]
; %bb.1493:                             ;   in Loop: Header=BB401_683 Depth=1
	s_or_b64 exec, exec, s[12:13]
	v_lshlrev_b32_e32 v5, 16, v10
	v_mul_f32_e32 v5, v45, v5
	v_and_b32_e32 v10, 0x7f800000, v5
	v_cmp_ne_u32_e64 s[4:5], s15, v10
                                        ; implicit-def: $vgpr31
	s_and_saveexec_b64 s[12:13], s[4:5]
	s_xor_b64 s[4:5], exec, s[12:13]
; %bb.1494:                             ;   in Loop: Header=BB401_683 Depth=1
	v_bfe_u32 v10, v5, 16, 1
	v_add3_u32 v31, v5, v10, s21
                                        ; implicit-def: $vgpr5
; %bb.1495:                             ;   in Loop: Header=BB401_683 Depth=1
	s_andn2_saveexec_b64 s[12:13], s[4:5]
; %bb.1496:                             ;   in Loop: Header=BB401_683 Depth=1
	v_or_b32_e32 v10, 0x10000, v5
	v_cmp_eq_u32_sdwa s[4:5], v5, v11 src0_sel:WORD_0 src1_sel:DWORD
	v_cndmask_b32_e64 v31, v10, v5, s[4:5]
; %bb.1497:                             ;   in Loop: Header=BB401_683 Depth=1
	s_or_b64 exec, exec, s[12:13]
	v_lshlrev_b32_e32 v5, 16, v9
	v_mul_f32_e32 v9, v46, v5
	v_and_b32_e32 v5, 0x7f800000, v9
	v_cmp_ne_u32_e64 s[4:5], s15, v5
                                        ; implicit-def: $vgpr5
	s_and_saveexec_b64 s[12:13], s[4:5]
	s_xor_b64 s[4:5], exec, s[12:13]
; %bb.1498:                             ;   in Loop: Header=BB401_683 Depth=1
	v_bfe_u32 v5, v9, 16, 1
	v_add3_u32 v5, v9, v5, s21
                                        ; implicit-def: $vgpr9
; %bb.1499:                             ;   in Loop: Header=BB401_683 Depth=1
	s_andn2_saveexec_b64 s[12:13], s[4:5]
; %bb.1500:                             ;   in Loop: Header=BB401_683 Depth=1
	v_or_b32_e32 v5, 0x10000, v9
	v_cmp_eq_u32_sdwa s[4:5], v9, v11 src0_sel:WORD_0 src1_sel:DWORD
	v_cndmask_b32_e64 v5, v5, v9, s[4:5]
; %bb.1501:                             ;   in Loop: Header=BB401_683 Depth=1
	s_or_b64 exec, exec, s[12:13]
	v_lshlrev_b32_e32 v8, 16, v8
	v_mul_f32_e32 v8, v47, v8
	v_and_b32_e32 v9, 0x7f800000, v8
	v_cmp_ne_u32_e64 s[4:5], s15, v9
                                        ; implicit-def: $vgpr28
	s_and_saveexec_b64 s[12:13], s[4:5]
	s_xor_b64 s[4:5], exec, s[12:13]
; %bb.1502:                             ;   in Loop: Header=BB401_683 Depth=1
	v_bfe_u32 v9, v8, 16, 1
	v_add3_u32 v28, v8, v9, s21
                                        ; implicit-def: $vgpr8
; %bb.1503:                             ;   in Loop: Header=BB401_683 Depth=1
	s_andn2_saveexec_b64 s[12:13], s[4:5]
; %bb.1504:                             ;   in Loop: Header=BB401_683 Depth=1
	v_or_b32_e32 v9, 0x10000, v8
	v_cmp_eq_u32_sdwa s[4:5], v8, v11 src0_sel:WORD_0 src1_sel:DWORD
	v_cndmask_b32_e64 v28, v9, v8, s[4:5]
; %bb.1505:                             ;   in Loop: Header=BB401_683 Depth=1
	s_or_b64 exec, exec, s[12:13]
	v_lshlrev_b32_e32 v7, 16, v7
	v_mul_f32_e32 v7, v56, v7
	v_and_b32_e32 v8, 0x7f800000, v7
	v_cmp_ne_u32_e64 s[4:5], s15, v8
                                        ; implicit-def: $vgpr30
	s_and_saveexec_b64 s[12:13], s[4:5]
	s_xor_b64 s[4:5], exec, s[12:13]
; %bb.1506:                             ;   in Loop: Header=BB401_683 Depth=1
	v_bfe_u32 v8, v7, 16, 1
	v_add3_u32 v30, v7, v8, s21
                                        ; implicit-def: $vgpr7
; %bb.1507:                             ;   in Loop: Header=BB401_683 Depth=1
	s_andn2_saveexec_b64 s[12:13], s[4:5]
; %bb.1508:                             ;   in Loop: Header=BB401_683 Depth=1
	v_or_b32_e32 v8, 0x10000, v7
	v_cmp_eq_u32_sdwa s[4:5], v7, v11 src0_sel:WORD_0 src1_sel:DWORD
	v_cndmask_b32_e64 v30, v8, v7, s[4:5]
; %bb.1509:                             ;   in Loop: Header=BB401_683 Depth=1
	s_or_b64 exec, exec, s[12:13]
	v_lshlrev_b32_e32 v2, 16, v2
	v_mul_f32_e32 v2, v57, v2
	v_and_b32_e32 v7, 0x7f800000, v2
	v_cmp_ne_u32_e64 s[4:5], s15, v7
                                        ; implicit-def: $vgpr35
	s_and_saveexec_b64 s[12:13], s[4:5]
	s_xor_b64 s[4:5], exec, s[12:13]
; %bb.1510:                             ;   in Loop: Header=BB401_683 Depth=1
	v_bfe_u32 v7, v2, 16, 1
	v_add3_u32 v35, v2, v7, s21
                                        ; implicit-def: $vgpr2
; %bb.1511:                             ;   in Loop: Header=BB401_683 Depth=1
	s_andn2_saveexec_b64 s[12:13], s[4:5]
; %bb.1512:                             ;   in Loop: Header=BB401_683 Depth=1
	v_or_b32_e32 v7, 0x10000, v2
	v_cmp_eq_u32_sdwa s[4:5], v2, v11 src0_sel:WORD_0 src1_sel:DWORD
	v_cndmask_b32_e64 v35, v7, v2, s[4:5]
; %bb.1513:                             ;   in Loop: Header=BB401_683 Depth=1
	s_or_b64 exec, exec, s[12:13]
	flat_load_dwordx2 v[0:1], v[0:1] offset:3584
	v_mov_b32_e32 v2, 0
	s_waitcnt vmcnt(0) lgkmcnt(0)
	v_cmp_ne_u16_sdwa s[4:5], v0, v11 src0_sel:BYTE_0 src1_sel:DWORD
	s_and_saveexec_b64 s[12:13], s[4:5]
	s_cbranch_execz .LBB401_1519
; %bb.1514:                             ;   in Loop: Header=BB401_683 Depth=1
	v_cmp_ne_u16_sdwa s[4:5], v0, s28 src0_sel:BYTE_0 src1_sel:DWORD
	v_bfrev_b32_e32 v2, 1
	s_and_saveexec_b64 s[24:25], s[4:5]
	s_cbranch_execz .LBB401_1518
; %bb.1515:                             ;   in Loop: Header=BB401_683 Depth=1
	v_and_b32_e32 v7, 0x7f, v0
	v_cmp_ne_u32_e64 s[4:5], s29, v7
	v_mov_b32_e32 v2, 0x7f800001
	s_and_saveexec_b64 s[26:27], s[4:5]
	s_cbranch_execz .LBB401_1517
; %bb.1516:                             ;   in Loop: Header=BB401_683 Depth=1
	v_and_b32_e32 v2, 7, v0
	v_ffbh_u32_e32 v2, v2
	v_min_u32_e32 v2, 32, v2
	v_subrev_u32_e32 v9, 28, v2
	v_cmp_gt_u32_e64 s[4:5], 8, v7
	v_lshrrev_b32_e32 v8, 3, v7
	v_sub_u32_e32 v2, 29, v2
	v_cndmask_b32_e64 v7, 0, v9, s[4:5]
	v_cndmask_b32_e64 v2, v8, v2, s[4:5]
	v_lshlrev_b64 v[8:9], v7, v[0:1]
	v_lshlrev_b32_e32 v7, 20, v8
	v_lshlrev_b32_e32 v8, 24, v0
	v_bfrev_b32_e32 v9, 60
	v_and_b32_e32 v7, 0x700000, v7
	v_and_b32_e32 v8, 0x80000000, v8
	v_lshl_add_u32 v2, v2, 23, v9
	v_or3_b32 v2, v8, v2, v7
.LBB401_1517:                           ;   in Loop: Header=BB401_683 Depth=1
	s_or_b64 exec, exec, s[26:27]
.LBB401_1518:                           ;   in Loop: Header=BB401_683 Depth=1
	s_or_b64 exec, exec, s[24:25]
.LBB401_1519:                           ;   in Loop: Header=BB401_683 Depth=1
	s_or_b64 exec, exec, s[12:13]
	v_mul_f32_e32 v2, v34, v2
	v_and_b32_e32 v7, 0x7f800000, v2
	v_cmp_ne_u32_e64 s[4:5], s15, v7
                                        ; implicit-def: $vgpr26
	s_and_saveexec_b64 s[12:13], s[4:5]
	s_xor_b64 s[4:5], exec, s[12:13]
; %bb.1520:                             ;   in Loop: Header=BB401_683 Depth=1
	v_bfe_u32 v7, v2, 16, 1
	v_add3_u32 v26, v2, v7, s21
                                        ; implicit-def: $vgpr2
; %bb.1521:                             ;   in Loop: Header=BB401_683 Depth=1
	s_andn2_saveexec_b64 s[12:13], s[4:5]
; %bb.1522:                             ;   in Loop: Header=BB401_683 Depth=1
	v_or_b32_e32 v7, 0x10000, v2
	v_cmp_eq_u32_sdwa s[4:5], v2, v11 src0_sel:WORD_0 src1_sel:DWORD
	v_cndmask_b32_e64 v26, v7, v2, s[4:5]
; %bb.1523:                             ;   in Loop: Header=BB401_683 Depth=1
	s_or_b64 exec, exec, s[12:13]
	v_lshrrev_b16_e32 v2, 8, v0
	v_mov_b32_e32 v7, 0
	v_cmp_ne_u16_e64 s[4:5], 0, v2
	s_mov_b64 s[12:13], exec
	s_and_b64 s[4:5], s[12:13], s[4:5]
	v_accvgpr_write_b32 a20, v37
	s_mov_b64 exec, s[4:5]
	s_cbranch_execz .LBB401_1529
; %bb.1524:                             ;   in Loop: Header=BB401_683 Depth=1
	v_cmp_ne_u16_e64 s[4:5], s28, v2
	v_bfrev_b32_e32 v7, 1
	s_and_saveexec_b64 s[24:25], s[4:5]
	s_cbranch_execz .LBB401_1528
; %bb.1525:                             ;   in Loop: Header=BB401_683 Depth=1
	v_and_b32_e32 v8, 0x7f, v2
	v_cmp_ne_u32_e64 s[4:5], s29, v8
	v_mov_b32_e32 v7, 0x7f800001
	s_and_saveexec_b64 s[26:27], s[4:5]
	s_cbranch_execz .LBB401_1527
; %bb.1526:                             ;   in Loop: Header=BB401_683 Depth=1
	v_and_b32_e32 v7, 7, v2
	v_ffbh_u32_e32 v10, v7
	v_min_u32_e32 v10, 32, v10
	v_subrev_u32_e32 v22, 28, v10
	v_mov_b32_e32 v27, v38
	v_mov_b32_e32 v37, v39
	v_lshlrev_b64 v[38:39], v22, v[2:3]
	v_lshrrev_b32_e32 v9, 3, v8
	v_sub_u32_e32 v2, 29, v10
	v_and_b32_e32 v10, 7, v38
	v_cmp_gt_u32_e64 s[4:5], 8, v8
	v_cndmask_b32_e64 v2, v9, v2, s[4:5]
	v_cndmask_b32_e64 v7, v7, v10, s[4:5]
	v_lshlrev_b32_e32 v8, 16, v0
	v_bfrev_b32_e32 v9, 60
	v_lshlrev_b32_e32 v7, 20, v7
	v_and_b32_e32 v8, 0x80000000, v8
	v_lshl_add_u32 v2, v2, 23, v9
	v_mov_b32_e32 v39, v37
	v_accvgpr_read_b32 v37, a20
	v_mov_b32_e32 v38, v27
	v_or3_b32 v7, v8, v2, v7
.LBB401_1527:                           ;   in Loop: Header=BB401_683 Depth=1
	s_or_b64 exec, exec, s[26:27]
.LBB401_1528:                           ;   in Loop: Header=BB401_683 Depth=1
	s_or_b64 exec, exec, s[24:25]
.LBB401_1529:                           ;   in Loop: Header=BB401_683 Depth=1
	s_or_b64 exec, exec, s[12:13]
	v_mul_f32_e32 v2, v34, v7
	v_and_b32_e32 v7, 0x7f800000, v2
	v_cmp_ne_u32_e64 s[4:5], s15, v7
                                        ; implicit-def: $vgpr27
	s_and_saveexec_b64 s[12:13], s[4:5]
	s_xor_b64 s[4:5], exec, s[12:13]
; %bb.1530:                             ;   in Loop: Header=BB401_683 Depth=1
	v_bfe_u32 v7, v2, 16, 1
	v_add3_u32 v27, v2, v7, s21
                                        ; implicit-def: $vgpr2
; %bb.1531:                             ;   in Loop: Header=BB401_683 Depth=1
	s_andn2_saveexec_b64 s[12:13], s[4:5]
; %bb.1532:                             ;   in Loop: Header=BB401_683 Depth=1
	v_or_b32_e32 v7, 0x10000, v2
	v_cmp_eq_u32_sdwa s[4:5], v2, v11 src0_sel:WORD_0 src1_sel:DWORD
	v_cndmask_b32_e64 v27, v7, v2, s[4:5]
; %bb.1533:                             ;   in Loop: Header=BB401_683 Depth=1
	s_or_b64 exec, exec, s[12:13]
	v_lshrrev_b32_e32 v2, 16, v0
	v_cmp_ne_u16_sdwa s[4:5], v2, v11 src0_sel:BYTE_0 src1_sel:DWORD
	v_mov_b32_e32 v7, 0
	s_and_saveexec_b64 s[12:13], s[4:5]
	s_cbranch_execz .LBB401_1539
; %bb.1534:                             ;   in Loop: Header=BB401_683 Depth=1
	v_cmp_ne_u16_sdwa s[4:5], v2, s28 src0_sel:BYTE_0 src1_sel:DWORD
	v_bfrev_b32_e32 v7, 1
	s_and_saveexec_b64 s[24:25], s[4:5]
	s_cbranch_execz .LBB401_1538
; %bb.1535:                             ;   in Loop: Header=BB401_683 Depth=1
	v_bfe_u32 v8, v0, 16, 7
	v_cmp_ne_u32_e64 s[4:5], s29, v8
	v_mov_b32_e32 v7, 0x7f800001
	s_and_saveexec_b64 s[26:27], s[4:5]
	s_cbranch_execz .LBB401_1537
; %bb.1536:                             ;   in Loop: Header=BB401_683 Depth=1
	v_and_b32_e32 v7, 7, v2
	v_ffbh_u32_e32 v10, v7
	v_min_u32_e32 v10, 32, v10
	v_subrev_u32_e32 v22, 28, v10
	v_mov_b32_e32 v37, v38
	v_accvgpr_write_b32 a12, v39
	v_lshlrev_b64 v[38:39], v22, v[2:3]
	v_lshrrev_b32_e32 v9, 3, v8
	v_sub_u32_e32 v10, 29, v10
	v_and_b32_e32 v22, 7, v38
	v_cmp_gt_u32_e64 s[4:5], 8, v8
	v_cndmask_b32_e64 v8, v9, v10, s[4:5]
	v_cndmask_b32_e64 v7, v7, v22, s[4:5]
	v_lshlrev_b32_e32 v2, 24, v2
	v_bfrev_b32_e32 v9, 60
	v_lshlrev_b32_e32 v7, 20, v7
	v_and_b32_e32 v2, 0x80000000, v2
	v_lshl_add_u32 v8, v8, 23, v9
	v_accvgpr_read_b32 v39, a12
	v_mov_b32_e32 v38, v37
	v_accvgpr_read_b32 v37, a20
	v_or3_b32 v7, v2, v8, v7
.LBB401_1537:                           ;   in Loop: Header=BB401_683 Depth=1
	s_or_b64 exec, exec, s[26:27]
.LBB401_1538:                           ;   in Loop: Header=BB401_683 Depth=1
	s_or_b64 exec, exec, s[24:25]
.LBB401_1539:                           ;   in Loop: Header=BB401_683 Depth=1
	s_or_b64 exec, exec, s[12:13]
	v_mul_f32_e32 v2, v34, v7
	v_and_b32_e32 v7, 0x7f800000, v2
	v_cmp_ne_u32_e64 s[4:5], s15, v7
                                        ; implicit-def: $vgpr7
	s_and_saveexec_b64 s[12:13], s[4:5]
	s_xor_b64 s[4:5], exec, s[12:13]
; %bb.1540:                             ;   in Loop: Header=BB401_683 Depth=1
	v_bfe_u32 v7, v2, 16, 1
	v_add3_u32 v7, v2, v7, s21
                                        ; implicit-def: $vgpr2
; %bb.1541:                             ;   in Loop: Header=BB401_683 Depth=1
	s_andn2_saveexec_b64 s[12:13], s[4:5]
; %bb.1542:                             ;   in Loop: Header=BB401_683 Depth=1
	v_or_b32_e32 v7, 0x10000, v2
	v_cmp_eq_u32_sdwa s[4:5], v2, v11 src0_sel:WORD_0 src1_sel:DWORD
	v_cndmask_b32_e64 v7, v7, v2, s[4:5]
; %bb.1543:                             ;   in Loop: Header=BB401_683 Depth=1
	s_or_b64 exec, exec, s[12:13]
	v_cmp_lt_u32_e64 s[4:5], s9, v0
	v_mov_b32_e32 v8, 0
	s_and_saveexec_b64 s[12:13], s[4:5]
	s_cbranch_execz .LBB401_1549
; %bb.1544:                             ;   in Loop: Header=BB401_683 Depth=1
	v_lshrrev_b32_e32 v2, 24, v0
	v_cmp_ne_u32_e64 s[4:5], s28, v2
	v_bfrev_b32_e32 v8, 1
	s_and_saveexec_b64 s[24:25], s[4:5]
	s_cbranch_execz .LBB401_1548
; %bb.1545:                             ;   in Loop: Header=BB401_683 Depth=1
	v_bfe_u32 v9, v0, 24, 7
	v_cmp_ne_u32_e64 s[4:5], s29, v9
	v_mov_b32_e32 v8, 0x7f800001
	s_and_saveexec_b64 s[26:27], s[4:5]
	s_cbranch_execz .LBB401_1547
; %bb.1546:                             ;   in Loop: Header=BB401_683 Depth=1
	v_and_b32_e32 v8, 7, v2
	v_ffbh_u32_e32 v22, v8
	v_min_u32_e32 v22, 32, v22
	v_subrev_u32_e32 v37, 28, v22
	v_accvgpr_write_b32 a12, v38
	v_accvgpr_write_b32 a13, v39
	v_lshlrev_b64 v[38:39], v37, v[2:3]
	v_lshrrev_b32_e32 v10, 3, v9
	v_sub_u32_e32 v22, 29, v22
	v_and_b32_e32 v37, 7, v38
	v_cmp_gt_u32_e64 s[4:5], 8, v9
	v_cndmask_b32_e64 v9, v10, v22, s[4:5]
	v_cndmask_b32_e64 v8, v8, v37, s[4:5]
	v_lshlrev_b32_e32 v2, 24, v2
	v_bfrev_b32_e32 v10, 60
	v_lshlrev_b32_e32 v8, 20, v8
	v_and_b32_e32 v2, 0x80000000, v2
	v_lshl_add_u32 v9, v9, 23, v10
	v_accvgpr_read_b32 v39, a13
	v_accvgpr_read_b32 v38, a12
	;; [unrolled: 1-line block ×3, first 2 shown]
	v_or3_b32 v8, v2, v9, v8
.LBB401_1547:                           ;   in Loop: Header=BB401_683 Depth=1
	s_or_b64 exec, exec, s[26:27]
.LBB401_1548:                           ;   in Loop: Header=BB401_683 Depth=1
	s_or_b64 exec, exec, s[24:25]
.LBB401_1549:                           ;   in Loop: Header=BB401_683 Depth=1
	s_or_b64 exec, exec, s[12:13]
	v_mul_f32_e32 v2, v34, v8
	v_and_b32_e32 v8, 0x7f800000, v2
	v_cmp_ne_u32_e64 s[4:5], s15, v8
                                        ; implicit-def: $vgpr22
	s_and_saveexec_b64 s[12:13], s[4:5]
	s_xor_b64 s[4:5], exec, s[12:13]
; %bb.1550:                             ;   in Loop: Header=BB401_683 Depth=1
	v_bfe_u32 v8, v2, 16, 1
	v_add3_u32 v22, v2, v8, s21
                                        ; implicit-def: $vgpr2
; %bb.1551:                             ;   in Loop: Header=BB401_683 Depth=1
	s_andn2_saveexec_b64 s[12:13], s[4:5]
; %bb.1552:                             ;   in Loop: Header=BB401_683 Depth=1
	v_or_b32_e32 v8, 0x10000, v2
	v_cmp_eq_u32_sdwa s[4:5], v2, v11 src0_sel:WORD_0 src1_sel:DWORD
	v_cndmask_b32_e64 v22, v8, v2, s[4:5]
; %bb.1553:                             ;   in Loop: Header=BB401_683 Depth=1
	s_or_b64 exec, exec, s[12:13]
	v_mov_b32_e32 v10, v1
	v_cmp_ne_u16_sdwa s[4:5], v1, v11 src0_sel:BYTE_0 src1_sel:DWORD
	v_mov_b32_e32 v2, 0
	s_and_saveexec_b64 s[12:13], s[4:5]
	s_cbranch_execz .LBB401_1559
; %bb.1554:                             ;   in Loop: Header=BB401_683 Depth=1
	v_cmp_ne_u16_sdwa s[4:5], v1, s28 src0_sel:BYTE_0 src1_sel:DWORD
	v_bfrev_b32_e32 v2, 1
	s_and_saveexec_b64 s[24:25], s[4:5]
	s_cbranch_execz .LBB401_1558
; %bb.1555:                             ;   in Loop: Header=BB401_683 Depth=1
	v_and_b32_e32 v8, 0x7f, v1
	v_cmp_ne_u32_e64 s[4:5], s29, v8
	v_mov_b32_e32 v2, 0x7f800001
	s_and_saveexec_b64 s[26:27], s[4:5]
	s_cbranch_execz .LBB401_1557
; %bb.1556:                             ;   in Loop: Header=BB401_683 Depth=1
	v_and_b32_e32 v2, 7, v1
	v_ffbh_u32_e32 v2, v2
	v_min_u32_e32 v2, 32, v2
	v_subrev_u32_e32 v37, 28, v2
	v_cmp_gt_u32_e64 s[4:5], 8, v8
	v_lshrrev_b32_e32 v9, 3, v8
	v_sub_u32_e32 v2, 29, v2
	v_cndmask_b32_e64 v8, 0, v37, s[4:5]
	v_cndmask_b32_e64 v2, v9, v2, s[4:5]
	v_lshlrev_b64 v[8:9], v8, v[10:11]
	v_lshlrev_b32_e32 v8, 20, v8
	v_lshlrev_b32_e32 v9, 24, v10
	v_bfrev_b32_e32 v37, 60
	v_and_b32_e32 v8, 0x700000, v8
	v_and_b32_e32 v9, 0x80000000, v9
	v_lshl_add_u32 v2, v2, 23, v37
	v_accvgpr_read_b32 v37, a20
	v_or3_b32 v2, v9, v2, v8
.LBB401_1557:                           ;   in Loop: Header=BB401_683 Depth=1
	s_or_b64 exec, exec, s[26:27]
.LBB401_1558:                           ;   in Loop: Header=BB401_683 Depth=1
	s_or_b64 exec, exec, s[24:25]
.LBB401_1559:                           ;   in Loop: Header=BB401_683 Depth=1
	s_or_b64 exec, exec, s[12:13]
	v_mul_f32_e32 v2, v34, v2
	v_and_b32_e32 v8, 0x7f800000, v2
	v_cmp_ne_u32_e64 s[4:5], s15, v8
                                        ; implicit-def: $vgpr8
	s_and_saveexec_b64 s[12:13], s[4:5]
	s_xor_b64 s[4:5], exec, s[12:13]
; %bb.1560:                             ;   in Loop: Header=BB401_683 Depth=1
	v_bfe_u32 v8, v2, 16, 1
	v_add3_u32 v8, v2, v8, s21
                                        ; implicit-def: $vgpr2
; %bb.1561:                             ;   in Loop: Header=BB401_683 Depth=1
	s_andn2_saveexec_b64 s[12:13], s[4:5]
; %bb.1562:                             ;   in Loop: Header=BB401_683 Depth=1
	v_or_b32_e32 v8, 0x10000, v2
	v_cmp_eq_u32_sdwa s[4:5], v2, v11 src0_sel:WORD_0 src1_sel:DWORD
	v_cndmask_b32_e64 v8, v8, v2, s[4:5]
; %bb.1563:                             ;   in Loop: Header=BB401_683 Depth=1
	s_or_b64 exec, exec, s[12:13]
	v_lshrrev_b16_e32 v2, 8, v10
	v_cmp_ne_u16_e64 s[4:5], 0, v2
	v_mov_b32_e32 v9, 0
	s_and_saveexec_b64 s[12:13], s[4:5]
	s_cbranch_execz .LBB401_1569
; %bb.1564:                             ;   in Loop: Header=BB401_683 Depth=1
	v_cmp_ne_u16_e64 s[4:5], s28, v2
	v_bfrev_b32_e32 v9, 1
	s_and_saveexec_b64 s[24:25], s[4:5]
	s_cbranch_execz .LBB401_1568
; %bb.1565:                             ;   in Loop: Header=BB401_683 Depth=1
	v_and_b32_e32 v37, 0x7f, v2
	v_cmp_ne_u32_e64 s[4:5], s29, v37
	v_mov_b32_e32 v9, 0x7f800001
	s_and_saveexec_b64 s[26:27], s[4:5]
	s_cbranch_execz .LBB401_1567
; %bb.1566:                             ;   in Loop: Header=BB401_683 Depth=1
	v_and_b32_e32 v9, 7, v2
	v_accvgpr_write_b32 a14, v38
	v_ffbh_u32_e32 v38, v9
	v_accvgpr_write_b32 a12, v49
	v_min_u32_e32 v49, 32, v38
	v_subrev_u32_e32 v38, 28, v49
	v_accvgpr_write_b32 a15, v39
	v_lshlrev_b64 v[38:39], v38, v[2:3]
	v_accvgpr_write_b32 a13, v48
	v_lshrrev_b32_e32 v48, 3, v37
	v_sub_u32_e32 v2, 29, v49
	v_and_b32_e32 v38, 7, v38
	v_cmp_gt_u32_e64 s[4:5], 8, v37
	v_cndmask_b32_e64 v2, v48, v2, s[4:5]
	v_cndmask_b32_e64 v9, v9, v38, s[4:5]
	v_lshlrev_b32_e32 v10, 16, v10
	v_bfrev_b32_e32 v37, 60
	v_lshlrev_b32_e32 v9, 20, v9
	v_and_b32_e32 v10, 0x80000000, v10
	v_lshl_add_u32 v2, v2, 23, v37
	v_accvgpr_read_b32 v39, a15
	v_accvgpr_read_b32 v49, a12
	v_accvgpr_read_b32 v48, a13
	v_accvgpr_read_b32 v38, a14
	v_or3_b32 v9, v10, v2, v9
.LBB401_1567:                           ;   in Loop: Header=BB401_683 Depth=1
	s_or_b64 exec, exec, s[26:27]
	v_accvgpr_read_b32 v37, a20
.LBB401_1568:                           ;   in Loop: Header=BB401_683 Depth=1
	s_or_b64 exec, exec, s[24:25]
.LBB401_1569:                           ;   in Loop: Header=BB401_683 Depth=1
	s_or_b64 exec, exec, s[12:13]
	v_mul_f32_e32 v2, v34, v9
	v_and_b32_e32 v9, 0x7f800000, v2
	v_cmp_ne_u32_e64 s[4:5], s15, v9
                                        ; implicit-def: $vgpr9
	s_and_saveexec_b64 s[12:13], s[4:5]
	s_xor_b64 s[4:5], exec, s[12:13]
; %bb.1570:                             ;   in Loop: Header=BB401_683 Depth=1
	v_bfe_u32 v9, v2, 16, 1
	v_add3_u32 v9, v2, v9, s21
                                        ; implicit-def: $vgpr2
; %bb.1571:                             ;   in Loop: Header=BB401_683 Depth=1
	s_andn2_saveexec_b64 s[12:13], s[4:5]
; %bb.1572:                             ;   in Loop: Header=BB401_683 Depth=1
	v_or_b32_e32 v9, 0x10000, v2
	v_cmp_eq_u32_sdwa s[4:5], v2, v11 src0_sel:WORD_0 src1_sel:DWORD
	v_cndmask_b32_e64 v9, v9, v2, s[4:5]
; %bb.1573:                             ;   in Loop: Header=BB401_683 Depth=1
	s_or_b64 exec, exec, s[12:13]
	v_lshrrev_b32_e32 v2, 16, v1
	v_cmp_ne_u16_sdwa s[4:5], v2, v11 src0_sel:BYTE_0 src1_sel:DWORD
	v_mov_b32_e32 v10, 0
	s_and_saveexec_b64 s[12:13], s[4:5]
	s_cbranch_execz .LBB401_1579
; %bb.1574:                             ;   in Loop: Header=BB401_683 Depth=1
	v_cmp_ne_u16_sdwa s[4:5], v2, s28 src0_sel:BYTE_0 src1_sel:DWORD
	v_bfrev_b32_e32 v10, 1
	s_and_saveexec_b64 s[24:25], s[4:5]
	s_cbranch_execz .LBB401_1578
; %bb.1575:                             ;   in Loop: Header=BB401_683 Depth=1
	v_bfe_u32 v37, v1, 16, 7
	v_cmp_ne_u32_e64 s[4:5], s29, v37
	v_mov_b32_e32 v10, 0x7f800001
	s_and_saveexec_b64 s[26:27], s[4:5]
	s_cbranch_execz .LBB401_1577
; %bb.1576:                             ;   in Loop: Header=BB401_683 Depth=1
	v_and_b32_e32 v10, 7, v2
	v_accvgpr_write_b32 a14, v38
	v_ffbh_u32_e32 v38, v10
	v_accvgpr_write_b32 a12, v49
	v_min_u32_e32 v49, 32, v38
	v_subrev_u32_e32 v38, 28, v49
	v_accvgpr_write_b32 a15, v39
	v_lshlrev_b64 v[38:39], v38, v[2:3]
	v_accvgpr_write_b32 a13, v48
	v_lshrrev_b32_e32 v48, 3, v37
	v_sub_u32_e32 v39, 29, v49
	v_and_b32_e32 v38, 7, v38
	v_cmp_gt_u32_e64 s[4:5], 8, v37
	v_cndmask_b32_e64 v37, v48, v39, s[4:5]
	v_cndmask_b32_e64 v10, v10, v38, s[4:5]
	v_lshlrev_b32_e32 v2, 24, v2
	v_bfrev_b32_e32 v38, 60
	v_lshlrev_b32_e32 v10, 20, v10
	v_and_b32_e32 v2, 0x80000000, v2
	v_lshl_add_u32 v37, v37, 23, v38
	v_accvgpr_read_b32 v49, a12
	v_accvgpr_read_b32 v39, a15
	;; [unrolled: 1-line block ×4, first 2 shown]
	v_or3_b32 v10, v2, v37, v10
.LBB401_1577:                           ;   in Loop: Header=BB401_683 Depth=1
	s_or_b64 exec, exec, s[26:27]
	v_accvgpr_read_b32 v37, a20
.LBB401_1578:                           ;   in Loop: Header=BB401_683 Depth=1
	s_or_b64 exec, exec, s[24:25]
.LBB401_1579:                           ;   in Loop: Header=BB401_683 Depth=1
	s_or_b64 exec, exec, s[12:13]
	v_mul_f32_e32 v10, v34, v10
	v_and_b32_e32 v2, 0x7f800000, v10
	v_cmp_ne_u32_e64 s[4:5], s15, v2
                                        ; implicit-def: $vgpr2
	s_and_saveexec_b64 s[12:13], s[4:5]
	s_xor_b64 s[4:5], exec, s[12:13]
; %bb.1580:                             ;   in Loop: Header=BB401_683 Depth=1
	v_bfe_u32 v2, v10, 16, 1
	v_add3_u32 v2, v10, v2, s21
                                        ; implicit-def: $vgpr10
; %bb.1581:                             ;   in Loop: Header=BB401_683 Depth=1
	s_andn2_saveexec_b64 s[12:13], s[4:5]
; %bb.1582:                             ;   in Loop: Header=BB401_683 Depth=1
	v_or_b32_e32 v2, 0x10000, v10
	v_cmp_eq_u32_sdwa s[4:5], v10, v11 src0_sel:WORD_0 src1_sel:DWORD
	v_cndmask_b32_e64 v2, v2, v10, s[4:5]
; %bb.1583:                             ;   in Loop: Header=BB401_683 Depth=1
	s_or_b64 exec, exec, s[12:13]
	v_cmp_lt_u64_e64 s[4:5], s[8:9], v[0:1]
	v_mov_b32_e32 v10, 0
	s_and_saveexec_b64 s[12:13], s[4:5]
	s_cbranch_execz .LBB401_1589
; %bb.1584:                             ;   in Loop: Header=BB401_683 Depth=1
	v_lshrrev_b32_e32 v0, 24, v1
	v_cmp_ne_u32_e64 s[4:5], s28, v0
	v_bfrev_b32_e32 v10, 1
	s_and_saveexec_b64 s[24:25], s[4:5]
	s_cbranch_execz .LBB401_1588
; %bb.1585:                             ;   in Loop: Header=BB401_683 Depth=1
	v_bfe_u32 v1, v1, 24, 7
	v_cmp_ne_u32_e64 s[4:5], s29, v1
	v_mov_b32_e32 v10, 0x7f800001
	s_and_saveexec_b64 s[26:27], s[4:5]
	s_cbranch_execz .LBB401_1587
; %bb.1586:                             ;   in Loop: Header=BB401_683 Depth=1
	v_and_b32_e32 v10, 7, v0
	v_accvgpr_write_b32 a13, v38
	v_ffbh_u32_e32 v38, v10
	v_accvgpr_write_b32 a12, v48
	v_min_u32_e32 v48, 32, v38
	v_subrev_u32_e32 v38, 28, v48
	v_accvgpr_write_b32 a14, v39
	v_lshlrev_b64 v[38:39], v38, v[0:1]
	v_lshrrev_b32_e32 v37, 3, v1
	v_sub_u32_e32 v39, 29, v48
	v_and_b32_e32 v38, 7, v38
	v_cmp_gt_u32_e64 s[4:5], 8, v1
	v_cndmask_b32_e64 v1, v37, v39, s[4:5]
	v_cndmask_b32_e64 v10, v10, v38, s[4:5]
	v_lshlrev_b32_e32 v0, 24, v0
	v_bfrev_b32_e32 v37, 60
	v_lshlrev_b32_e32 v10, 20, v10
	v_and_b32_e32 v0, 0x80000000, v0
	v_lshl_add_u32 v1, v1, 23, v37
	v_accvgpr_read_b32 v48, a12
	v_accvgpr_read_b32 v39, a14
	;; [unrolled: 1-line block ×4, first 2 shown]
	v_or3_b32 v10, v0, v1, v10
.LBB401_1587:                           ;   in Loop: Header=BB401_683 Depth=1
	s_or_b64 exec, exec, s[26:27]
.LBB401_1588:                           ;   in Loop: Header=BB401_683 Depth=1
	s_or_b64 exec, exec, s[24:25]
.LBB401_1589:                           ;   in Loop: Header=BB401_683 Depth=1
	s_or_b64 exec, exec, s[12:13]
	v_mul_f32_e32 v0, v34, v10
	v_and_b32_e32 v1, 0x7f800000, v0
	v_cmp_ne_u32_e64 s[4:5], s15, v1
                                        ; implicit-def: $vgpr10
	s_and_saveexec_b64 s[12:13], s[4:5]
	s_xor_b64 s[4:5], exec, s[12:13]
; %bb.1590:                             ;   in Loop: Header=BB401_683 Depth=1
	v_bfe_u32 v1, v0, 16, 1
	v_add3_u32 v10, v0, v1, s21
                                        ; implicit-def: $vgpr0
; %bb.1591:                             ;   in Loop: Header=BB401_683 Depth=1
	s_andn2_saveexec_b64 s[12:13], s[4:5]
; %bb.1592:                             ;   in Loop: Header=BB401_683 Depth=1
	v_or_b32_e32 v1, 0x10000, v0
	v_cmp_eq_u32_sdwa s[4:5], v0, v11 src0_sel:WORD_0 src1_sel:DWORD
	v_cndmask_b32_e64 v10, v1, v0, s[4:5]
; %bb.1593:                             ;   in Loop: Header=BB401_683 Depth=1
	s_or_b64 exec, exec, s[12:13]
	v_lshrrev_b32_e32 v9, 16, v9
	v_lshrrev_b32_e32 v8, 16, v8
	;; [unrolled: 1-line block ×8, first 2 shown]
	s_and_saveexec_b64 s[4:5], vcc
	s_cbranch_execz .LBB401_1595
; %bb.1594:                             ;   in Loop: Header=BB401_683 Depth=1
	v_cmp_lt_i32_e32 vcc, v37, v32
	v_accvgpr_read_b32 v2, a26
	v_cndmask_b32_e32 v0, 0, v0, vcc
	v_cmp_lt_i32_e32 vcc, v2, v32
	v_accvgpr_read_b32 v2, a25
	v_cndmask_b32_e32 v1, 0, v1, vcc
	;; [unrolled: 3-line block ×6, first 2 shown]
	v_cmp_lt_i32_e32 vcc, v2, v32
	v_cndmask_b32_e32 v26, 0, v26, vcc
	v_cmp_lt_i32_e32 vcc, v17, v32
	v_cndmask_b32_e32 v10, 0, v10, vcc
.LBB401_1595:                           ;   in Loop: Header=BB401_683 Depth=1
	s_or_b64 exec, exec, s[4:5]
	v_lshlrev_b32_e32 v0, 16, v0
	v_mul_f32_e32 v2, v42, v0
	v_and_b32_e32 v0, 0x7f800000, v2
	v_cmp_ne_u32_e32 vcc, s15, v0
                                        ; implicit-def: $vgpr0
	s_and_saveexec_b64 s[4:5], vcc
	s_xor_b64 s[4:5], exec, s[4:5]
; %bb.1596:                             ;   in Loop: Header=BB401_683 Depth=1
	v_bfe_u32 v0, v2, 16, 1
	v_add3_u32 v0, v2, v0, s21
                                        ; implicit-def: $vgpr2
; %bb.1597:                             ;   in Loop: Header=BB401_683 Depth=1
	s_andn2_saveexec_b64 s[4:5], s[4:5]
; %bb.1598:                             ;   in Loop: Header=BB401_683 Depth=1
	v_or_b32_e32 v0, 0x10000, v2
	v_cmp_eq_u32_sdwa vcc, v2, v11 src0_sel:WORD_0 src1_sel:DWORD
	v_cndmask_b32_e32 v0, v0, v2, vcc
; %bb.1599:                             ;   in Loop: Header=BB401_683 Depth=1
	s_or_b64 exec, exec, s[4:5]
	v_lshlrev_b32_e32 v1, 16, v1
	v_mul_f32_e32 v2, v43, v1
	v_and_b32_e32 v1, 0x7f800000, v2
	v_cmp_ne_u32_e32 vcc, s15, v1
                                        ; implicit-def: $vgpr1
	s_and_saveexec_b64 s[4:5], vcc
	s_xor_b64 s[4:5], exec, s[4:5]
; %bb.1600:                             ;   in Loop: Header=BB401_683 Depth=1
	v_bfe_u32 v1, v2, 16, 1
	v_add3_u32 v1, v2, v1, s21
                                        ; implicit-def: $vgpr2
; %bb.1601:                             ;   in Loop: Header=BB401_683 Depth=1
	s_andn2_saveexec_b64 s[4:5], s[4:5]
; %bb.1602:                             ;   in Loop: Header=BB401_683 Depth=1
	v_or_b32_e32 v1, 0x10000, v2
	v_cmp_eq_u32_sdwa vcc, v2, v11 src0_sel:WORD_0 src1_sel:DWORD
	v_cndmask_b32_e32 v1, v1, v2, vcc
; %bb.1603:                             ;   in Loop: Header=BB401_683 Depth=1
	s_or_b64 exec, exec, s[4:5]
	v_lshlrev_b32_e32 v2, 16, v7
	v_mul_f32_e32 v7, v44, v2
	v_and_b32_e32 v2, 0x7f800000, v7
	v_cmp_ne_u32_e32 vcc, s15, v2
                                        ; implicit-def: $vgpr2
	s_and_saveexec_b64 s[4:5], vcc
	s_xor_b64 s[4:5], exec, s[4:5]
; %bb.1604:                             ;   in Loop: Header=BB401_683 Depth=1
	v_bfe_u32 v2, v7, 16, 1
	v_add3_u32 v2, v7, v2, s21
                                        ; implicit-def: $vgpr7
; %bb.1605:                             ;   in Loop: Header=BB401_683 Depth=1
	s_andn2_saveexec_b64 s[4:5], s[4:5]
; %bb.1606:                             ;   in Loop: Header=BB401_683 Depth=1
	v_or_b32_e32 v2, 0x10000, v7
	v_cmp_eq_u32_sdwa vcc, v7, v11 src0_sel:WORD_0 src1_sel:DWORD
	v_cndmask_b32_e32 v2, v2, v7, vcc
; %bb.1607:                             ;   in Loop: Header=BB401_683 Depth=1
	s_or_b64 exec, exec, s[4:5]
	v_lshlrev_b32_e32 v7, 16, v22
	v_mul_f32_e32 v22, v45, v7
	v_and_b32_e32 v7, 0x7f800000, v22
	v_cmp_ne_u32_e32 vcc, s15, v7
                                        ; implicit-def: $vgpr7
	s_and_saveexec_b64 s[4:5], vcc
	s_xor_b64 s[4:5], exec, s[4:5]
; %bb.1608:                             ;   in Loop: Header=BB401_683 Depth=1
	v_bfe_u32 v7, v22, 16, 1
	v_add3_u32 v7, v22, v7, s21
                                        ; implicit-def: $vgpr22
; %bb.1609:                             ;   in Loop: Header=BB401_683 Depth=1
	s_andn2_saveexec_b64 s[4:5], s[4:5]
; %bb.1610:                             ;   in Loop: Header=BB401_683 Depth=1
	v_or_b32_e32 v7, 0x10000, v22
	v_cmp_eq_u32_sdwa vcc, v22, v11 src0_sel:WORD_0 src1_sel:DWORD
	v_cndmask_b32_e32 v7, v7, v22, vcc
; %bb.1611:                             ;   in Loop: Header=BB401_683 Depth=1
	s_or_b64 exec, exec, s[4:5]
	v_lshlrev_b32_e32 v8, 16, v8
	v_mul_f32_e32 v22, v46, v8
	v_and_b32_e32 v8, 0x7f800000, v22
	v_cmp_ne_u32_e32 vcc, s15, v8
                                        ; implicit-def: $vgpr8
	s_and_saveexec_b64 s[4:5], vcc
	s_xor_b64 s[4:5], exec, s[4:5]
; %bb.1612:                             ;   in Loop: Header=BB401_683 Depth=1
	v_bfe_u32 v8, v22, 16, 1
	v_add3_u32 v8, v22, v8, s21
                                        ; implicit-def: $vgpr22
; %bb.1613:                             ;   in Loop: Header=BB401_683 Depth=1
	s_andn2_saveexec_b64 s[4:5], s[4:5]
; %bb.1614:                             ;   in Loop: Header=BB401_683 Depth=1
	v_or_b32_e32 v8, 0x10000, v22
	v_cmp_eq_u32_sdwa vcc, v22, v11 src0_sel:WORD_0 src1_sel:DWORD
	v_cndmask_b32_e32 v8, v8, v22, vcc
; %bb.1615:                             ;   in Loop: Header=BB401_683 Depth=1
	s_or_b64 exec, exec, s[4:5]
	v_lshlrev_b32_e32 v9, 16, v9
	v_mul_f32_e32 v9, v47, v9
	v_and_b32_e32 v22, 0x7f800000, v9
	v_cmp_ne_u32_e32 vcc, s15, v22
                                        ; implicit-def: $vgpr22
	s_and_saveexec_b64 s[4:5], vcc
	s_xor_b64 s[4:5], exec, s[4:5]
; %bb.1616:                             ;   in Loop: Header=BB401_683 Depth=1
	v_bfe_u32 v22, v9, 16, 1
	v_add3_u32 v22, v9, v22, s21
                                        ; implicit-def: $vgpr9
; %bb.1617:                             ;   in Loop: Header=BB401_683 Depth=1
	s_andn2_saveexec_b64 s[4:5], s[4:5]
; %bb.1618:                             ;   in Loop: Header=BB401_683 Depth=1
	v_or_b32_e32 v22, 0x10000, v9
	v_cmp_eq_u32_sdwa vcc, v9, v11 src0_sel:WORD_0 src1_sel:DWORD
	v_cndmask_b32_e32 v22, v22, v9, vcc
; %bb.1619:                             ;   in Loop: Header=BB401_683 Depth=1
	s_or_b64 exec, exec, s[4:5]
	v_lshlrev_b32_e32 v9, 16, v26
	v_mul_f32_e32 v26, v56, v9
	v_and_b32_e32 v9, 0x7f800000, v26
	v_cmp_ne_u32_e32 vcc, s15, v9
                                        ; implicit-def: $vgpr9
	s_and_saveexec_b64 s[4:5], vcc
	s_xor_b64 s[4:5], exec, s[4:5]
; %bb.1620:                             ;   in Loop: Header=BB401_683 Depth=1
	v_bfe_u32 v9, v26, 16, 1
	v_add3_u32 v9, v26, v9, s21
                                        ; implicit-def: $vgpr26
; %bb.1621:                             ;   in Loop: Header=BB401_683 Depth=1
	s_andn2_saveexec_b64 s[4:5], s[4:5]
; %bb.1622:                             ;   in Loop: Header=BB401_683 Depth=1
	v_or_b32_e32 v9, 0x10000, v26
	v_cmp_eq_u32_sdwa vcc, v26, v11 src0_sel:WORD_0 src1_sel:DWORD
	v_cndmask_b32_e32 v9, v9, v26, vcc
; %bb.1623:                             ;   in Loop: Header=BB401_683 Depth=1
	s_or_b64 exec, exec, s[4:5]
	v_lshlrev_b32_e32 v10, 16, v10
	v_mul_f32_e32 v26, v57, v10
	v_and_b32_e32 v10, 0x7f800000, v26
	v_cmp_ne_u32_e32 vcc, s15, v10
                                        ; implicit-def: $vgpr10
	s_and_saveexec_b64 s[4:5], vcc
	s_xor_b64 s[4:5], exec, s[4:5]
; %bb.1624:                             ;   in Loop: Header=BB401_683 Depth=1
	v_bfe_u32 v10, v26, 16, 1
	v_add3_u32 v10, v26, v10, s21
                                        ; implicit-def: $vgpr26
; %bb.1625:                             ;   in Loop: Header=BB401_683 Depth=1
	s_andn2_saveexec_b64 s[4:5], s[4:5]
	s_cbranch_execz .LBB401_682
; %bb.1626:                             ;   in Loop: Header=BB401_683 Depth=1
	v_or_b32_e32 v10, 0x10000, v26
	v_cmp_eq_u32_sdwa vcc, v26, v11 src0_sel:WORD_0 src1_sel:DWORD
	v_cndmask_b32_e32 v10, v10, v26, vcc
	s_branch .LBB401_682
.LBB401_1627:
	s_or_b64 exec, exec, s[10:11]
	v_accvgpr_read_b32 v22, a5
	v_accvgpr_read_b32 v23, a6
	;; [unrolled: 1-line block ×4, first 2 shown]
.LBB401_1628:
	s_or_b64 exec, exec, s[6:7]
	ds_bpermute_b32 v2, v23, v20
	ds_bpermute_b32 v3, v23, v21
	s_waitcnt lgkmcnt(0)
	s_barrier
	ds_bpermute_b32 v0, v23, v24
	v_pk_add_f32 v[2:3], v[20:21], v[2:3]
	ds_bpermute_b32 v10, v28, v2
	ds_bpermute_b32 v11, v28, v3
	;; [unrolled: 1-line block ×6, first 2 shown]
	s_waitcnt lgkmcnt(0)
	v_pk_add_f32 v[2:3], v[2:3], v[10:11]
	buffer_load_dword v11, off, s[0:3], s32 offset:296 ; 4-byte Folded Reload
	ds_bpermute_b32 v9, v23, v13
	v_pk_add_f32 v[0:1], v[24:25], v[0:1]
	ds_bpermute_b32 v4, v28, v0
	ds_bpermute_b32 v5, v28, v1
	v_pk_add_f32 v[6:7], v[18:19], v[6:7]
	s_waitcnt lgkmcnt(0)
	v_pk_add_f32 v[12:13], v[12:13], v[8:9]
	ds_bpermute_b32 v14, v28, v6
	ds_bpermute_b32 v15, v28, v7
	;; [unrolled: 1-line block ×4, first 2 shown]
	v_pk_add_f32 v[8:9], v[0:1], v[4:5]
	s_waitcnt lgkmcnt(0)
	v_pk_add_f32 v[0:1], v[6:7], v[14:15]
	v_pk_add_f32 v[6:7], v[12:13], v[16:17]
	s_waitcnt vmcnt(0)
	v_and_b32_e32 v4, 0x3c3, v11
	v_cmp_eq_u32_e32 vcc, 64, v4
	s_and_saveexec_b64 s[4:5], vcc
	s_cbranch_execz .LBB401_1630
; %bb.1629:
	s_ashr_i32 s21, s20, 31
	s_lshl_b64 s[6:7], s[20:21], 2
	s_getpc_b64 s[8:9]
	s_add_u32 s8, s8, llvm.amdgcn.dynlds.offset.table@rel32@lo+4
	s_addc_u32 s9, s9, llvm.amdgcn.dynlds.offset.table@rel32@hi+12
	s_add_u32 s6, s6, s8
	s_addc_u32 s7, s7, s9
	s_load_dword s6, s[6:7], 0x0
	s_waitcnt lgkmcnt(0)
	v_add_u32_e32 v4, s6, v22
	ds_write2_b32 v4, v8, v9 offset1:16
	ds_write2_b32 v4, v2, v3 offset0:32 offset1:48
	ds_write2_b32 v4, v0, v1 offset0:64 offset1:80
	;; [unrolled: 1-line block ×3, first 2 shown]
.LBB401_1630:
	s_or_b64 exec, exec, s[4:5]
	v_cmp_gt_u32_e32 vcc, 64, v11
	s_waitcnt lgkmcnt(0)
	s_barrier
	s_and_saveexec_b64 s[6:7], vcc
	s_cbranch_execz .LBB401_1641
; %bb.1631:
	v_cmp_eq_u32_e64 s[4:5], 0, v29
	v_lshrrev_b32_e32 v4, 2, v11
	s_and_saveexec_b64 s[8:9], s[4:5]
	s_cbranch_execnz .LBB401_1677
; %bb.1632:
	s_or_b64 exec, exec, s[8:9]
	s_and_saveexec_b64 s[8:9], s[4:5]
	s_cbranch_execnz .LBB401_1678
.LBB401_1633:
	s_or_b64 exec, exec, s[8:9]
	s_and_saveexec_b64 s[8:9], s[4:5]
	s_cbranch_execnz .LBB401_1679
.LBB401_1634:
	s_or_b64 exec, exec, s[8:9]
	s_and_saveexec_b64 s[8:9], s[4:5]
	s_cbranch_execnz .LBB401_1680
.LBB401_1635:
	s_or_b64 exec, exec, s[8:9]
	s_and_saveexec_b64 s[8:9], s[4:5]
	s_cbranch_execnz .LBB401_1681
.LBB401_1636:
	s_or_b64 exec, exec, s[8:9]
	s_and_saveexec_b64 s[8:9], s[4:5]
	s_cbranch_execnz .LBB401_1682
.LBB401_1637:
	s_or_b64 exec, exec, s[8:9]
	s_and_saveexec_b64 s[8:9], s[4:5]
	s_cbranch_execnz .LBB401_1683
.LBB401_1638:
	s_or_b64 exec, exec, s[8:9]
	s_and_saveexec_b64 s[8:9], s[4:5]
	s_cbranch_execz .LBB401_1640
.LBB401_1639:
	s_ashr_i32 s21, s20, 31
	s_lshl_b64 s[4:5], s[20:21], 2
	s_getpc_b64 s[10:11]
	s_add_u32 s10, s10, llvm.amdgcn.dynlds.offset.table@rel32@lo+4
	s_addc_u32 s11, s11, llvm.amdgcn.dynlds.offset.table@rel32@hi+12
	s_add_u32 s4, s4, s10
	s_addc_u32 s5, s5, s11
	s_load_dword s4, s[4:5], 0x0
	s_waitcnt lgkmcnt(0)
	v_lshl_add_u32 v4, v4, 2, s4
	ds_read_b32 v4, v4 offset:448
	s_waitcnt lgkmcnt(0)
	v_add_f32_e32 v7, v7, v4
.LBB401_1640:
	s_or_b64 exec, exec, s[8:9]
.LBB401_1641:
	s_or_b64 exec, exec, s[6:7]
	s_barrier
	s_and_b64 exec, exec, vcc
	s_cbranch_execz .LBB401_1676
; %bb.1642:
	v_cmp_eq_u32_e32 vcc, 0, v29
	s_and_b64 exec, exec, vcc
	s_cbranch_execz .LBB401_1676
; %bb.1643:
	s_mov_b32 s4, 0x7f800000
	v_and_b32_e32 v4, 0x7f800000, v8
	v_cmp_ne_u32_e32 vcc, s4, v4
                                        ; implicit-def: $vgpr4
	s_and_saveexec_b64 s[4:5], vcc
	s_xor_b64 s[4:5], exec, s[4:5]
; %bb.1644:
	v_bfe_u32 v4, v8, 16, 1
	s_movk_i32 s6, 0x7fff
	v_add3_u32 v4, v8, v4, s6
; %bb.1645:
	s_andn2_saveexec_b64 s[4:5], s[4:5]
; %bb.1646:
	v_mov_b32_e32 v4, 0
	v_or_b32_e32 v5, 0x10000, v8
	v_cmp_eq_u32_sdwa vcc, v8, v4 src0_sel:WORD_0 src1_sel:DWORD
	v_cndmask_b32_e32 v4, v5, v8, vcc
; %bb.1647:
	s_or_b64 exec, exec, s[4:5]
	buffer_load_dword v8, off, s[0:3], s32 offset:304 ; 4-byte Folded Reload
	buffer_load_dword v10, off, s[0:3], s32 offset:300 ; 4-byte Folded Reload
	s_mul_i32 s4, s23, s18
	s_mul_i32 s4, s4, s19
	s_lshl_b32 s4, s4, 7
	s_mul_i32 s6, s22, s23
	s_lshl_b32 s8, s14, 7
	s_ashr_i32 s5, s4, 31
	s_ashr_i32 s7, s6, 31
	;; [unrolled: 1-line block ×3, first 2 shown]
	s_lshl_b64 s[4:5], s[4:5], 1
	s_lshl_b64 s[6:7], s[6:7], 1
	;; [unrolled: 1-line block ×3, first 2 shown]
	s_add_u32 s6, s8, s6
	s_addc_u32 s7, s9, s7
	s_add_u32 s4, s6, s4
	s_addc_u32 s5, s7, s5
	v_mov_b32_e32 v5, s5
	s_waitcnt vmcnt(1)
	v_add_co_u32_e32 v8, vcc, s4, v8
	s_waitcnt vmcnt(0)
	v_addc_co_u32_e32 v5, vcc, v5, v10, vcc
	v_lshrrev_b32_e32 v10, 1, v11
	v_and_b32_e32 v10, 0x1fe, v10
	v_add_co_u32_e32 v10, vcc, v8, v10
	v_addc_co_u32_e32 v11, vcc, 0, v5, vcc
	flat_store_short_d16_hi v[10:11], v4
	s_mov_b32 s4, 0x7f800000
	v_and_b32_e32 v4, 0x7f800000, v9
	v_cmp_ne_u32_e32 vcc, s4, v4
                                        ; implicit-def: $vgpr4
	s_and_saveexec_b64 s[4:5], vcc
	s_xor_b64 s[4:5], exec, s[4:5]
; %bb.1648:
	v_bfe_u32 v4, v9, 16, 1
	s_movk_i32 s6, 0x7fff
	v_add3_u32 v4, v9, v4, s6
; %bb.1649:
	s_andn2_saveexec_b64 s[4:5], s[4:5]
; %bb.1650:
	v_mov_b32_e32 v4, 0
	v_or_b32_e32 v5, 0x10000, v9
	v_cmp_eq_u32_sdwa vcc, v9, v4 src0_sel:WORD_0 src1_sel:DWORD
	v_cndmask_b32_e32 v4, v5, v9, vcc
; %bb.1651:
	s_or_b64 exec, exec, s[4:5]
	flat_store_short_d16_hi v[10:11], v4 offset:32
	s_mov_b32 s4, 0x7f800000
	v_and_b32_e32 v4, 0x7f800000, v2
	v_cmp_ne_u32_e32 vcc, s4, v4
                                        ; implicit-def: $vgpr4
	s_and_saveexec_b64 s[4:5], vcc
	s_xor_b64 s[4:5], exec, s[4:5]
; %bb.1652:
	v_bfe_u32 v4, v2, 16, 1
	s_movk_i32 s6, 0x7fff
	v_add3_u32 v4, v2, v4, s6
; %bb.1653:
	s_andn2_saveexec_b64 s[4:5], s[4:5]
; %bb.1654:
	v_mov_b32_e32 v4, 0
	v_or_b32_e32 v5, 0x10000, v2
	v_cmp_eq_u32_sdwa vcc, v2, v4 src0_sel:WORD_0 src1_sel:DWORD
	v_cndmask_b32_e32 v4, v5, v2, vcc
; %bb.1655:
	s_or_b64 exec, exec, s[4:5]
	s_mov_b32 s4, 0x7f800000
	v_and_b32_e32 v2, 0x7f800000, v3
	v_cmp_ne_u32_e32 vcc, s4, v2
	flat_store_short_d16_hi v[10:11], v4 offset:64
                                        ; implicit-def: $vgpr2
	s_and_saveexec_b64 s[4:5], vcc
	s_xor_b64 s[4:5], exec, s[4:5]
; %bb.1656:
	v_bfe_u32 v2, v3, 16, 1
	s_movk_i32 s6, 0x7fff
	v_add3_u32 v2, v3, v2, s6
; %bb.1657:
	s_andn2_saveexec_b64 s[4:5], s[4:5]
; %bb.1658:
	v_mov_b32_e32 v2, 0
	v_or_b32_e32 v4, 0x10000, v3
	v_cmp_eq_u32_sdwa vcc, v3, v2 src0_sel:WORD_0 src1_sel:DWORD
	v_cndmask_b32_e32 v2, v4, v3, vcc
; %bb.1659:
	s_or_b64 exec, exec, s[4:5]
	flat_store_short_d16_hi v[10:11], v2 offset:96
	s_mov_b32 s4, 0x7f800000
	v_and_b32_e32 v2, 0x7f800000, v0
	v_cmp_ne_u32_e32 vcc, s4, v2
                                        ; implicit-def: $vgpr2
	s_and_saveexec_b64 s[4:5], vcc
	s_xor_b64 s[4:5], exec, s[4:5]
; %bb.1660:
	v_bfe_u32 v2, v0, 16, 1
	s_movk_i32 s6, 0x7fff
	v_add3_u32 v2, v0, v2, s6
; %bb.1661:
	s_andn2_saveexec_b64 s[4:5], s[4:5]
; %bb.1662:
	v_mov_b32_e32 v2, 0
	v_or_b32_e32 v3, 0x10000, v0
	v_cmp_eq_u32_sdwa vcc, v0, v2 src0_sel:WORD_0 src1_sel:DWORD
	v_cndmask_b32_e32 v2, v3, v0, vcc
; %bb.1663:
	s_or_b64 exec, exec, s[4:5]
	s_mov_b32 s4, 0x7f800000
	v_and_b32_e32 v0, 0x7f800000, v1
	v_cmp_ne_u32_e32 vcc, s4, v0
	flat_store_short_d16_hi v[10:11], v2 offset:128
                                        ; implicit-def: $vgpr0
	s_and_saveexec_b64 s[4:5], vcc
	s_xor_b64 s[4:5], exec, s[4:5]
; %bb.1664:
	v_bfe_u32 v0, v1, 16, 1
	s_movk_i32 s6, 0x7fff
	v_add3_u32 v0, v1, v0, s6
; %bb.1665:
	s_andn2_saveexec_b64 s[4:5], s[4:5]
; %bb.1666:
	v_mov_b32_e32 v0, 0
	v_or_b32_e32 v2, 0x10000, v1
	v_cmp_eq_u32_sdwa vcc, v1, v0 src0_sel:WORD_0 src1_sel:DWORD
	v_cndmask_b32_e32 v0, v2, v1, vcc
; %bb.1667:
	s_or_b64 exec, exec, s[4:5]
	flat_store_short_d16_hi v[10:11], v0 offset:160
	s_mov_b32 s4, 0x7f800000
	v_and_b32_e32 v0, 0x7f800000, v6
	v_cmp_ne_u32_e32 vcc, s4, v0
                                        ; implicit-def: $vgpr0
	s_and_saveexec_b64 s[4:5], vcc
	s_xor_b64 s[4:5], exec, s[4:5]
; %bb.1668:
	v_bfe_u32 v0, v6, 16, 1
	s_movk_i32 s6, 0x7fff
	v_add3_u32 v0, v6, v0, s6
; %bb.1669:
	s_andn2_saveexec_b64 s[4:5], s[4:5]
; %bb.1670:
	v_mov_b32_e32 v0, 0
	v_or_b32_e32 v1, 0x10000, v6
	v_cmp_eq_u32_sdwa vcc, v6, v0 src0_sel:WORD_0 src1_sel:DWORD
	v_cndmask_b32_e32 v0, v1, v6, vcc
; %bb.1671:
	s_or_b64 exec, exec, s[4:5]
	flat_store_short_d16_hi v[10:11], v0 offset:192
	s_mov_b32 s4, 0x7f800000
	v_and_b32_e32 v0, 0x7f800000, v7
	v_cmp_ne_u32_e32 vcc, s4, v0
                                        ; implicit-def: $vgpr8
	s_and_saveexec_b64 s[4:5], vcc
	s_xor_b64 s[4:5], exec, s[4:5]
; %bb.1672:
	v_bfe_u32 v0, v7, 16, 1
	s_movk_i32 s6, 0x7fff
	v_add3_u32 v8, v7, v0, s6
                                        ; implicit-def: $vgpr0_vgpr1_vgpr2_vgpr3_vgpr4_vgpr5_vgpr6_vgpr7
; %bb.1673:
	s_andn2_saveexec_b64 s[4:5], s[4:5]
; %bb.1674:
	v_mov_b32_e32 v0, 0
	v_or_b32_e32 v1, 0x10000, v7
	v_cmp_eq_u32_sdwa vcc, v7, v0 src0_sel:WORD_0 src1_sel:DWORD
	v_cndmask_b32_e32 v8, v1, v7, vcc
; %bb.1675:
	s_or_b64 exec, exec, s[4:5]
	flat_store_short_d16_hi v[10:11], v8 offset:224
.LBB401_1676:
	s_or_b64 exec, exec, s[16:17]
	buffer_load_dword a63, off, s[0:3], s32 ; 4-byte Folded Reload
	buffer_load_dword a62, off, s[0:3], s32 offset:4 ; 4-byte Folded Reload
	buffer_load_dword a61, off, s[0:3], s32 offset:8 ; 4-byte Folded Reload
	buffer_load_dword a60, off, s[0:3], s32 offset:12 ; 4-byte Folded Reload
	buffer_load_dword a59, off, s[0:3], s32 offset:16 ; 4-byte Folded Reload
	buffer_load_dword a58, off, s[0:3], s32 offset:20 ; 4-byte Folded Reload
	buffer_load_dword a57, off, s[0:3], s32 offset:24 ; 4-byte Folded Reload
	buffer_load_dword a56, off, s[0:3], s32 offset:28 ; 4-byte Folded Reload
	buffer_load_dword a55, off, s[0:3], s32 offset:32 ; 4-byte Folded Reload
	buffer_load_dword a54, off, s[0:3], s32 offset:36 ; 4-byte Folded Reload
	buffer_load_dword a53, off, s[0:3], s32 offset:40 ; 4-byte Folded Reload
	buffer_load_dword a52, off, s[0:3], s32 offset:44 ; 4-byte Folded Reload
	buffer_load_dword a51, off, s[0:3], s32 offset:48 ; 4-byte Folded Reload
	buffer_load_dword a50, off, s[0:3], s32 offset:52 ; 4-byte Folded Reload
	buffer_load_dword a49, off, s[0:3], s32 offset:56 ; 4-byte Folded Reload
	buffer_load_dword a48, off, s[0:3], s32 offset:60 ; 4-byte Folded Reload
	buffer_load_dword a47, off, s[0:3], s32 offset:64 ; 4-byte Folded Reload
	buffer_load_dword a46, off, s[0:3], s32 offset:68 ; 4-byte Folded Reload
	buffer_load_dword a45, off, s[0:3], s32 offset:72 ; 4-byte Folded Reload
	buffer_load_dword a44, off, s[0:3], s32 offset:76 ; 4-byte Folded Reload
	buffer_load_dword a43, off, s[0:3], s32 offset:80 ; 4-byte Folded Reload
	buffer_load_dword a42, off, s[0:3], s32 offset:84 ; 4-byte Folded Reload
	buffer_load_dword a41, off, s[0:3], s32 offset:88 ; 4-byte Folded Reload
	buffer_load_dword a40, off, s[0:3], s32 offset:92 ; 4-byte Folded Reload
	buffer_load_dword a39, off, s[0:3], s32 offset:96 ; 4-byte Folded Reload
	buffer_load_dword a38, off, s[0:3], s32 offset:100 ; 4-byte Folded Reload
	buffer_load_dword a37, off, s[0:3], s32 offset:104 ; 4-byte Folded Reload
	buffer_load_dword a36, off, s[0:3], s32 offset:108 ; 4-byte Folded Reload
	buffer_load_dword a35, off, s[0:3], s32 offset:112 ; 4-byte Folded Reload
	buffer_load_dword a34, off, s[0:3], s32 offset:116 ; 4-byte Folded Reload
	buffer_load_dword a33, off, s[0:3], s32 offset:120 ; 4-byte Folded Reload
	buffer_load_dword a32, off, s[0:3], s32 offset:124 ; 4-byte Folded Reload
	buffer_load_dword v62, off, s[0:3], s32 offset:128 ; 4-byte Folded Reload
	buffer_load_dword v61, off, s[0:3], s32 offset:132 ; 4-byte Folded Reload
	buffer_load_dword v60, off, s[0:3], s32 offset:136 ; 4-byte Folded Reload
	buffer_load_dword v59, off, s[0:3], s32 offset:140 ; 4-byte Folded Reload
	buffer_load_dword v58, off, s[0:3], s32 offset:144 ; 4-byte Folded Reload
	buffer_load_dword v57, off, s[0:3], s32 offset:148 ; 4-byte Folded Reload
	buffer_load_dword v56, off, s[0:3], s32 offset:152 ; 4-byte Folded Reload
	buffer_load_dword v47, off, s[0:3], s32 offset:156 ; 4-byte Folded Reload
	buffer_load_dword v46, off, s[0:3], s32 offset:160 ; 4-byte Folded Reload
	buffer_load_dword v45, off, s[0:3], s32 offset:164 ; 4-byte Folded Reload
	buffer_load_dword v44, off, s[0:3], s32 offset:168 ; 4-byte Folded Reload
	buffer_load_dword v43, off, s[0:3], s32 offset:172 ; 4-byte Folded Reload
	buffer_load_dword v42, off, s[0:3], s32 offset:176 ; 4-byte Folded Reload
	buffer_load_dword v41, off, s[0:3], s32 offset:180 ; 4-byte Folded Reload
	buffer_load_dword v40, off, s[0:3], s32 offset:184 ; 4-byte Folded Reload
	v_readlane_b32 s30, v63, 7
	v_readlane_b32 s31, v63, 8
	;; [unrolled: 1-line block ×9, first 2 shown]
	s_or_saveexec_b64 s[4:5], -1
	buffer_load_dword v63, off, s[0:3], s32 offset:384 ; 4-byte Folded Reload
	s_mov_b64 exec, s[4:5]
	s_waitcnt vmcnt(0) lgkmcnt(0)
	s_setpc_b64 s[30:31]
.LBB401_1677:
	s_ashr_i32 s21, s20, 31
	s_lshl_b64 s[10:11], s[20:21], 2
	s_getpc_b64 s[12:13]
	s_add_u32 s12, s12, llvm.amdgcn.dynlds.offset.table@rel32@lo+4
	s_addc_u32 s13, s13, llvm.amdgcn.dynlds.offset.table@rel32@hi+12
	s_add_u32 s10, s10, s12
	s_addc_u32 s11, s11, s13
	s_load_dword s10, s[10:11], 0x0
	s_waitcnt lgkmcnt(0)
	v_lshl_add_u32 v5, v4, 2, s10
	ds_read_b32 v5, v5
	s_waitcnt lgkmcnt(0)
	v_add_f32_e32 v8, v8, v5
	s_or_b64 exec, exec, s[8:9]
	s_and_saveexec_b64 s[8:9], s[4:5]
	s_cbranch_execz .LBB401_1633
.LBB401_1678:
	s_ashr_i32 s21, s20, 31
	s_lshl_b64 s[10:11], s[20:21], 2
	s_getpc_b64 s[12:13]
	s_add_u32 s12, s12, llvm.amdgcn.dynlds.offset.table@rel32@lo+4
	s_addc_u32 s13, s13, llvm.amdgcn.dynlds.offset.table@rel32@hi+12
	s_add_u32 s10, s10, s12
	s_addc_u32 s11, s11, s13
	s_load_dword s10, s[10:11], 0x0
	s_waitcnt lgkmcnt(0)
	v_lshl_add_u32 v5, v4, 2, s10
	ds_read_b32 v5, v5 offset:64
	s_waitcnt lgkmcnt(0)
	v_add_f32_e32 v9, v9, v5
	s_or_b64 exec, exec, s[8:9]
	s_and_saveexec_b64 s[8:9], s[4:5]
	s_cbranch_execz .LBB401_1634
.LBB401_1679:
	s_ashr_i32 s21, s20, 31
	s_lshl_b64 s[10:11], s[20:21], 2
	s_getpc_b64 s[12:13]
	s_add_u32 s12, s12, llvm.amdgcn.dynlds.offset.table@rel32@lo+4
	s_addc_u32 s13, s13, llvm.amdgcn.dynlds.offset.table@rel32@hi+12
	s_add_u32 s10, s10, s12
	s_addc_u32 s11, s11, s13
	s_load_dword s10, s[10:11], 0x0
	s_waitcnt lgkmcnt(0)
	v_lshl_add_u32 v5, v4, 2, s10
	ds_read_b32 v5, v5 offset:128
	s_waitcnt lgkmcnt(0)
	v_add_f32_e32 v2, v2, v5
	s_or_b64 exec, exec, s[8:9]
	s_and_saveexec_b64 s[8:9], s[4:5]
	s_cbranch_execz .LBB401_1635
.LBB401_1680:
	s_ashr_i32 s21, s20, 31
	s_lshl_b64 s[10:11], s[20:21], 2
	s_getpc_b64 s[12:13]
	s_add_u32 s12, s12, llvm.amdgcn.dynlds.offset.table@rel32@lo+4
	s_addc_u32 s13, s13, llvm.amdgcn.dynlds.offset.table@rel32@hi+12
	s_add_u32 s10, s10, s12
	s_addc_u32 s11, s11, s13
	s_load_dword s10, s[10:11], 0x0
	s_waitcnt lgkmcnt(0)
	v_lshl_add_u32 v5, v4, 2, s10
	ds_read_b32 v5, v5 offset:192
	s_waitcnt lgkmcnt(0)
	v_add_f32_e32 v3, v3, v5
	s_or_b64 exec, exec, s[8:9]
	s_and_saveexec_b64 s[8:9], s[4:5]
	s_cbranch_execz .LBB401_1636
.LBB401_1681:
	s_ashr_i32 s21, s20, 31
	s_lshl_b64 s[10:11], s[20:21], 2
	s_getpc_b64 s[12:13]
	s_add_u32 s12, s12, llvm.amdgcn.dynlds.offset.table@rel32@lo+4
	s_addc_u32 s13, s13, llvm.amdgcn.dynlds.offset.table@rel32@hi+12
	s_add_u32 s10, s10, s12
	s_addc_u32 s11, s11, s13
	s_load_dword s10, s[10:11], 0x0
	s_waitcnt lgkmcnt(0)
	v_lshl_add_u32 v5, v4, 2, s10
	ds_read_b32 v5, v5 offset:256
	s_waitcnt lgkmcnt(0)
	v_add_f32_e32 v0, v0, v5
	s_or_b64 exec, exec, s[8:9]
	s_and_saveexec_b64 s[8:9], s[4:5]
	s_cbranch_execz .LBB401_1637
.LBB401_1682:
	s_ashr_i32 s21, s20, 31
	s_lshl_b64 s[10:11], s[20:21], 2
	s_getpc_b64 s[12:13]
	s_add_u32 s12, s12, llvm.amdgcn.dynlds.offset.table@rel32@lo+4
	s_addc_u32 s13, s13, llvm.amdgcn.dynlds.offset.table@rel32@hi+12
	s_add_u32 s10, s10, s12
	s_addc_u32 s11, s11, s13
	s_load_dword s10, s[10:11], 0x0
	s_waitcnt lgkmcnt(0)
	v_lshl_add_u32 v5, v4, 2, s10
	ds_read_b32 v5, v5 offset:320
	s_waitcnt lgkmcnt(0)
	v_add_f32_e32 v1, v1, v5
	s_or_b64 exec, exec, s[8:9]
	s_and_saveexec_b64 s[8:9], s[4:5]
	s_cbranch_execz .LBB401_1638
.LBB401_1683:
	s_ashr_i32 s21, s20, 31
	s_lshl_b64 s[10:11], s[20:21], 2
	s_getpc_b64 s[12:13]
	s_add_u32 s12, s12, llvm.amdgcn.dynlds.offset.table@rel32@lo+4
	s_addc_u32 s13, s13, llvm.amdgcn.dynlds.offset.table@rel32@hi+12
	s_add_u32 s10, s10, s12
	s_addc_u32 s11, s11, s13
	s_load_dword s10, s[10:11], 0x0
	s_waitcnt lgkmcnt(0)
	v_lshl_add_u32 v5, v4, 2, s10
	ds_read_b32 v5, v5 offset:384
	s_waitcnt lgkmcnt(0)
	v_add_f32_e32 v6, v6, v5
	s_or_b64 exec, exec, s[8:9]
	s_and_saveexec_b64 s[8:9], s[4:5]
	s_cbranch_execnz .LBB401_1639
	s_branch .LBB401_1640
.Lfunc_end401:
	.size	_ZN4vllm22paged_attention_kernelI14__hip_bfloat16hLi128ELi32ELi128ELNS_18Fp8KVCacheDataTypeE1ELb0ELi512EEEvPfS3_PT_PKS4_PKT0_SA_ifPKiSC_iPKfiiiSE_SE_iiiii, .Lfunc_end401-_ZN4vllm22paged_attention_kernelI14__hip_bfloat16hLi128ELi32ELi128ELNS_18Fp8KVCacheDataTypeE1ELb0ELi512EEEvPfS3_PT_PKS4_PKT0_SA_ifPKiSC_iPKfiiiSE_SE_iiiii
                                        ; -- End function
	.section	.AMDGPU.csdata,"",@progbits
; Function info:
; codeLenInByte = 51832
; NumSgprs: 45
; NumVgprs: 64
; NumAgprs: 64
; TotalNumVgprs: 128
; ScratchSize: 392
; MemoryBound: 0
	.section	.text._ZN4vllm25paged_attention_v2_kernelI14__hip_bfloat16hLi128ELi32ELi128ELNS_18Fp8KVCacheDataTypeE1ELb0ELi512EEEvPfS3_PT_PKS4_PKT0_SA_ifPKiSC_iPKfiiiSE_SE_iiiii,"axG",@progbits,_ZN4vllm25paged_attention_v2_kernelI14__hip_bfloat16hLi128ELi32ELi128ELNS_18Fp8KVCacheDataTypeE1ELb0ELi512EEEvPfS3_PT_PKS4_PKT0_SA_ifPKiSC_iPKfiiiSE_SE_iiiii,comdat
	.protected	_ZN4vllm25paged_attention_v2_kernelI14__hip_bfloat16hLi128ELi32ELi128ELNS_18Fp8KVCacheDataTypeE1ELb0ELi512EEEvPfS3_PT_PKS4_PKT0_SA_ifPKiSC_iPKfiiiSE_SE_iiiii ; -- Begin function _ZN4vllm25paged_attention_v2_kernelI14__hip_bfloat16hLi128ELi32ELi128ELNS_18Fp8KVCacheDataTypeE1ELb0ELi512EEEvPfS3_PT_PKS4_PKT0_SA_ifPKiSC_iPKfiiiSE_SE_iiiii
	.globl	_ZN4vllm25paged_attention_v2_kernelI14__hip_bfloat16hLi128ELi32ELi128ELNS_18Fp8KVCacheDataTypeE1ELb0ELi512EEEvPfS3_PT_PKS4_PKT0_SA_ifPKiSC_iPKfiiiSE_SE_iiiii
	.p2align	8
	.type	_ZN4vllm25paged_attention_v2_kernelI14__hip_bfloat16hLi128ELi32ELi128ELNS_18Fp8KVCacheDataTypeE1ELb0ELi512EEEvPfS3_PT_PKS4_PKT0_SA_ifPKiSC_iPKfiiiSE_SE_iiiii,@function
_ZN4vllm25paged_attention_v2_kernelI14__hip_bfloat16hLi128ELi32ELi128ELNS_18Fp8KVCacheDataTypeE1ELb0ELi512EEEvPfS3_PT_PKS4_PKT0_SA_ifPKiSC_iPKfiiiSE_SE_iiiii: ; @_ZN4vllm25paged_attention_v2_kernelI14__hip_bfloat16hLi128ELi32ELi128ELNS_18Fp8KVCacheDataTypeE1ELb0ELi512EEEvPfS3_PT_PKS4_PKT0_SA_ifPKiSC_iPKfiiiSE_SE_iiiii
; %bb.0:
	s_add_u32 flat_scratch_lo, s6, s11
	s_addc_u32 flat_scratch_hi, s7, 0
	s_add_u32 s0, s0, s11
	s_load_dwordx8 s[24:31], s[4:5], 0x0
	s_load_dwordx8 s[16:23], s[4:5], 0x20
	s_load_dwordx2 s[6:7], s[4:5], 0x40
	s_load_dwordx2 s[34:35], s[4:5], 0x50
	s_load_dword s11, s[4:5], 0x48
	s_load_dwordx8 s[36:43], s[4:5], 0x58
	s_addc_u32 s1, s1, 0
	s_mov_b32 s12, s8
	s_add_u32 s8, s4, 0x90
	s_mov_b32 s13, s9
	s_addc_u32 s9, s5, 0
	s_mov_b32 s14, s10
	s_mov_b32 s15, 10
	v_mov_b32_e32 v31, v0
	s_waitcnt lgkmcnt(0)
	v_mov_b32_e32 v0, s24
	v_mov_b32_e32 v1, s25
	;; [unrolled: 1-line block ×28, first 2 shown]
	s_mov_b32 s32, 0
	s_getpc_b64 s[4:5]
	s_add_u32 s4, s4, _ZN4vllm22paged_attention_kernelI14__hip_bfloat16hLi128ELi32ELi128ELNS_18Fp8KVCacheDataTypeE1ELb0ELi512EEEvPfS3_PT_PKS4_PKT0_SA_ifPKiSC_iPKfiiiSE_SE_iiiii@rel32@lo+4
	s_addc_u32 s5, s5, _ZN4vllm22paged_attention_kernelI14__hip_bfloat16hLi128ELi32ELi128ELNS_18Fp8KVCacheDataTypeE1ELb0ELi512EEEvPfS3_PT_PKS4_PKT0_SA_ifPKiSC_iPKfiiiSE_SE_iiiii@rel32@hi+12
	s_swappc_b64 s[30:31], s[4:5]
	s_endpgm
	.section	.rodata,"a",@progbits
	.p2align	6, 0x0
	.amdhsa_kernel _ZN4vllm25paged_attention_v2_kernelI14__hip_bfloat16hLi128ELi32ELi128ELNS_18Fp8KVCacheDataTypeE1ELb0ELi512EEEvPfS3_PT_PKS4_PKT0_SA_ifPKiSC_iPKfiiiSE_SE_iiiii
		.amdhsa_group_segment_fixed_size 272
		.amdhsa_private_segment_fixed_size 392
		.amdhsa_kernarg_size 400
		.amdhsa_user_sgpr_count 8
		.amdhsa_user_sgpr_private_segment_buffer 1
		.amdhsa_user_sgpr_dispatch_ptr 0
		.amdhsa_user_sgpr_queue_ptr 0
		.amdhsa_user_sgpr_kernarg_segment_ptr 1
		.amdhsa_user_sgpr_dispatch_id 0
		.amdhsa_user_sgpr_flat_scratch_init 1
		.amdhsa_user_sgpr_kernarg_preload_length 0
		.amdhsa_user_sgpr_kernarg_preload_offset 0
		.amdhsa_user_sgpr_private_segment_size 0
		.amdhsa_uses_dynamic_stack 0
		.amdhsa_system_sgpr_private_segment_wavefront_offset 1
		.amdhsa_system_sgpr_workgroup_id_x 1
		.amdhsa_system_sgpr_workgroup_id_y 1
		.amdhsa_system_sgpr_workgroup_id_z 1
		.amdhsa_system_sgpr_workgroup_info 0
		.amdhsa_system_vgpr_workitem_id 0
		.amdhsa_next_free_vgpr 128
		.amdhsa_next_free_sgpr 44
		.amdhsa_accum_offset 64
		.amdhsa_reserve_vcc 1
		.amdhsa_reserve_flat_scratch 1
		.amdhsa_float_round_mode_32 0
		.amdhsa_float_round_mode_16_64 0
		.amdhsa_float_denorm_mode_32 3
		.amdhsa_float_denorm_mode_16_64 3
		.amdhsa_dx10_clamp 1
		.amdhsa_ieee_mode 1
		.amdhsa_fp16_overflow 0
		.amdhsa_tg_split 0
		.amdhsa_exception_fp_ieee_invalid_op 0
		.amdhsa_exception_fp_denorm_src 0
		.amdhsa_exception_fp_ieee_div_zero 0
		.amdhsa_exception_fp_ieee_overflow 0
		.amdhsa_exception_fp_ieee_underflow 0
		.amdhsa_exception_fp_ieee_inexact 0
		.amdhsa_exception_int_div_zero 0
	.end_amdhsa_kernel
	.section	.text._ZN4vllm25paged_attention_v2_kernelI14__hip_bfloat16hLi128ELi32ELi128ELNS_18Fp8KVCacheDataTypeE1ELb0ELi512EEEvPfS3_PT_PKS4_PKT0_SA_ifPKiSC_iPKfiiiSE_SE_iiiii,"axG",@progbits,_ZN4vllm25paged_attention_v2_kernelI14__hip_bfloat16hLi128ELi32ELi128ELNS_18Fp8KVCacheDataTypeE1ELb0ELi512EEEvPfS3_PT_PKS4_PKT0_SA_ifPKiSC_iPKfiiiSE_SE_iiiii,comdat
.Lfunc_end402:
	.size	_ZN4vllm25paged_attention_v2_kernelI14__hip_bfloat16hLi128ELi32ELi128ELNS_18Fp8KVCacheDataTypeE1ELb0ELi512EEEvPfS3_PT_PKS4_PKT0_SA_ifPKiSC_iPKfiiiSE_SE_iiiii, .Lfunc_end402-_ZN4vllm25paged_attention_v2_kernelI14__hip_bfloat16hLi128ELi32ELi128ELNS_18Fp8KVCacheDataTypeE1ELb0ELi512EEEvPfS3_PT_PKS4_PKT0_SA_ifPKiSC_iPKfiiiSE_SE_iiiii
                                        ; -- End function
	.section	.AMDGPU.csdata,"",@progbits
; Kernel info:
; codeLenInByte = 244
; NumSgprs: 50
; NumVgprs: 64
; NumAgprs: 64
; TotalNumVgprs: 128
; ScratchSize: 392
; MemoryBound: 0
; FloatMode: 240
; IeeeMode: 1
; LDSByteSize: 272 bytes/workgroup (compile time only)
; SGPRBlocks: 6
; VGPRBlocks: 15
; NumSGPRsForWavesPerEU: 50
; NumVGPRsForWavesPerEU: 128
; AccumOffset: 64
; Occupancy: 4
; WaveLimiterHint : 1
; COMPUTE_PGM_RSRC2:SCRATCH_EN: 1
; COMPUTE_PGM_RSRC2:USER_SGPR: 8
; COMPUTE_PGM_RSRC2:TRAP_HANDLER: 0
; COMPUTE_PGM_RSRC2:TGID_X_EN: 1
; COMPUTE_PGM_RSRC2:TGID_Y_EN: 1
; COMPUTE_PGM_RSRC2:TGID_Z_EN: 1
; COMPUTE_PGM_RSRC2:TIDIG_COMP_CNT: 0
; COMPUTE_PGM_RSRC3_GFX90A:ACCUM_OFFSET: 15
; COMPUTE_PGM_RSRC3_GFX90A:TG_SPLIT: 0
	.text
	.p2align	2                               ; -- Begin function _ZN4vllm22paged_attention_kernelI14__hip_bfloat16hLi192ELi32ELi128ELNS_18Fp8KVCacheDataTypeE1ELb0ELi512EEEvPfS3_PT_PKS4_PKT0_SA_ifPKiSC_iPKfiiiSE_SE_iiiii
	.type	_ZN4vllm22paged_attention_kernelI14__hip_bfloat16hLi192ELi32ELi128ELNS_18Fp8KVCacheDataTypeE1ELb0ELi512EEEvPfS3_PT_PKS4_PKT0_SA_ifPKiSC_iPKfiiiSE_SE_iiiii,@function
_ZN4vllm22paged_attention_kernelI14__hip_bfloat16hLi192ELi32ELi128ELNS_18Fp8KVCacheDataTypeE1ELb0ELi512EEEvPfS3_PT_PKS4_PKT0_SA_ifPKiSC_iPKfiiiSE_SE_iiiii: ; @_ZN4vllm22paged_attention_kernelI14__hip_bfloat16hLi192ELi32ELi128ELNS_18Fp8KVCacheDataTypeE1ELb0ELi512EEEvPfS3_PT_PKS4_PKT0_SA_ifPKiSC_iPKfiiiSE_SE_iiiii
; %bb.0:
	s_waitcnt vmcnt(0) expcnt(0) lgkmcnt(0)
	s_or_saveexec_b64 s[4:5], -1
	buffer_store_dword v63, off, s[0:3], s32 offset:672 ; 4-byte Folded Spill
	s_mov_b64 exec, s[4:5]
	buffer_store_dword v40, off, s[0:3], s32 offset:184 ; 4-byte Folded Spill
	buffer_store_dword v41, off, s[0:3], s32 offset:180 ; 4-byte Folded Spill
	buffer_store_dword v42, off, s[0:3], s32 offset:176 ; 4-byte Folded Spill
	buffer_store_dword v43, off, s[0:3], s32 offset:172 ; 4-byte Folded Spill
	buffer_store_dword v44, off, s[0:3], s32 offset:168 ; 4-byte Folded Spill
	buffer_store_dword v45, off, s[0:3], s32 offset:164 ; 4-byte Folded Spill
	buffer_store_dword v46, off, s[0:3], s32 offset:160 ; 4-byte Folded Spill
	buffer_store_dword v47, off, s[0:3], s32 offset:156 ; 4-byte Folded Spill
	buffer_store_dword v56, off, s[0:3], s32 offset:152 ; 4-byte Folded Spill
	buffer_store_dword v57, off, s[0:3], s32 offset:148 ; 4-byte Folded Spill
	buffer_store_dword v58, off, s[0:3], s32 offset:144 ; 4-byte Folded Spill
	buffer_store_dword v59, off, s[0:3], s32 offset:140 ; 4-byte Folded Spill
	buffer_store_dword v60, off, s[0:3], s32 offset:136 ; 4-byte Folded Spill
	buffer_store_dword v61, off, s[0:3], s32 offset:132 ; 4-byte Folded Spill
	buffer_store_dword v62, off, s[0:3], s32 offset:128 ; 4-byte Folded Spill
	buffer_store_dword a32, off, s[0:3], s32 offset:124 ; 4-byte Folded Spill
	buffer_store_dword a33, off, s[0:3], s32 offset:120 ; 4-byte Folded Spill
	buffer_store_dword a34, off, s[0:3], s32 offset:116 ; 4-byte Folded Spill
	buffer_store_dword a35, off, s[0:3], s32 offset:112 ; 4-byte Folded Spill
	buffer_store_dword a36, off, s[0:3], s32 offset:108 ; 4-byte Folded Spill
	buffer_store_dword a37, off, s[0:3], s32 offset:104 ; 4-byte Folded Spill
	buffer_store_dword a38, off, s[0:3], s32 offset:100 ; 4-byte Folded Spill
	buffer_store_dword a39, off, s[0:3], s32 offset:96 ; 4-byte Folded Spill
	buffer_store_dword a40, off, s[0:3], s32 offset:92 ; 4-byte Folded Spill
	buffer_store_dword a41, off, s[0:3], s32 offset:88 ; 4-byte Folded Spill
	buffer_store_dword a42, off, s[0:3], s32 offset:84 ; 4-byte Folded Spill
	buffer_store_dword a43, off, s[0:3], s32 offset:80 ; 4-byte Folded Spill
	buffer_store_dword a44, off, s[0:3], s32 offset:76 ; 4-byte Folded Spill
	buffer_store_dword a45, off, s[0:3], s32 offset:72 ; 4-byte Folded Spill
	buffer_store_dword a46, off, s[0:3], s32 offset:68 ; 4-byte Folded Spill
	buffer_store_dword a47, off, s[0:3], s32 offset:64 ; 4-byte Folded Spill
	buffer_store_dword a48, off, s[0:3], s32 offset:60 ; 4-byte Folded Spill
	buffer_store_dword a49, off, s[0:3], s32 offset:56 ; 4-byte Folded Spill
	buffer_store_dword a50, off, s[0:3], s32 offset:52 ; 4-byte Folded Spill
	buffer_store_dword a51, off, s[0:3], s32 offset:48 ; 4-byte Folded Spill
	buffer_store_dword a52, off, s[0:3], s32 offset:44 ; 4-byte Folded Spill
	buffer_store_dword a53, off, s[0:3], s32 offset:40 ; 4-byte Folded Spill
	buffer_store_dword a54, off, s[0:3], s32 offset:36 ; 4-byte Folded Spill
	buffer_store_dword a55, off, s[0:3], s32 offset:32 ; 4-byte Folded Spill
	buffer_store_dword a56, off, s[0:3], s32 offset:28 ; 4-byte Folded Spill
	buffer_store_dword a57, off, s[0:3], s32 offset:24 ; 4-byte Folded Spill
	buffer_store_dword a58, off, s[0:3], s32 offset:20 ; 4-byte Folded Spill
	buffer_store_dword a59, off, s[0:3], s32 offset:16 ; 4-byte Folded Spill
	buffer_store_dword a60, off, s[0:3], s32 offset:12 ; 4-byte Folded Spill
	buffer_store_dword a61, off, s[0:3], s32 offset:8 ; 4-byte Folded Spill
	buffer_store_dword a62, off, s[0:3], s32 offset:4 ; 4-byte Folded Spill
	buffer_store_dword a63, off, s[0:3], s32 ; 4-byte Folded Spill
	v_writelane_b32 v63, s34, 0
	v_writelane_b32 v63, s35, 1
	;; [unrolled: 1-line block ×9, first 2 shown]
	s_mov_b32 s18, s13
	s_ashr_i32 s19, s13, 31
	buffer_store_dword v22, off, s[0:3], s32 offset:192 ; 4-byte Folded Spill
	s_nop 0
	buffer_store_dword v23, off, s[0:3], s32 offset:196 ; 4-byte Folded Spill
	s_lshl_b64 s[4:5], s[18:19], 2
	v_mov_b32_e32 v22, v1
	v_mov_b32_e32 v30, v0
	v_mov_b32_e32 v1, s5
	v_add_co_u32_e32 v0, vcc, s4, v16
	v_addc_co_u32_e32 v1, vcc, v17, v1, vcc
	flat_load_dword v37, v[0:1]
	v_accvgpr_write_b32 a24, v24
	s_lshl_b32 s36, s14, 9
	v_accvgpr_write_b32 a25, v25
	v_mov_b32_e32 v29, v20
	v_mov_b32_e32 v28, v19
	v_accvgpr_write_b32 a26, v13
	v_mov_b32_e32 v35, v5
	v_mov_b32_e32 v36, v4
	;; [unrolled: 1-line block ×4, first 2 shown]
	s_waitcnt vmcnt(0) lgkmcnt(0)
	v_cmp_lt_i32_e32 vcc, s36, v37
	s_and_saveexec_b64 s[16:17], vcc
	s_cbranch_execz .LBB403_2474
; %bb.1:
	v_sub_u32_e32 v0, 0, v12
	v_max_i32_e32 v0, v12, v0
	v_cvt_f32_u32_e32 v1, v0
	s_load_dword s4, s[8:9], 0x10
	s_load_dword s6, s[8:9], 0x0
	v_sub_u32_e32 v3, 0, v0
	s_mov_b32 s20, s15
	v_rcp_iflag_f32_e32 v1, v1
	s_waitcnt lgkmcnt(0)
	s_lshr_b32 s4, s4, 16
	s_cmp_lg_u32 s4, 0
	s_cselect_b64 s[4:5], -1, 0
	v_mul_f32_e32 v1, 0x4f7ffffe, v1
	v_cvt_u32_f32_e32 v1, v1
	s_cmp_lg_u64 s[4:5], 0
	s_addc_u32 s19, s6, 0
	s_abs_i32 s4, s19
	v_mul_lo_u32 v3, v3, v1
	v_mul_hi_u32 v3, v1, v3
	v_add_u32_e32 v1, v1, v3
	v_mul_hi_u32 v1, s4, v1
	v_mul_lo_u32 v3, v1, v0
	v_sub_u32_e32 v3, s4, v3
	v_add_u32_e32 v4, 1, v1
	v_cmp_ge_u32_e32 vcc, v3, v0
	v_cndmask_b32_e32 v1, v1, v4, vcc
	v_sub_u32_e32 v4, v3, v0
	v_cndmask_b32_e32 v3, v3, v4, vcc
	v_xor_b32_e32 v2, s19, v12
	v_add_u32_e32 v4, 1, v1
	v_cmp_ge_u32_e32 vcc, v3, v0
	v_ashrrev_i32_e32 v2, 31, v2
	v_cndmask_b32_e32 v0, v1, v4, vcc
	v_xor_b32_e32 v0, v0, v2
	v_sub_u32_e32 v0, v0, v2
	v_sub_u32_e32 v1, 0, v0
	v_max_i32_e32 v1, v0, v1
	v_cvt_f32_u32_e32 v2, v1
	v_sub_u32_e32 v3, 0, v1
	s_abs_i32 s6, s12
	v_cmp_ne_u64_e32 vcc, 0, v[28:29]
	v_rcp_iflag_f32_e32 v2, v2
	v_mul_f32_e32 v2, 0x4f7ffffe, v2
	v_cvt_u32_f32_e32 v2, v2
	v_mul_lo_u32 v3, v3, v2
	v_mul_hi_u32 v3, v2, v3
	v_add_u32_e32 v2, v2, v3
	v_mad_u64_u32 v[16:17], s[4:5], s6, v2, 0
	v_mov_b32_e32 v2, 0
	buffer_store_dword v2, off, s[0:3], s32 offset:576 ; 4-byte Folded Spill
	s_and_saveexec_b64 s[4:5], vcc
	s_cbranch_execz .LBB403_3
; %bb.2:
	s_ashr_i32 s13, s12, 31
	s_lshl_b64 s[10:11], s[12:13], 2
	v_mov_b32_e32 v3, s11
	v_add_co_u32_e32 v2, vcc, s10, v28
	v_addc_co_u32_e32 v3, vcc, v29, v3, vcc
	flat_load_dword v2, v[2:3]
	s_waitcnt vmcnt(0) lgkmcnt(0)
	buffer_store_dword v2, off, s[0:3], s32 offset:576 ; 4-byte Folded Spill
.LBB403_3:
	s_or_b64 exec, exec, s[4:5]
	v_and_b32_e32 v19, 0x3ff, v31
	s_ashr_i32 s7, s12, 31
	v_ashrrev_i32_e32 v2, 31, v0
	v_and_b32_e32 v0, 1, v19
	s_movk_i32 s10, 0xc0
	s_mul_i32 s22, s12, 0xc0
	v_cmp_gt_u32_e32 vcc, 48, v19
	v_lshlrev_b32_e32 v39, 3, v19
	s_and_saveexec_b64 s[4:5], vcc
	s_cbranch_execz .LBB403_5
; %bb.4:
	v_mul_lo_u32 v4, s18, v21
	v_ashrrev_i32_e32 v5, 31, v4
	v_lshlrev_b64 v[4:5], 1, v[4:5]
	v_add_co_u32_e32 v3, vcc, v6, v4
	s_ashr_i32 s23, s22, 31
	v_addc_co_u32_e32 v4, vcc, v7, v5, vcc
	s_lshl_b64 s[24:25], s[22:23], 1
	v_mov_b32_e32 v5, s25
	v_add_co_u32_e32 v3, vcc, s24, v3
	v_addc_co_u32_e32 v5, vcc, v4, v5, vcc
	v_add_co_u32_e32 v4, vcc, v3, v39
	v_addc_co_u32_e32 v5, vcc, 0, v5, vcc
	flat_load_dwordx2 v[4:5], v[4:5]
	v_lshlrev_b32_e32 v3, 2, v19
	v_and_b32_e32 v3, 0xff8, v3
	v_mad_u32_u24 v3, v0, s10, v3
	s_waitcnt vmcnt(0) lgkmcnt(0)
	ds_write_b64 v3, v[4:5]
.LBB403_5:
	s_or_b64 exec, exec, s[4:5]
	v_add_u32_e32 v3, 31, v37
	v_ashrrev_i32_e32 v4, 31, v3
	v_lshrrev_b32_e32 v4, 27, v4
	v_add_u32_e32 v3, v3, v4
	v_ashrrev_i32_e32 v49, 5, v3
	v_mul_lo_u32 v3, v17, v1
	v_sub_u32_e32 v3, s6, v3
	v_add_u32_e32 v4, 1, v17
	v_cmp_ge_u32_e32 vcc, v3, v1
	v_sub_u32_e32 v5, v3, v1
	v_cndmask_b32_e32 v4, v17, v4, vcc
	v_cndmask_b32_e32 v3, v3, v5, vcc
	s_lshl_b32 s15, s14, 4
	v_add_u32_e32 v5, 1, v4
	v_cmp_ge_u32_e32 vcc, v3, v1
	s_add_i32 s4, s15, 16
	v_lshrrev_b32_e32 v48, 6, v19
	v_xor_b32_e32 v2, s7, v2
	v_cndmask_b32_e32 v1, v4, v5, vcc
	v_min_i32_e32 v13, s4, v49
	v_xor_b32_e32 v1, v1, v2
	v_mul_lo_u32 v6, s18, v18
	v_or_b32_e32 v12, s15, v48
	v_sub_u32_e32 v2, v1, v2
	v_ashrrev_i32_e32 v7, 31, v6
	v_cmp_lt_i32_e64 s[4:5], v12, v13
	v_mov_b32_e32 v4, v12
	v_cmp_ge_i32_e32 vcc, v12, v13
	v_mbcnt_lo_u32_b32 v1, -1, 0
	s_waitcnt lgkmcnt(0)
	s_barrier
	buffer_store_dword v13, off, s[0:3], s32 offset:188 ; 4-byte Folded Spill
                                        ; implicit-def: $sgpr21
                                        ; implicit-def: $vgpr12
                                        ; implicit-def: $vgpr13
	s_and_saveexec_b64 s[6:7], vcc
	s_xor_b64 s[6:7], exec, s[6:7]
; %bb.6:
	v_mbcnt_hi_u32_b32 v12, -1, v1
	v_and_b32_e32 v0, 64, v12
	v_add_u32_e32 v13, 64, v0
	s_mov_b32 s21, 0xff7fffff
                                        ; implicit-def: $vgpr0
                                        ; kill: killed $vgpr0
                                        ; implicit-def: $agpr26
                                        ; implicit-def: $agpr24
                                        ; implicit-def: $vgpr8
                                        ; implicit-def: $vgpr9
                                        ; implicit-def: $vgpr0
                                        ; implicit-def: $vgpr1
; %bb.7:
	s_or_saveexec_b64 s[10:11], s[6:7]
	s_load_dword s23, s[8:9], 0x14
	s_load_dword s13, s[8:9], 0x8
	v_ashrrev_i32_e32 v5, 31, v4
	v_mul_lo_u32 v2, v2, v23
	v_accvgpr_write_b32 a7, v5
	v_mov_b32_e32 v3, s21
	v_accvgpr_write_b32 a6, v4
	buffer_store_dword v2, off, s[0:3], s32 offset:592 ; 4-byte Folded Spill
	v_ashrrev_i32_e32 v2, 31, v2
	v_lshlrev_b64 v[50:51], 2, v[6:7]
	buffer_store_dword v2, off, s[0:3], s32 offset:588 ; 4-byte Folded Spill
	buffer_store_dword v19, off, s[0:3], s32 offset:584 ; 4-byte Folded Spill
	buffer_store_dword v36, off, s[0:3], s32 offset:596 ; 4-byte Folded Spill
	buffer_store_dword v35, off, s[0:3], s32 offset:600 ; 4-byte Folded Spill
	s_xor_b64 exec, exec, s[10:11]
	s_cbranch_execz .LBB403_973
; %bb.8:
	buffer_store_dword v49, off, s[0:3], s32 offset:604 ; 4-byte Folded Spill
	buffer_store_dword v39, off, s[0:3], s32 offset:608 ; 4-byte Folded Spill
	;; [unrolled: 1-line block ×9, first 2 shown]
	s_nop 0
	buffer_store_dword v27, off, s[0:3], s32 offset:660 ; 4-byte Folded Spill
	v_mul_u32_u24_e32 v2, 0xc0, v0
	ds_read_b128 v[4:7], v2
	ds_read_b128 v[10:13], v2 offset:16
	ds_read_b128 v[24:27], v2 offset:32
	v_mov_b32_e32 v22, v19
	ds_read_b128 v[18:21], v2 offset:48
	s_waitcnt lgkmcnt(0)
	v_and_b32_e32 v3, 0xffff0000, v4
	buffer_store_dword v3, off, s[0:3], s32 offset:204 ; 4-byte Folded Spill
	v_lshlrev_b32_e32 v3, 16, v5
	buffer_store_dword v3, off, s[0:3], s32 offset:208 ; 4-byte Folded Spill
	v_and_b32_e32 v3, 0xffff0000, v5
	buffer_store_dword v3, off, s[0:3], s32 offset:212 ; 4-byte Folded Spill
	v_lshlrev_b32_e32 v3, 16, v6
	buffer_store_dword v3, off, s[0:3], s32 offset:216 ; 4-byte Folded Spill
	;; [unrolled: 4-line block ×11, first 2 shown]
	v_and_b32_e32 v3, 0xffff0000, v27
	v_lshlrev_b32_e32 v16, 16, v4
	ds_read_b128 v[4:7], v2 offset:64
	buffer_store_dword v3, off, s[0:3], s32 offset:316 ; 4-byte Folded Spill
	v_lshlrev_b32_e32 v3, 16, v18
	buffer_store_dword v3, off, s[0:3], s32 offset:320 ; 4-byte Folded Spill
	v_and_b32_e32 v3, 0xffff0000, v18
	buffer_store_dword v3, off, s[0:3], s32 offset:324 ; 4-byte Folded Spill
	v_lshlrev_b32_e32 v3, 16, v19
	buffer_store_dword v3, off, s[0:3], s32 offset:328 ; 4-byte Folded Spill
	v_and_b32_e32 v3, 0xffff0000, v19
	;; [unrolled: 4-line block ×4, first 2 shown]
	buffer_store_dword v3, off, s[0:3], s32 offset:348 ; 4-byte Folded Spill
	s_waitcnt lgkmcnt(0)
	v_lshlrev_b32_e32 v3, 16, v4
	buffer_store_dword v3, off, s[0:3], s32 offset:352 ; 4-byte Folded Spill
	v_and_b32_e32 v3, 0xffff0000, v4
	buffer_store_dword v3, off, s[0:3], s32 offset:356 ; 4-byte Folded Spill
	v_lshlrev_b32_e32 v3, 16, v5
	ds_read_b128 v[10:13], v2 offset:80
	buffer_store_dword v3, off, s[0:3], s32 offset:360 ; 4-byte Folded Spill
	v_and_b32_e32 v3, 0xffff0000, v5
	buffer_store_dword v3, off, s[0:3], s32 offset:364 ; 4-byte Folded Spill
	v_lshlrev_b32_e32 v3, 16, v6
	buffer_store_dword v3, off, s[0:3], s32 offset:368 ; 4-byte Folded Spill
	v_and_b32_e32 v3, 0xffff0000, v6
	buffer_store_dword v3, off, s[0:3], s32 offset:372 ; 4-byte Folded Spill
	v_lshlrev_b32_e32 v3, 16, v7
	buffer_store_dword v3, off, s[0:3], s32 offset:376 ; 4-byte Folded Spill
	v_and_b32_e32 v3, 0xffff0000, v7
	buffer_store_dword v3, off, s[0:3], s32 offset:380 ; 4-byte Folded Spill
	s_waitcnt lgkmcnt(0)
	v_lshlrev_b32_e32 v3, 16, v10
	buffer_store_dword v3, off, s[0:3], s32 offset:384 ; 4-byte Folded Spill
	v_and_b32_e32 v3, 0xffff0000, v10
	buffer_store_dword v3, off, s[0:3], s32 offset:388 ; 4-byte Folded Spill
	v_lshlrev_b32_e32 v3, 16, v11
	buffer_store_dword v3, off, s[0:3], s32 offset:392 ; 4-byte Folded Spill
	v_and_b32_e32 v3, 0xffff0000, v11
	buffer_store_dword v3, off, s[0:3], s32 offset:396 ; 4-byte Folded Spill
	;; [unrolled: 4-line block ×4, first 2 shown]
	buffer_store_dword v3, off, s[0:3], s32 offset:412 ; 4-byte Folded Spill
	ds_read_b128 v[4:7], v2 offset:96
	ds_read_b128 v[10:13], v2 offset:112
	s_ashr_i32 s21, s20, 31
	s_lshl_b64 s[24:25], s[20:21], 2
	s_getpc_b64 s[26:27]
	s_add_u32 s26, s26, llvm.amdgcn.dynlds.offset.table@rel32@lo+4
	s_addc_u32 s27, s27, llvm.amdgcn.dynlds.offset.table@rel32@hi+12
	s_waitcnt lgkmcnt(1)
	v_lshlrev_b32_e32 v3, 16, v4
	buffer_store_dword v3, off, s[0:3], s32 offset:416 ; 4-byte Folded Spill
	v_and_b32_e32 v3, 0xffff0000, v4
	buffer_store_dword v3, off, s[0:3], s32 offset:420 ; 4-byte Folded Spill
	v_lshlrev_b32_e32 v3, 16, v5
	buffer_store_dword v3, off, s[0:3], s32 offset:424 ; 4-byte Folded Spill
	v_and_b32_e32 v3, 0xffff0000, v5
	buffer_store_dword v3, off, s[0:3], s32 offset:428 ; 4-byte Folded Spill
	;; [unrolled: 4-line block ×4, first 2 shown]
	s_waitcnt lgkmcnt(0)
	v_lshlrev_b32_e32 v3, 16, v10
	buffer_store_dword v3, off, s[0:3], s32 offset:448 ; 4-byte Folded Spill
	v_and_b32_e32 v3, 0xffff0000, v10
	buffer_store_dword v3, off, s[0:3], s32 offset:452 ; 4-byte Folded Spill
	v_lshlrev_b32_e32 v3, 16, v11
	buffer_store_dword v3, off, s[0:3], s32 offset:456 ; 4-byte Folded Spill
	v_and_b32_e32 v3, 0xffff0000, v11
	buffer_store_dword v3, off, s[0:3], s32 offset:460 ; 4-byte Folded Spill
	;; [unrolled: 4-line block ×4, first 2 shown]
	ds_read_b128 v[4:7], v2 offset:128
	ds_read_b128 v[10:13], v2 offset:144
	v_cmp_eq_u32_e64 s[6:7], 0, v0
	s_add_u32 s24, s24, s26
	v_lshlrev_b32_e32 v0, 2, v0
	s_waitcnt lgkmcnt(1)
	v_lshlrev_b32_e32 v3, 16, v4
	buffer_store_dword v3, off, s[0:3], s32 offset:480 ; 4-byte Folded Spill
	v_and_b32_e32 v3, 0xffff0000, v4
	buffer_store_dword v3, off, s[0:3], s32 offset:484 ; 4-byte Folded Spill
	v_lshlrev_b32_e32 v3, 16, v5
	buffer_store_dword v3, off, s[0:3], s32 offset:488 ; 4-byte Folded Spill
	v_and_b32_e32 v3, 0xffff0000, v5
	buffer_store_dword v3, off, s[0:3], s32 offset:492 ; 4-byte Folded Spill
	v_lshlrev_b32_e32 v3, 16, v6
	buffer_store_dword v3, off, s[0:3], s32 offset:496 ; 4-byte Folded Spill
	v_and_b32_e32 v3, 0xffff0000, v6
	buffer_store_dword v3, off, s[0:3], s32 offset:500 ; 4-byte Folded Spill
	v_lshlrev_b32_e32 v3, 16, v7
	buffer_store_dword v3, off, s[0:3], s32 offset:504 ; 4-byte Folded Spill
	v_and_b32_e32 v3, 0xffff0000, v7
	buffer_store_dword v3, off, s[0:3], s32 offset:508 ; 4-byte Folded Spill
	s_waitcnt lgkmcnt(0)
	v_lshlrev_b32_e32 v3, 16, v10
	buffer_store_dword v3, off, s[0:3], s32 offset:512 ; 4-byte Folded Spill
	v_and_b32_e32 v3, 0xffff0000, v10
	buffer_store_dword v3, off, s[0:3], s32 offset:516 ; 4-byte Folded Spill
	v_lshlrev_b32_e32 v3, 16, v11
	buffer_store_dword v3, off, s[0:3], s32 offset:520 ; 4-byte Folded Spill
	v_and_b32_e32 v3, 0xffff0000, v11
	buffer_store_dword v3, off, s[0:3], s32 offset:524 ; 4-byte Folded Spill
	;; [unrolled: 4-line block ×4, first 2 shown]
	ds_read_b128 v[4:7], v2 offset:160
	ds_read_b128 v[10:13], v2 offset:176
	buffer_load_dword v3, off, s[0:3], s32 offset:588 ; 4-byte Folded Reload
	s_addc_u32 s25, s25, s27
	s_mov_b64 s[26:27], 0
	s_waitcnt lgkmcnt(1)
	v_lshlrev_b32_e32 v2, 16, v4
	buffer_store_dword v2, off, s[0:3], s32 offset:544 ; 4-byte Folded Spill
	v_and_b32_e32 v2, 0xffff0000, v4
	buffer_store_dword v2, off, s[0:3], s32 offset:548 ; 4-byte Folded Spill
	v_lshlrev_b32_e32 v2, 16, v5
	buffer_store_dword v2, off, s[0:3], s32 offset:552 ; 4-byte Folded Spill
	v_and_b32_e32 v2, 0xffff0000, v5
	buffer_store_dword v2, off, s[0:3], s32 offset:556 ; 4-byte Folded Spill
	v_lshlrev_b32_e32 v2, 16, v6
	buffer_store_dword v2, off, s[0:3], s32 offset:560 ; 4-byte Folded Spill
	v_and_b32_e32 v2, 0xffff0000, v6
	buffer_store_dword v2, off, s[0:3], s32 offset:564 ; 4-byte Folded Spill
	v_lshlrev_b32_e32 v2, 16, v7
	buffer_store_dword v2, off, s[0:3], s32 offset:568 ; 4-byte Folded Spill
	v_and_b32_e32 v2, 0xffff0000, v7
	buffer_store_dword v2, off, s[0:3], s32 offset:572 ; 4-byte Folded Spill
	s_waitcnt lgkmcnt(0)
	v_lshlrev_b32_e32 v2, 16, v10
	v_accvgpr_write_b32 a61, v2
	v_and_b32_e32 v2, 0xffff0000, v10
	v_accvgpr_write_b32 a62, v2
	v_lshlrev_b32_e32 v2, 16, v11
	v_accvgpr_write_b32 a63, v2
	v_and_b32_e32 v2, 0xffff0000, v11
	v_accvgpr_write_b32 a19, v2
	;; [unrolled: 4-line block ×4, first 2 shown]
	buffer_load_dword v2, off, s[0:3], s32 offset:592 ; 4-byte Folded Reload
	v_bfe_u32 v4, v22, 1, 5
	v_lshlrev_b32_e32 v5, 4, v4
	v_accvgpr_read_b32 v6, a6
	v_accvgpr_read_b32 v7, a7
	s_movk_i32 s21, 0x80
	s_movk_i32 s37, 0x7f
	s_mov_b32 s38, 0x7f800000
	s_movk_i32 s39, 0x7fff
	s_mov_b32 s40, 0xffffff
	v_mov_b32_e32 v49, 0
	v_accvgpr_write_b32 a14, v0
	v_mov_b32_e32 v0, 0xff7fffff
	v_accvgpr_write_b32 a31, v16
	s_waitcnt vmcnt(0)
	v_add_co_u32_e32 v2, vcc, v8, v2
	v_addc_co_u32_e32 v3, vcc, v9, v3, vcc
	v_add_co_u32_e32 v2, vcc, v2, v5
	v_addc_co_u32_e32 v3, vcc, 0, v3, vcc
	v_accvgpr_write_b32 a23, v3
	v_accvgpr_write_b32 a22, v2
	v_lshlrev_b64 v[2:3], 2, v[6:7]
	v_add_co_u32_e32 v2, vcc, v50, v2
	buffer_store_dword v50, off, s[0:3], s32 offset:612 ; 4-byte Folded Spill
	s_nop 0
	buffer_store_dword v51, off, s[0:3], s32 offset:616 ; 4-byte Folded Spill
	buffer_store_dword v48, off, s[0:3], s32 offset:628 ; 4-byte Folded Spill
	v_bfrev_b32_e32 v50, 60
	buffer_store_dword v14, off, s[0:3], s32 offset:664 ; 4-byte Folded Spill
	buffer_store_dword v15, off, s[0:3], s32 offset:668 ; 4-byte Folded Spill
	;; [unrolled: 1-line block ×3, first 2 shown]
	v_addc_co_u32_e32 v3, vcc, v51, v3, vcc
	v_add_co_u32_e32 v18, vcc, v14, v2
	v_mbcnt_hi_u32_b32 v2, -1, v1
	v_and_b32_e32 v1, 64, v2
	v_addc_co_u32_e32 v19, vcc, v15, v3, vcc
	v_add_u32_e32 v3, 64, v1
	v_xor_b32_e32 v1, 1, v2
	v_cmp_lt_i32_e32 vcc, v1, v3
	v_cndmask_b32_e32 v1, v2, v1, vcc
	v_lshlrev_b32_e32 v1, 2, v1
	v_accvgpr_write_b32 a2, v1
	buffer_load_dword v1, off, s[0:3], s32 offset:576 ; 4-byte Folded Reload
	v_mov_b32_e32 v51, v6
	buffer_store_dword v3, off, s[0:3], s32 offset:620 ; 4-byte Folded Spill
	buffer_store_dword v2, off, s[0:3], s32 offset:624 ; 4-byte Folded Spill
	s_waitcnt vmcnt(2)
	v_cmp_neq_f32_e64 s[8:9], 0, v1
	v_lshlrev_b32_e32 v1, 5, v48
	v_add3_u32 v39, s36, v1, v4
	v_lshlrev_b32_e32 v1, 2, v4
	v_lshl_or_b32 v48, v48, 7, v1
	s_branch .LBB403_10
.LBB403_9:                              ;   in Loop: Header=BB403_10 Depth=1
	s_or_b64 exec, exec, s[28:29]
	buffer_load_dword v0, off, s[0:3], s32 offset:188 ; 4-byte Folded Reload
	v_add_co_u32_e32 v18, vcc, 8, v18
	v_add_u32_e32 v51, 2, v51
	v_addc_co_u32_e32 v19, vcc, 0, v19, vcc
	v_add_u32_e32 v39, 64, v39
	v_add_u32_e32 v48, 0x100, v48
	s_waitcnt vmcnt(0)
	v_cmp_ge_i32_e32 vcc, v51, v0
	s_or_b64 s[26:27], vcc, s[26:27]
	s_andn2_b64 exec, exec, s[26:27]
	s_cbranch_execz .LBB403_972
.LBB403_10:                             ; =>This Inner Loop Header: Depth=1
	flat_load_dword v0, v[18:19]
	buffer_load_dword v2, off, s[0:3], s32 offset:192 ; 4-byte Folded Reload
	buffer_load_dword v3, off, s[0:3], s32 offset:196 ; 4-byte Folded Reload
	v_accvgpr_read_b32 v4, a22
	v_accvgpr_read_b32 v5, a23
	s_waitcnt vmcnt(0) lgkmcnt(0)
	v_mad_i64_i32 v[0:1], s[28:29], v0, v2, v[4:5]
	v_accvgpr_read_b32 v2, a14
	v_add_co_u32_e32 v20, vcc, v0, v2
	v_addc_co_u32_e32 v21, vcc, 0, v1, vcc
	v_accvgpr_read_b32 v0, a24
	flat_load_dword v28, v[20:21]
	v_accvgpr_read_b32 v1, a25
	flat_load_dword v53, v[0:1]
	v_mov_b32_e32 v0, 0
	s_waitcnt vmcnt(0) lgkmcnt(0)
	v_cmp_ne_u16_sdwa vcc, v28, v49 src0_sel:BYTE_0 src1_sel:DWORD
	s_and_saveexec_b64 s[28:29], vcc
	s_cbranch_execz .LBB403_16
; %bb.11:                               ;   in Loop: Header=BB403_10 Depth=1
	v_cmp_ne_u16_sdwa vcc, v28, s21 src0_sel:BYTE_0 src1_sel:DWORD
	v_bfrev_b32_e32 v0, 1
	s_and_saveexec_b64 s[30:31], vcc
	s_cbranch_execz .LBB403_15
; %bb.12:                               ;   in Loop: Header=BB403_10 Depth=1
	v_and_b32_e32 v1, 0x7f, v28
	v_cmp_ne_u32_e32 vcc, s37, v1
	v_mov_b32_e32 v0, 0x7f800001
	s_and_saveexec_b64 s[34:35], vcc
	s_cbranch_execz .LBB403_14
; %bb.13:                               ;   in Loop: Header=BB403_10 Depth=1
	v_and_b32_e32 v2, 7, v28
	v_ffbh_u32_e32 v0, v2
	v_min_u32_e32 v4, 32, v0
	v_subrev_u32_e32 v0, 28, v4
	v_lshrrev_b32_e32 v3, 3, v1
	v_cmp_gt_u32_e32 vcc, 8, v1
	v_lshlrev_b64 v[0:1], v0, v[28:29]
	v_sub_u32_e32 v1, 29, v4
	v_and_b32_e32 v0, 7, v0
	v_cndmask_b32_e32 v1, v3, v1, vcc
	v_cndmask_b32_e32 v0, v2, v0, vcc
	v_lshlrev_b32_e32 v2, 24, v28
	v_lshlrev_b32_e32 v0, 20, v0
	v_and_b32_e32 v2, 0x80000000, v2
	v_lshl_add_u32 v1, v1, 23, v50
	v_or3_b32 v0, v2, v1, v0
.LBB403_14:                             ;   in Loop: Header=BB403_10 Depth=1
	s_or_b64 exec, exec, s[34:35]
.LBB403_15:                             ;   in Loop: Header=BB403_10 Depth=1
	s_or_b64 exec, exec, s[30:31]
.LBB403_16:                             ;   in Loop: Header=BB403_10 Depth=1
	s_or_b64 exec, exec, s[28:29]
	v_mul_f32_e32 v0, v53, v0
	v_and_b32_e32 v1, 0x7f800000, v0
	v_cmp_ne_u32_e32 vcc, s38, v1
                                        ; implicit-def: $vgpr25
	s_and_saveexec_b64 s[28:29], vcc
	s_xor_b64 s[28:29], exec, s[28:29]
; %bb.17:                               ;   in Loop: Header=BB403_10 Depth=1
	v_bfe_u32 v1, v0, 16, 1
	v_add3_u32 v25, v0, v1, s39
                                        ; implicit-def: $vgpr0
; %bb.18:                               ;   in Loop: Header=BB403_10 Depth=1
	s_andn2_saveexec_b64 s[28:29], s[28:29]
; %bb.19:                               ;   in Loop: Header=BB403_10 Depth=1
	v_or_b32_e32 v1, 0x10000, v0
	v_cmp_eq_u32_sdwa vcc, v0, v49 src0_sel:WORD_0 src1_sel:DWORD
	v_cndmask_b32_e32 v25, v1, v0, vcc
; %bb.20:                               ;   in Loop: Header=BB403_10 Depth=1
	s_or_b64 exec, exec, s[28:29]
	v_lshrrev_b16_e32 v30, 8, v28
	v_cmp_ne_u16_e32 vcc, 0, v30
	v_mov_b32_e32 v0, 0
	s_and_saveexec_b64 s[28:29], vcc
	s_cbranch_execz .LBB403_26
; %bb.21:                               ;   in Loop: Header=BB403_10 Depth=1
	v_cmp_ne_u16_e32 vcc, s21, v30
	v_bfrev_b32_e32 v0, 1
	s_and_saveexec_b64 s[30:31], vcc
	s_cbranch_execz .LBB403_25
; %bb.22:                               ;   in Loop: Header=BB403_10 Depth=1
	v_and_b32_e32 v1, 0x7f, v30
	v_cmp_ne_u32_e32 vcc, s37, v1
	v_mov_b32_e32 v0, 0x7f800001
	s_and_saveexec_b64 s[34:35], vcc
	s_cbranch_execz .LBB403_24
; %bb.23:                               ;   in Loop: Header=BB403_10 Depth=1
	v_and_b32_e32 v2, 7, v30
	v_ffbh_u32_e32 v0, v2
	v_min_u32_e32 v4, 32, v0
	v_subrev_u32_e32 v0, 28, v4
	v_lshrrev_b32_e32 v3, 3, v1
	v_cmp_gt_u32_e32 vcc, 8, v1
	v_lshlrev_b64 v[0:1], v0, v[30:31]
	v_sub_u32_e32 v1, 29, v4
	v_and_b32_e32 v0, 7, v0
	v_cndmask_b32_e32 v1, v3, v1, vcc
	v_cndmask_b32_e32 v0, v2, v0, vcc
	v_lshlrev_b32_e32 v2, 16, v28
	v_lshlrev_b32_e32 v0, 20, v0
	v_and_b32_e32 v2, 0x80000000, v2
	v_lshl_add_u32 v1, v1, 23, v50
	v_or3_b32 v0, v2, v1, v0
.LBB403_24:                             ;   in Loop: Header=BB403_10 Depth=1
	s_or_b64 exec, exec, s[34:35]
.LBB403_25:                             ;   in Loop: Header=BB403_10 Depth=1
	s_or_b64 exec, exec, s[30:31]
.LBB403_26:                             ;   in Loop: Header=BB403_10 Depth=1
	s_or_b64 exec, exec, s[28:29]
	v_mul_f32_e32 v0, v53, v0
	v_and_b32_e32 v1, 0x7f800000, v0
	v_cmp_ne_u32_e32 vcc, s38, v1
                                        ; implicit-def: $vgpr36
	s_and_saveexec_b64 s[28:29], vcc
	s_xor_b64 s[28:29], exec, s[28:29]
; %bb.27:                               ;   in Loop: Header=BB403_10 Depth=1
	v_bfe_u32 v1, v0, 16, 1
	v_add3_u32 v36, v0, v1, s39
                                        ; implicit-def: $vgpr0
; %bb.28:                               ;   in Loop: Header=BB403_10 Depth=1
	s_andn2_saveexec_b64 s[28:29], s[28:29]
; %bb.29:                               ;   in Loop: Header=BB403_10 Depth=1
	v_or_b32_e32 v1, 0x10000, v0
	v_cmp_eq_u32_sdwa vcc, v0, v49 src0_sel:WORD_0 src1_sel:DWORD
	v_cndmask_b32_e32 v36, v1, v0, vcc
; %bb.30:                               ;   in Loop: Header=BB403_10 Depth=1
	s_or_b64 exec, exec, s[28:29]
	v_lshrrev_b32_e32 v30, 16, v28
	v_cmp_ne_u16_sdwa vcc, v30, v49 src0_sel:BYTE_0 src1_sel:DWORD
	v_mov_b32_e32 v0, 0
	s_and_saveexec_b64 s[28:29], vcc
	s_cbranch_execz .LBB403_36
; %bb.31:                               ;   in Loop: Header=BB403_10 Depth=1
	v_cmp_ne_u16_sdwa vcc, v30, s21 src0_sel:BYTE_0 src1_sel:DWORD
	v_bfrev_b32_e32 v0, 1
	s_and_saveexec_b64 s[30:31], vcc
	s_cbranch_execz .LBB403_35
; %bb.32:                               ;   in Loop: Header=BB403_10 Depth=1
	v_bfe_u32 v1, v28, 16, 7
	v_cmp_ne_u32_e32 vcc, s37, v1
	v_mov_b32_e32 v0, 0x7f800001
	s_and_saveexec_b64 s[34:35], vcc
	s_cbranch_execz .LBB403_34
; %bb.33:                               ;   in Loop: Header=BB403_10 Depth=1
	v_and_b32_e32 v2, 7, v30
	v_ffbh_u32_e32 v0, v2
	v_min_u32_e32 v4, 32, v0
	v_subrev_u32_e32 v0, 28, v4
	v_lshrrev_b32_e32 v3, 3, v1
	v_cmp_gt_u32_e32 vcc, 8, v1
	v_lshlrev_b64 v[0:1], v0, v[30:31]
	v_sub_u32_e32 v1, 29, v4
	v_and_b32_e32 v0, 7, v0
	v_cndmask_b32_e32 v1, v3, v1, vcc
	v_cndmask_b32_e32 v0, v2, v0, vcc
	v_lshlrev_b32_e32 v2, 24, v30
	v_lshlrev_b32_e32 v0, 20, v0
	v_and_b32_e32 v2, 0x80000000, v2
	v_lshl_add_u32 v1, v1, 23, v50
	v_or3_b32 v0, v2, v1, v0
.LBB403_34:                             ;   in Loop: Header=BB403_10 Depth=1
	s_or_b64 exec, exec, s[34:35]
.LBB403_35:                             ;   in Loop: Header=BB403_10 Depth=1
	s_or_b64 exec, exec, s[30:31]
.LBB403_36:                             ;   in Loop: Header=BB403_10 Depth=1
	s_or_b64 exec, exec, s[28:29]
	v_mul_f32_e32 v0, v53, v0
	v_and_b32_e32 v1, 0x7f800000, v0
	v_cmp_ne_u32_e32 vcc, s38, v1
                                        ; implicit-def: $agpr15
	s_and_saveexec_b64 s[28:29], vcc
	s_xor_b64 s[28:29], exec, s[28:29]
; %bb.37:                               ;   in Loop: Header=BB403_10 Depth=1
	v_bfe_u32 v1, v0, 16, 1
	v_add3_u32 v0, v0, v1, s39
	v_accvgpr_write_b32 a15, v0
                                        ; implicit-def: $vgpr0
; %bb.38:                               ;   in Loop: Header=BB403_10 Depth=1
	s_andn2_saveexec_b64 s[28:29], s[28:29]
; %bb.39:                               ;   in Loop: Header=BB403_10 Depth=1
	v_or_b32_e32 v1, 0x10000, v0
	v_cmp_eq_u32_sdwa vcc, v0, v49 src0_sel:WORD_0 src1_sel:DWORD
	v_cndmask_b32_e32 v0, v1, v0, vcc
	v_accvgpr_write_b32 a15, v0
; %bb.40:                               ;   in Loop: Header=BB403_10 Depth=1
	s_or_b64 exec, exec, s[28:29]
	v_cmp_lt_u32_e32 vcc, s40, v28
	v_mov_b32_e32 v0, 0
	s_and_saveexec_b64 s[28:29], vcc
	s_cbranch_execz .LBB403_46
; %bb.41:                               ;   in Loop: Header=BB403_10 Depth=1
	v_lshrrev_b32_e32 v30, 24, v28
	v_cmp_ne_u32_e32 vcc, s21, v30
	v_bfrev_b32_e32 v0, 1
	s_and_saveexec_b64 s[30:31], vcc
	s_cbranch_execz .LBB403_45
; %bb.42:                               ;   in Loop: Header=BB403_10 Depth=1
	v_bfe_u32 v1, v28, 24, 7
	v_cmp_ne_u32_e32 vcc, s37, v1
	v_mov_b32_e32 v0, 0x7f800001
	s_and_saveexec_b64 s[34:35], vcc
	s_cbranch_execz .LBB403_44
; %bb.43:                               ;   in Loop: Header=BB403_10 Depth=1
	v_and_b32_e32 v2, 7, v30
	v_ffbh_u32_e32 v0, v2
	v_min_u32_e32 v4, 32, v0
	v_subrev_u32_e32 v0, 28, v4
	v_lshrrev_b32_e32 v3, 3, v1
	v_cmp_gt_u32_e32 vcc, 8, v1
	v_lshlrev_b64 v[0:1], v0, v[30:31]
	v_sub_u32_e32 v1, 29, v4
	v_and_b32_e32 v0, 7, v0
	v_cndmask_b32_e32 v1, v3, v1, vcc
	v_cndmask_b32_e32 v0, v2, v0, vcc
	v_lshlrev_b32_e32 v2, 24, v30
	v_lshlrev_b32_e32 v0, 20, v0
	v_and_b32_e32 v2, 0x80000000, v2
	v_lshl_add_u32 v1, v1, 23, v50
	v_or3_b32 v0, v2, v1, v0
.LBB403_44:                             ;   in Loop: Header=BB403_10 Depth=1
	s_or_b64 exec, exec, s[34:35]
.LBB403_45:                             ;   in Loop: Header=BB403_10 Depth=1
	s_or_b64 exec, exec, s[30:31]
.LBB403_46:                             ;   in Loop: Header=BB403_10 Depth=1
	s_or_b64 exec, exec, s[28:29]
	v_mul_f32_e32 v0, v53, v0
	v_and_b32_e32 v1, 0x7f800000, v0
	v_cmp_ne_u32_e32 vcc, s38, v1
                                        ; implicit-def: $agpr16
	s_and_saveexec_b64 s[28:29], vcc
	s_xor_b64 s[28:29], exec, s[28:29]
; %bb.47:                               ;   in Loop: Header=BB403_10 Depth=1
	v_bfe_u32 v1, v0, 16, 1
	v_add3_u32 v0, v0, v1, s39
	v_accvgpr_write_b32 a16, v0
                                        ; implicit-def: $vgpr0
; %bb.48:                               ;   in Loop: Header=BB403_10 Depth=1
	s_andn2_saveexec_b64 s[28:29], s[28:29]
; %bb.49:                               ;   in Loop: Header=BB403_10 Depth=1
	v_or_b32_e32 v1, 0x10000, v0
	v_cmp_eq_u32_sdwa vcc, v0, v49 src0_sel:WORD_0 src1_sel:DWORD
	v_cndmask_b32_e32 v0, v1, v0, vcc
	v_accvgpr_write_b32 a16, v0
; %bb.50:                               ;   in Loop: Header=BB403_10 Depth=1
	s_or_b64 exec, exec, s[28:29]
	flat_load_dword v28, v[20:21] offset:8
	v_mov_b32_e32 v0, 0
	s_waitcnt vmcnt(0) lgkmcnt(0)
	v_cmp_ne_u16_sdwa vcc, v28, v49 src0_sel:BYTE_0 src1_sel:DWORD
	s_and_saveexec_b64 s[28:29], vcc
	s_cbranch_execz .LBB403_56
; %bb.51:                               ;   in Loop: Header=BB403_10 Depth=1
	v_cmp_ne_u16_sdwa vcc, v28, s21 src0_sel:BYTE_0 src1_sel:DWORD
	v_bfrev_b32_e32 v0, 1
	s_and_saveexec_b64 s[30:31], vcc
	s_cbranch_execz .LBB403_55
; %bb.52:                               ;   in Loop: Header=BB403_10 Depth=1
	v_and_b32_e32 v1, 0x7f, v28
	v_cmp_ne_u32_e32 vcc, s37, v1
	v_mov_b32_e32 v0, 0x7f800001
	s_and_saveexec_b64 s[34:35], vcc
	s_cbranch_execz .LBB403_54
; %bb.53:                               ;   in Loop: Header=BB403_10 Depth=1
	v_and_b32_e32 v2, 7, v28
	v_ffbh_u32_e32 v0, v2
	v_min_u32_e32 v4, 32, v0
	v_subrev_u32_e32 v0, 28, v4
	v_lshrrev_b32_e32 v3, 3, v1
	v_cmp_gt_u32_e32 vcc, 8, v1
	v_lshlrev_b64 v[0:1], v0, v[28:29]
	v_sub_u32_e32 v1, 29, v4
	v_and_b32_e32 v0, 7, v0
	v_cndmask_b32_e32 v1, v3, v1, vcc
	v_cndmask_b32_e32 v0, v2, v0, vcc
	v_lshlrev_b32_e32 v2, 24, v28
	v_lshlrev_b32_e32 v0, 20, v0
	v_and_b32_e32 v2, 0x80000000, v2
	v_lshl_add_u32 v1, v1, 23, v50
	v_or3_b32 v0, v2, v1, v0
.LBB403_54:                             ;   in Loop: Header=BB403_10 Depth=1
	s_or_b64 exec, exec, s[34:35]
.LBB403_55:                             ;   in Loop: Header=BB403_10 Depth=1
	s_or_b64 exec, exec, s[30:31]
.LBB403_56:                             ;   in Loop: Header=BB403_10 Depth=1
	s_or_b64 exec, exec, s[28:29]
	v_mul_f32_e32 v0, v53, v0
	v_and_b32_e32 v1, 0x7f800000, v0
	v_cmp_ne_u32_e32 vcc, s38, v1
                                        ; implicit-def: $agpr13
	s_and_saveexec_b64 s[28:29], vcc
	s_xor_b64 s[28:29], exec, s[28:29]
; %bb.57:                               ;   in Loop: Header=BB403_10 Depth=1
	v_bfe_u32 v1, v0, 16, 1
	v_add3_u32 v0, v0, v1, s39
	v_accvgpr_write_b32 a13, v0
                                        ; implicit-def: $vgpr0
; %bb.58:                               ;   in Loop: Header=BB403_10 Depth=1
	s_andn2_saveexec_b64 s[28:29], s[28:29]
; %bb.59:                               ;   in Loop: Header=BB403_10 Depth=1
	v_or_b32_e32 v1, 0x10000, v0
	v_cmp_eq_u32_sdwa vcc, v0, v49 src0_sel:WORD_0 src1_sel:DWORD
	v_cndmask_b32_e32 v0, v1, v0, vcc
	v_accvgpr_write_b32 a13, v0
; %bb.60:                               ;   in Loop: Header=BB403_10 Depth=1
	s_or_b64 exec, exec, s[28:29]
	v_lshrrev_b16_e32 v30, 8, v28
	v_cmp_ne_u16_e32 vcc, 0, v30
	v_mov_b32_e32 v0, 0
	s_and_saveexec_b64 s[28:29], vcc
	s_cbranch_execz .LBB403_66
; %bb.61:                               ;   in Loop: Header=BB403_10 Depth=1
	v_cmp_ne_u16_e32 vcc, s21, v30
	v_bfrev_b32_e32 v0, 1
	s_and_saveexec_b64 s[30:31], vcc
	s_cbranch_execz .LBB403_65
; %bb.62:                               ;   in Loop: Header=BB403_10 Depth=1
	v_and_b32_e32 v1, 0x7f, v30
	v_cmp_ne_u32_e32 vcc, s37, v1
	v_mov_b32_e32 v0, 0x7f800001
	s_and_saveexec_b64 s[34:35], vcc
	s_cbranch_execz .LBB403_64
; %bb.63:                               ;   in Loop: Header=BB403_10 Depth=1
	v_and_b32_e32 v2, 7, v30
	v_ffbh_u32_e32 v0, v2
	v_min_u32_e32 v4, 32, v0
	v_subrev_u32_e32 v0, 28, v4
	v_lshrrev_b32_e32 v3, 3, v1
	v_cmp_gt_u32_e32 vcc, 8, v1
	v_lshlrev_b64 v[0:1], v0, v[30:31]
	v_sub_u32_e32 v1, 29, v4
	v_and_b32_e32 v0, 7, v0
	v_cndmask_b32_e32 v1, v3, v1, vcc
	v_cndmask_b32_e32 v0, v2, v0, vcc
	v_lshlrev_b32_e32 v2, 16, v28
	v_lshlrev_b32_e32 v0, 20, v0
	v_and_b32_e32 v2, 0x80000000, v2
	v_lshl_add_u32 v1, v1, 23, v50
	v_or3_b32 v0, v2, v1, v0
.LBB403_64:                             ;   in Loop: Header=BB403_10 Depth=1
	s_or_b64 exec, exec, s[34:35]
.LBB403_65:                             ;   in Loop: Header=BB403_10 Depth=1
	s_or_b64 exec, exec, s[30:31]
.LBB403_66:                             ;   in Loop: Header=BB403_10 Depth=1
	s_or_b64 exec, exec, s[28:29]
	v_mul_f32_e32 v0, v53, v0
	v_and_b32_e32 v1, 0x7f800000, v0
	v_cmp_ne_u32_e32 vcc, s38, v1
                                        ; implicit-def: $agpr41
	s_and_saveexec_b64 s[28:29], vcc
	s_xor_b64 s[28:29], exec, s[28:29]
; %bb.67:                               ;   in Loop: Header=BB403_10 Depth=1
	v_bfe_u32 v1, v0, 16, 1
	v_add3_u32 v0, v0, v1, s39
	v_accvgpr_write_b32 a41, v0
                                        ; implicit-def: $vgpr0
; %bb.68:                               ;   in Loop: Header=BB403_10 Depth=1
	s_andn2_saveexec_b64 s[28:29], s[28:29]
; %bb.69:                               ;   in Loop: Header=BB403_10 Depth=1
	v_or_b32_e32 v1, 0x10000, v0
	v_cmp_eq_u32_sdwa vcc, v0, v49 src0_sel:WORD_0 src1_sel:DWORD
	v_cndmask_b32_e32 v0, v1, v0, vcc
	v_accvgpr_write_b32 a41, v0
; %bb.70:                               ;   in Loop: Header=BB403_10 Depth=1
	s_or_b64 exec, exec, s[28:29]
	v_lshrrev_b32_e32 v30, 16, v28
	v_cmp_ne_u16_sdwa vcc, v30, v49 src0_sel:BYTE_0 src1_sel:DWORD
	v_mov_b32_e32 v0, 0
	s_and_saveexec_b64 s[28:29], vcc
	s_cbranch_execz .LBB403_76
; %bb.71:                               ;   in Loop: Header=BB403_10 Depth=1
	v_cmp_ne_u16_sdwa vcc, v30, s21 src0_sel:BYTE_0 src1_sel:DWORD
	v_bfrev_b32_e32 v0, 1
	s_and_saveexec_b64 s[30:31], vcc
	s_cbranch_execz .LBB403_75
; %bb.72:                               ;   in Loop: Header=BB403_10 Depth=1
	v_bfe_u32 v1, v28, 16, 7
	v_cmp_ne_u32_e32 vcc, s37, v1
	v_mov_b32_e32 v0, 0x7f800001
	s_and_saveexec_b64 s[34:35], vcc
	s_cbranch_execz .LBB403_74
; %bb.73:                               ;   in Loop: Header=BB403_10 Depth=1
	v_and_b32_e32 v2, 7, v30
	v_ffbh_u32_e32 v0, v2
	v_min_u32_e32 v4, 32, v0
	v_subrev_u32_e32 v0, 28, v4
	v_lshrrev_b32_e32 v3, 3, v1
	v_cmp_gt_u32_e32 vcc, 8, v1
	v_lshlrev_b64 v[0:1], v0, v[30:31]
	v_sub_u32_e32 v1, 29, v4
	v_and_b32_e32 v0, 7, v0
	v_cndmask_b32_e32 v1, v3, v1, vcc
	v_cndmask_b32_e32 v0, v2, v0, vcc
	v_lshlrev_b32_e32 v2, 24, v30
	v_lshlrev_b32_e32 v0, 20, v0
	v_and_b32_e32 v2, 0x80000000, v2
	v_lshl_add_u32 v1, v1, 23, v50
	v_or3_b32 v0, v2, v1, v0
.LBB403_74:                             ;   in Loop: Header=BB403_10 Depth=1
	s_or_b64 exec, exec, s[34:35]
.LBB403_75:                             ;   in Loop: Header=BB403_10 Depth=1
	s_or_b64 exec, exec, s[30:31]
.LBB403_76:                             ;   in Loop: Header=BB403_10 Depth=1
	s_or_b64 exec, exec, s[28:29]
	v_mul_f32_e32 v0, v53, v0
	v_and_b32_e32 v1, 0x7f800000, v0
	v_cmp_ne_u32_e32 vcc, s38, v1
                                        ; implicit-def: $agpr9
	s_and_saveexec_b64 s[28:29], vcc
	s_xor_b64 s[28:29], exec, s[28:29]
; %bb.77:                               ;   in Loop: Header=BB403_10 Depth=1
	v_bfe_u32 v1, v0, 16, 1
	v_add3_u32 v0, v0, v1, s39
	v_accvgpr_write_b32 a9, v0
                                        ; implicit-def: $vgpr0
; %bb.78:                               ;   in Loop: Header=BB403_10 Depth=1
	s_andn2_saveexec_b64 s[28:29], s[28:29]
; %bb.79:                               ;   in Loop: Header=BB403_10 Depth=1
	v_or_b32_e32 v1, 0x10000, v0
	v_cmp_eq_u32_sdwa vcc, v0, v49 src0_sel:WORD_0 src1_sel:DWORD
	v_cndmask_b32_e32 v0, v1, v0, vcc
	v_accvgpr_write_b32 a9, v0
; %bb.80:                               ;   in Loop: Header=BB403_10 Depth=1
	s_or_b64 exec, exec, s[28:29]
	v_cmp_lt_u32_e32 vcc, s40, v28
	v_mov_b32_e32 v0, 0
	s_and_saveexec_b64 s[28:29], vcc
	s_cbranch_execz .LBB403_86
; %bb.81:                               ;   in Loop: Header=BB403_10 Depth=1
	v_lshrrev_b32_e32 v30, 24, v28
	v_cmp_ne_u32_e32 vcc, s21, v30
	v_bfrev_b32_e32 v0, 1
	s_and_saveexec_b64 s[30:31], vcc
	s_cbranch_execz .LBB403_85
; %bb.82:                               ;   in Loop: Header=BB403_10 Depth=1
	v_bfe_u32 v1, v28, 24, 7
	v_cmp_ne_u32_e32 vcc, s37, v1
	v_mov_b32_e32 v0, 0x7f800001
	s_and_saveexec_b64 s[34:35], vcc
	s_cbranch_execz .LBB403_84
; %bb.83:                               ;   in Loop: Header=BB403_10 Depth=1
	v_and_b32_e32 v2, 7, v30
	v_ffbh_u32_e32 v0, v2
	v_min_u32_e32 v4, 32, v0
	v_subrev_u32_e32 v0, 28, v4
	v_lshrrev_b32_e32 v3, 3, v1
	v_cmp_gt_u32_e32 vcc, 8, v1
	v_lshlrev_b64 v[0:1], v0, v[30:31]
	v_sub_u32_e32 v1, 29, v4
	v_and_b32_e32 v0, 7, v0
	v_cndmask_b32_e32 v1, v3, v1, vcc
	v_cndmask_b32_e32 v0, v2, v0, vcc
	v_lshlrev_b32_e32 v2, 24, v30
	v_lshlrev_b32_e32 v0, 20, v0
	v_and_b32_e32 v2, 0x80000000, v2
	v_lshl_add_u32 v1, v1, 23, v50
	v_or3_b32 v0, v2, v1, v0
.LBB403_84:                             ;   in Loop: Header=BB403_10 Depth=1
	s_or_b64 exec, exec, s[34:35]
.LBB403_85:                             ;   in Loop: Header=BB403_10 Depth=1
	s_or_b64 exec, exec, s[30:31]
.LBB403_86:                             ;   in Loop: Header=BB403_10 Depth=1
	s_or_b64 exec, exec, s[28:29]
	v_mul_f32_e32 v0, v53, v0
	v_and_b32_e32 v1, 0x7f800000, v0
	v_cmp_ne_u32_e32 vcc, s38, v1
                                        ; implicit-def: $agpr12
	s_and_saveexec_b64 s[28:29], vcc
	s_xor_b64 s[28:29], exec, s[28:29]
; %bb.87:                               ;   in Loop: Header=BB403_10 Depth=1
	v_bfe_u32 v1, v0, 16, 1
	v_add3_u32 v0, v0, v1, s39
	v_accvgpr_write_b32 a12, v0
                                        ; implicit-def: $vgpr0
; %bb.88:                               ;   in Loop: Header=BB403_10 Depth=1
	s_andn2_saveexec_b64 s[28:29], s[28:29]
; %bb.89:                               ;   in Loop: Header=BB403_10 Depth=1
	v_or_b32_e32 v1, 0x10000, v0
	v_cmp_eq_u32_sdwa vcc, v0, v49 src0_sel:WORD_0 src1_sel:DWORD
	v_cndmask_b32_e32 v0, v1, v0, vcc
	v_accvgpr_write_b32 a12, v0
; %bb.90:                               ;   in Loop: Header=BB403_10 Depth=1
	s_or_b64 exec, exec, s[28:29]
	flat_load_dword v28, v[20:21] offset:512
	v_mov_b32_e32 v0, 0
	s_waitcnt vmcnt(0) lgkmcnt(0)
	v_cmp_ne_u16_sdwa vcc, v28, v49 src0_sel:BYTE_0 src1_sel:DWORD
	s_and_saveexec_b64 s[28:29], vcc
	s_cbranch_execz .LBB403_96
; %bb.91:                               ;   in Loop: Header=BB403_10 Depth=1
	v_cmp_ne_u16_sdwa vcc, v28, s21 src0_sel:BYTE_0 src1_sel:DWORD
	v_bfrev_b32_e32 v0, 1
	s_and_saveexec_b64 s[30:31], vcc
	s_cbranch_execz .LBB403_95
; %bb.92:                               ;   in Loop: Header=BB403_10 Depth=1
	v_and_b32_e32 v1, 0x7f, v28
	v_cmp_ne_u32_e32 vcc, s37, v1
	v_mov_b32_e32 v0, 0x7f800001
	s_and_saveexec_b64 s[34:35], vcc
	s_cbranch_execz .LBB403_94
; %bb.93:                               ;   in Loop: Header=BB403_10 Depth=1
	v_and_b32_e32 v2, 7, v28
	v_ffbh_u32_e32 v0, v2
	v_min_u32_e32 v4, 32, v0
	v_subrev_u32_e32 v0, 28, v4
	v_lshrrev_b32_e32 v3, 3, v1
	v_cmp_gt_u32_e32 vcc, 8, v1
	v_lshlrev_b64 v[0:1], v0, v[28:29]
	v_sub_u32_e32 v1, 29, v4
	v_and_b32_e32 v0, 7, v0
	v_cndmask_b32_e32 v1, v3, v1, vcc
	v_cndmask_b32_e32 v0, v2, v0, vcc
	v_lshlrev_b32_e32 v2, 24, v28
	v_lshlrev_b32_e32 v0, 20, v0
	v_and_b32_e32 v2, 0x80000000, v2
	v_lshl_add_u32 v1, v1, 23, v50
	v_or3_b32 v0, v2, v1, v0
.LBB403_94:                             ;   in Loop: Header=BB403_10 Depth=1
	s_or_b64 exec, exec, s[34:35]
.LBB403_95:                             ;   in Loop: Header=BB403_10 Depth=1
	s_or_b64 exec, exec, s[30:31]
.LBB403_96:                             ;   in Loop: Header=BB403_10 Depth=1
	s_or_b64 exec, exec, s[28:29]
	v_mul_f32_e32 v0, v53, v0
	v_and_b32_e32 v1, 0x7f800000, v0
	v_cmp_ne_u32_e32 vcc, s38, v1
                                        ; implicit-def: $agpr10
	s_and_saveexec_b64 s[28:29], vcc
	s_xor_b64 s[28:29], exec, s[28:29]
; %bb.97:                               ;   in Loop: Header=BB403_10 Depth=1
	v_bfe_u32 v1, v0, 16, 1
	v_add3_u32 v0, v0, v1, s39
	v_accvgpr_write_b32 a10, v0
                                        ; implicit-def: $vgpr0
; %bb.98:                               ;   in Loop: Header=BB403_10 Depth=1
	s_andn2_saveexec_b64 s[28:29], s[28:29]
; %bb.99:                               ;   in Loop: Header=BB403_10 Depth=1
	v_or_b32_e32 v1, 0x10000, v0
	v_cmp_eq_u32_sdwa vcc, v0, v49 src0_sel:WORD_0 src1_sel:DWORD
	v_cndmask_b32_e32 v0, v1, v0, vcc
	v_accvgpr_write_b32 a10, v0
; %bb.100:                              ;   in Loop: Header=BB403_10 Depth=1
	s_or_b64 exec, exec, s[28:29]
	v_lshrrev_b16_e32 v30, 8, v28
	v_cmp_ne_u16_e32 vcc, 0, v30
	v_mov_b32_e32 v0, 0
	s_and_saveexec_b64 s[28:29], vcc
	s_cbranch_execz .LBB403_106
; %bb.101:                              ;   in Loop: Header=BB403_10 Depth=1
	v_cmp_ne_u16_e32 vcc, s21, v30
	v_bfrev_b32_e32 v0, 1
	s_and_saveexec_b64 s[30:31], vcc
	s_cbranch_execz .LBB403_105
; %bb.102:                              ;   in Loop: Header=BB403_10 Depth=1
	v_and_b32_e32 v1, 0x7f, v30
	v_cmp_ne_u32_e32 vcc, s37, v1
	v_mov_b32_e32 v0, 0x7f800001
	s_and_saveexec_b64 s[34:35], vcc
	s_cbranch_execz .LBB403_104
; %bb.103:                              ;   in Loop: Header=BB403_10 Depth=1
	v_and_b32_e32 v2, 7, v30
	v_ffbh_u32_e32 v0, v2
	v_min_u32_e32 v4, 32, v0
	v_subrev_u32_e32 v0, 28, v4
	v_lshrrev_b32_e32 v3, 3, v1
	v_cmp_gt_u32_e32 vcc, 8, v1
	v_lshlrev_b64 v[0:1], v0, v[30:31]
	v_sub_u32_e32 v1, 29, v4
	v_and_b32_e32 v0, 7, v0
	v_cndmask_b32_e32 v1, v3, v1, vcc
	v_cndmask_b32_e32 v0, v2, v0, vcc
	v_lshlrev_b32_e32 v2, 16, v28
	v_lshlrev_b32_e32 v0, 20, v0
	v_and_b32_e32 v2, 0x80000000, v2
	v_lshl_add_u32 v1, v1, 23, v50
	v_or3_b32 v0, v2, v1, v0
.LBB403_104:                            ;   in Loop: Header=BB403_10 Depth=1
	s_or_b64 exec, exec, s[34:35]
.LBB403_105:                            ;   in Loop: Header=BB403_10 Depth=1
	s_or_b64 exec, exec, s[30:31]
.LBB403_106:                            ;   in Loop: Header=BB403_10 Depth=1
	s_or_b64 exec, exec, s[28:29]
	v_mul_f32_e32 v0, v53, v0
	v_and_b32_e32 v1, 0x7f800000, v0
	v_cmp_ne_u32_e32 vcc, s38, v1
                                        ; implicit-def: $agpr11
	s_and_saveexec_b64 s[28:29], vcc
	s_xor_b64 s[28:29], exec, s[28:29]
; %bb.107:                              ;   in Loop: Header=BB403_10 Depth=1
	v_bfe_u32 v1, v0, 16, 1
	v_add3_u32 v0, v0, v1, s39
	v_accvgpr_write_b32 a11, v0
                                        ; implicit-def: $vgpr0
; %bb.108:                              ;   in Loop: Header=BB403_10 Depth=1
	s_andn2_saveexec_b64 s[28:29], s[28:29]
; %bb.109:                              ;   in Loop: Header=BB403_10 Depth=1
	v_or_b32_e32 v1, 0x10000, v0
	v_cmp_eq_u32_sdwa vcc, v0, v49 src0_sel:WORD_0 src1_sel:DWORD
	v_cndmask_b32_e32 v0, v1, v0, vcc
	v_accvgpr_write_b32 a11, v0
; %bb.110:                              ;   in Loop: Header=BB403_10 Depth=1
	s_or_b64 exec, exec, s[28:29]
	v_lshrrev_b32_e32 v30, 16, v28
	v_cmp_ne_u16_sdwa vcc, v30, v49 src0_sel:BYTE_0 src1_sel:DWORD
	v_mov_b32_e32 v0, 0
	s_and_saveexec_b64 s[28:29], vcc
	s_cbranch_execz .LBB403_116
; %bb.111:                              ;   in Loop: Header=BB403_10 Depth=1
	v_cmp_ne_u16_sdwa vcc, v30, s21 src0_sel:BYTE_0 src1_sel:DWORD
	v_bfrev_b32_e32 v0, 1
	s_and_saveexec_b64 s[30:31], vcc
	s_cbranch_execz .LBB403_115
; %bb.112:                              ;   in Loop: Header=BB403_10 Depth=1
	v_bfe_u32 v1, v28, 16, 7
	v_cmp_ne_u32_e32 vcc, s37, v1
	v_mov_b32_e32 v0, 0x7f800001
	s_and_saveexec_b64 s[34:35], vcc
	s_cbranch_execz .LBB403_114
; %bb.113:                              ;   in Loop: Header=BB403_10 Depth=1
	v_and_b32_e32 v2, 7, v30
	v_ffbh_u32_e32 v0, v2
	v_min_u32_e32 v4, 32, v0
	v_subrev_u32_e32 v0, 28, v4
	v_lshrrev_b32_e32 v3, 3, v1
	v_cmp_gt_u32_e32 vcc, 8, v1
	v_lshlrev_b64 v[0:1], v0, v[30:31]
	v_sub_u32_e32 v1, 29, v4
	v_and_b32_e32 v0, 7, v0
	v_cndmask_b32_e32 v1, v3, v1, vcc
	v_cndmask_b32_e32 v0, v2, v0, vcc
	v_lshlrev_b32_e32 v2, 24, v30
	v_lshlrev_b32_e32 v0, 20, v0
	v_and_b32_e32 v2, 0x80000000, v2
	v_lshl_add_u32 v1, v1, 23, v50
	v_or3_b32 v0, v2, v1, v0
.LBB403_114:                            ;   in Loop: Header=BB403_10 Depth=1
	s_or_b64 exec, exec, s[34:35]
.LBB403_115:                            ;   in Loop: Header=BB403_10 Depth=1
	s_or_b64 exec, exec, s[30:31]
.LBB403_116:                            ;   in Loop: Header=BB403_10 Depth=1
	s_or_b64 exec, exec, s[28:29]
	v_mul_f32_e32 v0, v53, v0
	v_and_b32_e32 v1, 0x7f800000, v0
	v_cmp_ne_u32_e32 vcc, s38, v1
                                        ; implicit-def: $agpr1
	s_and_saveexec_b64 s[28:29], vcc
	s_xor_b64 s[28:29], exec, s[28:29]
; %bb.117:                              ;   in Loop: Header=BB403_10 Depth=1
	v_bfe_u32 v1, v0, 16, 1
	v_add3_u32 v0, v0, v1, s39
	v_accvgpr_write_b32 a1, v0
                                        ; implicit-def: $vgpr0
; %bb.118:                              ;   in Loop: Header=BB403_10 Depth=1
	s_andn2_saveexec_b64 s[28:29], s[28:29]
; %bb.119:                              ;   in Loop: Header=BB403_10 Depth=1
	v_or_b32_e32 v1, 0x10000, v0
	v_cmp_eq_u32_sdwa vcc, v0, v49 src0_sel:WORD_0 src1_sel:DWORD
	v_cndmask_b32_e32 v0, v1, v0, vcc
	v_accvgpr_write_b32 a1, v0
; %bb.120:                              ;   in Loop: Header=BB403_10 Depth=1
	s_or_b64 exec, exec, s[28:29]
	v_cmp_lt_u32_e32 vcc, s40, v28
	v_mov_b32_e32 v0, 0
	s_and_saveexec_b64 s[28:29], vcc
	s_cbranch_execz .LBB403_126
; %bb.121:                              ;   in Loop: Header=BB403_10 Depth=1
	v_lshrrev_b32_e32 v30, 24, v28
	v_cmp_ne_u32_e32 vcc, s21, v30
	v_bfrev_b32_e32 v0, 1
	s_and_saveexec_b64 s[30:31], vcc
	s_cbranch_execz .LBB403_125
; %bb.122:                              ;   in Loop: Header=BB403_10 Depth=1
	v_bfe_u32 v1, v28, 24, 7
	v_cmp_ne_u32_e32 vcc, s37, v1
	v_mov_b32_e32 v0, 0x7f800001
	s_and_saveexec_b64 s[34:35], vcc
	s_cbranch_execz .LBB403_124
; %bb.123:                              ;   in Loop: Header=BB403_10 Depth=1
	v_and_b32_e32 v2, 7, v30
	v_ffbh_u32_e32 v0, v2
	v_min_u32_e32 v4, 32, v0
	v_subrev_u32_e32 v0, 28, v4
	v_lshrrev_b32_e32 v3, 3, v1
	v_cmp_gt_u32_e32 vcc, 8, v1
	v_lshlrev_b64 v[0:1], v0, v[30:31]
	v_sub_u32_e32 v1, 29, v4
	v_and_b32_e32 v0, 7, v0
	v_cndmask_b32_e32 v1, v3, v1, vcc
	v_cndmask_b32_e32 v0, v2, v0, vcc
	v_lshlrev_b32_e32 v2, 24, v30
	v_lshlrev_b32_e32 v0, 20, v0
	v_and_b32_e32 v2, 0x80000000, v2
	v_lshl_add_u32 v1, v1, 23, v50
	v_or3_b32 v0, v2, v1, v0
.LBB403_124:                            ;   in Loop: Header=BB403_10 Depth=1
	s_or_b64 exec, exec, s[34:35]
.LBB403_125:                            ;   in Loop: Header=BB403_10 Depth=1
	s_or_b64 exec, exec, s[30:31]
.LBB403_126:                            ;   in Loop: Header=BB403_10 Depth=1
	s_or_b64 exec, exec, s[28:29]
	v_mul_f32_e32 v0, v53, v0
	v_and_b32_e32 v1, 0x7f800000, v0
	v_cmp_ne_u32_e32 vcc, s38, v1
                                        ; implicit-def: $agpr0
	s_and_saveexec_b64 s[28:29], vcc
	s_xor_b64 s[28:29], exec, s[28:29]
; %bb.127:                              ;   in Loop: Header=BB403_10 Depth=1
	v_bfe_u32 v1, v0, 16, 1
	v_add3_u32 v0, v0, v1, s39
	v_accvgpr_write_b32 a0, v0
                                        ; implicit-def: $vgpr0
; %bb.128:                              ;   in Loop: Header=BB403_10 Depth=1
	s_andn2_saveexec_b64 s[28:29], s[28:29]
; %bb.129:                              ;   in Loop: Header=BB403_10 Depth=1
	v_or_b32_e32 v1, 0x10000, v0
	v_cmp_eq_u32_sdwa vcc, v0, v49 src0_sel:WORD_0 src1_sel:DWORD
	v_cndmask_b32_e32 v0, v1, v0, vcc
	v_accvgpr_write_b32 a0, v0
; %bb.130:                              ;   in Loop: Header=BB403_10 Depth=1
	s_or_b64 exec, exec, s[28:29]
	flat_load_dword v28, v[20:21] offset:520
	v_mov_b32_e32 v0, 0
	s_waitcnt vmcnt(0) lgkmcnt(0)
	v_cmp_ne_u16_sdwa vcc, v28, v49 src0_sel:BYTE_0 src1_sel:DWORD
	s_and_saveexec_b64 s[28:29], vcc
	s_cbranch_execz .LBB403_136
; %bb.131:                              ;   in Loop: Header=BB403_10 Depth=1
	v_cmp_ne_u16_sdwa vcc, v28, s21 src0_sel:BYTE_0 src1_sel:DWORD
	v_bfrev_b32_e32 v0, 1
	s_and_saveexec_b64 s[30:31], vcc
	s_cbranch_execz .LBB403_135
; %bb.132:                              ;   in Loop: Header=BB403_10 Depth=1
	v_and_b32_e32 v1, 0x7f, v28
	v_cmp_ne_u32_e32 vcc, s37, v1
	v_mov_b32_e32 v0, 0x7f800001
	s_and_saveexec_b64 s[34:35], vcc
	s_cbranch_execz .LBB403_134
; %bb.133:                              ;   in Loop: Header=BB403_10 Depth=1
	v_and_b32_e32 v2, 7, v28
	v_ffbh_u32_e32 v0, v2
	v_min_u32_e32 v4, 32, v0
	v_subrev_u32_e32 v0, 28, v4
	v_lshrrev_b32_e32 v3, 3, v1
	v_cmp_gt_u32_e32 vcc, 8, v1
	v_lshlrev_b64 v[0:1], v0, v[28:29]
	v_sub_u32_e32 v1, 29, v4
	v_and_b32_e32 v0, 7, v0
	v_cndmask_b32_e32 v1, v3, v1, vcc
	v_cndmask_b32_e32 v0, v2, v0, vcc
	v_lshlrev_b32_e32 v2, 24, v28
	v_lshlrev_b32_e32 v0, 20, v0
	v_and_b32_e32 v2, 0x80000000, v2
	v_lshl_add_u32 v1, v1, 23, v50
	v_or3_b32 v0, v2, v1, v0
.LBB403_134:                            ;   in Loop: Header=BB403_10 Depth=1
	s_or_b64 exec, exec, s[34:35]
.LBB403_135:                            ;   in Loop: Header=BB403_10 Depth=1
	s_or_b64 exec, exec, s[30:31]
.LBB403_136:                            ;   in Loop: Header=BB403_10 Depth=1
	s_or_b64 exec, exec, s[28:29]
	v_mul_f32_e32 v0, v53, v0
	v_and_b32_e32 v1, 0x7f800000, v0
	v_cmp_ne_u32_e32 vcc, s38, v1
                                        ; implicit-def: $agpr8
	s_and_saveexec_b64 s[28:29], vcc
	s_xor_b64 s[28:29], exec, s[28:29]
; %bb.137:                              ;   in Loop: Header=BB403_10 Depth=1
	v_bfe_u32 v1, v0, 16, 1
	v_add3_u32 v0, v0, v1, s39
	v_accvgpr_write_b32 a8, v0
                                        ; implicit-def: $vgpr0
; %bb.138:                              ;   in Loop: Header=BB403_10 Depth=1
	s_andn2_saveexec_b64 s[28:29], s[28:29]
; %bb.139:                              ;   in Loop: Header=BB403_10 Depth=1
	v_or_b32_e32 v1, 0x10000, v0
	v_cmp_eq_u32_sdwa vcc, v0, v49 src0_sel:WORD_0 src1_sel:DWORD
	v_cndmask_b32_e32 v0, v1, v0, vcc
	v_accvgpr_write_b32 a8, v0
; %bb.140:                              ;   in Loop: Header=BB403_10 Depth=1
	s_or_b64 exec, exec, s[28:29]
	v_lshrrev_b16_e32 v30, 8, v28
	v_cmp_ne_u16_e32 vcc, 0, v30
	v_mov_b32_e32 v0, 0
	s_and_saveexec_b64 s[28:29], vcc
	s_cbranch_execz .LBB403_146
; %bb.141:                              ;   in Loop: Header=BB403_10 Depth=1
	v_cmp_ne_u16_e32 vcc, s21, v30
	v_bfrev_b32_e32 v0, 1
	s_and_saveexec_b64 s[30:31], vcc
	s_cbranch_execz .LBB403_145
; %bb.142:                              ;   in Loop: Header=BB403_10 Depth=1
	v_and_b32_e32 v1, 0x7f, v30
	v_cmp_ne_u32_e32 vcc, s37, v1
	v_mov_b32_e32 v0, 0x7f800001
	s_and_saveexec_b64 s[34:35], vcc
	s_cbranch_execz .LBB403_144
; %bb.143:                              ;   in Loop: Header=BB403_10 Depth=1
	v_and_b32_e32 v2, 7, v30
	v_ffbh_u32_e32 v0, v2
	v_min_u32_e32 v4, 32, v0
	v_subrev_u32_e32 v0, 28, v4
	v_lshrrev_b32_e32 v3, 3, v1
	v_cmp_gt_u32_e32 vcc, 8, v1
	v_lshlrev_b64 v[0:1], v0, v[30:31]
	v_sub_u32_e32 v1, 29, v4
	v_and_b32_e32 v0, 7, v0
	v_cndmask_b32_e32 v1, v3, v1, vcc
	v_cndmask_b32_e32 v0, v2, v0, vcc
	v_lshlrev_b32_e32 v2, 16, v28
	v_lshlrev_b32_e32 v0, 20, v0
	v_and_b32_e32 v2, 0x80000000, v2
	v_lshl_add_u32 v1, v1, 23, v50
	v_or3_b32 v0, v2, v1, v0
.LBB403_144:                            ;   in Loop: Header=BB403_10 Depth=1
	s_or_b64 exec, exec, s[34:35]
.LBB403_145:                            ;   in Loop: Header=BB403_10 Depth=1
	s_or_b64 exec, exec, s[30:31]
.LBB403_146:                            ;   in Loop: Header=BB403_10 Depth=1
	s_or_b64 exec, exec, s[28:29]
	v_mul_f32_e32 v0, v53, v0
	v_and_b32_e32 v1, 0x7f800000, v0
	v_cmp_ne_u32_e32 vcc, s38, v1
                                        ; implicit-def: $agpr5
	s_and_saveexec_b64 s[28:29], vcc
	s_xor_b64 s[28:29], exec, s[28:29]
; %bb.147:                              ;   in Loop: Header=BB403_10 Depth=1
	v_bfe_u32 v1, v0, 16, 1
	v_add3_u32 v0, v0, v1, s39
	v_accvgpr_write_b32 a5, v0
                                        ; implicit-def: $vgpr0
; %bb.148:                              ;   in Loop: Header=BB403_10 Depth=1
	s_andn2_saveexec_b64 s[28:29], s[28:29]
; %bb.149:                              ;   in Loop: Header=BB403_10 Depth=1
	v_or_b32_e32 v1, 0x10000, v0
	v_cmp_eq_u32_sdwa vcc, v0, v49 src0_sel:WORD_0 src1_sel:DWORD
	v_cndmask_b32_e32 v0, v1, v0, vcc
	v_accvgpr_write_b32 a5, v0
; %bb.150:                              ;   in Loop: Header=BB403_10 Depth=1
	s_or_b64 exec, exec, s[28:29]
	v_lshrrev_b32_e32 v30, 16, v28
	v_cmp_ne_u16_sdwa vcc, v30, v49 src0_sel:BYTE_0 src1_sel:DWORD
	v_mov_b32_e32 v0, 0
	s_and_saveexec_b64 s[28:29], vcc
	s_cbranch_execz .LBB403_156
; %bb.151:                              ;   in Loop: Header=BB403_10 Depth=1
	v_cmp_ne_u16_sdwa vcc, v30, s21 src0_sel:BYTE_0 src1_sel:DWORD
	v_bfrev_b32_e32 v0, 1
	s_and_saveexec_b64 s[30:31], vcc
	s_cbranch_execz .LBB403_155
; %bb.152:                              ;   in Loop: Header=BB403_10 Depth=1
	v_bfe_u32 v1, v28, 16, 7
	v_cmp_ne_u32_e32 vcc, s37, v1
	v_mov_b32_e32 v0, 0x7f800001
	s_and_saveexec_b64 s[34:35], vcc
	s_cbranch_execz .LBB403_154
; %bb.153:                              ;   in Loop: Header=BB403_10 Depth=1
	v_and_b32_e32 v2, 7, v30
	v_ffbh_u32_e32 v0, v2
	v_min_u32_e32 v4, 32, v0
	v_subrev_u32_e32 v0, 28, v4
	v_lshrrev_b32_e32 v3, 3, v1
	v_cmp_gt_u32_e32 vcc, 8, v1
	v_lshlrev_b64 v[0:1], v0, v[30:31]
	v_sub_u32_e32 v1, 29, v4
	v_and_b32_e32 v0, 7, v0
	v_cndmask_b32_e32 v1, v3, v1, vcc
	v_cndmask_b32_e32 v0, v2, v0, vcc
	v_lshlrev_b32_e32 v2, 24, v30
	v_lshlrev_b32_e32 v0, 20, v0
	v_and_b32_e32 v2, 0x80000000, v2
	v_lshl_add_u32 v1, v1, 23, v50
	v_or3_b32 v0, v2, v1, v0
.LBB403_154:                            ;   in Loop: Header=BB403_10 Depth=1
	s_or_b64 exec, exec, s[34:35]
.LBB403_155:                            ;   in Loop: Header=BB403_10 Depth=1
	s_or_b64 exec, exec, s[30:31]
.LBB403_156:                            ;   in Loop: Header=BB403_10 Depth=1
	s_or_b64 exec, exec, s[28:29]
	v_mul_f32_e32 v0, v53, v0
	v_and_b32_e32 v1, 0x7f800000, v0
	v_cmp_ne_u32_e32 vcc, s38, v1
                                        ; implicit-def: $agpr27
	s_and_saveexec_b64 s[28:29], vcc
	s_xor_b64 s[28:29], exec, s[28:29]
; %bb.157:                              ;   in Loop: Header=BB403_10 Depth=1
	v_bfe_u32 v1, v0, 16, 1
	v_add3_u32 v0, v0, v1, s39
	v_accvgpr_write_b32 a27, v0
                                        ; implicit-def: $vgpr0
; %bb.158:                              ;   in Loop: Header=BB403_10 Depth=1
	s_andn2_saveexec_b64 s[28:29], s[28:29]
; %bb.159:                              ;   in Loop: Header=BB403_10 Depth=1
	v_or_b32_e32 v1, 0x10000, v0
	v_cmp_eq_u32_sdwa vcc, v0, v49 src0_sel:WORD_0 src1_sel:DWORD
	v_cndmask_b32_e32 v0, v1, v0, vcc
	v_accvgpr_write_b32 a27, v0
; %bb.160:                              ;   in Loop: Header=BB403_10 Depth=1
	s_or_b64 exec, exec, s[28:29]
	v_cmp_lt_u32_e32 vcc, s40, v28
	v_mov_b32_e32 v0, 0
	s_and_saveexec_b64 s[28:29], vcc
	s_cbranch_execz .LBB403_166
; %bb.161:                              ;   in Loop: Header=BB403_10 Depth=1
	v_lshrrev_b32_e32 v30, 24, v28
	v_cmp_ne_u32_e32 vcc, s21, v30
	v_bfrev_b32_e32 v0, 1
	s_and_saveexec_b64 s[30:31], vcc
	s_cbranch_execz .LBB403_165
; %bb.162:                              ;   in Loop: Header=BB403_10 Depth=1
	v_bfe_u32 v1, v28, 24, 7
	v_cmp_ne_u32_e32 vcc, s37, v1
	v_mov_b32_e32 v0, 0x7f800001
	s_and_saveexec_b64 s[34:35], vcc
	s_cbranch_execz .LBB403_164
; %bb.163:                              ;   in Loop: Header=BB403_10 Depth=1
	v_and_b32_e32 v2, 7, v30
	v_ffbh_u32_e32 v0, v2
	v_min_u32_e32 v4, 32, v0
	v_subrev_u32_e32 v0, 28, v4
	v_lshrrev_b32_e32 v3, 3, v1
	v_cmp_gt_u32_e32 vcc, 8, v1
	v_lshlrev_b64 v[0:1], v0, v[30:31]
	v_sub_u32_e32 v1, 29, v4
	v_and_b32_e32 v0, 7, v0
	v_cndmask_b32_e32 v1, v3, v1, vcc
	v_cndmask_b32_e32 v0, v2, v0, vcc
	v_lshlrev_b32_e32 v2, 24, v30
	v_lshlrev_b32_e32 v0, 20, v0
	v_and_b32_e32 v2, 0x80000000, v2
	v_lshl_add_u32 v1, v1, 23, v50
	v_or3_b32 v0, v2, v1, v0
.LBB403_164:                            ;   in Loop: Header=BB403_10 Depth=1
	s_or_b64 exec, exec, s[34:35]
.LBB403_165:                            ;   in Loop: Header=BB403_10 Depth=1
	s_or_b64 exec, exec, s[30:31]
.LBB403_166:                            ;   in Loop: Header=BB403_10 Depth=1
	s_or_b64 exec, exec, s[28:29]
	v_mul_f32_e32 v0, v53, v0
	v_and_b32_e32 v1, 0x7f800000, v0
	v_cmp_ne_u32_e32 vcc, s38, v1
                                        ; implicit-def: $agpr3
	s_and_saveexec_b64 s[28:29], vcc
	s_xor_b64 s[28:29], exec, s[28:29]
; %bb.167:                              ;   in Loop: Header=BB403_10 Depth=1
	v_bfe_u32 v1, v0, 16, 1
	v_add3_u32 v0, v0, v1, s39
	v_accvgpr_write_b32 a3, v0
                                        ; implicit-def: $vgpr0
; %bb.168:                              ;   in Loop: Header=BB403_10 Depth=1
	s_andn2_saveexec_b64 s[28:29], s[28:29]
; %bb.169:                              ;   in Loop: Header=BB403_10 Depth=1
	v_or_b32_e32 v1, 0x10000, v0
	v_cmp_eq_u32_sdwa vcc, v0, v49 src0_sel:WORD_0 src1_sel:DWORD
	v_cndmask_b32_e32 v0, v1, v0, vcc
	v_accvgpr_write_b32 a3, v0
; %bb.170:                              ;   in Loop: Header=BB403_10 Depth=1
	s_or_b64 exec, exec, s[28:29]
	flat_load_dword v28, v[20:21] offset:1024
	v_mov_b32_e32 v0, 0
	s_waitcnt vmcnt(0) lgkmcnt(0)
	v_cmp_ne_u16_sdwa vcc, v28, v49 src0_sel:BYTE_0 src1_sel:DWORD
	s_and_saveexec_b64 s[28:29], vcc
	s_cbranch_execz .LBB403_176
; %bb.171:                              ;   in Loop: Header=BB403_10 Depth=1
	v_cmp_ne_u16_sdwa vcc, v28, s21 src0_sel:BYTE_0 src1_sel:DWORD
	v_bfrev_b32_e32 v0, 1
	s_and_saveexec_b64 s[30:31], vcc
	s_cbranch_execz .LBB403_175
; %bb.172:                              ;   in Loop: Header=BB403_10 Depth=1
	v_and_b32_e32 v1, 0x7f, v28
	v_cmp_ne_u32_e32 vcc, s37, v1
	v_mov_b32_e32 v0, 0x7f800001
	s_and_saveexec_b64 s[34:35], vcc
	s_cbranch_execz .LBB403_174
; %bb.173:                              ;   in Loop: Header=BB403_10 Depth=1
	v_and_b32_e32 v2, 7, v28
	v_ffbh_u32_e32 v0, v2
	v_min_u32_e32 v4, 32, v0
	v_subrev_u32_e32 v0, 28, v4
	v_lshrrev_b32_e32 v3, 3, v1
	v_cmp_gt_u32_e32 vcc, 8, v1
	v_lshlrev_b64 v[0:1], v0, v[28:29]
	v_sub_u32_e32 v1, 29, v4
	v_and_b32_e32 v0, 7, v0
	v_cndmask_b32_e32 v1, v3, v1, vcc
	v_cndmask_b32_e32 v0, v2, v0, vcc
	v_lshlrev_b32_e32 v2, 24, v28
	v_lshlrev_b32_e32 v0, 20, v0
	v_and_b32_e32 v2, 0x80000000, v2
	v_lshl_add_u32 v1, v1, 23, v50
	v_or3_b32 v0, v2, v1, v0
.LBB403_174:                            ;   in Loop: Header=BB403_10 Depth=1
	s_or_b64 exec, exec, s[34:35]
.LBB403_175:                            ;   in Loop: Header=BB403_10 Depth=1
	s_or_b64 exec, exec, s[30:31]
.LBB403_176:                            ;   in Loop: Header=BB403_10 Depth=1
	s_or_b64 exec, exec, s[28:29]
	v_mul_f32_e32 v0, v53, v0
	v_and_b32_e32 v1, 0x7f800000, v0
	v_cmp_ne_u32_e32 vcc, s38, v1
                                        ; implicit-def: $agpr28
	s_and_saveexec_b64 s[28:29], vcc
	s_xor_b64 s[28:29], exec, s[28:29]
; %bb.177:                              ;   in Loop: Header=BB403_10 Depth=1
	v_bfe_u32 v1, v0, 16, 1
	v_add3_u32 v0, v0, v1, s39
	v_accvgpr_write_b32 a28, v0
                                        ; implicit-def: $vgpr0
; %bb.178:                              ;   in Loop: Header=BB403_10 Depth=1
	s_andn2_saveexec_b64 s[28:29], s[28:29]
; %bb.179:                              ;   in Loop: Header=BB403_10 Depth=1
	v_or_b32_e32 v1, 0x10000, v0
	v_cmp_eq_u32_sdwa vcc, v0, v49 src0_sel:WORD_0 src1_sel:DWORD
	v_cndmask_b32_e32 v0, v1, v0, vcc
	v_accvgpr_write_b32 a28, v0
; %bb.180:                              ;   in Loop: Header=BB403_10 Depth=1
	s_or_b64 exec, exec, s[28:29]
	v_lshrrev_b16_e32 v30, 8, v28
	v_cmp_ne_u16_e32 vcc, 0, v30
	v_mov_b32_e32 v0, 0
	s_and_saveexec_b64 s[28:29], vcc
	s_cbranch_execz .LBB403_186
; %bb.181:                              ;   in Loop: Header=BB403_10 Depth=1
	v_cmp_ne_u16_e32 vcc, s21, v30
	v_bfrev_b32_e32 v0, 1
	s_and_saveexec_b64 s[30:31], vcc
	s_cbranch_execz .LBB403_185
; %bb.182:                              ;   in Loop: Header=BB403_10 Depth=1
	v_and_b32_e32 v1, 0x7f, v30
	v_cmp_ne_u32_e32 vcc, s37, v1
	v_mov_b32_e32 v0, 0x7f800001
	s_and_saveexec_b64 s[34:35], vcc
	s_cbranch_execz .LBB403_184
; %bb.183:                              ;   in Loop: Header=BB403_10 Depth=1
	v_and_b32_e32 v2, 7, v30
	v_ffbh_u32_e32 v0, v2
	v_min_u32_e32 v4, 32, v0
	v_subrev_u32_e32 v0, 28, v4
	v_lshrrev_b32_e32 v3, 3, v1
	v_cmp_gt_u32_e32 vcc, 8, v1
	v_lshlrev_b64 v[0:1], v0, v[30:31]
	v_sub_u32_e32 v1, 29, v4
	v_and_b32_e32 v0, 7, v0
	v_cndmask_b32_e32 v1, v3, v1, vcc
	v_cndmask_b32_e32 v0, v2, v0, vcc
	v_lshlrev_b32_e32 v2, 16, v28
	v_lshlrev_b32_e32 v0, 20, v0
	v_and_b32_e32 v2, 0x80000000, v2
	v_lshl_add_u32 v1, v1, 23, v50
	v_or3_b32 v0, v2, v1, v0
.LBB403_184:                            ;   in Loop: Header=BB403_10 Depth=1
	s_or_b64 exec, exec, s[34:35]
.LBB403_185:                            ;   in Loop: Header=BB403_10 Depth=1
	s_or_b64 exec, exec, s[30:31]
.LBB403_186:                            ;   in Loop: Header=BB403_10 Depth=1
	s_or_b64 exec, exec, s[28:29]
	v_mul_f32_e32 v0, v53, v0
	v_and_b32_e32 v1, 0x7f800000, v0
	v_cmp_ne_u32_e32 vcc, s38, v1
                                        ; implicit-def: $agpr29
	s_and_saveexec_b64 s[28:29], vcc
	s_xor_b64 s[28:29], exec, s[28:29]
; %bb.187:                              ;   in Loop: Header=BB403_10 Depth=1
	v_bfe_u32 v1, v0, 16, 1
	v_add3_u32 v0, v0, v1, s39
	v_accvgpr_write_b32 a29, v0
                                        ; implicit-def: $vgpr0
; %bb.188:                              ;   in Loop: Header=BB403_10 Depth=1
	s_andn2_saveexec_b64 s[28:29], s[28:29]
; %bb.189:                              ;   in Loop: Header=BB403_10 Depth=1
	v_or_b32_e32 v1, 0x10000, v0
	v_cmp_eq_u32_sdwa vcc, v0, v49 src0_sel:WORD_0 src1_sel:DWORD
	v_cndmask_b32_e32 v0, v1, v0, vcc
	v_accvgpr_write_b32 a29, v0
; %bb.190:                              ;   in Loop: Header=BB403_10 Depth=1
	s_or_b64 exec, exec, s[28:29]
	v_lshrrev_b32_e32 v30, 16, v28
	v_cmp_ne_u16_sdwa vcc, v30, v49 src0_sel:BYTE_0 src1_sel:DWORD
	v_mov_b32_e32 v0, 0
	s_and_saveexec_b64 s[28:29], vcc
	s_cbranch_execz .LBB403_196
; %bb.191:                              ;   in Loop: Header=BB403_10 Depth=1
	v_cmp_ne_u16_sdwa vcc, v30, s21 src0_sel:BYTE_0 src1_sel:DWORD
	v_bfrev_b32_e32 v0, 1
	s_and_saveexec_b64 s[30:31], vcc
	s_cbranch_execz .LBB403_195
; %bb.192:                              ;   in Loop: Header=BB403_10 Depth=1
	v_bfe_u32 v1, v28, 16, 7
	v_cmp_ne_u32_e32 vcc, s37, v1
	v_mov_b32_e32 v0, 0x7f800001
	s_and_saveexec_b64 s[34:35], vcc
	s_cbranch_execz .LBB403_194
; %bb.193:                              ;   in Loop: Header=BB403_10 Depth=1
	v_and_b32_e32 v2, 7, v30
	v_ffbh_u32_e32 v0, v2
	v_min_u32_e32 v4, 32, v0
	v_subrev_u32_e32 v0, 28, v4
	v_lshrrev_b32_e32 v3, 3, v1
	v_cmp_gt_u32_e32 vcc, 8, v1
	v_lshlrev_b64 v[0:1], v0, v[30:31]
	v_sub_u32_e32 v1, 29, v4
	v_and_b32_e32 v0, 7, v0
	v_cndmask_b32_e32 v1, v3, v1, vcc
	v_cndmask_b32_e32 v0, v2, v0, vcc
	v_lshlrev_b32_e32 v2, 24, v30
	v_lshlrev_b32_e32 v0, 20, v0
	v_and_b32_e32 v2, 0x80000000, v2
	v_lshl_add_u32 v1, v1, 23, v50
	v_or3_b32 v0, v2, v1, v0
.LBB403_194:                            ;   in Loop: Header=BB403_10 Depth=1
	s_or_b64 exec, exec, s[34:35]
.LBB403_195:                            ;   in Loop: Header=BB403_10 Depth=1
	s_or_b64 exec, exec, s[30:31]
.LBB403_196:                            ;   in Loop: Header=BB403_10 Depth=1
	s_or_b64 exec, exec, s[28:29]
	v_mul_f32_e32 v0, v53, v0
	v_and_b32_e32 v1, 0x7f800000, v0
	v_cmp_ne_u32_e32 vcc, s38, v1
                                        ; implicit-def: $agpr30
	s_and_saveexec_b64 s[28:29], vcc
	s_xor_b64 s[28:29], exec, s[28:29]
; %bb.197:                              ;   in Loop: Header=BB403_10 Depth=1
	v_bfe_u32 v1, v0, 16, 1
	v_add3_u32 v0, v0, v1, s39
	v_accvgpr_write_b32 a30, v0
                                        ; implicit-def: $vgpr0
; %bb.198:                              ;   in Loop: Header=BB403_10 Depth=1
	s_andn2_saveexec_b64 s[28:29], s[28:29]
; %bb.199:                              ;   in Loop: Header=BB403_10 Depth=1
	v_or_b32_e32 v1, 0x10000, v0
	v_cmp_eq_u32_sdwa vcc, v0, v49 src0_sel:WORD_0 src1_sel:DWORD
	v_cndmask_b32_e32 v0, v1, v0, vcc
	v_accvgpr_write_b32 a30, v0
; %bb.200:                              ;   in Loop: Header=BB403_10 Depth=1
	s_or_b64 exec, exec, s[28:29]
	v_cmp_lt_u32_e32 vcc, s40, v28
	v_mov_b32_e32 v0, 0
	s_and_saveexec_b64 s[28:29], vcc
	s_cbranch_execz .LBB403_206
; %bb.201:                              ;   in Loop: Header=BB403_10 Depth=1
	v_lshrrev_b32_e32 v30, 24, v28
	v_cmp_ne_u32_e32 vcc, s21, v30
	v_bfrev_b32_e32 v0, 1
	s_and_saveexec_b64 s[30:31], vcc
	s_cbranch_execz .LBB403_205
; %bb.202:                              ;   in Loop: Header=BB403_10 Depth=1
	v_bfe_u32 v1, v28, 24, 7
	v_cmp_ne_u32_e32 vcc, s37, v1
	v_mov_b32_e32 v0, 0x7f800001
	s_and_saveexec_b64 s[34:35], vcc
	s_cbranch_execz .LBB403_204
; %bb.203:                              ;   in Loop: Header=BB403_10 Depth=1
	v_and_b32_e32 v2, 7, v30
	v_ffbh_u32_e32 v0, v2
	v_min_u32_e32 v4, 32, v0
	v_subrev_u32_e32 v0, 28, v4
	v_lshrrev_b32_e32 v3, 3, v1
	v_cmp_gt_u32_e32 vcc, 8, v1
	v_lshlrev_b64 v[0:1], v0, v[30:31]
	v_sub_u32_e32 v1, 29, v4
	v_and_b32_e32 v0, 7, v0
	v_cndmask_b32_e32 v1, v3, v1, vcc
	v_cndmask_b32_e32 v0, v2, v0, vcc
	v_lshlrev_b32_e32 v2, 24, v30
	v_lshlrev_b32_e32 v0, 20, v0
	v_and_b32_e32 v2, 0x80000000, v2
	v_lshl_add_u32 v1, v1, 23, v50
	v_or3_b32 v0, v2, v1, v0
.LBB403_204:                            ;   in Loop: Header=BB403_10 Depth=1
	s_or_b64 exec, exec, s[34:35]
.LBB403_205:                            ;   in Loop: Header=BB403_10 Depth=1
	s_or_b64 exec, exec, s[30:31]
.LBB403_206:                            ;   in Loop: Header=BB403_10 Depth=1
	s_or_b64 exec, exec, s[28:29]
	v_mul_f32_e32 v0, v53, v0
	v_and_b32_e32 v1, 0x7f800000, v0
	v_cmp_ne_u32_e32 vcc, s38, v1
                                        ; implicit-def: $agpr32
	s_and_saveexec_b64 s[28:29], vcc
	s_xor_b64 s[28:29], exec, s[28:29]
; %bb.207:                              ;   in Loop: Header=BB403_10 Depth=1
	v_bfe_u32 v1, v0, 16, 1
	v_add3_u32 v0, v0, v1, s39
	v_accvgpr_write_b32 a32, v0
                                        ; implicit-def: $vgpr0
; %bb.208:                              ;   in Loop: Header=BB403_10 Depth=1
	s_andn2_saveexec_b64 s[28:29], s[28:29]
; %bb.209:                              ;   in Loop: Header=BB403_10 Depth=1
	v_or_b32_e32 v1, 0x10000, v0
	v_cmp_eq_u32_sdwa vcc, v0, v49 src0_sel:WORD_0 src1_sel:DWORD
	v_cndmask_b32_e32 v0, v1, v0, vcc
	v_accvgpr_write_b32 a32, v0
; %bb.210:                              ;   in Loop: Header=BB403_10 Depth=1
	s_or_b64 exec, exec, s[28:29]
	flat_load_dword v28, v[20:21] offset:1032
	v_mov_b32_e32 v0, 0
	s_waitcnt vmcnt(0) lgkmcnt(0)
	v_cmp_ne_u16_sdwa vcc, v28, v49 src0_sel:BYTE_0 src1_sel:DWORD
	s_and_saveexec_b64 s[28:29], vcc
	s_cbranch_execz .LBB403_216
; %bb.211:                              ;   in Loop: Header=BB403_10 Depth=1
	v_cmp_ne_u16_sdwa vcc, v28, s21 src0_sel:BYTE_0 src1_sel:DWORD
	v_bfrev_b32_e32 v0, 1
	s_and_saveexec_b64 s[30:31], vcc
	s_cbranch_execz .LBB403_215
; %bb.212:                              ;   in Loop: Header=BB403_10 Depth=1
	v_and_b32_e32 v1, 0x7f, v28
	v_cmp_ne_u32_e32 vcc, s37, v1
	v_mov_b32_e32 v0, 0x7f800001
	s_and_saveexec_b64 s[34:35], vcc
	s_cbranch_execz .LBB403_214
; %bb.213:                              ;   in Loop: Header=BB403_10 Depth=1
	v_and_b32_e32 v2, 7, v28
	v_ffbh_u32_e32 v0, v2
	v_min_u32_e32 v4, 32, v0
	v_subrev_u32_e32 v0, 28, v4
	v_lshrrev_b32_e32 v3, 3, v1
	v_cmp_gt_u32_e32 vcc, 8, v1
	v_lshlrev_b64 v[0:1], v0, v[28:29]
	v_sub_u32_e32 v1, 29, v4
	v_and_b32_e32 v0, 7, v0
	v_cndmask_b32_e32 v1, v3, v1, vcc
	v_cndmask_b32_e32 v0, v2, v0, vcc
	v_lshlrev_b32_e32 v2, 24, v28
	v_lshlrev_b32_e32 v0, 20, v0
	v_and_b32_e32 v2, 0x80000000, v2
	v_lshl_add_u32 v1, v1, 23, v50
	v_or3_b32 v0, v2, v1, v0
.LBB403_214:                            ;   in Loop: Header=BB403_10 Depth=1
	s_or_b64 exec, exec, s[34:35]
.LBB403_215:                            ;   in Loop: Header=BB403_10 Depth=1
	s_or_b64 exec, exec, s[30:31]
.LBB403_216:                            ;   in Loop: Header=BB403_10 Depth=1
	s_or_b64 exec, exec, s[28:29]
	v_mul_f32_e32 v0, v53, v0
	v_and_b32_e32 v1, 0x7f800000, v0
	v_cmp_ne_u32_e32 vcc, s38, v1
                                        ; implicit-def: $agpr33
	s_and_saveexec_b64 s[28:29], vcc
	s_xor_b64 s[28:29], exec, s[28:29]
; %bb.217:                              ;   in Loop: Header=BB403_10 Depth=1
	v_bfe_u32 v1, v0, 16, 1
	v_add3_u32 v0, v0, v1, s39
	v_accvgpr_write_b32 a33, v0
                                        ; implicit-def: $vgpr0
; %bb.218:                              ;   in Loop: Header=BB403_10 Depth=1
	s_andn2_saveexec_b64 s[28:29], s[28:29]
; %bb.219:                              ;   in Loop: Header=BB403_10 Depth=1
	v_or_b32_e32 v1, 0x10000, v0
	v_cmp_eq_u32_sdwa vcc, v0, v49 src0_sel:WORD_0 src1_sel:DWORD
	v_cndmask_b32_e32 v0, v1, v0, vcc
	v_accvgpr_write_b32 a33, v0
; %bb.220:                              ;   in Loop: Header=BB403_10 Depth=1
	s_or_b64 exec, exec, s[28:29]
	v_lshrrev_b16_e32 v30, 8, v28
	v_cmp_ne_u16_e32 vcc, 0, v30
	v_mov_b32_e32 v0, 0
	s_and_saveexec_b64 s[28:29], vcc
	s_cbranch_execz .LBB403_226
; %bb.221:                              ;   in Loop: Header=BB403_10 Depth=1
	v_cmp_ne_u16_e32 vcc, s21, v30
	v_bfrev_b32_e32 v0, 1
	s_and_saveexec_b64 s[30:31], vcc
	s_cbranch_execz .LBB403_225
; %bb.222:                              ;   in Loop: Header=BB403_10 Depth=1
	v_and_b32_e32 v1, 0x7f, v30
	v_cmp_ne_u32_e32 vcc, s37, v1
	v_mov_b32_e32 v0, 0x7f800001
	s_and_saveexec_b64 s[34:35], vcc
	s_cbranch_execz .LBB403_224
; %bb.223:                              ;   in Loop: Header=BB403_10 Depth=1
	v_and_b32_e32 v2, 7, v30
	v_ffbh_u32_e32 v0, v2
	v_min_u32_e32 v4, 32, v0
	v_subrev_u32_e32 v0, 28, v4
	v_lshrrev_b32_e32 v3, 3, v1
	v_cmp_gt_u32_e32 vcc, 8, v1
	v_lshlrev_b64 v[0:1], v0, v[30:31]
	v_sub_u32_e32 v1, 29, v4
	v_and_b32_e32 v0, 7, v0
	v_cndmask_b32_e32 v1, v3, v1, vcc
	v_cndmask_b32_e32 v0, v2, v0, vcc
	v_lshlrev_b32_e32 v2, 16, v28
	v_lshlrev_b32_e32 v0, 20, v0
	v_and_b32_e32 v2, 0x80000000, v2
	v_lshl_add_u32 v1, v1, 23, v50
	v_or3_b32 v0, v2, v1, v0
.LBB403_224:                            ;   in Loop: Header=BB403_10 Depth=1
	s_or_b64 exec, exec, s[34:35]
.LBB403_225:                            ;   in Loop: Header=BB403_10 Depth=1
	s_or_b64 exec, exec, s[30:31]
.LBB403_226:                            ;   in Loop: Header=BB403_10 Depth=1
	s_or_b64 exec, exec, s[28:29]
	v_mul_f32_e32 v0, v53, v0
	v_and_b32_e32 v1, 0x7f800000, v0
	v_cmp_ne_u32_e32 vcc, s38, v1
                                        ; implicit-def: $agpr34
	s_and_saveexec_b64 s[28:29], vcc
	s_xor_b64 s[28:29], exec, s[28:29]
; %bb.227:                              ;   in Loop: Header=BB403_10 Depth=1
	v_bfe_u32 v1, v0, 16, 1
	v_add3_u32 v0, v0, v1, s39
	v_accvgpr_write_b32 a34, v0
                                        ; implicit-def: $vgpr0
; %bb.228:                              ;   in Loop: Header=BB403_10 Depth=1
	s_andn2_saveexec_b64 s[28:29], s[28:29]
; %bb.229:                              ;   in Loop: Header=BB403_10 Depth=1
	v_or_b32_e32 v1, 0x10000, v0
	v_cmp_eq_u32_sdwa vcc, v0, v49 src0_sel:WORD_0 src1_sel:DWORD
	v_cndmask_b32_e32 v0, v1, v0, vcc
	v_accvgpr_write_b32 a34, v0
; %bb.230:                              ;   in Loop: Header=BB403_10 Depth=1
	s_or_b64 exec, exec, s[28:29]
	v_lshrrev_b32_e32 v30, 16, v28
	v_cmp_ne_u16_sdwa vcc, v30, v49 src0_sel:BYTE_0 src1_sel:DWORD
	v_mov_b32_e32 v0, 0
	s_and_saveexec_b64 s[28:29], vcc
	s_cbranch_execz .LBB403_236
; %bb.231:                              ;   in Loop: Header=BB403_10 Depth=1
	v_cmp_ne_u16_sdwa vcc, v30, s21 src0_sel:BYTE_0 src1_sel:DWORD
	v_bfrev_b32_e32 v0, 1
	s_and_saveexec_b64 s[30:31], vcc
	s_cbranch_execz .LBB403_235
; %bb.232:                              ;   in Loop: Header=BB403_10 Depth=1
	v_bfe_u32 v1, v28, 16, 7
	v_cmp_ne_u32_e32 vcc, s37, v1
	v_mov_b32_e32 v0, 0x7f800001
	s_and_saveexec_b64 s[34:35], vcc
	s_cbranch_execz .LBB403_234
; %bb.233:                              ;   in Loop: Header=BB403_10 Depth=1
	v_and_b32_e32 v2, 7, v30
	v_ffbh_u32_e32 v0, v2
	v_min_u32_e32 v4, 32, v0
	v_subrev_u32_e32 v0, 28, v4
	v_lshrrev_b32_e32 v3, 3, v1
	v_cmp_gt_u32_e32 vcc, 8, v1
	v_lshlrev_b64 v[0:1], v0, v[30:31]
	v_sub_u32_e32 v1, 29, v4
	v_and_b32_e32 v0, 7, v0
	v_cndmask_b32_e32 v1, v3, v1, vcc
	v_cndmask_b32_e32 v0, v2, v0, vcc
	v_lshlrev_b32_e32 v2, 24, v30
	v_lshlrev_b32_e32 v0, 20, v0
	v_and_b32_e32 v2, 0x80000000, v2
	v_lshl_add_u32 v1, v1, 23, v50
	v_or3_b32 v0, v2, v1, v0
.LBB403_234:                            ;   in Loop: Header=BB403_10 Depth=1
	s_or_b64 exec, exec, s[34:35]
.LBB403_235:                            ;   in Loop: Header=BB403_10 Depth=1
	s_or_b64 exec, exec, s[30:31]
.LBB403_236:                            ;   in Loop: Header=BB403_10 Depth=1
	s_or_b64 exec, exec, s[28:29]
	v_mul_f32_e32 v0, v53, v0
	v_and_b32_e32 v1, 0x7f800000, v0
	v_cmp_ne_u32_e32 vcc, s38, v1
                                        ; implicit-def: $agpr35
	s_and_saveexec_b64 s[28:29], vcc
	s_xor_b64 s[28:29], exec, s[28:29]
; %bb.237:                              ;   in Loop: Header=BB403_10 Depth=1
	v_bfe_u32 v1, v0, 16, 1
	v_add3_u32 v0, v0, v1, s39
	v_accvgpr_write_b32 a35, v0
                                        ; implicit-def: $vgpr0
; %bb.238:                              ;   in Loop: Header=BB403_10 Depth=1
	s_andn2_saveexec_b64 s[28:29], s[28:29]
; %bb.239:                              ;   in Loop: Header=BB403_10 Depth=1
	v_or_b32_e32 v1, 0x10000, v0
	v_cmp_eq_u32_sdwa vcc, v0, v49 src0_sel:WORD_0 src1_sel:DWORD
	v_cndmask_b32_e32 v0, v1, v0, vcc
	v_accvgpr_write_b32 a35, v0
; %bb.240:                              ;   in Loop: Header=BB403_10 Depth=1
	s_or_b64 exec, exec, s[28:29]
	v_cmp_lt_u32_e32 vcc, s40, v28
	v_mov_b32_e32 v0, 0
	s_and_saveexec_b64 s[28:29], vcc
	s_cbranch_execz .LBB403_246
; %bb.241:                              ;   in Loop: Header=BB403_10 Depth=1
	v_lshrrev_b32_e32 v30, 24, v28
	v_cmp_ne_u32_e32 vcc, s21, v30
	v_bfrev_b32_e32 v0, 1
	s_and_saveexec_b64 s[30:31], vcc
	s_cbranch_execz .LBB403_245
; %bb.242:                              ;   in Loop: Header=BB403_10 Depth=1
	v_bfe_u32 v1, v28, 24, 7
	v_cmp_ne_u32_e32 vcc, s37, v1
	v_mov_b32_e32 v0, 0x7f800001
	s_and_saveexec_b64 s[34:35], vcc
	s_cbranch_execz .LBB403_244
; %bb.243:                              ;   in Loop: Header=BB403_10 Depth=1
	v_and_b32_e32 v2, 7, v30
	v_ffbh_u32_e32 v0, v2
	v_min_u32_e32 v4, 32, v0
	v_subrev_u32_e32 v0, 28, v4
	v_lshrrev_b32_e32 v3, 3, v1
	v_cmp_gt_u32_e32 vcc, 8, v1
	v_lshlrev_b64 v[0:1], v0, v[30:31]
	v_sub_u32_e32 v1, 29, v4
	v_and_b32_e32 v0, 7, v0
	v_cndmask_b32_e32 v1, v3, v1, vcc
	v_cndmask_b32_e32 v0, v2, v0, vcc
	v_lshlrev_b32_e32 v2, 24, v30
	v_lshlrev_b32_e32 v0, 20, v0
	v_and_b32_e32 v2, 0x80000000, v2
	v_lshl_add_u32 v1, v1, 23, v50
	v_or3_b32 v0, v2, v1, v0
.LBB403_244:                            ;   in Loop: Header=BB403_10 Depth=1
	s_or_b64 exec, exec, s[34:35]
.LBB403_245:                            ;   in Loop: Header=BB403_10 Depth=1
	s_or_b64 exec, exec, s[30:31]
.LBB403_246:                            ;   in Loop: Header=BB403_10 Depth=1
	s_or_b64 exec, exec, s[28:29]
	v_mul_f32_e32 v0, v53, v0
	v_and_b32_e32 v1, 0x7f800000, v0
	v_cmp_ne_u32_e32 vcc, s38, v1
                                        ; implicit-def: $agpr36
	s_and_saveexec_b64 s[28:29], vcc
	s_xor_b64 s[28:29], exec, s[28:29]
; %bb.247:                              ;   in Loop: Header=BB403_10 Depth=1
	v_bfe_u32 v1, v0, 16, 1
	v_add3_u32 v0, v0, v1, s39
	v_accvgpr_write_b32 a36, v0
                                        ; implicit-def: $vgpr0
; %bb.248:                              ;   in Loop: Header=BB403_10 Depth=1
	s_andn2_saveexec_b64 s[28:29], s[28:29]
; %bb.249:                              ;   in Loop: Header=BB403_10 Depth=1
	v_or_b32_e32 v1, 0x10000, v0
	v_cmp_eq_u32_sdwa vcc, v0, v49 src0_sel:WORD_0 src1_sel:DWORD
	v_cndmask_b32_e32 v0, v1, v0, vcc
	v_accvgpr_write_b32 a36, v0
; %bb.250:                              ;   in Loop: Header=BB403_10 Depth=1
	s_or_b64 exec, exec, s[28:29]
	flat_load_dword v28, v[20:21] offset:1536
	v_mov_b32_e32 v0, 0
	s_waitcnt vmcnt(0) lgkmcnt(0)
	v_cmp_ne_u16_sdwa vcc, v28, v49 src0_sel:BYTE_0 src1_sel:DWORD
	s_and_saveexec_b64 s[28:29], vcc
	s_cbranch_execz .LBB403_256
; %bb.251:                              ;   in Loop: Header=BB403_10 Depth=1
	v_cmp_ne_u16_sdwa vcc, v28, s21 src0_sel:BYTE_0 src1_sel:DWORD
	v_bfrev_b32_e32 v0, 1
	s_and_saveexec_b64 s[30:31], vcc
	s_cbranch_execz .LBB403_255
; %bb.252:                              ;   in Loop: Header=BB403_10 Depth=1
	v_and_b32_e32 v1, 0x7f, v28
	v_cmp_ne_u32_e32 vcc, s37, v1
	v_mov_b32_e32 v0, 0x7f800001
	s_and_saveexec_b64 s[34:35], vcc
	s_cbranch_execz .LBB403_254
; %bb.253:                              ;   in Loop: Header=BB403_10 Depth=1
	v_and_b32_e32 v2, 7, v28
	v_ffbh_u32_e32 v0, v2
	v_min_u32_e32 v4, 32, v0
	v_subrev_u32_e32 v0, 28, v4
	v_lshrrev_b32_e32 v3, 3, v1
	v_cmp_gt_u32_e32 vcc, 8, v1
	v_lshlrev_b64 v[0:1], v0, v[28:29]
	v_sub_u32_e32 v1, 29, v4
	v_and_b32_e32 v0, 7, v0
	v_cndmask_b32_e32 v1, v3, v1, vcc
	v_cndmask_b32_e32 v0, v2, v0, vcc
	v_lshlrev_b32_e32 v2, 24, v28
	v_lshlrev_b32_e32 v0, 20, v0
	v_and_b32_e32 v2, 0x80000000, v2
	v_lshl_add_u32 v1, v1, 23, v50
	v_or3_b32 v0, v2, v1, v0
.LBB403_254:                            ;   in Loop: Header=BB403_10 Depth=1
	s_or_b64 exec, exec, s[34:35]
.LBB403_255:                            ;   in Loop: Header=BB403_10 Depth=1
	s_or_b64 exec, exec, s[30:31]
.LBB403_256:                            ;   in Loop: Header=BB403_10 Depth=1
	s_or_b64 exec, exec, s[28:29]
	v_mul_f32_e32 v0, v53, v0
	v_and_b32_e32 v1, 0x7f800000, v0
	v_cmp_ne_u32_e32 vcc, s38, v1
                                        ; implicit-def: $agpr37
	s_and_saveexec_b64 s[28:29], vcc
	s_xor_b64 s[28:29], exec, s[28:29]
; %bb.257:                              ;   in Loop: Header=BB403_10 Depth=1
	v_bfe_u32 v1, v0, 16, 1
	v_add3_u32 v0, v0, v1, s39
	v_accvgpr_write_b32 a37, v0
                                        ; implicit-def: $vgpr0
; %bb.258:                              ;   in Loop: Header=BB403_10 Depth=1
	s_andn2_saveexec_b64 s[28:29], s[28:29]
; %bb.259:                              ;   in Loop: Header=BB403_10 Depth=1
	v_or_b32_e32 v1, 0x10000, v0
	v_cmp_eq_u32_sdwa vcc, v0, v49 src0_sel:WORD_0 src1_sel:DWORD
	v_cndmask_b32_e32 v0, v1, v0, vcc
	v_accvgpr_write_b32 a37, v0
; %bb.260:                              ;   in Loop: Header=BB403_10 Depth=1
	s_or_b64 exec, exec, s[28:29]
	v_lshrrev_b16_e32 v30, 8, v28
	v_cmp_ne_u16_e32 vcc, 0, v30
	v_mov_b32_e32 v0, 0
	s_and_saveexec_b64 s[28:29], vcc
	s_cbranch_execz .LBB403_266
; %bb.261:                              ;   in Loop: Header=BB403_10 Depth=1
	v_cmp_ne_u16_e32 vcc, s21, v30
	v_bfrev_b32_e32 v0, 1
	s_and_saveexec_b64 s[30:31], vcc
	s_cbranch_execz .LBB403_265
; %bb.262:                              ;   in Loop: Header=BB403_10 Depth=1
	v_and_b32_e32 v1, 0x7f, v30
	v_cmp_ne_u32_e32 vcc, s37, v1
	v_mov_b32_e32 v0, 0x7f800001
	s_and_saveexec_b64 s[34:35], vcc
	s_cbranch_execz .LBB403_264
; %bb.263:                              ;   in Loop: Header=BB403_10 Depth=1
	v_and_b32_e32 v2, 7, v30
	v_ffbh_u32_e32 v0, v2
	v_min_u32_e32 v4, 32, v0
	v_subrev_u32_e32 v0, 28, v4
	v_lshrrev_b32_e32 v3, 3, v1
	v_cmp_gt_u32_e32 vcc, 8, v1
	v_lshlrev_b64 v[0:1], v0, v[30:31]
	v_sub_u32_e32 v1, 29, v4
	v_and_b32_e32 v0, 7, v0
	v_cndmask_b32_e32 v1, v3, v1, vcc
	v_cndmask_b32_e32 v0, v2, v0, vcc
	v_lshlrev_b32_e32 v2, 16, v28
	v_lshlrev_b32_e32 v0, 20, v0
	v_and_b32_e32 v2, 0x80000000, v2
	v_lshl_add_u32 v1, v1, 23, v50
	v_or3_b32 v0, v2, v1, v0
.LBB403_264:                            ;   in Loop: Header=BB403_10 Depth=1
	s_or_b64 exec, exec, s[34:35]
.LBB403_265:                            ;   in Loop: Header=BB403_10 Depth=1
	s_or_b64 exec, exec, s[30:31]
.LBB403_266:                            ;   in Loop: Header=BB403_10 Depth=1
	s_or_b64 exec, exec, s[28:29]
	v_mul_f32_e32 v0, v53, v0
	v_and_b32_e32 v1, 0x7f800000, v0
	v_cmp_ne_u32_e32 vcc, s38, v1
                                        ; implicit-def: $agpr38
	s_and_saveexec_b64 s[28:29], vcc
	s_xor_b64 s[28:29], exec, s[28:29]
; %bb.267:                              ;   in Loop: Header=BB403_10 Depth=1
	v_bfe_u32 v1, v0, 16, 1
	v_add3_u32 v0, v0, v1, s39
	v_accvgpr_write_b32 a38, v0
                                        ; implicit-def: $vgpr0
; %bb.268:                              ;   in Loop: Header=BB403_10 Depth=1
	s_andn2_saveexec_b64 s[28:29], s[28:29]
; %bb.269:                              ;   in Loop: Header=BB403_10 Depth=1
	v_or_b32_e32 v1, 0x10000, v0
	v_cmp_eq_u32_sdwa vcc, v0, v49 src0_sel:WORD_0 src1_sel:DWORD
	v_cndmask_b32_e32 v0, v1, v0, vcc
	v_accvgpr_write_b32 a38, v0
; %bb.270:                              ;   in Loop: Header=BB403_10 Depth=1
	s_or_b64 exec, exec, s[28:29]
	v_lshrrev_b32_e32 v30, 16, v28
	v_cmp_ne_u16_sdwa vcc, v30, v49 src0_sel:BYTE_0 src1_sel:DWORD
	v_mov_b32_e32 v0, 0
	s_and_saveexec_b64 s[28:29], vcc
	s_cbranch_execz .LBB403_276
; %bb.271:                              ;   in Loop: Header=BB403_10 Depth=1
	v_cmp_ne_u16_sdwa vcc, v30, s21 src0_sel:BYTE_0 src1_sel:DWORD
	v_bfrev_b32_e32 v0, 1
	s_and_saveexec_b64 s[30:31], vcc
	s_cbranch_execz .LBB403_275
; %bb.272:                              ;   in Loop: Header=BB403_10 Depth=1
	v_bfe_u32 v1, v28, 16, 7
	v_cmp_ne_u32_e32 vcc, s37, v1
	v_mov_b32_e32 v0, 0x7f800001
	s_and_saveexec_b64 s[34:35], vcc
	s_cbranch_execz .LBB403_274
; %bb.273:                              ;   in Loop: Header=BB403_10 Depth=1
	v_and_b32_e32 v2, 7, v30
	v_ffbh_u32_e32 v0, v2
	v_min_u32_e32 v4, 32, v0
	v_subrev_u32_e32 v0, 28, v4
	v_lshrrev_b32_e32 v3, 3, v1
	v_cmp_gt_u32_e32 vcc, 8, v1
	v_lshlrev_b64 v[0:1], v0, v[30:31]
	v_sub_u32_e32 v1, 29, v4
	v_and_b32_e32 v0, 7, v0
	v_cndmask_b32_e32 v1, v3, v1, vcc
	v_cndmask_b32_e32 v0, v2, v0, vcc
	v_lshlrev_b32_e32 v2, 24, v30
	v_lshlrev_b32_e32 v0, 20, v0
	v_and_b32_e32 v2, 0x80000000, v2
	v_lshl_add_u32 v1, v1, 23, v50
	v_or3_b32 v0, v2, v1, v0
.LBB403_274:                            ;   in Loop: Header=BB403_10 Depth=1
	s_or_b64 exec, exec, s[34:35]
.LBB403_275:                            ;   in Loop: Header=BB403_10 Depth=1
	s_or_b64 exec, exec, s[30:31]
.LBB403_276:                            ;   in Loop: Header=BB403_10 Depth=1
	s_or_b64 exec, exec, s[28:29]
	v_mul_f32_e32 v0, v53, v0
	v_and_b32_e32 v1, 0x7f800000, v0
	v_cmp_ne_u32_e32 vcc, s38, v1
                                        ; implicit-def: $agpr39
	s_and_saveexec_b64 s[28:29], vcc
	s_xor_b64 s[28:29], exec, s[28:29]
; %bb.277:                              ;   in Loop: Header=BB403_10 Depth=1
	v_bfe_u32 v1, v0, 16, 1
	v_add3_u32 v0, v0, v1, s39
	v_accvgpr_write_b32 a39, v0
                                        ; implicit-def: $vgpr0
; %bb.278:                              ;   in Loop: Header=BB403_10 Depth=1
	s_andn2_saveexec_b64 s[28:29], s[28:29]
; %bb.279:                              ;   in Loop: Header=BB403_10 Depth=1
	v_or_b32_e32 v1, 0x10000, v0
	v_cmp_eq_u32_sdwa vcc, v0, v49 src0_sel:WORD_0 src1_sel:DWORD
	v_cndmask_b32_e32 v0, v1, v0, vcc
	v_accvgpr_write_b32 a39, v0
; %bb.280:                              ;   in Loop: Header=BB403_10 Depth=1
	s_or_b64 exec, exec, s[28:29]
	v_cmp_lt_u32_e32 vcc, s40, v28
	v_mov_b32_e32 v0, 0
	s_and_saveexec_b64 s[28:29], vcc
	s_cbranch_execz .LBB403_286
; %bb.281:                              ;   in Loop: Header=BB403_10 Depth=1
	v_lshrrev_b32_e32 v30, 24, v28
	v_cmp_ne_u32_e32 vcc, s21, v30
	v_bfrev_b32_e32 v0, 1
	s_and_saveexec_b64 s[30:31], vcc
	s_cbranch_execz .LBB403_285
; %bb.282:                              ;   in Loop: Header=BB403_10 Depth=1
	v_bfe_u32 v1, v28, 24, 7
	v_cmp_ne_u32_e32 vcc, s37, v1
	v_mov_b32_e32 v0, 0x7f800001
	s_and_saveexec_b64 s[34:35], vcc
	s_cbranch_execz .LBB403_284
; %bb.283:                              ;   in Loop: Header=BB403_10 Depth=1
	v_and_b32_e32 v2, 7, v30
	v_ffbh_u32_e32 v0, v2
	v_min_u32_e32 v4, 32, v0
	v_subrev_u32_e32 v0, 28, v4
	v_lshrrev_b32_e32 v3, 3, v1
	v_cmp_gt_u32_e32 vcc, 8, v1
	v_lshlrev_b64 v[0:1], v0, v[30:31]
	v_sub_u32_e32 v1, 29, v4
	v_and_b32_e32 v0, 7, v0
	v_cndmask_b32_e32 v1, v3, v1, vcc
	v_cndmask_b32_e32 v0, v2, v0, vcc
	v_lshlrev_b32_e32 v2, 24, v30
	v_lshlrev_b32_e32 v0, 20, v0
	v_and_b32_e32 v2, 0x80000000, v2
	v_lshl_add_u32 v1, v1, 23, v50
	v_or3_b32 v0, v2, v1, v0
.LBB403_284:                            ;   in Loop: Header=BB403_10 Depth=1
	s_or_b64 exec, exec, s[34:35]
.LBB403_285:                            ;   in Loop: Header=BB403_10 Depth=1
	s_or_b64 exec, exec, s[30:31]
.LBB403_286:                            ;   in Loop: Header=BB403_10 Depth=1
	s_or_b64 exec, exec, s[28:29]
	v_mul_f32_e32 v0, v53, v0
	v_and_b32_e32 v1, 0x7f800000, v0
	v_cmp_ne_u32_e32 vcc, s38, v1
                                        ; implicit-def: $agpr40
	s_and_saveexec_b64 s[28:29], vcc
	s_xor_b64 s[28:29], exec, s[28:29]
; %bb.287:                              ;   in Loop: Header=BB403_10 Depth=1
	v_bfe_u32 v1, v0, 16, 1
	v_add3_u32 v0, v0, v1, s39
	v_accvgpr_write_b32 a40, v0
                                        ; implicit-def: $vgpr0
; %bb.288:                              ;   in Loop: Header=BB403_10 Depth=1
	s_andn2_saveexec_b64 s[28:29], s[28:29]
; %bb.289:                              ;   in Loop: Header=BB403_10 Depth=1
	v_or_b32_e32 v1, 0x10000, v0
	v_cmp_eq_u32_sdwa vcc, v0, v49 src0_sel:WORD_0 src1_sel:DWORD
	v_cndmask_b32_e32 v0, v1, v0, vcc
	v_accvgpr_write_b32 a40, v0
; %bb.290:                              ;   in Loop: Header=BB403_10 Depth=1
	s_or_b64 exec, exec, s[28:29]
	flat_load_dword v28, v[20:21] offset:1544
	v_mov_b32_e32 v0, 0
	s_waitcnt vmcnt(0) lgkmcnt(0)
	v_cmp_ne_u16_sdwa vcc, v28, v49 src0_sel:BYTE_0 src1_sel:DWORD
	s_and_saveexec_b64 s[28:29], vcc
	s_cbranch_execz .LBB403_296
; %bb.291:                              ;   in Loop: Header=BB403_10 Depth=1
	v_cmp_ne_u16_sdwa vcc, v28, s21 src0_sel:BYTE_0 src1_sel:DWORD
	v_bfrev_b32_e32 v0, 1
	s_and_saveexec_b64 s[30:31], vcc
	s_cbranch_execz .LBB403_295
; %bb.292:                              ;   in Loop: Header=BB403_10 Depth=1
	v_and_b32_e32 v1, 0x7f, v28
	v_cmp_ne_u32_e32 vcc, s37, v1
	v_mov_b32_e32 v0, 0x7f800001
	s_and_saveexec_b64 s[34:35], vcc
	s_cbranch_execz .LBB403_294
; %bb.293:                              ;   in Loop: Header=BB403_10 Depth=1
	v_and_b32_e32 v2, 7, v28
	v_ffbh_u32_e32 v0, v2
	v_min_u32_e32 v4, 32, v0
	v_subrev_u32_e32 v0, 28, v4
	v_lshrrev_b32_e32 v3, 3, v1
	v_cmp_gt_u32_e32 vcc, 8, v1
	v_lshlrev_b64 v[0:1], v0, v[28:29]
	v_sub_u32_e32 v1, 29, v4
	v_and_b32_e32 v0, 7, v0
	v_cndmask_b32_e32 v1, v3, v1, vcc
	v_cndmask_b32_e32 v0, v2, v0, vcc
	v_lshlrev_b32_e32 v2, 24, v28
	v_lshlrev_b32_e32 v0, 20, v0
	v_and_b32_e32 v2, 0x80000000, v2
	v_lshl_add_u32 v1, v1, 23, v50
	v_or3_b32 v0, v2, v1, v0
.LBB403_294:                            ;   in Loop: Header=BB403_10 Depth=1
	s_or_b64 exec, exec, s[34:35]
.LBB403_295:                            ;   in Loop: Header=BB403_10 Depth=1
	s_or_b64 exec, exec, s[30:31]
.LBB403_296:                            ;   in Loop: Header=BB403_10 Depth=1
	s_or_b64 exec, exec, s[28:29]
	v_mul_f32_e32 v0, v53, v0
	v_and_b32_e32 v1, 0x7f800000, v0
	v_cmp_ne_u32_e32 vcc, s38, v1
                                        ; implicit-def: $agpr42
	s_and_saveexec_b64 s[28:29], vcc
	s_xor_b64 s[28:29], exec, s[28:29]
; %bb.297:                              ;   in Loop: Header=BB403_10 Depth=1
	v_bfe_u32 v1, v0, 16, 1
	v_add3_u32 v0, v0, v1, s39
	v_accvgpr_write_b32 a42, v0
                                        ; implicit-def: $vgpr0
; %bb.298:                              ;   in Loop: Header=BB403_10 Depth=1
	s_andn2_saveexec_b64 s[28:29], s[28:29]
; %bb.299:                              ;   in Loop: Header=BB403_10 Depth=1
	v_or_b32_e32 v1, 0x10000, v0
	v_cmp_eq_u32_sdwa vcc, v0, v49 src0_sel:WORD_0 src1_sel:DWORD
	v_cndmask_b32_e32 v0, v1, v0, vcc
	v_accvgpr_write_b32 a42, v0
; %bb.300:                              ;   in Loop: Header=BB403_10 Depth=1
	s_or_b64 exec, exec, s[28:29]
	v_lshrrev_b16_e32 v30, 8, v28
	v_cmp_ne_u16_e32 vcc, 0, v30
	v_mov_b32_e32 v0, 0
	s_and_saveexec_b64 s[28:29], vcc
	s_cbranch_execz .LBB403_306
; %bb.301:                              ;   in Loop: Header=BB403_10 Depth=1
	v_cmp_ne_u16_e32 vcc, s21, v30
	v_bfrev_b32_e32 v0, 1
	s_and_saveexec_b64 s[30:31], vcc
	s_cbranch_execz .LBB403_305
; %bb.302:                              ;   in Loop: Header=BB403_10 Depth=1
	v_and_b32_e32 v1, 0x7f, v30
	v_cmp_ne_u32_e32 vcc, s37, v1
	v_mov_b32_e32 v0, 0x7f800001
	s_and_saveexec_b64 s[34:35], vcc
	s_cbranch_execz .LBB403_304
; %bb.303:                              ;   in Loop: Header=BB403_10 Depth=1
	v_and_b32_e32 v2, 7, v30
	v_ffbh_u32_e32 v0, v2
	v_min_u32_e32 v4, 32, v0
	v_subrev_u32_e32 v0, 28, v4
	v_lshrrev_b32_e32 v3, 3, v1
	v_cmp_gt_u32_e32 vcc, 8, v1
	v_lshlrev_b64 v[0:1], v0, v[30:31]
	v_sub_u32_e32 v1, 29, v4
	v_and_b32_e32 v0, 7, v0
	v_cndmask_b32_e32 v1, v3, v1, vcc
	v_cndmask_b32_e32 v0, v2, v0, vcc
	v_lshlrev_b32_e32 v2, 16, v28
	v_lshlrev_b32_e32 v0, 20, v0
	v_and_b32_e32 v2, 0x80000000, v2
	v_lshl_add_u32 v1, v1, 23, v50
	v_or3_b32 v0, v2, v1, v0
.LBB403_304:                            ;   in Loop: Header=BB403_10 Depth=1
	s_or_b64 exec, exec, s[34:35]
.LBB403_305:                            ;   in Loop: Header=BB403_10 Depth=1
	s_or_b64 exec, exec, s[30:31]
.LBB403_306:                            ;   in Loop: Header=BB403_10 Depth=1
	s_or_b64 exec, exec, s[28:29]
	v_mul_f32_e32 v0, v53, v0
	v_and_b32_e32 v1, 0x7f800000, v0
	v_cmp_ne_u32_e32 vcc, s38, v1
                                        ; implicit-def: $agpr43
	s_and_saveexec_b64 s[28:29], vcc
	s_xor_b64 s[28:29], exec, s[28:29]
; %bb.307:                              ;   in Loop: Header=BB403_10 Depth=1
	v_bfe_u32 v1, v0, 16, 1
	v_add3_u32 v0, v0, v1, s39
	v_accvgpr_write_b32 a43, v0
                                        ; implicit-def: $vgpr0
; %bb.308:                              ;   in Loop: Header=BB403_10 Depth=1
	s_andn2_saveexec_b64 s[28:29], s[28:29]
; %bb.309:                              ;   in Loop: Header=BB403_10 Depth=1
	v_or_b32_e32 v1, 0x10000, v0
	v_cmp_eq_u32_sdwa vcc, v0, v49 src0_sel:WORD_0 src1_sel:DWORD
	v_cndmask_b32_e32 v0, v1, v0, vcc
	v_accvgpr_write_b32 a43, v0
; %bb.310:                              ;   in Loop: Header=BB403_10 Depth=1
	s_or_b64 exec, exec, s[28:29]
	v_lshrrev_b32_e32 v30, 16, v28
	v_cmp_ne_u16_sdwa vcc, v30, v49 src0_sel:BYTE_0 src1_sel:DWORD
	v_mov_b32_e32 v0, 0
	s_and_saveexec_b64 s[28:29], vcc
	s_cbranch_execz .LBB403_316
; %bb.311:                              ;   in Loop: Header=BB403_10 Depth=1
	v_cmp_ne_u16_sdwa vcc, v30, s21 src0_sel:BYTE_0 src1_sel:DWORD
	v_bfrev_b32_e32 v0, 1
	s_and_saveexec_b64 s[30:31], vcc
	s_cbranch_execz .LBB403_315
; %bb.312:                              ;   in Loop: Header=BB403_10 Depth=1
	v_bfe_u32 v1, v28, 16, 7
	v_cmp_ne_u32_e32 vcc, s37, v1
	v_mov_b32_e32 v0, 0x7f800001
	s_and_saveexec_b64 s[34:35], vcc
	s_cbranch_execz .LBB403_314
; %bb.313:                              ;   in Loop: Header=BB403_10 Depth=1
	v_and_b32_e32 v2, 7, v30
	v_ffbh_u32_e32 v0, v2
	v_min_u32_e32 v4, 32, v0
	v_subrev_u32_e32 v0, 28, v4
	v_lshrrev_b32_e32 v3, 3, v1
	v_cmp_gt_u32_e32 vcc, 8, v1
	v_lshlrev_b64 v[0:1], v0, v[30:31]
	v_sub_u32_e32 v1, 29, v4
	v_and_b32_e32 v0, 7, v0
	v_cndmask_b32_e32 v1, v3, v1, vcc
	v_cndmask_b32_e32 v0, v2, v0, vcc
	v_lshlrev_b32_e32 v2, 24, v30
	v_lshlrev_b32_e32 v0, 20, v0
	v_and_b32_e32 v2, 0x80000000, v2
	v_lshl_add_u32 v1, v1, 23, v50
	v_or3_b32 v0, v2, v1, v0
.LBB403_314:                            ;   in Loop: Header=BB403_10 Depth=1
	s_or_b64 exec, exec, s[34:35]
.LBB403_315:                            ;   in Loop: Header=BB403_10 Depth=1
	s_or_b64 exec, exec, s[30:31]
.LBB403_316:                            ;   in Loop: Header=BB403_10 Depth=1
	s_or_b64 exec, exec, s[28:29]
	v_mul_f32_e32 v0, v53, v0
	v_and_b32_e32 v1, 0x7f800000, v0
	v_cmp_ne_u32_e32 vcc, s38, v1
                                        ; implicit-def: $agpr44
	s_and_saveexec_b64 s[28:29], vcc
	s_xor_b64 s[28:29], exec, s[28:29]
; %bb.317:                              ;   in Loop: Header=BB403_10 Depth=1
	v_bfe_u32 v1, v0, 16, 1
	v_add3_u32 v0, v0, v1, s39
	v_accvgpr_write_b32 a44, v0
                                        ; implicit-def: $vgpr0
; %bb.318:                              ;   in Loop: Header=BB403_10 Depth=1
	s_andn2_saveexec_b64 s[28:29], s[28:29]
; %bb.319:                              ;   in Loop: Header=BB403_10 Depth=1
	v_or_b32_e32 v1, 0x10000, v0
	v_cmp_eq_u32_sdwa vcc, v0, v49 src0_sel:WORD_0 src1_sel:DWORD
	v_cndmask_b32_e32 v0, v1, v0, vcc
	v_accvgpr_write_b32 a44, v0
; %bb.320:                              ;   in Loop: Header=BB403_10 Depth=1
	s_or_b64 exec, exec, s[28:29]
	v_cmp_lt_u32_e32 vcc, s40, v28
	v_mov_b32_e32 v0, 0
	s_and_saveexec_b64 s[28:29], vcc
	s_cbranch_execz .LBB403_326
; %bb.321:                              ;   in Loop: Header=BB403_10 Depth=1
	v_lshrrev_b32_e32 v30, 24, v28
	v_cmp_ne_u32_e32 vcc, s21, v30
	v_bfrev_b32_e32 v0, 1
	s_and_saveexec_b64 s[30:31], vcc
	s_cbranch_execz .LBB403_325
; %bb.322:                              ;   in Loop: Header=BB403_10 Depth=1
	v_bfe_u32 v1, v28, 24, 7
	v_cmp_ne_u32_e32 vcc, s37, v1
	v_mov_b32_e32 v0, 0x7f800001
	s_and_saveexec_b64 s[34:35], vcc
	s_cbranch_execz .LBB403_324
; %bb.323:                              ;   in Loop: Header=BB403_10 Depth=1
	v_and_b32_e32 v2, 7, v30
	v_ffbh_u32_e32 v0, v2
	v_min_u32_e32 v4, 32, v0
	v_subrev_u32_e32 v0, 28, v4
	v_lshrrev_b32_e32 v3, 3, v1
	v_cmp_gt_u32_e32 vcc, 8, v1
	v_lshlrev_b64 v[0:1], v0, v[30:31]
	v_sub_u32_e32 v1, 29, v4
	v_and_b32_e32 v0, 7, v0
	v_cndmask_b32_e32 v1, v3, v1, vcc
	v_cndmask_b32_e32 v0, v2, v0, vcc
	v_lshlrev_b32_e32 v2, 24, v30
	v_lshlrev_b32_e32 v0, 20, v0
	v_and_b32_e32 v2, 0x80000000, v2
	v_lshl_add_u32 v1, v1, 23, v50
	v_or3_b32 v0, v2, v1, v0
.LBB403_324:                            ;   in Loop: Header=BB403_10 Depth=1
	s_or_b64 exec, exec, s[34:35]
.LBB403_325:                            ;   in Loop: Header=BB403_10 Depth=1
	s_or_b64 exec, exec, s[30:31]
.LBB403_326:                            ;   in Loop: Header=BB403_10 Depth=1
	s_or_b64 exec, exec, s[28:29]
	v_mul_f32_e32 v0, v53, v0
	v_and_b32_e32 v1, 0x7f800000, v0
	v_cmp_ne_u32_e32 vcc, s38, v1
                                        ; implicit-def: $agpr45
	s_and_saveexec_b64 s[28:29], vcc
	s_xor_b64 s[28:29], exec, s[28:29]
; %bb.327:                              ;   in Loop: Header=BB403_10 Depth=1
	v_bfe_u32 v1, v0, 16, 1
	v_add3_u32 v0, v0, v1, s39
	v_accvgpr_write_b32 a45, v0
                                        ; implicit-def: $vgpr0
; %bb.328:                              ;   in Loop: Header=BB403_10 Depth=1
	s_andn2_saveexec_b64 s[28:29], s[28:29]
; %bb.329:                              ;   in Loop: Header=BB403_10 Depth=1
	v_or_b32_e32 v1, 0x10000, v0
	v_cmp_eq_u32_sdwa vcc, v0, v49 src0_sel:WORD_0 src1_sel:DWORD
	v_cndmask_b32_e32 v0, v1, v0, vcc
	v_accvgpr_write_b32 a45, v0
; %bb.330:                              ;   in Loop: Header=BB403_10 Depth=1
	s_or_b64 exec, exec, s[28:29]
	flat_load_dword v28, v[20:21] offset:2048
	v_mov_b32_e32 v0, 0
	s_waitcnt vmcnt(0) lgkmcnt(0)
	v_cmp_ne_u16_sdwa vcc, v28, v49 src0_sel:BYTE_0 src1_sel:DWORD
	s_and_saveexec_b64 s[28:29], vcc
	s_cbranch_execz .LBB403_336
; %bb.331:                              ;   in Loop: Header=BB403_10 Depth=1
	v_cmp_ne_u16_sdwa vcc, v28, s21 src0_sel:BYTE_0 src1_sel:DWORD
	v_bfrev_b32_e32 v0, 1
	s_and_saveexec_b64 s[30:31], vcc
	s_cbranch_execz .LBB403_335
; %bb.332:                              ;   in Loop: Header=BB403_10 Depth=1
	v_and_b32_e32 v1, 0x7f, v28
	v_cmp_ne_u32_e32 vcc, s37, v1
	v_mov_b32_e32 v0, 0x7f800001
	s_and_saveexec_b64 s[34:35], vcc
	s_cbranch_execz .LBB403_334
; %bb.333:                              ;   in Loop: Header=BB403_10 Depth=1
	v_and_b32_e32 v2, 7, v28
	v_ffbh_u32_e32 v0, v2
	v_min_u32_e32 v4, 32, v0
	v_subrev_u32_e32 v0, 28, v4
	v_lshrrev_b32_e32 v3, 3, v1
	v_cmp_gt_u32_e32 vcc, 8, v1
	v_lshlrev_b64 v[0:1], v0, v[28:29]
	v_sub_u32_e32 v1, 29, v4
	v_and_b32_e32 v0, 7, v0
	v_cndmask_b32_e32 v1, v3, v1, vcc
	v_cndmask_b32_e32 v0, v2, v0, vcc
	v_lshlrev_b32_e32 v2, 24, v28
	v_lshlrev_b32_e32 v0, 20, v0
	v_and_b32_e32 v2, 0x80000000, v2
	v_lshl_add_u32 v1, v1, 23, v50
	v_or3_b32 v0, v2, v1, v0
.LBB403_334:                            ;   in Loop: Header=BB403_10 Depth=1
	s_or_b64 exec, exec, s[34:35]
.LBB403_335:                            ;   in Loop: Header=BB403_10 Depth=1
	s_or_b64 exec, exec, s[30:31]
.LBB403_336:                            ;   in Loop: Header=BB403_10 Depth=1
	s_or_b64 exec, exec, s[28:29]
	v_mul_f32_e32 v0, v53, v0
	v_and_b32_e32 v1, 0x7f800000, v0
	v_cmp_ne_u32_e32 vcc, s38, v1
                                        ; implicit-def: $agpr46
	s_and_saveexec_b64 s[28:29], vcc
	s_xor_b64 s[28:29], exec, s[28:29]
; %bb.337:                              ;   in Loop: Header=BB403_10 Depth=1
	v_bfe_u32 v1, v0, 16, 1
	v_add3_u32 v0, v0, v1, s39
	v_accvgpr_write_b32 a46, v0
                                        ; implicit-def: $vgpr0
; %bb.338:                              ;   in Loop: Header=BB403_10 Depth=1
	s_andn2_saveexec_b64 s[28:29], s[28:29]
; %bb.339:                              ;   in Loop: Header=BB403_10 Depth=1
	v_or_b32_e32 v1, 0x10000, v0
	v_cmp_eq_u32_sdwa vcc, v0, v49 src0_sel:WORD_0 src1_sel:DWORD
	v_cndmask_b32_e32 v0, v1, v0, vcc
	v_accvgpr_write_b32 a46, v0
; %bb.340:                              ;   in Loop: Header=BB403_10 Depth=1
	s_or_b64 exec, exec, s[28:29]
	v_lshrrev_b16_e32 v30, 8, v28
	v_cmp_ne_u16_e32 vcc, 0, v30
	v_mov_b32_e32 v0, 0
	s_and_saveexec_b64 s[28:29], vcc
	s_cbranch_execz .LBB403_346
; %bb.341:                              ;   in Loop: Header=BB403_10 Depth=1
	v_cmp_ne_u16_e32 vcc, s21, v30
	v_bfrev_b32_e32 v0, 1
	s_and_saveexec_b64 s[30:31], vcc
	s_cbranch_execz .LBB403_345
; %bb.342:                              ;   in Loop: Header=BB403_10 Depth=1
	v_and_b32_e32 v1, 0x7f, v30
	v_cmp_ne_u32_e32 vcc, s37, v1
	v_mov_b32_e32 v0, 0x7f800001
	s_and_saveexec_b64 s[34:35], vcc
	s_cbranch_execz .LBB403_344
; %bb.343:                              ;   in Loop: Header=BB403_10 Depth=1
	v_and_b32_e32 v2, 7, v30
	v_ffbh_u32_e32 v0, v2
	v_min_u32_e32 v4, 32, v0
	v_subrev_u32_e32 v0, 28, v4
	v_lshrrev_b32_e32 v3, 3, v1
	v_cmp_gt_u32_e32 vcc, 8, v1
	v_lshlrev_b64 v[0:1], v0, v[30:31]
	v_sub_u32_e32 v1, 29, v4
	v_and_b32_e32 v0, 7, v0
	v_cndmask_b32_e32 v1, v3, v1, vcc
	v_cndmask_b32_e32 v0, v2, v0, vcc
	v_lshlrev_b32_e32 v2, 16, v28
	v_lshlrev_b32_e32 v0, 20, v0
	v_and_b32_e32 v2, 0x80000000, v2
	v_lshl_add_u32 v1, v1, 23, v50
	v_or3_b32 v0, v2, v1, v0
.LBB403_344:                            ;   in Loop: Header=BB403_10 Depth=1
	s_or_b64 exec, exec, s[34:35]
.LBB403_345:                            ;   in Loop: Header=BB403_10 Depth=1
	s_or_b64 exec, exec, s[30:31]
.LBB403_346:                            ;   in Loop: Header=BB403_10 Depth=1
	s_or_b64 exec, exec, s[28:29]
	v_mul_f32_e32 v0, v53, v0
	v_and_b32_e32 v1, 0x7f800000, v0
	v_cmp_ne_u32_e32 vcc, s38, v1
                                        ; implicit-def: $agpr47
	s_and_saveexec_b64 s[28:29], vcc
	s_xor_b64 s[28:29], exec, s[28:29]
; %bb.347:                              ;   in Loop: Header=BB403_10 Depth=1
	v_bfe_u32 v1, v0, 16, 1
	v_add3_u32 v0, v0, v1, s39
	v_accvgpr_write_b32 a47, v0
                                        ; implicit-def: $vgpr0
; %bb.348:                              ;   in Loop: Header=BB403_10 Depth=1
	s_andn2_saveexec_b64 s[28:29], s[28:29]
; %bb.349:                              ;   in Loop: Header=BB403_10 Depth=1
	v_or_b32_e32 v1, 0x10000, v0
	v_cmp_eq_u32_sdwa vcc, v0, v49 src0_sel:WORD_0 src1_sel:DWORD
	v_cndmask_b32_e32 v0, v1, v0, vcc
	v_accvgpr_write_b32 a47, v0
; %bb.350:                              ;   in Loop: Header=BB403_10 Depth=1
	s_or_b64 exec, exec, s[28:29]
	v_lshrrev_b32_e32 v30, 16, v28
	v_cmp_ne_u16_sdwa vcc, v30, v49 src0_sel:BYTE_0 src1_sel:DWORD
	v_mov_b32_e32 v0, 0
	s_and_saveexec_b64 s[28:29], vcc
	s_cbranch_execz .LBB403_356
; %bb.351:                              ;   in Loop: Header=BB403_10 Depth=1
	v_cmp_ne_u16_sdwa vcc, v30, s21 src0_sel:BYTE_0 src1_sel:DWORD
	v_bfrev_b32_e32 v0, 1
	s_and_saveexec_b64 s[30:31], vcc
	s_cbranch_execz .LBB403_355
; %bb.352:                              ;   in Loop: Header=BB403_10 Depth=1
	v_bfe_u32 v1, v28, 16, 7
	v_cmp_ne_u32_e32 vcc, s37, v1
	v_mov_b32_e32 v0, 0x7f800001
	s_and_saveexec_b64 s[34:35], vcc
	s_cbranch_execz .LBB403_354
; %bb.353:                              ;   in Loop: Header=BB403_10 Depth=1
	v_and_b32_e32 v2, 7, v30
	v_ffbh_u32_e32 v0, v2
	v_min_u32_e32 v4, 32, v0
	v_subrev_u32_e32 v0, 28, v4
	v_lshrrev_b32_e32 v3, 3, v1
	v_cmp_gt_u32_e32 vcc, 8, v1
	v_lshlrev_b64 v[0:1], v0, v[30:31]
	v_sub_u32_e32 v1, 29, v4
	v_and_b32_e32 v0, 7, v0
	v_cndmask_b32_e32 v1, v3, v1, vcc
	v_cndmask_b32_e32 v0, v2, v0, vcc
	v_lshlrev_b32_e32 v2, 24, v30
	v_lshlrev_b32_e32 v0, 20, v0
	v_and_b32_e32 v2, 0x80000000, v2
	v_lshl_add_u32 v1, v1, 23, v50
	v_or3_b32 v0, v2, v1, v0
.LBB403_354:                            ;   in Loop: Header=BB403_10 Depth=1
	s_or_b64 exec, exec, s[34:35]
.LBB403_355:                            ;   in Loop: Header=BB403_10 Depth=1
	s_or_b64 exec, exec, s[30:31]
.LBB403_356:                            ;   in Loop: Header=BB403_10 Depth=1
	s_or_b64 exec, exec, s[28:29]
	v_mul_f32_e32 v0, v53, v0
	v_and_b32_e32 v1, 0x7f800000, v0
	v_cmp_ne_u32_e32 vcc, s38, v1
                                        ; implicit-def: $agpr48
	s_and_saveexec_b64 s[28:29], vcc
	s_xor_b64 s[28:29], exec, s[28:29]
; %bb.357:                              ;   in Loop: Header=BB403_10 Depth=1
	v_bfe_u32 v1, v0, 16, 1
	v_add3_u32 v0, v0, v1, s39
	v_accvgpr_write_b32 a48, v0
                                        ; implicit-def: $vgpr0
; %bb.358:                              ;   in Loop: Header=BB403_10 Depth=1
	s_andn2_saveexec_b64 s[28:29], s[28:29]
; %bb.359:                              ;   in Loop: Header=BB403_10 Depth=1
	v_or_b32_e32 v1, 0x10000, v0
	v_cmp_eq_u32_sdwa vcc, v0, v49 src0_sel:WORD_0 src1_sel:DWORD
	v_cndmask_b32_e32 v0, v1, v0, vcc
	v_accvgpr_write_b32 a48, v0
; %bb.360:                              ;   in Loop: Header=BB403_10 Depth=1
	s_or_b64 exec, exec, s[28:29]
	v_cmp_lt_u32_e32 vcc, s40, v28
	v_mov_b32_e32 v0, 0
	s_and_saveexec_b64 s[28:29], vcc
	s_cbranch_execz .LBB403_366
; %bb.361:                              ;   in Loop: Header=BB403_10 Depth=1
	v_lshrrev_b32_e32 v30, 24, v28
	v_cmp_ne_u32_e32 vcc, s21, v30
	v_bfrev_b32_e32 v0, 1
	s_and_saveexec_b64 s[30:31], vcc
	s_cbranch_execz .LBB403_365
; %bb.362:                              ;   in Loop: Header=BB403_10 Depth=1
	v_bfe_u32 v1, v28, 24, 7
	v_cmp_ne_u32_e32 vcc, s37, v1
	v_mov_b32_e32 v0, 0x7f800001
	s_and_saveexec_b64 s[34:35], vcc
	s_cbranch_execz .LBB403_364
; %bb.363:                              ;   in Loop: Header=BB403_10 Depth=1
	v_and_b32_e32 v2, 7, v30
	v_ffbh_u32_e32 v0, v2
	v_min_u32_e32 v4, 32, v0
	v_subrev_u32_e32 v0, 28, v4
	v_lshrrev_b32_e32 v3, 3, v1
	v_cmp_gt_u32_e32 vcc, 8, v1
	v_lshlrev_b64 v[0:1], v0, v[30:31]
	v_sub_u32_e32 v1, 29, v4
	v_and_b32_e32 v0, 7, v0
	v_cndmask_b32_e32 v1, v3, v1, vcc
	v_cndmask_b32_e32 v0, v2, v0, vcc
	v_lshlrev_b32_e32 v2, 24, v30
	v_lshlrev_b32_e32 v0, 20, v0
	v_and_b32_e32 v2, 0x80000000, v2
	v_lshl_add_u32 v1, v1, 23, v50
	v_or3_b32 v0, v2, v1, v0
.LBB403_364:                            ;   in Loop: Header=BB403_10 Depth=1
	s_or_b64 exec, exec, s[34:35]
.LBB403_365:                            ;   in Loop: Header=BB403_10 Depth=1
	s_or_b64 exec, exec, s[30:31]
.LBB403_366:                            ;   in Loop: Header=BB403_10 Depth=1
	s_or_b64 exec, exec, s[28:29]
	v_mul_f32_e32 v0, v53, v0
	v_and_b32_e32 v1, 0x7f800000, v0
	v_cmp_ne_u32_e32 vcc, s38, v1
                                        ; implicit-def: $agpr49
	s_and_saveexec_b64 s[28:29], vcc
	s_xor_b64 s[28:29], exec, s[28:29]
; %bb.367:                              ;   in Loop: Header=BB403_10 Depth=1
	v_bfe_u32 v1, v0, 16, 1
	v_add3_u32 v0, v0, v1, s39
	v_accvgpr_write_b32 a49, v0
                                        ; implicit-def: $vgpr0
; %bb.368:                              ;   in Loop: Header=BB403_10 Depth=1
	s_andn2_saveexec_b64 s[28:29], s[28:29]
; %bb.369:                              ;   in Loop: Header=BB403_10 Depth=1
	v_or_b32_e32 v1, 0x10000, v0
	v_cmp_eq_u32_sdwa vcc, v0, v49 src0_sel:WORD_0 src1_sel:DWORD
	v_cndmask_b32_e32 v0, v1, v0, vcc
	v_accvgpr_write_b32 a49, v0
; %bb.370:                              ;   in Loop: Header=BB403_10 Depth=1
	s_or_b64 exec, exec, s[28:29]
	flat_load_dword v28, v[20:21] offset:2056
	v_mov_b32_e32 v0, 0
	s_waitcnt vmcnt(0) lgkmcnt(0)
	v_cmp_ne_u16_sdwa vcc, v28, v49 src0_sel:BYTE_0 src1_sel:DWORD
	s_and_saveexec_b64 s[28:29], vcc
	s_cbranch_execz .LBB403_376
; %bb.371:                              ;   in Loop: Header=BB403_10 Depth=1
	v_cmp_ne_u16_sdwa vcc, v28, s21 src0_sel:BYTE_0 src1_sel:DWORD
	v_bfrev_b32_e32 v0, 1
	s_and_saveexec_b64 s[30:31], vcc
	s_cbranch_execz .LBB403_375
; %bb.372:                              ;   in Loop: Header=BB403_10 Depth=1
	v_and_b32_e32 v1, 0x7f, v28
	v_cmp_ne_u32_e32 vcc, s37, v1
	v_mov_b32_e32 v0, 0x7f800001
	s_and_saveexec_b64 s[34:35], vcc
	s_cbranch_execz .LBB403_374
; %bb.373:                              ;   in Loop: Header=BB403_10 Depth=1
	v_and_b32_e32 v2, 7, v28
	v_ffbh_u32_e32 v0, v2
	v_min_u32_e32 v4, 32, v0
	v_subrev_u32_e32 v0, 28, v4
	v_lshrrev_b32_e32 v3, 3, v1
	v_cmp_gt_u32_e32 vcc, 8, v1
	v_lshlrev_b64 v[0:1], v0, v[28:29]
	v_sub_u32_e32 v1, 29, v4
	v_and_b32_e32 v0, 7, v0
	v_cndmask_b32_e32 v1, v3, v1, vcc
	v_cndmask_b32_e32 v0, v2, v0, vcc
	v_lshlrev_b32_e32 v2, 24, v28
	v_lshlrev_b32_e32 v0, 20, v0
	v_and_b32_e32 v2, 0x80000000, v2
	v_lshl_add_u32 v1, v1, 23, v50
	v_or3_b32 v0, v2, v1, v0
.LBB403_374:                            ;   in Loop: Header=BB403_10 Depth=1
	s_or_b64 exec, exec, s[34:35]
.LBB403_375:                            ;   in Loop: Header=BB403_10 Depth=1
	s_or_b64 exec, exec, s[30:31]
.LBB403_376:                            ;   in Loop: Header=BB403_10 Depth=1
	s_or_b64 exec, exec, s[28:29]
	v_mul_f32_e32 v0, v53, v0
	v_and_b32_e32 v1, 0x7f800000, v0
	v_cmp_ne_u32_e32 vcc, s38, v1
                                        ; implicit-def: $agpr50
	s_and_saveexec_b64 s[28:29], vcc
	s_xor_b64 s[28:29], exec, s[28:29]
; %bb.377:                              ;   in Loop: Header=BB403_10 Depth=1
	v_bfe_u32 v1, v0, 16, 1
	v_add3_u32 v0, v0, v1, s39
	v_accvgpr_write_b32 a50, v0
                                        ; implicit-def: $vgpr0
; %bb.378:                              ;   in Loop: Header=BB403_10 Depth=1
	s_andn2_saveexec_b64 s[28:29], s[28:29]
; %bb.379:                              ;   in Loop: Header=BB403_10 Depth=1
	v_or_b32_e32 v1, 0x10000, v0
	v_cmp_eq_u32_sdwa vcc, v0, v49 src0_sel:WORD_0 src1_sel:DWORD
	v_cndmask_b32_e32 v0, v1, v0, vcc
	v_accvgpr_write_b32 a50, v0
; %bb.380:                              ;   in Loop: Header=BB403_10 Depth=1
	s_or_b64 exec, exec, s[28:29]
	v_lshrrev_b16_e32 v30, 8, v28
	v_cmp_ne_u16_e32 vcc, 0, v30
	v_mov_b32_e32 v0, 0
	s_and_saveexec_b64 s[28:29], vcc
	s_cbranch_execz .LBB403_386
; %bb.381:                              ;   in Loop: Header=BB403_10 Depth=1
	v_cmp_ne_u16_e32 vcc, s21, v30
	v_bfrev_b32_e32 v0, 1
	s_and_saveexec_b64 s[30:31], vcc
	s_cbranch_execz .LBB403_385
; %bb.382:                              ;   in Loop: Header=BB403_10 Depth=1
	v_and_b32_e32 v1, 0x7f, v30
	v_cmp_ne_u32_e32 vcc, s37, v1
	v_mov_b32_e32 v0, 0x7f800001
	s_and_saveexec_b64 s[34:35], vcc
	s_cbranch_execz .LBB403_384
; %bb.383:                              ;   in Loop: Header=BB403_10 Depth=1
	v_and_b32_e32 v2, 7, v30
	v_ffbh_u32_e32 v0, v2
	v_min_u32_e32 v4, 32, v0
	v_subrev_u32_e32 v0, 28, v4
	v_lshrrev_b32_e32 v3, 3, v1
	v_cmp_gt_u32_e32 vcc, 8, v1
	v_lshlrev_b64 v[0:1], v0, v[30:31]
	v_sub_u32_e32 v1, 29, v4
	v_and_b32_e32 v0, 7, v0
	v_cndmask_b32_e32 v1, v3, v1, vcc
	v_cndmask_b32_e32 v0, v2, v0, vcc
	v_lshlrev_b32_e32 v2, 16, v28
	v_lshlrev_b32_e32 v0, 20, v0
	v_and_b32_e32 v2, 0x80000000, v2
	v_lshl_add_u32 v1, v1, 23, v50
	v_or3_b32 v0, v2, v1, v0
.LBB403_384:                            ;   in Loop: Header=BB403_10 Depth=1
	s_or_b64 exec, exec, s[34:35]
.LBB403_385:                            ;   in Loop: Header=BB403_10 Depth=1
	s_or_b64 exec, exec, s[30:31]
.LBB403_386:                            ;   in Loop: Header=BB403_10 Depth=1
	s_or_b64 exec, exec, s[28:29]
	v_mul_f32_e32 v0, v53, v0
	v_and_b32_e32 v1, 0x7f800000, v0
	v_cmp_ne_u32_e32 vcc, s38, v1
                                        ; implicit-def: $agpr51
	s_and_saveexec_b64 s[28:29], vcc
	s_xor_b64 s[28:29], exec, s[28:29]
; %bb.387:                              ;   in Loop: Header=BB403_10 Depth=1
	v_bfe_u32 v1, v0, 16, 1
	v_add3_u32 v0, v0, v1, s39
	v_accvgpr_write_b32 a51, v0
                                        ; implicit-def: $vgpr0
; %bb.388:                              ;   in Loop: Header=BB403_10 Depth=1
	s_andn2_saveexec_b64 s[28:29], s[28:29]
; %bb.389:                              ;   in Loop: Header=BB403_10 Depth=1
	v_or_b32_e32 v1, 0x10000, v0
	v_cmp_eq_u32_sdwa vcc, v0, v49 src0_sel:WORD_0 src1_sel:DWORD
	v_cndmask_b32_e32 v0, v1, v0, vcc
	v_accvgpr_write_b32 a51, v0
; %bb.390:                              ;   in Loop: Header=BB403_10 Depth=1
	s_or_b64 exec, exec, s[28:29]
	v_lshrrev_b32_e32 v30, 16, v28
	v_cmp_ne_u16_sdwa vcc, v30, v49 src0_sel:BYTE_0 src1_sel:DWORD
	v_mov_b32_e32 v0, 0
	s_and_saveexec_b64 s[28:29], vcc
	s_cbranch_execz .LBB403_396
; %bb.391:                              ;   in Loop: Header=BB403_10 Depth=1
	v_cmp_ne_u16_sdwa vcc, v30, s21 src0_sel:BYTE_0 src1_sel:DWORD
	v_bfrev_b32_e32 v0, 1
	s_and_saveexec_b64 s[30:31], vcc
	s_cbranch_execz .LBB403_395
; %bb.392:                              ;   in Loop: Header=BB403_10 Depth=1
	v_bfe_u32 v1, v28, 16, 7
	v_cmp_ne_u32_e32 vcc, s37, v1
	v_mov_b32_e32 v0, 0x7f800001
	s_and_saveexec_b64 s[34:35], vcc
	s_cbranch_execz .LBB403_394
; %bb.393:                              ;   in Loop: Header=BB403_10 Depth=1
	v_and_b32_e32 v2, 7, v30
	v_ffbh_u32_e32 v0, v2
	v_min_u32_e32 v4, 32, v0
	v_subrev_u32_e32 v0, 28, v4
	v_lshrrev_b32_e32 v3, 3, v1
	v_cmp_gt_u32_e32 vcc, 8, v1
	v_lshlrev_b64 v[0:1], v0, v[30:31]
	v_sub_u32_e32 v1, 29, v4
	v_and_b32_e32 v0, 7, v0
	v_cndmask_b32_e32 v1, v3, v1, vcc
	v_cndmask_b32_e32 v0, v2, v0, vcc
	v_lshlrev_b32_e32 v2, 24, v30
	v_lshlrev_b32_e32 v0, 20, v0
	v_and_b32_e32 v2, 0x80000000, v2
	v_lshl_add_u32 v1, v1, 23, v50
	v_or3_b32 v0, v2, v1, v0
.LBB403_394:                            ;   in Loop: Header=BB403_10 Depth=1
	s_or_b64 exec, exec, s[34:35]
.LBB403_395:                            ;   in Loop: Header=BB403_10 Depth=1
	s_or_b64 exec, exec, s[30:31]
.LBB403_396:                            ;   in Loop: Header=BB403_10 Depth=1
	s_or_b64 exec, exec, s[28:29]
	v_mul_f32_e32 v0, v53, v0
	v_and_b32_e32 v1, 0x7f800000, v0
	v_cmp_ne_u32_e32 vcc, s38, v1
                                        ; implicit-def: $agpr52
	s_and_saveexec_b64 s[28:29], vcc
	s_xor_b64 s[28:29], exec, s[28:29]
; %bb.397:                              ;   in Loop: Header=BB403_10 Depth=1
	v_bfe_u32 v1, v0, 16, 1
	v_add3_u32 v0, v0, v1, s39
	v_accvgpr_write_b32 a52, v0
                                        ; implicit-def: $vgpr0
; %bb.398:                              ;   in Loop: Header=BB403_10 Depth=1
	s_andn2_saveexec_b64 s[28:29], s[28:29]
; %bb.399:                              ;   in Loop: Header=BB403_10 Depth=1
	v_or_b32_e32 v1, 0x10000, v0
	v_cmp_eq_u32_sdwa vcc, v0, v49 src0_sel:WORD_0 src1_sel:DWORD
	v_cndmask_b32_e32 v0, v1, v0, vcc
	v_accvgpr_write_b32 a52, v0
; %bb.400:                              ;   in Loop: Header=BB403_10 Depth=1
	s_or_b64 exec, exec, s[28:29]
	v_cmp_lt_u32_e32 vcc, s40, v28
	v_mov_b32_e32 v0, 0
	s_and_saveexec_b64 s[28:29], vcc
	s_cbranch_execz .LBB403_406
; %bb.401:                              ;   in Loop: Header=BB403_10 Depth=1
	v_lshrrev_b32_e32 v30, 24, v28
	v_cmp_ne_u32_e32 vcc, s21, v30
	v_bfrev_b32_e32 v0, 1
	s_and_saveexec_b64 s[30:31], vcc
	s_cbranch_execz .LBB403_405
; %bb.402:                              ;   in Loop: Header=BB403_10 Depth=1
	v_bfe_u32 v1, v28, 24, 7
	v_cmp_ne_u32_e32 vcc, s37, v1
	v_mov_b32_e32 v0, 0x7f800001
	s_and_saveexec_b64 s[34:35], vcc
	s_cbranch_execz .LBB403_404
; %bb.403:                              ;   in Loop: Header=BB403_10 Depth=1
	v_and_b32_e32 v2, 7, v30
	v_ffbh_u32_e32 v0, v2
	v_min_u32_e32 v4, 32, v0
	v_subrev_u32_e32 v0, 28, v4
	v_lshrrev_b32_e32 v3, 3, v1
	v_cmp_gt_u32_e32 vcc, 8, v1
	v_lshlrev_b64 v[0:1], v0, v[30:31]
	v_sub_u32_e32 v1, 29, v4
	v_and_b32_e32 v0, 7, v0
	v_cndmask_b32_e32 v1, v3, v1, vcc
	v_cndmask_b32_e32 v0, v2, v0, vcc
	v_lshlrev_b32_e32 v2, 24, v30
	v_lshlrev_b32_e32 v0, 20, v0
	v_and_b32_e32 v2, 0x80000000, v2
	v_lshl_add_u32 v1, v1, 23, v50
	v_or3_b32 v0, v2, v1, v0
.LBB403_404:                            ;   in Loop: Header=BB403_10 Depth=1
	s_or_b64 exec, exec, s[34:35]
.LBB403_405:                            ;   in Loop: Header=BB403_10 Depth=1
	s_or_b64 exec, exec, s[30:31]
.LBB403_406:                            ;   in Loop: Header=BB403_10 Depth=1
	s_or_b64 exec, exec, s[28:29]
	v_mul_f32_e32 v0, v53, v0
	v_and_b32_e32 v1, 0x7f800000, v0
	v_cmp_ne_u32_e32 vcc, s38, v1
                                        ; implicit-def: $agpr4
	s_and_saveexec_b64 s[28:29], vcc
	s_xor_b64 s[28:29], exec, s[28:29]
; %bb.407:                              ;   in Loop: Header=BB403_10 Depth=1
	v_bfe_u32 v1, v0, 16, 1
	v_add3_u32 v0, v0, v1, s39
	v_accvgpr_write_b32 a4, v0
                                        ; implicit-def: $vgpr0
; %bb.408:                              ;   in Loop: Header=BB403_10 Depth=1
	s_andn2_saveexec_b64 s[28:29], s[28:29]
; %bb.409:                              ;   in Loop: Header=BB403_10 Depth=1
	v_or_b32_e32 v1, 0x10000, v0
	v_cmp_eq_u32_sdwa vcc, v0, v49 src0_sel:WORD_0 src1_sel:DWORD
	v_cndmask_b32_e32 v0, v1, v0, vcc
	v_accvgpr_write_b32 a4, v0
; %bb.410:                              ;   in Loop: Header=BB403_10 Depth=1
	s_or_b64 exec, exec, s[28:29]
	flat_load_dword v28, v[20:21] offset:2560
	v_mov_b32_e32 v0, 0
	s_waitcnt vmcnt(0) lgkmcnt(0)
	v_cmp_ne_u16_sdwa vcc, v28, v49 src0_sel:BYTE_0 src1_sel:DWORD
	s_and_saveexec_b64 s[28:29], vcc
	s_cbranch_execz .LBB403_416
; %bb.411:                              ;   in Loop: Header=BB403_10 Depth=1
	v_cmp_ne_u16_sdwa vcc, v28, s21 src0_sel:BYTE_0 src1_sel:DWORD
	v_bfrev_b32_e32 v0, 1
	s_and_saveexec_b64 s[30:31], vcc
	s_cbranch_execz .LBB403_415
; %bb.412:                              ;   in Loop: Header=BB403_10 Depth=1
	v_and_b32_e32 v1, 0x7f, v28
	v_cmp_ne_u32_e32 vcc, s37, v1
	v_mov_b32_e32 v0, 0x7f800001
	s_and_saveexec_b64 s[34:35], vcc
	s_cbranch_execz .LBB403_414
; %bb.413:                              ;   in Loop: Header=BB403_10 Depth=1
	v_and_b32_e32 v2, 7, v28
	v_ffbh_u32_e32 v0, v2
	v_min_u32_e32 v4, 32, v0
	v_subrev_u32_e32 v0, 28, v4
	v_lshrrev_b32_e32 v3, 3, v1
	v_cmp_gt_u32_e32 vcc, 8, v1
	v_lshlrev_b64 v[0:1], v0, v[28:29]
	v_sub_u32_e32 v1, 29, v4
	v_and_b32_e32 v0, 7, v0
	v_cndmask_b32_e32 v1, v3, v1, vcc
	v_cndmask_b32_e32 v0, v2, v0, vcc
	v_lshlrev_b32_e32 v2, 24, v28
	v_lshlrev_b32_e32 v0, 20, v0
	v_and_b32_e32 v2, 0x80000000, v2
	v_lshl_add_u32 v1, v1, 23, v50
	v_or3_b32 v0, v2, v1, v0
.LBB403_414:                            ;   in Loop: Header=BB403_10 Depth=1
	s_or_b64 exec, exec, s[34:35]
.LBB403_415:                            ;   in Loop: Header=BB403_10 Depth=1
	s_or_b64 exec, exec, s[30:31]
.LBB403_416:                            ;   in Loop: Header=BB403_10 Depth=1
	s_or_b64 exec, exec, s[28:29]
	v_mul_f32_e32 v0, v53, v0
	v_and_b32_e32 v1, 0x7f800000, v0
	v_cmp_ne_u32_e32 vcc, s38, v1
                                        ; implicit-def: $agpr53
	s_and_saveexec_b64 s[28:29], vcc
	s_xor_b64 s[28:29], exec, s[28:29]
; %bb.417:                              ;   in Loop: Header=BB403_10 Depth=1
	v_bfe_u32 v1, v0, 16, 1
	v_add3_u32 v0, v0, v1, s39
	v_accvgpr_write_b32 a53, v0
                                        ; implicit-def: $vgpr0
; %bb.418:                              ;   in Loop: Header=BB403_10 Depth=1
	s_andn2_saveexec_b64 s[28:29], s[28:29]
; %bb.419:                              ;   in Loop: Header=BB403_10 Depth=1
	v_or_b32_e32 v1, 0x10000, v0
	v_cmp_eq_u32_sdwa vcc, v0, v49 src0_sel:WORD_0 src1_sel:DWORD
	v_cndmask_b32_e32 v0, v1, v0, vcc
	v_accvgpr_write_b32 a53, v0
; %bb.420:                              ;   in Loop: Header=BB403_10 Depth=1
	s_or_b64 exec, exec, s[28:29]
	v_lshrrev_b16_e32 v30, 8, v28
	v_cmp_ne_u16_e32 vcc, 0, v30
	v_mov_b32_e32 v0, 0
	s_and_saveexec_b64 s[28:29], vcc
	s_cbranch_execz .LBB403_426
; %bb.421:                              ;   in Loop: Header=BB403_10 Depth=1
	v_cmp_ne_u16_e32 vcc, s21, v30
	v_bfrev_b32_e32 v0, 1
	s_and_saveexec_b64 s[30:31], vcc
	s_cbranch_execz .LBB403_425
; %bb.422:                              ;   in Loop: Header=BB403_10 Depth=1
	v_and_b32_e32 v1, 0x7f, v30
	v_cmp_ne_u32_e32 vcc, s37, v1
	v_mov_b32_e32 v0, 0x7f800001
	s_and_saveexec_b64 s[34:35], vcc
	s_cbranch_execz .LBB403_424
; %bb.423:                              ;   in Loop: Header=BB403_10 Depth=1
	v_and_b32_e32 v2, 7, v30
	v_ffbh_u32_e32 v0, v2
	v_min_u32_e32 v4, 32, v0
	v_subrev_u32_e32 v0, 28, v4
	v_lshrrev_b32_e32 v3, 3, v1
	v_cmp_gt_u32_e32 vcc, 8, v1
	v_lshlrev_b64 v[0:1], v0, v[30:31]
	v_sub_u32_e32 v1, 29, v4
	v_and_b32_e32 v0, 7, v0
	v_cndmask_b32_e32 v1, v3, v1, vcc
	v_cndmask_b32_e32 v0, v2, v0, vcc
	v_lshlrev_b32_e32 v2, 16, v28
	v_lshlrev_b32_e32 v0, 20, v0
	v_and_b32_e32 v2, 0x80000000, v2
	v_lshl_add_u32 v1, v1, 23, v50
	v_or3_b32 v0, v2, v1, v0
.LBB403_424:                            ;   in Loop: Header=BB403_10 Depth=1
	s_or_b64 exec, exec, s[34:35]
.LBB403_425:                            ;   in Loop: Header=BB403_10 Depth=1
	s_or_b64 exec, exec, s[30:31]
.LBB403_426:                            ;   in Loop: Header=BB403_10 Depth=1
	s_or_b64 exec, exec, s[28:29]
	v_mul_f32_e32 v0, v53, v0
	v_and_b32_e32 v1, 0x7f800000, v0
	v_cmp_ne_u32_e32 vcc, s38, v1
                                        ; implicit-def: $agpr54
	s_and_saveexec_b64 s[28:29], vcc
	s_xor_b64 s[28:29], exec, s[28:29]
; %bb.427:                              ;   in Loop: Header=BB403_10 Depth=1
	v_bfe_u32 v1, v0, 16, 1
	v_add3_u32 v0, v0, v1, s39
	v_accvgpr_write_b32 a54, v0
                                        ; implicit-def: $vgpr0
; %bb.428:                              ;   in Loop: Header=BB403_10 Depth=1
	s_andn2_saveexec_b64 s[28:29], s[28:29]
; %bb.429:                              ;   in Loop: Header=BB403_10 Depth=1
	v_or_b32_e32 v1, 0x10000, v0
	v_cmp_eq_u32_sdwa vcc, v0, v49 src0_sel:WORD_0 src1_sel:DWORD
	v_cndmask_b32_e32 v0, v1, v0, vcc
	v_accvgpr_write_b32 a54, v0
; %bb.430:                              ;   in Loop: Header=BB403_10 Depth=1
	s_or_b64 exec, exec, s[28:29]
	v_lshrrev_b32_e32 v30, 16, v28
	v_cmp_ne_u16_sdwa vcc, v30, v49 src0_sel:BYTE_0 src1_sel:DWORD
	v_mov_b32_e32 v0, 0
	s_and_saveexec_b64 s[28:29], vcc
	s_cbranch_execz .LBB403_436
; %bb.431:                              ;   in Loop: Header=BB403_10 Depth=1
	v_cmp_ne_u16_sdwa vcc, v30, s21 src0_sel:BYTE_0 src1_sel:DWORD
	v_bfrev_b32_e32 v0, 1
	s_and_saveexec_b64 s[30:31], vcc
	s_cbranch_execz .LBB403_435
; %bb.432:                              ;   in Loop: Header=BB403_10 Depth=1
	v_bfe_u32 v1, v28, 16, 7
	v_cmp_ne_u32_e32 vcc, s37, v1
	v_mov_b32_e32 v0, 0x7f800001
	s_and_saveexec_b64 s[34:35], vcc
	s_cbranch_execz .LBB403_434
; %bb.433:                              ;   in Loop: Header=BB403_10 Depth=1
	v_and_b32_e32 v2, 7, v30
	v_ffbh_u32_e32 v0, v2
	v_min_u32_e32 v4, 32, v0
	v_subrev_u32_e32 v0, 28, v4
	v_lshrrev_b32_e32 v3, 3, v1
	v_cmp_gt_u32_e32 vcc, 8, v1
	v_lshlrev_b64 v[0:1], v0, v[30:31]
	v_sub_u32_e32 v1, 29, v4
	v_and_b32_e32 v0, 7, v0
	v_cndmask_b32_e32 v1, v3, v1, vcc
	v_cndmask_b32_e32 v0, v2, v0, vcc
	v_lshlrev_b32_e32 v2, 24, v30
	v_lshlrev_b32_e32 v0, 20, v0
	v_and_b32_e32 v2, 0x80000000, v2
	v_lshl_add_u32 v1, v1, 23, v50
	v_or3_b32 v0, v2, v1, v0
.LBB403_434:                            ;   in Loop: Header=BB403_10 Depth=1
	s_or_b64 exec, exec, s[34:35]
.LBB403_435:                            ;   in Loop: Header=BB403_10 Depth=1
	s_or_b64 exec, exec, s[30:31]
.LBB403_436:                            ;   in Loop: Header=BB403_10 Depth=1
	s_or_b64 exec, exec, s[28:29]
	v_mul_f32_e32 v0, v53, v0
	v_and_b32_e32 v1, 0x7f800000, v0
	v_cmp_ne_u32_e32 vcc, s38, v1
                                        ; implicit-def: $agpr55
	s_and_saveexec_b64 s[28:29], vcc
	s_xor_b64 s[28:29], exec, s[28:29]
; %bb.437:                              ;   in Loop: Header=BB403_10 Depth=1
	v_bfe_u32 v1, v0, 16, 1
	v_add3_u32 v0, v0, v1, s39
	v_accvgpr_write_b32 a55, v0
                                        ; implicit-def: $vgpr0
; %bb.438:                              ;   in Loop: Header=BB403_10 Depth=1
	s_andn2_saveexec_b64 s[28:29], s[28:29]
; %bb.439:                              ;   in Loop: Header=BB403_10 Depth=1
	v_or_b32_e32 v1, 0x10000, v0
	v_cmp_eq_u32_sdwa vcc, v0, v49 src0_sel:WORD_0 src1_sel:DWORD
	v_cndmask_b32_e32 v0, v1, v0, vcc
	v_accvgpr_write_b32 a55, v0
; %bb.440:                              ;   in Loop: Header=BB403_10 Depth=1
	s_or_b64 exec, exec, s[28:29]
	v_cmp_lt_u32_e32 vcc, s40, v28
	v_mov_b32_e32 v0, 0
	s_and_saveexec_b64 s[28:29], vcc
	s_cbranch_execz .LBB403_446
; %bb.441:                              ;   in Loop: Header=BB403_10 Depth=1
	v_lshrrev_b32_e32 v30, 24, v28
	v_cmp_ne_u32_e32 vcc, s21, v30
	v_bfrev_b32_e32 v0, 1
	s_and_saveexec_b64 s[30:31], vcc
	s_cbranch_execz .LBB403_445
; %bb.442:                              ;   in Loop: Header=BB403_10 Depth=1
	v_bfe_u32 v1, v28, 24, 7
	v_cmp_ne_u32_e32 vcc, s37, v1
	v_mov_b32_e32 v0, 0x7f800001
	s_and_saveexec_b64 s[34:35], vcc
	s_cbranch_execz .LBB403_444
; %bb.443:                              ;   in Loop: Header=BB403_10 Depth=1
	v_and_b32_e32 v2, 7, v30
	v_ffbh_u32_e32 v0, v2
	v_min_u32_e32 v4, 32, v0
	v_subrev_u32_e32 v0, 28, v4
	v_lshrrev_b32_e32 v3, 3, v1
	v_cmp_gt_u32_e32 vcc, 8, v1
	v_lshlrev_b64 v[0:1], v0, v[30:31]
	v_sub_u32_e32 v1, 29, v4
	v_and_b32_e32 v0, 7, v0
	v_cndmask_b32_e32 v1, v3, v1, vcc
	v_cndmask_b32_e32 v0, v2, v0, vcc
	v_lshlrev_b32_e32 v2, 24, v30
	v_lshlrev_b32_e32 v0, 20, v0
	v_and_b32_e32 v2, 0x80000000, v2
	v_lshl_add_u32 v1, v1, 23, v50
	v_or3_b32 v0, v2, v1, v0
.LBB403_444:                            ;   in Loop: Header=BB403_10 Depth=1
	s_or_b64 exec, exec, s[34:35]
.LBB403_445:                            ;   in Loop: Header=BB403_10 Depth=1
	s_or_b64 exec, exec, s[30:31]
.LBB403_446:                            ;   in Loop: Header=BB403_10 Depth=1
	s_or_b64 exec, exec, s[28:29]
	v_mul_f32_e32 v0, v53, v0
	v_and_b32_e32 v1, 0x7f800000, v0
	v_cmp_ne_u32_e32 vcc, s38, v1
                                        ; implicit-def: $agpr56
	s_and_saveexec_b64 s[28:29], vcc
	s_xor_b64 s[28:29], exec, s[28:29]
; %bb.447:                              ;   in Loop: Header=BB403_10 Depth=1
	v_bfe_u32 v1, v0, 16, 1
	v_add3_u32 v0, v0, v1, s39
	v_accvgpr_write_b32 a56, v0
                                        ; implicit-def: $vgpr0
; %bb.448:                              ;   in Loop: Header=BB403_10 Depth=1
	s_andn2_saveexec_b64 s[28:29], s[28:29]
; %bb.449:                              ;   in Loop: Header=BB403_10 Depth=1
	v_or_b32_e32 v1, 0x10000, v0
	v_cmp_eq_u32_sdwa vcc, v0, v49 src0_sel:WORD_0 src1_sel:DWORD
	v_cndmask_b32_e32 v0, v1, v0, vcc
	v_accvgpr_write_b32 a56, v0
; %bb.450:                              ;   in Loop: Header=BB403_10 Depth=1
	s_or_b64 exec, exec, s[28:29]
	flat_load_dword v28, v[20:21] offset:2568
	v_mov_b32_e32 v0, 0
	s_waitcnt vmcnt(0) lgkmcnt(0)
	v_cmp_ne_u16_sdwa vcc, v28, v49 src0_sel:BYTE_0 src1_sel:DWORD
	s_and_saveexec_b64 s[28:29], vcc
	s_cbranch_execz .LBB403_456
; %bb.451:                              ;   in Loop: Header=BB403_10 Depth=1
	v_cmp_ne_u16_sdwa vcc, v28, s21 src0_sel:BYTE_0 src1_sel:DWORD
	v_bfrev_b32_e32 v0, 1
	s_and_saveexec_b64 s[30:31], vcc
	s_cbranch_execz .LBB403_455
; %bb.452:                              ;   in Loop: Header=BB403_10 Depth=1
	v_and_b32_e32 v1, 0x7f, v28
	v_cmp_ne_u32_e32 vcc, s37, v1
	v_mov_b32_e32 v0, 0x7f800001
	s_and_saveexec_b64 s[34:35], vcc
	s_cbranch_execz .LBB403_454
; %bb.453:                              ;   in Loop: Header=BB403_10 Depth=1
	v_and_b32_e32 v2, 7, v28
	v_ffbh_u32_e32 v0, v2
	v_min_u32_e32 v4, 32, v0
	v_subrev_u32_e32 v0, 28, v4
	v_lshrrev_b32_e32 v3, 3, v1
	v_cmp_gt_u32_e32 vcc, 8, v1
	v_lshlrev_b64 v[0:1], v0, v[28:29]
	v_sub_u32_e32 v1, 29, v4
	v_and_b32_e32 v0, 7, v0
	v_cndmask_b32_e32 v1, v3, v1, vcc
	v_cndmask_b32_e32 v0, v2, v0, vcc
	v_lshlrev_b32_e32 v2, 24, v28
	v_lshlrev_b32_e32 v0, 20, v0
	v_and_b32_e32 v2, 0x80000000, v2
	v_lshl_add_u32 v1, v1, 23, v50
	v_or3_b32 v0, v2, v1, v0
.LBB403_454:                            ;   in Loop: Header=BB403_10 Depth=1
	s_or_b64 exec, exec, s[34:35]
.LBB403_455:                            ;   in Loop: Header=BB403_10 Depth=1
	s_or_b64 exec, exec, s[30:31]
.LBB403_456:                            ;   in Loop: Header=BB403_10 Depth=1
	s_or_b64 exec, exec, s[28:29]
	v_mul_f32_e32 v0, v53, v0
	v_and_b32_e32 v1, 0x7f800000, v0
	v_cmp_ne_u32_e32 vcc, s38, v1
                                        ; implicit-def: $agpr58
	s_and_saveexec_b64 s[28:29], vcc
	s_xor_b64 s[28:29], exec, s[28:29]
; %bb.457:                              ;   in Loop: Header=BB403_10 Depth=1
	v_bfe_u32 v1, v0, 16, 1
	v_add3_u32 v0, v0, v1, s39
	v_accvgpr_write_b32 a58, v0
                                        ; implicit-def: $vgpr0
; %bb.458:                              ;   in Loop: Header=BB403_10 Depth=1
	s_andn2_saveexec_b64 s[28:29], s[28:29]
; %bb.459:                              ;   in Loop: Header=BB403_10 Depth=1
	v_or_b32_e32 v1, 0x10000, v0
	v_cmp_eq_u32_sdwa vcc, v0, v49 src0_sel:WORD_0 src1_sel:DWORD
	v_cndmask_b32_e32 v0, v1, v0, vcc
	v_accvgpr_write_b32 a58, v0
; %bb.460:                              ;   in Loop: Header=BB403_10 Depth=1
	s_or_b64 exec, exec, s[28:29]
	v_lshrrev_b16_e32 v30, 8, v28
	v_cmp_ne_u16_e32 vcc, 0, v30
	v_mov_b32_e32 v0, 0
	s_and_saveexec_b64 s[28:29], vcc
	s_cbranch_execz .LBB403_466
; %bb.461:                              ;   in Loop: Header=BB403_10 Depth=1
	v_cmp_ne_u16_e32 vcc, s21, v30
	v_bfrev_b32_e32 v0, 1
	s_and_saveexec_b64 s[30:31], vcc
	s_cbranch_execz .LBB403_465
; %bb.462:                              ;   in Loop: Header=BB403_10 Depth=1
	v_and_b32_e32 v1, 0x7f, v30
	v_cmp_ne_u32_e32 vcc, s37, v1
	v_mov_b32_e32 v0, 0x7f800001
	s_and_saveexec_b64 s[34:35], vcc
	s_cbranch_execz .LBB403_464
; %bb.463:                              ;   in Loop: Header=BB403_10 Depth=1
	v_and_b32_e32 v2, 7, v30
	v_ffbh_u32_e32 v0, v2
	v_min_u32_e32 v4, 32, v0
	v_subrev_u32_e32 v0, 28, v4
	v_lshrrev_b32_e32 v3, 3, v1
	v_cmp_gt_u32_e32 vcc, 8, v1
	v_lshlrev_b64 v[0:1], v0, v[30:31]
	v_sub_u32_e32 v1, 29, v4
	v_and_b32_e32 v0, 7, v0
	v_cndmask_b32_e32 v1, v3, v1, vcc
	v_cndmask_b32_e32 v0, v2, v0, vcc
	v_lshlrev_b32_e32 v2, 16, v28
	v_lshlrev_b32_e32 v0, 20, v0
	v_and_b32_e32 v2, 0x80000000, v2
	v_lshl_add_u32 v1, v1, 23, v50
	v_or3_b32 v0, v2, v1, v0
.LBB403_464:                            ;   in Loop: Header=BB403_10 Depth=1
	s_or_b64 exec, exec, s[34:35]
.LBB403_465:                            ;   in Loop: Header=BB403_10 Depth=1
	s_or_b64 exec, exec, s[30:31]
.LBB403_466:                            ;   in Loop: Header=BB403_10 Depth=1
	s_or_b64 exec, exec, s[28:29]
	v_mul_f32_e32 v0, v53, v0
	v_and_b32_e32 v1, 0x7f800000, v0
	v_cmp_ne_u32_e32 vcc, s38, v1
                                        ; implicit-def: $agpr59
	s_and_saveexec_b64 s[28:29], vcc
	s_xor_b64 s[28:29], exec, s[28:29]
; %bb.467:                              ;   in Loop: Header=BB403_10 Depth=1
	v_bfe_u32 v1, v0, 16, 1
	v_add3_u32 v0, v0, v1, s39
	v_accvgpr_write_b32 a59, v0
                                        ; implicit-def: $vgpr0
; %bb.468:                              ;   in Loop: Header=BB403_10 Depth=1
	s_andn2_saveexec_b64 s[28:29], s[28:29]
; %bb.469:                              ;   in Loop: Header=BB403_10 Depth=1
	v_or_b32_e32 v1, 0x10000, v0
	v_cmp_eq_u32_sdwa vcc, v0, v49 src0_sel:WORD_0 src1_sel:DWORD
	v_cndmask_b32_e32 v0, v1, v0, vcc
	v_accvgpr_write_b32 a59, v0
; %bb.470:                              ;   in Loop: Header=BB403_10 Depth=1
	s_or_b64 exec, exec, s[28:29]
	v_lshrrev_b32_e32 v30, 16, v28
	v_cmp_ne_u16_sdwa vcc, v30, v49 src0_sel:BYTE_0 src1_sel:DWORD
	v_mov_b32_e32 v0, 0
	s_and_saveexec_b64 s[28:29], vcc
	s_cbranch_execz .LBB403_476
; %bb.471:                              ;   in Loop: Header=BB403_10 Depth=1
	v_cmp_ne_u16_sdwa vcc, v30, s21 src0_sel:BYTE_0 src1_sel:DWORD
	v_bfrev_b32_e32 v0, 1
	s_and_saveexec_b64 s[30:31], vcc
	s_cbranch_execz .LBB403_475
; %bb.472:                              ;   in Loop: Header=BB403_10 Depth=1
	v_bfe_u32 v1, v28, 16, 7
	v_cmp_ne_u32_e32 vcc, s37, v1
	v_mov_b32_e32 v0, 0x7f800001
	s_and_saveexec_b64 s[34:35], vcc
	s_cbranch_execz .LBB403_474
; %bb.473:                              ;   in Loop: Header=BB403_10 Depth=1
	v_and_b32_e32 v2, 7, v30
	v_ffbh_u32_e32 v0, v2
	v_min_u32_e32 v4, 32, v0
	v_subrev_u32_e32 v0, 28, v4
	v_lshrrev_b32_e32 v3, 3, v1
	v_cmp_gt_u32_e32 vcc, 8, v1
	v_lshlrev_b64 v[0:1], v0, v[30:31]
	v_sub_u32_e32 v1, 29, v4
	v_and_b32_e32 v0, 7, v0
	v_cndmask_b32_e32 v1, v3, v1, vcc
	v_cndmask_b32_e32 v0, v2, v0, vcc
	v_lshlrev_b32_e32 v2, 24, v30
	v_lshlrev_b32_e32 v0, 20, v0
	v_and_b32_e32 v2, 0x80000000, v2
	v_lshl_add_u32 v1, v1, 23, v50
	v_or3_b32 v0, v2, v1, v0
.LBB403_474:                            ;   in Loop: Header=BB403_10 Depth=1
	s_or_b64 exec, exec, s[34:35]
.LBB403_475:                            ;   in Loop: Header=BB403_10 Depth=1
	s_or_b64 exec, exec, s[30:31]
.LBB403_476:                            ;   in Loop: Header=BB403_10 Depth=1
	s_or_b64 exec, exec, s[28:29]
	v_mul_f32_e32 v0, v53, v0
	v_and_b32_e32 v1, 0x7f800000, v0
	v_cmp_ne_u32_e32 vcc, s38, v1
                                        ; implicit-def: $agpr60
	s_and_saveexec_b64 s[28:29], vcc
	s_xor_b64 s[28:29], exec, s[28:29]
; %bb.477:                              ;   in Loop: Header=BB403_10 Depth=1
	v_bfe_u32 v1, v0, 16, 1
	v_add3_u32 v0, v0, v1, s39
	v_accvgpr_write_b32 a60, v0
                                        ; implicit-def: $vgpr0
; %bb.478:                              ;   in Loop: Header=BB403_10 Depth=1
	s_andn2_saveexec_b64 s[28:29], s[28:29]
; %bb.479:                              ;   in Loop: Header=BB403_10 Depth=1
	v_or_b32_e32 v1, 0x10000, v0
	v_cmp_eq_u32_sdwa vcc, v0, v49 src0_sel:WORD_0 src1_sel:DWORD
	v_cndmask_b32_e32 v0, v1, v0, vcc
	v_accvgpr_write_b32 a60, v0
; %bb.480:                              ;   in Loop: Header=BB403_10 Depth=1
	s_or_b64 exec, exec, s[28:29]
	v_cmp_lt_u32_e32 vcc, s40, v28
	v_mov_b32_e32 v0, 0
	s_and_saveexec_b64 s[28:29], vcc
	s_cbranch_execz .LBB403_486
; %bb.481:                              ;   in Loop: Header=BB403_10 Depth=1
	v_lshrrev_b32_e32 v30, 24, v28
	v_cmp_ne_u32_e32 vcc, s21, v30
	v_bfrev_b32_e32 v0, 1
	s_and_saveexec_b64 s[30:31], vcc
	s_cbranch_execz .LBB403_485
; %bb.482:                              ;   in Loop: Header=BB403_10 Depth=1
	v_bfe_u32 v1, v28, 24, 7
	v_cmp_ne_u32_e32 vcc, s37, v1
	v_mov_b32_e32 v0, 0x7f800001
	s_and_saveexec_b64 s[34:35], vcc
	s_cbranch_execz .LBB403_484
; %bb.483:                              ;   in Loop: Header=BB403_10 Depth=1
	v_and_b32_e32 v2, 7, v30
	v_ffbh_u32_e32 v0, v2
	v_min_u32_e32 v4, 32, v0
	v_subrev_u32_e32 v0, 28, v4
	v_lshrrev_b32_e32 v3, 3, v1
	v_cmp_gt_u32_e32 vcc, 8, v1
	v_lshlrev_b64 v[0:1], v0, v[30:31]
	v_sub_u32_e32 v1, 29, v4
	v_and_b32_e32 v0, 7, v0
	v_cndmask_b32_e32 v1, v3, v1, vcc
	v_cndmask_b32_e32 v0, v2, v0, vcc
	v_lshlrev_b32_e32 v2, 24, v30
	v_lshlrev_b32_e32 v0, 20, v0
	v_and_b32_e32 v2, 0x80000000, v2
	v_lshl_add_u32 v1, v1, 23, v50
	v_or3_b32 v0, v2, v1, v0
.LBB403_484:                            ;   in Loop: Header=BB403_10 Depth=1
	s_or_b64 exec, exec, s[34:35]
.LBB403_485:                            ;   in Loop: Header=BB403_10 Depth=1
	s_or_b64 exec, exec, s[30:31]
.LBB403_486:                            ;   in Loop: Header=BB403_10 Depth=1
	s_or_b64 exec, exec, s[28:29]
	v_mul_f32_e32 v0, v53, v0
	v_and_b32_e32 v1, 0x7f800000, v0
	v_cmp_ne_u32_e32 vcc, s38, v1
                                        ; implicit-def: $vgpr24
	s_and_saveexec_b64 s[28:29], vcc
	s_xor_b64 s[28:29], exec, s[28:29]
; %bb.487:                              ;   in Loop: Header=BB403_10 Depth=1
	v_bfe_u32 v1, v0, 16, 1
	v_add3_u32 v24, v0, v1, s39
                                        ; implicit-def: $vgpr0
; %bb.488:                              ;   in Loop: Header=BB403_10 Depth=1
	s_andn2_saveexec_b64 s[28:29], s[28:29]
; %bb.489:                              ;   in Loop: Header=BB403_10 Depth=1
	v_or_b32_e32 v1, 0x10000, v0
	v_cmp_eq_u32_sdwa vcc, v0, v49 src0_sel:WORD_0 src1_sel:DWORD
	v_cndmask_b32_e32 v24, v1, v0, vcc
; %bb.490:                              ;   in Loop: Header=BB403_10 Depth=1
	s_or_b64 exec, exec, s[28:29]
	flat_load_dword v28, v[20:21] offset:3072
	v_mov_b32_e32 v0, 0
	s_waitcnt vmcnt(0) lgkmcnt(0)
	v_cmp_ne_u16_sdwa vcc, v28, v49 src0_sel:BYTE_0 src1_sel:DWORD
	s_and_saveexec_b64 s[28:29], vcc
	s_cbranch_execz .LBB403_496
; %bb.491:                              ;   in Loop: Header=BB403_10 Depth=1
	v_cmp_ne_u16_sdwa vcc, v28, s21 src0_sel:BYTE_0 src1_sel:DWORD
	v_bfrev_b32_e32 v0, 1
	s_and_saveexec_b64 s[30:31], vcc
	s_cbranch_execz .LBB403_495
; %bb.492:                              ;   in Loop: Header=BB403_10 Depth=1
	v_and_b32_e32 v1, 0x7f, v28
	v_cmp_ne_u32_e32 vcc, s37, v1
	v_mov_b32_e32 v0, 0x7f800001
	s_and_saveexec_b64 s[34:35], vcc
	s_cbranch_execz .LBB403_494
; %bb.493:                              ;   in Loop: Header=BB403_10 Depth=1
	v_and_b32_e32 v2, 7, v28
	v_ffbh_u32_e32 v0, v2
	v_min_u32_e32 v4, 32, v0
	v_subrev_u32_e32 v0, 28, v4
	v_lshrrev_b32_e32 v3, 3, v1
	v_cmp_gt_u32_e32 vcc, 8, v1
	v_lshlrev_b64 v[0:1], v0, v[28:29]
	v_sub_u32_e32 v1, 29, v4
	v_and_b32_e32 v0, 7, v0
	v_cndmask_b32_e32 v1, v3, v1, vcc
	v_cndmask_b32_e32 v0, v2, v0, vcc
	v_lshlrev_b32_e32 v2, 24, v28
	v_lshlrev_b32_e32 v0, 20, v0
	v_and_b32_e32 v2, 0x80000000, v2
	v_lshl_add_u32 v1, v1, 23, v50
	v_or3_b32 v0, v2, v1, v0
.LBB403_494:                            ;   in Loop: Header=BB403_10 Depth=1
	s_or_b64 exec, exec, s[34:35]
.LBB403_495:                            ;   in Loop: Header=BB403_10 Depth=1
	s_or_b64 exec, exec, s[30:31]
.LBB403_496:                            ;   in Loop: Header=BB403_10 Depth=1
	s_or_b64 exec, exec, s[28:29]
	v_mul_f32_e32 v0, v53, v0
	v_and_b32_e32 v1, 0x7f800000, v0
	v_cmp_ne_u32_e32 vcc, s38, v1
                                        ; implicit-def: $vgpr52
	s_and_saveexec_b64 s[28:29], vcc
	s_xor_b64 s[28:29], exec, s[28:29]
; %bb.497:                              ;   in Loop: Header=BB403_10 Depth=1
	v_bfe_u32 v1, v0, 16, 1
	v_add3_u32 v52, v0, v1, s39
                                        ; implicit-def: $vgpr0
; %bb.498:                              ;   in Loop: Header=BB403_10 Depth=1
	s_andn2_saveexec_b64 s[28:29], s[28:29]
; %bb.499:                              ;   in Loop: Header=BB403_10 Depth=1
	v_or_b32_e32 v1, 0x10000, v0
	v_cmp_eq_u32_sdwa vcc, v0, v49 src0_sel:WORD_0 src1_sel:DWORD
	v_cndmask_b32_e32 v52, v1, v0, vcc
; %bb.500:                              ;   in Loop: Header=BB403_10 Depth=1
	s_or_b64 exec, exec, s[28:29]
	v_lshrrev_b16_e32 v30, 8, v28
	v_cmp_ne_u16_e32 vcc, 0, v30
	v_mov_b32_e32 v0, 0
	s_and_saveexec_b64 s[28:29], vcc
	s_cbranch_execz .LBB403_506
; %bb.501:                              ;   in Loop: Header=BB403_10 Depth=1
	v_cmp_ne_u16_e32 vcc, s21, v30
	v_bfrev_b32_e32 v0, 1
	s_and_saveexec_b64 s[30:31], vcc
	s_cbranch_execz .LBB403_505
; %bb.502:                              ;   in Loop: Header=BB403_10 Depth=1
	v_and_b32_e32 v1, 0x7f, v30
	v_cmp_ne_u32_e32 vcc, s37, v1
	v_mov_b32_e32 v0, 0x7f800001
	s_and_saveexec_b64 s[34:35], vcc
	s_cbranch_execz .LBB403_504
; %bb.503:                              ;   in Loop: Header=BB403_10 Depth=1
	v_and_b32_e32 v2, 7, v30
	v_ffbh_u32_e32 v0, v2
	v_min_u32_e32 v4, 32, v0
	v_subrev_u32_e32 v0, 28, v4
	v_lshrrev_b32_e32 v3, 3, v1
	v_cmp_gt_u32_e32 vcc, 8, v1
	v_lshlrev_b64 v[0:1], v0, v[30:31]
	v_sub_u32_e32 v1, 29, v4
	v_and_b32_e32 v0, 7, v0
	v_cndmask_b32_e32 v1, v3, v1, vcc
	v_cndmask_b32_e32 v0, v2, v0, vcc
	v_lshlrev_b32_e32 v2, 16, v28
	v_lshlrev_b32_e32 v0, 20, v0
	v_and_b32_e32 v2, 0x80000000, v2
	v_lshl_add_u32 v1, v1, 23, v50
	v_or3_b32 v0, v2, v1, v0
.LBB403_504:                            ;   in Loop: Header=BB403_10 Depth=1
	s_or_b64 exec, exec, s[34:35]
.LBB403_505:                            ;   in Loop: Header=BB403_10 Depth=1
	s_or_b64 exec, exec, s[30:31]
.LBB403_506:                            ;   in Loop: Header=BB403_10 Depth=1
	s_or_b64 exec, exec, s[28:29]
	v_mul_f32_e32 v0, v53, v0
	v_and_b32_e32 v1, 0x7f800000, v0
	v_cmp_ne_u32_e32 vcc, s38, v1
                                        ; implicit-def: $vgpr55
	s_and_saveexec_b64 s[28:29], vcc
	s_xor_b64 s[28:29], exec, s[28:29]
; %bb.507:                              ;   in Loop: Header=BB403_10 Depth=1
	v_bfe_u32 v1, v0, 16, 1
	v_add3_u32 v55, v0, v1, s39
                                        ; implicit-def: $vgpr0
; %bb.508:                              ;   in Loop: Header=BB403_10 Depth=1
	s_andn2_saveexec_b64 s[28:29], s[28:29]
; %bb.509:                              ;   in Loop: Header=BB403_10 Depth=1
	v_or_b32_e32 v1, 0x10000, v0
	v_cmp_eq_u32_sdwa vcc, v0, v49 src0_sel:WORD_0 src1_sel:DWORD
	v_cndmask_b32_e32 v55, v1, v0, vcc
; %bb.510:                              ;   in Loop: Header=BB403_10 Depth=1
	s_or_b64 exec, exec, s[28:29]
	v_lshrrev_b32_e32 v30, 16, v28
	v_cmp_ne_u16_sdwa vcc, v30, v49 src0_sel:BYTE_0 src1_sel:DWORD
	v_mov_b32_e32 v0, 0
	s_and_saveexec_b64 s[28:29], vcc
	s_cbranch_execz .LBB403_516
; %bb.511:                              ;   in Loop: Header=BB403_10 Depth=1
	v_cmp_ne_u16_sdwa vcc, v30, s21 src0_sel:BYTE_0 src1_sel:DWORD
	v_bfrev_b32_e32 v0, 1
	s_and_saveexec_b64 s[30:31], vcc
	s_cbranch_execz .LBB403_515
; %bb.512:                              ;   in Loop: Header=BB403_10 Depth=1
	v_bfe_u32 v1, v28, 16, 7
	v_cmp_ne_u32_e32 vcc, s37, v1
	v_mov_b32_e32 v0, 0x7f800001
	s_and_saveexec_b64 s[34:35], vcc
	s_cbranch_execz .LBB403_514
; %bb.513:                              ;   in Loop: Header=BB403_10 Depth=1
	v_and_b32_e32 v2, 7, v30
	v_ffbh_u32_e32 v0, v2
	v_min_u32_e32 v4, 32, v0
	v_subrev_u32_e32 v0, 28, v4
	v_lshrrev_b32_e32 v3, 3, v1
	v_cmp_gt_u32_e32 vcc, 8, v1
	v_lshlrev_b64 v[0:1], v0, v[30:31]
	v_sub_u32_e32 v1, 29, v4
	v_and_b32_e32 v0, 7, v0
	v_cndmask_b32_e32 v1, v3, v1, vcc
	v_cndmask_b32_e32 v0, v2, v0, vcc
	v_lshlrev_b32_e32 v2, 24, v30
	v_lshlrev_b32_e32 v0, 20, v0
	v_and_b32_e32 v2, 0x80000000, v2
	v_lshl_add_u32 v1, v1, 23, v50
	v_or3_b32 v0, v2, v1, v0
.LBB403_514:                            ;   in Loop: Header=BB403_10 Depth=1
	s_or_b64 exec, exec, s[34:35]
.LBB403_515:                            ;   in Loop: Header=BB403_10 Depth=1
	s_or_b64 exec, exec, s[30:31]
.LBB403_516:                            ;   in Loop: Header=BB403_10 Depth=1
	s_or_b64 exec, exec, s[28:29]
	v_mul_f32_e32 v0, v53, v0
	v_and_b32_e32 v1, 0x7f800000, v0
	v_cmp_ne_u32_e32 vcc, s38, v1
                                        ; implicit-def: $vgpr40
	s_and_saveexec_b64 s[28:29], vcc
	s_xor_b64 s[28:29], exec, s[28:29]
; %bb.517:                              ;   in Loop: Header=BB403_10 Depth=1
	v_bfe_u32 v1, v0, 16, 1
	v_add3_u32 v40, v0, v1, s39
                                        ; implicit-def: $vgpr0
; %bb.518:                              ;   in Loop: Header=BB403_10 Depth=1
	s_andn2_saveexec_b64 s[28:29], s[28:29]
; %bb.519:                              ;   in Loop: Header=BB403_10 Depth=1
	v_or_b32_e32 v1, 0x10000, v0
	v_cmp_eq_u32_sdwa vcc, v0, v49 src0_sel:WORD_0 src1_sel:DWORD
	v_cndmask_b32_e32 v40, v1, v0, vcc
; %bb.520:                              ;   in Loop: Header=BB403_10 Depth=1
	s_or_b64 exec, exec, s[28:29]
	v_cmp_lt_u32_e32 vcc, s40, v28
	v_mov_b32_e32 v0, 0
	s_and_saveexec_b64 s[28:29], vcc
	s_cbranch_execz .LBB403_526
; %bb.521:                              ;   in Loop: Header=BB403_10 Depth=1
	v_lshrrev_b32_e32 v30, 24, v28
	v_cmp_ne_u32_e32 vcc, s21, v30
	v_bfrev_b32_e32 v0, 1
	s_and_saveexec_b64 s[30:31], vcc
	s_cbranch_execz .LBB403_525
; %bb.522:                              ;   in Loop: Header=BB403_10 Depth=1
	v_bfe_u32 v1, v28, 24, 7
	v_cmp_ne_u32_e32 vcc, s37, v1
	v_mov_b32_e32 v0, 0x7f800001
	s_and_saveexec_b64 s[34:35], vcc
	s_cbranch_execz .LBB403_524
; %bb.523:                              ;   in Loop: Header=BB403_10 Depth=1
	v_and_b32_e32 v2, 7, v30
	v_ffbh_u32_e32 v0, v2
	v_min_u32_e32 v4, 32, v0
	v_subrev_u32_e32 v0, 28, v4
	v_lshrrev_b32_e32 v3, 3, v1
	v_cmp_gt_u32_e32 vcc, 8, v1
	v_lshlrev_b64 v[0:1], v0, v[30:31]
	v_sub_u32_e32 v1, 29, v4
	v_and_b32_e32 v0, 7, v0
	v_cndmask_b32_e32 v1, v3, v1, vcc
	v_cndmask_b32_e32 v0, v2, v0, vcc
	v_lshlrev_b32_e32 v2, 24, v30
	v_lshlrev_b32_e32 v0, 20, v0
	v_and_b32_e32 v2, 0x80000000, v2
	v_lshl_add_u32 v1, v1, 23, v50
	v_or3_b32 v0, v2, v1, v0
.LBB403_524:                            ;   in Loop: Header=BB403_10 Depth=1
	s_or_b64 exec, exec, s[34:35]
.LBB403_525:                            ;   in Loop: Header=BB403_10 Depth=1
	s_or_b64 exec, exec, s[30:31]
.LBB403_526:                            ;   in Loop: Header=BB403_10 Depth=1
	s_or_b64 exec, exec, s[28:29]
	v_mul_f32_e32 v0, v53, v0
	v_and_b32_e32 v1, 0x7f800000, v0
	v_cmp_ne_u32_e32 vcc, s38, v1
                                        ; implicit-def: $vgpr41
	s_and_saveexec_b64 s[28:29], vcc
	s_xor_b64 s[28:29], exec, s[28:29]
; %bb.527:                              ;   in Loop: Header=BB403_10 Depth=1
	v_bfe_u32 v1, v0, 16, 1
	v_add3_u32 v41, v0, v1, s39
                                        ; implicit-def: $vgpr0
; %bb.528:                              ;   in Loop: Header=BB403_10 Depth=1
	s_andn2_saveexec_b64 s[28:29], s[28:29]
; %bb.529:                              ;   in Loop: Header=BB403_10 Depth=1
	v_or_b32_e32 v1, 0x10000, v0
	v_cmp_eq_u32_sdwa vcc, v0, v49 src0_sel:WORD_0 src1_sel:DWORD
	v_cndmask_b32_e32 v41, v1, v0, vcc
; %bb.530:                              ;   in Loop: Header=BB403_10 Depth=1
	s_or_b64 exec, exec, s[28:29]
	flat_load_dword v28, v[20:21] offset:3080
	v_mov_b32_e32 v0, 0
	s_waitcnt vmcnt(0) lgkmcnt(0)
	v_cmp_ne_u16_sdwa vcc, v28, v49 src0_sel:BYTE_0 src1_sel:DWORD
	s_and_saveexec_b64 s[28:29], vcc
	s_cbranch_execz .LBB403_536
; %bb.531:                              ;   in Loop: Header=BB403_10 Depth=1
	v_cmp_ne_u16_sdwa vcc, v28, s21 src0_sel:BYTE_0 src1_sel:DWORD
	v_bfrev_b32_e32 v0, 1
	s_and_saveexec_b64 s[30:31], vcc
	s_cbranch_execz .LBB403_535
; %bb.532:                              ;   in Loop: Header=BB403_10 Depth=1
	v_and_b32_e32 v1, 0x7f, v28
	v_cmp_ne_u32_e32 vcc, s37, v1
	v_mov_b32_e32 v0, 0x7f800001
	s_and_saveexec_b64 s[34:35], vcc
	s_cbranch_execz .LBB403_534
; %bb.533:                              ;   in Loop: Header=BB403_10 Depth=1
	v_and_b32_e32 v2, 7, v28
	v_ffbh_u32_e32 v0, v2
	v_min_u32_e32 v4, 32, v0
	v_subrev_u32_e32 v0, 28, v4
	v_lshrrev_b32_e32 v3, 3, v1
	v_cmp_gt_u32_e32 vcc, 8, v1
	v_lshlrev_b64 v[0:1], v0, v[28:29]
	v_sub_u32_e32 v1, 29, v4
	v_and_b32_e32 v0, 7, v0
	v_cndmask_b32_e32 v1, v3, v1, vcc
	v_cndmask_b32_e32 v0, v2, v0, vcc
	v_lshlrev_b32_e32 v2, 24, v28
	v_lshlrev_b32_e32 v0, 20, v0
	v_and_b32_e32 v2, 0x80000000, v2
	v_lshl_add_u32 v1, v1, 23, v50
	v_or3_b32 v0, v2, v1, v0
.LBB403_534:                            ;   in Loop: Header=BB403_10 Depth=1
	s_or_b64 exec, exec, s[34:35]
.LBB403_535:                            ;   in Loop: Header=BB403_10 Depth=1
	s_or_b64 exec, exec, s[30:31]
.LBB403_536:                            ;   in Loop: Header=BB403_10 Depth=1
	s_or_b64 exec, exec, s[28:29]
	v_mul_f32_e32 v0, v53, v0
	v_and_b32_e32 v1, 0x7f800000, v0
	v_cmp_ne_u32_e32 vcc, s38, v1
                                        ; implicit-def: $vgpr42
	s_and_saveexec_b64 s[28:29], vcc
	s_xor_b64 s[28:29], exec, s[28:29]
; %bb.537:                              ;   in Loop: Header=BB403_10 Depth=1
	v_bfe_u32 v1, v0, 16, 1
	v_add3_u32 v42, v0, v1, s39
                                        ; implicit-def: $vgpr0
; %bb.538:                              ;   in Loop: Header=BB403_10 Depth=1
	s_andn2_saveexec_b64 s[28:29], s[28:29]
; %bb.539:                              ;   in Loop: Header=BB403_10 Depth=1
	v_or_b32_e32 v1, 0x10000, v0
	v_cmp_eq_u32_sdwa vcc, v0, v49 src0_sel:WORD_0 src1_sel:DWORD
	v_cndmask_b32_e32 v42, v1, v0, vcc
; %bb.540:                              ;   in Loop: Header=BB403_10 Depth=1
	s_or_b64 exec, exec, s[28:29]
	v_lshrrev_b16_e32 v30, 8, v28
	v_cmp_ne_u16_e32 vcc, 0, v30
	v_mov_b32_e32 v0, 0
	s_and_saveexec_b64 s[28:29], vcc
	s_cbranch_execz .LBB403_546
; %bb.541:                              ;   in Loop: Header=BB403_10 Depth=1
	v_cmp_ne_u16_e32 vcc, s21, v30
	v_bfrev_b32_e32 v0, 1
	s_and_saveexec_b64 s[30:31], vcc
	s_cbranch_execz .LBB403_545
; %bb.542:                              ;   in Loop: Header=BB403_10 Depth=1
	v_and_b32_e32 v1, 0x7f, v30
	v_cmp_ne_u32_e32 vcc, s37, v1
	v_mov_b32_e32 v0, 0x7f800001
	s_and_saveexec_b64 s[34:35], vcc
	s_cbranch_execz .LBB403_544
; %bb.543:                              ;   in Loop: Header=BB403_10 Depth=1
	v_and_b32_e32 v2, 7, v30
	v_ffbh_u32_e32 v0, v2
	v_min_u32_e32 v4, 32, v0
	v_subrev_u32_e32 v0, 28, v4
	v_lshrrev_b32_e32 v3, 3, v1
	v_cmp_gt_u32_e32 vcc, 8, v1
	v_lshlrev_b64 v[0:1], v0, v[30:31]
	v_sub_u32_e32 v1, 29, v4
	v_and_b32_e32 v0, 7, v0
	v_cndmask_b32_e32 v1, v3, v1, vcc
	v_cndmask_b32_e32 v0, v2, v0, vcc
	v_lshlrev_b32_e32 v2, 16, v28
	v_lshlrev_b32_e32 v0, 20, v0
	v_and_b32_e32 v2, 0x80000000, v2
	v_lshl_add_u32 v1, v1, 23, v50
	v_or3_b32 v0, v2, v1, v0
.LBB403_544:                            ;   in Loop: Header=BB403_10 Depth=1
	s_or_b64 exec, exec, s[34:35]
.LBB403_545:                            ;   in Loop: Header=BB403_10 Depth=1
	s_or_b64 exec, exec, s[30:31]
.LBB403_546:                            ;   in Loop: Header=BB403_10 Depth=1
	s_or_b64 exec, exec, s[28:29]
	v_mul_f32_e32 v0, v53, v0
	v_and_b32_e32 v1, 0x7f800000, v0
	v_cmp_ne_u32_e32 vcc, s38, v1
                                        ; implicit-def: $vgpr43
	s_and_saveexec_b64 s[28:29], vcc
	s_xor_b64 s[28:29], exec, s[28:29]
; %bb.547:                              ;   in Loop: Header=BB403_10 Depth=1
	v_bfe_u32 v1, v0, 16, 1
	v_add3_u32 v43, v0, v1, s39
                                        ; implicit-def: $vgpr0
; %bb.548:                              ;   in Loop: Header=BB403_10 Depth=1
	s_andn2_saveexec_b64 s[28:29], s[28:29]
; %bb.549:                              ;   in Loop: Header=BB403_10 Depth=1
	v_or_b32_e32 v1, 0x10000, v0
	v_cmp_eq_u32_sdwa vcc, v0, v49 src0_sel:WORD_0 src1_sel:DWORD
	v_cndmask_b32_e32 v43, v1, v0, vcc
; %bb.550:                              ;   in Loop: Header=BB403_10 Depth=1
	s_or_b64 exec, exec, s[28:29]
	v_lshrrev_b32_e32 v30, 16, v28
	v_cmp_ne_u16_sdwa vcc, v30, v49 src0_sel:BYTE_0 src1_sel:DWORD
	v_mov_b32_e32 v0, 0
	s_and_saveexec_b64 s[28:29], vcc
	s_cbranch_execz .LBB403_556
; %bb.551:                              ;   in Loop: Header=BB403_10 Depth=1
	v_cmp_ne_u16_sdwa vcc, v30, s21 src0_sel:BYTE_0 src1_sel:DWORD
	v_bfrev_b32_e32 v0, 1
	s_and_saveexec_b64 s[30:31], vcc
	s_cbranch_execz .LBB403_555
; %bb.552:                              ;   in Loop: Header=BB403_10 Depth=1
	v_bfe_u32 v1, v28, 16, 7
	v_cmp_ne_u32_e32 vcc, s37, v1
	v_mov_b32_e32 v0, 0x7f800001
	s_and_saveexec_b64 s[34:35], vcc
	s_cbranch_execz .LBB403_554
; %bb.553:                              ;   in Loop: Header=BB403_10 Depth=1
	v_and_b32_e32 v2, 7, v30
	v_ffbh_u32_e32 v0, v2
	v_min_u32_e32 v4, 32, v0
	v_subrev_u32_e32 v0, 28, v4
	v_lshrrev_b32_e32 v3, 3, v1
	v_cmp_gt_u32_e32 vcc, 8, v1
	v_lshlrev_b64 v[0:1], v0, v[30:31]
	v_sub_u32_e32 v1, 29, v4
	v_and_b32_e32 v0, 7, v0
	v_cndmask_b32_e32 v1, v3, v1, vcc
	v_cndmask_b32_e32 v0, v2, v0, vcc
	v_lshlrev_b32_e32 v2, 24, v30
	v_lshlrev_b32_e32 v0, 20, v0
	v_and_b32_e32 v2, 0x80000000, v2
	v_lshl_add_u32 v1, v1, 23, v50
	v_or3_b32 v0, v2, v1, v0
.LBB403_554:                            ;   in Loop: Header=BB403_10 Depth=1
	s_or_b64 exec, exec, s[34:35]
.LBB403_555:                            ;   in Loop: Header=BB403_10 Depth=1
	s_or_b64 exec, exec, s[30:31]
.LBB403_556:                            ;   in Loop: Header=BB403_10 Depth=1
	s_or_b64 exec, exec, s[28:29]
	v_mul_f32_e32 v0, v53, v0
	v_and_b32_e32 v1, 0x7f800000, v0
	v_cmp_ne_u32_e32 vcc, s38, v1
                                        ; implicit-def: $vgpr44
	s_and_saveexec_b64 s[28:29], vcc
	s_xor_b64 s[28:29], exec, s[28:29]
; %bb.557:                              ;   in Loop: Header=BB403_10 Depth=1
	v_bfe_u32 v1, v0, 16, 1
	v_add3_u32 v44, v0, v1, s39
                                        ; implicit-def: $vgpr0
; %bb.558:                              ;   in Loop: Header=BB403_10 Depth=1
	s_andn2_saveexec_b64 s[28:29], s[28:29]
; %bb.559:                              ;   in Loop: Header=BB403_10 Depth=1
	v_or_b32_e32 v1, 0x10000, v0
	v_cmp_eq_u32_sdwa vcc, v0, v49 src0_sel:WORD_0 src1_sel:DWORD
	v_cndmask_b32_e32 v44, v1, v0, vcc
; %bb.560:                              ;   in Loop: Header=BB403_10 Depth=1
	s_or_b64 exec, exec, s[28:29]
	v_cmp_lt_u32_e32 vcc, s40, v28
	v_mov_b32_e32 v0, 0
	s_and_saveexec_b64 s[28:29], vcc
	s_cbranch_execz .LBB403_566
; %bb.561:                              ;   in Loop: Header=BB403_10 Depth=1
	v_lshrrev_b32_e32 v30, 24, v28
	v_cmp_ne_u32_e32 vcc, s21, v30
	v_bfrev_b32_e32 v0, 1
	s_and_saveexec_b64 s[30:31], vcc
	s_cbranch_execz .LBB403_565
; %bb.562:                              ;   in Loop: Header=BB403_10 Depth=1
	v_bfe_u32 v1, v28, 24, 7
	v_cmp_ne_u32_e32 vcc, s37, v1
	v_mov_b32_e32 v0, 0x7f800001
	s_and_saveexec_b64 s[34:35], vcc
	s_cbranch_execz .LBB403_564
; %bb.563:                              ;   in Loop: Header=BB403_10 Depth=1
	v_and_b32_e32 v2, 7, v30
	v_ffbh_u32_e32 v0, v2
	v_min_u32_e32 v4, 32, v0
	v_subrev_u32_e32 v0, 28, v4
	v_lshrrev_b32_e32 v3, 3, v1
	v_cmp_gt_u32_e32 vcc, 8, v1
	v_lshlrev_b64 v[0:1], v0, v[30:31]
	v_sub_u32_e32 v1, 29, v4
	v_and_b32_e32 v0, 7, v0
	v_cndmask_b32_e32 v1, v3, v1, vcc
	v_cndmask_b32_e32 v0, v2, v0, vcc
	v_lshlrev_b32_e32 v2, 24, v30
	v_lshlrev_b32_e32 v0, 20, v0
	v_and_b32_e32 v2, 0x80000000, v2
	v_lshl_add_u32 v1, v1, 23, v50
	v_or3_b32 v0, v2, v1, v0
.LBB403_564:                            ;   in Loop: Header=BB403_10 Depth=1
	s_or_b64 exec, exec, s[34:35]
.LBB403_565:                            ;   in Loop: Header=BB403_10 Depth=1
	s_or_b64 exec, exec, s[30:31]
.LBB403_566:                            ;   in Loop: Header=BB403_10 Depth=1
	s_or_b64 exec, exec, s[28:29]
	v_mul_f32_e32 v0, v53, v0
	v_and_b32_e32 v1, 0x7f800000, v0
	v_cmp_ne_u32_e32 vcc, s38, v1
                                        ; implicit-def: $vgpr45
	s_and_saveexec_b64 s[28:29], vcc
	s_xor_b64 s[28:29], exec, s[28:29]
; %bb.567:                              ;   in Loop: Header=BB403_10 Depth=1
	v_bfe_u32 v1, v0, 16, 1
	v_add3_u32 v45, v0, v1, s39
                                        ; implicit-def: $vgpr0
; %bb.568:                              ;   in Loop: Header=BB403_10 Depth=1
	s_andn2_saveexec_b64 s[28:29], s[28:29]
; %bb.569:                              ;   in Loop: Header=BB403_10 Depth=1
	v_or_b32_e32 v1, 0x10000, v0
	v_cmp_eq_u32_sdwa vcc, v0, v49 src0_sel:WORD_0 src1_sel:DWORD
	v_cndmask_b32_e32 v45, v1, v0, vcc
; %bb.570:                              ;   in Loop: Header=BB403_10 Depth=1
	s_or_b64 exec, exec, s[28:29]
	flat_load_dword v28, v[20:21] offset:3584
	v_mov_b32_e32 v0, 0
	s_waitcnt vmcnt(0) lgkmcnt(0)
	v_cmp_ne_u16_sdwa vcc, v28, v49 src0_sel:BYTE_0 src1_sel:DWORD
	s_and_saveexec_b64 s[28:29], vcc
	s_cbranch_execz .LBB403_576
; %bb.571:                              ;   in Loop: Header=BB403_10 Depth=1
	v_cmp_ne_u16_sdwa vcc, v28, s21 src0_sel:BYTE_0 src1_sel:DWORD
	v_bfrev_b32_e32 v0, 1
	s_and_saveexec_b64 s[30:31], vcc
	s_cbranch_execz .LBB403_575
; %bb.572:                              ;   in Loop: Header=BB403_10 Depth=1
	v_and_b32_e32 v1, 0x7f, v28
	v_cmp_ne_u32_e32 vcc, s37, v1
	v_mov_b32_e32 v0, 0x7f800001
	s_and_saveexec_b64 s[34:35], vcc
	s_cbranch_execz .LBB403_574
; %bb.573:                              ;   in Loop: Header=BB403_10 Depth=1
	v_and_b32_e32 v2, 7, v28
	v_ffbh_u32_e32 v0, v2
	v_min_u32_e32 v4, 32, v0
	v_subrev_u32_e32 v0, 28, v4
	v_lshrrev_b32_e32 v3, 3, v1
	v_cmp_gt_u32_e32 vcc, 8, v1
	v_lshlrev_b64 v[0:1], v0, v[28:29]
	v_sub_u32_e32 v1, 29, v4
	v_and_b32_e32 v0, 7, v0
	v_cndmask_b32_e32 v1, v3, v1, vcc
	v_cndmask_b32_e32 v0, v2, v0, vcc
	v_lshlrev_b32_e32 v2, 24, v28
	v_lshlrev_b32_e32 v0, 20, v0
	v_and_b32_e32 v2, 0x80000000, v2
	v_lshl_add_u32 v1, v1, 23, v50
	v_or3_b32 v0, v2, v1, v0
.LBB403_574:                            ;   in Loop: Header=BB403_10 Depth=1
	s_or_b64 exec, exec, s[34:35]
.LBB403_575:                            ;   in Loop: Header=BB403_10 Depth=1
	s_or_b64 exec, exec, s[30:31]
.LBB403_576:                            ;   in Loop: Header=BB403_10 Depth=1
	s_or_b64 exec, exec, s[28:29]
	v_mul_f32_e32 v0, v53, v0
	v_and_b32_e32 v1, 0x7f800000, v0
	v_cmp_ne_u32_e32 vcc, s38, v1
                                        ; implicit-def: $vgpr46
	s_and_saveexec_b64 s[28:29], vcc
	s_xor_b64 s[28:29], exec, s[28:29]
; %bb.577:                              ;   in Loop: Header=BB403_10 Depth=1
	v_bfe_u32 v1, v0, 16, 1
	v_add3_u32 v46, v0, v1, s39
                                        ; implicit-def: $vgpr0
; %bb.578:                              ;   in Loop: Header=BB403_10 Depth=1
	s_andn2_saveexec_b64 s[28:29], s[28:29]
; %bb.579:                              ;   in Loop: Header=BB403_10 Depth=1
	v_or_b32_e32 v1, 0x10000, v0
	v_cmp_eq_u32_sdwa vcc, v0, v49 src0_sel:WORD_0 src1_sel:DWORD
	v_cndmask_b32_e32 v46, v1, v0, vcc
; %bb.580:                              ;   in Loop: Header=BB403_10 Depth=1
	s_or_b64 exec, exec, s[28:29]
	v_lshrrev_b16_e32 v30, 8, v28
	v_cmp_ne_u16_e32 vcc, 0, v30
	v_mov_b32_e32 v0, 0
	s_and_saveexec_b64 s[28:29], vcc
	s_cbranch_execz .LBB403_586
; %bb.581:                              ;   in Loop: Header=BB403_10 Depth=1
	v_cmp_ne_u16_e32 vcc, s21, v30
	v_bfrev_b32_e32 v0, 1
	s_and_saveexec_b64 s[30:31], vcc
	s_cbranch_execz .LBB403_585
; %bb.582:                              ;   in Loop: Header=BB403_10 Depth=1
	v_and_b32_e32 v1, 0x7f, v30
	v_cmp_ne_u32_e32 vcc, s37, v1
	v_mov_b32_e32 v0, 0x7f800001
	s_and_saveexec_b64 s[34:35], vcc
	s_cbranch_execz .LBB403_584
; %bb.583:                              ;   in Loop: Header=BB403_10 Depth=1
	v_and_b32_e32 v2, 7, v30
	v_ffbh_u32_e32 v0, v2
	v_min_u32_e32 v4, 32, v0
	v_subrev_u32_e32 v0, 28, v4
	v_lshrrev_b32_e32 v3, 3, v1
	v_cmp_gt_u32_e32 vcc, 8, v1
	v_lshlrev_b64 v[0:1], v0, v[30:31]
	v_sub_u32_e32 v1, 29, v4
	v_and_b32_e32 v0, 7, v0
	v_cndmask_b32_e32 v1, v3, v1, vcc
	v_cndmask_b32_e32 v0, v2, v0, vcc
	v_lshlrev_b32_e32 v2, 16, v28
	v_lshlrev_b32_e32 v0, 20, v0
	v_and_b32_e32 v2, 0x80000000, v2
	v_lshl_add_u32 v1, v1, 23, v50
	v_or3_b32 v0, v2, v1, v0
.LBB403_584:                            ;   in Loop: Header=BB403_10 Depth=1
	s_or_b64 exec, exec, s[34:35]
.LBB403_585:                            ;   in Loop: Header=BB403_10 Depth=1
	s_or_b64 exec, exec, s[30:31]
.LBB403_586:                            ;   in Loop: Header=BB403_10 Depth=1
	s_or_b64 exec, exec, s[28:29]
	v_mul_f32_e32 v0, v53, v0
	v_and_b32_e32 v1, 0x7f800000, v0
	v_cmp_ne_u32_e32 vcc, s38, v1
                                        ; implicit-def: $vgpr47
	s_and_saveexec_b64 s[28:29], vcc
	s_xor_b64 s[28:29], exec, s[28:29]
; %bb.587:                              ;   in Loop: Header=BB403_10 Depth=1
	v_bfe_u32 v1, v0, 16, 1
	v_add3_u32 v47, v0, v1, s39
                                        ; implicit-def: $vgpr0
; %bb.588:                              ;   in Loop: Header=BB403_10 Depth=1
	s_andn2_saveexec_b64 s[28:29], s[28:29]
; %bb.589:                              ;   in Loop: Header=BB403_10 Depth=1
	v_or_b32_e32 v1, 0x10000, v0
	v_cmp_eq_u32_sdwa vcc, v0, v49 src0_sel:WORD_0 src1_sel:DWORD
	v_cndmask_b32_e32 v47, v1, v0, vcc
; %bb.590:                              ;   in Loop: Header=BB403_10 Depth=1
	s_or_b64 exec, exec, s[28:29]
	v_lshrrev_b32_e32 v30, 16, v28
	v_cmp_ne_u16_sdwa vcc, v30, v49 src0_sel:BYTE_0 src1_sel:DWORD
	v_mov_b32_e32 v0, 0
	s_and_saveexec_b64 s[28:29], vcc
	s_cbranch_execz .LBB403_596
; %bb.591:                              ;   in Loop: Header=BB403_10 Depth=1
	v_cmp_ne_u16_sdwa vcc, v30, s21 src0_sel:BYTE_0 src1_sel:DWORD
	v_bfrev_b32_e32 v0, 1
	s_and_saveexec_b64 s[30:31], vcc
	s_cbranch_execz .LBB403_595
; %bb.592:                              ;   in Loop: Header=BB403_10 Depth=1
	v_bfe_u32 v1, v28, 16, 7
	v_cmp_ne_u32_e32 vcc, s37, v1
	v_mov_b32_e32 v0, 0x7f800001
	s_and_saveexec_b64 s[34:35], vcc
	s_cbranch_execz .LBB403_594
; %bb.593:                              ;   in Loop: Header=BB403_10 Depth=1
	v_and_b32_e32 v2, 7, v30
	v_ffbh_u32_e32 v0, v2
	v_min_u32_e32 v4, 32, v0
	v_subrev_u32_e32 v0, 28, v4
	v_lshrrev_b32_e32 v3, 3, v1
	v_cmp_gt_u32_e32 vcc, 8, v1
	v_lshlrev_b64 v[0:1], v0, v[30:31]
	v_sub_u32_e32 v1, 29, v4
	v_and_b32_e32 v0, 7, v0
	v_cndmask_b32_e32 v1, v3, v1, vcc
	v_cndmask_b32_e32 v0, v2, v0, vcc
	v_lshlrev_b32_e32 v2, 24, v30
	v_lshlrev_b32_e32 v0, 20, v0
	v_and_b32_e32 v2, 0x80000000, v2
	v_lshl_add_u32 v1, v1, 23, v50
	v_or3_b32 v0, v2, v1, v0
.LBB403_594:                            ;   in Loop: Header=BB403_10 Depth=1
	s_or_b64 exec, exec, s[34:35]
.LBB403_595:                            ;   in Loop: Header=BB403_10 Depth=1
	s_or_b64 exec, exec, s[30:31]
.LBB403_596:                            ;   in Loop: Header=BB403_10 Depth=1
	s_or_b64 exec, exec, s[28:29]
	v_mul_f32_e32 v0, v53, v0
	v_and_b32_e32 v1, 0x7f800000, v0
	v_cmp_ne_u32_e32 vcc, s38, v1
                                        ; implicit-def: $vgpr56
	s_and_saveexec_b64 s[28:29], vcc
	s_xor_b64 s[28:29], exec, s[28:29]
; %bb.597:                              ;   in Loop: Header=BB403_10 Depth=1
	v_bfe_u32 v1, v0, 16, 1
	v_add3_u32 v56, v0, v1, s39
                                        ; implicit-def: $vgpr0
; %bb.598:                              ;   in Loop: Header=BB403_10 Depth=1
	s_andn2_saveexec_b64 s[28:29], s[28:29]
; %bb.599:                              ;   in Loop: Header=BB403_10 Depth=1
	v_or_b32_e32 v1, 0x10000, v0
	v_cmp_eq_u32_sdwa vcc, v0, v49 src0_sel:WORD_0 src1_sel:DWORD
	v_cndmask_b32_e32 v56, v1, v0, vcc
; %bb.600:                              ;   in Loop: Header=BB403_10 Depth=1
	s_or_b64 exec, exec, s[28:29]
	v_cmp_lt_u32_e32 vcc, s40, v28
	v_mov_b32_e32 v0, 0
	s_and_saveexec_b64 s[28:29], vcc
	s_cbranch_execz .LBB403_606
; %bb.601:                              ;   in Loop: Header=BB403_10 Depth=1
	v_lshrrev_b32_e32 v30, 24, v28
	v_cmp_ne_u32_e32 vcc, s21, v30
	v_bfrev_b32_e32 v0, 1
	s_and_saveexec_b64 s[30:31], vcc
	s_cbranch_execz .LBB403_605
; %bb.602:                              ;   in Loop: Header=BB403_10 Depth=1
	v_bfe_u32 v1, v28, 24, 7
	v_cmp_ne_u32_e32 vcc, s37, v1
	v_mov_b32_e32 v0, 0x7f800001
	s_and_saveexec_b64 s[34:35], vcc
	s_cbranch_execz .LBB403_604
; %bb.603:                              ;   in Loop: Header=BB403_10 Depth=1
	v_and_b32_e32 v2, 7, v30
	v_ffbh_u32_e32 v0, v2
	v_min_u32_e32 v4, 32, v0
	v_subrev_u32_e32 v0, 28, v4
	v_lshrrev_b32_e32 v3, 3, v1
	v_cmp_gt_u32_e32 vcc, 8, v1
	v_lshlrev_b64 v[0:1], v0, v[30:31]
	v_sub_u32_e32 v1, 29, v4
	v_and_b32_e32 v0, 7, v0
	v_cndmask_b32_e32 v1, v3, v1, vcc
	v_cndmask_b32_e32 v0, v2, v0, vcc
	v_lshlrev_b32_e32 v2, 24, v30
	v_lshlrev_b32_e32 v0, 20, v0
	v_and_b32_e32 v2, 0x80000000, v2
	v_lshl_add_u32 v1, v1, 23, v50
	v_or3_b32 v0, v2, v1, v0
.LBB403_604:                            ;   in Loop: Header=BB403_10 Depth=1
	s_or_b64 exec, exec, s[34:35]
.LBB403_605:                            ;   in Loop: Header=BB403_10 Depth=1
	s_or_b64 exec, exec, s[30:31]
.LBB403_606:                            ;   in Loop: Header=BB403_10 Depth=1
	s_or_b64 exec, exec, s[28:29]
	v_mul_f32_e32 v0, v53, v0
	v_and_b32_e32 v1, 0x7f800000, v0
	v_cmp_ne_u32_e32 vcc, s38, v1
                                        ; implicit-def: $vgpr57
	s_and_saveexec_b64 s[28:29], vcc
	s_xor_b64 s[28:29], exec, s[28:29]
; %bb.607:                              ;   in Loop: Header=BB403_10 Depth=1
	v_bfe_u32 v1, v0, 16, 1
	v_add3_u32 v57, v0, v1, s39
                                        ; implicit-def: $vgpr0
; %bb.608:                              ;   in Loop: Header=BB403_10 Depth=1
	s_andn2_saveexec_b64 s[28:29], s[28:29]
; %bb.609:                              ;   in Loop: Header=BB403_10 Depth=1
	v_or_b32_e32 v1, 0x10000, v0
	v_cmp_eq_u32_sdwa vcc, v0, v49 src0_sel:WORD_0 src1_sel:DWORD
	v_cndmask_b32_e32 v57, v1, v0, vcc
; %bb.610:                              ;   in Loop: Header=BB403_10 Depth=1
	s_or_b64 exec, exec, s[28:29]
	flat_load_dword v28, v[20:21] offset:3592
	v_mov_b32_e32 v0, 0
	s_waitcnt vmcnt(0) lgkmcnt(0)
	v_cmp_ne_u16_sdwa vcc, v28, v49 src0_sel:BYTE_0 src1_sel:DWORD
	s_and_saveexec_b64 s[28:29], vcc
	s_cbranch_execz .LBB403_616
; %bb.611:                              ;   in Loop: Header=BB403_10 Depth=1
	v_cmp_ne_u16_sdwa vcc, v28, s21 src0_sel:BYTE_0 src1_sel:DWORD
	v_bfrev_b32_e32 v0, 1
	s_and_saveexec_b64 s[30:31], vcc
	s_cbranch_execz .LBB403_615
; %bb.612:                              ;   in Loop: Header=BB403_10 Depth=1
	v_and_b32_e32 v1, 0x7f, v28
	v_cmp_ne_u32_e32 vcc, s37, v1
	v_mov_b32_e32 v0, 0x7f800001
	s_and_saveexec_b64 s[34:35], vcc
	s_cbranch_execz .LBB403_614
; %bb.613:                              ;   in Loop: Header=BB403_10 Depth=1
	v_and_b32_e32 v2, 7, v28
	v_ffbh_u32_e32 v0, v2
	v_min_u32_e32 v4, 32, v0
	v_subrev_u32_e32 v0, 28, v4
	v_lshrrev_b32_e32 v3, 3, v1
	v_cmp_gt_u32_e32 vcc, 8, v1
	v_lshlrev_b64 v[0:1], v0, v[28:29]
	v_sub_u32_e32 v1, 29, v4
	v_and_b32_e32 v0, 7, v0
	v_cndmask_b32_e32 v1, v3, v1, vcc
	v_cndmask_b32_e32 v0, v2, v0, vcc
	v_lshlrev_b32_e32 v2, 24, v28
	v_lshlrev_b32_e32 v0, 20, v0
	v_and_b32_e32 v2, 0x80000000, v2
	v_lshl_add_u32 v1, v1, 23, v50
	v_or3_b32 v0, v2, v1, v0
.LBB403_614:                            ;   in Loop: Header=BB403_10 Depth=1
	s_or_b64 exec, exec, s[34:35]
.LBB403_615:                            ;   in Loop: Header=BB403_10 Depth=1
	s_or_b64 exec, exec, s[30:31]
.LBB403_616:                            ;   in Loop: Header=BB403_10 Depth=1
	s_or_b64 exec, exec, s[28:29]
	v_mul_f32_e32 v0, v53, v0
	v_and_b32_e32 v1, 0x7f800000, v0
	v_cmp_ne_u32_e32 vcc, s38, v1
                                        ; implicit-def: $vgpr58
	s_and_saveexec_b64 s[28:29], vcc
	s_xor_b64 s[28:29], exec, s[28:29]
; %bb.617:                              ;   in Loop: Header=BB403_10 Depth=1
	v_bfe_u32 v1, v0, 16, 1
	v_add3_u32 v58, v0, v1, s39
                                        ; implicit-def: $vgpr0
; %bb.618:                              ;   in Loop: Header=BB403_10 Depth=1
	s_andn2_saveexec_b64 s[28:29], s[28:29]
; %bb.619:                              ;   in Loop: Header=BB403_10 Depth=1
	v_or_b32_e32 v1, 0x10000, v0
	v_cmp_eq_u32_sdwa vcc, v0, v49 src0_sel:WORD_0 src1_sel:DWORD
	v_cndmask_b32_e32 v58, v1, v0, vcc
; %bb.620:                              ;   in Loop: Header=BB403_10 Depth=1
	s_or_b64 exec, exec, s[28:29]
	v_lshrrev_b16_e32 v30, 8, v28
	v_cmp_ne_u16_e32 vcc, 0, v30
	v_mov_b32_e32 v0, 0
	s_and_saveexec_b64 s[28:29], vcc
	s_cbranch_execz .LBB403_626
; %bb.621:                              ;   in Loop: Header=BB403_10 Depth=1
	v_cmp_ne_u16_e32 vcc, s21, v30
	v_bfrev_b32_e32 v0, 1
	s_and_saveexec_b64 s[30:31], vcc
	s_cbranch_execz .LBB403_625
; %bb.622:                              ;   in Loop: Header=BB403_10 Depth=1
	v_and_b32_e32 v1, 0x7f, v30
	v_cmp_ne_u32_e32 vcc, s37, v1
	v_mov_b32_e32 v0, 0x7f800001
	s_and_saveexec_b64 s[34:35], vcc
	s_cbranch_execz .LBB403_624
; %bb.623:                              ;   in Loop: Header=BB403_10 Depth=1
	v_and_b32_e32 v2, 7, v30
	v_ffbh_u32_e32 v0, v2
	v_min_u32_e32 v4, 32, v0
	v_subrev_u32_e32 v0, 28, v4
	v_lshrrev_b32_e32 v3, 3, v1
	v_cmp_gt_u32_e32 vcc, 8, v1
	v_lshlrev_b64 v[0:1], v0, v[30:31]
	v_sub_u32_e32 v1, 29, v4
	v_and_b32_e32 v0, 7, v0
	v_cndmask_b32_e32 v1, v3, v1, vcc
	v_cndmask_b32_e32 v0, v2, v0, vcc
	v_lshlrev_b32_e32 v2, 16, v28
	v_lshlrev_b32_e32 v0, 20, v0
	v_and_b32_e32 v2, 0x80000000, v2
	v_lshl_add_u32 v1, v1, 23, v50
	v_or3_b32 v0, v2, v1, v0
.LBB403_624:                            ;   in Loop: Header=BB403_10 Depth=1
	s_or_b64 exec, exec, s[34:35]
.LBB403_625:                            ;   in Loop: Header=BB403_10 Depth=1
	s_or_b64 exec, exec, s[30:31]
.LBB403_626:                            ;   in Loop: Header=BB403_10 Depth=1
	s_or_b64 exec, exec, s[28:29]
	v_mul_f32_e32 v0, v53, v0
	v_and_b32_e32 v1, 0x7f800000, v0
	v_cmp_ne_u32_e32 vcc, s38, v1
                                        ; implicit-def: $vgpr59
	s_and_saveexec_b64 s[28:29], vcc
	s_xor_b64 s[28:29], exec, s[28:29]
; %bb.627:                              ;   in Loop: Header=BB403_10 Depth=1
	v_bfe_u32 v1, v0, 16, 1
	v_add3_u32 v59, v0, v1, s39
                                        ; implicit-def: $vgpr0
; %bb.628:                              ;   in Loop: Header=BB403_10 Depth=1
	s_andn2_saveexec_b64 s[28:29], s[28:29]
; %bb.629:                              ;   in Loop: Header=BB403_10 Depth=1
	v_or_b32_e32 v1, 0x10000, v0
	v_cmp_eq_u32_sdwa vcc, v0, v49 src0_sel:WORD_0 src1_sel:DWORD
	v_cndmask_b32_e32 v59, v1, v0, vcc
; %bb.630:                              ;   in Loop: Header=BB403_10 Depth=1
	s_or_b64 exec, exec, s[28:29]
	v_lshrrev_b32_e32 v30, 16, v28
	v_cmp_ne_u16_sdwa vcc, v30, v49 src0_sel:BYTE_0 src1_sel:DWORD
	v_mov_b32_e32 v0, 0
	s_and_saveexec_b64 s[28:29], vcc
	s_cbranch_execz .LBB403_636
; %bb.631:                              ;   in Loop: Header=BB403_10 Depth=1
	v_cmp_ne_u16_sdwa vcc, v30, s21 src0_sel:BYTE_0 src1_sel:DWORD
	v_bfrev_b32_e32 v0, 1
	s_and_saveexec_b64 s[30:31], vcc
	s_cbranch_execz .LBB403_635
; %bb.632:                              ;   in Loop: Header=BB403_10 Depth=1
	v_bfe_u32 v1, v28, 16, 7
	v_cmp_ne_u32_e32 vcc, s37, v1
	v_mov_b32_e32 v0, 0x7f800001
	s_and_saveexec_b64 s[34:35], vcc
	s_cbranch_execz .LBB403_634
; %bb.633:                              ;   in Loop: Header=BB403_10 Depth=1
	v_and_b32_e32 v2, 7, v30
	v_ffbh_u32_e32 v0, v2
	v_min_u32_e32 v4, 32, v0
	v_subrev_u32_e32 v0, 28, v4
	v_lshrrev_b32_e32 v3, 3, v1
	v_cmp_gt_u32_e32 vcc, 8, v1
	v_lshlrev_b64 v[0:1], v0, v[30:31]
	v_sub_u32_e32 v1, 29, v4
	v_and_b32_e32 v0, 7, v0
	v_cndmask_b32_e32 v1, v3, v1, vcc
	v_cndmask_b32_e32 v0, v2, v0, vcc
	v_lshlrev_b32_e32 v2, 24, v30
	v_lshlrev_b32_e32 v0, 20, v0
	v_and_b32_e32 v2, 0x80000000, v2
	v_lshl_add_u32 v1, v1, 23, v50
	v_or3_b32 v0, v2, v1, v0
.LBB403_634:                            ;   in Loop: Header=BB403_10 Depth=1
	s_or_b64 exec, exec, s[34:35]
.LBB403_635:                            ;   in Loop: Header=BB403_10 Depth=1
	s_or_b64 exec, exec, s[30:31]
.LBB403_636:                            ;   in Loop: Header=BB403_10 Depth=1
	s_or_b64 exec, exec, s[28:29]
	v_mul_f32_e32 v0, v53, v0
	v_and_b32_e32 v1, 0x7f800000, v0
	v_cmp_ne_u32_e32 vcc, s38, v1
                                        ; implicit-def: $vgpr60
	s_and_saveexec_b64 s[28:29], vcc
	s_xor_b64 s[28:29], exec, s[28:29]
; %bb.637:                              ;   in Loop: Header=BB403_10 Depth=1
	v_bfe_u32 v1, v0, 16, 1
	v_add3_u32 v60, v0, v1, s39
                                        ; implicit-def: $vgpr0
; %bb.638:                              ;   in Loop: Header=BB403_10 Depth=1
	s_andn2_saveexec_b64 s[28:29], s[28:29]
; %bb.639:                              ;   in Loop: Header=BB403_10 Depth=1
	v_or_b32_e32 v1, 0x10000, v0
	v_cmp_eq_u32_sdwa vcc, v0, v49 src0_sel:WORD_0 src1_sel:DWORD
	v_cndmask_b32_e32 v60, v1, v0, vcc
; %bb.640:                              ;   in Loop: Header=BB403_10 Depth=1
	s_or_b64 exec, exec, s[28:29]
	v_cmp_lt_u32_e32 vcc, s40, v28
	v_mov_b32_e32 v0, 0
	s_and_saveexec_b64 s[28:29], vcc
	s_cbranch_execz .LBB403_646
; %bb.641:                              ;   in Loop: Header=BB403_10 Depth=1
	v_lshrrev_b32_e32 v30, 24, v28
	v_cmp_ne_u32_e32 vcc, s21, v30
	v_bfrev_b32_e32 v0, 1
	s_and_saveexec_b64 s[30:31], vcc
	s_cbranch_execz .LBB403_645
; %bb.642:                              ;   in Loop: Header=BB403_10 Depth=1
	v_bfe_u32 v1, v28, 24, 7
	v_cmp_ne_u32_e32 vcc, s37, v1
	v_mov_b32_e32 v0, 0x7f800001
	s_and_saveexec_b64 s[34:35], vcc
	s_cbranch_execz .LBB403_644
; %bb.643:                              ;   in Loop: Header=BB403_10 Depth=1
	v_and_b32_e32 v2, 7, v30
	v_ffbh_u32_e32 v0, v2
	v_min_u32_e32 v4, 32, v0
	v_subrev_u32_e32 v0, 28, v4
	v_lshrrev_b32_e32 v3, 3, v1
	v_cmp_gt_u32_e32 vcc, 8, v1
	v_lshlrev_b64 v[0:1], v0, v[30:31]
	v_sub_u32_e32 v1, 29, v4
	v_and_b32_e32 v0, 7, v0
	v_cndmask_b32_e32 v1, v3, v1, vcc
	v_cndmask_b32_e32 v0, v2, v0, vcc
	v_lshlrev_b32_e32 v2, 24, v30
	v_lshlrev_b32_e32 v0, 20, v0
	v_and_b32_e32 v2, 0x80000000, v2
	v_lshl_add_u32 v1, v1, 23, v50
	v_or3_b32 v0, v2, v1, v0
.LBB403_644:                            ;   in Loop: Header=BB403_10 Depth=1
	s_or_b64 exec, exec, s[34:35]
.LBB403_645:                            ;   in Loop: Header=BB403_10 Depth=1
	s_or_b64 exec, exec, s[30:31]
.LBB403_646:                            ;   in Loop: Header=BB403_10 Depth=1
	s_or_b64 exec, exec, s[28:29]
	v_mul_f32_e32 v0, v53, v0
	v_and_b32_e32 v1, 0x7f800000, v0
	v_cmp_ne_u32_e32 vcc, s38, v1
                                        ; implicit-def: $vgpr61
	s_and_saveexec_b64 s[28:29], vcc
	s_xor_b64 s[28:29], exec, s[28:29]
; %bb.647:                              ;   in Loop: Header=BB403_10 Depth=1
	v_bfe_u32 v1, v0, 16, 1
	v_add3_u32 v61, v0, v1, s39
                                        ; implicit-def: $vgpr0
; %bb.648:                              ;   in Loop: Header=BB403_10 Depth=1
	s_andn2_saveexec_b64 s[28:29], s[28:29]
; %bb.649:                              ;   in Loop: Header=BB403_10 Depth=1
	v_or_b32_e32 v1, 0x10000, v0
	v_cmp_eq_u32_sdwa vcc, v0, v49 src0_sel:WORD_0 src1_sel:DWORD
	v_cndmask_b32_e32 v61, v1, v0, vcc
; %bb.650:                              ;   in Loop: Header=BB403_10 Depth=1
	s_or_b64 exec, exec, s[28:29]
	v_add_co_u32_e32 v0, vcc, 0x1000, v20
	v_addc_co_u32_e32 v1, vcc, 0, v21, vcc
	flat_load_dword v28, v[0:1]
	v_mov_b32_e32 v0, 0
	s_waitcnt vmcnt(0) lgkmcnt(0)
	v_cmp_ne_u16_sdwa vcc, v28, v49 src0_sel:BYTE_0 src1_sel:DWORD
	s_and_saveexec_b64 s[28:29], vcc
	s_cbranch_execz .LBB403_656
; %bb.651:                              ;   in Loop: Header=BB403_10 Depth=1
	v_cmp_ne_u16_sdwa vcc, v28, s21 src0_sel:BYTE_0 src1_sel:DWORD
	v_bfrev_b32_e32 v0, 1
	s_and_saveexec_b64 s[30:31], vcc
	s_cbranch_execz .LBB403_655
; %bb.652:                              ;   in Loop: Header=BB403_10 Depth=1
	v_and_b32_e32 v1, 0x7f, v28
	v_cmp_ne_u32_e32 vcc, s37, v1
	v_mov_b32_e32 v0, 0x7f800001
	s_and_saveexec_b64 s[34:35], vcc
	s_cbranch_execz .LBB403_654
; %bb.653:                              ;   in Loop: Header=BB403_10 Depth=1
	v_and_b32_e32 v2, 7, v28
	v_ffbh_u32_e32 v0, v2
	v_min_u32_e32 v4, 32, v0
	v_subrev_u32_e32 v0, 28, v4
	v_lshrrev_b32_e32 v3, 3, v1
	v_cmp_gt_u32_e32 vcc, 8, v1
	v_lshlrev_b64 v[0:1], v0, v[28:29]
	v_sub_u32_e32 v1, 29, v4
	v_and_b32_e32 v0, 7, v0
	v_cndmask_b32_e32 v1, v3, v1, vcc
	v_cndmask_b32_e32 v0, v2, v0, vcc
	v_lshlrev_b32_e32 v2, 24, v28
	v_lshlrev_b32_e32 v0, 20, v0
	v_and_b32_e32 v2, 0x80000000, v2
	v_lshl_add_u32 v1, v1, 23, v50
	v_or3_b32 v0, v2, v1, v0
.LBB403_654:                            ;   in Loop: Header=BB403_10 Depth=1
	s_or_b64 exec, exec, s[34:35]
.LBB403_655:                            ;   in Loop: Header=BB403_10 Depth=1
	s_or_b64 exec, exec, s[30:31]
.LBB403_656:                            ;   in Loop: Header=BB403_10 Depth=1
	s_or_b64 exec, exec, s[28:29]
	v_mul_f32_e32 v0, v53, v0
	v_and_b32_e32 v1, 0x7f800000, v0
	v_cmp_ne_u32_e32 vcc, s38, v1
                                        ; implicit-def: $vgpr33
	s_and_saveexec_b64 s[28:29], vcc
	s_xor_b64 s[28:29], exec, s[28:29]
; %bb.657:                              ;   in Loop: Header=BB403_10 Depth=1
	v_bfe_u32 v1, v0, 16, 1
	v_add3_u32 v33, v0, v1, s39
                                        ; implicit-def: $vgpr0
; %bb.658:                              ;   in Loop: Header=BB403_10 Depth=1
	s_andn2_saveexec_b64 s[28:29], s[28:29]
; %bb.659:                              ;   in Loop: Header=BB403_10 Depth=1
	v_or_b32_e32 v1, 0x10000, v0
	v_cmp_eq_u32_sdwa vcc, v0, v49 src0_sel:WORD_0 src1_sel:DWORD
	v_cndmask_b32_e32 v33, v1, v0, vcc
; %bb.660:                              ;   in Loop: Header=BB403_10 Depth=1
	s_or_b64 exec, exec, s[28:29]
	v_lshrrev_b16_e32 v30, 8, v28
	v_cmp_ne_u16_e32 vcc, 0, v30
	v_mov_b32_e32 v0, 0
	s_and_saveexec_b64 s[28:29], vcc
	s_cbranch_execz .LBB403_666
; %bb.661:                              ;   in Loop: Header=BB403_10 Depth=1
	v_cmp_ne_u16_e32 vcc, s21, v30
	v_bfrev_b32_e32 v0, 1
	s_and_saveexec_b64 s[30:31], vcc
	s_cbranch_execz .LBB403_665
; %bb.662:                              ;   in Loop: Header=BB403_10 Depth=1
	v_and_b32_e32 v1, 0x7f, v30
	v_cmp_ne_u32_e32 vcc, s37, v1
	v_mov_b32_e32 v0, 0x7f800001
	s_and_saveexec_b64 s[34:35], vcc
	s_cbranch_execz .LBB403_664
; %bb.663:                              ;   in Loop: Header=BB403_10 Depth=1
	v_and_b32_e32 v2, 7, v30
	v_ffbh_u32_e32 v0, v2
	v_min_u32_e32 v4, 32, v0
	v_subrev_u32_e32 v0, 28, v4
	v_lshrrev_b32_e32 v3, 3, v1
	v_cmp_gt_u32_e32 vcc, 8, v1
	v_lshlrev_b64 v[0:1], v0, v[30:31]
	v_sub_u32_e32 v1, 29, v4
	v_and_b32_e32 v0, 7, v0
	v_cndmask_b32_e32 v1, v3, v1, vcc
	v_cndmask_b32_e32 v0, v2, v0, vcc
	v_lshlrev_b32_e32 v2, 16, v28
	v_lshlrev_b32_e32 v0, 20, v0
	v_and_b32_e32 v2, 0x80000000, v2
	v_lshl_add_u32 v1, v1, 23, v50
	v_or3_b32 v0, v2, v1, v0
.LBB403_664:                            ;   in Loop: Header=BB403_10 Depth=1
	s_or_b64 exec, exec, s[34:35]
.LBB403_665:                            ;   in Loop: Header=BB403_10 Depth=1
	s_or_b64 exec, exec, s[30:31]
.LBB403_666:                            ;   in Loop: Header=BB403_10 Depth=1
	s_or_b64 exec, exec, s[28:29]
	v_mul_f32_e32 v0, v53, v0
	v_and_b32_e32 v1, 0x7f800000, v0
	v_cmp_ne_u32_e32 vcc, s38, v1
                                        ; implicit-def: $vgpr4
	s_and_saveexec_b64 s[28:29], vcc
	s_xor_b64 s[28:29], exec, s[28:29]
; %bb.667:                              ;   in Loop: Header=BB403_10 Depth=1
	v_bfe_u32 v1, v0, 16, 1
	v_add3_u32 v4, v0, v1, s39
                                        ; implicit-def: $vgpr0
; %bb.668:                              ;   in Loop: Header=BB403_10 Depth=1
	s_andn2_saveexec_b64 s[28:29], s[28:29]
; %bb.669:                              ;   in Loop: Header=BB403_10 Depth=1
	v_or_b32_e32 v1, 0x10000, v0
	v_cmp_eq_u32_sdwa vcc, v0, v49 src0_sel:WORD_0 src1_sel:DWORD
	v_cndmask_b32_e32 v4, v1, v0, vcc
; %bb.670:                              ;   in Loop: Header=BB403_10 Depth=1
	s_or_b64 exec, exec, s[28:29]
	v_lshrrev_b32_e32 v30, 16, v28
	v_cmp_ne_u16_sdwa vcc, v30, v49 src0_sel:BYTE_0 src1_sel:DWORD
	v_mov_b32_e32 v0, 0
	s_and_saveexec_b64 s[28:29], vcc
	s_cbranch_execz .LBB403_676
; %bb.671:                              ;   in Loop: Header=BB403_10 Depth=1
	v_cmp_ne_u16_sdwa vcc, v30, s21 src0_sel:BYTE_0 src1_sel:DWORD
	v_bfrev_b32_e32 v0, 1
	s_and_saveexec_b64 s[30:31], vcc
	s_cbranch_execz .LBB403_675
; %bb.672:                              ;   in Loop: Header=BB403_10 Depth=1
	v_bfe_u32 v1, v28, 16, 7
	v_cmp_ne_u32_e32 vcc, s37, v1
	v_mov_b32_e32 v0, 0x7f800001
	s_and_saveexec_b64 s[34:35], vcc
	s_cbranch_execz .LBB403_674
; %bb.673:                              ;   in Loop: Header=BB403_10 Depth=1
	v_and_b32_e32 v2, 7, v30
	v_ffbh_u32_e32 v0, v2
	v_min_u32_e32 v5, 32, v0
	v_subrev_u32_e32 v0, 28, v5
	v_lshrrev_b32_e32 v3, 3, v1
	v_cmp_gt_u32_e32 vcc, 8, v1
	v_lshlrev_b64 v[0:1], v0, v[30:31]
	v_sub_u32_e32 v1, 29, v5
	v_and_b32_e32 v0, 7, v0
	v_cndmask_b32_e32 v1, v3, v1, vcc
	v_cndmask_b32_e32 v0, v2, v0, vcc
	v_lshlrev_b32_e32 v2, 24, v30
	v_lshlrev_b32_e32 v0, 20, v0
	v_and_b32_e32 v2, 0x80000000, v2
	v_lshl_add_u32 v1, v1, 23, v50
	v_or3_b32 v0, v2, v1, v0
.LBB403_674:                            ;   in Loop: Header=BB403_10 Depth=1
	s_or_b64 exec, exec, s[34:35]
.LBB403_675:                            ;   in Loop: Header=BB403_10 Depth=1
	s_or_b64 exec, exec, s[30:31]
.LBB403_676:                            ;   in Loop: Header=BB403_10 Depth=1
	s_or_b64 exec, exec, s[28:29]
	v_mul_f32_e32 v0, v53, v0
	v_and_b32_e32 v1, 0x7f800000, v0
	v_cmp_ne_u32_e32 vcc, s38, v1
                                        ; implicit-def: $vgpr32
	s_and_saveexec_b64 s[28:29], vcc
	s_xor_b64 s[28:29], exec, s[28:29]
; %bb.677:                              ;   in Loop: Header=BB403_10 Depth=1
	v_bfe_u32 v1, v0, 16, 1
	v_add3_u32 v32, v0, v1, s39
                                        ; implicit-def: $vgpr0
; %bb.678:                              ;   in Loop: Header=BB403_10 Depth=1
	s_andn2_saveexec_b64 s[28:29], s[28:29]
; %bb.679:                              ;   in Loop: Header=BB403_10 Depth=1
	v_or_b32_e32 v1, 0x10000, v0
	v_cmp_eq_u32_sdwa vcc, v0, v49 src0_sel:WORD_0 src1_sel:DWORD
	v_cndmask_b32_e32 v32, v1, v0, vcc
; %bb.680:                              ;   in Loop: Header=BB403_10 Depth=1
	s_or_b64 exec, exec, s[28:29]
	v_cmp_lt_u32_e32 vcc, s40, v28
	v_mov_b32_e32 v0, 0
	s_and_saveexec_b64 s[28:29], vcc
	s_cbranch_execz .LBB403_686
; %bb.681:                              ;   in Loop: Header=BB403_10 Depth=1
	v_lshrrev_b32_e32 v30, 24, v28
	v_cmp_ne_u32_e32 vcc, s21, v30
	v_bfrev_b32_e32 v0, 1
	s_and_saveexec_b64 s[30:31], vcc
	s_cbranch_execz .LBB403_685
; %bb.682:                              ;   in Loop: Header=BB403_10 Depth=1
	v_bfe_u32 v1, v28, 24, 7
	v_cmp_ne_u32_e32 vcc, s37, v1
	v_mov_b32_e32 v0, 0x7f800001
	s_and_saveexec_b64 s[34:35], vcc
	s_cbranch_execz .LBB403_684
; %bb.683:                              ;   in Loop: Header=BB403_10 Depth=1
	v_and_b32_e32 v2, 7, v30
	v_ffbh_u32_e32 v0, v2
	v_min_u32_e32 v5, 32, v0
	v_subrev_u32_e32 v0, 28, v5
	v_lshrrev_b32_e32 v3, 3, v1
	v_cmp_gt_u32_e32 vcc, 8, v1
	v_lshlrev_b64 v[0:1], v0, v[30:31]
	v_sub_u32_e32 v1, 29, v5
	v_and_b32_e32 v0, 7, v0
	v_cndmask_b32_e32 v1, v3, v1, vcc
	v_cndmask_b32_e32 v0, v2, v0, vcc
	v_lshlrev_b32_e32 v2, 24, v30
	v_lshlrev_b32_e32 v0, 20, v0
	v_and_b32_e32 v2, 0x80000000, v2
	v_lshl_add_u32 v1, v1, 23, v50
	v_or3_b32 v0, v2, v1, v0
.LBB403_684:                            ;   in Loop: Header=BB403_10 Depth=1
	s_or_b64 exec, exec, s[34:35]
.LBB403_685:                            ;   in Loop: Header=BB403_10 Depth=1
	s_or_b64 exec, exec, s[30:31]
.LBB403_686:                            ;   in Loop: Header=BB403_10 Depth=1
	s_or_b64 exec, exec, s[28:29]
	v_mul_f32_e32 v0, v53, v0
	v_and_b32_e32 v1, 0x7f800000, v0
	v_cmp_ne_u32_e32 vcc, s38, v1
                                        ; implicit-def: $vgpr6
	s_and_saveexec_b64 s[28:29], vcc
	s_xor_b64 s[28:29], exec, s[28:29]
; %bb.687:                              ;   in Loop: Header=BB403_10 Depth=1
	v_bfe_u32 v1, v0, 16, 1
	v_add3_u32 v6, v0, v1, s39
                                        ; implicit-def: $vgpr0
; %bb.688:                              ;   in Loop: Header=BB403_10 Depth=1
	s_andn2_saveexec_b64 s[28:29], s[28:29]
; %bb.689:                              ;   in Loop: Header=BB403_10 Depth=1
	v_or_b32_e32 v1, 0x10000, v0
	v_cmp_eq_u32_sdwa vcc, v0, v49 src0_sel:WORD_0 src1_sel:DWORD
	v_cndmask_b32_e32 v6, v1, v0, vcc
; %bb.690:                              ;   in Loop: Header=BB403_10 Depth=1
	s_or_b64 exec, exec, s[28:29]
	v_add_co_u32_e32 v0, vcc, 0x1000, v20
	v_addc_co_u32_e32 v1, vcc, 0, v21, vcc
	flat_load_dword v28, v[0:1] offset:8
	v_mov_b32_e32 v0, 0
	s_waitcnt vmcnt(0) lgkmcnt(0)
	v_cmp_ne_u16_sdwa vcc, v28, v49 src0_sel:BYTE_0 src1_sel:DWORD
	s_and_saveexec_b64 s[28:29], vcc
	s_cbranch_execz .LBB403_696
; %bb.691:                              ;   in Loop: Header=BB403_10 Depth=1
	v_cmp_ne_u16_sdwa vcc, v28, s21 src0_sel:BYTE_0 src1_sel:DWORD
	v_bfrev_b32_e32 v0, 1
	s_and_saveexec_b64 s[30:31], vcc
	s_cbranch_execz .LBB403_695
; %bb.692:                              ;   in Loop: Header=BB403_10 Depth=1
	v_and_b32_e32 v1, 0x7f, v28
	v_cmp_ne_u32_e32 vcc, s37, v1
	v_mov_b32_e32 v0, 0x7f800001
	s_and_saveexec_b64 s[34:35], vcc
	s_cbranch_execz .LBB403_694
; %bb.693:                              ;   in Loop: Header=BB403_10 Depth=1
	v_and_b32_e32 v2, 7, v28
	v_ffbh_u32_e32 v0, v2
	v_min_u32_e32 v5, 32, v0
	v_subrev_u32_e32 v0, 28, v5
	v_lshrrev_b32_e32 v3, 3, v1
	v_cmp_gt_u32_e32 vcc, 8, v1
	v_lshlrev_b64 v[0:1], v0, v[28:29]
	v_sub_u32_e32 v1, 29, v5
	v_and_b32_e32 v0, 7, v0
	v_cndmask_b32_e32 v1, v3, v1, vcc
	v_cndmask_b32_e32 v0, v2, v0, vcc
	v_lshlrev_b32_e32 v2, 24, v28
	v_lshlrev_b32_e32 v0, 20, v0
	v_and_b32_e32 v2, 0x80000000, v2
	v_lshl_add_u32 v1, v1, 23, v50
	v_or3_b32 v0, v2, v1, v0
.LBB403_694:                            ;   in Loop: Header=BB403_10 Depth=1
	s_or_b64 exec, exec, s[34:35]
.LBB403_695:                            ;   in Loop: Header=BB403_10 Depth=1
	s_or_b64 exec, exec, s[30:31]
.LBB403_696:                            ;   in Loop: Header=BB403_10 Depth=1
	s_or_b64 exec, exec, s[28:29]
	v_mul_f32_e32 v0, v53, v0
	v_and_b32_e32 v1, 0x7f800000, v0
	v_cmp_ne_u32_e32 vcc, s38, v1
                                        ; implicit-def: $vgpr7
	s_and_saveexec_b64 s[28:29], vcc
	s_xor_b64 s[28:29], exec, s[28:29]
; %bb.697:                              ;   in Loop: Header=BB403_10 Depth=1
	v_bfe_u32 v1, v0, 16, 1
	v_add3_u32 v7, v0, v1, s39
                                        ; implicit-def: $vgpr0
; %bb.698:                              ;   in Loop: Header=BB403_10 Depth=1
	s_andn2_saveexec_b64 s[28:29], s[28:29]
; %bb.699:                              ;   in Loop: Header=BB403_10 Depth=1
	v_or_b32_e32 v1, 0x10000, v0
	v_cmp_eq_u32_sdwa vcc, v0, v49 src0_sel:WORD_0 src1_sel:DWORD
	v_cndmask_b32_e32 v7, v1, v0, vcc
; %bb.700:                              ;   in Loop: Header=BB403_10 Depth=1
	s_or_b64 exec, exec, s[28:29]
	v_lshrrev_b16_e32 v30, 8, v28
	v_cmp_ne_u16_e32 vcc, 0, v30
	v_mov_b32_e32 v0, 0
	s_and_saveexec_b64 s[28:29], vcc
	s_cbranch_execz .LBB403_706
; %bb.701:                              ;   in Loop: Header=BB403_10 Depth=1
	v_cmp_ne_u16_e32 vcc, s21, v30
	v_bfrev_b32_e32 v0, 1
	s_and_saveexec_b64 s[30:31], vcc
	s_cbranch_execz .LBB403_705
; %bb.702:                              ;   in Loop: Header=BB403_10 Depth=1
	v_and_b32_e32 v1, 0x7f, v30
	v_cmp_ne_u32_e32 vcc, s37, v1
	v_mov_b32_e32 v0, 0x7f800001
	s_and_saveexec_b64 s[34:35], vcc
	s_cbranch_execz .LBB403_704
; %bb.703:                              ;   in Loop: Header=BB403_10 Depth=1
	v_and_b32_e32 v2, 7, v30
	v_ffbh_u32_e32 v0, v2
	v_min_u32_e32 v5, 32, v0
	v_subrev_u32_e32 v0, 28, v5
	v_lshrrev_b32_e32 v3, 3, v1
	v_cmp_gt_u32_e32 vcc, 8, v1
	v_lshlrev_b64 v[0:1], v0, v[30:31]
	v_sub_u32_e32 v1, 29, v5
	v_and_b32_e32 v0, 7, v0
	v_cndmask_b32_e32 v1, v3, v1, vcc
	v_cndmask_b32_e32 v0, v2, v0, vcc
	v_lshlrev_b32_e32 v2, 16, v28
	v_lshlrev_b32_e32 v0, 20, v0
	v_and_b32_e32 v2, 0x80000000, v2
	v_lshl_add_u32 v1, v1, 23, v50
	v_or3_b32 v0, v2, v1, v0
.LBB403_704:                            ;   in Loop: Header=BB403_10 Depth=1
	s_or_b64 exec, exec, s[34:35]
.LBB403_705:                            ;   in Loop: Header=BB403_10 Depth=1
	s_or_b64 exec, exec, s[30:31]
.LBB403_706:                            ;   in Loop: Header=BB403_10 Depth=1
	s_or_b64 exec, exec, s[28:29]
	v_mul_f32_e32 v0, v53, v0
	v_and_b32_e32 v1, 0x7f800000, v0
	v_cmp_ne_u32_e32 vcc, s38, v1
                                        ; implicit-def: $vgpr23
	s_and_saveexec_b64 s[28:29], vcc
	s_xor_b64 s[28:29], exec, s[28:29]
; %bb.707:                              ;   in Loop: Header=BB403_10 Depth=1
	v_bfe_u32 v1, v0, 16, 1
	v_add3_u32 v23, v0, v1, s39
                                        ; implicit-def: $vgpr0
; %bb.708:                              ;   in Loop: Header=BB403_10 Depth=1
	s_andn2_saveexec_b64 s[28:29], s[28:29]
; %bb.709:                              ;   in Loop: Header=BB403_10 Depth=1
	v_or_b32_e32 v1, 0x10000, v0
	v_cmp_eq_u32_sdwa vcc, v0, v49 src0_sel:WORD_0 src1_sel:DWORD
	v_cndmask_b32_e32 v23, v1, v0, vcc
; %bb.710:                              ;   in Loop: Header=BB403_10 Depth=1
	s_or_b64 exec, exec, s[28:29]
	v_lshrrev_b32_e32 v30, 16, v28
	v_cmp_ne_u16_sdwa vcc, v30, v49 src0_sel:BYTE_0 src1_sel:DWORD
	v_mov_b32_e32 v0, 0
	s_and_saveexec_b64 s[28:29], vcc
	s_cbranch_execz .LBB403_716
; %bb.711:                              ;   in Loop: Header=BB403_10 Depth=1
	v_cmp_ne_u16_sdwa vcc, v30, s21 src0_sel:BYTE_0 src1_sel:DWORD
	v_bfrev_b32_e32 v0, 1
	s_and_saveexec_b64 s[30:31], vcc
	s_cbranch_execz .LBB403_715
; %bb.712:                              ;   in Loop: Header=BB403_10 Depth=1
	v_bfe_u32 v1, v28, 16, 7
	v_cmp_ne_u32_e32 vcc, s37, v1
	v_mov_b32_e32 v0, 0x7f800001
	s_and_saveexec_b64 s[34:35], vcc
	s_cbranch_execz .LBB403_714
; %bb.713:                              ;   in Loop: Header=BB403_10 Depth=1
	v_and_b32_e32 v2, 7, v30
	v_ffbh_u32_e32 v0, v2
	v_min_u32_e32 v5, 32, v0
	v_subrev_u32_e32 v0, 28, v5
	v_lshrrev_b32_e32 v3, 3, v1
	v_cmp_gt_u32_e32 vcc, 8, v1
	v_lshlrev_b64 v[0:1], v0, v[30:31]
	v_sub_u32_e32 v1, 29, v5
	v_and_b32_e32 v0, 7, v0
	v_cndmask_b32_e32 v1, v3, v1, vcc
	v_cndmask_b32_e32 v0, v2, v0, vcc
	v_lshlrev_b32_e32 v2, 24, v30
	v_lshlrev_b32_e32 v0, 20, v0
	v_and_b32_e32 v2, 0x80000000, v2
	v_lshl_add_u32 v1, v1, 23, v50
	v_or3_b32 v0, v2, v1, v0
.LBB403_714:                            ;   in Loop: Header=BB403_10 Depth=1
	s_or_b64 exec, exec, s[34:35]
.LBB403_715:                            ;   in Loop: Header=BB403_10 Depth=1
	s_or_b64 exec, exec, s[30:31]
.LBB403_716:                            ;   in Loop: Header=BB403_10 Depth=1
	s_or_b64 exec, exec, s[28:29]
	v_mul_f32_e32 v0, v53, v0
	v_and_b32_e32 v1, 0x7f800000, v0
	v_cmp_ne_u32_e32 vcc, s38, v1
                                        ; implicit-def: $vgpr5
	s_and_saveexec_b64 s[28:29], vcc
	s_xor_b64 s[28:29], exec, s[28:29]
; %bb.717:                              ;   in Loop: Header=BB403_10 Depth=1
	v_bfe_u32 v1, v0, 16, 1
	v_add3_u32 v5, v0, v1, s39
                                        ; implicit-def: $vgpr0
; %bb.718:                              ;   in Loop: Header=BB403_10 Depth=1
	s_andn2_saveexec_b64 s[28:29], s[28:29]
; %bb.719:                              ;   in Loop: Header=BB403_10 Depth=1
	v_or_b32_e32 v1, 0x10000, v0
	v_cmp_eq_u32_sdwa vcc, v0, v49 src0_sel:WORD_0 src1_sel:DWORD
	v_cndmask_b32_e32 v5, v1, v0, vcc
; %bb.720:                              ;   in Loop: Header=BB403_10 Depth=1
	s_or_b64 exec, exec, s[28:29]
	v_cmp_lt_u32_e32 vcc, s40, v28
	v_mov_b32_e32 v0, 0
	s_and_saveexec_b64 s[28:29], vcc
	s_cbranch_execz .LBB403_726
; %bb.721:                              ;   in Loop: Header=BB403_10 Depth=1
	v_lshrrev_b32_e32 v30, 24, v28
	v_cmp_ne_u32_e32 vcc, s21, v30
	v_bfrev_b32_e32 v0, 1
	s_and_saveexec_b64 s[30:31], vcc
	s_cbranch_execz .LBB403_725
; %bb.722:                              ;   in Loop: Header=BB403_10 Depth=1
	v_bfe_u32 v1, v28, 24, 7
	v_cmp_ne_u32_e32 vcc, s37, v1
	v_mov_b32_e32 v0, 0x7f800001
	s_and_saveexec_b64 s[34:35], vcc
	s_cbranch_execz .LBB403_724
; %bb.723:                              ;   in Loop: Header=BB403_10 Depth=1
	v_and_b32_e32 v2, 7, v30
	v_ffbh_u32_e32 v0, v2
	v_min_u32_e32 v8, 32, v0
	v_subrev_u32_e32 v0, 28, v8
	v_lshrrev_b32_e32 v3, 3, v1
	v_cmp_gt_u32_e32 vcc, 8, v1
	v_lshlrev_b64 v[0:1], v0, v[30:31]
	v_sub_u32_e32 v1, 29, v8
	v_and_b32_e32 v0, 7, v0
	v_cndmask_b32_e32 v1, v3, v1, vcc
	v_cndmask_b32_e32 v0, v2, v0, vcc
	v_lshlrev_b32_e32 v2, 24, v30
	v_lshlrev_b32_e32 v0, 20, v0
	v_and_b32_e32 v2, 0x80000000, v2
	v_lshl_add_u32 v1, v1, 23, v50
	v_or3_b32 v0, v2, v1, v0
.LBB403_724:                            ;   in Loop: Header=BB403_10 Depth=1
	s_or_b64 exec, exec, s[34:35]
.LBB403_725:                            ;   in Loop: Header=BB403_10 Depth=1
	s_or_b64 exec, exec, s[30:31]
.LBB403_726:                            ;   in Loop: Header=BB403_10 Depth=1
	s_or_b64 exec, exec, s[28:29]
	v_mul_f32_e32 v0, v53, v0
	v_and_b32_e32 v1, 0x7f800000, v0
	v_cmp_ne_u32_e32 vcc, s38, v1
                                        ; implicit-def: $vgpr11
	s_and_saveexec_b64 s[28:29], vcc
	s_xor_b64 s[28:29], exec, s[28:29]
; %bb.727:                              ;   in Loop: Header=BB403_10 Depth=1
	v_bfe_u32 v1, v0, 16, 1
	v_add3_u32 v11, v0, v1, s39
                                        ; implicit-def: $vgpr0
; %bb.728:                              ;   in Loop: Header=BB403_10 Depth=1
	s_andn2_saveexec_b64 s[28:29], s[28:29]
; %bb.729:                              ;   in Loop: Header=BB403_10 Depth=1
	v_or_b32_e32 v1, 0x10000, v0
	v_cmp_eq_u32_sdwa vcc, v0, v49 src0_sel:WORD_0 src1_sel:DWORD
	v_cndmask_b32_e32 v11, v1, v0, vcc
; %bb.730:                              ;   in Loop: Header=BB403_10 Depth=1
	s_or_b64 exec, exec, s[28:29]
	v_add_co_u32_e32 v0, vcc, 0x1000, v20
	v_addc_co_u32_e32 v1, vcc, 0, v21, vcc
	flat_load_dword v28, v[0:1] offset:512
	v_mov_b32_e32 v0, 0
	s_waitcnt vmcnt(0) lgkmcnt(0)
	v_cmp_ne_u16_sdwa vcc, v28, v49 src0_sel:BYTE_0 src1_sel:DWORD
	s_and_saveexec_b64 s[28:29], vcc
	s_cbranch_execz .LBB403_736
; %bb.731:                              ;   in Loop: Header=BB403_10 Depth=1
	v_cmp_ne_u16_sdwa vcc, v28, s21 src0_sel:BYTE_0 src1_sel:DWORD
	v_bfrev_b32_e32 v0, 1
	s_and_saveexec_b64 s[30:31], vcc
	s_cbranch_execz .LBB403_735
; %bb.732:                              ;   in Loop: Header=BB403_10 Depth=1
	v_and_b32_e32 v1, 0x7f, v28
	v_cmp_ne_u32_e32 vcc, s37, v1
	v_mov_b32_e32 v0, 0x7f800001
	s_and_saveexec_b64 s[34:35], vcc
	s_cbranch_execz .LBB403_734
; %bb.733:                              ;   in Loop: Header=BB403_10 Depth=1
	v_and_b32_e32 v2, 7, v28
	v_ffbh_u32_e32 v0, v2
	v_min_u32_e32 v8, 32, v0
	v_subrev_u32_e32 v0, 28, v8
	v_lshrrev_b32_e32 v3, 3, v1
	v_cmp_gt_u32_e32 vcc, 8, v1
	v_lshlrev_b64 v[0:1], v0, v[28:29]
	v_sub_u32_e32 v1, 29, v8
	v_and_b32_e32 v0, 7, v0
	v_cndmask_b32_e32 v1, v3, v1, vcc
	v_cndmask_b32_e32 v0, v2, v0, vcc
	v_lshlrev_b32_e32 v2, 24, v28
	v_lshlrev_b32_e32 v0, 20, v0
	v_and_b32_e32 v2, 0x80000000, v2
	v_lshl_add_u32 v1, v1, 23, v50
	v_or3_b32 v0, v2, v1, v0
.LBB403_734:                            ;   in Loop: Header=BB403_10 Depth=1
	s_or_b64 exec, exec, s[34:35]
.LBB403_735:                            ;   in Loop: Header=BB403_10 Depth=1
	s_or_b64 exec, exec, s[30:31]
.LBB403_736:                            ;   in Loop: Header=BB403_10 Depth=1
	s_or_b64 exec, exec, s[28:29]
	v_mul_f32_e32 v0, v53, v0
	v_and_b32_e32 v1, 0x7f800000, v0
	v_cmp_ne_u32_e32 vcc, s38, v1
                                        ; implicit-def: $vgpr10
	s_and_saveexec_b64 s[28:29], vcc
	s_xor_b64 s[28:29], exec, s[28:29]
; %bb.737:                              ;   in Loop: Header=BB403_10 Depth=1
	v_bfe_u32 v1, v0, 16, 1
	v_add3_u32 v10, v0, v1, s39
                                        ; implicit-def: $vgpr0
; %bb.738:                              ;   in Loop: Header=BB403_10 Depth=1
	s_andn2_saveexec_b64 s[28:29], s[28:29]
; %bb.739:                              ;   in Loop: Header=BB403_10 Depth=1
	v_or_b32_e32 v1, 0x10000, v0
	v_cmp_eq_u32_sdwa vcc, v0, v49 src0_sel:WORD_0 src1_sel:DWORD
	v_cndmask_b32_e32 v10, v1, v0, vcc
; %bb.740:                              ;   in Loop: Header=BB403_10 Depth=1
	s_or_b64 exec, exec, s[28:29]
	v_lshrrev_b16_e32 v30, 8, v28
	v_cmp_ne_u16_e32 vcc, 0, v30
	v_mov_b32_e32 v0, 0
	s_and_saveexec_b64 s[28:29], vcc
	s_cbranch_execz .LBB403_746
; %bb.741:                              ;   in Loop: Header=BB403_10 Depth=1
	v_cmp_ne_u16_e32 vcc, s21, v30
	v_bfrev_b32_e32 v0, 1
	s_and_saveexec_b64 s[30:31], vcc
	s_cbranch_execz .LBB403_745
; %bb.742:                              ;   in Loop: Header=BB403_10 Depth=1
	v_and_b32_e32 v1, 0x7f, v30
	v_cmp_ne_u32_e32 vcc, s37, v1
	v_mov_b32_e32 v0, 0x7f800001
	s_and_saveexec_b64 s[34:35], vcc
	s_cbranch_execz .LBB403_744
; %bb.743:                              ;   in Loop: Header=BB403_10 Depth=1
	v_and_b32_e32 v2, 7, v30
	v_ffbh_u32_e32 v0, v2
	v_min_u32_e32 v8, 32, v0
	v_subrev_u32_e32 v0, 28, v8
	v_lshrrev_b32_e32 v3, 3, v1
	v_cmp_gt_u32_e32 vcc, 8, v1
	v_lshlrev_b64 v[0:1], v0, v[30:31]
	v_sub_u32_e32 v1, 29, v8
	v_and_b32_e32 v0, 7, v0
	v_cndmask_b32_e32 v1, v3, v1, vcc
	v_cndmask_b32_e32 v0, v2, v0, vcc
	v_lshlrev_b32_e32 v2, 16, v28
	v_lshlrev_b32_e32 v0, 20, v0
	v_and_b32_e32 v2, 0x80000000, v2
	v_lshl_add_u32 v1, v1, 23, v50
	v_or3_b32 v0, v2, v1, v0
.LBB403_744:                            ;   in Loop: Header=BB403_10 Depth=1
	s_or_b64 exec, exec, s[34:35]
.LBB403_745:                            ;   in Loop: Header=BB403_10 Depth=1
	s_or_b64 exec, exec, s[30:31]
.LBB403_746:                            ;   in Loop: Header=BB403_10 Depth=1
	s_or_b64 exec, exec, s[28:29]
	v_mul_f32_e32 v0, v53, v0
	v_and_b32_e32 v1, 0x7f800000, v0
	v_cmp_ne_u32_e32 vcc, s38, v1
                                        ; implicit-def: $vgpr62
	s_and_saveexec_b64 s[28:29], vcc
	s_xor_b64 s[28:29], exec, s[28:29]
; %bb.747:                              ;   in Loop: Header=BB403_10 Depth=1
	v_bfe_u32 v1, v0, 16, 1
	v_add3_u32 v62, v0, v1, s39
                                        ; implicit-def: $vgpr0
; %bb.748:                              ;   in Loop: Header=BB403_10 Depth=1
	s_andn2_saveexec_b64 s[28:29], s[28:29]
; %bb.749:                              ;   in Loop: Header=BB403_10 Depth=1
	v_or_b32_e32 v1, 0x10000, v0
	v_cmp_eq_u32_sdwa vcc, v0, v49 src0_sel:WORD_0 src1_sel:DWORD
	v_cndmask_b32_e32 v62, v1, v0, vcc
; %bb.750:                              ;   in Loop: Header=BB403_10 Depth=1
	s_or_b64 exec, exec, s[28:29]
	v_lshrrev_b32_e32 v30, 16, v28
	v_cmp_ne_u16_sdwa vcc, v30, v49 src0_sel:BYTE_0 src1_sel:DWORD
	v_mov_b32_e32 v0, 0
	s_and_saveexec_b64 s[28:29], vcc
	s_cbranch_execz .LBB403_756
; %bb.751:                              ;   in Loop: Header=BB403_10 Depth=1
	v_cmp_ne_u16_sdwa vcc, v30, s21 src0_sel:BYTE_0 src1_sel:DWORD
	v_bfrev_b32_e32 v0, 1
	s_and_saveexec_b64 s[30:31], vcc
	s_cbranch_execz .LBB403_755
; %bb.752:                              ;   in Loop: Header=BB403_10 Depth=1
	v_bfe_u32 v1, v28, 16, 7
	v_cmp_ne_u32_e32 vcc, s37, v1
	v_mov_b32_e32 v0, 0x7f800001
	s_and_saveexec_b64 s[34:35], vcc
	s_cbranch_execz .LBB403_754
; %bb.753:                              ;   in Loop: Header=BB403_10 Depth=1
	v_and_b32_e32 v2, 7, v30
	v_ffbh_u32_e32 v0, v2
	v_min_u32_e32 v8, 32, v0
	v_subrev_u32_e32 v0, 28, v8
	v_lshrrev_b32_e32 v3, 3, v1
	v_cmp_gt_u32_e32 vcc, 8, v1
	v_lshlrev_b64 v[0:1], v0, v[30:31]
	v_sub_u32_e32 v1, 29, v8
	v_and_b32_e32 v0, 7, v0
	v_cndmask_b32_e32 v1, v3, v1, vcc
	v_cndmask_b32_e32 v0, v2, v0, vcc
	v_lshlrev_b32_e32 v2, 24, v30
	v_lshlrev_b32_e32 v0, 20, v0
	v_and_b32_e32 v2, 0x80000000, v2
	v_lshl_add_u32 v1, v1, 23, v50
	v_or3_b32 v0, v2, v1, v0
.LBB403_754:                            ;   in Loop: Header=BB403_10 Depth=1
	s_or_b64 exec, exec, s[34:35]
.LBB403_755:                            ;   in Loop: Header=BB403_10 Depth=1
	s_or_b64 exec, exec, s[30:31]
.LBB403_756:                            ;   in Loop: Header=BB403_10 Depth=1
	s_or_b64 exec, exec, s[28:29]
	v_mul_f32_e32 v0, v53, v0
	v_and_b32_e32 v1, 0x7f800000, v0
	v_cmp_ne_u32_e32 vcc, s38, v1
                                        ; implicit-def: $vgpr1
	s_and_saveexec_b64 s[28:29], vcc
	s_xor_b64 s[28:29], exec, s[28:29]
; %bb.757:                              ;   in Loop: Header=BB403_10 Depth=1
	v_bfe_u32 v1, v0, 16, 1
	v_add3_u32 v1, v0, v1, s39
                                        ; implicit-def: $vgpr0
; %bb.758:                              ;   in Loop: Header=BB403_10 Depth=1
	s_andn2_saveexec_b64 s[28:29], s[28:29]
; %bb.759:                              ;   in Loop: Header=BB403_10 Depth=1
	v_or_b32_e32 v1, 0x10000, v0
	v_cmp_eq_u32_sdwa vcc, v0, v49 src0_sel:WORD_0 src1_sel:DWORD
	v_cndmask_b32_e32 v1, v1, v0, vcc
; %bb.760:                              ;   in Loop: Header=BB403_10 Depth=1
	s_or_b64 exec, exec, s[28:29]
	v_cmp_lt_u32_e32 vcc, s40, v28
	v_mov_b32_e32 v0, 0
	s_and_saveexec_b64 s[28:29], vcc
	s_cbranch_execz .LBB403_766
; %bb.761:                              ;   in Loop: Header=BB403_10 Depth=1
	v_lshrrev_b32_e32 v30, 24, v28
	v_cmp_ne_u32_e32 vcc, s21, v30
	v_bfrev_b32_e32 v0, 1
	s_and_saveexec_b64 s[30:31], vcc
	s_cbranch_execz .LBB403_765
; %bb.762:                              ;   in Loop: Header=BB403_10 Depth=1
	v_bfe_u32 v2, v28, 24, 7
	v_cmp_ne_u32_e32 vcc, s37, v2
	v_mov_b32_e32 v0, 0x7f800001
	s_and_saveexec_b64 s[34:35], vcc
	s_cbranch_execz .LBB403_764
; %bb.763:                              ;   in Loop: Header=BB403_10 Depth=1
	v_and_b32_e32 v0, 7, v30
	v_lshrrev_b32_e32 v8, 3, v2
	v_cmp_gt_u32_e32 vcc, 8, v2
	v_ffbh_u32_e32 v2, v0
	v_min_u32_e32 v9, 32, v2
	v_subrev_u32_e32 v2, 28, v9
	v_lshlrev_b64 v[2:3], v2, v[30:31]
	v_sub_u32_e32 v3, 29, v9
	v_and_b32_e32 v2, 7, v2
	v_cndmask_b32_e32 v3, v8, v3, vcc
	v_cndmask_b32_e32 v0, v0, v2, vcc
	v_lshlrev_b32_e32 v2, 24, v30
	v_lshlrev_b32_e32 v0, 20, v0
	v_and_b32_e32 v2, 0x80000000, v2
	v_lshl_add_u32 v3, v3, 23, v50
	v_or3_b32 v0, v2, v3, v0
.LBB403_764:                            ;   in Loop: Header=BB403_10 Depth=1
	s_or_b64 exec, exec, s[34:35]
.LBB403_765:                            ;   in Loop: Header=BB403_10 Depth=1
	s_or_b64 exec, exec, s[30:31]
.LBB403_766:                            ;   in Loop: Header=BB403_10 Depth=1
	s_or_b64 exec, exec, s[28:29]
	v_mul_f32_e32 v2, v53, v0
	v_and_b32_e32 v0, 0x7f800000, v2
	v_cmp_ne_u32_e32 vcc, s38, v0
                                        ; implicit-def: $vgpr0
	s_and_saveexec_b64 s[28:29], vcc
	s_xor_b64 s[28:29], exec, s[28:29]
; %bb.767:                              ;   in Loop: Header=BB403_10 Depth=1
	v_bfe_u32 v0, v2, 16, 1
	v_add3_u32 v0, v2, v0, s39
                                        ; implicit-def: $vgpr2
; %bb.768:                              ;   in Loop: Header=BB403_10 Depth=1
	s_andn2_saveexec_b64 s[28:29], s[28:29]
; %bb.769:                              ;   in Loop: Header=BB403_10 Depth=1
	v_or_b32_e32 v0, 0x10000, v2
	v_cmp_eq_u32_sdwa vcc, v2, v49 src0_sel:WORD_0 src1_sel:DWORD
	v_cndmask_b32_e32 v0, v0, v2, vcc
; %bb.770:                              ;   in Loop: Header=BB403_10 Depth=1
	s_or_b64 exec, exec, s[28:29]
	v_add_co_u32_e32 v2, vcc, 0x1200, v20
	v_addc_co_u32_e32 v3, vcc, 0, v21, vcc
	flat_load_dword v28, v[2:3] offset:8
	v_mov_b32_e32 v2, 0
	s_waitcnt vmcnt(0) lgkmcnt(0)
	v_cmp_ne_u16_sdwa vcc, v28, v49 src0_sel:BYTE_0 src1_sel:DWORD
	s_and_saveexec_b64 s[28:29], vcc
	s_cbranch_execz .LBB403_776
; %bb.771:                              ;   in Loop: Header=BB403_10 Depth=1
	v_cmp_ne_u16_sdwa vcc, v28, s21 src0_sel:BYTE_0 src1_sel:DWORD
	v_bfrev_b32_e32 v2, 1
	s_and_saveexec_b64 s[30:31], vcc
	s_cbranch_execz .LBB403_775
; %bb.772:                              ;   in Loop: Header=BB403_10 Depth=1
	v_and_b32_e32 v3, 0x7f, v28
	v_cmp_ne_u32_e32 vcc, s37, v3
	v_mov_b32_e32 v2, 0x7f800001
	s_and_saveexec_b64 s[34:35], vcc
	s_cbranch_execz .LBB403_774
; %bb.773:                              ;   in Loop: Header=BB403_10 Depth=1
	v_and_b32_e32 v8, 7, v28
	v_ffbh_u32_e32 v2, v8
	v_min_u32_e32 v12, 32, v2
	v_subrev_u32_e32 v2, 28, v12
	v_lshrrev_b32_e32 v9, 3, v3
	v_cmp_gt_u32_e32 vcc, 8, v3
	v_lshlrev_b64 v[2:3], v2, v[28:29]
	v_sub_u32_e32 v3, 29, v12
	v_and_b32_e32 v2, 7, v2
	v_cndmask_b32_e32 v3, v9, v3, vcc
	v_cndmask_b32_e32 v2, v8, v2, vcc
	v_lshlrev_b32_e32 v8, 24, v28
	v_lshlrev_b32_e32 v2, 20, v2
	v_and_b32_e32 v8, 0x80000000, v8
	v_lshl_add_u32 v3, v3, 23, v50
	v_or3_b32 v2, v8, v3, v2
.LBB403_774:                            ;   in Loop: Header=BB403_10 Depth=1
	s_or_b64 exec, exec, s[34:35]
.LBB403_775:                            ;   in Loop: Header=BB403_10 Depth=1
	s_or_b64 exec, exec, s[30:31]
.LBB403_776:                            ;   in Loop: Header=BB403_10 Depth=1
	s_or_b64 exec, exec, s[28:29]
	v_mul_f32_e32 v2, v53, v2
	v_and_b32_e32 v3, 0x7f800000, v2
	v_cmp_ne_u32_e32 vcc, s38, v3
                                        ; implicit-def: $vgpr3
	s_and_saveexec_b64 s[28:29], vcc
	s_xor_b64 s[28:29], exec, s[28:29]
; %bb.777:                              ;   in Loop: Header=BB403_10 Depth=1
	v_bfe_u32 v3, v2, 16, 1
	v_add3_u32 v3, v2, v3, s39
                                        ; implicit-def: $vgpr2
; %bb.778:                              ;   in Loop: Header=BB403_10 Depth=1
	s_andn2_saveexec_b64 s[28:29], s[28:29]
; %bb.779:                              ;   in Loop: Header=BB403_10 Depth=1
	v_or_b32_e32 v3, 0x10000, v2
	v_cmp_eq_u32_sdwa vcc, v2, v49 src0_sel:WORD_0 src1_sel:DWORD
	v_cndmask_b32_e32 v3, v3, v2, vcc
; %bb.780:                              ;   in Loop: Header=BB403_10 Depth=1
	s_or_b64 exec, exec, s[28:29]
	v_lshrrev_b16_e32 v30, 8, v28
	v_cmp_ne_u16_e32 vcc, 0, v30
	v_mov_b32_e32 v2, 0
	s_and_saveexec_b64 s[28:29], vcc
	s_cbranch_execz .LBB403_786
; %bb.781:                              ;   in Loop: Header=BB403_10 Depth=1
	v_cmp_ne_u16_e32 vcc, s21, v30
	v_bfrev_b32_e32 v2, 1
	s_and_saveexec_b64 s[30:31], vcc
	s_cbranch_execz .LBB403_785
; %bb.782:                              ;   in Loop: Header=BB403_10 Depth=1
	v_and_b32_e32 v8, 0x7f, v30
	v_cmp_ne_u32_e32 vcc, s37, v8
	v_mov_b32_e32 v2, 0x7f800001
	s_and_saveexec_b64 s[34:35], vcc
	s_cbranch_execz .LBB403_784
; %bb.783:                              ;   in Loop: Header=BB403_10 Depth=1
	v_and_b32_e32 v2, 7, v30
	v_lshrrev_b32_e32 v12, 3, v8
	v_cmp_gt_u32_e32 vcc, 8, v8
	v_ffbh_u32_e32 v8, v2
	v_min_u32_e32 v13, 32, v8
	v_subrev_u32_e32 v8, 28, v13
	v_lshlrev_b64 v[8:9], v8, v[30:31]
	v_sub_u32_e32 v9, 29, v13
	v_and_b32_e32 v8, 7, v8
	v_cndmask_b32_e32 v9, v12, v9, vcc
	v_cndmask_b32_e32 v2, v2, v8, vcc
	v_lshlrev_b32_e32 v8, 16, v28
	v_lshlrev_b32_e32 v2, 20, v2
	v_and_b32_e32 v8, 0x80000000, v8
	v_lshl_add_u32 v9, v9, 23, v50
	v_or3_b32 v2, v8, v9, v2
.LBB403_784:                            ;   in Loop: Header=BB403_10 Depth=1
	s_or_b64 exec, exec, s[34:35]
.LBB403_785:                            ;   in Loop: Header=BB403_10 Depth=1
	s_or_b64 exec, exec, s[30:31]
.LBB403_786:                            ;   in Loop: Header=BB403_10 Depth=1
	s_or_b64 exec, exec, s[28:29]
	v_mul_f32_e32 v8, v53, v2
	v_and_b32_e32 v2, 0x7f800000, v8
	v_cmp_ne_u32_e32 vcc, s38, v2
                                        ; implicit-def: $vgpr2
	s_and_saveexec_b64 s[28:29], vcc
	s_xor_b64 s[28:29], exec, s[28:29]
; %bb.787:                              ;   in Loop: Header=BB403_10 Depth=1
	v_bfe_u32 v2, v8, 16, 1
	v_add3_u32 v2, v8, v2, s39
                                        ; implicit-def: $vgpr8
; %bb.788:                              ;   in Loop: Header=BB403_10 Depth=1
	s_andn2_saveexec_b64 s[28:29], s[28:29]
; %bb.789:                              ;   in Loop: Header=BB403_10 Depth=1
	v_or_b32_e32 v2, 0x10000, v8
	v_cmp_eq_u32_sdwa vcc, v8, v49 src0_sel:WORD_0 src1_sel:DWORD
	v_cndmask_b32_e32 v2, v2, v8, vcc
; %bb.790:                              ;   in Loop: Header=BB403_10 Depth=1
	s_or_b64 exec, exec, s[28:29]
	v_lshrrev_b32_e32 v30, 16, v28
	v_cmp_ne_u16_sdwa vcc, v30, v49 src0_sel:BYTE_0 src1_sel:DWORD
	v_mov_b32_e32 v8, 0
	s_and_saveexec_b64 s[28:29], vcc
	s_cbranch_execz .LBB403_796
; %bb.791:                              ;   in Loop: Header=BB403_10 Depth=1
	v_cmp_ne_u16_sdwa vcc, v30, s21 src0_sel:BYTE_0 src1_sel:DWORD
	v_bfrev_b32_e32 v8, 1
	s_and_saveexec_b64 s[30:31], vcc
	s_cbranch_execz .LBB403_795
; %bb.792:                              ;   in Loop: Header=BB403_10 Depth=1
	v_bfe_u32 v9, v28, 16, 7
	v_cmp_ne_u32_e32 vcc, s37, v9
	v_mov_b32_e32 v8, 0x7f800001
	s_and_saveexec_b64 s[34:35], vcc
	s_cbranch_execz .LBB403_794
; %bb.793:                              ;   in Loop: Header=BB403_10 Depth=1
	v_and_b32_e32 v12, 7, v30
	v_ffbh_u32_e32 v8, v12
	v_min_u32_e32 v14, 32, v8
	v_subrev_u32_e32 v8, 28, v14
	v_lshrrev_b32_e32 v13, 3, v9
	v_cmp_gt_u32_e32 vcc, 8, v9
	v_lshlrev_b64 v[8:9], v8, v[30:31]
	v_sub_u32_e32 v9, 29, v14
	v_and_b32_e32 v8, 7, v8
	v_cndmask_b32_e32 v9, v13, v9, vcc
	v_cndmask_b32_e32 v8, v12, v8, vcc
	v_lshlrev_b32_e32 v12, 24, v30
	v_lshlrev_b32_e32 v8, 20, v8
	v_and_b32_e32 v12, 0x80000000, v12
	v_lshl_add_u32 v9, v9, 23, v50
	v_or3_b32 v8, v12, v9, v8
.LBB403_794:                            ;   in Loop: Header=BB403_10 Depth=1
	s_or_b64 exec, exec, s[34:35]
.LBB403_795:                            ;   in Loop: Header=BB403_10 Depth=1
	s_or_b64 exec, exec, s[30:31]
.LBB403_796:                            ;   in Loop: Header=BB403_10 Depth=1
	s_or_b64 exec, exec, s[28:29]
	v_mul_f32_e32 v8, v53, v8
	v_and_b32_e32 v9, 0x7f800000, v8
	v_cmp_ne_u32_e32 vcc, s38, v9
                                        ; implicit-def: $vgpr15
	s_and_saveexec_b64 s[28:29], vcc
	s_xor_b64 s[28:29], exec, s[28:29]
; %bb.797:                              ;   in Loop: Header=BB403_10 Depth=1
	v_bfe_u32 v9, v8, 16, 1
	v_add3_u32 v15, v8, v9, s39
                                        ; implicit-def: $vgpr8
; %bb.798:                              ;   in Loop: Header=BB403_10 Depth=1
	s_andn2_saveexec_b64 s[28:29], s[28:29]
; %bb.799:                              ;   in Loop: Header=BB403_10 Depth=1
	v_or_b32_e32 v9, 0x10000, v8
	v_cmp_eq_u32_sdwa vcc, v8, v49 src0_sel:WORD_0 src1_sel:DWORD
	v_cndmask_b32_e32 v15, v9, v8, vcc
; %bb.800:                              ;   in Loop: Header=BB403_10 Depth=1
	s_or_b64 exec, exec, s[28:29]
	v_cmp_lt_u32_e32 vcc, s40, v28
	v_mov_b32_e32 v8, 0
	s_and_saveexec_b64 s[28:29], vcc
	s_cbranch_execz .LBB403_806
; %bb.801:                              ;   in Loop: Header=BB403_10 Depth=1
	v_lshrrev_b32_e32 v30, 24, v28
	v_cmp_ne_u32_e32 vcc, s21, v30
	v_bfrev_b32_e32 v8, 1
	s_and_saveexec_b64 s[30:31], vcc
	s_cbranch_execz .LBB403_805
; %bb.802:                              ;   in Loop: Header=BB403_10 Depth=1
	v_bfe_u32 v9, v28, 24, 7
	v_cmp_ne_u32_e32 vcc, s37, v9
	v_mov_b32_e32 v8, 0x7f800001
	s_and_saveexec_b64 s[34:35], vcc
	s_cbranch_execz .LBB403_804
; %bb.803:                              ;   in Loop: Header=BB403_10 Depth=1
	v_and_b32_e32 v12, 7, v30
	v_ffbh_u32_e32 v8, v12
	v_min_u32_e32 v14, 32, v8
	v_subrev_u32_e32 v8, 28, v14
	v_lshrrev_b32_e32 v13, 3, v9
	v_cmp_gt_u32_e32 vcc, 8, v9
	v_lshlrev_b64 v[8:9], v8, v[30:31]
	v_sub_u32_e32 v9, 29, v14
	v_and_b32_e32 v8, 7, v8
	v_cndmask_b32_e32 v9, v13, v9, vcc
	v_cndmask_b32_e32 v8, v12, v8, vcc
	v_lshlrev_b32_e32 v12, 24, v30
	v_lshlrev_b32_e32 v8, 20, v8
	v_and_b32_e32 v12, 0x80000000, v12
	v_lshl_add_u32 v9, v9, 23, v50
	v_or3_b32 v8, v12, v9, v8
.LBB403_804:                            ;   in Loop: Header=BB403_10 Depth=1
	s_or_b64 exec, exec, s[34:35]
.LBB403_805:                            ;   in Loop: Header=BB403_10 Depth=1
	s_or_b64 exec, exec, s[30:31]
.LBB403_806:                            ;   in Loop: Header=BB403_10 Depth=1
	s_or_b64 exec, exec, s[28:29]
	v_mul_f32_e32 v8, v53, v8
	v_and_b32_e32 v9, 0x7f800000, v8
	v_cmp_ne_u32_e32 vcc, s38, v9
                                        ; implicit-def: $vgpr14
	s_and_saveexec_b64 s[28:29], vcc
	s_xor_b64 s[28:29], exec, s[28:29]
; %bb.807:                              ;   in Loop: Header=BB403_10 Depth=1
	v_bfe_u32 v9, v8, 16, 1
	v_add3_u32 v14, v8, v9, s39
                                        ; implicit-def: $vgpr8
; %bb.808:                              ;   in Loop: Header=BB403_10 Depth=1
	s_andn2_saveexec_b64 s[28:29], s[28:29]
; %bb.809:                              ;   in Loop: Header=BB403_10 Depth=1
	v_or_b32_e32 v9, 0x10000, v8
	v_cmp_eq_u32_sdwa vcc, v8, v49 src0_sel:WORD_0 src1_sel:DWORD
	v_cndmask_b32_e32 v14, v9, v8, vcc
; %bb.810:                              ;   in Loop: Header=BB403_10 Depth=1
	s_or_b64 exec, exec, s[28:29]
	v_add_co_u32_e32 v8, vcc, 0x1000, v20
	v_addc_co_u32_e32 v9, vcc, 0, v21, vcc
	flat_load_dword v28, v[8:9] offset:1024
	v_mov_b32_e32 v8, 0
	s_waitcnt vmcnt(0) lgkmcnt(0)
	v_cmp_ne_u16_sdwa vcc, v28, v49 src0_sel:BYTE_0 src1_sel:DWORD
	s_and_saveexec_b64 s[28:29], vcc
	s_cbranch_execz .LBB403_816
; %bb.811:                              ;   in Loop: Header=BB403_10 Depth=1
	v_cmp_ne_u16_sdwa vcc, v28, s21 src0_sel:BYTE_0 src1_sel:DWORD
	v_bfrev_b32_e32 v8, 1
	s_and_saveexec_b64 s[30:31], vcc
	s_cbranch_execz .LBB403_815
; %bb.812:                              ;   in Loop: Header=BB403_10 Depth=1
	v_and_b32_e32 v9, 0x7f, v28
	v_cmp_ne_u32_e32 vcc, s37, v9
	v_mov_b32_e32 v8, 0x7f800001
	s_and_saveexec_b64 s[34:35], vcc
	s_cbranch_execz .LBB403_814
; %bb.813:                              ;   in Loop: Header=BB403_10 Depth=1
	v_and_b32_e32 v12, 7, v28
	v_ffbh_u32_e32 v8, v12
	v_min_u32_e32 v16, 32, v8
	v_subrev_u32_e32 v8, 28, v16
	v_lshrrev_b32_e32 v13, 3, v9
	v_cmp_gt_u32_e32 vcc, 8, v9
	v_lshlrev_b64 v[8:9], v8, v[28:29]
	v_sub_u32_e32 v9, 29, v16
	v_and_b32_e32 v8, 7, v8
	v_cndmask_b32_e32 v9, v13, v9, vcc
	v_cndmask_b32_e32 v8, v12, v8, vcc
	v_lshlrev_b32_e32 v12, 24, v28
	v_lshlrev_b32_e32 v8, 20, v8
	v_and_b32_e32 v12, 0x80000000, v12
	v_lshl_add_u32 v9, v9, 23, v50
	v_or3_b32 v8, v12, v9, v8
.LBB403_814:                            ;   in Loop: Header=BB403_10 Depth=1
	s_or_b64 exec, exec, s[34:35]
.LBB403_815:                            ;   in Loop: Header=BB403_10 Depth=1
	s_or_b64 exec, exec, s[30:31]
.LBB403_816:                            ;   in Loop: Header=BB403_10 Depth=1
	s_or_b64 exec, exec, s[28:29]
	v_mul_f32_e32 v8, v53, v8
	v_and_b32_e32 v9, 0x7f800000, v8
	v_cmp_ne_u32_e32 vcc, s38, v9
                                        ; implicit-def: $vgpr27
	s_and_saveexec_b64 s[28:29], vcc
	s_xor_b64 s[28:29], exec, s[28:29]
; %bb.817:                              ;   in Loop: Header=BB403_10 Depth=1
	v_bfe_u32 v9, v8, 16, 1
	v_add3_u32 v27, v8, v9, s39
                                        ; implicit-def: $vgpr8
; %bb.818:                              ;   in Loop: Header=BB403_10 Depth=1
	s_andn2_saveexec_b64 s[28:29], s[28:29]
; %bb.819:                              ;   in Loop: Header=BB403_10 Depth=1
	v_or_b32_e32 v9, 0x10000, v8
	v_cmp_eq_u32_sdwa vcc, v8, v49 src0_sel:WORD_0 src1_sel:DWORD
	v_cndmask_b32_e32 v27, v9, v8, vcc
; %bb.820:                              ;   in Loop: Header=BB403_10 Depth=1
	s_or_b64 exec, exec, s[28:29]
	v_lshrrev_b16_e32 v30, 8, v28
	v_cmp_ne_u16_e32 vcc, 0, v30
	v_mov_b32_e32 v8, 0
	s_and_saveexec_b64 s[28:29], vcc
	s_cbranch_execz .LBB403_826
; %bb.821:                              ;   in Loop: Header=BB403_10 Depth=1
	v_cmp_ne_u16_e32 vcc, s21, v30
	v_bfrev_b32_e32 v8, 1
	s_and_saveexec_b64 s[30:31], vcc
	s_cbranch_execz .LBB403_825
; %bb.822:                              ;   in Loop: Header=BB403_10 Depth=1
	v_and_b32_e32 v9, 0x7f, v30
	v_cmp_ne_u32_e32 vcc, s37, v9
	v_mov_b32_e32 v8, 0x7f800001
	s_and_saveexec_b64 s[34:35], vcc
	s_cbranch_execz .LBB403_824
; %bb.823:                              ;   in Loop: Header=BB403_10 Depth=1
	v_and_b32_e32 v12, 7, v30
	v_ffbh_u32_e32 v8, v12
	v_min_u32_e32 v16, 32, v8
	v_subrev_u32_e32 v8, 28, v16
	v_lshrrev_b32_e32 v13, 3, v9
	v_cmp_gt_u32_e32 vcc, 8, v9
	v_lshlrev_b64 v[8:9], v8, v[30:31]
	v_sub_u32_e32 v9, 29, v16
	v_and_b32_e32 v8, 7, v8
	v_cndmask_b32_e32 v9, v13, v9, vcc
	v_cndmask_b32_e32 v8, v12, v8, vcc
	v_lshlrev_b32_e32 v12, 16, v28
	v_lshlrev_b32_e32 v8, 20, v8
	v_and_b32_e32 v12, 0x80000000, v12
	v_lshl_add_u32 v9, v9, 23, v50
	v_or3_b32 v8, v12, v9, v8
.LBB403_824:                            ;   in Loop: Header=BB403_10 Depth=1
	s_or_b64 exec, exec, s[34:35]
.LBB403_825:                            ;   in Loop: Header=BB403_10 Depth=1
	s_or_b64 exec, exec, s[30:31]
.LBB403_826:                            ;   in Loop: Header=BB403_10 Depth=1
	s_or_b64 exec, exec, s[28:29]
	v_mul_f32_e32 v8, v53, v8
	v_and_b32_e32 v9, 0x7f800000, v8
	v_cmp_ne_u32_e32 vcc, s38, v9
                                        ; implicit-def: $vgpr26
	s_and_saveexec_b64 s[28:29], vcc
	s_xor_b64 s[28:29], exec, s[28:29]
; %bb.827:                              ;   in Loop: Header=BB403_10 Depth=1
	v_bfe_u32 v9, v8, 16, 1
	v_add3_u32 v26, v8, v9, s39
                                        ; implicit-def: $vgpr8
; %bb.828:                              ;   in Loop: Header=BB403_10 Depth=1
	s_andn2_saveexec_b64 s[28:29], s[28:29]
; %bb.829:                              ;   in Loop: Header=BB403_10 Depth=1
	v_or_b32_e32 v9, 0x10000, v8
	v_cmp_eq_u32_sdwa vcc, v8, v49 src0_sel:WORD_0 src1_sel:DWORD
	v_cndmask_b32_e32 v26, v9, v8, vcc
; %bb.830:                              ;   in Loop: Header=BB403_10 Depth=1
	s_or_b64 exec, exec, s[28:29]
	v_lshrrev_b32_e32 v30, 16, v28
	v_cmp_ne_u16_sdwa vcc, v30, v49 src0_sel:BYTE_0 src1_sel:DWORD
	v_mov_b32_e32 v8, 0
	s_and_saveexec_b64 s[28:29], vcc
	s_cbranch_execz .LBB403_836
; %bb.831:                              ;   in Loop: Header=BB403_10 Depth=1
	v_cmp_ne_u16_sdwa vcc, v30, s21 src0_sel:BYTE_0 src1_sel:DWORD
	v_bfrev_b32_e32 v8, 1
	s_and_saveexec_b64 s[30:31], vcc
	s_cbranch_execz .LBB403_835
; %bb.832:                              ;   in Loop: Header=BB403_10 Depth=1
	v_bfe_u32 v9, v28, 16, 7
	v_cmp_ne_u32_e32 vcc, s37, v9
	v_mov_b32_e32 v8, 0x7f800001
	s_and_saveexec_b64 s[34:35], vcc
	s_cbranch_execz .LBB403_834
; %bb.833:                              ;   in Loop: Header=BB403_10 Depth=1
	v_and_b32_e32 v12, 7, v30
	v_ffbh_u32_e32 v8, v12
	v_min_u32_e32 v16, 32, v8
	v_subrev_u32_e32 v8, 28, v16
	v_lshrrev_b32_e32 v13, 3, v9
	v_cmp_gt_u32_e32 vcc, 8, v9
	v_lshlrev_b64 v[8:9], v8, v[30:31]
	v_sub_u32_e32 v9, 29, v16
	v_and_b32_e32 v8, 7, v8
	v_cndmask_b32_e32 v9, v13, v9, vcc
	v_cndmask_b32_e32 v8, v12, v8, vcc
	v_lshlrev_b32_e32 v12, 24, v30
	v_lshlrev_b32_e32 v8, 20, v8
	v_and_b32_e32 v12, 0x80000000, v12
	v_lshl_add_u32 v9, v9, 23, v50
	v_or3_b32 v8, v12, v9, v8
.LBB403_834:                            ;   in Loop: Header=BB403_10 Depth=1
	s_or_b64 exec, exec, s[34:35]
.LBB403_835:                            ;   in Loop: Header=BB403_10 Depth=1
	s_or_b64 exec, exec, s[30:31]
.LBB403_836:                            ;   in Loop: Header=BB403_10 Depth=1
	s_or_b64 exec, exec, s[28:29]
	v_mul_f32_e32 v8, v53, v8
	v_and_b32_e32 v9, 0x7f800000, v8
	v_cmp_ne_u32_e32 vcc, s38, v9
                                        ; implicit-def: $vgpr29
	s_and_saveexec_b64 s[28:29], vcc
	s_xor_b64 s[28:29], exec, s[28:29]
; %bb.837:                              ;   in Loop: Header=BB403_10 Depth=1
	v_bfe_u32 v9, v8, 16, 1
	v_add3_u32 v29, v8, v9, s39
                                        ; implicit-def: $vgpr8
; %bb.838:                              ;   in Loop: Header=BB403_10 Depth=1
	s_andn2_saveexec_b64 s[28:29], s[28:29]
; %bb.839:                              ;   in Loop: Header=BB403_10 Depth=1
	v_or_b32_e32 v9, 0x10000, v8
	v_cmp_eq_u32_sdwa vcc, v8, v49 src0_sel:WORD_0 src1_sel:DWORD
	v_cndmask_b32_e32 v29, v9, v8, vcc
; %bb.840:                              ;   in Loop: Header=BB403_10 Depth=1
	s_or_b64 exec, exec, s[28:29]
	v_cmp_lt_u32_e32 vcc, s40, v28
	v_mov_b32_e32 v8, 0
	s_and_saveexec_b64 s[28:29], vcc
	s_cbranch_execz .LBB403_846
; %bb.841:                              ;   in Loop: Header=BB403_10 Depth=1
	v_lshrrev_b32_e32 v30, 24, v28
	v_cmp_ne_u32_e32 vcc, s21, v30
	v_bfrev_b32_e32 v8, 1
	s_and_saveexec_b64 s[30:31], vcc
	s_cbranch_execz .LBB403_845
; %bb.842:                              ;   in Loop: Header=BB403_10 Depth=1
	v_bfe_u32 v9, v28, 24, 7
	v_cmp_ne_u32_e32 vcc, s37, v9
	v_mov_b32_e32 v8, 0x7f800001
	s_and_saveexec_b64 s[34:35], vcc
	s_cbranch_execz .LBB403_844
; %bb.843:                              ;   in Loop: Header=BB403_10 Depth=1
	v_and_b32_e32 v12, 7, v30
	v_ffbh_u32_e32 v8, v12
	v_min_u32_e32 v16, 32, v8
	v_subrev_u32_e32 v8, 28, v16
	v_lshrrev_b32_e32 v13, 3, v9
	v_cmp_gt_u32_e32 vcc, 8, v9
	v_lshlrev_b64 v[8:9], v8, v[30:31]
	v_sub_u32_e32 v9, 29, v16
	v_and_b32_e32 v8, 7, v8
	v_cndmask_b32_e32 v9, v13, v9, vcc
	v_cndmask_b32_e32 v8, v12, v8, vcc
	v_lshlrev_b32_e32 v12, 24, v30
	v_lshlrev_b32_e32 v8, 20, v8
	v_and_b32_e32 v12, 0x80000000, v12
	v_lshl_add_u32 v9, v9, 23, v50
	v_or3_b32 v8, v12, v9, v8
.LBB403_844:                            ;   in Loop: Header=BB403_10 Depth=1
	s_or_b64 exec, exec, s[34:35]
.LBB403_845:                            ;   in Loop: Header=BB403_10 Depth=1
	s_or_b64 exec, exec, s[30:31]
.LBB403_846:                            ;   in Loop: Header=BB403_10 Depth=1
	s_or_b64 exec, exec, s[28:29]
	v_mul_f32_e32 v8, v53, v8
	v_and_b32_e32 v9, 0x7f800000, v8
	v_cmp_ne_u32_e32 vcc, s38, v9
                                        ; implicit-def: $vgpr31
	s_and_saveexec_b64 s[28:29], vcc
	s_xor_b64 s[28:29], exec, s[28:29]
; %bb.847:                              ;   in Loop: Header=BB403_10 Depth=1
	v_bfe_u32 v9, v8, 16, 1
	v_add3_u32 v31, v8, v9, s39
                                        ; implicit-def: $vgpr8
; %bb.848:                              ;   in Loop: Header=BB403_10 Depth=1
	s_andn2_saveexec_b64 s[28:29], s[28:29]
; %bb.849:                              ;   in Loop: Header=BB403_10 Depth=1
	v_or_b32_e32 v9, 0x10000, v8
	v_cmp_eq_u32_sdwa vcc, v8, v49 src0_sel:WORD_0 src1_sel:DWORD
	v_cndmask_b32_e32 v31, v9, v8, vcc
; %bb.850:                              ;   in Loop: Header=BB403_10 Depth=1
	s_or_b64 exec, exec, s[28:29]
	v_add_co_u32_e32 v8, vcc, 0x1400, v20
	v_addc_co_u32_e32 v9, vcc, 0, v21, vcc
	flat_load_dword v28, v[8:9] offset:8
	v_mov_b32_e32 v8, 0
	s_waitcnt vmcnt(0) lgkmcnt(0)
	v_cmp_ne_u16_sdwa vcc, v28, v49 src0_sel:BYTE_0 src1_sel:DWORD
	s_and_saveexec_b64 s[28:29], vcc
	s_cbranch_execz .LBB403_856
; %bb.851:                              ;   in Loop: Header=BB403_10 Depth=1
	v_cmp_ne_u16_sdwa vcc, v28, s21 src0_sel:BYTE_0 src1_sel:DWORD
	v_bfrev_b32_e32 v8, 1
	s_and_saveexec_b64 s[30:31], vcc
	s_cbranch_execz .LBB403_855
; %bb.852:                              ;   in Loop: Header=BB403_10 Depth=1
	v_and_b32_e32 v9, 0x7f, v28
	v_cmp_ne_u32_e32 vcc, s37, v9
	v_mov_b32_e32 v8, 0x7f800001
	s_and_saveexec_b64 s[34:35], vcc
	s_cbranch_execz .LBB403_854
; %bb.853:                              ;   in Loop: Header=BB403_10 Depth=1
	v_and_b32_e32 v12, 7, v28
	v_ffbh_u32_e32 v8, v12
	v_min_u32_e32 v16, 32, v8
	v_subrev_u32_e32 v8, 28, v16
	v_lshrrev_b32_e32 v13, 3, v9
	v_cmp_gt_u32_e32 vcc, 8, v9
	v_lshlrev_b64 v[8:9], v8, v[28:29]
	v_sub_u32_e32 v9, 29, v16
	v_and_b32_e32 v8, 7, v8
	v_cndmask_b32_e32 v9, v13, v9, vcc
	v_cndmask_b32_e32 v8, v12, v8, vcc
	v_lshlrev_b32_e32 v12, 24, v28
	v_lshlrev_b32_e32 v8, 20, v8
	v_and_b32_e32 v12, 0x80000000, v12
	v_lshl_add_u32 v9, v9, 23, v50
	v_or3_b32 v8, v12, v9, v8
.LBB403_854:                            ;   in Loop: Header=BB403_10 Depth=1
	s_or_b64 exec, exec, s[34:35]
.LBB403_855:                            ;   in Loop: Header=BB403_10 Depth=1
	s_or_b64 exec, exec, s[30:31]
.LBB403_856:                            ;   in Loop: Header=BB403_10 Depth=1
	s_or_b64 exec, exec, s[28:29]
	v_mul_f32_e32 v8, v53, v8
	v_and_b32_e32 v9, 0x7f800000, v8
	v_cmp_ne_u32_e32 vcc, s38, v9
                                        ; implicit-def: $vgpr34
	s_and_saveexec_b64 s[28:29], vcc
	s_xor_b64 s[28:29], exec, s[28:29]
; %bb.857:                              ;   in Loop: Header=BB403_10 Depth=1
	v_bfe_u32 v9, v8, 16, 1
	v_add3_u32 v34, v8, v9, s39
                                        ; implicit-def: $vgpr8
; %bb.858:                              ;   in Loop: Header=BB403_10 Depth=1
	s_andn2_saveexec_b64 s[28:29], s[28:29]
; %bb.859:                              ;   in Loop: Header=BB403_10 Depth=1
	v_or_b32_e32 v9, 0x10000, v8
	v_cmp_eq_u32_sdwa vcc, v8, v49 src0_sel:WORD_0 src1_sel:DWORD
	v_cndmask_b32_e32 v34, v9, v8, vcc
; %bb.860:                              ;   in Loop: Header=BB403_10 Depth=1
	s_or_b64 exec, exec, s[28:29]
	v_lshrrev_b16_e32 v30, 8, v28
	v_cmp_ne_u16_e32 vcc, 0, v30
	v_mov_b32_e32 v8, 0
	s_and_saveexec_b64 s[28:29], vcc
	s_cbranch_execz .LBB403_866
; %bb.861:                              ;   in Loop: Header=BB403_10 Depth=1
	v_cmp_ne_u16_e32 vcc, s21, v30
	v_bfrev_b32_e32 v8, 1
	s_and_saveexec_b64 s[30:31], vcc
	s_cbranch_execz .LBB403_865
; %bb.862:                              ;   in Loop: Header=BB403_10 Depth=1
	v_and_b32_e32 v9, 0x7f, v30
	v_cmp_ne_u32_e32 vcc, s37, v9
	v_mov_b32_e32 v8, 0x7f800001
	s_and_saveexec_b64 s[34:35], vcc
	s_cbranch_execz .LBB403_864
; %bb.863:                              ;   in Loop: Header=BB403_10 Depth=1
	v_and_b32_e32 v12, 7, v30
	v_ffbh_u32_e32 v8, v12
	v_min_u32_e32 v16, 32, v8
	v_subrev_u32_e32 v8, 28, v16
	v_lshrrev_b32_e32 v13, 3, v9
	v_cmp_gt_u32_e32 vcc, 8, v9
	v_lshlrev_b64 v[8:9], v8, v[30:31]
	v_sub_u32_e32 v9, 29, v16
	v_and_b32_e32 v8, 7, v8
	v_cndmask_b32_e32 v9, v13, v9, vcc
	v_cndmask_b32_e32 v8, v12, v8, vcc
	v_lshlrev_b32_e32 v12, 16, v28
	v_lshlrev_b32_e32 v8, 20, v8
	v_and_b32_e32 v12, 0x80000000, v12
	v_lshl_add_u32 v9, v9, 23, v50
	v_or3_b32 v8, v12, v9, v8
.LBB403_864:                            ;   in Loop: Header=BB403_10 Depth=1
	s_or_b64 exec, exec, s[34:35]
.LBB403_865:                            ;   in Loop: Header=BB403_10 Depth=1
	s_or_b64 exec, exec, s[30:31]
.LBB403_866:                            ;   in Loop: Header=BB403_10 Depth=1
	s_or_b64 exec, exec, s[28:29]
	v_mul_f32_e32 v8, v53, v8
	v_and_b32_e32 v9, 0x7f800000, v8
	v_cmp_ne_u32_e32 vcc, s38, v9
                                        ; implicit-def: $vgpr35
	s_and_saveexec_b64 s[28:29], vcc
	s_xor_b64 s[28:29], exec, s[28:29]
; %bb.867:                              ;   in Loop: Header=BB403_10 Depth=1
	v_bfe_u32 v9, v8, 16, 1
	v_add3_u32 v35, v8, v9, s39
                                        ; implicit-def: $vgpr8
; %bb.868:                              ;   in Loop: Header=BB403_10 Depth=1
	s_andn2_saveexec_b64 s[28:29], s[28:29]
; %bb.869:                              ;   in Loop: Header=BB403_10 Depth=1
	v_or_b32_e32 v9, 0x10000, v8
	v_cmp_eq_u32_sdwa vcc, v8, v49 src0_sel:WORD_0 src1_sel:DWORD
	v_cndmask_b32_e32 v35, v9, v8, vcc
; %bb.870:                              ;   in Loop: Header=BB403_10 Depth=1
	s_or_b64 exec, exec, s[28:29]
	v_lshrrev_b32_e32 v30, 16, v28
	v_cmp_ne_u16_sdwa vcc, v30, v49 src0_sel:BYTE_0 src1_sel:DWORD
	v_mov_b32_e32 v8, 0
	s_and_saveexec_b64 s[28:29], vcc
	s_cbranch_execz .LBB403_876
; %bb.871:                              ;   in Loop: Header=BB403_10 Depth=1
	v_cmp_ne_u16_sdwa vcc, v30, s21 src0_sel:BYTE_0 src1_sel:DWORD
	v_bfrev_b32_e32 v8, 1
	s_and_saveexec_b64 s[30:31], vcc
	s_cbranch_execz .LBB403_875
; %bb.872:                              ;   in Loop: Header=BB403_10 Depth=1
	v_bfe_u32 v9, v28, 16, 7
	v_cmp_ne_u32_e32 vcc, s37, v9
	v_mov_b32_e32 v8, 0x7f800001
	s_and_saveexec_b64 s[34:35], vcc
	s_cbranch_execz .LBB403_874
; %bb.873:                              ;   in Loop: Header=BB403_10 Depth=1
	v_and_b32_e32 v12, 7, v30
	v_ffbh_u32_e32 v8, v12
	v_min_u32_e32 v16, 32, v8
	v_subrev_u32_e32 v8, 28, v16
	v_lshrrev_b32_e32 v13, 3, v9
	v_cmp_gt_u32_e32 vcc, 8, v9
	v_lshlrev_b64 v[8:9], v8, v[30:31]
	v_sub_u32_e32 v9, 29, v16
	v_and_b32_e32 v8, 7, v8
	v_cndmask_b32_e32 v9, v13, v9, vcc
	v_cndmask_b32_e32 v8, v12, v8, vcc
	v_lshlrev_b32_e32 v12, 24, v30
	v_lshlrev_b32_e32 v8, 20, v8
	v_and_b32_e32 v12, 0x80000000, v12
	v_lshl_add_u32 v9, v9, 23, v50
	v_or3_b32 v8, v12, v9, v8
.LBB403_874:                            ;   in Loop: Header=BB403_10 Depth=1
	s_or_b64 exec, exec, s[34:35]
.LBB403_875:                            ;   in Loop: Header=BB403_10 Depth=1
	s_or_b64 exec, exec, s[30:31]
.LBB403_876:                            ;   in Loop: Header=BB403_10 Depth=1
	s_or_b64 exec, exec, s[28:29]
	v_mul_f32_e32 v8, v53, v8
	v_and_b32_e32 v9, 0x7f800000, v8
	v_cmp_ne_u32_e32 vcc, s38, v9
                                        ; implicit-def: $vgpr16
	s_and_saveexec_b64 s[28:29], vcc
	s_xor_b64 s[28:29], exec, s[28:29]
; %bb.877:                              ;   in Loop: Header=BB403_10 Depth=1
	v_bfe_u32 v9, v8, 16, 1
	v_add3_u32 v16, v8, v9, s39
                                        ; implicit-def: $vgpr8
; %bb.878:                              ;   in Loop: Header=BB403_10 Depth=1
	s_andn2_saveexec_b64 s[28:29], s[28:29]
; %bb.879:                              ;   in Loop: Header=BB403_10 Depth=1
	v_or_b32_e32 v9, 0x10000, v8
	v_cmp_eq_u32_sdwa vcc, v8, v49 src0_sel:WORD_0 src1_sel:DWORD
	v_cndmask_b32_e32 v16, v9, v8, vcc
; %bb.880:                              ;   in Loop: Header=BB403_10 Depth=1
	s_or_b64 exec, exec, s[28:29]
	v_cmp_lt_u32_e32 vcc, s40, v28
	v_mov_b32_e32 v8, 0
	s_and_saveexec_b64 s[28:29], vcc
	s_cbranch_execz .LBB403_886
; %bb.881:                              ;   in Loop: Header=BB403_10 Depth=1
	v_lshrrev_b32_e32 v30, 24, v28
	v_cmp_ne_u32_e32 vcc, s21, v30
	v_bfrev_b32_e32 v8, 1
	s_and_saveexec_b64 s[30:31], vcc
	s_cbranch_execz .LBB403_885
; %bb.882:                              ;   in Loop: Header=BB403_10 Depth=1
	v_bfe_u32 v9, v28, 24, 7
	v_cmp_ne_u32_e32 vcc, s37, v9
	v_mov_b32_e32 v8, 0x7f800001
	s_and_saveexec_b64 s[34:35], vcc
	s_cbranch_execz .LBB403_884
; %bb.883:                              ;   in Loop: Header=BB403_10 Depth=1
	v_and_b32_e32 v12, 7, v30
	v_ffbh_u32_e32 v8, v12
	v_min_u32_e32 v17, 32, v8
	v_subrev_u32_e32 v8, 28, v17
	v_lshrrev_b32_e32 v13, 3, v9
	v_cmp_gt_u32_e32 vcc, 8, v9
	v_lshlrev_b64 v[8:9], v8, v[30:31]
	v_sub_u32_e32 v9, 29, v17
	v_and_b32_e32 v8, 7, v8
	v_cndmask_b32_e32 v9, v13, v9, vcc
	v_cndmask_b32_e32 v8, v12, v8, vcc
	v_lshlrev_b32_e32 v12, 24, v30
	v_lshlrev_b32_e32 v8, 20, v8
	v_and_b32_e32 v12, 0x80000000, v12
	v_lshl_add_u32 v9, v9, 23, v50
	v_or3_b32 v8, v12, v9, v8
.LBB403_884:                            ;   in Loop: Header=BB403_10 Depth=1
	s_or_b64 exec, exec, s[34:35]
.LBB403_885:                            ;   in Loop: Header=BB403_10 Depth=1
	s_or_b64 exec, exec, s[30:31]
.LBB403_886:                            ;   in Loop: Header=BB403_10 Depth=1
	s_or_b64 exec, exec, s[28:29]
	v_mul_f32_e32 v8, v53, v8
	v_and_b32_e32 v9, 0x7f800000, v8
	v_cmp_ne_u32_e32 vcc, s38, v9
                                        ; implicit-def: $vgpr17
	s_and_saveexec_b64 s[28:29], vcc
	s_xor_b64 s[28:29], exec, s[28:29]
; %bb.887:                              ;   in Loop: Header=BB403_10 Depth=1
	v_bfe_u32 v9, v8, 16, 1
	v_add3_u32 v17, v8, v9, s39
                                        ; implicit-def: $vgpr8
; %bb.888:                              ;   in Loop: Header=BB403_10 Depth=1
	s_andn2_saveexec_b64 s[28:29], s[28:29]
; %bb.889:                              ;   in Loop: Header=BB403_10 Depth=1
	v_or_b32_e32 v9, 0x10000, v8
	v_cmp_eq_u32_sdwa vcc, v8, v49 src0_sel:WORD_0 src1_sel:DWORD
	v_cndmask_b32_e32 v17, v9, v8, vcc
; %bb.890:                              ;   in Loop: Header=BB403_10 Depth=1
	s_or_b64 exec, exec, s[28:29]
	v_add_co_u32_e32 v8, vcc, 0x1000, v20
	v_addc_co_u32_e32 v9, vcc, 0, v21, vcc
	flat_load_dword v28, v[8:9] offset:1536
	v_mov_b32_e32 v8, 0
	s_waitcnt vmcnt(0) lgkmcnt(0)
	v_cmp_ne_u16_sdwa vcc, v28, v49 src0_sel:BYTE_0 src1_sel:DWORD
	s_and_saveexec_b64 s[28:29], vcc
	s_cbranch_execz .LBB403_896
; %bb.891:                              ;   in Loop: Header=BB403_10 Depth=1
	v_cmp_ne_u16_sdwa vcc, v28, s21 src0_sel:BYTE_0 src1_sel:DWORD
	v_bfrev_b32_e32 v8, 1
	s_and_saveexec_b64 s[30:31], vcc
	s_cbranch_execz .LBB403_895
; %bb.892:                              ;   in Loop: Header=BB403_10 Depth=1
	v_and_b32_e32 v9, 0x7f, v28
	v_cmp_ne_u32_e32 vcc, s37, v9
	v_mov_b32_e32 v8, 0x7f800001
	s_and_saveexec_b64 s[34:35], vcc
	s_cbranch_execz .LBB403_894
; %bb.893:                              ;   in Loop: Header=BB403_10 Depth=1
	v_and_b32_e32 v12, 7, v28
	v_ffbh_u32_e32 v8, v12
	v_min_u32_e32 v22, 32, v8
	v_subrev_u32_e32 v8, 28, v22
	v_lshrrev_b32_e32 v13, 3, v9
	v_cmp_gt_u32_e32 vcc, 8, v9
	v_lshlrev_b64 v[8:9], v8, v[28:29]
	v_sub_u32_e32 v9, 29, v22
	v_and_b32_e32 v8, 7, v8
	v_cndmask_b32_e32 v9, v13, v9, vcc
	v_cndmask_b32_e32 v8, v12, v8, vcc
	v_lshlrev_b32_e32 v12, 24, v28
	v_lshlrev_b32_e32 v8, 20, v8
	v_and_b32_e32 v12, 0x80000000, v12
	v_lshl_add_u32 v9, v9, 23, v50
	v_or3_b32 v8, v12, v9, v8
.LBB403_894:                            ;   in Loop: Header=BB403_10 Depth=1
	s_or_b64 exec, exec, s[34:35]
.LBB403_895:                            ;   in Loop: Header=BB403_10 Depth=1
	s_or_b64 exec, exec, s[30:31]
.LBB403_896:                            ;   in Loop: Header=BB403_10 Depth=1
	s_or_b64 exec, exec, s[28:29]
	v_mul_f32_e32 v8, v53, v8
	v_and_b32_e32 v9, 0x7f800000, v8
	v_cmp_ne_u32_e32 vcc, s38, v9
                                        ; implicit-def: $vgpr38
	s_and_saveexec_b64 s[28:29], vcc
	s_xor_b64 s[28:29], exec, s[28:29]
; %bb.897:                              ;   in Loop: Header=BB403_10 Depth=1
	v_bfe_u32 v9, v8, 16, 1
	v_add3_u32 v38, v8, v9, s39
                                        ; implicit-def: $vgpr8
; %bb.898:                              ;   in Loop: Header=BB403_10 Depth=1
	s_andn2_saveexec_b64 s[28:29], s[28:29]
; %bb.899:                              ;   in Loop: Header=BB403_10 Depth=1
	v_or_b32_e32 v9, 0x10000, v8
	v_cmp_eq_u32_sdwa vcc, v8, v49 src0_sel:WORD_0 src1_sel:DWORD
	v_cndmask_b32_e32 v38, v9, v8, vcc
; %bb.900:                              ;   in Loop: Header=BB403_10 Depth=1
	s_or_b64 exec, exec, s[28:29]
	v_lshrrev_b16_e32 v30, 8, v28
	v_cmp_ne_u16_e32 vcc, 0, v30
	v_mov_b32_e32 v8, 0
	s_and_saveexec_b64 s[28:29], vcc
	s_cbranch_execz .LBB403_906
; %bb.901:                              ;   in Loop: Header=BB403_10 Depth=1
	v_cmp_ne_u16_e32 vcc, s21, v30
	v_bfrev_b32_e32 v8, 1
	s_and_saveexec_b64 s[30:31], vcc
	s_cbranch_execz .LBB403_905
; %bb.902:                              ;   in Loop: Header=BB403_10 Depth=1
	v_and_b32_e32 v9, 0x7f, v30
	v_cmp_ne_u32_e32 vcc, s37, v9
	v_mov_b32_e32 v8, 0x7f800001
	s_and_saveexec_b64 s[34:35], vcc
	s_cbranch_execz .LBB403_904
; %bb.903:                              ;   in Loop: Header=BB403_10 Depth=1
	v_and_b32_e32 v12, 7, v30
	v_ffbh_u32_e32 v8, v12
	v_min_u32_e32 v22, 32, v8
	v_subrev_u32_e32 v8, 28, v22
	v_lshrrev_b32_e32 v13, 3, v9
	v_cmp_gt_u32_e32 vcc, 8, v9
	v_lshlrev_b64 v[8:9], v8, v[30:31]
	v_sub_u32_e32 v9, 29, v22
	v_and_b32_e32 v8, 7, v8
	v_cndmask_b32_e32 v9, v13, v9, vcc
	v_cndmask_b32_e32 v8, v12, v8, vcc
	v_lshlrev_b32_e32 v12, 16, v28
	v_lshlrev_b32_e32 v8, 20, v8
	v_and_b32_e32 v12, 0x80000000, v12
	v_lshl_add_u32 v9, v9, 23, v50
	v_or3_b32 v8, v12, v9, v8
.LBB403_904:                            ;   in Loop: Header=BB403_10 Depth=1
	s_or_b64 exec, exec, s[34:35]
.LBB403_905:                            ;   in Loop: Header=BB403_10 Depth=1
	s_or_b64 exec, exec, s[30:31]
.LBB403_906:                            ;   in Loop: Header=BB403_10 Depth=1
	s_or_b64 exec, exec, s[28:29]
	v_mul_f32_e32 v8, v53, v8
	v_and_b32_e32 v9, 0x7f800000, v8
	v_cmp_ne_u32_e32 vcc, s38, v9
                                        ; implicit-def: $vgpr12
	s_and_saveexec_b64 s[28:29], vcc
	s_xor_b64 s[28:29], exec, s[28:29]
; %bb.907:                              ;   in Loop: Header=BB403_10 Depth=1
	v_bfe_u32 v9, v8, 16, 1
	v_add3_u32 v12, v8, v9, s39
                                        ; implicit-def: $vgpr8
; %bb.908:                              ;   in Loop: Header=BB403_10 Depth=1
	s_andn2_saveexec_b64 s[28:29], s[28:29]
; %bb.909:                              ;   in Loop: Header=BB403_10 Depth=1
	v_or_b32_e32 v9, 0x10000, v8
	v_cmp_eq_u32_sdwa vcc, v8, v49 src0_sel:WORD_0 src1_sel:DWORD
	v_cndmask_b32_e32 v12, v9, v8, vcc
; %bb.910:                              ;   in Loop: Header=BB403_10 Depth=1
	s_or_b64 exec, exec, s[28:29]
	v_lshrrev_b32_e32 v30, 16, v28
	v_cmp_ne_u16_sdwa vcc, v30, v49 src0_sel:BYTE_0 src1_sel:DWORD
	v_mov_b32_e32 v8, 0
	s_and_saveexec_b64 s[28:29], vcc
	s_cbranch_execz .LBB403_916
; %bb.911:                              ;   in Loop: Header=BB403_10 Depth=1
	v_cmp_ne_u16_sdwa vcc, v30, s21 src0_sel:BYTE_0 src1_sel:DWORD
	v_bfrev_b32_e32 v8, 1
	s_and_saveexec_b64 s[30:31], vcc
	s_cbranch_execz .LBB403_915
; %bb.912:                              ;   in Loop: Header=BB403_10 Depth=1
	v_bfe_u32 v9, v28, 16, 7
	v_cmp_ne_u32_e32 vcc, s37, v9
	v_mov_b32_e32 v8, 0x7f800001
	s_and_saveexec_b64 s[34:35], vcc
	s_cbranch_execz .LBB403_914
; %bb.913:                              ;   in Loop: Header=BB403_10 Depth=1
	v_and_b32_e32 v13, 7, v30
	v_ffbh_u32_e32 v8, v13
	v_min_u32_e32 v54, 32, v8
	v_subrev_u32_e32 v8, 28, v54
	v_lshrrev_b32_e32 v22, 3, v9
	v_cmp_gt_u32_e32 vcc, 8, v9
	v_lshlrev_b64 v[8:9], v8, v[30:31]
	v_sub_u32_e32 v9, 29, v54
	v_and_b32_e32 v8, 7, v8
	v_cndmask_b32_e32 v9, v22, v9, vcc
	v_cndmask_b32_e32 v8, v13, v8, vcc
	v_lshlrev_b32_e32 v13, 24, v30
	v_lshlrev_b32_e32 v8, 20, v8
	v_and_b32_e32 v13, 0x80000000, v13
	v_lshl_add_u32 v9, v9, 23, v50
	v_or3_b32 v8, v13, v9, v8
.LBB403_914:                            ;   in Loop: Header=BB403_10 Depth=1
	s_or_b64 exec, exec, s[34:35]
.LBB403_915:                            ;   in Loop: Header=BB403_10 Depth=1
	s_or_b64 exec, exec, s[30:31]
.LBB403_916:                            ;   in Loop: Header=BB403_10 Depth=1
	s_or_b64 exec, exec, s[28:29]
	v_mul_f32_e32 v8, v53, v8
	v_and_b32_e32 v9, 0x7f800000, v8
	v_cmp_ne_u32_e32 vcc, s38, v9
                                        ; implicit-def: $vgpr22
	s_and_saveexec_b64 s[28:29], vcc
	s_xor_b64 s[28:29], exec, s[28:29]
; %bb.917:                              ;   in Loop: Header=BB403_10 Depth=1
	v_bfe_u32 v9, v8, 16, 1
	v_add3_u32 v22, v8, v9, s39
                                        ; implicit-def: $vgpr8
; %bb.918:                              ;   in Loop: Header=BB403_10 Depth=1
	s_andn2_saveexec_b64 s[28:29], s[28:29]
; %bb.919:                              ;   in Loop: Header=BB403_10 Depth=1
	v_or_b32_e32 v9, 0x10000, v8
	v_cmp_eq_u32_sdwa vcc, v8, v49 src0_sel:WORD_0 src1_sel:DWORD
	v_cndmask_b32_e32 v22, v9, v8, vcc
; %bb.920:                              ;   in Loop: Header=BB403_10 Depth=1
	s_or_b64 exec, exec, s[28:29]
	v_cmp_lt_u32_e32 vcc, s40, v28
	v_mov_b32_e32 v8, 0
	s_and_saveexec_b64 s[28:29], vcc
	s_cbranch_execz .LBB403_926
; %bb.921:                              ;   in Loop: Header=BB403_10 Depth=1
	v_lshrrev_b32_e32 v30, 24, v28
	v_cmp_ne_u32_e32 vcc, s21, v30
	v_bfrev_b32_e32 v8, 1
	s_and_saveexec_b64 s[30:31], vcc
	s_cbranch_execz .LBB403_925
; %bb.922:                              ;   in Loop: Header=BB403_10 Depth=1
	v_bfe_u32 v9, v28, 24, 7
	v_cmp_ne_u32_e32 vcc, s37, v9
	v_mov_b32_e32 v8, 0x7f800001
	s_and_saveexec_b64 s[34:35], vcc
	s_cbranch_execz .LBB403_924
; %bb.923:                              ;   in Loop: Header=BB403_10 Depth=1
	v_and_b32_e32 v13, 7, v30
	v_ffbh_u32_e32 v8, v13
	v_min_u32_e32 v54, 32, v8
	v_subrev_u32_e32 v8, 28, v54
	v_lshrrev_b32_e32 v28, 3, v9
	v_cmp_gt_u32_e32 vcc, 8, v9
	v_lshlrev_b64 v[8:9], v8, v[30:31]
	v_sub_u32_e32 v9, 29, v54
	v_and_b32_e32 v8, 7, v8
	v_cndmask_b32_e32 v9, v28, v9, vcc
	v_cndmask_b32_e32 v8, v13, v8, vcc
	v_lshlrev_b32_e32 v13, 24, v30
	v_lshlrev_b32_e32 v8, 20, v8
	v_and_b32_e32 v13, 0x80000000, v13
	v_lshl_add_u32 v9, v9, 23, v50
	v_or3_b32 v8, v13, v9, v8
.LBB403_924:                            ;   in Loop: Header=BB403_10 Depth=1
	s_or_b64 exec, exec, s[34:35]
.LBB403_925:                            ;   in Loop: Header=BB403_10 Depth=1
	s_or_b64 exec, exec, s[30:31]
.LBB403_926:                            ;   in Loop: Header=BB403_10 Depth=1
	s_or_b64 exec, exec, s[28:29]
	v_mul_f32_e32 v8, v53, v8
	v_and_b32_e32 v9, 0x7f800000, v8
	v_cmp_ne_u32_e32 vcc, s38, v9
                                        ; implicit-def: $vgpr30
	s_and_saveexec_b64 s[28:29], vcc
	s_xor_b64 s[28:29], exec, s[28:29]
; %bb.927:                              ;   in Loop: Header=BB403_10 Depth=1
	v_bfe_u32 v9, v8, 16, 1
	v_add3_u32 v30, v8, v9, s39
                                        ; implicit-def: $vgpr8
; %bb.928:                              ;   in Loop: Header=BB403_10 Depth=1
	s_andn2_saveexec_b64 s[28:29], s[28:29]
; %bb.929:                              ;   in Loop: Header=BB403_10 Depth=1
	v_or_b32_e32 v9, 0x10000, v8
	v_cmp_eq_u32_sdwa vcc, v8, v49 src0_sel:WORD_0 src1_sel:DWORD
	v_cndmask_b32_e32 v30, v9, v8, vcc
; %bb.930:                              ;   in Loop: Header=BB403_10 Depth=1
	s_or_b64 exec, exec, s[28:29]
	v_add_co_u32_e32 v8, vcc, 0x1600, v20
	v_addc_co_u32_e32 v9, vcc, 0, v21, vcc
	flat_load_dword v20, v[8:9] offset:8
	v_mov_b32_e32 v8, 0
	s_waitcnt vmcnt(0) lgkmcnt(0)
	v_cmp_ne_u16_sdwa vcc, v20, v49 src0_sel:BYTE_0 src1_sel:DWORD
	s_and_saveexec_b64 s[28:29], vcc
	s_cbranch_execz .LBB403_936
; %bb.931:                              ;   in Loop: Header=BB403_10 Depth=1
	v_cmp_ne_u16_sdwa vcc, v20, s21 src0_sel:BYTE_0 src1_sel:DWORD
	v_bfrev_b32_e32 v8, 1
	s_and_saveexec_b64 s[30:31], vcc
	s_cbranch_execz .LBB403_935
; %bb.932:                              ;   in Loop: Header=BB403_10 Depth=1
	v_and_b32_e32 v9, 0x7f, v20
	v_cmp_ne_u32_e32 vcc, s37, v9
	v_mov_b32_e32 v8, 0x7f800001
	s_and_saveexec_b64 s[34:35], vcc
	s_cbranch_execz .LBB403_934
; %bb.933:                              ;   in Loop: Header=BB403_10 Depth=1
	v_and_b32_e32 v13, 7, v20
	v_ffbh_u32_e32 v8, v13
	v_min_u32_e32 v28, 32, v8
	v_lshrrev_b32_e32 v21, 3, v9
	v_subrev_u32_e32 v8, 28, v28
	v_cmp_gt_u32_e32 vcc, 8, v9
	v_lshlrev_b64 v[8:9], v8, v[20:21]
	v_sub_u32_e32 v9, 29, v28
	v_and_b32_e32 v8, 7, v8
	v_cndmask_b32_e32 v9, v21, v9, vcc
	v_cndmask_b32_e32 v8, v13, v8, vcc
	v_lshlrev_b32_e32 v13, 24, v20
	v_lshlrev_b32_e32 v8, 20, v8
	v_and_b32_e32 v13, 0x80000000, v13
	v_lshl_add_u32 v9, v9, 23, v50
	v_or3_b32 v8, v13, v9, v8
.LBB403_934:                            ;   in Loop: Header=BB403_10 Depth=1
	s_or_b64 exec, exec, s[34:35]
.LBB403_935:                            ;   in Loop: Header=BB403_10 Depth=1
	s_or_b64 exec, exec, s[30:31]
.LBB403_936:                            ;   in Loop: Header=BB403_10 Depth=1
	s_or_b64 exec, exec, s[28:29]
	v_mul_f32_e32 v8, v53, v8
	v_and_b32_e32 v9, 0x7f800000, v8
	v_cmp_ne_u32_e32 vcc, s38, v9
                                        ; implicit-def: $vgpr21
	s_and_saveexec_b64 s[28:29], vcc
	s_xor_b64 s[28:29], exec, s[28:29]
; %bb.937:                              ;   in Loop: Header=BB403_10 Depth=1
	v_bfe_u32 v9, v8, 16, 1
	v_add3_u32 v21, v8, v9, s39
                                        ; implicit-def: $vgpr8
; %bb.938:                              ;   in Loop: Header=BB403_10 Depth=1
	s_andn2_saveexec_b64 s[28:29], s[28:29]
; %bb.939:                              ;   in Loop: Header=BB403_10 Depth=1
	v_or_b32_e32 v9, 0x10000, v8
	v_cmp_eq_u32_sdwa vcc, v8, v49 src0_sel:WORD_0 src1_sel:DWORD
	v_cndmask_b32_e32 v21, v9, v8, vcc
; %bb.940:                              ;   in Loop: Header=BB403_10 Depth=1
	s_or_b64 exec, exec, s[28:29]
	v_lshrrev_b16_e32 v28, 8, v20
	v_cmp_ne_u16_e32 vcc, 0, v28
	v_mov_b32_e32 v8, 0
	s_and_saveexec_b64 s[28:29], vcc
	s_cbranch_execz .LBB403_946
; %bb.941:                              ;   in Loop: Header=BB403_10 Depth=1
	v_cmp_ne_u16_e32 vcc, s21, v28
	v_bfrev_b32_e32 v8, 1
	s_and_saveexec_b64 s[30:31], vcc
	s_cbranch_execz .LBB403_945
; %bb.942:                              ;   in Loop: Header=BB403_10 Depth=1
	v_and_b32_e32 v9, 0x7f, v28
	v_cmp_ne_u32_e32 vcc, s37, v9
	v_mov_b32_e32 v8, 0x7f800001
	s_and_saveexec_b64 s[34:35], vcc
	s_cbranch_execz .LBB403_944
; %bb.943:                              ;   in Loop: Header=BB403_10 Depth=1
	buffer_load_dword a31, off, s[0:3], s32 offset:580 ; 4-byte Folded Reload
	v_and_b32_e32 v13, 7, v28
	v_ffbh_u32_e32 v8, v13
	v_accvgpr_write_b32 a18, v36
	v_min_u32_e32 v36, 32, v8
	v_subrev_u32_e32 v8, 28, v36
	v_lshrrev_b32_e32 v54, 3, v9
	v_cmp_gt_u32_e32 vcc, 8, v9
	v_lshlrev_b64 v[8:9], v8, v[28:29]
	v_sub_u32_e32 v9, 29, v36
	v_and_b32_e32 v8, 7, v8
	v_cndmask_b32_e32 v9, v54, v9, vcc
	v_cndmask_b32_e32 v8, v13, v8, vcc
	v_lshlrev_b32_e32 v13, 16, v20
	v_lshlrev_b32_e32 v8, 20, v8
	v_and_b32_e32 v13, 0x80000000, v13
	v_lshl_add_u32 v9, v9, 23, v50
	v_accvgpr_read_b32 v36, a18
	v_or3_b32 v8, v13, v9, v8
.LBB403_944:                            ;   in Loop: Header=BB403_10 Depth=1
	s_or_b64 exec, exec, s[34:35]
.LBB403_945:                            ;   in Loop: Header=BB403_10 Depth=1
	s_or_b64 exec, exec, s[30:31]
.LBB403_946:                            ;   in Loop: Header=BB403_10 Depth=1
	s_or_b64 exec, exec, s[28:29]
	v_mul_f32_e32 v8, v53, v8
	v_and_b32_e32 v9, 0x7f800000, v8
	v_cmp_ne_u32_e32 vcc, s38, v9
                                        ; implicit-def: $vgpr13
	s_and_saveexec_b64 s[28:29], vcc
	s_xor_b64 s[28:29], exec, s[28:29]
; %bb.947:                              ;   in Loop: Header=BB403_10 Depth=1
	v_bfe_u32 v9, v8, 16, 1
	v_add3_u32 v13, v8, v9, s39
                                        ; implicit-def: $vgpr8
; %bb.948:                              ;   in Loop: Header=BB403_10 Depth=1
	s_andn2_saveexec_b64 s[28:29], s[28:29]
; %bb.949:                              ;   in Loop: Header=BB403_10 Depth=1
	v_or_b32_e32 v9, 0x10000, v8
	v_cmp_eq_u32_sdwa vcc, v8, v49 src0_sel:WORD_0 src1_sel:DWORD
	v_cndmask_b32_e32 v13, v9, v8, vcc
; %bb.950:                              ;   in Loop: Header=BB403_10 Depth=1
	s_or_b64 exec, exec, s[28:29]
	v_lshrrev_b32_e32 v28, 16, v20
	v_cmp_ne_u16_sdwa vcc, v28, v49 src0_sel:BYTE_0 src1_sel:DWORD
	v_mov_b32_e32 v8, 0
	s_and_saveexec_b64 s[28:29], vcc
	s_cbranch_execz .LBB403_956
; %bb.951:                              ;   in Loop: Header=BB403_10 Depth=1
	v_cmp_ne_u16_sdwa vcc, v28, s21 src0_sel:BYTE_0 src1_sel:DWORD
	v_bfrev_b32_e32 v8, 1
	s_and_saveexec_b64 s[30:31], vcc
	s_cbranch_execz .LBB403_955
; %bb.952:                              ;   in Loop: Header=BB403_10 Depth=1
	v_bfe_u32 v9, v20, 16, 7
	v_cmp_ne_u32_e32 vcc, s37, v9
	v_mov_b32_e32 v8, 0x7f800001
	s_and_saveexec_b64 s[34:35], vcc
	s_cbranch_execz .LBB403_954
; %bb.953:                              ;   in Loop: Header=BB403_10 Depth=1
	s_waitcnt vmcnt(0)
	v_accvgpr_write_b32 a31, v36
	v_and_b32_e32 v36, 7, v28
	v_ffbh_u32_e32 v8, v36
	v_accvgpr_write_b32 a18, v25
	v_min_u32_e32 v25, 32, v8
	v_subrev_u32_e32 v8, 28, v25
	v_lshrrev_b32_e32 v54, 3, v9
	v_cmp_gt_u32_e32 vcc, 8, v9
	v_lshlrev_b64 v[8:9], v8, v[28:29]
	v_and_b32_e32 v8, 7, v8
	v_cndmask_b32_e32 v8, v36, v8, vcc
	v_accvgpr_read_b32 v36, a31
	buffer_load_dword a31, off, s[0:3], s32 offset:580 ; 4-byte Folded Reload
	v_sub_u32_e32 v9, 29, v25
	v_cndmask_b32_e32 v9, v54, v9, vcc
	v_lshlrev_b32_e32 v25, 24, v28
	v_lshlrev_b32_e32 v8, 20, v8
	v_and_b32_e32 v25, 0x80000000, v25
	v_lshl_add_u32 v9, v9, 23, v50
	v_or3_b32 v8, v25, v9, v8
	v_accvgpr_read_b32 v25, a18
.LBB403_954:                            ;   in Loop: Header=BB403_10 Depth=1
	s_or_b64 exec, exec, s[34:35]
.LBB403_955:                            ;   in Loop: Header=BB403_10 Depth=1
	s_or_b64 exec, exec, s[30:31]
.LBB403_956:                            ;   in Loop: Header=BB403_10 Depth=1
	s_or_b64 exec, exec, s[28:29]
	v_mul_f32_e32 v8, v53, v8
	v_and_b32_e32 v9, 0x7f800000, v8
	v_cmp_ne_u32_e32 vcc, s38, v9
                                        ; implicit-def: $vgpr54
	s_and_saveexec_b64 s[28:29], vcc
	s_xor_b64 s[28:29], exec, s[28:29]
; %bb.957:                              ;   in Loop: Header=BB403_10 Depth=1
	v_bfe_u32 v9, v8, 16, 1
	v_add3_u32 v54, v8, v9, s39
                                        ; implicit-def: $vgpr8
; %bb.958:                              ;   in Loop: Header=BB403_10 Depth=1
	s_andn2_saveexec_b64 s[28:29], s[28:29]
; %bb.959:                              ;   in Loop: Header=BB403_10 Depth=1
	v_or_b32_e32 v9, 0x10000, v8
	v_cmp_eq_u32_sdwa vcc, v8, v49 src0_sel:WORD_0 src1_sel:DWORD
	v_cndmask_b32_e32 v54, v9, v8, vcc
; %bb.960:                              ;   in Loop: Header=BB403_10 Depth=1
	s_or_b64 exec, exec, s[28:29]
	v_cmp_lt_u32_e32 vcc, s40, v20
	v_mov_b32_e32 v8, 0
	s_and_saveexec_b64 s[28:29], vcc
	s_cbranch_execz .LBB403_966
; %bb.961:                              ;   in Loop: Header=BB403_10 Depth=1
	v_lshrrev_b32_e32 v28, 24, v20
	v_cmp_ne_u32_e32 vcc, s21, v28
	v_bfrev_b32_e32 v8, 1
	s_and_saveexec_b64 s[30:31], vcc
	s_cbranch_execz .LBB403_965
; %bb.962:                              ;   in Loop: Header=BB403_10 Depth=1
	v_bfe_u32 v9, v20, 24, 7
	v_cmp_ne_u32_e32 vcc, s37, v9
	v_mov_b32_e32 v8, 0x7f800001
	s_and_saveexec_b64 s[34:35], vcc
	s_cbranch_execz .LBB403_964
; %bb.963:                              ;   in Loop: Header=BB403_10 Depth=1
	v_and_b32_e32 v20, 7, v28
	v_ffbh_u32_e32 v8, v20
	s_waitcnt vmcnt(0)
	v_accvgpr_write_b32 a31, v36
	v_min_u32_e32 v36, 32, v8
	v_subrev_u32_e32 v8, 28, v36
	v_accvgpr_write_b32 a18, v25
	v_lshrrev_b32_e32 v25, 3, v9
	v_cmp_gt_u32_e32 vcc, 8, v9
	v_lshlrev_b64 v[8:9], v8, v[28:29]
	v_sub_u32_e32 v9, 29, v36
	v_accvgpr_read_b32 v36, a31
	buffer_load_dword a31, off, s[0:3], s32 offset:580 ; 4-byte Folded Reload
	v_and_b32_e32 v8, 7, v8
	v_cndmask_b32_e32 v9, v25, v9, vcc
	v_cndmask_b32_e32 v8, v20, v8, vcc
	v_lshlrev_b32_e32 v20, 24, v28
	v_lshlrev_b32_e32 v8, 20, v8
	v_and_b32_e32 v20, 0x80000000, v20
	v_lshl_add_u32 v9, v9, 23, v50
	v_accvgpr_read_b32 v25, a18
	v_or3_b32 v8, v20, v9, v8
.LBB403_964:                            ;   in Loop: Header=BB403_10 Depth=1
	s_or_b64 exec, exec, s[34:35]
.LBB403_965:                            ;   in Loop: Header=BB403_10 Depth=1
	s_or_b64 exec, exec, s[30:31]
.LBB403_966:                            ;   in Loop: Header=BB403_10 Depth=1
	s_or_b64 exec, exec, s[28:29]
	v_mul_f32_e32 v8, v53, v8
	v_and_b32_e32 v9, 0x7f800000, v8
	v_cmp_ne_u32_e32 vcc, s38, v9
                                        ; implicit-def: $vgpr20
	s_and_saveexec_b64 s[28:29], vcc
	s_xor_b64 s[28:29], exec, s[28:29]
; %bb.967:                              ;   in Loop: Header=BB403_10 Depth=1
	v_bfe_u32 v9, v8, 16, 1
	v_add3_u32 v20, v8, v9, s39
                                        ; implicit-def: $vgpr8
; %bb.968:                              ;   in Loop: Header=BB403_10 Depth=1
	s_andn2_saveexec_b64 s[28:29], s[28:29]
; %bb.969:                              ;   in Loop: Header=BB403_10 Depth=1
	v_or_b32_e32 v9, 0x10000, v8
	v_cmp_eq_u32_sdwa vcc, v8, v49 src0_sel:WORD_0 src1_sel:DWORD
	v_cndmask_b32_e32 v20, v9, v8, vcc
; %bb.970:                              ;   in Loop: Header=BB403_10 Depth=1
	s_or_b64 exec, exec, s[28:29]
	v_and_b32_e32 v9, 0xffff0000, v25
	buffer_load_dword v25, off, s[0:3], s32 offset:216 ; 4-byte Folded Reload
	v_accvgpr_read_b32 v8, a13
	v_and_b32_e32 v8, 0xffff0000, v8
	v_and_b32_e32 v24, 0xffff0000, v24
	;; [unrolled: 1-line block ×5, first 2 shown]
	s_waitcnt vmcnt(0)
	v_mul_f32_e32 v28, v25, v8
	buffer_load_dword v25, off, s[0:3], s32 offset:220 ; 4-byte Folded Reload
	v_accvgpr_read_b32 v8, a31
	v_fmac_f32_e32 v28, v8, v9
	v_accvgpr_read_b32 v8, a41
	v_and_b32_e32 v8, 0xffff0000, v8
	v_and_b32_e32 v9, 0xffff0000, v36
	buffer_load_dword v36, off, s[0:3], s32 offset:228 ; 4-byte Folded Reload
	s_waitcnt vmcnt(1)
	v_mul_f32_e32 v53, v25, v8
	buffer_load_dword v8, off, s[0:3], s32 offset:204 ; 4-byte Folded Reload
	buffer_load_dword v25, off, s[0:3], s32 offset:224 ; 4-byte Folded Reload
	s_waitcnt vmcnt(1)
	v_fmac_f32_e32 v53, v8, v9
	v_accvgpr_read_b32 v8, a9
	v_and_b32_e32 v8, 0xffff0000, v8
	s_waitcnt vmcnt(0)
	v_mul_f32_e32 v8, v25, v8
	buffer_load_dword v25, off, s[0:3], s32 offset:208 ; 4-byte Folded Reload
	v_accvgpr_read_b32 v9, a15
	v_and_b32_e32 v9, 0xffff0000, v9
	s_waitcnt vmcnt(0)
	v_fmac_f32_e32 v8, v25, v9
	v_accvgpr_read_b32 v9, a12
	v_and_b32_e32 v9, 0xffff0000, v9
	v_mul_f32_e32 v9, v36, v9
	buffer_load_dword v36, off, s[0:3], s32 offset:212 ; 4-byte Folded Reload
	v_accvgpr_read_b32 v25, a16
	v_and_b32_e32 v25, 0xffff0000, v25
	s_waitcnt vmcnt(0)
	v_fmac_f32_e32 v9, v36, v25
	buffer_load_dword v36, off, s[0:3], s32 offset:232 ; 4-byte Folded Reload
	v_accvgpr_read_b32 v25, a10
	v_and_b32_e32 v25, 0xffff0000, v25
	s_waitcnt vmcnt(0)
	v_fmac_f32_e32 v28, v36, v25
	;; [unrolled: 5-line block ×40, first 2 shown]
	buffer_load_dword v25, off, s[0:3], s32 offset:412 ; 4-byte Folded Reload
	s_waitcnt vmcnt(0)
	v_fmac_f32_e32 v9, v25, v24
	buffer_load_dword v25, off, s[0:3], s32 offset:416 ; 4-byte Folded Reload
	v_and_b32_e32 v24, 0xffff0000, v52
	s_waitcnt vmcnt(0)
	v_fmac_f32_e32 v28, v25, v24
	buffer_load_dword v25, off, s[0:3], s32 offset:420 ; 4-byte Folded Reload
	v_and_b32_e32 v24, 0xffff0000, v55
	s_waitcnt vmcnt(0)
	v_fmac_f32_e32 v53, v25, v24
	buffer_load_dword v25, off, s[0:3], s32 offset:424 ; 4-byte Folded Reload
	v_and_b32_e32 v24, 0xffff0000, v40
	s_waitcnt vmcnt(0)
	v_fmac_f32_e32 v8, v25, v24
	buffer_load_dword v25, off, s[0:3], s32 offset:428 ; 4-byte Folded Reload
	v_and_b32_e32 v24, 0xffff0000, v41
	s_waitcnt vmcnt(0)
	v_fmac_f32_e32 v9, v25, v24
	buffer_load_dword v25, off, s[0:3], s32 offset:432 ; 4-byte Folded Reload
	v_and_b32_e32 v24, 0xffff0000, v42
	s_waitcnt vmcnt(0)
	v_fmac_f32_e32 v28, v25, v24
	buffer_load_dword v25, off, s[0:3], s32 offset:436 ; 4-byte Folded Reload
	v_and_b32_e32 v24, 0xffff0000, v43
	s_waitcnt vmcnt(0)
	v_fmac_f32_e32 v53, v25, v24
	buffer_load_dword v25, off, s[0:3], s32 offset:440 ; 4-byte Folded Reload
	v_and_b32_e32 v24, 0xffff0000, v44
	s_waitcnt vmcnt(0)
	v_fmac_f32_e32 v8, v25, v24
	buffer_load_dword v25, off, s[0:3], s32 offset:444 ; 4-byte Folded Reload
	v_and_b32_e32 v24, 0xffff0000, v45
	s_waitcnt vmcnt(0)
	v_fmac_f32_e32 v9, v25, v24
	buffer_load_dword v25, off, s[0:3], s32 offset:448 ; 4-byte Folded Reload
	v_and_b32_e32 v24, 0xffff0000, v46
	s_waitcnt vmcnt(0)
	v_fmac_f32_e32 v28, v25, v24
	buffer_load_dword v25, off, s[0:3], s32 offset:452 ; 4-byte Folded Reload
	v_and_b32_e32 v24, 0xffff0000, v47
	s_waitcnt vmcnt(0)
	v_fmac_f32_e32 v53, v25, v24
	buffer_load_dword v25, off, s[0:3], s32 offset:456 ; 4-byte Folded Reload
	v_and_b32_e32 v24, 0xffff0000, v56
	s_waitcnt vmcnt(0)
	v_fmac_f32_e32 v8, v25, v24
	buffer_load_dword v25, off, s[0:3], s32 offset:460 ; 4-byte Folded Reload
	v_and_b32_e32 v24, 0xffff0000, v57
	s_waitcnt vmcnt(0)
	v_fmac_f32_e32 v9, v25, v24
	buffer_load_dword v25, off, s[0:3], s32 offset:464 ; 4-byte Folded Reload
	v_and_b32_e32 v24, 0xffff0000, v58
	s_waitcnt vmcnt(0)
	v_fmac_f32_e32 v28, v25, v24
	buffer_load_dword v25, off, s[0:3], s32 offset:468 ; 4-byte Folded Reload
	v_and_b32_e32 v24, 0xffff0000, v59
	s_waitcnt vmcnt(0)
	v_fmac_f32_e32 v53, v25, v24
	buffer_load_dword v25, off, s[0:3], s32 offset:472 ; 4-byte Folded Reload
	v_and_b32_e32 v24, 0xffff0000, v60
	s_waitcnt vmcnt(0)
	v_fmac_f32_e32 v8, v25, v24
	buffer_load_dword v25, off, s[0:3], s32 offset:476 ; 4-byte Folded Reload
	v_and_b32_e32 v24, 0xffff0000, v61
	s_waitcnt vmcnt(0)
	v_fmac_f32_e32 v9, v25, v24
	buffer_load_dword v25, off, s[0:3], s32 offset:480 ; 4-byte Folded Reload
	v_and_b32_e32 v24, 0xffff0000, v33
	s_waitcnt vmcnt(0)
	v_fmac_f32_e32 v28, v25, v24
	buffer_load_dword v24, off, s[0:3], s32 offset:484 ; 4-byte Folded Reload
	s_waitcnt vmcnt(0)
	v_fmac_f32_e32 v53, v24, v4
	buffer_load_dword v24, off, s[0:3], s32 offset:488 ; 4-byte Folded Reload
	v_and_b32_e32 v4, 0xffff0000, v32
	s_waitcnt vmcnt(0)
	v_fmac_f32_e32 v8, v24, v4
	v_and_b32_e32 v4, 0xffff0000, v6
	buffer_load_dword v6, off, s[0:3], s32 offset:492 ; 4-byte Folded Reload
	s_waitcnt vmcnt(0)
	v_fmac_f32_e32 v9, v6, v4
	buffer_load_dword v6, off, s[0:3], s32 offset:496 ; 4-byte Folded Reload
	v_and_b32_e32 v4, 0xffff0000, v7
	s_waitcnt vmcnt(0)
	v_fmac_f32_e32 v28, v6, v4
	buffer_load_dword v6, off, s[0:3], s32 offset:500 ; 4-byte Folded Reload
	v_and_b32_e32 v4, 0xffff0000, v23
	s_waitcnt vmcnt(0)
	v_fmac_f32_e32 v53, v6, v4
	v_and_b32_e32 v4, 0xffff0000, v5
	buffer_load_dword v5, off, s[0:3], s32 offset:504 ; 4-byte Folded Reload
	s_waitcnt vmcnt(0)
	v_fmac_f32_e32 v8, v5, v4
	buffer_load_dword v5, off, s[0:3], s32 offset:508 ; 4-byte Folded Reload
	v_and_b32_e32 v4, 0xffff0000, v11
	s_waitcnt vmcnt(0)
	v_fmac_f32_e32 v9, v5, v4
	buffer_load_dword v5, off, s[0:3], s32 offset:512 ; 4-byte Folded Reload
	v_and_b32_e32 v4, 0xffff0000, v10
	;; [unrolled: 4-line block ×3, first 2 shown]
	s_waitcnt vmcnt(0)
	v_fmac_f32_e32 v53, v5, v4
	buffer_load_dword v4, off, s[0:3], s32 offset:520 ; 4-byte Folded Reload
	s_waitcnt vmcnt(0)
	v_fmac_f32_e32 v8, v4, v1
	buffer_load_dword v1, off, s[0:3], s32 offset:524 ; 4-byte Folded Reload
	;; [unrolled: 3-line block ×3, first 2 shown]
	v_and_b32_e32 v0, 0xffff0000, v3
	s_waitcnt vmcnt(0)
	v_fmac_f32_e32 v28, v1, v0
	buffer_load_dword v1, off, s[0:3], s32 offset:532 ; 4-byte Folded Reload
	v_and_b32_e32 v0, 0xffff0000, v2
	s_waitcnt vmcnt(0)
	v_fmac_f32_e32 v53, v1, v0
	buffer_load_dword v1, off, s[0:3], s32 offset:536 ; 4-byte Folded Reload
	;; [unrolled: 4-line block ×11, first 2 shown]
	v_and_b32_e32 v0, 0xffff0000, v17
	s_waitcnt vmcnt(0)
	v_fmac_f32_e32 v9, v1, v0
	v_and_b32_e32 v0, 0xffff0000, v38
	v_accvgpr_read_b32 v1, a61
	v_fmac_f32_e32 v28, v1, v0
	v_and_b32_e32 v0, 0xffff0000, v12
	v_accvgpr_read_b32 v1, a62
	;; [unrolled: 3-line block ×8, first 2 shown]
	v_fmac_f32_e32 v9, v1, v0
	v_add_f32_e32 v0, v28, v53
	v_add_f32_e32 v0, v0, v8
	;; [unrolled: 1-line block ×3, first 2 shown]
	v_accvgpr_read_b32 v1, a2
	ds_bpermute_b32 v1, v1, v0
	s_and_saveexec_b64 s[28:29], s[6:7]
	s_cbranch_execz .LBB403_9
; %bb.971:                              ;   in Loop: Header=BB403_10 Depth=1
	s_waitcnt lgkmcnt(0)
	v_add_f32_e32 v0, v0, v1
	buffer_load_dword v1, off, s[0:3], s32 offset:576 ; 4-byte Folded Reload
	v_sub_u32_e32 v2, 1, v37
	v_add_u32_e32 v2, v2, v39
	v_cvt_f32_i32_e32 v2, v2
	s_load_dword vcc_lo, s[24:25], 0x0
	v_accvgpr_read_b32 v3, a26
	s_waitcnt vmcnt(0)
	v_mul_f32_e32 v1, v1, v2
	v_cndmask_b32_e64 v1, 0, v1, s[8:9]
	s_waitcnt lgkmcnt(0)
	v_add_u32_e32 v2, vcc_lo, v48
	v_fmac_f32_e32 v1, v0, v3
	v_cmp_lt_i32_e32 vcc, v39, v37
	v_cndmask_b32_e32 v0, 0, v1, vcc
	ds_write_b32 v2, v0
	buffer_load_dword v2, off, s[0:3], s32 offset:200 ; 4-byte Folded Reload
	s_waitcnt vmcnt(0)
	v_max_f32_e32 v0, v2, v2
	v_max_f32_e32 v0, v0, v1
	v_cndmask_b32_e32 v2, v2, v0, vcc
	buffer_store_dword v2, off, s[0:3], s32 offset:200 ; 4-byte Folded Spill
	s_branch .LBB403_9
.LBB403_972:
	s_or_b64 exec, exec, s[26:27]
	buffer_load_dword v35, off, s[0:3], s32 offset:600 ; 4-byte Folded Reload
	buffer_load_dword v36, off, s[0:3], s32 offset:596 ; 4-byte Folded Reload
	;; [unrolled: 1-line block ×21, first 2 shown]
.LBB403_973:
	s_or_b64 exec, exec, s[10:11]
	s_waitcnt vmcnt(2)
	v_xor_b32_e32 v0, 32, v12
	s_waitcnt vmcnt(1)
	v_cmp_lt_i32_e32 vcc, v0, v13
	v_cndmask_b32_e32 v0, v12, v0, vcc
	v_lshlrev_b32_e32 v2, 2, v0
	s_waitcnt vmcnt(0)
	ds_bpermute_b32 v0, v2, v3
	s_waitcnt lgkmcnt(0)
	v_max_f32_e32 v1, v3, v3
	v_xor_b32_e32 v3, 16, v12
	v_cmp_lt_i32_e32 vcc, v3, v13
	v_xor_b32_e32 v4, 8, v12
	v_max_f32_e32 v0, v0, v0
	v_max_f32_e32 v0, v1, v0
	v_cndmask_b32_e32 v1, v12, v3, vcc
	v_lshlrev_b32_e32 v3, 2, v1
	ds_bpermute_b32 v1, v3, v0
	v_cmp_lt_i32_e32 vcc, v4, v13
	v_xor_b32_e32 v5, 4, v12
	v_xor_b32_e32 v6, 2, v12
	v_and_b32_e32 v32, 63, v19
	s_waitcnt lgkmcnt(0)
	v_max_f32_e32 v1, v1, v1
	v_max_f32_e32 v0, v0, v1
	v_cndmask_b32_e32 v1, v12, v4, vcc
	v_lshlrev_b32_e32 v4, 2, v1
	ds_bpermute_b32 v1, v4, v0
	v_cmp_lt_i32_e32 vcc, v5, v13
	s_lshr_b32 s23, s23, 16
	s_waitcnt lgkmcnt(0)
	v_max_f32_e32 v1, v1, v1
	v_max_f32_e32 v0, v0, v1
	v_cndmask_b32_e32 v1, v12, v5, vcc
	v_lshlrev_b32_e32 v5, 2, v1
	ds_bpermute_b32 v1, v5, v0
	v_cmp_lt_i32_e32 vcc, v6, v13
	s_waitcnt lgkmcnt(0)
	v_max_f32_e32 v1, v1, v1
	v_max_f32_e32 v0, v0, v1
	v_cndmask_b32_e32 v1, v12, v6, vcc
	v_lshlrev_b32_e32 v23, 2, v1
	ds_bpermute_b32 v1, v23, v0
	v_cmp_eq_u32_e32 vcc, 0, v32
	v_lshlrev_b32_e32 v6, 2, v48
	s_and_saveexec_b64 s[6:7], vcc
	s_cbranch_execz .LBB403_975
; %bb.974:
	s_waitcnt lgkmcnt(0)
	v_max_f32_e32 v1, v1, v1
	v_max_f32_e32 v0, v0, v0
	;; [unrolled: 1-line block ×3, first 2 shown]
	ds_write_b32 v6, v0 offset:384
.LBB403_975:
	s_or_b64 exec, exec, s[6:7]
	v_cmp_gt_u32_e64 s[6:7], 2, v32
	v_mov_b32_e32 v0, 0xff7fffff
	v_lshlrev_b32_e32 v7, 2, v32
	s_waitcnt lgkmcnt(0)
	s_barrier
	s_and_saveexec_b64 s[8:9], s[6:7]
	s_cbranch_execz .LBB403_977
; %bb.976:
	ds_read_b32 v0, v7 offset:384
.LBB403_977:
	s_or_b64 exec, exec, s[8:9]
	buffer_load_dword v8, off, s[0:3], s32 offset:188 ; 4-byte Folded Reload
	v_xor_b32_e32 v1, 1, v12
	v_cmp_lt_i32_e64 s[8:9], v1, v13
	v_cndmask_b32_e64 v1, v12, v1, s[8:9]
	v_lshlrev_b32_e32 v33, 2, v1
	s_waitcnt lgkmcnt(0)
	ds_bpermute_b32 v1, v33, v0
	v_max_f32_e32 v0, v0, v0
	v_mov_b32_e32 v17, 0
	s_waitcnt lgkmcnt(0)
	v_max_f32_e32 v1, v1, v1
	v_max_f32_e32 v0, v0, v1
	v_lshlrev_b32_e32 v1, 2, v12
	s_waitcnt vmcnt(0)
	v_subrev_u32_e32 v8, s15, v8
	v_lshl_add_u32 v9, v8, 5, s36
	v_and_b32_e32 v8, 0xffffff00, v1
	ds_bpermute_b32 v0, v8, v0
	v_min_i32_e32 v9, v9, v37
	v_subrev_u32_e32 v1, s36, v9
	v_cmp_lt_i32_e64 s[8:9], v19, v1
	s_and_saveexec_b64 s[24:25], s[8:9]
	s_cbranch_execz .LBB403_981
; %bb.978:
	s_ashr_i32 s21, s20, 31
	s_lshl_b64 s[10:11], s[20:21], 2
	s_getpc_b64 s[26:27]
	s_add_u32 s26, s26, llvm.amdgcn.dynlds.offset.table@rel32@lo+4
	s_addc_u32 s27, s27, llvm.amdgcn.dynlds.offset.table@rel32@hi+12
	s_add_u32 s10, s10, s26
	s_addc_u32 s11, s11, s27
	s_load_dword s10, s[10:11], 0x0
	s_mov_b64 s[26:27], 0
	v_mov_b32_e32 v17, 0
	v_mov_b32_e32 v12, v19
	s_waitcnt lgkmcnt(0)
	v_lshl_add_u32 v16, v19, 2, s10
.LBB403_979:                            ; =>This Inner Loop Header: Depth=1
	ds_read_b32 v13, v16
	v_add_u32_e32 v12, 0x80, v12
	v_cmp_ge_i32_e64 s[10:11], v12, v1
	s_or_b64 s[26:27], s[10:11], s[26:27]
	s_waitcnt lgkmcnt(0)
	v_sub_f32_e32 v13, v13, v0
	v_mul_f32_e32 v13, 0x3fb8aa3b, v13
	v_exp_f32_e32 v13, v13
	ds_write_b32 v16, v13
	v_add_f32_e32 v17, v17, v13
	v_add_u32_e32 v16, 0x200, v16
	s_andn2_b64 exec, exec, s[26:27]
	s_cbranch_execnz .LBB403_979
; %bb.980:
	s_or_b64 exec, exec, s[26:27]
.LBB403_981:
	s_or_b64 exec, exec, s[24:25]
	ds_bpermute_b32 v2, v2, v17
	s_waitcnt lgkmcnt(0)
	v_add_f32_e32 v2, v17, v2
	ds_bpermute_b32 v3, v3, v2
	s_waitcnt lgkmcnt(0)
	v_add_f32_e32 v2, v2, v3
	ds_bpermute_b32 v3, v4, v2
	s_waitcnt lgkmcnt(0)
	v_add_f32_e32 v2, v2, v3
	ds_bpermute_b32 v3, v5, v2
	s_waitcnt lgkmcnt(0)
	v_add_f32_e32 v2, v2, v3
	ds_bpermute_b32 v3, v23, v2
	s_waitcnt lgkmcnt(0)
	v_add_f32_e32 v2, v2, v3
	ds_bpermute_b32 v3, v33, v2
	s_waitcnt lgkmcnt(0)
	v_add_f32_e32 v2, v2, v3
	s_and_saveexec_b64 s[10:11], vcc
	s_cbranch_execz .LBB403_983
; %bb.982:
	ds_write_b32 v6, v2 offset:392
.LBB403_983:
	s_or_b64 exec, exec, s[10:11]
	s_waitcnt lgkmcnt(0)
	s_barrier
	s_and_saveexec_b64 s[10:11], s[6:7]
	s_cbranch_execz .LBB403_985
; %bb.984:
	ds_read_b32 v2, v7 offset:392
.LBB403_985:
	s_or_b64 exec, exec, s[10:11]
	s_waitcnt lgkmcnt(0)
	ds_bpermute_b32 v3, v33, v2
	s_waitcnt lgkmcnt(0)
	v_add_f32_e32 v2, v2, v3
	ds_bpermute_b32 v2, v8, v2
	s_and_saveexec_b64 s[6:7], s[8:9]
	s_cbranch_execz .LBB403_998
; %bb.986:
	s_waitcnt lgkmcnt(0)
	v_add_f32_e32 v3, 0x358637bd, v2
	v_div_scale_f32 v4, s[8:9], v3, v3, 1.0
	v_rcp_f32_e32 v5, v4
	v_div_scale_f32 v6, vcc, 1.0, v3, 1.0
	s_movk_i32 s8, 0x7f
	v_fma_f32 v7, -v4, v5, 1.0
	v_fmac_f32_e32 v5, v7, v5
	v_mul_f32_e32 v7, v6, v5
	v_fma_f32 v8, -v4, v7, v6
	v_fmac_f32_e32 v7, v8, v5
	v_fma_f32 v4, -v4, v7, v6
	v_div_fmas_f32 v4, v4, v5, v7
	v_div_fixup_f32 v8, v4, v3, 1.0
	v_xad_u32 v3, v19, -1, v9
	v_subrev_u32_e32 v4, s36, v3
	v_cmp_lt_u32_e32 vcc, s8, v4
	s_mov_b64 s[10:11], -1
	v_mov_b32_e32 v3, v19
	s_and_saveexec_b64 s[8:9], vcc
	s_cbranch_execz .LBB403_995
; %bb.987:
	v_lshrrev_b32_e32 v3, 7, v4
	v_add_u32_e32 v5, -1, v3
	v_lshrrev_b32_e32 v4, 1, v5
	v_mov_b32_e32 v9, v8
	v_add_u32_e32 v4, 1, v4
	v_cmp_lt_u32_e32 vcc, 13, v5
	v_mov_b32_e32 v7, 0
	s_and_saveexec_b64 s[10:11], vcc
	s_cbranch_execz .LBB403_991
; %bb.988:
	s_ashr_i32 s21, s20, 31
	s_lshl_b64 s[24:25], s[20:21], 2
	s_getpc_b64 s[26:27]
	s_add_u32 s26, s26, llvm.amdgcn.dynlds.offset.table@rel32@lo+4
	s_addc_u32 s27, s27, llvm.amdgcn.dynlds.offset.table@rel32@hi+12
	s_add_u32 s24, s24, s26
	s_addc_u32 s25, s25, s27
	s_load_dword s21, s[24:25], 0x0
	v_and_b32_e32 v5, -8, v4
	s_mov_b32 s15, 0
	s_mov_b64 s[24:25], 0
	s_waitcnt lgkmcnt(0)
	v_lshl_add_u32 v6, v19, 2, s21
.LBB403_989:                            ; =>This Inner Loop Header: Depth=1
	ds_read2st64_b32 v[24:25], v6 offset1:2
	ds_read2st64_b32 v[12:13], v6 offset0:4 offset1:6
	ds_read2st64_b32 v[20:21], v6 offset0:8 offset1:10
	;; [unrolled: 1-line block ×3, first 2 shown]
	v_add_u32_e32 v5, -8, v5
	s_waitcnt lgkmcnt(3)
	v_pk_mul_f32 v[24:25], v[8:9], v[24:25]
	s_waitcnt lgkmcnt(2)
	v_pk_mul_f32 v[12:13], v[8:9], v[12:13]
	ds_write2st64_b32 v6, v24, v25 offset1:2
	ds_write2st64_b32 v6, v12, v13 offset0:4 offset1:6
	ds_read2st64_b32 v[12:13], v6 offset0:16 offset1:18
	s_waitcnt lgkmcnt(4)
	v_pk_mul_f32 v[20:21], v[8:9], v[20:21]
	s_waitcnt lgkmcnt(3)
	v_pk_mul_f32 v[16:17], v[8:9], v[16:17]
	ds_write2st64_b32 v6, v20, v21 offset0:8 offset1:10
	ds_write2st64_b32 v6, v16, v17 offset0:12 offset1:14
	s_waitcnt lgkmcnt(2)
	v_pk_mul_f32 v[12:13], v[8:9], v[12:13]
	ds_read2st64_b32 v[20:21], v6 offset0:20 offset1:22
	ds_read2st64_b32 v[16:17], v6 offset0:24 offset1:26
	ds_write2st64_b32 v6, v12, v13 offset0:16 offset1:18
	ds_read2st64_b32 v[12:13], v6 offset0:28 offset1:30
	s_add_i32 s15, s15, 16
	s_waitcnt lgkmcnt(3)
	v_pk_mul_f32 v[20:21], v[8:9], v[20:21]
	s_waitcnt lgkmcnt(2)
	v_pk_mul_f32 v[16:17], v[8:9], v[16:17]
	v_cmp_eq_u32_e32 vcc, 0, v5
	s_waitcnt lgkmcnt(0)
	v_pk_mul_f32 v[12:13], v[8:9], v[12:13]
	ds_write2st64_b32 v6, v20, v21 offset0:20 offset1:22
	ds_write2st64_b32 v6, v16, v17 offset0:24 offset1:26
	;; [unrolled: 1-line block ×3, first 2 shown]
	v_add_u32_e32 v6, 0x2000, v6
	s_or_b64 s[24:25], vcc, s[24:25]
	v_mov_b32_e32 v7, s15
	s_andn2_b64 exec, exec, s[24:25]
	s_cbranch_execnz .LBB403_989
; %bb.990:
	s_or_b64 exec, exec, s[24:25]
.LBB403_991:
	s_or_b64 exec, exec, s[10:11]
	v_and_b32_e32 v4, 7, v4
	v_cmp_ne_u32_e32 vcc, 0, v4
	s_and_saveexec_b64 s[10:11], vcc
	s_cbranch_execz .LBB403_994
; %bb.992:
	s_ashr_i32 s21, s20, 31
	s_lshl_b64 s[24:25], s[20:21], 2
	s_getpc_b64 s[26:27]
	s_add_u32 s26, s26, llvm.amdgcn.dynlds.offset.table@rel32@lo+4
	s_addc_u32 s27, s27, llvm.amdgcn.dynlds.offset.table@rel32@hi+12
	s_add_u32 s24, s24, s26
	s_addc_u32 s25, s25, s27
	s_load_dword s15, s[24:25], 0x0
	v_lshlrev_b32_e32 v5, 9, v7
	v_lshlrev_b32_e32 v6, 2, v19
	s_mov_b64 s[24:25], 0
	s_waitcnt lgkmcnt(0)
	v_add3_u32 v5, v5, v6, s15
.LBB403_993:                            ; =>This Inner Loop Header: Depth=1
	ds_read2st64_b32 v[6:7], v5 offset1:2
	v_add_u32_e32 v4, -1, v4
	v_cmp_eq_u32_e32 vcc, 0, v4
	s_or_b64 s[24:25], vcc, s[24:25]
	s_waitcnt lgkmcnt(0)
	v_pk_mul_f32 v[6:7], v[8:9], v[6:7]
	ds_write2st64_b32 v5, v6, v7 offset1:2
	v_add_u32_e32 v5, 0x400, v5
	s_andn2_b64 exec, exec, s[24:25]
	s_cbranch_execnz .LBB403_993
.LBB403_994:
	s_or_b64 exec, exec, s[10:11]
	v_add_u32_e32 v4, 1, v3
	v_and_b32_e32 v5, 0x3fffffe, v4
	v_cmp_ne_u32_e32 vcc, v4, v5
	v_lshl_add_u32 v3, v5, 7, v19
	s_orn2_b64 s[10:11], vcc, exec
.LBB403_995:
	s_or_b64 exec, exec, s[8:9]
	s_and_b64 exec, exec, s[10:11]
	s_cbranch_execz .LBB403_998
; %bb.996:
	s_ashr_i32 s21, s20, 31
	s_lshl_b64 s[8:9], s[20:21], 2
	s_getpc_b64 s[10:11]
	s_add_u32 s10, s10, llvm.amdgcn.dynlds.offset.table@rel32@lo+4
	s_addc_u32 s11, s11, llvm.amdgcn.dynlds.offset.table@rel32@hi+12
	s_add_u32 s8, s8, s10
	s_addc_u32 s9, s9, s11
	s_load_dword s8, s[8:9], 0x0
	s_waitcnt lgkmcnt(0)
	v_lshl_add_u32 v4, v3, 2, s8
	s_mov_b64 s[8:9], 0
.LBB403_997:                            ; =>This Inner Loop Header: Depth=1
	ds_read_b32 v5, v4
	v_add_u32_e32 v3, 0x80, v3
	v_cmp_ge_i32_e32 vcc, v3, v1
	s_or_b64 s[8:9], vcc, s[8:9]
	s_waitcnt lgkmcnt(0)
	v_mul_f32_e32 v5, v8, v5
	ds_write_b32 v4, v5
	v_add_u32_e32 v4, 0x200, v4
	s_andn2_b64 exec, exec, s[8:9]
	s_cbranch_execnz .LBB403_997
.LBB403_998:
	s_or_b64 exec, exec, s[6:7]
	v_cmp_ne_u16_e64 s[6:7], s23, 0
	s_cmp_lg_u64 s[6:7], 0
	s_addc_u32 s23, s13, 0
	v_cmp_eq_u32_e32 vcc, 0, v19
	s_waitcnt lgkmcnt(0)
	s_barrier
	s_and_saveexec_b64 s[6:7], vcc
	s_cbranch_execz .LBB403_1000
; %bb.999:
	s_mul_i32 s8, s23, s18
	s_mul_i32 s8, s8, s19
	;; [unrolled: 1-line block ×3, first 2 shown]
	s_ashr_i32 s9, s8, 31
	s_ashr_i32 s11, s10, 31
	;; [unrolled: 1-line block ×3, first 2 shown]
	s_lshl_b64 s[8:9], s[8:9], 2
	s_lshl_b64 s[10:11], s[10:11], 2
	;; [unrolled: 1-line block ×3, first 2 shown]
	s_add_u32 s10, s12, s10
	s_addc_u32 s11, s13, s11
	s_add_u32 s8, s10, s8
	s_addc_u32 s9, s11, s9
	v_mov_b32_e32 v1, s9
	v_add_co_u32_e32 v4, vcc, s8, v38
	v_addc_co_u32_e32 v5, vcc, v1, v34, vcc
	flat_store_dword v[4:5], v0
	v_add_co_u32_e32 v0, vcc, s8, v30
	v_addc_co_u32_e32 v1, vcc, v1, v22, vcc
	flat_store_dword v[0:1], v2
.LBB403_1000:
	s_or_b64 exec, exec, s[6:7]
	v_mov_b32_e32 v30, 0
	v_and_b32_e32 v34, 3, v19
	v_mov_b32_e32 v31, 0
	v_mov_b32_e32 v28, 0
	;; [unrolled: 1-line block ×11, first 2 shown]
	s_and_saveexec_b64 s[6:7], s[4:5]
	s_cbranch_execz .LBB403_2404
; %bb.1001:
	buffer_store_dword v33, off, s[0:3], s32 offset:296 ; 4-byte Folded Spill
	buffer_store_dword v23, off, s[0:3], s32 offset:292 ; 4-byte Folded Spill
	;; [unrolled: 1-line block ×3, first 2 shown]
	buffer_load_dword v0, off, s[0:3], s32 offset:592 ; 4-byte Folded Reload
	buffer_load_dword v1, off, s[0:3], s32 offset:588 ; 4-byte Folded Reload
	s_ashr_i32 s21, s20, 31
	s_lshl_b64 s[4:5], s[20:21], 2
	s_getpc_b64 s[8:9]
	s_add_u32 s8, s8, llvm.amdgcn.dynlds.offset.table@rel32@lo+4
	s_addc_u32 s9, s9, llvm.amdgcn.dynlds.offset.table@rel32@hi+12
	s_add_u32 s4, s4, s8
	s_addc_u32 s5, s5, s9
	flat_load_dword v27, v[26:27]
	s_load_dword s4, s[4:5], 0x0
	v_and_b32_e32 v2, 24, v39
	s_mov_b32 s8, -1
	s_mov_b32 s9, 0xffffff
	v_add_u32_e32 v62, -1, v49
	v_mov_b32_e32 v33, 0
	s_mov_b64 s[10:11], 0
	s_mov_b32 s15, 0x7f800000
	s_movk_i32 s21, 0x7fff
	s_movk_i32 s28, 0x80
	;; [unrolled: 1-line block ×3, first 2 shown]
	v_mov_b32_e32 v13, 0
	v_mov_b32_e32 v12, 0
	;; [unrolled: 1-line block ×12, first 2 shown]
	s_waitcnt vmcnt(0)
	v_add_co_u32_e32 v0, vcc, v10, v0
	v_addc_co_u32_e32 v1, vcc, v11, v1, vcc
	buffer_store_dword v0, off, s[0:3], s32 offset:240 ; 4-byte Folded Spill
	s_nop 0
	buffer_store_dword v1, off, s[0:3], s32 offset:244 ; 4-byte Folded Spill
	v_and_b32_e32 v0, 0x1f8, v39
	v_or_b32_e32 v4, 0x1000, v0
	buffer_store_dword v4, off, s[0:3], s32 offset:248 ; 4-byte Folded Spill
	s_nop 0
	buffer_store_dword v5, off, s[0:3], s32 offset:252 ; 4-byte Folded Spill
	v_or_b32_e32 v4, 0x1200, v0
	buffer_store_dword v4, off, s[0:3], s32 offset:256 ; 4-byte Folded Spill
	s_nop 0
	buffer_store_dword v5, off, s[0:3], s32 offset:260 ; 4-byte Folded Spill
	;; [unrolled: 4-line block ×3, first 2 shown]
	v_mov_b32_e32 v4, v0
	v_or_b32_e32 v0, 0x1600, v0
	buffer_store_dword v4, off, s[0:3], s32 offset:272 ; 4-byte Folded Spill
	s_nop 0
	buffer_store_dword v5, off, s[0:3], s32 offset:276 ; 4-byte Folded Spill
	buffer_store_dword v0, off, s[0:3], s32 offset:280 ; 4-byte Folded Spill
	s_nop 0
	buffer_store_dword v1, off, s[0:3], s32 offset:284 ; 4-byte Folded Spill
	v_accvgpr_read_b32 v0, a6
	v_accvgpr_read_b32 v1, a7
	v_lshlrev_b64 v[0:1], 2, v[0:1]
	v_add_co_u32_e32 v0, vcc, v50, v0
	v_addc_co_u32_e32 v1, vcc, v51, v1, vcc
	v_add_co_u32_e32 v14, vcc, v14, v0
	v_lshl_add_u32 v0, v48, 5, s36
	v_add3_u32 v17, v0, v2, 7
	v_lshlrev_b32_e32 v0, 5, v34
	v_lshl_or_b32 v0, v48, 7, v0
	v_addc_co_u32_e32 v15, vcc, v15, v1, vcc
	s_waitcnt lgkmcnt(0)
	v_add_u32_e32 v53, s4, v0
	buffer_store_dword v34, off, s[0:3], s32 offset:304 ; 4-byte Folded Spill
	buffer_store_dword v62, off, s[0:3], s32 offset:288 ; 4-byte Folded Spill
	s_branch .LBB403_1003
.LBB403_1002:                           ;   in Loop: Header=BB403_1003 Depth=1
	s_or_b64 exec, exec, s[4:5]
	v_and_b32_e32 v6, 0xffff0000, v6
	v_and_b32_e32 v3, 0xffff0000, v3
	v_add_f32_e32 v3, v3, v6
	v_and_b32_e32 v6, 0xffff0000, v38
	v_and_b32_e32 v16, 0xffff0000, v16
	v_add_f32_e32 v6, v16, v6
	v_add_f32_e32 v3, v3, v6
	v_and_b32_e32 v6, 0xffff0000, v26
	v_and_b32_e32 v16, 0xffff0000, v48
	v_add_f32_e32 v6, v16, v6
	v_add_f32_e32 v3, v3, v6
	v_and_b32_e32 v6, 0xffff0000, v39
	v_and_b32_e32 v10, 0xffff0000, v10
	v_add_f32_e32 v6, v6, v10
	v_add_f32_e32 v3, v3, v6
	v_add_f32_e32 v12, v12, v3
	v_and_b32_e32 v3, 0xffff0000, v45
	v_and_b32_e32 v6, 0xffff0000, v44
	v_add_f32_e32 v3, v6, v3
	v_and_b32_e32 v6, 0xffff0000, v52
	v_and_b32_e32 v10, 0xffff0000, v51
	v_add_f32_e32 v6, v10, v6
	v_add_f32_e32 v3, v3, v6
	v_and_b32_e32 v6, 0xffff0000, v8
	v_and_b32_e32 v7, 0xffff0000, v7
	v_add_f32_e32 v6, v7, v6
	v_add_f32_e32 v3, v3, v6
	v_and_b32_e32 v6, 0xffff0000, v34
	v_and_b32_e32 v7, 0xffff0000, v36
	v_add_f32_e32 v6, v6, v7
	v_add_f32_e32 v3, v3, v6
	v_add_f32_e32 v19, v19, v3
	;; [unrolled: 16-line block ×3, first 2 shown]
	v_accvgpr_read_b32 v3, a19
	v_accvgpr_read_b32 v6, a17
	v_and_b32_e32 v3, 0xffff0000, v3
	v_and_b32_e32 v6, 0xffff0000, v6
	v_add_f32_e32 v3, v6, v3
	v_accvgpr_read_b32 v6, a23
	v_accvgpr_read_b32 v7, a21
	v_and_b32_e32 v6, 0xffff0000, v6
	v_and_b32_e32 v7, 0xffff0000, v7
	v_add_f32_e32 v6, v7, v6
	v_add_f32_e32 v3, v3, v6
	v_accvgpr_read_b32 v6, a25
	v_accvgpr_read_b32 v7, a24
	v_and_b32_e32 v6, 0xffff0000, v6
	v_and_b32_e32 v7, 0xffff0000, v7
	v_add_f32_e32 v6, v7, v6
	v_add_f32_e32 v3, v3, v6
	v_accvgpr_read_b32 v6, a35
	v_accvgpr_read_b32 v7, a36
	v_and_b32_e32 v6, 0xffff0000, v6
	v_and_b32_e32 v7, 0xffff0000, v7
	v_add_f32_e32 v6, v6, v7
	v_add_f32_e32 v3, v3, v6
	v_add_f32_e32 v21, v21, v3
	v_accvgpr_read_b32 v3, a18
	v_accvgpr_read_b32 v6, a16
	v_and_b32_e32 v3, 0xffff0000, v3
	v_and_b32_e32 v6, 0xffff0000, v6
	v_add_f32_e32 v3, v6, v3
	v_accvgpr_read_b32 v6, a14
	v_accvgpr_read_b32 v7, a20
	v_and_b32_e32 v6, 0xffff0000, v6
	v_and_b32_e32 v7, 0xffff0000, v7
	v_add_f32_e32 v6, v7, v6
	v_add_f32_e32 v3, v3, v6
	v_accvgpr_read_b32 v6, a4
	v_accvgpr_read_b32 v7, a22
	v_and_b32_e32 v6, 0xffff0000, v6
	v_and_b32_e32 v7, 0xffff0000, v7
	v_add_f32_e32 v6, v7, v6
	v_add_f32_e32 v3, v3, v6
	v_accvgpr_read_b32 v6, a13
	v_accvgpr_read_b32 v7, a15
	v_and_b32_e32 v6, 0xffff0000, v6
	v_and_b32_e32 v7, 0xffff0000, v7
	v_add_f32_e32 v6, v6, v7
	v_add_f32_e32 v3, v3, v6
	v_add_f32_e32 v20, v20, v3
	;; [unrolled: 24-line block ×3, first 2 shown]
	v_accvgpr_read_b32 v3, a58
	v_accvgpr_read_b32 v6, a57
	v_and_b32_e32 v3, 0xffff0000, v3
	v_and_b32_e32 v6, 0xffff0000, v6
	v_add_f32_e32 v3, v6, v3
	v_accvgpr_read_b32 v6, a60
	v_accvgpr_read_b32 v7, a59
	v_and_b32_e32 v6, 0xffff0000, v6
	v_and_b32_e32 v7, 0xffff0000, v7
	v_add_f32_e32 v6, v7, v6
	v_add_f32_e32 v3, v3, v6
	v_accvgpr_read_b32 v6, a62
	v_accvgpr_read_b32 v7, a61
	v_and_b32_e32 v6, 0xffff0000, v6
	v_and_b32_e32 v7, 0xffff0000, v7
	v_add_f32_e32 v6, v7, v6
	;; [unrolled: 6-line block ×3, first 2 shown]
	v_add_f32_e32 v3, v3, v6
	v_accvgpr_read_b32 v7, a52
	v_accvgpr_read_b32 v8, a51
	;; [unrolled: 1-line block ×4, first 2 shown]
	v_add_f32_e32 v24, v24, v3
	v_accvgpr_read_b32 v3, a54
	v_accvgpr_read_b32 v6, a53
	v_and_b32_e32 v7, 0xffff0000, v7
	v_and_b32_e32 v8, 0xffff0000, v8
	;; [unrolled: 1-line block ×6, first 2 shown]
	v_add_f32_e32 v10, v16, v10
	v_add_f32_e32 v7, v8, v7
	;; [unrolled: 1-line block ×5, first 2 shown]
	v_accvgpr_read_b32 v7, a46
	v_accvgpr_read_b32 v8, a45
	;; [unrolled: 1-line block ×4, first 2 shown]
	v_and_b32_e32 v7, 0xffff0000, v7
	v_and_b32_e32 v8, 0xffff0000, v8
	;; [unrolled: 1-line block ×4, first 2 shown]
	v_add_f32_e32 v10, v16, v10
	v_add_f32_e32 v7, v8, v7
	;; [unrolled: 1-line block ×3, first 2 shown]
	buffer_load_dword v10, off, s[0:3], s32 offset:236 ; 4-byte Folded Reload
	buffer_load_dword v16, off, s[0:3], s32 offset:232 ; 4-byte Folded Reload
	v_accvgpr_read_b32 v23, a55
	v_accvgpr_read_b32 v26, a56
	v_and_b32_e32 v23, 0xffff0000, v23
	v_and_b32_e32 v26, 0xffff0000, v26
	v_add_f32_e32 v6, v23, v26
	v_add_f32_e32 v3, v3, v6
	;; [unrolled: 1-line block ×3, first 2 shown]
	v_accvgpr_read_b32 v3, a48
	v_accvgpr_read_b32 v6, a47
	v_and_b32_e32 v3, 0xffff0000, v3
	v_and_b32_e32 v6, 0xffff0000, v6
	v_accvgpr_read_b32 v23, a49
	v_accvgpr_read_b32 v26, a50
	v_and_b32_e32 v23, 0xffff0000, v23
	v_and_b32_e32 v26, 0xffff0000, v26
	v_add_f32_e32 v3, v6, v3
	v_add_f32_e32 v3, v7, v3
	v_add_f32_e32 v6, v23, v26
	v_add_f32_e32 v3, v3, v6
	v_accvgpr_read_b32 v7, a38
	v_accvgpr_read_b32 v8, a37
	v_add_f32_e32 v28, v28, v3
	v_accvgpr_read_b32 v3, a40
	v_accvgpr_read_b32 v6, a39
	v_and_b32_e32 v7, 0xffff0000, v7
	v_and_b32_e32 v8, 0xffff0000, v8
	;; [unrolled: 1-line block ×4, first 2 shown]
	v_accvgpr_read_b32 v23, a41
	v_accvgpr_read_b32 v26, a42
	v_add_f32_e32 v7, v8, v7
	v_and_b32_e32 v23, 0xffff0000, v23
	v_and_b32_e32 v26, 0xffff0000, v26
	v_add_f32_e32 v3, v6, v3
	v_add_f32_e32 v6, v23, v26
	buffer_load_dword v8, off, s[0:3], s32 offset:208 ; 4-byte Folded Reload
	buffer_load_dword v23, off, s[0:3], s32 offset:224 ; 4-byte Folded Reload
	;; [unrolled: 1-line block ×3, first 2 shown]
	v_and_b32_e32 v0, 0xffff0000, v0
	v_add_co_u32_e32 v14, vcc, 8, v14
	v_addc_co_u32_e32 v15, vcc, 0, v15, vcc
	v_add_u32_e32 v17, 64, v17
	v_add_u32_e32 v53, 0x100, v53
	s_waitcnt vmcnt(4)
	v_and_b32_e32 v10, 0xffff0000, v10
	s_waitcnt vmcnt(3)
	v_and_b32_e32 v16, 0xffff0000, v16
	v_add_f32_e32 v10, v16, v10
	v_add_f32_e32 v7, v10, v7
	;; [unrolled: 1-line block ×5, first 2 shown]
	buffer_load_dword v3, off, s[0:3], s32 offset:220 ; 4-byte Folded Reload
	buffer_load_dword v6, off, s[0:3], s32 offset:216 ; 4-byte Folded Reload
	;; [unrolled: 1-line block ×5, first 2 shown]
	s_waitcnt vmcnt(7)
	v_and_b32_e32 v8, 0xffff0000, v8
	s_waitcnt vmcnt(6)
	v_and_b32_e32 v23, 0xffff0000, v23
	;; [unrolled: 2-line block ×8, first 2 shown]
	v_add_f32_e32 v10, v16, v10
	v_add_f32_e32 v7, v8, v7
	;; [unrolled: 1-line block ×7, first 2 shown]
	v_and_b32_e32 v6, 0xffff0000, v4
	v_and_b32_e32 v10, 0xffff0000, v5
	;; [unrolled: 1-line block ×7, first 2 shown]
	v_pk_add_f32 v[0:1], v[0:1], v[4:5]
	v_add_f32_e32 v30, v30, v3
	v_pk_add_f32 v[2:3], v[10:11], v[6:7]
	v_add_f32_e32 v0, v0, v1
	v_add_f32_e32 v0, v0, v2
	;; [unrolled: 1-line block ×4, first 2 shown]
	buffer_load_dword v0, off, s[0:3], s32 offset:188 ; 4-byte Folded Reload
	v_accvgpr_read_b32 v2, a6
	v_add_u32_e32 v2, 2, v2
	v_accvgpr_write_b32 a6, v2
	s_waitcnt vmcnt(0)
	v_cmp_ge_i32_e32 vcc, v2, v0
	s_or_b64 s[10:11], vcc, s[10:11]
	s_andn2_b64 exec, exec, s[10:11]
	s_cbranch_execz .LBB403_2403
.LBB403_1003:                           ; =>This Inner Loop Header: Depth=1
	flat_load_dword v26, v[14:15]
	ds_read2_b64 v[6:9], v53 offset1:1
	ds_read2_b64 v[0:3], v53 offset0:2 offset1:3
                                        ; implicit-def: $vgpr23
	s_waitcnt lgkmcnt(0)
	v_and_b32_e32 v4, 0x7f800000, v6
	v_cmp_ne_u32_e32 vcc, s15, v4
	s_and_saveexec_b64 s[4:5], vcc
	s_xor_b64 s[4:5], exec, s[4:5]
; %bb.1004:                             ;   in Loop: Header=BB403_1003 Depth=1
	v_bfe_u32 v4, v6, 16, 1
	v_add3_u32 v23, v6, v4, s21
; %bb.1005:                             ;   in Loop: Header=BB403_1003 Depth=1
	s_andn2_saveexec_b64 s[4:5], s[4:5]
; %bb.1006:                             ;   in Loop: Header=BB403_1003 Depth=1
	v_or_b32_e32 v4, 0x10000, v6
	v_cmp_eq_u32_sdwa vcc, v6, v33 src0_sel:WORD_0 src1_sel:DWORD
	v_cndmask_b32_e32 v23, v4, v6, vcc
; %bb.1007:                             ;   in Loop: Header=BB403_1003 Depth=1
	s_or_b64 exec, exec, s[4:5]
	v_and_b32_e32 v4, 0x7f800000, v7
	v_cmp_ne_u32_e32 vcc, s15, v4
                                        ; implicit-def: $vgpr22
	s_and_saveexec_b64 s[4:5], vcc
	s_xor_b64 s[4:5], exec, s[4:5]
; %bb.1008:                             ;   in Loop: Header=BB403_1003 Depth=1
	v_bfe_u32 v4, v7, 16, 1
	v_add3_u32 v22, v7, v4, s21
; %bb.1009:                             ;   in Loop: Header=BB403_1003 Depth=1
	s_andn2_saveexec_b64 s[4:5], s[4:5]
; %bb.1010:                             ;   in Loop: Header=BB403_1003 Depth=1
	v_or_b32_e32 v4, 0x10000, v7
	v_cmp_eq_u32_sdwa vcc, v7, v33 src0_sel:WORD_0 src1_sel:DWORD
	v_cndmask_b32_e32 v22, v4, v7, vcc
; %bb.1011:                             ;   in Loop: Header=BB403_1003 Depth=1
	s_or_b64 exec, exec, s[4:5]
	v_and_b32_e32 v4, 0x7f800000, v8
	v_cmp_ne_u32_e32 vcc, s15, v4
                                        ; implicit-def: $vgpr16
	s_and_saveexec_b64 s[4:5], vcc
	s_xor_b64 s[4:5], exec, s[4:5]
; %bb.1012:                             ;   in Loop: Header=BB403_1003 Depth=1
	v_bfe_u32 v4, v8, 16, 1
	v_add3_u32 v16, v8, v4, s21
; %bb.1013:                             ;   in Loop: Header=BB403_1003 Depth=1
	s_andn2_saveexec_b64 s[4:5], s[4:5]
; %bb.1014:                             ;   in Loop: Header=BB403_1003 Depth=1
	v_or_b32_e32 v4, 0x10000, v8
	v_cmp_eq_u32_sdwa vcc, v8, v33 src0_sel:WORD_0 src1_sel:DWORD
	v_cndmask_b32_e32 v16, v4, v8, vcc
; %bb.1015:                             ;   in Loop: Header=BB403_1003 Depth=1
	s_or_b64 exec, exec, s[4:5]
	v_and_b32_e32 v4, 0x7f800000, v9
	v_cmp_ne_u32_e32 vcc, s15, v4
                                        ; implicit-def: $vgpr11
	s_and_saveexec_b64 s[4:5], vcc
	s_xor_b64 s[4:5], exec, s[4:5]
; %bb.1016:                             ;   in Loop: Header=BB403_1003 Depth=1
	v_bfe_u32 v4, v9, 16, 1
	v_add3_u32 v11, v9, v4, s21
                                        ; implicit-def: $vgpr6_vgpr7_vgpr8_vgpr9
; %bb.1017:                             ;   in Loop: Header=BB403_1003 Depth=1
	s_andn2_saveexec_b64 s[4:5], s[4:5]
; %bb.1018:                             ;   in Loop: Header=BB403_1003 Depth=1
	v_or_b32_e32 v4, 0x10000, v9
	v_cmp_eq_u32_sdwa vcc, v9, v33 src0_sel:WORD_0 src1_sel:DWORD
	v_cndmask_b32_e32 v11, v4, v9, vcc
; %bb.1019:                             ;   in Loop: Header=BB403_1003 Depth=1
	s_or_b64 exec, exec, s[4:5]
	v_and_b32_e32 v4, 0x7f800000, v0
	v_cmp_ne_u32_e32 vcc, s15, v4
                                        ; implicit-def: $vgpr5
	s_and_saveexec_b64 s[4:5], vcc
	s_xor_b64 s[4:5], exec, s[4:5]
; %bb.1020:                             ;   in Loop: Header=BB403_1003 Depth=1
	v_bfe_u32 v4, v0, 16, 1
	v_add3_u32 v5, v0, v4, s21
; %bb.1021:                             ;   in Loop: Header=BB403_1003 Depth=1
	s_andn2_saveexec_b64 s[4:5], s[4:5]
; %bb.1022:                             ;   in Loop: Header=BB403_1003 Depth=1
	v_or_b32_e32 v4, 0x10000, v0
	v_cmp_eq_u32_sdwa vcc, v0, v33 src0_sel:WORD_0 src1_sel:DWORD
	v_cndmask_b32_e32 v5, v4, v0, vcc
; %bb.1023:                             ;   in Loop: Header=BB403_1003 Depth=1
	s_or_b64 exec, exec, s[4:5]
	v_and_b32_e32 v0, 0x7f800000, v1
	v_cmp_ne_u32_e32 vcc, s15, v0
                                        ; implicit-def: $vgpr4
	s_and_saveexec_b64 s[4:5], vcc
	s_xor_b64 s[4:5], exec, s[4:5]
; %bb.1024:                             ;   in Loop: Header=BB403_1003 Depth=1
	v_bfe_u32 v0, v1, 16, 1
	v_add3_u32 v4, v1, v0, s21
; %bb.1025:                             ;   in Loop: Header=BB403_1003 Depth=1
	s_andn2_saveexec_b64 s[4:5], s[4:5]
; %bb.1026:                             ;   in Loop: Header=BB403_1003 Depth=1
	v_or_b32_e32 v0, 0x10000, v1
	v_cmp_eq_u32_sdwa vcc, v1, v33 src0_sel:WORD_0 src1_sel:DWORD
	v_cndmask_b32_e32 v4, v0, v1, vcc
; %bb.1027:                             ;   in Loop: Header=BB403_1003 Depth=1
	s_or_b64 exec, exec, s[4:5]
	v_and_b32_e32 v0, 0x7f800000, v2
	v_cmp_ne_u32_e32 vcc, s15, v0
                                        ; implicit-def: $vgpr10
	s_and_saveexec_b64 s[4:5], vcc
	s_xor_b64 s[4:5], exec, s[4:5]
; %bb.1028:                             ;   in Loop: Header=BB403_1003 Depth=1
	v_bfe_u32 v0, v2, 16, 1
	v_add3_u32 v10, v2, v0, s21
; %bb.1029:                             ;   in Loop: Header=BB403_1003 Depth=1
	s_andn2_saveexec_b64 s[4:5], s[4:5]
; %bb.1030:                             ;   in Loop: Header=BB403_1003 Depth=1
	v_or_b32_e32 v0, 0x10000, v2
	v_cmp_eq_u32_sdwa vcc, v2, v33 src0_sel:WORD_0 src1_sel:DWORD
	v_cndmask_b32_e32 v10, v0, v2, vcc
; %bb.1031:                             ;   in Loop: Header=BB403_1003 Depth=1
	s_or_b64 exec, exec, s[4:5]
	v_and_b32_e32 v0, 0x7f800000, v3
	v_cmp_ne_u32_e32 vcc, s15, v0
                                        ; implicit-def: $vgpr9
	s_and_saveexec_b64 s[4:5], vcc
	s_xor_b64 s[4:5], exec, s[4:5]
; %bb.1032:                             ;   in Loop: Header=BB403_1003 Depth=1
	v_bfe_u32 v0, v3, 16, 1
	v_add3_u32 v9, v3, v0, s21
                                        ; implicit-def: $vgpr0_vgpr1_vgpr2_vgpr3
; %bb.1033:                             ;   in Loop: Header=BB403_1003 Depth=1
	s_andn2_saveexec_b64 s[4:5], s[4:5]
; %bb.1034:                             ;   in Loop: Header=BB403_1003 Depth=1
	v_or_b32_e32 v0, 0x10000, v3
	v_cmp_eq_u32_sdwa vcc, v3, v33 src0_sel:WORD_0 src1_sel:DWORD
	v_cndmask_b32_e32 v9, v0, v3, vcc
; %bb.1035:                             ;   in Loop: Header=BB403_1003 Depth=1
	s_or_b64 exec, exec, s[4:5]
	buffer_load_dword v2, off, s[0:3], s32 offset:240 ; 4-byte Folded Reload
	buffer_load_dword v3, off, s[0:3], s32 offset:244 ; 4-byte Folded Reload
	;; [unrolled: 1-line block ×4, first 2 shown]
	v_mov_b32_e32 v8, 0
	s_waitcnt vmcnt(0)
	v_mad_i64_i32 v[0:1], s[4:5], v26, v0, v[2:3]
	buffer_load_dword v2, off, s[0:3], s32 offset:272 ; 4-byte Folded Reload
	buffer_load_dword v3, off, s[0:3], s32 offset:276 ; 4-byte Folded Reload
	s_waitcnt vmcnt(1)
	v_add_co_u32_e32 v2, vcc, v0, v2
	s_waitcnt vmcnt(0)
	v_addc_co_u32_e32 v3, vcc, 0, v1, vcc
	flat_load_dwordx2 v[6:7], v[2:3]
	s_waitcnt vmcnt(0) lgkmcnt(0)
	v_cmp_ne_u16_sdwa s[12:13], v6, v33 src0_sel:BYTE_0 src1_sel:DWORD
	s_and_saveexec_b64 s[4:5], s[12:13]
	s_cbranch_execz .LBB403_1041
; %bb.1036:                             ;   in Loop: Header=BB403_1003 Depth=1
	v_cmp_ne_u16_sdwa s[24:25], v6, s28 src0_sel:BYTE_0 src1_sel:DWORD
	v_bfrev_b32_e32 v8, 1
	s_and_saveexec_b64 s[12:13], s[24:25]
	s_cbranch_execz .LBB403_1040
; %bb.1037:                             ;   in Loop: Header=BB403_1003 Depth=1
	v_and_b32_e32 v26, 0x7f, v6
	v_cmp_ne_u32_e32 vcc, s29, v26
	v_mov_b32_e32 v8, 0x7f800001
	s_and_saveexec_b64 s[24:25], vcc
	s_cbranch_execz .LBB403_1039
; %bb.1038:                             ;   in Loop: Header=BB403_1003 Depth=1
	v_and_b32_e32 v8, 7, v6
	v_ffbh_u32_e32 v8, v8
	v_min_u32_e32 v8, 32, v8
	v_subrev_u32_e32 v34, 28, v8
	v_cmp_gt_u32_e32 vcc, 8, v26
	v_lshrrev_b32_e32 v32, 3, v26
	v_cndmask_b32_e32 v26, 0, v34, vcc
	v_sub_u32_e32 v8, 29, v8
	v_lshlrev_b64 v[34:35], v26, v[6:7]
	v_cndmask_b32_e32 v8, v32, v8, vcc
	v_lshlrev_b32_e32 v26, 20, v34
	v_lshlrev_b32_e32 v32, 24, v6
	v_bfrev_b32_e32 v34, 60
	v_and_b32_e32 v26, 0x700000, v26
	v_and_b32_e32 v32, 0x80000000, v32
	v_lshl_add_u32 v8, v8, 23, v34
	v_or3_b32 v8, v32, v8, v26
.LBB403_1039:                           ;   in Loop: Header=BB403_1003 Depth=1
	s_or_b64 exec, exec, s[24:25]
.LBB403_1040:                           ;   in Loop: Header=BB403_1003 Depth=1
	s_or_b64 exec, exec, s[12:13]
.LBB403_1041:                           ;   in Loop: Header=BB403_1003 Depth=1
	s_or_b64 exec, exec, s[4:5]
	v_mul_f32_e32 v8, v27, v8
	v_and_b32_e32 v26, 0x7f800000, v8
	v_cmp_ne_u32_e32 vcc, s15, v26
                                        ; implicit-def: $vgpr26
	s_and_saveexec_b64 s[4:5], vcc
	s_xor_b64 s[4:5], exec, s[4:5]
; %bb.1042:                             ;   in Loop: Header=BB403_1003 Depth=1
	v_bfe_u32 v26, v8, 16, 1
	v_add3_u32 v26, v8, v26, s21
                                        ; implicit-def: $vgpr8
; %bb.1043:                             ;   in Loop: Header=BB403_1003 Depth=1
	s_andn2_saveexec_b64 s[4:5], s[4:5]
; %bb.1044:                             ;   in Loop: Header=BB403_1003 Depth=1
	v_or_b32_e32 v26, 0x10000, v8
	v_cmp_eq_u32_sdwa vcc, v8, v33 src0_sel:WORD_0 src1_sel:DWORD
	v_cndmask_b32_e32 v26, v26, v8, vcc
; %bb.1045:                             ;   in Loop: Header=BB403_1003 Depth=1
	s_or_b64 exec, exec, s[4:5]
	v_lshrrev_b16_e32 v8, 8, v6
	v_cmp_ne_u16_e32 vcc, 0, v8
	v_mov_b32_e32 v32, 0
	s_and_saveexec_b64 s[4:5], vcc
	s_cbranch_execz .LBB403_1051
; %bb.1046:                             ;   in Loop: Header=BB403_1003 Depth=1
	v_cmp_ne_u16_e32 vcc, s28, v8
	v_bfrev_b32_e32 v32, 1
	s_and_saveexec_b64 s[12:13], vcc
	s_cbranch_execz .LBB403_1050
; %bb.1047:                             ;   in Loop: Header=BB403_1003 Depth=1
	v_and_b32_e32 v34, 0x7f, v8
	v_cmp_ne_u32_e32 vcc, s29, v34
	v_mov_b32_e32 v32, 0x7f800001
	s_and_saveexec_b64 s[24:25], vcc
	s_cbranch_execz .LBB403_1049
; %bb.1048:                             ;   in Loop: Header=BB403_1003 Depth=1
	v_and_b32_e32 v32, 7, v8
	v_ffbh_u32_e32 v36, v32
	v_min_u32_e32 v36, 32, v36
	v_subrev_u32_e32 v38, 28, v36
	v_lshlrev_b64 v[38:39], v38, v[8:9]
	v_lshrrev_b32_e32 v35, 3, v34
	v_sub_u32_e32 v8, 29, v36
	v_and_b32_e32 v36, 7, v38
	v_cmp_gt_u32_e32 vcc, 8, v34
	v_cndmask_b32_e32 v8, v35, v8, vcc
	v_cndmask_b32_e32 v32, v32, v36, vcc
	v_lshlrev_b32_e32 v34, 16, v6
	v_bfrev_b32_e32 v35, 60
	v_lshlrev_b32_e32 v32, 20, v32
	v_and_b32_e32 v34, 0x80000000, v34
	v_lshl_add_u32 v8, v8, 23, v35
	v_or3_b32 v32, v34, v8, v32
.LBB403_1049:                           ;   in Loop: Header=BB403_1003 Depth=1
	s_or_b64 exec, exec, s[24:25]
.LBB403_1050:                           ;   in Loop: Header=BB403_1003 Depth=1
	s_or_b64 exec, exec, s[12:13]
.LBB403_1051:                           ;   in Loop: Header=BB403_1003 Depth=1
	s_or_b64 exec, exec, s[4:5]
	v_mul_f32_e32 v8, v27, v32
	v_and_b32_e32 v32, 0x7f800000, v8
	v_cmp_ne_u32_e32 vcc, s15, v32
                                        ; implicit-def: $vgpr34
	s_and_saveexec_b64 s[4:5], vcc
	s_xor_b64 s[4:5], exec, s[4:5]
; %bb.1052:                             ;   in Loop: Header=BB403_1003 Depth=1
	v_bfe_u32 v32, v8, 16, 1
	v_add3_u32 v34, v8, v32, s21
                                        ; implicit-def: $vgpr8
; %bb.1053:                             ;   in Loop: Header=BB403_1003 Depth=1
	s_andn2_saveexec_b64 s[4:5], s[4:5]
; %bb.1054:                             ;   in Loop: Header=BB403_1003 Depth=1
	v_or_b32_e32 v32, 0x10000, v8
	v_cmp_eq_u32_sdwa vcc, v8, v33 src0_sel:WORD_0 src1_sel:DWORD
	v_cndmask_b32_e32 v34, v32, v8, vcc
; %bb.1055:                             ;   in Loop: Header=BB403_1003 Depth=1
	s_or_b64 exec, exec, s[4:5]
	v_lshrrev_b32_e32 v8, 16, v6
	v_cmp_ne_u16_sdwa s[12:13], v8, v33 src0_sel:BYTE_0 src1_sel:DWORD
	v_mov_b32_e32 v32, 0
	s_and_saveexec_b64 s[4:5], s[12:13]
	s_cbranch_execz .LBB403_1061
; %bb.1056:                             ;   in Loop: Header=BB403_1003 Depth=1
	v_cmp_ne_u16_sdwa s[24:25], v8, s28 src0_sel:BYTE_0 src1_sel:DWORD
	v_bfrev_b32_e32 v32, 1
	s_and_saveexec_b64 s[12:13], s[24:25]
	s_cbranch_execz .LBB403_1060
; %bb.1057:                             ;   in Loop: Header=BB403_1003 Depth=1
	v_bfe_u32 v35, v6, 16, 7
	v_cmp_ne_u32_e32 vcc, s29, v35
	v_mov_b32_e32 v32, 0x7f800001
	s_and_saveexec_b64 s[24:25], vcc
	s_cbranch_execz .LBB403_1059
; %bb.1058:                             ;   in Loop: Header=BB403_1003 Depth=1
	v_and_b32_e32 v32, 7, v8
	v_ffbh_u32_e32 v38, v32
	v_min_u32_e32 v48, 32, v38
	v_subrev_u32_e32 v38, 28, v48
	v_lshlrev_b64 v[38:39], v38, v[8:9]
	v_lshrrev_b32_e32 v36, 3, v35
	v_sub_u32_e32 v39, 29, v48
	v_and_b32_e32 v38, 7, v38
	v_cmp_gt_u32_e32 vcc, 8, v35
	v_cndmask_b32_e32 v35, v36, v39, vcc
	v_cndmask_b32_e32 v32, v32, v38, vcc
	v_lshlrev_b32_e32 v8, 24, v8
	v_bfrev_b32_e32 v36, 60
	v_lshlrev_b32_e32 v32, 20, v32
	v_and_b32_e32 v8, 0x80000000, v8
	v_lshl_add_u32 v35, v35, 23, v36
	v_or3_b32 v32, v8, v35, v32
.LBB403_1059:                           ;   in Loop: Header=BB403_1003 Depth=1
	s_or_b64 exec, exec, s[24:25]
.LBB403_1060:                           ;   in Loop: Header=BB403_1003 Depth=1
	s_or_b64 exec, exec, s[12:13]
.LBB403_1061:                           ;   in Loop: Header=BB403_1003 Depth=1
	s_or_b64 exec, exec, s[4:5]
	v_mul_f32_e32 v8, v27, v32
	v_and_b32_e32 v32, 0x7f800000, v8
	v_cmp_ne_u32_e32 vcc, s15, v32
                                        ; implicit-def: $vgpr35
	s_and_saveexec_b64 s[4:5], vcc
	s_xor_b64 s[4:5], exec, s[4:5]
; %bb.1062:                             ;   in Loop: Header=BB403_1003 Depth=1
	v_bfe_u32 v32, v8, 16, 1
	v_add3_u32 v35, v8, v32, s21
                                        ; implicit-def: $vgpr8
; %bb.1063:                             ;   in Loop: Header=BB403_1003 Depth=1
	s_andn2_saveexec_b64 s[4:5], s[4:5]
; %bb.1064:                             ;   in Loop: Header=BB403_1003 Depth=1
	v_or_b32_e32 v32, 0x10000, v8
	v_cmp_eq_u32_sdwa vcc, v8, v33 src0_sel:WORD_0 src1_sel:DWORD
	v_cndmask_b32_e32 v35, v32, v8, vcc
; %bb.1065:                             ;   in Loop: Header=BB403_1003 Depth=1
	s_or_b64 exec, exec, s[4:5]
	v_cmp_lt_u32_e32 vcc, s9, v6
	v_mov_b32_e32 v32, 0
	s_and_saveexec_b64 s[4:5], vcc
	s_cbranch_execz .LBB403_1071
; %bb.1066:                             ;   in Loop: Header=BB403_1003 Depth=1
	v_lshrrev_b32_e32 v8, 24, v6
	v_cmp_ne_u32_e32 vcc, s28, v8
	v_bfrev_b32_e32 v32, 1
	s_and_saveexec_b64 s[12:13], vcc
	s_cbranch_execz .LBB403_1070
; %bb.1067:                             ;   in Loop: Header=BB403_1003 Depth=1
	v_bfe_u32 v36, v6, 24, 7
	v_cmp_ne_u32_e32 vcc, s29, v36
	v_mov_b32_e32 v32, 0x7f800001
	s_and_saveexec_b64 s[24:25], vcc
	s_cbranch_execz .LBB403_1069
; %bb.1068:                             ;   in Loop: Header=BB403_1003 Depth=1
	v_and_b32_e32 v32, 7, v8
	v_ffbh_u32_e32 v38, v32
	v_min_u32_e32 v49, 32, v38
	v_subrev_u32_e32 v38, 28, v49
	v_lshlrev_b64 v[38:39], v38, v[8:9]
	v_lshrrev_b32_e32 v48, 3, v36
	v_sub_u32_e32 v39, 29, v49
	v_and_b32_e32 v38, 7, v38
	v_cmp_gt_u32_e32 vcc, 8, v36
	v_cndmask_b32_e32 v36, v48, v39, vcc
	v_cndmask_b32_e32 v32, v32, v38, vcc
	v_lshlrev_b32_e32 v8, 24, v8
	v_bfrev_b32_e32 v38, 60
	v_lshlrev_b32_e32 v32, 20, v32
	v_and_b32_e32 v8, 0x80000000, v8
	v_lshl_add_u32 v36, v36, 23, v38
	v_or3_b32 v32, v8, v36, v32
.LBB403_1069:                           ;   in Loop: Header=BB403_1003 Depth=1
	s_or_b64 exec, exec, s[24:25]
.LBB403_1070:                           ;   in Loop: Header=BB403_1003 Depth=1
	s_or_b64 exec, exec, s[12:13]
.LBB403_1071:                           ;   in Loop: Header=BB403_1003 Depth=1
	s_or_b64 exec, exec, s[4:5]
	v_mul_f32_e32 v8, v27, v32
	v_and_b32_e32 v32, 0x7f800000, v8
	v_cmp_ne_u32_e32 vcc, s15, v32
                                        ; implicit-def: $vgpr36
	s_and_saveexec_b64 s[4:5], vcc
	s_xor_b64 s[4:5], exec, s[4:5]
; %bb.1072:                             ;   in Loop: Header=BB403_1003 Depth=1
	v_bfe_u32 v32, v8, 16, 1
	v_add3_u32 v36, v8, v32, s21
                                        ; implicit-def: $vgpr8
; %bb.1073:                             ;   in Loop: Header=BB403_1003 Depth=1
	s_andn2_saveexec_b64 s[4:5], s[4:5]
; %bb.1074:                             ;   in Loop: Header=BB403_1003 Depth=1
	v_or_b32_e32 v32, 0x10000, v8
	v_cmp_eq_u32_sdwa vcc, v8, v33 src0_sel:WORD_0 src1_sel:DWORD
	v_cndmask_b32_e32 v36, v32, v8, vcc
; %bb.1075:                             ;   in Loop: Header=BB403_1003 Depth=1
	s_or_b64 exec, exec, s[4:5]
	v_mov_b32_e32 v32, v7
	v_cmp_ne_u16_sdwa s[12:13], v7, v33 src0_sel:BYTE_0 src1_sel:DWORD
	v_mov_b32_e32 v8, 0
	s_and_saveexec_b64 s[4:5], s[12:13]
	s_cbranch_execz .LBB403_1081
; %bb.1076:                             ;   in Loop: Header=BB403_1003 Depth=1
	v_cmp_ne_u16_sdwa s[24:25], v7, s28 src0_sel:BYTE_0 src1_sel:DWORD
	v_bfrev_b32_e32 v8, 1
	s_and_saveexec_b64 s[12:13], s[24:25]
	s_cbranch_execz .LBB403_1080
; %bb.1077:                             ;   in Loop: Header=BB403_1003 Depth=1
	v_and_b32_e32 v38, 0x7f, v7
	v_cmp_ne_u32_e32 vcc, s29, v38
	v_mov_b32_e32 v8, 0x7f800001
	s_and_saveexec_b64 s[24:25], vcc
	s_cbranch_execz .LBB403_1079
; %bb.1078:                             ;   in Loop: Header=BB403_1003 Depth=1
	v_and_b32_e32 v8, 7, v7
	v_ffbh_u32_e32 v8, v8
	v_min_u32_e32 v8, 32, v8
	v_subrev_u32_e32 v48, 28, v8
	v_cmp_gt_u32_e32 vcc, 8, v38
	v_lshrrev_b32_e32 v39, 3, v38
	v_sub_u32_e32 v8, 29, v8
	v_cndmask_b32_e32 v38, 0, v48, vcc
	v_cndmask_b32_e32 v8, v39, v8, vcc
	v_lshlrev_b64 v[38:39], v38, v[32:33]
	v_lshlrev_b32_e32 v38, 20, v38
	v_lshlrev_b32_e32 v39, 24, v32
	v_bfrev_b32_e32 v48, 60
	v_and_b32_e32 v38, 0x700000, v38
	v_and_b32_e32 v39, 0x80000000, v39
	v_lshl_add_u32 v8, v8, 23, v48
	v_or3_b32 v8, v39, v8, v38
.LBB403_1079:                           ;   in Loop: Header=BB403_1003 Depth=1
	s_or_b64 exec, exec, s[24:25]
.LBB403_1080:                           ;   in Loop: Header=BB403_1003 Depth=1
	s_or_b64 exec, exec, s[12:13]
.LBB403_1081:                           ;   in Loop: Header=BB403_1003 Depth=1
	s_or_b64 exec, exec, s[4:5]
	v_mul_f32_e32 v8, v27, v8
	v_and_b32_e32 v38, 0x7f800000, v8
	v_cmp_ne_u32_e32 vcc, s15, v38
                                        ; implicit-def: $vgpr38
	s_and_saveexec_b64 s[4:5], vcc
	s_xor_b64 s[4:5], exec, s[4:5]
; %bb.1082:                             ;   in Loop: Header=BB403_1003 Depth=1
	v_bfe_u32 v38, v8, 16, 1
	v_add3_u32 v38, v8, v38, s21
                                        ; implicit-def: $vgpr8
; %bb.1083:                             ;   in Loop: Header=BB403_1003 Depth=1
	s_andn2_saveexec_b64 s[4:5], s[4:5]
; %bb.1084:                             ;   in Loop: Header=BB403_1003 Depth=1
	v_or_b32_e32 v38, 0x10000, v8
	v_cmp_eq_u32_sdwa vcc, v8, v33 src0_sel:WORD_0 src1_sel:DWORD
	v_cndmask_b32_e32 v38, v38, v8, vcc
; %bb.1085:                             ;   in Loop: Header=BB403_1003 Depth=1
	s_or_b64 exec, exec, s[4:5]
	v_lshrrev_b16_e32 v8, 8, v32
	v_cmp_ne_u16_e32 vcc, 0, v8
	v_mov_b32_e32 v39, 0
	s_and_saveexec_b64 s[4:5], vcc
	s_cbranch_execz .LBB403_1091
; %bb.1086:                             ;   in Loop: Header=BB403_1003 Depth=1
	v_cmp_ne_u16_e32 vcc, s28, v8
	v_bfrev_b32_e32 v39, 1
	s_and_saveexec_b64 s[12:13], vcc
	s_cbranch_execz .LBB403_1090
; %bb.1087:                             ;   in Loop: Header=BB403_1003 Depth=1
	v_and_b32_e32 v48, 0x7f, v8
	v_cmp_ne_u32_e32 vcc, s29, v48
	v_mov_b32_e32 v39, 0x7f800001
	s_and_saveexec_b64 s[24:25], vcc
	s_cbranch_execz .LBB403_1089
; %bb.1088:                             ;   in Loop: Header=BB403_1003 Depth=1
	v_and_b32_e32 v39, 7, v8
	v_ffbh_u32_e32 v50, v39
	v_min_u32_e32 v52, 32, v50
	v_subrev_u32_e32 v50, 28, v52
	v_lshlrev_b64 v[50:51], v50, v[8:9]
	v_lshrrev_b32_e32 v49, 3, v48
	v_sub_u32_e32 v8, 29, v52
	v_and_b32_e32 v50, 7, v50
	v_cmp_gt_u32_e32 vcc, 8, v48
	v_cndmask_b32_e32 v8, v49, v8, vcc
	v_cndmask_b32_e32 v39, v39, v50, vcc
	v_lshlrev_b32_e32 v32, 16, v32
	v_bfrev_b32_e32 v48, 60
	v_lshlrev_b32_e32 v39, 20, v39
	v_and_b32_e32 v32, 0x80000000, v32
	v_lshl_add_u32 v8, v8, 23, v48
	v_or3_b32 v39, v32, v8, v39
.LBB403_1089:                           ;   in Loop: Header=BB403_1003 Depth=1
	s_or_b64 exec, exec, s[24:25]
.LBB403_1090:                           ;   in Loop: Header=BB403_1003 Depth=1
	s_or_b64 exec, exec, s[12:13]
.LBB403_1091:                           ;   in Loop: Header=BB403_1003 Depth=1
	s_or_b64 exec, exec, s[4:5]
	v_mul_f32_e32 v8, v27, v39
	v_and_b32_e32 v32, 0x7f800000, v8
	v_cmp_ne_u32_e32 vcc, s15, v32
                                        ; implicit-def: $vgpr32
	s_and_saveexec_b64 s[4:5], vcc
	s_xor_b64 s[4:5], exec, s[4:5]
; %bb.1092:                             ;   in Loop: Header=BB403_1003 Depth=1
	v_bfe_u32 v32, v8, 16, 1
	v_add3_u32 v32, v8, v32, s21
                                        ; implicit-def: $vgpr8
; %bb.1093:                             ;   in Loop: Header=BB403_1003 Depth=1
	s_andn2_saveexec_b64 s[4:5], s[4:5]
; %bb.1094:                             ;   in Loop: Header=BB403_1003 Depth=1
	v_or_b32_e32 v32, 0x10000, v8
	v_cmp_eq_u32_sdwa vcc, v8, v33 src0_sel:WORD_0 src1_sel:DWORD
	v_cndmask_b32_e32 v32, v32, v8, vcc
; %bb.1095:                             ;   in Loop: Header=BB403_1003 Depth=1
	s_or_b64 exec, exec, s[4:5]
	v_lshrrev_b32_e32 v8, 16, v7
	v_cmp_ne_u16_sdwa s[12:13], v8, v33 src0_sel:BYTE_0 src1_sel:DWORD
	v_mov_b32_e32 v39, 0
	s_and_saveexec_b64 s[4:5], s[12:13]
	s_cbranch_execz .LBB403_1101
; %bb.1096:                             ;   in Loop: Header=BB403_1003 Depth=1
	v_cmp_ne_u16_sdwa s[24:25], v8, s28 src0_sel:BYTE_0 src1_sel:DWORD
	v_bfrev_b32_e32 v39, 1
	s_and_saveexec_b64 s[12:13], s[24:25]
	s_cbranch_execz .LBB403_1100
; %bb.1097:                             ;   in Loop: Header=BB403_1003 Depth=1
	v_bfe_u32 v48, v7, 16, 7
	v_cmp_ne_u32_e32 vcc, s29, v48
	v_mov_b32_e32 v39, 0x7f800001
	s_and_saveexec_b64 s[24:25], vcc
	s_cbranch_execz .LBB403_1099
; %bb.1098:                             ;   in Loop: Header=BB403_1003 Depth=1
	v_and_b32_e32 v39, 7, v8
	v_ffbh_u32_e32 v50, v39
	v_min_u32_e32 v52, 32, v50
	v_subrev_u32_e32 v50, 28, v52
	v_lshlrev_b64 v[50:51], v50, v[8:9]
	v_lshrrev_b32_e32 v49, 3, v48
	v_sub_u32_e32 v51, 29, v52
	v_and_b32_e32 v50, 7, v50
	v_cmp_gt_u32_e32 vcc, 8, v48
	v_cndmask_b32_e32 v48, v49, v51, vcc
	v_cndmask_b32_e32 v39, v39, v50, vcc
	v_lshlrev_b32_e32 v8, 24, v8
	v_bfrev_b32_e32 v49, 60
	v_lshlrev_b32_e32 v39, 20, v39
	v_and_b32_e32 v8, 0x80000000, v8
	v_lshl_add_u32 v48, v48, 23, v49
	v_or3_b32 v39, v8, v48, v39
.LBB403_1099:                           ;   in Loop: Header=BB403_1003 Depth=1
	s_or_b64 exec, exec, s[24:25]
.LBB403_1100:                           ;   in Loop: Header=BB403_1003 Depth=1
	s_or_b64 exec, exec, s[12:13]
.LBB403_1101:                           ;   in Loop: Header=BB403_1003 Depth=1
	s_or_b64 exec, exec, s[4:5]
	v_mul_f32_e32 v8, v27, v39
	v_and_b32_e32 v39, 0x7f800000, v8
	v_cmp_ne_u32_e32 vcc, s15, v39
                                        ; implicit-def: $vgpr39
	s_and_saveexec_b64 s[4:5], vcc
	s_xor_b64 s[4:5], exec, s[4:5]
; %bb.1102:                             ;   in Loop: Header=BB403_1003 Depth=1
	v_bfe_u32 v39, v8, 16, 1
	v_add3_u32 v39, v8, v39, s21
                                        ; implicit-def: $vgpr8
; %bb.1103:                             ;   in Loop: Header=BB403_1003 Depth=1
	s_andn2_saveexec_b64 s[4:5], s[4:5]
; %bb.1104:                             ;   in Loop: Header=BB403_1003 Depth=1
	v_or_b32_e32 v39, 0x10000, v8
	v_cmp_eq_u32_sdwa vcc, v8, v33 src0_sel:WORD_0 src1_sel:DWORD
	v_cndmask_b32_e32 v39, v39, v8, vcc
; %bb.1105:                             ;   in Loop: Header=BB403_1003 Depth=1
	s_or_b64 exec, exec, s[4:5]
	v_cmp_lt_u64_e32 vcc, s[8:9], v[6:7]
	v_mov_b32_e32 v8, 0
	s_and_saveexec_b64 s[4:5], vcc
	s_cbranch_execz .LBB403_1111
; %bb.1106:                             ;   in Loop: Header=BB403_1003 Depth=1
	v_lshrrev_b32_e32 v6, 24, v7
	v_cmp_ne_u32_e32 vcc, s28, v6
	v_bfrev_b32_e32 v8, 1
	s_and_saveexec_b64 s[12:13], vcc
	s_cbranch_execz .LBB403_1110
; %bb.1107:                             ;   in Loop: Header=BB403_1003 Depth=1
	v_bfe_u32 v7, v7, 24, 7
	v_cmp_ne_u32_e32 vcc, s29, v7
	v_mov_b32_e32 v8, 0x7f800001
	s_and_saveexec_b64 s[24:25], vcc
	s_cbranch_execz .LBB403_1109
; %bb.1108:                             ;   in Loop: Header=BB403_1003 Depth=1
	v_and_b32_e32 v8, 7, v6
	v_ffbh_u32_e32 v48, v8
	v_min_u32_e32 v51, 32, v48
	v_subrev_u32_e32 v48, 28, v51
	v_lshlrev_b64 v[48:49], v48, v[6:7]
	v_lshrrev_b32_e32 v50, 3, v7
	v_sub_u32_e32 v49, 29, v51
	v_and_b32_e32 v48, 7, v48
	v_cmp_gt_u32_e32 vcc, 8, v7
	v_cndmask_b32_e32 v7, v50, v49, vcc
	v_cndmask_b32_e32 v8, v8, v48, vcc
	v_lshlrev_b32_e32 v6, 24, v6
	v_bfrev_b32_e32 v48, 60
	v_lshlrev_b32_e32 v8, 20, v8
	v_and_b32_e32 v6, 0x80000000, v6
	v_lshl_add_u32 v7, v7, 23, v48
	v_or3_b32 v8, v6, v7, v8
.LBB403_1109:                           ;   in Loop: Header=BB403_1003 Depth=1
	s_or_b64 exec, exec, s[24:25]
.LBB403_1110:                           ;   in Loop: Header=BB403_1003 Depth=1
	s_or_b64 exec, exec, s[12:13]
.LBB403_1111:                           ;   in Loop: Header=BB403_1003 Depth=1
	s_or_b64 exec, exec, s[4:5]
	v_mul_f32_e32 v7, v27, v8
	v_and_b32_e32 v6, 0x7f800000, v7
	v_cmp_ne_u32_e32 vcc, s15, v6
                                        ; implicit-def: $vgpr6
	s_and_saveexec_b64 s[4:5], vcc
	s_xor_b64 s[4:5], exec, s[4:5]
; %bb.1112:                             ;   in Loop: Header=BB403_1003 Depth=1
	v_bfe_u32 v6, v7, 16, 1
	v_add3_u32 v6, v7, v6, s21
                                        ; implicit-def: $vgpr7
; %bb.1113:                             ;   in Loop: Header=BB403_1003 Depth=1
	s_andn2_saveexec_b64 s[4:5], s[4:5]
; %bb.1114:                             ;   in Loop: Header=BB403_1003 Depth=1
	v_or_b32_e32 v6, 0x10000, v7
	v_cmp_eq_u32_sdwa vcc, v7, v33 src0_sel:WORD_0 src1_sel:DWORD
	v_cndmask_b32_e32 v6, v6, v7, vcc
; %bb.1115:                             ;   in Loop: Header=BB403_1003 Depth=1
	s_or_b64 exec, exec, s[4:5]
	v_accvgpr_read_b32 v8, a6
	v_cmp_eq_u32_e32 vcc, v62, v8
	v_lshrrev_b32_e32 v8, 16, v32
	v_lshrrev_b32_e32 v32, 16, v38
	v_add_u32_e32 v38, -6, v17
	v_accvgpr_write_b32 a32, v38
	v_add_u32_e32 v38, -5, v17
	v_accvgpr_write_b32 a31, v38
	;; [unrolled: 2-line block ×4, first 2 shown]
	v_add_u32_e32 v38, -2, v17
	v_add_u32_e32 v7, -7, v17
	v_accvgpr_write_b32 a28, v38
	v_add_u32_e32 v38, -1, v17
	v_accvgpr_write_b32 a26, v7
	v_lshrrev_b32_e32 v36, 16, v36
	v_lshrrev_b32_e32 v35, 16, v35
	;; [unrolled: 1-line block ×6, first 2 shown]
	v_accvgpr_write_b32 a27, v38
	s_and_saveexec_b64 s[12:13], vcc
	s_cbranch_execz .LBB403_1117
; %bb.1116:                             ;   in Loop: Header=BB403_1003 Depth=1
	v_accvgpr_read_b32 v38, a26
	v_cmp_lt_i32_e64 s[4:5], v38, v37
	v_accvgpr_read_b32 v38, a32
	v_cndmask_b32_e64 v26, 0, v26, s[4:5]
	v_cmp_lt_i32_e64 s[4:5], v38, v37
	v_accvgpr_read_b32 v38, a31
	v_cndmask_b32_e64 v34, 0, v34, s[4:5]
	;; [unrolled: 3-line block ×6, first 2 shown]
	v_cmp_lt_i32_e64 s[4:5], v38, v37
	v_cndmask_b32_e64 v7, 0, v7, s[4:5]
	v_cmp_lt_i32_e64 s[4:5], v17, v37
	v_cndmask_b32_e64 v6, 0, v6, s[4:5]
.LBB403_1117:                           ;   in Loop: Header=BB403_1003 Depth=1
	s_or_b64 exec, exec, s[12:13]
	v_and_b32_e32 v48, 0xffff0000, v23
	v_lshlrev_b32_e32 v23, 16, v26
	v_mul_f32_e32 v23, v48, v23
	v_and_b32_e32 v26, 0x7f800000, v23
	v_cmp_ne_u32_e64 s[4:5], s15, v26
                                        ; implicit-def: $vgpr26
                                        ; kill: killed $vgpr26
	s_and_saveexec_b64 s[12:13], s[4:5]
	s_xor_b64 s[4:5], exec, s[12:13]
	s_cbranch_execz .LBB403_1119
; %bb.1118:                             ;   in Loop: Header=BB403_1003 Depth=1
	v_bfe_u32 v26, v23, 16, 1
	v_add3_u32 v23, v23, v26, s21
	buffer_store_dword v23, off, s[0:3], s32 offset:200 ; 4-byte Folded Spill
                                        ; implicit-def: $vgpr23
.LBB403_1119:                           ;   in Loop: Header=BB403_1003 Depth=1
	s_andn2_saveexec_b64 s[12:13], s[4:5]
	s_cbranch_execz .LBB403_1121
; %bb.1120:                             ;   in Loop: Header=BB403_1003 Depth=1
	v_or_b32_e32 v26, 0x10000, v23
	v_cmp_eq_u32_sdwa s[4:5], v23, v33 src0_sel:WORD_0 src1_sel:DWORD
	v_cndmask_b32_e64 v23, v26, v23, s[4:5]
	buffer_store_dword v23, off, s[0:3], s32 offset:200 ; 4-byte Folded Spill
.LBB403_1121:                           ;   in Loop: Header=BB403_1003 Depth=1
	s_or_b64 exec, exec, s[12:13]
	v_and_b32_e32 v51, 0xffff0000, v22
	v_lshlrev_b32_e32 v22, 16, v34
	v_mul_f32_e32 v22, v51, v22
	v_and_b32_e32 v23, 0x7f800000, v22
	v_cmp_ne_u32_e64 s[4:5], s15, v23
                                        ; implicit-def: $vgpr23
                                        ; kill: killed $vgpr23
	s_and_saveexec_b64 s[12:13], s[4:5]
	s_xor_b64 s[4:5], exec, s[12:13]
	s_cbranch_execz .LBB403_1123
; %bb.1122:                             ;   in Loop: Header=BB403_1003 Depth=1
	v_bfe_u32 v23, v22, 16, 1
	v_add3_u32 v22, v22, v23, s21
	buffer_store_dword v22, off, s[0:3], s32 offset:204 ; 4-byte Folded Spill
                                        ; implicit-def: $vgpr22
.LBB403_1123:                           ;   in Loop: Header=BB403_1003 Depth=1
	s_andn2_saveexec_b64 s[12:13], s[4:5]
	s_cbranch_execz .LBB403_1125
; %bb.1124:                             ;   in Loop: Header=BB403_1003 Depth=1
	v_or_b32_e32 v23, 0x10000, v22
	v_cmp_eq_u32_sdwa s[4:5], v22, v33 src0_sel:WORD_0 src1_sel:DWORD
	v_cndmask_b32_e64 v22, v23, v22, s[4:5]
	buffer_store_dword v22, off, s[0:3], s32 offset:204 ; 4-byte Folded Spill
.LBB403_1125:                           ;   in Loop: Header=BB403_1003 Depth=1
	s_or_b64 exec, exec, s[12:13]
	v_and_b32_e32 v49, 0xffff0000, v16
	v_lshlrev_b32_e32 v16, 16, v35
	v_mul_f32_e32 v16, v49, v16
	v_and_b32_e32 v22, 0x7f800000, v16
	v_cmp_ne_u32_e64 s[4:5], s15, v22
                                        ; implicit-def: $vgpr22
                                        ; kill: killed $vgpr22
	s_and_saveexec_b64 s[12:13], s[4:5]
	s_xor_b64 s[4:5], exec, s[12:13]
	s_cbranch_execz .LBB403_1127
; %bb.1126:                             ;   in Loop: Header=BB403_1003 Depth=1
	v_bfe_u32 v22, v16, 16, 1
	v_add3_u32 v16, v16, v22, s21
	buffer_store_dword v16, off, s[0:3], s32 offset:208 ; 4-byte Folded Spill
                                        ; implicit-def: $vgpr16
.LBB403_1127:                           ;   in Loop: Header=BB403_1003 Depth=1
	s_andn2_saveexec_b64 s[12:13], s[4:5]
	s_cbranch_execz .LBB403_1129
; %bb.1128:                             ;   in Loop: Header=BB403_1003 Depth=1
	v_or_b32_e32 v22, 0x10000, v16
	v_cmp_eq_u32_sdwa s[4:5], v16, v33 src0_sel:WORD_0 src1_sel:DWORD
	v_cndmask_b32_e64 v16, v22, v16, s[4:5]
	buffer_store_dword v16, off, s[0:3], s32 offset:208 ; 4-byte Folded Spill
.LBB403_1129:                           ;   in Loop: Header=BB403_1003 Depth=1
	s_or_b64 exec, exec, s[12:13]
	v_and_b32_e32 v23, 0xffff0000, v11
	v_lshlrev_b32_e32 v11, 16, v36
	v_mul_f32_e32 v11, v23, v11
	v_and_b32_e32 v16, 0x7f800000, v11
	v_cmp_ne_u32_e64 s[4:5], s15, v16
                                        ; implicit-def: $vgpr16
                                        ; kill: killed $vgpr16
	s_and_saveexec_b64 s[12:13], s[4:5]
	s_xor_b64 s[4:5], exec, s[12:13]
	s_cbranch_execz .LBB403_1131
; %bb.1130:                             ;   in Loop: Header=BB403_1003 Depth=1
	v_bfe_u32 v16, v11, 16, 1
	v_add3_u32 v11, v11, v16, s21
	buffer_store_dword v11, off, s[0:3], s32 offset:212 ; 4-byte Folded Spill
                                        ; implicit-def: $vgpr11
.LBB403_1131:                           ;   in Loop: Header=BB403_1003 Depth=1
	s_andn2_saveexec_b64 s[12:13], s[4:5]
	s_cbranch_execz .LBB403_1133
; %bb.1132:                             ;   in Loop: Header=BB403_1003 Depth=1
	v_or_b32_e32 v16, 0x10000, v11
	v_cmp_eq_u32_sdwa s[4:5], v11, v33 src0_sel:WORD_0 src1_sel:DWORD
	v_cndmask_b32_e64 v11, v16, v11, s[4:5]
	buffer_store_dword v11, off, s[0:3], s32 offset:212 ; 4-byte Folded Spill
.LBB403_1133:                           ;   in Loop: Header=BB403_1003 Depth=1
	s_or_b64 exec, exec, s[12:13]
	v_and_b32_e32 v54, 0xffff0000, v5
	v_lshlrev_b32_e32 v5, 16, v32
	v_mul_f32_e32 v11, v54, v5
	v_and_b32_e32 v5, 0x7f800000, v11
	v_cmp_ne_u32_e64 s[4:5], s15, v5
                                        ; implicit-def: $vgpr5
                                        ; kill: killed $vgpr5
	s_and_saveexec_b64 s[12:13], s[4:5]
	s_xor_b64 s[4:5], exec, s[12:13]
	s_cbranch_execz .LBB403_1135
; %bb.1134:                             ;   in Loop: Header=BB403_1003 Depth=1
	v_bfe_u32 v5, v11, 16, 1
	v_add3_u32 v5, v11, v5, s21
	buffer_store_dword v5, off, s[0:3], s32 offset:216 ; 4-byte Folded Spill
                                        ; implicit-def: $vgpr11
.LBB403_1135:                           ;   in Loop: Header=BB403_1003 Depth=1
	s_andn2_saveexec_b64 s[12:13], s[4:5]
	s_cbranch_execz .LBB403_1137
; %bb.1136:                             ;   in Loop: Header=BB403_1003 Depth=1
	v_or_b32_e32 v5, 0x10000, v11
	v_cmp_eq_u32_sdwa s[4:5], v11, v33 src0_sel:WORD_0 src1_sel:DWORD
	v_cndmask_b32_e64 v5, v5, v11, s[4:5]
	buffer_store_dword v5, off, s[0:3], s32 offset:216 ; 4-byte Folded Spill
.LBB403_1137:                           ;   in Loop: Header=BB403_1003 Depth=1
	s_or_b64 exec, exec, s[12:13]
	v_and_b32_e32 v61, 0xffff0000, v4
	v_lshlrev_b32_e32 v4, 16, v8
	v_mul_f32_e32 v8, v61, v4
	v_and_b32_e32 v4, 0x7f800000, v8
	v_cmp_ne_u32_e64 s[4:5], s15, v4
                                        ; implicit-def: $vgpr4
                                        ; kill: killed $vgpr4
	s_and_saveexec_b64 s[12:13], s[4:5]
	s_xor_b64 s[4:5], exec, s[12:13]
	s_cbranch_execz .LBB403_1139
; %bb.1138:                             ;   in Loop: Header=BB403_1003 Depth=1
	v_bfe_u32 v4, v8, 16, 1
	v_add3_u32 v4, v8, v4, s21
	buffer_store_dword v4, off, s[0:3], s32 offset:220 ; 4-byte Folded Spill
                                        ; implicit-def: $vgpr8
.LBB403_1139:                           ;   in Loop: Header=BB403_1003 Depth=1
	s_andn2_saveexec_b64 s[12:13], s[4:5]
	s_cbranch_execz .LBB403_1141
; %bb.1140:                             ;   in Loop: Header=BB403_1003 Depth=1
	v_or_b32_e32 v4, 0x10000, v8
	v_cmp_eq_u32_sdwa s[4:5], v8, v33 src0_sel:WORD_0 src1_sel:DWORD
	v_cndmask_b32_e64 v4, v4, v8, s[4:5]
	buffer_store_dword v4, off, s[0:3], s32 offset:220 ; 4-byte Folded Spill
.LBB403_1141:                           ;   in Loop: Header=BB403_1003 Depth=1
	s_or_b64 exec, exec, s[12:13]
	v_and_b32_e32 v35, 0xffff0000, v10
	v_lshlrev_b32_e32 v4, 16, v7
	v_mul_f32_e32 v7, v35, v4
	v_and_b32_e32 v4, 0x7f800000, v7
	v_cmp_ne_u32_e64 s[4:5], s15, v4
                                        ; implicit-def: $vgpr4
                                        ; kill: killed $vgpr4
	s_and_saveexec_b64 s[12:13], s[4:5]
	s_xor_b64 s[4:5], exec, s[12:13]
	s_cbranch_execz .LBB403_1143
; %bb.1142:                             ;   in Loop: Header=BB403_1003 Depth=1
	v_bfe_u32 v4, v7, 16, 1
	v_add3_u32 v4, v7, v4, s21
	buffer_store_dword v4, off, s[0:3], s32 offset:224 ; 4-byte Folded Spill
                                        ; implicit-def: $vgpr7
.LBB403_1143:                           ;   in Loop: Header=BB403_1003 Depth=1
	s_andn2_saveexec_b64 s[12:13], s[4:5]
	s_cbranch_execz .LBB403_1145
; %bb.1144:                             ;   in Loop: Header=BB403_1003 Depth=1
	v_or_b32_e32 v4, 0x10000, v7
	v_cmp_eq_u32_sdwa s[4:5], v7, v33 src0_sel:WORD_0 src1_sel:DWORD
	v_cndmask_b32_e64 v4, v4, v7, s[4:5]
	buffer_store_dword v4, off, s[0:3], s32 offset:224 ; 4-byte Folded Spill
.LBB403_1145:                           ;   in Loop: Header=BB403_1003 Depth=1
	s_or_b64 exec, exec, s[12:13]
	v_and_b32_e32 v50, 0xffff0000, v9
	v_lshlrev_b32_e32 v4, 16, v6
	v_mul_f32_e32 v6, v50, v4
	v_and_b32_e32 v4, 0x7f800000, v6
	v_cmp_ne_u32_e64 s[4:5], s15, v4
                                        ; implicit-def: $vgpr4
                                        ; kill: killed $vgpr4
	s_and_saveexec_b64 s[12:13], s[4:5]
	s_xor_b64 s[4:5], exec, s[12:13]
	s_cbranch_execz .LBB403_1147
; %bb.1146:                             ;   in Loop: Header=BB403_1003 Depth=1
	v_bfe_u32 v4, v6, 16, 1
	v_add3_u32 v4, v6, v4, s21
	buffer_store_dword v4, off, s[0:3], s32 offset:228 ; 4-byte Folded Spill
                                        ; implicit-def: $vgpr6
.LBB403_1147:                           ;   in Loop: Header=BB403_1003 Depth=1
	s_andn2_saveexec_b64 s[12:13], s[4:5]
	s_cbranch_execz .LBB403_1149
; %bb.1148:                             ;   in Loop: Header=BB403_1003 Depth=1
	v_or_b32_e32 v4, 0x10000, v6
	v_cmp_eq_u32_sdwa s[4:5], v6, v33 src0_sel:WORD_0 src1_sel:DWORD
	v_cndmask_b32_e64 v4, v4, v6, s[4:5]
	buffer_store_dword v4, off, s[0:3], s32 offset:228 ; 4-byte Folded Spill
.LBB403_1149:                           ;   in Loop: Header=BB403_1003 Depth=1
	s_or_b64 exec, exec, s[12:13]
	flat_load_dwordx2 v[6:7], v[2:3] offset:512
	v_mov_b32_e32 v8, 0
	s_waitcnt vmcnt(0) lgkmcnt(0)
	v_cmp_ne_u16_sdwa s[4:5], v6, v33 src0_sel:BYTE_0 src1_sel:DWORD
	s_and_saveexec_b64 s[12:13], s[4:5]
	s_cbranch_execz .LBB403_1155
; %bb.1150:                             ;   in Loop: Header=BB403_1003 Depth=1
	v_cmp_ne_u16_sdwa s[4:5], v6, s28 src0_sel:BYTE_0 src1_sel:DWORD
	v_bfrev_b32_e32 v8, 1
	s_and_saveexec_b64 s[24:25], s[4:5]
	s_cbranch_execz .LBB403_1154
; %bb.1151:                             ;   in Loop: Header=BB403_1003 Depth=1
	v_and_b32_e32 v9, 0x7f, v6
	v_cmp_ne_u32_e64 s[4:5], s29, v9
	v_mov_b32_e32 v8, 0x7f800001
	s_and_saveexec_b64 s[26:27], s[4:5]
	s_cbranch_execz .LBB403_1153
; %bb.1152:                             ;   in Loop: Header=BB403_1003 Depth=1
	v_and_b32_e32 v4, 7, v6
	v_ffbh_u32_e32 v4, v4
	v_min_u32_e32 v4, 32, v4
	v_lshrrev_b32_e32 v5, 3, v9
	v_subrev_u32_e32 v8, 28, v4
	v_sub_u32_e32 v4, 29, v4
	v_cmp_gt_u32_e64 s[4:5], 8, v9
	v_cndmask_b32_e64 v4, v5, v4, s[4:5]
	v_cndmask_b32_e64 v5, 0, v8, s[4:5]
	v_lshlrev_b64 v[8:9], v5, v[6:7]
	v_lshlrev_b32_e32 v5, 20, v8
	v_lshlrev_b32_e32 v8, 24, v6
	v_bfrev_b32_e32 v9, 60
	v_and_b32_e32 v5, 0x700000, v5
	v_and_b32_e32 v8, 0x80000000, v8
	v_lshl_add_u32 v4, v4, 23, v9
	v_or3_b32 v8, v8, v4, v5
.LBB403_1153:                           ;   in Loop: Header=BB403_1003 Depth=1
	s_or_b64 exec, exec, s[26:27]
.LBB403_1154:                           ;   in Loop: Header=BB403_1003 Depth=1
	s_or_b64 exec, exec, s[24:25]
.LBB403_1155:                           ;   in Loop: Header=BB403_1003 Depth=1
	s_or_b64 exec, exec, s[12:13]
	v_mul_f32_e32 v8, v27, v8
	v_and_b32_e32 v4, 0x7f800000, v8
	v_cmp_ne_u32_e64 s[4:5], s15, v4
                                        ; implicit-def: $vgpr9
	s_and_saveexec_b64 s[12:13], s[4:5]
	s_xor_b64 s[4:5], exec, s[12:13]
; %bb.1156:                             ;   in Loop: Header=BB403_1003 Depth=1
	v_bfe_u32 v4, v8, 16, 1
	v_add3_u32 v9, v8, v4, s21
                                        ; implicit-def: $vgpr8
; %bb.1157:                             ;   in Loop: Header=BB403_1003 Depth=1
	s_andn2_saveexec_b64 s[12:13], s[4:5]
; %bb.1158:                             ;   in Loop: Header=BB403_1003 Depth=1
	v_or_b32_e32 v4, 0x10000, v8
	v_cmp_eq_u32_sdwa s[4:5], v8, v33 src0_sel:WORD_0 src1_sel:DWORD
	v_cndmask_b32_e64 v9, v4, v8, s[4:5]
; %bb.1159:                             ;   in Loop: Header=BB403_1003 Depth=1
	s_or_b64 exec, exec, s[12:13]
	v_lshrrev_b16_e32 v8, 8, v6
	v_cmp_ne_u16_e64 s[4:5], 0, v8
	v_mov_b32_e32 v10, 0
	s_and_saveexec_b64 s[12:13], s[4:5]
	s_cbranch_execz .LBB403_1165
; %bb.1160:                             ;   in Loop: Header=BB403_1003 Depth=1
	v_cmp_ne_u16_e64 s[4:5], s28, v8
	v_bfrev_b32_e32 v10, 1
	s_and_saveexec_b64 s[24:25], s[4:5]
	s_cbranch_execz .LBB403_1164
; %bb.1161:                             ;   in Loop: Header=BB403_1003 Depth=1
	v_and_b32_e32 v11, 0x7f, v8
	v_cmp_ne_u32_e64 s[4:5], s29, v11
	v_mov_b32_e32 v10, 0x7f800001
	s_and_saveexec_b64 s[26:27], s[4:5]
	s_cbranch_execz .LBB403_1163
; %bb.1162:                             ;   in Loop: Header=BB403_1003 Depth=1
	v_and_b32_e32 v4, 7, v8
	v_ffbh_u32_e32 v10, v4
	v_min_u32_e32 v10, 32, v10
	v_subrev_u32_e32 v16, 28, v10
	v_lshlrev_b64 v[38:39], v16, v[8:9]
	v_lshrrev_b32_e32 v5, 3, v11
	v_sub_u32_e32 v8, 29, v10
	v_and_b32_e32 v10, 7, v38
	v_cmp_gt_u32_e64 s[4:5], 8, v11
	v_cndmask_b32_e64 v5, v5, v8, s[4:5]
	v_cndmask_b32_e64 v4, v4, v10, s[4:5]
	v_lshlrev_b32_e32 v8, 16, v6
	v_bfrev_b32_e32 v10, 60
	v_lshlrev_b32_e32 v4, 20, v4
	v_and_b32_e32 v8, 0x80000000, v8
	v_lshl_add_u32 v5, v5, 23, v10
	v_or3_b32 v10, v8, v5, v4
.LBB403_1163:                           ;   in Loop: Header=BB403_1003 Depth=1
	s_or_b64 exec, exec, s[26:27]
.LBB403_1164:                           ;   in Loop: Header=BB403_1003 Depth=1
	s_or_b64 exec, exec, s[24:25]
.LBB403_1165:                           ;   in Loop: Header=BB403_1003 Depth=1
	s_or_b64 exec, exec, s[12:13]
	v_mul_f32_e32 v8, v27, v10
	v_and_b32_e32 v4, 0x7f800000, v8
	v_cmp_ne_u32_e64 s[4:5], s15, v4
                                        ; implicit-def: $vgpr10
	s_and_saveexec_b64 s[12:13], s[4:5]
	s_xor_b64 s[4:5], exec, s[12:13]
; %bb.1166:                             ;   in Loop: Header=BB403_1003 Depth=1
	v_bfe_u32 v4, v8, 16, 1
	v_add3_u32 v10, v8, v4, s21
                                        ; implicit-def: $vgpr8
; %bb.1167:                             ;   in Loop: Header=BB403_1003 Depth=1
	s_andn2_saveexec_b64 s[12:13], s[4:5]
; %bb.1168:                             ;   in Loop: Header=BB403_1003 Depth=1
	v_or_b32_e32 v4, 0x10000, v8
	v_cmp_eq_u32_sdwa s[4:5], v8, v33 src0_sel:WORD_0 src1_sel:DWORD
	v_cndmask_b32_e64 v10, v4, v8, s[4:5]
; %bb.1169:                             ;   in Loop: Header=BB403_1003 Depth=1
	s_or_b64 exec, exec, s[12:13]
	v_lshrrev_b32_e32 v8, 16, v6
	v_cmp_ne_u16_sdwa s[4:5], v8, v33 src0_sel:BYTE_0 src1_sel:DWORD
	v_mov_b32_e32 v11, 0
	s_and_saveexec_b64 s[12:13], s[4:5]
	s_cbranch_execz .LBB403_1175
; %bb.1170:                             ;   in Loop: Header=BB403_1003 Depth=1
	v_cmp_ne_u16_sdwa s[4:5], v8, s28 src0_sel:BYTE_0 src1_sel:DWORD
	v_bfrev_b32_e32 v11, 1
	s_and_saveexec_b64 s[24:25], s[4:5]
	s_cbranch_execz .LBB403_1174
; %bb.1171:                             ;   in Loop: Header=BB403_1003 Depth=1
	v_bfe_u32 v16, v6, 16, 7
	v_cmp_ne_u32_e64 s[4:5], s29, v16
	v_mov_b32_e32 v11, 0x7f800001
	s_and_saveexec_b64 s[26:27], s[4:5]
	s_cbranch_execz .LBB403_1173
; %bb.1172:                             ;   in Loop: Header=BB403_1003 Depth=1
	v_and_b32_e32 v4, 7, v8
	v_ffbh_u32_e32 v11, v4
	v_min_u32_e32 v11, 32, v11
	v_subrev_u32_e32 v22, 28, v11
	v_lshlrev_b64 v[38:39], v22, v[8:9]
	v_lshrrev_b32_e32 v5, 3, v16
	v_sub_u32_e32 v11, 29, v11
	v_and_b32_e32 v22, 7, v38
	v_cmp_gt_u32_e64 s[4:5], 8, v16
	v_cndmask_b32_e64 v5, v5, v11, s[4:5]
	v_cndmask_b32_e64 v4, v4, v22, s[4:5]
	v_lshlrev_b32_e32 v8, 24, v8
	v_bfrev_b32_e32 v11, 60
	v_lshlrev_b32_e32 v4, 20, v4
	v_and_b32_e32 v8, 0x80000000, v8
	v_lshl_add_u32 v5, v5, 23, v11
	v_or3_b32 v11, v8, v5, v4
.LBB403_1173:                           ;   in Loop: Header=BB403_1003 Depth=1
	s_or_b64 exec, exec, s[26:27]
.LBB403_1174:                           ;   in Loop: Header=BB403_1003 Depth=1
	s_or_b64 exec, exec, s[24:25]
.LBB403_1175:                           ;   in Loop: Header=BB403_1003 Depth=1
	s_or_b64 exec, exec, s[12:13]
	v_mul_f32_e32 v8, v27, v11
	v_and_b32_e32 v4, 0x7f800000, v8
	v_cmp_ne_u32_e64 s[4:5], s15, v4
                                        ; implicit-def: $vgpr11
	s_and_saveexec_b64 s[12:13], s[4:5]
	s_xor_b64 s[4:5], exec, s[12:13]
; %bb.1176:                             ;   in Loop: Header=BB403_1003 Depth=1
	v_bfe_u32 v4, v8, 16, 1
	v_add3_u32 v11, v8, v4, s21
                                        ; implicit-def: $vgpr8
; %bb.1177:                             ;   in Loop: Header=BB403_1003 Depth=1
	s_andn2_saveexec_b64 s[12:13], s[4:5]
; %bb.1178:                             ;   in Loop: Header=BB403_1003 Depth=1
	v_or_b32_e32 v4, 0x10000, v8
	v_cmp_eq_u32_sdwa s[4:5], v8, v33 src0_sel:WORD_0 src1_sel:DWORD
	v_cndmask_b32_e64 v11, v4, v8, s[4:5]
; %bb.1179:                             ;   in Loop: Header=BB403_1003 Depth=1
	s_or_b64 exec, exec, s[12:13]
	v_cmp_lt_u32_e64 s[4:5], s9, v6
	v_mov_b32_e32 v16, 0
	s_and_saveexec_b64 s[12:13], s[4:5]
	s_cbranch_execz .LBB403_1185
; %bb.1180:                             ;   in Loop: Header=BB403_1003 Depth=1
	v_lshrrev_b32_e32 v8, 24, v6
	v_cmp_ne_u32_e64 s[4:5], s28, v8
	v_bfrev_b32_e32 v16, 1
	s_and_saveexec_b64 s[24:25], s[4:5]
	s_cbranch_execz .LBB403_1184
; %bb.1181:                             ;   in Loop: Header=BB403_1003 Depth=1
	v_bfe_u32 v22, v6, 24, 7
	v_cmp_ne_u32_e64 s[4:5], s29, v22
	v_mov_b32_e32 v16, 0x7f800001
	s_and_saveexec_b64 s[26:27], s[4:5]
	s_cbranch_execz .LBB403_1183
; %bb.1182:                             ;   in Loop: Header=BB403_1003 Depth=1
	v_and_b32_e32 v4, 7, v8
	v_ffbh_u32_e32 v16, v4
	v_min_u32_e32 v16, 32, v16
	v_subrev_u32_e32 v26, 28, v16
	v_lshlrev_b64 v[38:39], v26, v[8:9]
	v_lshrrev_b32_e32 v5, 3, v22
	v_sub_u32_e32 v16, 29, v16
	v_and_b32_e32 v26, 7, v38
	v_cmp_gt_u32_e64 s[4:5], 8, v22
	v_cndmask_b32_e64 v5, v5, v16, s[4:5]
	v_cndmask_b32_e64 v4, v4, v26, s[4:5]
	v_lshlrev_b32_e32 v8, 24, v8
	v_bfrev_b32_e32 v16, 60
	v_lshlrev_b32_e32 v4, 20, v4
	v_and_b32_e32 v8, 0x80000000, v8
	v_lshl_add_u32 v5, v5, 23, v16
	v_or3_b32 v16, v8, v5, v4
.LBB403_1183:                           ;   in Loop: Header=BB403_1003 Depth=1
	s_or_b64 exec, exec, s[26:27]
.LBB403_1184:                           ;   in Loop: Header=BB403_1003 Depth=1
	s_or_b64 exec, exec, s[24:25]
.LBB403_1185:                           ;   in Loop: Header=BB403_1003 Depth=1
	s_or_b64 exec, exec, s[12:13]
	v_mul_f32_e32 v8, v27, v16
	v_and_b32_e32 v4, 0x7f800000, v8
	v_cmp_ne_u32_e64 s[4:5], s15, v4
                                        ; implicit-def: $vgpr16
	s_and_saveexec_b64 s[12:13], s[4:5]
	s_xor_b64 s[4:5], exec, s[12:13]
; %bb.1186:                             ;   in Loop: Header=BB403_1003 Depth=1
	v_bfe_u32 v4, v8, 16, 1
	v_add3_u32 v16, v8, v4, s21
                                        ; implicit-def: $vgpr8
; %bb.1187:                             ;   in Loop: Header=BB403_1003 Depth=1
	s_andn2_saveexec_b64 s[12:13], s[4:5]
; %bb.1188:                             ;   in Loop: Header=BB403_1003 Depth=1
	v_or_b32_e32 v4, 0x10000, v8
	v_cmp_eq_u32_sdwa s[4:5], v8, v33 src0_sel:WORD_0 src1_sel:DWORD
	v_cndmask_b32_e64 v16, v4, v8, s[4:5]
; %bb.1189:                             ;   in Loop: Header=BB403_1003 Depth=1
	s_or_b64 exec, exec, s[12:13]
	v_mov_b32_e32 v32, v7
	v_cmp_ne_u16_sdwa s[4:5], v7, v33 src0_sel:BYTE_0 src1_sel:DWORD
	v_mov_b32_e32 v8, 0
	s_and_saveexec_b64 s[12:13], s[4:5]
	s_cbranch_execz .LBB403_1195
; %bb.1190:                             ;   in Loop: Header=BB403_1003 Depth=1
	v_cmp_ne_u16_sdwa s[4:5], v7, s28 src0_sel:BYTE_0 src1_sel:DWORD
	v_bfrev_b32_e32 v8, 1
	s_and_saveexec_b64 s[24:25], s[4:5]
	s_cbranch_execz .LBB403_1194
; %bb.1191:                             ;   in Loop: Header=BB403_1003 Depth=1
	v_and_b32_e32 v22, 0x7f, v7
	v_cmp_ne_u32_e64 s[4:5], s29, v22
	v_mov_b32_e32 v8, 0x7f800001
	s_and_saveexec_b64 s[26:27], s[4:5]
	s_cbranch_execz .LBB403_1193
; %bb.1192:                             ;   in Loop: Header=BB403_1003 Depth=1
	v_and_b32_e32 v4, 7, v7
	v_ffbh_u32_e32 v4, v4
	v_min_u32_e32 v4, 32, v4
	v_lshrrev_b32_e32 v5, 3, v22
	v_subrev_u32_e32 v8, 28, v4
	v_sub_u32_e32 v4, 29, v4
	v_cmp_gt_u32_e64 s[4:5], 8, v22
	v_cndmask_b32_e64 v4, v5, v4, s[4:5]
	v_cndmask_b32_e64 v5, 0, v8, s[4:5]
	v_lshlrev_b64 v[38:39], v5, v[32:33]
	v_lshlrev_b32_e32 v5, 20, v38
	v_lshlrev_b32_e32 v8, 24, v32
	v_bfrev_b32_e32 v22, 60
	v_and_b32_e32 v5, 0x700000, v5
	v_and_b32_e32 v8, 0x80000000, v8
	v_lshl_add_u32 v4, v4, 23, v22
	v_or3_b32 v8, v8, v4, v5
.LBB403_1193:                           ;   in Loop: Header=BB403_1003 Depth=1
	s_or_b64 exec, exec, s[26:27]
.LBB403_1194:                           ;   in Loop: Header=BB403_1003 Depth=1
	s_or_b64 exec, exec, s[24:25]
.LBB403_1195:                           ;   in Loop: Header=BB403_1003 Depth=1
	s_or_b64 exec, exec, s[12:13]
	v_mul_f32_e32 v8, v27, v8
	v_and_b32_e32 v4, 0x7f800000, v8
	v_cmp_ne_u32_e64 s[4:5], s15, v4
                                        ; implicit-def: $vgpr22
	s_and_saveexec_b64 s[12:13], s[4:5]
	s_xor_b64 s[4:5], exec, s[12:13]
; %bb.1196:                             ;   in Loop: Header=BB403_1003 Depth=1
	v_bfe_u32 v4, v8, 16, 1
	v_add3_u32 v22, v8, v4, s21
                                        ; implicit-def: $vgpr8
; %bb.1197:                             ;   in Loop: Header=BB403_1003 Depth=1
	s_andn2_saveexec_b64 s[12:13], s[4:5]
; %bb.1198:                             ;   in Loop: Header=BB403_1003 Depth=1
	v_or_b32_e32 v4, 0x10000, v8
	v_cmp_eq_u32_sdwa s[4:5], v8, v33 src0_sel:WORD_0 src1_sel:DWORD
	v_cndmask_b32_e64 v22, v4, v8, s[4:5]
; %bb.1199:                             ;   in Loop: Header=BB403_1003 Depth=1
	s_or_b64 exec, exec, s[12:13]
	v_lshrrev_b16_e32 v8, 8, v32
	v_cmp_ne_u16_e64 s[4:5], 0, v8
	v_mov_b32_e32 v26, 0
	s_and_saveexec_b64 s[12:13], s[4:5]
	s_cbranch_execz .LBB403_1205
; %bb.1200:                             ;   in Loop: Header=BB403_1003 Depth=1
	v_cmp_ne_u16_e64 s[4:5], s28, v8
	v_bfrev_b32_e32 v26, 1
	s_and_saveexec_b64 s[24:25], s[4:5]
	s_cbranch_execz .LBB403_1204
; %bb.1201:                             ;   in Loop: Header=BB403_1003 Depth=1
	v_and_b32_e32 v34, 0x7f, v8
	v_cmp_ne_u32_e64 s[4:5], s29, v34
	v_mov_b32_e32 v26, 0x7f800001
	s_and_saveexec_b64 s[26:27], s[4:5]
	s_cbranch_execz .LBB403_1203
; %bb.1202:                             ;   in Loop: Header=BB403_1003 Depth=1
	v_and_b32_e32 v4, 7, v8
	v_ffbh_u32_e32 v26, v4
	v_min_u32_e32 v26, 32, v26
	v_subrev_u32_e32 v36, 28, v26
	v_lshlrev_b64 v[38:39], v36, v[8:9]
	v_lshrrev_b32_e32 v5, 3, v34
	v_sub_u32_e32 v8, 29, v26
	v_and_b32_e32 v26, 7, v38
	v_cmp_gt_u32_e64 s[4:5], 8, v34
	v_cndmask_b32_e64 v5, v5, v8, s[4:5]
	v_cndmask_b32_e64 v4, v4, v26, s[4:5]
	v_lshlrev_b32_e32 v8, 16, v32
	v_bfrev_b32_e32 v26, 60
	v_lshlrev_b32_e32 v4, 20, v4
	v_and_b32_e32 v8, 0x80000000, v8
	v_lshl_add_u32 v5, v5, 23, v26
	v_or3_b32 v26, v8, v5, v4
.LBB403_1203:                           ;   in Loop: Header=BB403_1003 Depth=1
	s_or_b64 exec, exec, s[26:27]
.LBB403_1204:                           ;   in Loop: Header=BB403_1003 Depth=1
	s_or_b64 exec, exec, s[24:25]
.LBB403_1205:                           ;   in Loop: Header=BB403_1003 Depth=1
	s_or_b64 exec, exec, s[12:13]
	v_mul_f32_e32 v8, v27, v26
	v_and_b32_e32 v4, 0x7f800000, v8
	v_cmp_ne_u32_e64 s[4:5], s15, v4
                                        ; implicit-def: $vgpr26
	s_and_saveexec_b64 s[12:13], s[4:5]
	s_xor_b64 s[4:5], exec, s[12:13]
; %bb.1206:                             ;   in Loop: Header=BB403_1003 Depth=1
	v_bfe_u32 v4, v8, 16, 1
	v_add3_u32 v26, v8, v4, s21
                                        ; implicit-def: $vgpr8
; %bb.1207:                             ;   in Loop: Header=BB403_1003 Depth=1
	s_andn2_saveexec_b64 s[12:13], s[4:5]
; %bb.1208:                             ;   in Loop: Header=BB403_1003 Depth=1
	v_or_b32_e32 v4, 0x10000, v8
	v_cmp_eq_u32_sdwa s[4:5], v8, v33 src0_sel:WORD_0 src1_sel:DWORD
	v_cndmask_b32_e64 v26, v4, v8, s[4:5]
; %bb.1209:                             ;   in Loop: Header=BB403_1003 Depth=1
	s_or_b64 exec, exec, s[12:13]
	v_lshrrev_b32_e32 v8, 16, v7
	v_cmp_ne_u16_sdwa s[4:5], v8, v33 src0_sel:BYTE_0 src1_sel:DWORD
	v_mov_b32_e32 v32, 0
	s_and_saveexec_b64 s[12:13], s[4:5]
	s_cbranch_execz .LBB403_1215
; %bb.1210:                             ;   in Loop: Header=BB403_1003 Depth=1
	v_cmp_ne_u16_sdwa s[4:5], v8, s28 src0_sel:BYTE_0 src1_sel:DWORD
	v_bfrev_b32_e32 v32, 1
	s_and_saveexec_b64 s[24:25], s[4:5]
	s_cbranch_execz .LBB403_1214
; %bb.1211:                             ;   in Loop: Header=BB403_1003 Depth=1
	v_bfe_u32 v34, v7, 16, 7
	v_cmp_ne_u32_e64 s[4:5], s29, v34
	v_mov_b32_e32 v32, 0x7f800001
	s_and_saveexec_b64 s[26:27], s[4:5]
	s_cbranch_execz .LBB403_1213
; %bb.1212:                             ;   in Loop: Header=BB403_1003 Depth=1
	v_and_b32_e32 v4, 7, v8
	v_ffbh_u32_e32 v32, v4
	v_min_u32_e32 v32, 32, v32
	v_subrev_u32_e32 v36, 28, v32
	v_lshlrev_b64 v[38:39], v36, v[8:9]
	v_lshrrev_b32_e32 v5, 3, v34
	v_sub_u32_e32 v32, 29, v32
	v_and_b32_e32 v36, 7, v38
	v_cmp_gt_u32_e64 s[4:5], 8, v34
	v_cndmask_b32_e64 v5, v5, v32, s[4:5]
	v_cndmask_b32_e64 v4, v4, v36, s[4:5]
	v_lshlrev_b32_e32 v8, 24, v8
	v_bfrev_b32_e32 v32, 60
	v_lshlrev_b32_e32 v4, 20, v4
	v_and_b32_e32 v8, 0x80000000, v8
	v_lshl_add_u32 v5, v5, 23, v32
	v_or3_b32 v32, v8, v5, v4
.LBB403_1213:                           ;   in Loop: Header=BB403_1003 Depth=1
	s_or_b64 exec, exec, s[26:27]
.LBB403_1214:                           ;   in Loop: Header=BB403_1003 Depth=1
	s_or_b64 exec, exec, s[24:25]
.LBB403_1215:                           ;   in Loop: Header=BB403_1003 Depth=1
	s_or_b64 exec, exec, s[12:13]
	v_mul_f32_e32 v8, v27, v32
	v_and_b32_e32 v4, 0x7f800000, v8
	v_cmp_ne_u32_e64 s[4:5], s15, v4
                                        ; implicit-def: $vgpr32
	s_and_saveexec_b64 s[12:13], s[4:5]
	s_xor_b64 s[4:5], exec, s[12:13]
; %bb.1216:                             ;   in Loop: Header=BB403_1003 Depth=1
	v_bfe_u32 v4, v8, 16, 1
	v_add3_u32 v32, v8, v4, s21
                                        ; implicit-def: $vgpr8
; %bb.1217:                             ;   in Loop: Header=BB403_1003 Depth=1
	s_andn2_saveexec_b64 s[12:13], s[4:5]
; %bb.1218:                             ;   in Loop: Header=BB403_1003 Depth=1
	v_or_b32_e32 v4, 0x10000, v8
	v_cmp_eq_u32_sdwa s[4:5], v8, v33 src0_sel:WORD_0 src1_sel:DWORD
	v_cndmask_b32_e64 v32, v4, v8, s[4:5]
; %bb.1219:                             ;   in Loop: Header=BB403_1003 Depth=1
	s_or_b64 exec, exec, s[12:13]
	v_cmp_lt_u64_e64 s[4:5], s[8:9], v[6:7]
	v_mov_b32_e32 v8, 0
	s_and_saveexec_b64 s[12:13], s[4:5]
	s_cbranch_execz .LBB403_1225
; %bb.1220:                             ;   in Loop: Header=BB403_1003 Depth=1
	v_lshrrev_b32_e32 v6, 24, v7
	v_cmp_ne_u32_e64 s[4:5], s28, v6
	v_bfrev_b32_e32 v8, 1
	s_and_saveexec_b64 s[24:25], s[4:5]
	s_cbranch_execz .LBB403_1224
; %bb.1221:                             ;   in Loop: Header=BB403_1003 Depth=1
	v_bfe_u32 v7, v7, 24, 7
	v_cmp_ne_u32_e64 s[4:5], s29, v7
	v_mov_b32_e32 v8, 0x7f800001
	s_and_saveexec_b64 s[26:27], s[4:5]
	s_cbranch_execz .LBB403_1223
; %bb.1222:                             ;   in Loop: Header=BB403_1003 Depth=1
	v_and_b32_e32 v4, 7, v6
	v_ffbh_u32_e32 v8, v4
	v_min_u32_e32 v8, 32, v8
	v_subrev_u32_e32 v34, 28, v8
	v_lshlrev_b64 v[38:39], v34, v[6:7]
	v_lshrrev_b32_e32 v5, 3, v7
	v_sub_u32_e32 v8, 29, v8
	v_and_b32_e32 v34, 7, v38
	v_cmp_gt_u32_e64 s[4:5], 8, v7
	v_cndmask_b32_e64 v5, v5, v8, s[4:5]
	v_cndmask_b32_e64 v4, v4, v34, s[4:5]
	v_lshlrev_b32_e32 v6, 24, v6
	v_bfrev_b32_e32 v7, 60
	v_lshlrev_b32_e32 v4, 20, v4
	v_and_b32_e32 v6, 0x80000000, v6
	v_lshl_add_u32 v5, v5, 23, v7
	v_or3_b32 v8, v6, v5, v4
.LBB403_1223:                           ;   in Loop: Header=BB403_1003 Depth=1
	s_or_b64 exec, exec, s[26:27]
.LBB403_1224:                           ;   in Loop: Header=BB403_1003 Depth=1
	s_or_b64 exec, exec, s[24:25]
.LBB403_1225:                           ;   in Loop: Header=BB403_1003 Depth=1
	s_or_b64 exec, exec, s[12:13]
	v_mul_f32_e32 v7, v27, v8
	v_and_b32_e32 v4, 0x7f800000, v7
	v_cmp_ne_u32_e64 s[4:5], s15, v4
                                        ; implicit-def: $vgpr6
	s_and_saveexec_b64 s[12:13], s[4:5]
	s_xor_b64 s[4:5], exec, s[12:13]
; %bb.1226:                             ;   in Loop: Header=BB403_1003 Depth=1
	v_bfe_u32 v4, v7, 16, 1
	v_add3_u32 v6, v7, v4, s21
                                        ; implicit-def: $vgpr7
; %bb.1227:                             ;   in Loop: Header=BB403_1003 Depth=1
	s_andn2_saveexec_b64 s[12:13], s[4:5]
; %bb.1228:                             ;   in Loop: Header=BB403_1003 Depth=1
	v_or_b32_e32 v4, 0x10000, v7
	v_cmp_eq_u32_sdwa s[4:5], v7, v33 src0_sel:WORD_0 src1_sel:DWORD
	v_cndmask_b32_e64 v6, v4, v7, s[4:5]
; %bb.1229:                             ;   in Loop: Header=BB403_1003 Depth=1
	s_or_b64 exec, exec, s[12:13]
	v_lshrrev_b32_e32 v8, 16, v26
	v_lshrrev_b32_e32 v22, 16, v22
	;; [unrolled: 1-line block ×8, first 2 shown]
	s_and_saveexec_b64 s[12:13], vcc
	s_cbranch_execz .LBB403_1231
; %bb.1230:                             ;   in Loop: Header=BB403_1003 Depth=1
	v_accvgpr_read_b32 v4, a26
	v_cmp_lt_i32_e64 s[4:5], v4, v37
	v_accvgpr_read_b32 v4, a32
	v_cndmask_b32_e64 v9, 0, v9, s[4:5]
	v_cmp_lt_i32_e64 s[4:5], v4, v37
	v_accvgpr_read_b32 v4, a31
	v_cndmask_b32_e64 v10, 0, v10, s[4:5]
	;; [unrolled: 3-line block ×6, first 2 shown]
	v_cmp_lt_i32_e64 s[4:5], v4, v37
	v_cndmask_b32_e64 v7, 0, v7, s[4:5]
	v_cmp_lt_i32_e64 s[4:5], v17, v37
	v_cndmask_b32_e64 v6, 0, v6, s[4:5]
.LBB403_1231:                           ;   in Loop: Header=BB403_1003 Depth=1
	s_or_b64 exec, exec, s[12:13]
	v_lshlrev_b32_e32 v4, 16, v9
	v_mul_f32_e32 v9, v48, v4
	v_and_b32_e32 v4, 0x7f800000, v9
	v_cmp_ne_u32_e64 s[4:5], s15, v4
                                        ; implicit-def: $vgpr4
                                        ; kill: killed $vgpr4
	s_and_saveexec_b64 s[12:13], s[4:5]
	s_xor_b64 s[4:5], exec, s[12:13]
	s_cbranch_execz .LBB403_1233
; %bb.1232:                             ;   in Loop: Header=BB403_1003 Depth=1
	v_bfe_u32 v4, v9, 16, 1
	v_add3_u32 v4, v9, v4, s21
	buffer_store_dword v4, off, s[0:3], s32 offset:232 ; 4-byte Folded Spill
                                        ; implicit-def: $vgpr9
.LBB403_1233:                           ;   in Loop: Header=BB403_1003 Depth=1
	s_andn2_saveexec_b64 s[12:13], s[4:5]
	s_cbranch_execz .LBB403_1235
; %bb.1234:                             ;   in Loop: Header=BB403_1003 Depth=1
	v_or_b32_e32 v4, 0x10000, v9
	v_cmp_eq_u32_sdwa s[4:5], v9, v33 src0_sel:WORD_0 src1_sel:DWORD
	v_cndmask_b32_e64 v4, v4, v9, s[4:5]
	buffer_store_dword v4, off, s[0:3], s32 offset:232 ; 4-byte Folded Spill
.LBB403_1235:                           ;   in Loop: Header=BB403_1003 Depth=1
	s_or_b64 exec, exec, s[12:13]
	v_lshlrev_b32_e32 v4, 16, v10
	v_mul_f32_e32 v9, v51, v4
	v_and_b32_e32 v4, 0x7f800000, v9
	v_cmp_ne_u32_e64 s[4:5], s15, v4
                                        ; implicit-def: $vgpr4
                                        ; kill: killed $vgpr4
	s_and_saveexec_b64 s[12:13], s[4:5]
	s_xor_b64 s[4:5], exec, s[12:13]
	s_cbranch_execz .LBB403_1237
; %bb.1236:                             ;   in Loop: Header=BB403_1003 Depth=1
	v_bfe_u32 v4, v9, 16, 1
	v_add3_u32 v4, v9, v4, s21
	buffer_store_dword v4, off, s[0:3], s32 offset:236 ; 4-byte Folded Spill
                                        ; implicit-def: $vgpr9
.LBB403_1237:                           ;   in Loop: Header=BB403_1003 Depth=1
	s_andn2_saveexec_b64 s[12:13], s[4:5]
	s_cbranch_execz .LBB403_1239
; %bb.1238:                             ;   in Loop: Header=BB403_1003 Depth=1
	v_or_b32_e32 v4, 0x10000, v9
	v_cmp_eq_u32_sdwa s[4:5], v9, v33 src0_sel:WORD_0 src1_sel:DWORD
	v_cndmask_b32_e64 v4, v4, v9, s[4:5]
	buffer_store_dword v4, off, s[0:3], s32 offset:236 ; 4-byte Folded Spill
.LBB403_1239:                           ;   in Loop: Header=BB403_1003 Depth=1
	s_or_b64 exec, exec, s[12:13]
	v_lshlrev_b32_e32 v4, 16, v11
	v_mul_f32_e32 v9, v49, v4
	v_and_b32_e32 v4, 0x7f800000, v9
	v_cmp_ne_u32_e64 s[4:5], s15, v4
                                        ; implicit-def: $agpr37
	s_and_saveexec_b64 s[12:13], s[4:5]
	s_xor_b64 s[4:5], exec, s[12:13]
; %bb.1240:                             ;   in Loop: Header=BB403_1003 Depth=1
	v_bfe_u32 v4, v9, 16, 1
	v_add3_u32 v4, v9, v4, s21
	v_accvgpr_write_b32 a37, v4
                                        ; implicit-def: $vgpr9
; %bb.1241:                             ;   in Loop: Header=BB403_1003 Depth=1
	s_andn2_saveexec_b64 s[12:13], s[4:5]
; %bb.1242:                             ;   in Loop: Header=BB403_1003 Depth=1
	v_or_b32_e32 v4, 0x10000, v9
	v_cmp_eq_u32_sdwa s[4:5], v9, v33 src0_sel:WORD_0 src1_sel:DWORD
	v_cndmask_b32_e64 v4, v4, v9, s[4:5]
	v_accvgpr_write_b32 a37, v4
; %bb.1243:                             ;   in Loop: Header=BB403_1003 Depth=1
	s_or_b64 exec, exec, s[12:13]
	v_lshlrev_b32_e32 v4, 16, v16
	v_mul_f32_e32 v9, v23, v4
	v_and_b32_e32 v4, 0x7f800000, v9
	v_cmp_ne_u32_e64 s[4:5], s15, v4
                                        ; implicit-def: $agpr38
	s_and_saveexec_b64 s[12:13], s[4:5]
	s_xor_b64 s[4:5], exec, s[12:13]
; %bb.1244:                             ;   in Loop: Header=BB403_1003 Depth=1
	v_bfe_u32 v4, v9, 16, 1
	v_add3_u32 v4, v9, v4, s21
	v_accvgpr_write_b32 a38, v4
                                        ; implicit-def: $vgpr9
; %bb.1245:                             ;   in Loop: Header=BB403_1003 Depth=1
	s_andn2_saveexec_b64 s[12:13], s[4:5]
; %bb.1246:                             ;   in Loop: Header=BB403_1003 Depth=1
	v_or_b32_e32 v4, 0x10000, v9
	v_cmp_eq_u32_sdwa s[4:5], v9, v33 src0_sel:WORD_0 src1_sel:DWORD
	v_cndmask_b32_e64 v4, v4, v9, s[4:5]
	v_accvgpr_write_b32 a38, v4
; %bb.1247:                             ;   in Loop: Header=BB403_1003 Depth=1
	s_or_b64 exec, exec, s[12:13]
	v_lshlrev_b32_e32 v4, 16, v22
	v_mul_f32_e32 v9, v54, v4
	v_and_b32_e32 v4, 0x7f800000, v9
	v_cmp_ne_u32_e64 s[4:5], s15, v4
                                        ; implicit-def: $agpr39
	s_and_saveexec_b64 s[12:13], s[4:5]
	s_xor_b64 s[4:5], exec, s[12:13]
; %bb.1248:                             ;   in Loop: Header=BB403_1003 Depth=1
	v_bfe_u32 v4, v9, 16, 1
	v_add3_u32 v4, v9, v4, s21
	v_accvgpr_write_b32 a39, v4
                                        ; implicit-def: $vgpr9
; %bb.1249:                             ;   in Loop: Header=BB403_1003 Depth=1
	s_andn2_saveexec_b64 s[12:13], s[4:5]
; %bb.1250:                             ;   in Loop: Header=BB403_1003 Depth=1
	v_or_b32_e32 v4, 0x10000, v9
	v_cmp_eq_u32_sdwa s[4:5], v9, v33 src0_sel:WORD_0 src1_sel:DWORD
	v_cndmask_b32_e64 v4, v4, v9, s[4:5]
	v_accvgpr_write_b32 a39, v4
; %bb.1251:                             ;   in Loop: Header=BB403_1003 Depth=1
	s_or_b64 exec, exec, s[12:13]
	v_lshlrev_b32_e32 v4, 16, v8
	v_mul_f32_e32 v8, v61, v4
	v_and_b32_e32 v4, 0x7f800000, v8
	v_cmp_ne_u32_e64 s[4:5], s15, v4
                                        ; implicit-def: $agpr40
	s_and_saveexec_b64 s[12:13], s[4:5]
	s_xor_b64 s[4:5], exec, s[12:13]
; %bb.1252:                             ;   in Loop: Header=BB403_1003 Depth=1
	v_bfe_u32 v4, v8, 16, 1
	v_add3_u32 v4, v8, v4, s21
	v_accvgpr_write_b32 a40, v4
                                        ; implicit-def: $vgpr8
; %bb.1253:                             ;   in Loop: Header=BB403_1003 Depth=1
	s_andn2_saveexec_b64 s[12:13], s[4:5]
; %bb.1254:                             ;   in Loop: Header=BB403_1003 Depth=1
	v_or_b32_e32 v4, 0x10000, v8
	v_cmp_eq_u32_sdwa s[4:5], v8, v33 src0_sel:WORD_0 src1_sel:DWORD
	v_cndmask_b32_e64 v4, v4, v8, s[4:5]
	v_accvgpr_write_b32 a40, v4
; %bb.1255:                             ;   in Loop: Header=BB403_1003 Depth=1
	s_or_b64 exec, exec, s[12:13]
	v_lshlrev_b32_e32 v4, 16, v7
	v_mul_f32_e32 v7, v35, v4
	v_and_b32_e32 v4, 0x7f800000, v7
	v_cmp_ne_u32_e64 s[4:5], s15, v4
                                        ; implicit-def: $agpr41
	s_and_saveexec_b64 s[12:13], s[4:5]
	s_xor_b64 s[4:5], exec, s[12:13]
; %bb.1256:                             ;   in Loop: Header=BB403_1003 Depth=1
	v_bfe_u32 v4, v7, 16, 1
	v_add3_u32 v4, v7, v4, s21
	v_accvgpr_write_b32 a41, v4
                                        ; implicit-def: $vgpr7
; %bb.1257:                             ;   in Loop: Header=BB403_1003 Depth=1
	s_andn2_saveexec_b64 s[12:13], s[4:5]
; %bb.1258:                             ;   in Loop: Header=BB403_1003 Depth=1
	v_or_b32_e32 v4, 0x10000, v7
	v_cmp_eq_u32_sdwa s[4:5], v7, v33 src0_sel:WORD_0 src1_sel:DWORD
	v_cndmask_b32_e64 v4, v4, v7, s[4:5]
	v_accvgpr_write_b32 a41, v4
; %bb.1259:                             ;   in Loop: Header=BB403_1003 Depth=1
	s_or_b64 exec, exec, s[12:13]
	v_lshlrev_b32_e32 v4, 16, v6
	v_mul_f32_e32 v6, v50, v4
	v_and_b32_e32 v4, 0x7f800000, v6
	v_cmp_ne_u32_e64 s[4:5], s15, v4
                                        ; implicit-def: $agpr42
	s_and_saveexec_b64 s[12:13], s[4:5]
	s_xor_b64 s[4:5], exec, s[12:13]
; %bb.1260:                             ;   in Loop: Header=BB403_1003 Depth=1
	v_bfe_u32 v4, v6, 16, 1
	v_add3_u32 v4, v6, v4, s21
	v_accvgpr_write_b32 a42, v4
                                        ; implicit-def: $vgpr6
; %bb.1261:                             ;   in Loop: Header=BB403_1003 Depth=1
	s_andn2_saveexec_b64 s[12:13], s[4:5]
; %bb.1262:                             ;   in Loop: Header=BB403_1003 Depth=1
	v_or_b32_e32 v4, 0x10000, v6
	v_cmp_eq_u32_sdwa s[4:5], v6, v33 src0_sel:WORD_0 src1_sel:DWORD
	v_cndmask_b32_e64 v4, v4, v6, s[4:5]
	v_accvgpr_write_b32 a42, v4
; %bb.1263:                             ;   in Loop: Header=BB403_1003 Depth=1
	s_or_b64 exec, exec, s[12:13]
	flat_load_dwordx2 v[6:7], v[2:3] offset:1024
	v_mov_b32_e32 v8, 0
	s_waitcnt vmcnt(0) lgkmcnt(0)
	v_cmp_ne_u16_sdwa s[4:5], v6, v33 src0_sel:BYTE_0 src1_sel:DWORD
	s_and_saveexec_b64 s[12:13], s[4:5]
	s_cbranch_execz .LBB403_1269
; %bb.1264:                             ;   in Loop: Header=BB403_1003 Depth=1
	v_cmp_ne_u16_sdwa s[4:5], v6, s28 src0_sel:BYTE_0 src1_sel:DWORD
	v_bfrev_b32_e32 v8, 1
	s_and_saveexec_b64 s[24:25], s[4:5]
	s_cbranch_execz .LBB403_1268
; %bb.1265:                             ;   in Loop: Header=BB403_1003 Depth=1
	v_and_b32_e32 v9, 0x7f, v6
	v_cmp_ne_u32_e64 s[4:5], s29, v9
	v_mov_b32_e32 v8, 0x7f800001
	s_and_saveexec_b64 s[26:27], s[4:5]
	s_cbranch_execz .LBB403_1267
; %bb.1266:                             ;   in Loop: Header=BB403_1003 Depth=1
	v_and_b32_e32 v4, 7, v6
	v_ffbh_u32_e32 v4, v4
	v_min_u32_e32 v4, 32, v4
	v_lshrrev_b32_e32 v5, 3, v9
	v_subrev_u32_e32 v8, 28, v4
	v_sub_u32_e32 v4, 29, v4
	v_cmp_gt_u32_e64 s[4:5], 8, v9
	v_cndmask_b32_e64 v4, v5, v4, s[4:5]
	v_cndmask_b32_e64 v5, 0, v8, s[4:5]
	v_lshlrev_b64 v[8:9], v5, v[6:7]
	v_lshlrev_b32_e32 v5, 20, v8
	v_lshlrev_b32_e32 v8, 24, v6
	v_bfrev_b32_e32 v9, 60
	v_and_b32_e32 v5, 0x700000, v5
	v_and_b32_e32 v8, 0x80000000, v8
	v_lshl_add_u32 v4, v4, 23, v9
	v_or3_b32 v8, v8, v4, v5
.LBB403_1267:                           ;   in Loop: Header=BB403_1003 Depth=1
	s_or_b64 exec, exec, s[26:27]
.LBB403_1268:                           ;   in Loop: Header=BB403_1003 Depth=1
	s_or_b64 exec, exec, s[24:25]
.LBB403_1269:                           ;   in Loop: Header=BB403_1003 Depth=1
	s_or_b64 exec, exec, s[12:13]
	v_mul_f32_e32 v8, v27, v8
	v_and_b32_e32 v4, 0x7f800000, v8
	v_cmp_ne_u32_e64 s[4:5], s15, v4
                                        ; implicit-def: $vgpr9
	s_and_saveexec_b64 s[12:13], s[4:5]
	s_xor_b64 s[4:5], exec, s[12:13]
; %bb.1270:                             ;   in Loop: Header=BB403_1003 Depth=1
	v_bfe_u32 v4, v8, 16, 1
	v_add3_u32 v9, v8, v4, s21
                                        ; implicit-def: $vgpr8
; %bb.1271:                             ;   in Loop: Header=BB403_1003 Depth=1
	s_andn2_saveexec_b64 s[12:13], s[4:5]
; %bb.1272:                             ;   in Loop: Header=BB403_1003 Depth=1
	v_or_b32_e32 v4, 0x10000, v8
	v_cmp_eq_u32_sdwa s[4:5], v8, v33 src0_sel:WORD_0 src1_sel:DWORD
	v_cndmask_b32_e64 v9, v4, v8, s[4:5]
; %bb.1273:                             ;   in Loop: Header=BB403_1003 Depth=1
	s_or_b64 exec, exec, s[12:13]
	v_lshrrev_b16_e32 v8, 8, v6
	v_cmp_ne_u16_e64 s[4:5], 0, v8
	v_mov_b32_e32 v10, 0
	s_and_saveexec_b64 s[12:13], s[4:5]
	s_cbranch_execz .LBB403_1279
; %bb.1274:                             ;   in Loop: Header=BB403_1003 Depth=1
	v_cmp_ne_u16_e64 s[4:5], s28, v8
	v_bfrev_b32_e32 v10, 1
	s_and_saveexec_b64 s[24:25], s[4:5]
	s_cbranch_execz .LBB403_1278
; %bb.1275:                             ;   in Loop: Header=BB403_1003 Depth=1
	v_and_b32_e32 v11, 0x7f, v8
	v_cmp_ne_u32_e64 s[4:5], s29, v11
	v_mov_b32_e32 v10, 0x7f800001
	s_and_saveexec_b64 s[26:27], s[4:5]
	s_cbranch_execz .LBB403_1277
; %bb.1276:                             ;   in Loop: Header=BB403_1003 Depth=1
	v_and_b32_e32 v4, 7, v8
	v_ffbh_u32_e32 v10, v4
	v_min_u32_e32 v10, 32, v10
	v_subrev_u32_e32 v16, 28, v10
	v_lshlrev_b64 v[38:39], v16, v[8:9]
	v_lshrrev_b32_e32 v5, 3, v11
	v_sub_u32_e32 v8, 29, v10
	v_and_b32_e32 v10, 7, v38
	v_cmp_gt_u32_e64 s[4:5], 8, v11
	v_cndmask_b32_e64 v5, v5, v8, s[4:5]
	v_cndmask_b32_e64 v4, v4, v10, s[4:5]
	v_lshlrev_b32_e32 v8, 16, v6
	v_bfrev_b32_e32 v10, 60
	v_lshlrev_b32_e32 v4, 20, v4
	v_and_b32_e32 v8, 0x80000000, v8
	v_lshl_add_u32 v5, v5, 23, v10
	v_or3_b32 v10, v8, v5, v4
.LBB403_1277:                           ;   in Loop: Header=BB403_1003 Depth=1
	s_or_b64 exec, exec, s[26:27]
.LBB403_1278:                           ;   in Loop: Header=BB403_1003 Depth=1
	s_or_b64 exec, exec, s[24:25]
.LBB403_1279:                           ;   in Loop: Header=BB403_1003 Depth=1
	s_or_b64 exec, exec, s[12:13]
	v_mul_f32_e32 v8, v27, v10
	v_and_b32_e32 v4, 0x7f800000, v8
	v_cmp_ne_u32_e64 s[4:5], s15, v4
                                        ; implicit-def: $vgpr10
	s_and_saveexec_b64 s[12:13], s[4:5]
	s_xor_b64 s[4:5], exec, s[12:13]
; %bb.1280:                             ;   in Loop: Header=BB403_1003 Depth=1
	v_bfe_u32 v4, v8, 16, 1
	v_add3_u32 v10, v8, v4, s21
                                        ; implicit-def: $vgpr8
; %bb.1281:                             ;   in Loop: Header=BB403_1003 Depth=1
	s_andn2_saveexec_b64 s[12:13], s[4:5]
; %bb.1282:                             ;   in Loop: Header=BB403_1003 Depth=1
	v_or_b32_e32 v4, 0x10000, v8
	v_cmp_eq_u32_sdwa s[4:5], v8, v33 src0_sel:WORD_0 src1_sel:DWORD
	v_cndmask_b32_e64 v10, v4, v8, s[4:5]
; %bb.1283:                             ;   in Loop: Header=BB403_1003 Depth=1
	s_or_b64 exec, exec, s[12:13]
	v_lshrrev_b32_e32 v8, 16, v6
	v_cmp_ne_u16_sdwa s[4:5], v8, v33 src0_sel:BYTE_0 src1_sel:DWORD
	v_mov_b32_e32 v11, 0
	s_and_saveexec_b64 s[12:13], s[4:5]
	s_cbranch_execz .LBB403_1289
; %bb.1284:                             ;   in Loop: Header=BB403_1003 Depth=1
	v_cmp_ne_u16_sdwa s[4:5], v8, s28 src0_sel:BYTE_0 src1_sel:DWORD
	v_bfrev_b32_e32 v11, 1
	s_and_saveexec_b64 s[24:25], s[4:5]
	s_cbranch_execz .LBB403_1288
; %bb.1285:                             ;   in Loop: Header=BB403_1003 Depth=1
	v_bfe_u32 v16, v6, 16, 7
	v_cmp_ne_u32_e64 s[4:5], s29, v16
	v_mov_b32_e32 v11, 0x7f800001
	s_and_saveexec_b64 s[26:27], s[4:5]
	s_cbranch_execz .LBB403_1287
; %bb.1286:                             ;   in Loop: Header=BB403_1003 Depth=1
	v_and_b32_e32 v4, 7, v8
	v_ffbh_u32_e32 v11, v4
	v_min_u32_e32 v11, 32, v11
	v_subrev_u32_e32 v22, 28, v11
	v_lshlrev_b64 v[38:39], v22, v[8:9]
	v_lshrrev_b32_e32 v5, 3, v16
	v_sub_u32_e32 v11, 29, v11
	v_and_b32_e32 v22, 7, v38
	v_cmp_gt_u32_e64 s[4:5], 8, v16
	v_cndmask_b32_e64 v5, v5, v11, s[4:5]
	v_cndmask_b32_e64 v4, v4, v22, s[4:5]
	v_lshlrev_b32_e32 v8, 24, v8
	v_bfrev_b32_e32 v11, 60
	v_lshlrev_b32_e32 v4, 20, v4
	v_and_b32_e32 v8, 0x80000000, v8
	v_lshl_add_u32 v5, v5, 23, v11
	v_or3_b32 v11, v8, v5, v4
.LBB403_1287:                           ;   in Loop: Header=BB403_1003 Depth=1
	s_or_b64 exec, exec, s[26:27]
.LBB403_1288:                           ;   in Loop: Header=BB403_1003 Depth=1
	s_or_b64 exec, exec, s[24:25]
.LBB403_1289:                           ;   in Loop: Header=BB403_1003 Depth=1
	s_or_b64 exec, exec, s[12:13]
	v_mul_f32_e32 v8, v27, v11
	v_and_b32_e32 v4, 0x7f800000, v8
	v_cmp_ne_u32_e64 s[4:5], s15, v4
                                        ; implicit-def: $vgpr11
	s_and_saveexec_b64 s[12:13], s[4:5]
	s_xor_b64 s[4:5], exec, s[12:13]
; %bb.1290:                             ;   in Loop: Header=BB403_1003 Depth=1
	v_bfe_u32 v4, v8, 16, 1
	v_add3_u32 v11, v8, v4, s21
                                        ; implicit-def: $vgpr8
; %bb.1291:                             ;   in Loop: Header=BB403_1003 Depth=1
	s_andn2_saveexec_b64 s[12:13], s[4:5]
; %bb.1292:                             ;   in Loop: Header=BB403_1003 Depth=1
	v_or_b32_e32 v4, 0x10000, v8
	v_cmp_eq_u32_sdwa s[4:5], v8, v33 src0_sel:WORD_0 src1_sel:DWORD
	v_cndmask_b32_e64 v11, v4, v8, s[4:5]
; %bb.1293:                             ;   in Loop: Header=BB403_1003 Depth=1
	s_or_b64 exec, exec, s[12:13]
	v_cmp_lt_u32_e64 s[4:5], s9, v6
	v_mov_b32_e32 v16, 0
	s_and_saveexec_b64 s[12:13], s[4:5]
	s_cbranch_execz .LBB403_1299
; %bb.1294:                             ;   in Loop: Header=BB403_1003 Depth=1
	v_lshrrev_b32_e32 v8, 24, v6
	v_cmp_ne_u32_e64 s[4:5], s28, v8
	v_bfrev_b32_e32 v16, 1
	s_and_saveexec_b64 s[24:25], s[4:5]
	s_cbranch_execz .LBB403_1298
; %bb.1295:                             ;   in Loop: Header=BB403_1003 Depth=1
	v_bfe_u32 v22, v6, 24, 7
	v_cmp_ne_u32_e64 s[4:5], s29, v22
	v_mov_b32_e32 v16, 0x7f800001
	s_and_saveexec_b64 s[26:27], s[4:5]
	s_cbranch_execz .LBB403_1297
; %bb.1296:                             ;   in Loop: Header=BB403_1003 Depth=1
	v_and_b32_e32 v4, 7, v8
	v_ffbh_u32_e32 v16, v4
	v_min_u32_e32 v16, 32, v16
	v_subrev_u32_e32 v26, 28, v16
	v_lshlrev_b64 v[38:39], v26, v[8:9]
	v_lshrrev_b32_e32 v5, 3, v22
	v_sub_u32_e32 v16, 29, v16
	v_and_b32_e32 v26, 7, v38
	v_cmp_gt_u32_e64 s[4:5], 8, v22
	v_cndmask_b32_e64 v5, v5, v16, s[4:5]
	v_cndmask_b32_e64 v4, v4, v26, s[4:5]
	v_lshlrev_b32_e32 v8, 24, v8
	v_bfrev_b32_e32 v16, 60
	v_lshlrev_b32_e32 v4, 20, v4
	v_and_b32_e32 v8, 0x80000000, v8
	v_lshl_add_u32 v5, v5, 23, v16
	v_or3_b32 v16, v8, v5, v4
.LBB403_1297:                           ;   in Loop: Header=BB403_1003 Depth=1
	s_or_b64 exec, exec, s[26:27]
.LBB403_1298:                           ;   in Loop: Header=BB403_1003 Depth=1
	s_or_b64 exec, exec, s[24:25]
.LBB403_1299:                           ;   in Loop: Header=BB403_1003 Depth=1
	s_or_b64 exec, exec, s[12:13]
	v_mul_f32_e32 v8, v27, v16
	v_and_b32_e32 v4, 0x7f800000, v8
	v_cmp_ne_u32_e64 s[4:5], s15, v4
                                        ; implicit-def: $vgpr16
	s_and_saveexec_b64 s[12:13], s[4:5]
	s_xor_b64 s[4:5], exec, s[12:13]
; %bb.1300:                             ;   in Loop: Header=BB403_1003 Depth=1
	v_bfe_u32 v4, v8, 16, 1
	v_add3_u32 v16, v8, v4, s21
                                        ; implicit-def: $vgpr8
; %bb.1301:                             ;   in Loop: Header=BB403_1003 Depth=1
	s_andn2_saveexec_b64 s[12:13], s[4:5]
; %bb.1302:                             ;   in Loop: Header=BB403_1003 Depth=1
	v_or_b32_e32 v4, 0x10000, v8
	v_cmp_eq_u32_sdwa s[4:5], v8, v33 src0_sel:WORD_0 src1_sel:DWORD
	v_cndmask_b32_e64 v16, v4, v8, s[4:5]
; %bb.1303:                             ;   in Loop: Header=BB403_1003 Depth=1
	s_or_b64 exec, exec, s[12:13]
	v_mov_b32_e32 v32, v7
	v_cmp_ne_u16_sdwa s[4:5], v7, v33 src0_sel:BYTE_0 src1_sel:DWORD
	v_mov_b32_e32 v8, 0
	s_and_saveexec_b64 s[12:13], s[4:5]
	s_cbranch_execz .LBB403_1309
; %bb.1304:                             ;   in Loop: Header=BB403_1003 Depth=1
	v_cmp_ne_u16_sdwa s[4:5], v7, s28 src0_sel:BYTE_0 src1_sel:DWORD
	v_bfrev_b32_e32 v8, 1
	s_and_saveexec_b64 s[24:25], s[4:5]
	s_cbranch_execz .LBB403_1308
; %bb.1305:                             ;   in Loop: Header=BB403_1003 Depth=1
	v_and_b32_e32 v22, 0x7f, v7
	v_cmp_ne_u32_e64 s[4:5], s29, v22
	v_mov_b32_e32 v8, 0x7f800001
	s_and_saveexec_b64 s[26:27], s[4:5]
	s_cbranch_execz .LBB403_1307
; %bb.1306:                             ;   in Loop: Header=BB403_1003 Depth=1
	v_and_b32_e32 v4, 7, v7
	v_ffbh_u32_e32 v4, v4
	v_min_u32_e32 v4, 32, v4
	v_lshrrev_b32_e32 v5, 3, v22
	v_subrev_u32_e32 v8, 28, v4
	v_sub_u32_e32 v4, 29, v4
	v_cmp_gt_u32_e64 s[4:5], 8, v22
	v_cndmask_b32_e64 v4, v5, v4, s[4:5]
	v_cndmask_b32_e64 v5, 0, v8, s[4:5]
	v_lshlrev_b64 v[38:39], v5, v[32:33]
	v_lshlrev_b32_e32 v5, 20, v38
	v_lshlrev_b32_e32 v8, 24, v32
	v_bfrev_b32_e32 v22, 60
	v_and_b32_e32 v5, 0x700000, v5
	v_and_b32_e32 v8, 0x80000000, v8
	v_lshl_add_u32 v4, v4, 23, v22
	v_or3_b32 v8, v8, v4, v5
.LBB403_1307:                           ;   in Loop: Header=BB403_1003 Depth=1
	s_or_b64 exec, exec, s[26:27]
.LBB403_1308:                           ;   in Loop: Header=BB403_1003 Depth=1
	s_or_b64 exec, exec, s[24:25]
.LBB403_1309:                           ;   in Loop: Header=BB403_1003 Depth=1
	s_or_b64 exec, exec, s[12:13]
	v_mul_f32_e32 v8, v27, v8
	v_and_b32_e32 v4, 0x7f800000, v8
	v_cmp_ne_u32_e64 s[4:5], s15, v4
                                        ; implicit-def: $vgpr22
	s_and_saveexec_b64 s[12:13], s[4:5]
	s_xor_b64 s[4:5], exec, s[12:13]
; %bb.1310:                             ;   in Loop: Header=BB403_1003 Depth=1
	v_bfe_u32 v4, v8, 16, 1
	v_add3_u32 v22, v8, v4, s21
                                        ; implicit-def: $vgpr8
; %bb.1311:                             ;   in Loop: Header=BB403_1003 Depth=1
	s_andn2_saveexec_b64 s[12:13], s[4:5]
; %bb.1312:                             ;   in Loop: Header=BB403_1003 Depth=1
	v_or_b32_e32 v4, 0x10000, v8
	v_cmp_eq_u32_sdwa s[4:5], v8, v33 src0_sel:WORD_0 src1_sel:DWORD
	v_cndmask_b32_e64 v22, v4, v8, s[4:5]
; %bb.1313:                             ;   in Loop: Header=BB403_1003 Depth=1
	s_or_b64 exec, exec, s[12:13]
	v_lshrrev_b16_e32 v8, 8, v32
	v_cmp_ne_u16_e64 s[4:5], 0, v8
	v_mov_b32_e32 v26, 0
	s_and_saveexec_b64 s[12:13], s[4:5]
	s_cbranch_execz .LBB403_1319
; %bb.1314:                             ;   in Loop: Header=BB403_1003 Depth=1
	v_cmp_ne_u16_e64 s[4:5], s28, v8
	v_bfrev_b32_e32 v26, 1
	s_and_saveexec_b64 s[24:25], s[4:5]
	s_cbranch_execz .LBB403_1318
; %bb.1315:                             ;   in Loop: Header=BB403_1003 Depth=1
	v_and_b32_e32 v34, 0x7f, v8
	v_cmp_ne_u32_e64 s[4:5], s29, v34
	v_mov_b32_e32 v26, 0x7f800001
	s_and_saveexec_b64 s[26:27], s[4:5]
	s_cbranch_execz .LBB403_1317
; %bb.1316:                             ;   in Loop: Header=BB403_1003 Depth=1
	v_and_b32_e32 v4, 7, v8
	v_ffbh_u32_e32 v26, v4
	v_min_u32_e32 v26, 32, v26
	v_subrev_u32_e32 v36, 28, v26
	v_lshlrev_b64 v[38:39], v36, v[8:9]
	v_lshrrev_b32_e32 v5, 3, v34
	v_sub_u32_e32 v8, 29, v26
	v_and_b32_e32 v26, 7, v38
	v_cmp_gt_u32_e64 s[4:5], 8, v34
	v_cndmask_b32_e64 v5, v5, v8, s[4:5]
	v_cndmask_b32_e64 v4, v4, v26, s[4:5]
	v_lshlrev_b32_e32 v8, 16, v32
	v_bfrev_b32_e32 v26, 60
	v_lshlrev_b32_e32 v4, 20, v4
	v_and_b32_e32 v8, 0x80000000, v8
	v_lshl_add_u32 v5, v5, 23, v26
	v_or3_b32 v26, v8, v5, v4
.LBB403_1317:                           ;   in Loop: Header=BB403_1003 Depth=1
	s_or_b64 exec, exec, s[26:27]
.LBB403_1318:                           ;   in Loop: Header=BB403_1003 Depth=1
	s_or_b64 exec, exec, s[24:25]
.LBB403_1319:                           ;   in Loop: Header=BB403_1003 Depth=1
	s_or_b64 exec, exec, s[12:13]
	v_mul_f32_e32 v8, v27, v26
	v_and_b32_e32 v4, 0x7f800000, v8
	v_cmp_ne_u32_e64 s[4:5], s15, v4
                                        ; implicit-def: $vgpr26
	s_and_saveexec_b64 s[12:13], s[4:5]
	s_xor_b64 s[4:5], exec, s[12:13]
; %bb.1320:                             ;   in Loop: Header=BB403_1003 Depth=1
	v_bfe_u32 v4, v8, 16, 1
	v_add3_u32 v26, v8, v4, s21
                                        ; implicit-def: $vgpr8
; %bb.1321:                             ;   in Loop: Header=BB403_1003 Depth=1
	s_andn2_saveexec_b64 s[12:13], s[4:5]
; %bb.1322:                             ;   in Loop: Header=BB403_1003 Depth=1
	v_or_b32_e32 v4, 0x10000, v8
	v_cmp_eq_u32_sdwa s[4:5], v8, v33 src0_sel:WORD_0 src1_sel:DWORD
	v_cndmask_b32_e64 v26, v4, v8, s[4:5]
; %bb.1323:                             ;   in Loop: Header=BB403_1003 Depth=1
	s_or_b64 exec, exec, s[12:13]
	v_lshrrev_b32_e32 v8, 16, v7
	v_cmp_ne_u16_sdwa s[4:5], v8, v33 src0_sel:BYTE_0 src1_sel:DWORD
	v_mov_b32_e32 v32, 0
	s_and_saveexec_b64 s[12:13], s[4:5]
	s_cbranch_execz .LBB403_1329
; %bb.1324:                             ;   in Loop: Header=BB403_1003 Depth=1
	v_cmp_ne_u16_sdwa s[4:5], v8, s28 src0_sel:BYTE_0 src1_sel:DWORD
	v_bfrev_b32_e32 v32, 1
	s_and_saveexec_b64 s[24:25], s[4:5]
	s_cbranch_execz .LBB403_1328
; %bb.1325:                             ;   in Loop: Header=BB403_1003 Depth=1
	v_bfe_u32 v34, v7, 16, 7
	v_cmp_ne_u32_e64 s[4:5], s29, v34
	v_mov_b32_e32 v32, 0x7f800001
	s_and_saveexec_b64 s[26:27], s[4:5]
	s_cbranch_execz .LBB403_1327
; %bb.1326:                             ;   in Loop: Header=BB403_1003 Depth=1
	v_and_b32_e32 v4, 7, v8
	v_ffbh_u32_e32 v32, v4
	v_min_u32_e32 v32, 32, v32
	v_subrev_u32_e32 v36, 28, v32
	v_lshlrev_b64 v[38:39], v36, v[8:9]
	v_lshrrev_b32_e32 v5, 3, v34
	v_sub_u32_e32 v32, 29, v32
	v_and_b32_e32 v36, 7, v38
	v_cmp_gt_u32_e64 s[4:5], 8, v34
	v_cndmask_b32_e64 v5, v5, v32, s[4:5]
	v_cndmask_b32_e64 v4, v4, v36, s[4:5]
	v_lshlrev_b32_e32 v8, 24, v8
	v_bfrev_b32_e32 v32, 60
	v_lshlrev_b32_e32 v4, 20, v4
	v_and_b32_e32 v8, 0x80000000, v8
	v_lshl_add_u32 v5, v5, 23, v32
	v_or3_b32 v32, v8, v5, v4
.LBB403_1327:                           ;   in Loop: Header=BB403_1003 Depth=1
	s_or_b64 exec, exec, s[26:27]
.LBB403_1328:                           ;   in Loop: Header=BB403_1003 Depth=1
	s_or_b64 exec, exec, s[24:25]
.LBB403_1329:                           ;   in Loop: Header=BB403_1003 Depth=1
	s_or_b64 exec, exec, s[12:13]
	v_mul_f32_e32 v8, v27, v32
	v_and_b32_e32 v4, 0x7f800000, v8
	v_cmp_ne_u32_e64 s[4:5], s15, v4
                                        ; implicit-def: $vgpr32
	s_and_saveexec_b64 s[12:13], s[4:5]
	s_xor_b64 s[4:5], exec, s[12:13]
; %bb.1330:                             ;   in Loop: Header=BB403_1003 Depth=1
	v_bfe_u32 v4, v8, 16, 1
	v_add3_u32 v32, v8, v4, s21
                                        ; implicit-def: $vgpr8
; %bb.1331:                             ;   in Loop: Header=BB403_1003 Depth=1
	s_andn2_saveexec_b64 s[12:13], s[4:5]
; %bb.1332:                             ;   in Loop: Header=BB403_1003 Depth=1
	v_or_b32_e32 v4, 0x10000, v8
	v_cmp_eq_u32_sdwa s[4:5], v8, v33 src0_sel:WORD_0 src1_sel:DWORD
	v_cndmask_b32_e64 v32, v4, v8, s[4:5]
; %bb.1333:                             ;   in Loop: Header=BB403_1003 Depth=1
	s_or_b64 exec, exec, s[12:13]
	v_cmp_lt_u64_e64 s[4:5], s[8:9], v[6:7]
	v_mov_b32_e32 v8, 0
	s_and_saveexec_b64 s[12:13], s[4:5]
	s_cbranch_execz .LBB403_1339
; %bb.1334:                             ;   in Loop: Header=BB403_1003 Depth=1
	v_lshrrev_b32_e32 v6, 24, v7
	v_cmp_ne_u32_e64 s[4:5], s28, v6
	v_bfrev_b32_e32 v8, 1
	s_and_saveexec_b64 s[24:25], s[4:5]
	s_cbranch_execz .LBB403_1338
; %bb.1335:                             ;   in Loop: Header=BB403_1003 Depth=1
	v_bfe_u32 v7, v7, 24, 7
	v_cmp_ne_u32_e64 s[4:5], s29, v7
	v_mov_b32_e32 v8, 0x7f800001
	s_and_saveexec_b64 s[26:27], s[4:5]
	s_cbranch_execz .LBB403_1337
; %bb.1336:                             ;   in Loop: Header=BB403_1003 Depth=1
	v_and_b32_e32 v4, 7, v6
	v_ffbh_u32_e32 v8, v4
	v_min_u32_e32 v8, 32, v8
	v_subrev_u32_e32 v34, 28, v8
	v_lshlrev_b64 v[38:39], v34, v[6:7]
	v_lshrrev_b32_e32 v5, 3, v7
	v_sub_u32_e32 v8, 29, v8
	v_and_b32_e32 v34, 7, v38
	v_cmp_gt_u32_e64 s[4:5], 8, v7
	v_cndmask_b32_e64 v5, v5, v8, s[4:5]
	v_cndmask_b32_e64 v4, v4, v34, s[4:5]
	v_lshlrev_b32_e32 v6, 24, v6
	v_bfrev_b32_e32 v7, 60
	v_lshlrev_b32_e32 v4, 20, v4
	v_and_b32_e32 v6, 0x80000000, v6
	v_lshl_add_u32 v5, v5, 23, v7
	v_or3_b32 v8, v6, v5, v4
.LBB403_1337:                           ;   in Loop: Header=BB403_1003 Depth=1
	s_or_b64 exec, exec, s[26:27]
.LBB403_1338:                           ;   in Loop: Header=BB403_1003 Depth=1
	s_or_b64 exec, exec, s[24:25]
.LBB403_1339:                           ;   in Loop: Header=BB403_1003 Depth=1
	s_or_b64 exec, exec, s[12:13]
	v_mul_f32_e32 v7, v27, v8
	v_and_b32_e32 v4, 0x7f800000, v7
	v_cmp_ne_u32_e64 s[4:5], s15, v4
                                        ; implicit-def: $vgpr6
	s_and_saveexec_b64 s[12:13], s[4:5]
	s_xor_b64 s[4:5], exec, s[12:13]
; %bb.1340:                             ;   in Loop: Header=BB403_1003 Depth=1
	v_bfe_u32 v4, v7, 16, 1
	v_add3_u32 v6, v7, v4, s21
                                        ; implicit-def: $vgpr7
; %bb.1341:                             ;   in Loop: Header=BB403_1003 Depth=1
	s_andn2_saveexec_b64 s[12:13], s[4:5]
; %bb.1342:                             ;   in Loop: Header=BB403_1003 Depth=1
	v_or_b32_e32 v4, 0x10000, v7
	v_cmp_eq_u32_sdwa s[4:5], v7, v33 src0_sel:WORD_0 src1_sel:DWORD
	v_cndmask_b32_e64 v6, v4, v7, s[4:5]
; %bb.1343:                             ;   in Loop: Header=BB403_1003 Depth=1
	s_or_b64 exec, exec, s[12:13]
	v_lshrrev_b32_e32 v8, 16, v26
	v_lshrrev_b32_e32 v22, 16, v22
	;; [unrolled: 1-line block ×8, first 2 shown]
	s_and_saveexec_b64 s[12:13], vcc
	s_cbranch_execz .LBB403_1345
; %bb.1344:                             ;   in Loop: Header=BB403_1003 Depth=1
	v_accvgpr_read_b32 v4, a26
	v_cmp_lt_i32_e64 s[4:5], v4, v37
	v_accvgpr_read_b32 v4, a32
	v_cndmask_b32_e64 v9, 0, v9, s[4:5]
	v_cmp_lt_i32_e64 s[4:5], v4, v37
	v_accvgpr_read_b32 v4, a31
	v_cndmask_b32_e64 v10, 0, v10, s[4:5]
	v_cmp_lt_i32_e64 s[4:5], v4, v37
	v_accvgpr_read_b32 v4, a30
	v_cndmask_b32_e64 v11, 0, v11, s[4:5]
	v_cmp_lt_i32_e64 s[4:5], v4, v37
	v_accvgpr_read_b32 v4, a29
	v_cndmask_b32_e64 v16, 0, v16, s[4:5]
	v_cmp_lt_i32_e64 s[4:5], v4, v37
	v_accvgpr_read_b32 v4, a28
	v_cndmask_b32_e64 v22, 0, v22, s[4:5]
	v_cmp_lt_i32_e64 s[4:5], v4, v37
	v_accvgpr_read_b32 v4, a27
	v_cndmask_b32_e64 v8, 0, v8, s[4:5]
	v_cmp_lt_i32_e64 s[4:5], v4, v37
	v_cndmask_b32_e64 v7, 0, v7, s[4:5]
	v_cmp_lt_i32_e64 s[4:5], v17, v37
	v_cndmask_b32_e64 v6, 0, v6, s[4:5]
.LBB403_1345:                           ;   in Loop: Header=BB403_1003 Depth=1
	s_or_b64 exec, exec, s[12:13]
	v_lshlrev_b32_e32 v4, 16, v9
	v_mul_f32_e32 v9, v48, v4
	v_and_b32_e32 v4, 0x7f800000, v9
	v_cmp_ne_u32_e64 s[4:5], s15, v4
                                        ; implicit-def: $agpr43
	s_and_saveexec_b64 s[12:13], s[4:5]
	s_xor_b64 s[4:5], exec, s[12:13]
; %bb.1346:                             ;   in Loop: Header=BB403_1003 Depth=1
	v_bfe_u32 v4, v9, 16, 1
	v_add3_u32 v4, v9, v4, s21
	v_accvgpr_write_b32 a43, v4
                                        ; implicit-def: $vgpr9
; %bb.1347:                             ;   in Loop: Header=BB403_1003 Depth=1
	s_andn2_saveexec_b64 s[12:13], s[4:5]
; %bb.1348:                             ;   in Loop: Header=BB403_1003 Depth=1
	v_or_b32_e32 v4, 0x10000, v9
	v_cmp_eq_u32_sdwa s[4:5], v9, v33 src0_sel:WORD_0 src1_sel:DWORD
	v_cndmask_b32_e64 v4, v4, v9, s[4:5]
	v_accvgpr_write_b32 a43, v4
; %bb.1349:                             ;   in Loop: Header=BB403_1003 Depth=1
	s_or_b64 exec, exec, s[12:13]
	v_lshlrev_b32_e32 v4, 16, v10
	v_mul_f32_e32 v9, v51, v4
	v_and_b32_e32 v4, 0x7f800000, v9
	v_cmp_ne_u32_e64 s[4:5], s15, v4
                                        ; implicit-def: $agpr44
	s_and_saveexec_b64 s[12:13], s[4:5]
	s_xor_b64 s[4:5], exec, s[12:13]
; %bb.1350:                             ;   in Loop: Header=BB403_1003 Depth=1
	v_bfe_u32 v4, v9, 16, 1
	v_add3_u32 v4, v9, v4, s21
	v_accvgpr_write_b32 a44, v4
                                        ; implicit-def: $vgpr9
; %bb.1351:                             ;   in Loop: Header=BB403_1003 Depth=1
	s_andn2_saveexec_b64 s[12:13], s[4:5]
; %bb.1352:                             ;   in Loop: Header=BB403_1003 Depth=1
	v_or_b32_e32 v4, 0x10000, v9
	v_cmp_eq_u32_sdwa s[4:5], v9, v33 src0_sel:WORD_0 src1_sel:DWORD
	v_cndmask_b32_e64 v4, v4, v9, s[4:5]
	v_accvgpr_write_b32 a44, v4
; %bb.1353:                             ;   in Loop: Header=BB403_1003 Depth=1
	s_or_b64 exec, exec, s[12:13]
	v_lshlrev_b32_e32 v4, 16, v11
	v_mul_f32_e32 v9, v49, v4
	v_and_b32_e32 v4, 0x7f800000, v9
	v_cmp_ne_u32_e64 s[4:5], s15, v4
                                        ; implicit-def: $agpr45
	s_and_saveexec_b64 s[12:13], s[4:5]
	s_xor_b64 s[4:5], exec, s[12:13]
; %bb.1354:                             ;   in Loop: Header=BB403_1003 Depth=1
	v_bfe_u32 v4, v9, 16, 1
	v_add3_u32 v4, v9, v4, s21
	v_accvgpr_write_b32 a45, v4
                                        ; implicit-def: $vgpr9
; %bb.1355:                             ;   in Loop: Header=BB403_1003 Depth=1
	s_andn2_saveexec_b64 s[12:13], s[4:5]
; %bb.1356:                             ;   in Loop: Header=BB403_1003 Depth=1
	v_or_b32_e32 v4, 0x10000, v9
	v_cmp_eq_u32_sdwa s[4:5], v9, v33 src0_sel:WORD_0 src1_sel:DWORD
	v_cndmask_b32_e64 v4, v4, v9, s[4:5]
	v_accvgpr_write_b32 a45, v4
; %bb.1357:                             ;   in Loop: Header=BB403_1003 Depth=1
	s_or_b64 exec, exec, s[12:13]
	v_lshlrev_b32_e32 v4, 16, v16
	v_mul_f32_e32 v9, v23, v4
	v_and_b32_e32 v4, 0x7f800000, v9
	v_cmp_ne_u32_e64 s[4:5], s15, v4
                                        ; implicit-def: $agpr46
	s_and_saveexec_b64 s[12:13], s[4:5]
	s_xor_b64 s[4:5], exec, s[12:13]
; %bb.1358:                             ;   in Loop: Header=BB403_1003 Depth=1
	v_bfe_u32 v4, v9, 16, 1
	v_add3_u32 v4, v9, v4, s21
	v_accvgpr_write_b32 a46, v4
                                        ; implicit-def: $vgpr9
; %bb.1359:                             ;   in Loop: Header=BB403_1003 Depth=1
	s_andn2_saveexec_b64 s[12:13], s[4:5]
; %bb.1360:                             ;   in Loop: Header=BB403_1003 Depth=1
	v_or_b32_e32 v4, 0x10000, v9
	v_cmp_eq_u32_sdwa s[4:5], v9, v33 src0_sel:WORD_0 src1_sel:DWORD
	v_cndmask_b32_e64 v4, v4, v9, s[4:5]
	v_accvgpr_write_b32 a46, v4
; %bb.1361:                             ;   in Loop: Header=BB403_1003 Depth=1
	s_or_b64 exec, exec, s[12:13]
	v_lshlrev_b32_e32 v4, 16, v22
	v_mul_f32_e32 v9, v54, v4
	v_and_b32_e32 v4, 0x7f800000, v9
	v_cmp_ne_u32_e64 s[4:5], s15, v4
                                        ; implicit-def: $agpr47
	s_and_saveexec_b64 s[12:13], s[4:5]
	s_xor_b64 s[4:5], exec, s[12:13]
; %bb.1362:                             ;   in Loop: Header=BB403_1003 Depth=1
	v_bfe_u32 v4, v9, 16, 1
	v_add3_u32 v4, v9, v4, s21
	v_accvgpr_write_b32 a47, v4
                                        ; implicit-def: $vgpr9
; %bb.1363:                             ;   in Loop: Header=BB403_1003 Depth=1
	s_andn2_saveexec_b64 s[12:13], s[4:5]
; %bb.1364:                             ;   in Loop: Header=BB403_1003 Depth=1
	v_or_b32_e32 v4, 0x10000, v9
	v_cmp_eq_u32_sdwa s[4:5], v9, v33 src0_sel:WORD_0 src1_sel:DWORD
	v_cndmask_b32_e64 v4, v4, v9, s[4:5]
	v_accvgpr_write_b32 a47, v4
; %bb.1365:                             ;   in Loop: Header=BB403_1003 Depth=1
	s_or_b64 exec, exec, s[12:13]
	v_lshlrev_b32_e32 v4, 16, v8
	v_mul_f32_e32 v8, v61, v4
	v_and_b32_e32 v4, 0x7f800000, v8
	v_cmp_ne_u32_e64 s[4:5], s15, v4
                                        ; implicit-def: $agpr48
	s_and_saveexec_b64 s[12:13], s[4:5]
	s_xor_b64 s[4:5], exec, s[12:13]
; %bb.1366:                             ;   in Loop: Header=BB403_1003 Depth=1
	v_bfe_u32 v4, v8, 16, 1
	v_add3_u32 v4, v8, v4, s21
	v_accvgpr_write_b32 a48, v4
                                        ; implicit-def: $vgpr8
; %bb.1367:                             ;   in Loop: Header=BB403_1003 Depth=1
	s_andn2_saveexec_b64 s[12:13], s[4:5]
; %bb.1368:                             ;   in Loop: Header=BB403_1003 Depth=1
	v_or_b32_e32 v4, 0x10000, v8
	v_cmp_eq_u32_sdwa s[4:5], v8, v33 src0_sel:WORD_0 src1_sel:DWORD
	v_cndmask_b32_e64 v4, v4, v8, s[4:5]
	v_accvgpr_write_b32 a48, v4
; %bb.1369:                             ;   in Loop: Header=BB403_1003 Depth=1
	s_or_b64 exec, exec, s[12:13]
	v_lshlrev_b32_e32 v4, 16, v7
	v_mul_f32_e32 v7, v35, v4
	v_and_b32_e32 v4, 0x7f800000, v7
	v_cmp_ne_u32_e64 s[4:5], s15, v4
                                        ; implicit-def: $agpr49
	s_and_saveexec_b64 s[12:13], s[4:5]
	s_xor_b64 s[4:5], exec, s[12:13]
; %bb.1370:                             ;   in Loop: Header=BB403_1003 Depth=1
	v_bfe_u32 v4, v7, 16, 1
	v_add3_u32 v4, v7, v4, s21
	v_accvgpr_write_b32 a49, v4
                                        ; implicit-def: $vgpr7
; %bb.1371:                             ;   in Loop: Header=BB403_1003 Depth=1
	s_andn2_saveexec_b64 s[12:13], s[4:5]
; %bb.1372:                             ;   in Loop: Header=BB403_1003 Depth=1
	v_or_b32_e32 v4, 0x10000, v7
	v_cmp_eq_u32_sdwa s[4:5], v7, v33 src0_sel:WORD_0 src1_sel:DWORD
	v_cndmask_b32_e64 v4, v4, v7, s[4:5]
	v_accvgpr_write_b32 a49, v4
; %bb.1373:                             ;   in Loop: Header=BB403_1003 Depth=1
	s_or_b64 exec, exec, s[12:13]
	v_lshlrev_b32_e32 v4, 16, v6
	v_mul_f32_e32 v6, v50, v4
	v_and_b32_e32 v4, 0x7f800000, v6
	v_cmp_ne_u32_e64 s[4:5], s15, v4
                                        ; implicit-def: $agpr50
	s_and_saveexec_b64 s[12:13], s[4:5]
	s_xor_b64 s[4:5], exec, s[12:13]
; %bb.1374:                             ;   in Loop: Header=BB403_1003 Depth=1
	v_bfe_u32 v4, v6, 16, 1
	v_add3_u32 v4, v6, v4, s21
	v_accvgpr_write_b32 a50, v4
                                        ; implicit-def: $vgpr6
; %bb.1375:                             ;   in Loop: Header=BB403_1003 Depth=1
	s_andn2_saveexec_b64 s[12:13], s[4:5]
; %bb.1376:                             ;   in Loop: Header=BB403_1003 Depth=1
	v_or_b32_e32 v4, 0x10000, v6
	v_cmp_eq_u32_sdwa s[4:5], v6, v33 src0_sel:WORD_0 src1_sel:DWORD
	v_cndmask_b32_e64 v4, v4, v6, s[4:5]
	v_accvgpr_write_b32 a50, v4
; %bb.1377:                             ;   in Loop: Header=BB403_1003 Depth=1
	s_or_b64 exec, exec, s[12:13]
	flat_load_dwordx2 v[6:7], v[2:3] offset:1536
	v_mov_b32_e32 v8, 0
	s_waitcnt vmcnt(0) lgkmcnt(0)
	v_cmp_ne_u16_sdwa s[4:5], v6, v33 src0_sel:BYTE_0 src1_sel:DWORD
	s_and_saveexec_b64 s[12:13], s[4:5]
	s_cbranch_execz .LBB403_1383
; %bb.1378:                             ;   in Loop: Header=BB403_1003 Depth=1
	v_cmp_ne_u16_sdwa s[4:5], v6, s28 src0_sel:BYTE_0 src1_sel:DWORD
	v_bfrev_b32_e32 v8, 1
	s_and_saveexec_b64 s[24:25], s[4:5]
	s_cbranch_execz .LBB403_1382
; %bb.1379:                             ;   in Loop: Header=BB403_1003 Depth=1
	v_and_b32_e32 v9, 0x7f, v6
	v_cmp_ne_u32_e64 s[4:5], s29, v9
	v_mov_b32_e32 v8, 0x7f800001
	s_and_saveexec_b64 s[26:27], s[4:5]
	s_cbranch_execz .LBB403_1381
; %bb.1380:                             ;   in Loop: Header=BB403_1003 Depth=1
	v_and_b32_e32 v4, 7, v6
	v_ffbh_u32_e32 v4, v4
	v_min_u32_e32 v4, 32, v4
	v_lshrrev_b32_e32 v5, 3, v9
	v_subrev_u32_e32 v8, 28, v4
	v_sub_u32_e32 v4, 29, v4
	v_cmp_gt_u32_e64 s[4:5], 8, v9
	v_cndmask_b32_e64 v4, v5, v4, s[4:5]
	v_cndmask_b32_e64 v5, 0, v8, s[4:5]
	v_lshlrev_b64 v[8:9], v5, v[6:7]
	v_lshlrev_b32_e32 v5, 20, v8
	v_lshlrev_b32_e32 v8, 24, v6
	v_bfrev_b32_e32 v9, 60
	v_and_b32_e32 v5, 0x700000, v5
	v_and_b32_e32 v8, 0x80000000, v8
	v_lshl_add_u32 v4, v4, 23, v9
	v_or3_b32 v8, v8, v4, v5
.LBB403_1381:                           ;   in Loop: Header=BB403_1003 Depth=1
	s_or_b64 exec, exec, s[26:27]
.LBB403_1382:                           ;   in Loop: Header=BB403_1003 Depth=1
	s_or_b64 exec, exec, s[24:25]
.LBB403_1383:                           ;   in Loop: Header=BB403_1003 Depth=1
	s_or_b64 exec, exec, s[12:13]
	v_mul_f32_e32 v8, v27, v8
	v_and_b32_e32 v4, 0x7f800000, v8
	v_cmp_ne_u32_e64 s[4:5], s15, v4
                                        ; implicit-def: $vgpr9
	s_and_saveexec_b64 s[12:13], s[4:5]
	s_xor_b64 s[4:5], exec, s[12:13]
; %bb.1384:                             ;   in Loop: Header=BB403_1003 Depth=1
	v_bfe_u32 v4, v8, 16, 1
	v_add3_u32 v9, v8, v4, s21
                                        ; implicit-def: $vgpr8
; %bb.1385:                             ;   in Loop: Header=BB403_1003 Depth=1
	s_andn2_saveexec_b64 s[12:13], s[4:5]
; %bb.1386:                             ;   in Loop: Header=BB403_1003 Depth=1
	v_or_b32_e32 v4, 0x10000, v8
	v_cmp_eq_u32_sdwa s[4:5], v8, v33 src0_sel:WORD_0 src1_sel:DWORD
	v_cndmask_b32_e64 v9, v4, v8, s[4:5]
; %bb.1387:                             ;   in Loop: Header=BB403_1003 Depth=1
	s_or_b64 exec, exec, s[12:13]
	v_lshrrev_b16_e32 v8, 8, v6
	v_cmp_ne_u16_e64 s[4:5], 0, v8
	v_mov_b32_e32 v10, 0
	s_and_saveexec_b64 s[12:13], s[4:5]
	s_cbranch_execz .LBB403_1393
; %bb.1388:                             ;   in Loop: Header=BB403_1003 Depth=1
	v_cmp_ne_u16_e64 s[4:5], s28, v8
	v_bfrev_b32_e32 v10, 1
	s_and_saveexec_b64 s[24:25], s[4:5]
	s_cbranch_execz .LBB403_1392
; %bb.1389:                             ;   in Loop: Header=BB403_1003 Depth=1
	v_and_b32_e32 v11, 0x7f, v8
	v_cmp_ne_u32_e64 s[4:5], s29, v11
	v_mov_b32_e32 v10, 0x7f800001
	s_and_saveexec_b64 s[26:27], s[4:5]
	s_cbranch_execz .LBB403_1391
; %bb.1390:                             ;   in Loop: Header=BB403_1003 Depth=1
	v_and_b32_e32 v4, 7, v8
	v_ffbh_u32_e32 v10, v4
	v_min_u32_e32 v10, 32, v10
	v_subrev_u32_e32 v16, 28, v10
	v_lshlrev_b64 v[38:39], v16, v[8:9]
	v_lshrrev_b32_e32 v5, 3, v11
	v_sub_u32_e32 v8, 29, v10
	v_and_b32_e32 v10, 7, v38
	v_cmp_gt_u32_e64 s[4:5], 8, v11
	v_cndmask_b32_e64 v5, v5, v8, s[4:5]
	v_cndmask_b32_e64 v4, v4, v10, s[4:5]
	v_lshlrev_b32_e32 v8, 16, v6
	v_bfrev_b32_e32 v10, 60
	v_lshlrev_b32_e32 v4, 20, v4
	v_and_b32_e32 v8, 0x80000000, v8
	v_lshl_add_u32 v5, v5, 23, v10
	v_or3_b32 v10, v8, v5, v4
.LBB403_1391:                           ;   in Loop: Header=BB403_1003 Depth=1
	s_or_b64 exec, exec, s[26:27]
.LBB403_1392:                           ;   in Loop: Header=BB403_1003 Depth=1
	s_or_b64 exec, exec, s[24:25]
.LBB403_1393:                           ;   in Loop: Header=BB403_1003 Depth=1
	s_or_b64 exec, exec, s[12:13]
	v_mul_f32_e32 v8, v27, v10
	v_and_b32_e32 v4, 0x7f800000, v8
	v_cmp_ne_u32_e64 s[4:5], s15, v4
                                        ; implicit-def: $vgpr10
	s_and_saveexec_b64 s[12:13], s[4:5]
	s_xor_b64 s[4:5], exec, s[12:13]
; %bb.1394:                             ;   in Loop: Header=BB403_1003 Depth=1
	v_bfe_u32 v4, v8, 16, 1
	v_add3_u32 v10, v8, v4, s21
                                        ; implicit-def: $vgpr8
; %bb.1395:                             ;   in Loop: Header=BB403_1003 Depth=1
	s_andn2_saveexec_b64 s[12:13], s[4:5]
; %bb.1396:                             ;   in Loop: Header=BB403_1003 Depth=1
	v_or_b32_e32 v4, 0x10000, v8
	v_cmp_eq_u32_sdwa s[4:5], v8, v33 src0_sel:WORD_0 src1_sel:DWORD
	v_cndmask_b32_e64 v10, v4, v8, s[4:5]
; %bb.1397:                             ;   in Loop: Header=BB403_1003 Depth=1
	s_or_b64 exec, exec, s[12:13]
	v_lshrrev_b32_e32 v8, 16, v6
	v_cmp_ne_u16_sdwa s[4:5], v8, v33 src0_sel:BYTE_0 src1_sel:DWORD
	v_mov_b32_e32 v11, 0
	s_and_saveexec_b64 s[12:13], s[4:5]
	s_cbranch_execz .LBB403_1403
; %bb.1398:                             ;   in Loop: Header=BB403_1003 Depth=1
	v_cmp_ne_u16_sdwa s[4:5], v8, s28 src0_sel:BYTE_0 src1_sel:DWORD
	v_bfrev_b32_e32 v11, 1
	s_and_saveexec_b64 s[24:25], s[4:5]
	s_cbranch_execz .LBB403_1402
; %bb.1399:                             ;   in Loop: Header=BB403_1003 Depth=1
	v_bfe_u32 v16, v6, 16, 7
	v_cmp_ne_u32_e64 s[4:5], s29, v16
	v_mov_b32_e32 v11, 0x7f800001
	s_and_saveexec_b64 s[26:27], s[4:5]
	s_cbranch_execz .LBB403_1401
; %bb.1400:                             ;   in Loop: Header=BB403_1003 Depth=1
	v_and_b32_e32 v4, 7, v8
	v_ffbh_u32_e32 v11, v4
	v_min_u32_e32 v11, 32, v11
	v_subrev_u32_e32 v22, 28, v11
	v_lshlrev_b64 v[38:39], v22, v[8:9]
	v_lshrrev_b32_e32 v5, 3, v16
	v_sub_u32_e32 v11, 29, v11
	v_and_b32_e32 v22, 7, v38
	v_cmp_gt_u32_e64 s[4:5], 8, v16
	v_cndmask_b32_e64 v5, v5, v11, s[4:5]
	v_cndmask_b32_e64 v4, v4, v22, s[4:5]
	v_lshlrev_b32_e32 v8, 24, v8
	v_bfrev_b32_e32 v11, 60
	v_lshlrev_b32_e32 v4, 20, v4
	v_and_b32_e32 v8, 0x80000000, v8
	v_lshl_add_u32 v5, v5, 23, v11
	v_or3_b32 v11, v8, v5, v4
.LBB403_1401:                           ;   in Loop: Header=BB403_1003 Depth=1
	s_or_b64 exec, exec, s[26:27]
.LBB403_1402:                           ;   in Loop: Header=BB403_1003 Depth=1
	s_or_b64 exec, exec, s[24:25]
.LBB403_1403:                           ;   in Loop: Header=BB403_1003 Depth=1
	s_or_b64 exec, exec, s[12:13]
	v_mul_f32_e32 v8, v27, v11
	v_and_b32_e32 v4, 0x7f800000, v8
	v_cmp_ne_u32_e64 s[4:5], s15, v4
                                        ; implicit-def: $vgpr11
	s_and_saveexec_b64 s[12:13], s[4:5]
	s_xor_b64 s[4:5], exec, s[12:13]
; %bb.1404:                             ;   in Loop: Header=BB403_1003 Depth=1
	v_bfe_u32 v4, v8, 16, 1
	v_add3_u32 v11, v8, v4, s21
                                        ; implicit-def: $vgpr8
; %bb.1405:                             ;   in Loop: Header=BB403_1003 Depth=1
	s_andn2_saveexec_b64 s[12:13], s[4:5]
; %bb.1406:                             ;   in Loop: Header=BB403_1003 Depth=1
	v_or_b32_e32 v4, 0x10000, v8
	v_cmp_eq_u32_sdwa s[4:5], v8, v33 src0_sel:WORD_0 src1_sel:DWORD
	v_cndmask_b32_e64 v11, v4, v8, s[4:5]
; %bb.1407:                             ;   in Loop: Header=BB403_1003 Depth=1
	s_or_b64 exec, exec, s[12:13]
	v_cmp_lt_u32_e64 s[4:5], s9, v6
	v_mov_b32_e32 v16, 0
	s_and_saveexec_b64 s[12:13], s[4:5]
	s_cbranch_execz .LBB403_1413
; %bb.1408:                             ;   in Loop: Header=BB403_1003 Depth=1
	v_lshrrev_b32_e32 v8, 24, v6
	v_cmp_ne_u32_e64 s[4:5], s28, v8
	v_bfrev_b32_e32 v16, 1
	s_and_saveexec_b64 s[24:25], s[4:5]
	s_cbranch_execz .LBB403_1412
; %bb.1409:                             ;   in Loop: Header=BB403_1003 Depth=1
	v_bfe_u32 v22, v6, 24, 7
	v_cmp_ne_u32_e64 s[4:5], s29, v22
	v_mov_b32_e32 v16, 0x7f800001
	s_and_saveexec_b64 s[26:27], s[4:5]
	s_cbranch_execz .LBB403_1411
; %bb.1410:                             ;   in Loop: Header=BB403_1003 Depth=1
	v_and_b32_e32 v4, 7, v8
	v_ffbh_u32_e32 v16, v4
	v_min_u32_e32 v16, 32, v16
	v_subrev_u32_e32 v26, 28, v16
	v_lshlrev_b64 v[38:39], v26, v[8:9]
	v_lshrrev_b32_e32 v5, 3, v22
	v_sub_u32_e32 v16, 29, v16
	v_and_b32_e32 v26, 7, v38
	v_cmp_gt_u32_e64 s[4:5], 8, v22
	v_cndmask_b32_e64 v5, v5, v16, s[4:5]
	v_cndmask_b32_e64 v4, v4, v26, s[4:5]
	v_lshlrev_b32_e32 v8, 24, v8
	v_bfrev_b32_e32 v16, 60
	v_lshlrev_b32_e32 v4, 20, v4
	v_and_b32_e32 v8, 0x80000000, v8
	v_lshl_add_u32 v5, v5, 23, v16
	v_or3_b32 v16, v8, v5, v4
.LBB403_1411:                           ;   in Loop: Header=BB403_1003 Depth=1
	s_or_b64 exec, exec, s[26:27]
.LBB403_1412:                           ;   in Loop: Header=BB403_1003 Depth=1
	s_or_b64 exec, exec, s[24:25]
.LBB403_1413:                           ;   in Loop: Header=BB403_1003 Depth=1
	s_or_b64 exec, exec, s[12:13]
	v_mul_f32_e32 v8, v27, v16
	v_and_b32_e32 v4, 0x7f800000, v8
	v_cmp_ne_u32_e64 s[4:5], s15, v4
                                        ; implicit-def: $vgpr16
	s_and_saveexec_b64 s[12:13], s[4:5]
	s_xor_b64 s[4:5], exec, s[12:13]
; %bb.1414:                             ;   in Loop: Header=BB403_1003 Depth=1
	v_bfe_u32 v4, v8, 16, 1
	v_add3_u32 v16, v8, v4, s21
                                        ; implicit-def: $vgpr8
; %bb.1415:                             ;   in Loop: Header=BB403_1003 Depth=1
	s_andn2_saveexec_b64 s[12:13], s[4:5]
; %bb.1416:                             ;   in Loop: Header=BB403_1003 Depth=1
	v_or_b32_e32 v4, 0x10000, v8
	v_cmp_eq_u32_sdwa s[4:5], v8, v33 src0_sel:WORD_0 src1_sel:DWORD
	v_cndmask_b32_e64 v16, v4, v8, s[4:5]
; %bb.1417:                             ;   in Loop: Header=BB403_1003 Depth=1
	s_or_b64 exec, exec, s[12:13]
	v_mov_b32_e32 v32, v7
	v_cmp_ne_u16_sdwa s[4:5], v7, v33 src0_sel:BYTE_0 src1_sel:DWORD
	v_mov_b32_e32 v8, 0
	s_and_saveexec_b64 s[12:13], s[4:5]
	s_cbranch_execz .LBB403_1423
; %bb.1418:                             ;   in Loop: Header=BB403_1003 Depth=1
	v_cmp_ne_u16_sdwa s[4:5], v7, s28 src0_sel:BYTE_0 src1_sel:DWORD
	v_bfrev_b32_e32 v8, 1
	s_and_saveexec_b64 s[24:25], s[4:5]
	s_cbranch_execz .LBB403_1422
; %bb.1419:                             ;   in Loop: Header=BB403_1003 Depth=1
	v_and_b32_e32 v22, 0x7f, v7
	v_cmp_ne_u32_e64 s[4:5], s29, v22
	v_mov_b32_e32 v8, 0x7f800001
	s_and_saveexec_b64 s[26:27], s[4:5]
	s_cbranch_execz .LBB403_1421
; %bb.1420:                             ;   in Loop: Header=BB403_1003 Depth=1
	v_and_b32_e32 v4, 7, v7
	v_ffbh_u32_e32 v4, v4
	v_min_u32_e32 v4, 32, v4
	v_lshrrev_b32_e32 v5, 3, v22
	v_subrev_u32_e32 v8, 28, v4
	v_sub_u32_e32 v4, 29, v4
	v_cmp_gt_u32_e64 s[4:5], 8, v22
	v_cndmask_b32_e64 v4, v5, v4, s[4:5]
	v_cndmask_b32_e64 v5, 0, v8, s[4:5]
	v_lshlrev_b64 v[38:39], v5, v[32:33]
	v_lshlrev_b32_e32 v5, 20, v38
	v_lshlrev_b32_e32 v8, 24, v32
	v_bfrev_b32_e32 v22, 60
	v_and_b32_e32 v5, 0x700000, v5
	v_and_b32_e32 v8, 0x80000000, v8
	v_lshl_add_u32 v4, v4, 23, v22
	v_or3_b32 v8, v8, v4, v5
.LBB403_1421:                           ;   in Loop: Header=BB403_1003 Depth=1
	s_or_b64 exec, exec, s[26:27]
.LBB403_1422:                           ;   in Loop: Header=BB403_1003 Depth=1
	s_or_b64 exec, exec, s[24:25]
.LBB403_1423:                           ;   in Loop: Header=BB403_1003 Depth=1
	s_or_b64 exec, exec, s[12:13]
	v_mul_f32_e32 v8, v27, v8
	v_and_b32_e32 v4, 0x7f800000, v8
	v_cmp_ne_u32_e64 s[4:5], s15, v4
                                        ; implicit-def: $vgpr22
	s_and_saveexec_b64 s[12:13], s[4:5]
	s_xor_b64 s[4:5], exec, s[12:13]
; %bb.1424:                             ;   in Loop: Header=BB403_1003 Depth=1
	v_bfe_u32 v4, v8, 16, 1
	v_add3_u32 v22, v8, v4, s21
                                        ; implicit-def: $vgpr8
; %bb.1425:                             ;   in Loop: Header=BB403_1003 Depth=1
	s_andn2_saveexec_b64 s[12:13], s[4:5]
; %bb.1426:                             ;   in Loop: Header=BB403_1003 Depth=1
	v_or_b32_e32 v4, 0x10000, v8
	v_cmp_eq_u32_sdwa s[4:5], v8, v33 src0_sel:WORD_0 src1_sel:DWORD
	v_cndmask_b32_e64 v22, v4, v8, s[4:5]
; %bb.1427:                             ;   in Loop: Header=BB403_1003 Depth=1
	s_or_b64 exec, exec, s[12:13]
	v_lshrrev_b16_e32 v8, 8, v32
	v_cmp_ne_u16_e64 s[4:5], 0, v8
	v_mov_b32_e32 v26, 0
	s_and_saveexec_b64 s[12:13], s[4:5]
	s_cbranch_execz .LBB403_1433
; %bb.1428:                             ;   in Loop: Header=BB403_1003 Depth=1
	v_cmp_ne_u16_e64 s[4:5], s28, v8
	v_bfrev_b32_e32 v26, 1
	s_and_saveexec_b64 s[24:25], s[4:5]
	s_cbranch_execz .LBB403_1432
; %bb.1429:                             ;   in Loop: Header=BB403_1003 Depth=1
	v_and_b32_e32 v34, 0x7f, v8
	v_cmp_ne_u32_e64 s[4:5], s29, v34
	v_mov_b32_e32 v26, 0x7f800001
	s_and_saveexec_b64 s[26:27], s[4:5]
	s_cbranch_execz .LBB403_1431
; %bb.1430:                             ;   in Loop: Header=BB403_1003 Depth=1
	v_and_b32_e32 v4, 7, v8
	v_ffbh_u32_e32 v26, v4
	v_min_u32_e32 v26, 32, v26
	v_subrev_u32_e32 v36, 28, v26
	v_lshlrev_b64 v[38:39], v36, v[8:9]
	v_lshrrev_b32_e32 v5, 3, v34
	v_sub_u32_e32 v8, 29, v26
	v_and_b32_e32 v26, 7, v38
	v_cmp_gt_u32_e64 s[4:5], 8, v34
	v_cndmask_b32_e64 v5, v5, v8, s[4:5]
	v_cndmask_b32_e64 v4, v4, v26, s[4:5]
	v_lshlrev_b32_e32 v8, 16, v32
	v_bfrev_b32_e32 v26, 60
	v_lshlrev_b32_e32 v4, 20, v4
	v_and_b32_e32 v8, 0x80000000, v8
	v_lshl_add_u32 v5, v5, 23, v26
	v_or3_b32 v26, v8, v5, v4
.LBB403_1431:                           ;   in Loop: Header=BB403_1003 Depth=1
	s_or_b64 exec, exec, s[26:27]
.LBB403_1432:                           ;   in Loop: Header=BB403_1003 Depth=1
	s_or_b64 exec, exec, s[24:25]
.LBB403_1433:                           ;   in Loop: Header=BB403_1003 Depth=1
	s_or_b64 exec, exec, s[12:13]
	v_mul_f32_e32 v8, v27, v26
	v_and_b32_e32 v4, 0x7f800000, v8
	v_cmp_ne_u32_e64 s[4:5], s15, v4
                                        ; implicit-def: $vgpr26
	s_and_saveexec_b64 s[12:13], s[4:5]
	s_xor_b64 s[4:5], exec, s[12:13]
; %bb.1434:                             ;   in Loop: Header=BB403_1003 Depth=1
	v_bfe_u32 v4, v8, 16, 1
	v_add3_u32 v26, v8, v4, s21
                                        ; implicit-def: $vgpr8
; %bb.1435:                             ;   in Loop: Header=BB403_1003 Depth=1
	s_andn2_saveexec_b64 s[12:13], s[4:5]
; %bb.1436:                             ;   in Loop: Header=BB403_1003 Depth=1
	v_or_b32_e32 v4, 0x10000, v8
	v_cmp_eq_u32_sdwa s[4:5], v8, v33 src0_sel:WORD_0 src1_sel:DWORD
	v_cndmask_b32_e64 v26, v4, v8, s[4:5]
; %bb.1437:                             ;   in Loop: Header=BB403_1003 Depth=1
	s_or_b64 exec, exec, s[12:13]
	v_lshrrev_b32_e32 v8, 16, v7
	v_cmp_ne_u16_sdwa s[4:5], v8, v33 src0_sel:BYTE_0 src1_sel:DWORD
	v_mov_b32_e32 v32, 0
	s_and_saveexec_b64 s[12:13], s[4:5]
	s_cbranch_execz .LBB403_1443
; %bb.1438:                             ;   in Loop: Header=BB403_1003 Depth=1
	v_cmp_ne_u16_sdwa s[4:5], v8, s28 src0_sel:BYTE_0 src1_sel:DWORD
	v_bfrev_b32_e32 v32, 1
	s_and_saveexec_b64 s[24:25], s[4:5]
	s_cbranch_execz .LBB403_1442
; %bb.1439:                             ;   in Loop: Header=BB403_1003 Depth=1
	v_bfe_u32 v34, v7, 16, 7
	v_cmp_ne_u32_e64 s[4:5], s29, v34
	v_mov_b32_e32 v32, 0x7f800001
	s_and_saveexec_b64 s[26:27], s[4:5]
	s_cbranch_execz .LBB403_1441
; %bb.1440:                             ;   in Loop: Header=BB403_1003 Depth=1
	v_and_b32_e32 v4, 7, v8
	v_ffbh_u32_e32 v32, v4
	v_min_u32_e32 v32, 32, v32
	v_subrev_u32_e32 v36, 28, v32
	v_lshlrev_b64 v[38:39], v36, v[8:9]
	v_lshrrev_b32_e32 v5, 3, v34
	v_sub_u32_e32 v32, 29, v32
	v_and_b32_e32 v36, 7, v38
	v_cmp_gt_u32_e64 s[4:5], 8, v34
	v_cndmask_b32_e64 v5, v5, v32, s[4:5]
	v_cndmask_b32_e64 v4, v4, v36, s[4:5]
	v_lshlrev_b32_e32 v8, 24, v8
	v_bfrev_b32_e32 v32, 60
	v_lshlrev_b32_e32 v4, 20, v4
	v_and_b32_e32 v8, 0x80000000, v8
	v_lshl_add_u32 v5, v5, 23, v32
	v_or3_b32 v32, v8, v5, v4
.LBB403_1441:                           ;   in Loop: Header=BB403_1003 Depth=1
	s_or_b64 exec, exec, s[26:27]
.LBB403_1442:                           ;   in Loop: Header=BB403_1003 Depth=1
	s_or_b64 exec, exec, s[24:25]
.LBB403_1443:                           ;   in Loop: Header=BB403_1003 Depth=1
	s_or_b64 exec, exec, s[12:13]
	v_mul_f32_e32 v8, v27, v32
	v_and_b32_e32 v4, 0x7f800000, v8
	v_cmp_ne_u32_e64 s[4:5], s15, v4
                                        ; implicit-def: $vgpr32
	s_and_saveexec_b64 s[12:13], s[4:5]
	s_xor_b64 s[4:5], exec, s[12:13]
; %bb.1444:                             ;   in Loop: Header=BB403_1003 Depth=1
	v_bfe_u32 v4, v8, 16, 1
	v_add3_u32 v32, v8, v4, s21
                                        ; implicit-def: $vgpr8
; %bb.1445:                             ;   in Loop: Header=BB403_1003 Depth=1
	s_andn2_saveexec_b64 s[12:13], s[4:5]
; %bb.1446:                             ;   in Loop: Header=BB403_1003 Depth=1
	v_or_b32_e32 v4, 0x10000, v8
	v_cmp_eq_u32_sdwa s[4:5], v8, v33 src0_sel:WORD_0 src1_sel:DWORD
	v_cndmask_b32_e64 v32, v4, v8, s[4:5]
; %bb.1447:                             ;   in Loop: Header=BB403_1003 Depth=1
	s_or_b64 exec, exec, s[12:13]
	v_cmp_lt_u64_e64 s[4:5], s[8:9], v[6:7]
	v_mov_b32_e32 v8, 0
	s_and_saveexec_b64 s[12:13], s[4:5]
	s_cbranch_execz .LBB403_1453
; %bb.1448:                             ;   in Loop: Header=BB403_1003 Depth=1
	v_lshrrev_b32_e32 v6, 24, v7
	v_cmp_ne_u32_e64 s[4:5], s28, v6
	v_bfrev_b32_e32 v8, 1
	s_and_saveexec_b64 s[24:25], s[4:5]
	s_cbranch_execz .LBB403_1452
; %bb.1449:                             ;   in Loop: Header=BB403_1003 Depth=1
	v_bfe_u32 v7, v7, 24, 7
	v_cmp_ne_u32_e64 s[4:5], s29, v7
	v_mov_b32_e32 v8, 0x7f800001
	s_and_saveexec_b64 s[26:27], s[4:5]
	s_cbranch_execz .LBB403_1451
; %bb.1450:                             ;   in Loop: Header=BB403_1003 Depth=1
	v_and_b32_e32 v4, 7, v6
	v_ffbh_u32_e32 v8, v4
	v_min_u32_e32 v8, 32, v8
	v_subrev_u32_e32 v34, 28, v8
	v_lshlrev_b64 v[38:39], v34, v[6:7]
	v_lshrrev_b32_e32 v5, 3, v7
	v_sub_u32_e32 v8, 29, v8
	v_and_b32_e32 v34, 7, v38
	v_cmp_gt_u32_e64 s[4:5], 8, v7
	v_cndmask_b32_e64 v5, v5, v8, s[4:5]
	v_cndmask_b32_e64 v4, v4, v34, s[4:5]
	v_lshlrev_b32_e32 v6, 24, v6
	v_bfrev_b32_e32 v7, 60
	v_lshlrev_b32_e32 v4, 20, v4
	v_and_b32_e32 v6, 0x80000000, v6
	v_lshl_add_u32 v5, v5, 23, v7
	v_or3_b32 v8, v6, v5, v4
.LBB403_1451:                           ;   in Loop: Header=BB403_1003 Depth=1
	s_or_b64 exec, exec, s[26:27]
.LBB403_1452:                           ;   in Loop: Header=BB403_1003 Depth=1
	s_or_b64 exec, exec, s[24:25]
.LBB403_1453:                           ;   in Loop: Header=BB403_1003 Depth=1
	s_or_b64 exec, exec, s[12:13]
	v_mul_f32_e32 v7, v27, v8
	v_and_b32_e32 v4, 0x7f800000, v7
	v_cmp_ne_u32_e64 s[4:5], s15, v4
                                        ; implicit-def: $vgpr6
	s_and_saveexec_b64 s[12:13], s[4:5]
	s_xor_b64 s[4:5], exec, s[12:13]
; %bb.1454:                             ;   in Loop: Header=BB403_1003 Depth=1
	v_bfe_u32 v4, v7, 16, 1
	v_add3_u32 v6, v7, v4, s21
                                        ; implicit-def: $vgpr7
; %bb.1455:                             ;   in Loop: Header=BB403_1003 Depth=1
	s_andn2_saveexec_b64 s[12:13], s[4:5]
; %bb.1456:                             ;   in Loop: Header=BB403_1003 Depth=1
	v_or_b32_e32 v4, 0x10000, v7
	v_cmp_eq_u32_sdwa s[4:5], v7, v33 src0_sel:WORD_0 src1_sel:DWORD
	v_cndmask_b32_e64 v6, v4, v7, s[4:5]
; %bb.1457:                             ;   in Loop: Header=BB403_1003 Depth=1
	s_or_b64 exec, exec, s[12:13]
	v_lshrrev_b32_e32 v8, 16, v26
	v_lshrrev_b32_e32 v22, 16, v22
	;; [unrolled: 1-line block ×8, first 2 shown]
	s_and_saveexec_b64 s[12:13], vcc
	s_cbranch_execz .LBB403_1459
; %bb.1458:                             ;   in Loop: Header=BB403_1003 Depth=1
	v_accvgpr_read_b32 v4, a26
	v_cmp_lt_i32_e64 s[4:5], v4, v37
	v_accvgpr_read_b32 v4, a32
	v_cndmask_b32_e64 v9, 0, v9, s[4:5]
	v_cmp_lt_i32_e64 s[4:5], v4, v37
	v_accvgpr_read_b32 v4, a31
	v_cndmask_b32_e64 v10, 0, v10, s[4:5]
	;; [unrolled: 3-line block ×6, first 2 shown]
	v_cmp_lt_i32_e64 s[4:5], v4, v37
	v_cndmask_b32_e64 v7, 0, v7, s[4:5]
	v_cmp_lt_i32_e64 s[4:5], v17, v37
	v_cndmask_b32_e64 v6, 0, v6, s[4:5]
.LBB403_1459:                           ;   in Loop: Header=BB403_1003 Depth=1
	s_or_b64 exec, exec, s[12:13]
	v_lshlrev_b32_e32 v4, 16, v9
	v_mul_f32_e32 v9, v48, v4
	v_and_b32_e32 v4, 0x7f800000, v9
	v_cmp_ne_u32_e64 s[4:5], s15, v4
                                        ; implicit-def: $agpr2
	s_and_saveexec_b64 s[12:13], s[4:5]
	s_xor_b64 s[4:5], exec, s[12:13]
; %bb.1460:                             ;   in Loop: Header=BB403_1003 Depth=1
	v_bfe_u32 v4, v9, 16, 1
	v_add3_u32 v4, v9, v4, s21
	v_accvgpr_write_b32 a2, v4
                                        ; implicit-def: $vgpr9
; %bb.1461:                             ;   in Loop: Header=BB403_1003 Depth=1
	s_andn2_saveexec_b64 s[12:13], s[4:5]
; %bb.1462:                             ;   in Loop: Header=BB403_1003 Depth=1
	v_or_b32_e32 v4, 0x10000, v9
	v_cmp_eq_u32_sdwa s[4:5], v9, v33 src0_sel:WORD_0 src1_sel:DWORD
	v_cndmask_b32_e64 v4, v4, v9, s[4:5]
	v_accvgpr_write_b32 a2, v4
; %bb.1463:                             ;   in Loop: Header=BB403_1003 Depth=1
	s_or_b64 exec, exec, s[12:13]
	v_lshlrev_b32_e32 v4, 16, v10
	v_mul_f32_e32 v9, v51, v4
	v_and_b32_e32 v4, 0x7f800000, v9
	v_cmp_ne_u32_e64 s[4:5], s15, v4
                                        ; implicit-def: $agpr3
	s_and_saveexec_b64 s[12:13], s[4:5]
	s_xor_b64 s[4:5], exec, s[12:13]
; %bb.1464:                             ;   in Loop: Header=BB403_1003 Depth=1
	v_bfe_u32 v4, v9, 16, 1
	v_add3_u32 v4, v9, v4, s21
	v_accvgpr_write_b32 a3, v4
                                        ; implicit-def: $vgpr9
; %bb.1465:                             ;   in Loop: Header=BB403_1003 Depth=1
	s_andn2_saveexec_b64 s[12:13], s[4:5]
; %bb.1466:                             ;   in Loop: Header=BB403_1003 Depth=1
	v_or_b32_e32 v4, 0x10000, v9
	v_cmp_eq_u32_sdwa s[4:5], v9, v33 src0_sel:WORD_0 src1_sel:DWORD
	v_cndmask_b32_e64 v4, v4, v9, s[4:5]
	v_accvgpr_write_b32 a3, v4
; %bb.1467:                             ;   in Loop: Header=BB403_1003 Depth=1
	s_or_b64 exec, exec, s[12:13]
	v_lshlrev_b32_e32 v4, 16, v11
	v_mul_f32_e32 v9, v49, v4
	v_and_b32_e32 v4, 0x7f800000, v9
	v_cmp_ne_u32_e64 s[4:5], s15, v4
                                        ; implicit-def: $agpr51
	s_and_saveexec_b64 s[12:13], s[4:5]
	s_xor_b64 s[4:5], exec, s[12:13]
; %bb.1468:                             ;   in Loop: Header=BB403_1003 Depth=1
	v_bfe_u32 v4, v9, 16, 1
	v_add3_u32 v4, v9, v4, s21
	v_accvgpr_write_b32 a51, v4
                                        ; implicit-def: $vgpr9
; %bb.1469:                             ;   in Loop: Header=BB403_1003 Depth=1
	s_andn2_saveexec_b64 s[12:13], s[4:5]
; %bb.1470:                             ;   in Loop: Header=BB403_1003 Depth=1
	v_or_b32_e32 v4, 0x10000, v9
	v_cmp_eq_u32_sdwa s[4:5], v9, v33 src0_sel:WORD_0 src1_sel:DWORD
	v_cndmask_b32_e64 v4, v4, v9, s[4:5]
	v_accvgpr_write_b32 a51, v4
; %bb.1471:                             ;   in Loop: Header=BB403_1003 Depth=1
	s_or_b64 exec, exec, s[12:13]
	v_lshlrev_b32_e32 v4, 16, v16
	v_mul_f32_e32 v9, v23, v4
	v_and_b32_e32 v4, 0x7f800000, v9
	v_cmp_ne_u32_e64 s[4:5], s15, v4
                                        ; implicit-def: $agpr52
	s_and_saveexec_b64 s[12:13], s[4:5]
	s_xor_b64 s[4:5], exec, s[12:13]
; %bb.1472:                             ;   in Loop: Header=BB403_1003 Depth=1
	v_bfe_u32 v4, v9, 16, 1
	v_add3_u32 v4, v9, v4, s21
	v_accvgpr_write_b32 a52, v4
                                        ; implicit-def: $vgpr9
; %bb.1473:                             ;   in Loop: Header=BB403_1003 Depth=1
	s_andn2_saveexec_b64 s[12:13], s[4:5]
; %bb.1474:                             ;   in Loop: Header=BB403_1003 Depth=1
	v_or_b32_e32 v4, 0x10000, v9
	v_cmp_eq_u32_sdwa s[4:5], v9, v33 src0_sel:WORD_0 src1_sel:DWORD
	v_cndmask_b32_e64 v4, v4, v9, s[4:5]
	v_accvgpr_write_b32 a52, v4
; %bb.1475:                             ;   in Loop: Header=BB403_1003 Depth=1
	s_or_b64 exec, exec, s[12:13]
	v_lshlrev_b32_e32 v4, 16, v22
	v_mul_f32_e32 v9, v54, v4
	v_and_b32_e32 v4, 0x7f800000, v9
	v_cmp_ne_u32_e64 s[4:5], s15, v4
                                        ; implicit-def: $agpr53
	s_and_saveexec_b64 s[12:13], s[4:5]
	s_xor_b64 s[4:5], exec, s[12:13]
; %bb.1476:                             ;   in Loop: Header=BB403_1003 Depth=1
	v_bfe_u32 v4, v9, 16, 1
	v_add3_u32 v4, v9, v4, s21
	v_accvgpr_write_b32 a53, v4
                                        ; implicit-def: $vgpr9
; %bb.1477:                             ;   in Loop: Header=BB403_1003 Depth=1
	s_andn2_saveexec_b64 s[12:13], s[4:5]
; %bb.1478:                             ;   in Loop: Header=BB403_1003 Depth=1
	v_or_b32_e32 v4, 0x10000, v9
	v_cmp_eq_u32_sdwa s[4:5], v9, v33 src0_sel:WORD_0 src1_sel:DWORD
	v_cndmask_b32_e64 v4, v4, v9, s[4:5]
	v_accvgpr_write_b32 a53, v4
; %bb.1479:                             ;   in Loop: Header=BB403_1003 Depth=1
	s_or_b64 exec, exec, s[12:13]
	v_lshlrev_b32_e32 v4, 16, v8
	v_mul_f32_e32 v8, v61, v4
	v_and_b32_e32 v4, 0x7f800000, v8
	v_cmp_ne_u32_e64 s[4:5], s15, v4
                                        ; implicit-def: $agpr54
	s_and_saveexec_b64 s[12:13], s[4:5]
	s_xor_b64 s[4:5], exec, s[12:13]
; %bb.1480:                             ;   in Loop: Header=BB403_1003 Depth=1
	v_bfe_u32 v4, v8, 16, 1
	v_add3_u32 v4, v8, v4, s21
	v_accvgpr_write_b32 a54, v4
                                        ; implicit-def: $vgpr8
; %bb.1481:                             ;   in Loop: Header=BB403_1003 Depth=1
	s_andn2_saveexec_b64 s[12:13], s[4:5]
; %bb.1482:                             ;   in Loop: Header=BB403_1003 Depth=1
	v_or_b32_e32 v4, 0x10000, v8
	v_cmp_eq_u32_sdwa s[4:5], v8, v33 src0_sel:WORD_0 src1_sel:DWORD
	v_cndmask_b32_e64 v4, v4, v8, s[4:5]
	v_accvgpr_write_b32 a54, v4
; %bb.1483:                             ;   in Loop: Header=BB403_1003 Depth=1
	s_or_b64 exec, exec, s[12:13]
	v_lshlrev_b32_e32 v4, 16, v7
	v_mul_f32_e32 v7, v35, v4
	v_and_b32_e32 v4, 0x7f800000, v7
	v_cmp_ne_u32_e64 s[4:5], s15, v4
                                        ; implicit-def: $agpr55
	s_and_saveexec_b64 s[12:13], s[4:5]
	s_xor_b64 s[4:5], exec, s[12:13]
; %bb.1484:                             ;   in Loop: Header=BB403_1003 Depth=1
	v_bfe_u32 v4, v7, 16, 1
	v_add3_u32 v4, v7, v4, s21
	v_accvgpr_write_b32 a55, v4
                                        ; implicit-def: $vgpr7
; %bb.1485:                             ;   in Loop: Header=BB403_1003 Depth=1
	s_andn2_saveexec_b64 s[12:13], s[4:5]
; %bb.1486:                             ;   in Loop: Header=BB403_1003 Depth=1
	v_or_b32_e32 v4, 0x10000, v7
	v_cmp_eq_u32_sdwa s[4:5], v7, v33 src0_sel:WORD_0 src1_sel:DWORD
	v_cndmask_b32_e64 v4, v4, v7, s[4:5]
	v_accvgpr_write_b32 a55, v4
; %bb.1487:                             ;   in Loop: Header=BB403_1003 Depth=1
	s_or_b64 exec, exec, s[12:13]
	v_lshlrev_b32_e32 v4, 16, v6
	v_mul_f32_e32 v6, v50, v4
	v_and_b32_e32 v4, 0x7f800000, v6
	v_cmp_ne_u32_e64 s[4:5], s15, v4
                                        ; implicit-def: $agpr56
	s_and_saveexec_b64 s[12:13], s[4:5]
	s_xor_b64 s[4:5], exec, s[12:13]
; %bb.1488:                             ;   in Loop: Header=BB403_1003 Depth=1
	v_bfe_u32 v4, v6, 16, 1
	v_add3_u32 v4, v6, v4, s21
	v_accvgpr_write_b32 a56, v4
                                        ; implicit-def: $vgpr6
; %bb.1489:                             ;   in Loop: Header=BB403_1003 Depth=1
	s_andn2_saveexec_b64 s[12:13], s[4:5]
; %bb.1490:                             ;   in Loop: Header=BB403_1003 Depth=1
	v_or_b32_e32 v4, 0x10000, v6
	v_cmp_eq_u32_sdwa s[4:5], v6, v33 src0_sel:WORD_0 src1_sel:DWORD
	v_cndmask_b32_e64 v4, v4, v6, s[4:5]
	v_accvgpr_write_b32 a56, v4
; %bb.1491:                             ;   in Loop: Header=BB403_1003 Depth=1
	s_or_b64 exec, exec, s[12:13]
	flat_load_dwordx2 v[6:7], v[2:3] offset:2048
	v_mov_b32_e32 v8, 0
	s_waitcnt vmcnt(0) lgkmcnt(0)
	v_cmp_ne_u16_sdwa s[4:5], v6, v33 src0_sel:BYTE_0 src1_sel:DWORD
	s_and_saveexec_b64 s[12:13], s[4:5]
	s_cbranch_execz .LBB403_1497
; %bb.1492:                             ;   in Loop: Header=BB403_1003 Depth=1
	v_cmp_ne_u16_sdwa s[4:5], v6, s28 src0_sel:BYTE_0 src1_sel:DWORD
	v_bfrev_b32_e32 v8, 1
	s_and_saveexec_b64 s[24:25], s[4:5]
	s_cbranch_execz .LBB403_1496
; %bb.1493:                             ;   in Loop: Header=BB403_1003 Depth=1
	v_and_b32_e32 v9, 0x7f, v6
	v_cmp_ne_u32_e64 s[4:5], s29, v9
	v_mov_b32_e32 v8, 0x7f800001
	s_and_saveexec_b64 s[26:27], s[4:5]
	s_cbranch_execz .LBB403_1495
; %bb.1494:                             ;   in Loop: Header=BB403_1003 Depth=1
	v_and_b32_e32 v4, 7, v6
	v_ffbh_u32_e32 v4, v4
	v_min_u32_e32 v4, 32, v4
	v_lshrrev_b32_e32 v5, 3, v9
	v_subrev_u32_e32 v8, 28, v4
	v_sub_u32_e32 v4, 29, v4
	v_cmp_gt_u32_e64 s[4:5], 8, v9
	v_cndmask_b32_e64 v4, v5, v4, s[4:5]
	v_cndmask_b32_e64 v5, 0, v8, s[4:5]
	v_lshlrev_b64 v[8:9], v5, v[6:7]
	v_lshlrev_b32_e32 v5, 20, v8
	v_lshlrev_b32_e32 v8, 24, v6
	v_bfrev_b32_e32 v9, 60
	v_and_b32_e32 v5, 0x700000, v5
	v_and_b32_e32 v8, 0x80000000, v8
	v_lshl_add_u32 v4, v4, 23, v9
	v_or3_b32 v8, v8, v4, v5
.LBB403_1495:                           ;   in Loop: Header=BB403_1003 Depth=1
	s_or_b64 exec, exec, s[26:27]
.LBB403_1496:                           ;   in Loop: Header=BB403_1003 Depth=1
	s_or_b64 exec, exec, s[24:25]
.LBB403_1497:                           ;   in Loop: Header=BB403_1003 Depth=1
	s_or_b64 exec, exec, s[12:13]
	v_mul_f32_e32 v8, v27, v8
	v_and_b32_e32 v4, 0x7f800000, v8
	v_cmp_ne_u32_e64 s[4:5], s15, v4
                                        ; implicit-def: $vgpr9
	s_and_saveexec_b64 s[12:13], s[4:5]
	s_xor_b64 s[4:5], exec, s[12:13]
; %bb.1498:                             ;   in Loop: Header=BB403_1003 Depth=1
	v_bfe_u32 v4, v8, 16, 1
	v_add3_u32 v9, v8, v4, s21
                                        ; implicit-def: $vgpr8
; %bb.1499:                             ;   in Loop: Header=BB403_1003 Depth=1
	s_andn2_saveexec_b64 s[12:13], s[4:5]
; %bb.1500:                             ;   in Loop: Header=BB403_1003 Depth=1
	v_or_b32_e32 v4, 0x10000, v8
	v_cmp_eq_u32_sdwa s[4:5], v8, v33 src0_sel:WORD_0 src1_sel:DWORD
	v_cndmask_b32_e64 v9, v4, v8, s[4:5]
; %bb.1501:                             ;   in Loop: Header=BB403_1003 Depth=1
	s_or_b64 exec, exec, s[12:13]
	v_lshrrev_b16_e32 v8, 8, v6
	v_cmp_ne_u16_e64 s[4:5], 0, v8
	v_mov_b32_e32 v10, 0
	s_and_saveexec_b64 s[12:13], s[4:5]
	s_cbranch_execz .LBB403_1507
; %bb.1502:                             ;   in Loop: Header=BB403_1003 Depth=1
	v_cmp_ne_u16_e64 s[4:5], s28, v8
	v_bfrev_b32_e32 v10, 1
	s_and_saveexec_b64 s[24:25], s[4:5]
	s_cbranch_execz .LBB403_1506
; %bb.1503:                             ;   in Loop: Header=BB403_1003 Depth=1
	v_and_b32_e32 v11, 0x7f, v8
	v_cmp_ne_u32_e64 s[4:5], s29, v11
	v_mov_b32_e32 v10, 0x7f800001
	s_and_saveexec_b64 s[26:27], s[4:5]
	s_cbranch_execz .LBB403_1505
; %bb.1504:                             ;   in Loop: Header=BB403_1003 Depth=1
	v_and_b32_e32 v4, 7, v8
	v_ffbh_u32_e32 v10, v4
	v_min_u32_e32 v10, 32, v10
	v_subrev_u32_e32 v16, 28, v10
	v_lshlrev_b64 v[38:39], v16, v[8:9]
	v_lshrrev_b32_e32 v5, 3, v11
	v_sub_u32_e32 v8, 29, v10
	v_and_b32_e32 v10, 7, v38
	v_cmp_gt_u32_e64 s[4:5], 8, v11
	v_cndmask_b32_e64 v5, v5, v8, s[4:5]
	v_cndmask_b32_e64 v4, v4, v10, s[4:5]
	v_lshlrev_b32_e32 v8, 16, v6
	v_bfrev_b32_e32 v10, 60
	v_lshlrev_b32_e32 v4, 20, v4
	v_and_b32_e32 v8, 0x80000000, v8
	v_lshl_add_u32 v5, v5, 23, v10
	v_or3_b32 v10, v8, v5, v4
.LBB403_1505:                           ;   in Loop: Header=BB403_1003 Depth=1
	s_or_b64 exec, exec, s[26:27]
.LBB403_1506:                           ;   in Loop: Header=BB403_1003 Depth=1
	s_or_b64 exec, exec, s[24:25]
.LBB403_1507:                           ;   in Loop: Header=BB403_1003 Depth=1
	s_or_b64 exec, exec, s[12:13]
	v_mul_f32_e32 v8, v27, v10
	v_and_b32_e32 v4, 0x7f800000, v8
	v_cmp_ne_u32_e64 s[4:5], s15, v4
                                        ; implicit-def: $vgpr10
	s_and_saveexec_b64 s[12:13], s[4:5]
	s_xor_b64 s[4:5], exec, s[12:13]
; %bb.1508:                             ;   in Loop: Header=BB403_1003 Depth=1
	v_bfe_u32 v4, v8, 16, 1
	v_add3_u32 v10, v8, v4, s21
                                        ; implicit-def: $vgpr8
; %bb.1509:                             ;   in Loop: Header=BB403_1003 Depth=1
	s_andn2_saveexec_b64 s[12:13], s[4:5]
; %bb.1510:                             ;   in Loop: Header=BB403_1003 Depth=1
	v_or_b32_e32 v4, 0x10000, v8
	v_cmp_eq_u32_sdwa s[4:5], v8, v33 src0_sel:WORD_0 src1_sel:DWORD
	v_cndmask_b32_e64 v10, v4, v8, s[4:5]
; %bb.1511:                             ;   in Loop: Header=BB403_1003 Depth=1
	s_or_b64 exec, exec, s[12:13]
	v_lshrrev_b32_e32 v8, 16, v6
	v_cmp_ne_u16_sdwa s[4:5], v8, v33 src0_sel:BYTE_0 src1_sel:DWORD
	v_mov_b32_e32 v11, 0
	s_and_saveexec_b64 s[12:13], s[4:5]
	s_cbranch_execz .LBB403_1517
; %bb.1512:                             ;   in Loop: Header=BB403_1003 Depth=1
	v_cmp_ne_u16_sdwa s[4:5], v8, s28 src0_sel:BYTE_0 src1_sel:DWORD
	v_bfrev_b32_e32 v11, 1
	s_and_saveexec_b64 s[24:25], s[4:5]
	s_cbranch_execz .LBB403_1516
; %bb.1513:                             ;   in Loop: Header=BB403_1003 Depth=1
	v_bfe_u32 v16, v6, 16, 7
	v_cmp_ne_u32_e64 s[4:5], s29, v16
	v_mov_b32_e32 v11, 0x7f800001
	s_and_saveexec_b64 s[26:27], s[4:5]
	s_cbranch_execz .LBB403_1515
; %bb.1514:                             ;   in Loop: Header=BB403_1003 Depth=1
	v_and_b32_e32 v4, 7, v8
	v_ffbh_u32_e32 v11, v4
	v_min_u32_e32 v11, 32, v11
	v_subrev_u32_e32 v22, 28, v11
	v_lshlrev_b64 v[38:39], v22, v[8:9]
	v_lshrrev_b32_e32 v5, 3, v16
	v_sub_u32_e32 v11, 29, v11
	v_and_b32_e32 v22, 7, v38
	v_cmp_gt_u32_e64 s[4:5], 8, v16
	v_cndmask_b32_e64 v5, v5, v11, s[4:5]
	v_cndmask_b32_e64 v4, v4, v22, s[4:5]
	v_lshlrev_b32_e32 v8, 24, v8
	v_bfrev_b32_e32 v11, 60
	v_lshlrev_b32_e32 v4, 20, v4
	v_and_b32_e32 v8, 0x80000000, v8
	v_lshl_add_u32 v5, v5, 23, v11
	v_or3_b32 v11, v8, v5, v4
.LBB403_1515:                           ;   in Loop: Header=BB403_1003 Depth=1
	s_or_b64 exec, exec, s[26:27]
.LBB403_1516:                           ;   in Loop: Header=BB403_1003 Depth=1
	s_or_b64 exec, exec, s[24:25]
.LBB403_1517:                           ;   in Loop: Header=BB403_1003 Depth=1
	s_or_b64 exec, exec, s[12:13]
	v_mul_f32_e32 v8, v27, v11
	v_and_b32_e32 v4, 0x7f800000, v8
	v_cmp_ne_u32_e64 s[4:5], s15, v4
                                        ; implicit-def: $vgpr11
	s_and_saveexec_b64 s[12:13], s[4:5]
	s_xor_b64 s[4:5], exec, s[12:13]
; %bb.1518:                             ;   in Loop: Header=BB403_1003 Depth=1
	v_bfe_u32 v4, v8, 16, 1
	v_add3_u32 v11, v8, v4, s21
                                        ; implicit-def: $vgpr8
; %bb.1519:                             ;   in Loop: Header=BB403_1003 Depth=1
	s_andn2_saveexec_b64 s[12:13], s[4:5]
; %bb.1520:                             ;   in Loop: Header=BB403_1003 Depth=1
	v_or_b32_e32 v4, 0x10000, v8
	v_cmp_eq_u32_sdwa s[4:5], v8, v33 src0_sel:WORD_0 src1_sel:DWORD
	v_cndmask_b32_e64 v11, v4, v8, s[4:5]
; %bb.1521:                             ;   in Loop: Header=BB403_1003 Depth=1
	s_or_b64 exec, exec, s[12:13]
	v_cmp_lt_u32_e64 s[4:5], s9, v6
	v_mov_b32_e32 v16, 0
	s_and_saveexec_b64 s[12:13], s[4:5]
	s_cbranch_execz .LBB403_1527
; %bb.1522:                             ;   in Loop: Header=BB403_1003 Depth=1
	v_lshrrev_b32_e32 v8, 24, v6
	v_cmp_ne_u32_e64 s[4:5], s28, v8
	v_bfrev_b32_e32 v16, 1
	s_and_saveexec_b64 s[24:25], s[4:5]
	s_cbranch_execz .LBB403_1526
; %bb.1523:                             ;   in Loop: Header=BB403_1003 Depth=1
	v_bfe_u32 v22, v6, 24, 7
	v_cmp_ne_u32_e64 s[4:5], s29, v22
	v_mov_b32_e32 v16, 0x7f800001
	s_and_saveexec_b64 s[26:27], s[4:5]
	s_cbranch_execz .LBB403_1525
; %bb.1524:                             ;   in Loop: Header=BB403_1003 Depth=1
	v_and_b32_e32 v4, 7, v8
	v_ffbh_u32_e32 v16, v4
	v_min_u32_e32 v16, 32, v16
	v_subrev_u32_e32 v26, 28, v16
	v_lshlrev_b64 v[38:39], v26, v[8:9]
	v_lshrrev_b32_e32 v5, 3, v22
	v_sub_u32_e32 v16, 29, v16
	v_and_b32_e32 v26, 7, v38
	v_cmp_gt_u32_e64 s[4:5], 8, v22
	v_cndmask_b32_e64 v5, v5, v16, s[4:5]
	v_cndmask_b32_e64 v4, v4, v26, s[4:5]
	v_lshlrev_b32_e32 v8, 24, v8
	v_bfrev_b32_e32 v16, 60
	v_lshlrev_b32_e32 v4, 20, v4
	v_and_b32_e32 v8, 0x80000000, v8
	v_lshl_add_u32 v5, v5, 23, v16
	v_or3_b32 v16, v8, v5, v4
.LBB403_1525:                           ;   in Loop: Header=BB403_1003 Depth=1
	s_or_b64 exec, exec, s[26:27]
.LBB403_1526:                           ;   in Loop: Header=BB403_1003 Depth=1
	s_or_b64 exec, exec, s[24:25]
.LBB403_1527:                           ;   in Loop: Header=BB403_1003 Depth=1
	s_or_b64 exec, exec, s[12:13]
	v_mul_f32_e32 v8, v27, v16
	v_and_b32_e32 v4, 0x7f800000, v8
	v_cmp_ne_u32_e64 s[4:5], s15, v4
                                        ; implicit-def: $vgpr16
	s_and_saveexec_b64 s[12:13], s[4:5]
	s_xor_b64 s[4:5], exec, s[12:13]
; %bb.1528:                             ;   in Loop: Header=BB403_1003 Depth=1
	v_bfe_u32 v4, v8, 16, 1
	v_add3_u32 v16, v8, v4, s21
                                        ; implicit-def: $vgpr8
; %bb.1529:                             ;   in Loop: Header=BB403_1003 Depth=1
	s_andn2_saveexec_b64 s[12:13], s[4:5]
; %bb.1530:                             ;   in Loop: Header=BB403_1003 Depth=1
	v_or_b32_e32 v4, 0x10000, v8
	v_cmp_eq_u32_sdwa s[4:5], v8, v33 src0_sel:WORD_0 src1_sel:DWORD
	v_cndmask_b32_e64 v16, v4, v8, s[4:5]
; %bb.1531:                             ;   in Loop: Header=BB403_1003 Depth=1
	s_or_b64 exec, exec, s[12:13]
	v_mov_b32_e32 v32, v7
	v_cmp_ne_u16_sdwa s[4:5], v7, v33 src0_sel:BYTE_0 src1_sel:DWORD
	v_mov_b32_e32 v8, 0
	s_and_saveexec_b64 s[12:13], s[4:5]
	s_cbranch_execz .LBB403_1537
; %bb.1532:                             ;   in Loop: Header=BB403_1003 Depth=1
	v_cmp_ne_u16_sdwa s[4:5], v7, s28 src0_sel:BYTE_0 src1_sel:DWORD
	v_bfrev_b32_e32 v8, 1
	s_and_saveexec_b64 s[24:25], s[4:5]
	s_cbranch_execz .LBB403_1536
; %bb.1533:                             ;   in Loop: Header=BB403_1003 Depth=1
	v_and_b32_e32 v22, 0x7f, v7
	v_cmp_ne_u32_e64 s[4:5], s29, v22
	v_mov_b32_e32 v8, 0x7f800001
	s_and_saveexec_b64 s[26:27], s[4:5]
	s_cbranch_execz .LBB403_1535
; %bb.1534:                             ;   in Loop: Header=BB403_1003 Depth=1
	v_and_b32_e32 v4, 7, v7
	v_ffbh_u32_e32 v4, v4
	v_min_u32_e32 v4, 32, v4
	v_lshrrev_b32_e32 v5, 3, v22
	v_subrev_u32_e32 v8, 28, v4
	v_sub_u32_e32 v4, 29, v4
	v_cmp_gt_u32_e64 s[4:5], 8, v22
	v_cndmask_b32_e64 v4, v5, v4, s[4:5]
	v_cndmask_b32_e64 v5, 0, v8, s[4:5]
	v_lshlrev_b64 v[38:39], v5, v[32:33]
	v_lshlrev_b32_e32 v5, 20, v38
	v_lshlrev_b32_e32 v8, 24, v32
	v_bfrev_b32_e32 v22, 60
	v_and_b32_e32 v5, 0x700000, v5
	v_and_b32_e32 v8, 0x80000000, v8
	v_lshl_add_u32 v4, v4, 23, v22
	v_or3_b32 v8, v8, v4, v5
.LBB403_1535:                           ;   in Loop: Header=BB403_1003 Depth=1
	s_or_b64 exec, exec, s[26:27]
.LBB403_1536:                           ;   in Loop: Header=BB403_1003 Depth=1
	s_or_b64 exec, exec, s[24:25]
.LBB403_1537:                           ;   in Loop: Header=BB403_1003 Depth=1
	s_or_b64 exec, exec, s[12:13]
	v_mul_f32_e32 v8, v27, v8
	v_and_b32_e32 v4, 0x7f800000, v8
	v_cmp_ne_u32_e64 s[4:5], s15, v4
                                        ; implicit-def: $vgpr22
	s_and_saveexec_b64 s[12:13], s[4:5]
	s_xor_b64 s[4:5], exec, s[12:13]
; %bb.1538:                             ;   in Loop: Header=BB403_1003 Depth=1
	v_bfe_u32 v4, v8, 16, 1
	v_add3_u32 v22, v8, v4, s21
                                        ; implicit-def: $vgpr8
; %bb.1539:                             ;   in Loop: Header=BB403_1003 Depth=1
	s_andn2_saveexec_b64 s[12:13], s[4:5]
; %bb.1540:                             ;   in Loop: Header=BB403_1003 Depth=1
	v_or_b32_e32 v4, 0x10000, v8
	v_cmp_eq_u32_sdwa s[4:5], v8, v33 src0_sel:WORD_0 src1_sel:DWORD
	v_cndmask_b32_e64 v22, v4, v8, s[4:5]
; %bb.1541:                             ;   in Loop: Header=BB403_1003 Depth=1
	s_or_b64 exec, exec, s[12:13]
	v_lshrrev_b16_e32 v8, 8, v32
	v_cmp_ne_u16_e64 s[4:5], 0, v8
	v_mov_b32_e32 v26, 0
	s_and_saveexec_b64 s[12:13], s[4:5]
	s_cbranch_execz .LBB403_1547
; %bb.1542:                             ;   in Loop: Header=BB403_1003 Depth=1
	v_cmp_ne_u16_e64 s[4:5], s28, v8
	v_bfrev_b32_e32 v26, 1
	s_and_saveexec_b64 s[24:25], s[4:5]
	s_cbranch_execz .LBB403_1546
; %bb.1543:                             ;   in Loop: Header=BB403_1003 Depth=1
	v_and_b32_e32 v34, 0x7f, v8
	v_cmp_ne_u32_e64 s[4:5], s29, v34
	v_mov_b32_e32 v26, 0x7f800001
	s_and_saveexec_b64 s[26:27], s[4:5]
	s_cbranch_execz .LBB403_1545
; %bb.1544:                             ;   in Loop: Header=BB403_1003 Depth=1
	v_and_b32_e32 v4, 7, v8
	v_ffbh_u32_e32 v26, v4
	v_min_u32_e32 v26, 32, v26
	v_subrev_u32_e32 v36, 28, v26
	v_lshlrev_b64 v[38:39], v36, v[8:9]
	v_lshrrev_b32_e32 v5, 3, v34
	v_sub_u32_e32 v8, 29, v26
	v_and_b32_e32 v26, 7, v38
	v_cmp_gt_u32_e64 s[4:5], 8, v34
	v_cndmask_b32_e64 v5, v5, v8, s[4:5]
	v_cndmask_b32_e64 v4, v4, v26, s[4:5]
	v_lshlrev_b32_e32 v8, 16, v32
	v_bfrev_b32_e32 v26, 60
	v_lshlrev_b32_e32 v4, 20, v4
	v_and_b32_e32 v8, 0x80000000, v8
	v_lshl_add_u32 v5, v5, 23, v26
	v_or3_b32 v26, v8, v5, v4
.LBB403_1545:                           ;   in Loop: Header=BB403_1003 Depth=1
	s_or_b64 exec, exec, s[26:27]
.LBB403_1546:                           ;   in Loop: Header=BB403_1003 Depth=1
	s_or_b64 exec, exec, s[24:25]
.LBB403_1547:                           ;   in Loop: Header=BB403_1003 Depth=1
	s_or_b64 exec, exec, s[12:13]
	v_mul_f32_e32 v8, v27, v26
	v_and_b32_e32 v4, 0x7f800000, v8
	v_cmp_ne_u32_e64 s[4:5], s15, v4
                                        ; implicit-def: $vgpr26
	s_and_saveexec_b64 s[12:13], s[4:5]
	s_xor_b64 s[4:5], exec, s[12:13]
; %bb.1548:                             ;   in Loop: Header=BB403_1003 Depth=1
	v_bfe_u32 v4, v8, 16, 1
	v_add3_u32 v26, v8, v4, s21
                                        ; implicit-def: $vgpr8
; %bb.1549:                             ;   in Loop: Header=BB403_1003 Depth=1
	s_andn2_saveexec_b64 s[12:13], s[4:5]
; %bb.1550:                             ;   in Loop: Header=BB403_1003 Depth=1
	v_or_b32_e32 v4, 0x10000, v8
	v_cmp_eq_u32_sdwa s[4:5], v8, v33 src0_sel:WORD_0 src1_sel:DWORD
	v_cndmask_b32_e64 v26, v4, v8, s[4:5]
; %bb.1551:                             ;   in Loop: Header=BB403_1003 Depth=1
	s_or_b64 exec, exec, s[12:13]
	v_lshrrev_b32_e32 v8, 16, v7
	v_cmp_ne_u16_sdwa s[4:5], v8, v33 src0_sel:BYTE_0 src1_sel:DWORD
	v_mov_b32_e32 v32, 0
	s_and_saveexec_b64 s[12:13], s[4:5]
	s_cbranch_execz .LBB403_1557
; %bb.1552:                             ;   in Loop: Header=BB403_1003 Depth=1
	v_cmp_ne_u16_sdwa s[4:5], v8, s28 src0_sel:BYTE_0 src1_sel:DWORD
	v_bfrev_b32_e32 v32, 1
	s_and_saveexec_b64 s[24:25], s[4:5]
	s_cbranch_execz .LBB403_1556
; %bb.1553:                             ;   in Loop: Header=BB403_1003 Depth=1
	v_bfe_u32 v34, v7, 16, 7
	v_cmp_ne_u32_e64 s[4:5], s29, v34
	v_mov_b32_e32 v32, 0x7f800001
	s_and_saveexec_b64 s[26:27], s[4:5]
	s_cbranch_execz .LBB403_1555
; %bb.1554:                             ;   in Loop: Header=BB403_1003 Depth=1
	v_and_b32_e32 v4, 7, v8
	v_ffbh_u32_e32 v32, v4
	v_min_u32_e32 v32, 32, v32
	v_subrev_u32_e32 v36, 28, v32
	v_lshlrev_b64 v[38:39], v36, v[8:9]
	v_lshrrev_b32_e32 v5, 3, v34
	v_sub_u32_e32 v32, 29, v32
	v_and_b32_e32 v36, 7, v38
	v_cmp_gt_u32_e64 s[4:5], 8, v34
	v_cndmask_b32_e64 v5, v5, v32, s[4:5]
	v_cndmask_b32_e64 v4, v4, v36, s[4:5]
	v_lshlrev_b32_e32 v8, 24, v8
	v_bfrev_b32_e32 v32, 60
	v_lshlrev_b32_e32 v4, 20, v4
	v_and_b32_e32 v8, 0x80000000, v8
	v_lshl_add_u32 v5, v5, 23, v32
	v_or3_b32 v32, v8, v5, v4
.LBB403_1555:                           ;   in Loop: Header=BB403_1003 Depth=1
	s_or_b64 exec, exec, s[26:27]
.LBB403_1556:                           ;   in Loop: Header=BB403_1003 Depth=1
	s_or_b64 exec, exec, s[24:25]
.LBB403_1557:                           ;   in Loop: Header=BB403_1003 Depth=1
	s_or_b64 exec, exec, s[12:13]
	v_mul_f32_e32 v8, v27, v32
	v_and_b32_e32 v4, 0x7f800000, v8
	v_cmp_ne_u32_e64 s[4:5], s15, v4
                                        ; implicit-def: $vgpr32
	s_and_saveexec_b64 s[12:13], s[4:5]
	s_xor_b64 s[4:5], exec, s[12:13]
; %bb.1558:                             ;   in Loop: Header=BB403_1003 Depth=1
	v_bfe_u32 v4, v8, 16, 1
	v_add3_u32 v32, v8, v4, s21
                                        ; implicit-def: $vgpr8
; %bb.1559:                             ;   in Loop: Header=BB403_1003 Depth=1
	s_andn2_saveexec_b64 s[12:13], s[4:5]
; %bb.1560:                             ;   in Loop: Header=BB403_1003 Depth=1
	v_or_b32_e32 v4, 0x10000, v8
	v_cmp_eq_u32_sdwa s[4:5], v8, v33 src0_sel:WORD_0 src1_sel:DWORD
	v_cndmask_b32_e64 v32, v4, v8, s[4:5]
; %bb.1561:                             ;   in Loop: Header=BB403_1003 Depth=1
	s_or_b64 exec, exec, s[12:13]
	v_cmp_lt_u64_e64 s[4:5], s[8:9], v[6:7]
	v_mov_b32_e32 v8, 0
	s_and_saveexec_b64 s[12:13], s[4:5]
	s_cbranch_execz .LBB403_1567
; %bb.1562:                             ;   in Loop: Header=BB403_1003 Depth=1
	v_lshrrev_b32_e32 v6, 24, v7
	v_cmp_ne_u32_e64 s[4:5], s28, v6
	v_bfrev_b32_e32 v8, 1
	s_and_saveexec_b64 s[24:25], s[4:5]
	s_cbranch_execz .LBB403_1566
; %bb.1563:                             ;   in Loop: Header=BB403_1003 Depth=1
	v_bfe_u32 v7, v7, 24, 7
	v_cmp_ne_u32_e64 s[4:5], s29, v7
	v_mov_b32_e32 v8, 0x7f800001
	s_and_saveexec_b64 s[26:27], s[4:5]
	s_cbranch_execz .LBB403_1565
; %bb.1564:                             ;   in Loop: Header=BB403_1003 Depth=1
	v_and_b32_e32 v4, 7, v6
	v_ffbh_u32_e32 v8, v4
	v_min_u32_e32 v8, 32, v8
	v_subrev_u32_e32 v34, 28, v8
	v_lshlrev_b64 v[38:39], v34, v[6:7]
	v_lshrrev_b32_e32 v5, 3, v7
	v_sub_u32_e32 v8, 29, v8
	v_and_b32_e32 v34, 7, v38
	v_cmp_gt_u32_e64 s[4:5], 8, v7
	v_cndmask_b32_e64 v5, v5, v8, s[4:5]
	v_cndmask_b32_e64 v4, v4, v34, s[4:5]
	v_lshlrev_b32_e32 v6, 24, v6
	v_bfrev_b32_e32 v7, 60
	v_lshlrev_b32_e32 v4, 20, v4
	v_and_b32_e32 v6, 0x80000000, v6
	v_lshl_add_u32 v5, v5, 23, v7
	v_or3_b32 v8, v6, v5, v4
.LBB403_1565:                           ;   in Loop: Header=BB403_1003 Depth=1
	s_or_b64 exec, exec, s[26:27]
.LBB403_1566:                           ;   in Loop: Header=BB403_1003 Depth=1
	s_or_b64 exec, exec, s[24:25]
.LBB403_1567:                           ;   in Loop: Header=BB403_1003 Depth=1
	s_or_b64 exec, exec, s[12:13]
	v_mul_f32_e32 v7, v27, v8
	v_and_b32_e32 v4, 0x7f800000, v7
	v_cmp_ne_u32_e64 s[4:5], s15, v4
                                        ; implicit-def: $vgpr6
	s_and_saveexec_b64 s[12:13], s[4:5]
	s_xor_b64 s[4:5], exec, s[12:13]
; %bb.1568:                             ;   in Loop: Header=BB403_1003 Depth=1
	v_bfe_u32 v4, v7, 16, 1
	v_add3_u32 v6, v7, v4, s21
                                        ; implicit-def: $vgpr7
; %bb.1569:                             ;   in Loop: Header=BB403_1003 Depth=1
	s_andn2_saveexec_b64 s[12:13], s[4:5]
; %bb.1570:                             ;   in Loop: Header=BB403_1003 Depth=1
	v_or_b32_e32 v4, 0x10000, v7
	v_cmp_eq_u32_sdwa s[4:5], v7, v33 src0_sel:WORD_0 src1_sel:DWORD
	v_cndmask_b32_e64 v6, v4, v7, s[4:5]
; %bb.1571:                             ;   in Loop: Header=BB403_1003 Depth=1
	s_or_b64 exec, exec, s[12:13]
	v_lshrrev_b32_e32 v8, 16, v26
	v_lshrrev_b32_e32 v22, 16, v22
	v_lshrrev_b32_e32 v16, 16, v16
	v_lshrrev_b32_e32 v11, 16, v11
	v_lshrrev_b32_e32 v10, 16, v10
	v_lshrrev_b32_e32 v9, 16, v9
	v_lshrrev_b32_e32 v7, 16, v32
	v_lshrrev_b32_e32 v6, 16, v6
	s_and_saveexec_b64 s[12:13], vcc
	s_cbranch_execz .LBB403_1573
; %bb.1572:                             ;   in Loop: Header=BB403_1003 Depth=1
	v_accvgpr_read_b32 v4, a26
	v_cmp_lt_i32_e64 s[4:5], v4, v37
	v_accvgpr_read_b32 v4, a32
	v_cndmask_b32_e64 v9, 0, v9, s[4:5]
	v_cmp_lt_i32_e64 s[4:5], v4, v37
	v_accvgpr_read_b32 v4, a31
	v_cndmask_b32_e64 v10, 0, v10, s[4:5]
	;; [unrolled: 3-line block ×6, first 2 shown]
	v_cmp_lt_i32_e64 s[4:5], v4, v37
	v_cndmask_b32_e64 v7, 0, v7, s[4:5]
	v_cmp_lt_i32_e64 s[4:5], v17, v37
	v_cndmask_b32_e64 v6, 0, v6, s[4:5]
.LBB403_1573:                           ;   in Loop: Header=BB403_1003 Depth=1
	s_or_b64 exec, exec, s[12:13]
	v_lshlrev_b32_e32 v4, 16, v9
	v_mul_f32_e32 v9, v48, v4
	v_and_b32_e32 v4, 0x7f800000, v9
	v_cmp_ne_u32_e64 s[4:5], s15, v4
                                        ; implicit-def: $agpr57
	s_and_saveexec_b64 s[12:13], s[4:5]
	s_xor_b64 s[4:5], exec, s[12:13]
; %bb.1574:                             ;   in Loop: Header=BB403_1003 Depth=1
	v_bfe_u32 v4, v9, 16, 1
	v_add3_u32 v4, v9, v4, s21
	v_accvgpr_write_b32 a57, v4
                                        ; implicit-def: $vgpr9
; %bb.1575:                             ;   in Loop: Header=BB403_1003 Depth=1
	s_andn2_saveexec_b64 s[12:13], s[4:5]
; %bb.1576:                             ;   in Loop: Header=BB403_1003 Depth=1
	v_or_b32_e32 v4, 0x10000, v9
	v_cmp_eq_u32_sdwa s[4:5], v9, v33 src0_sel:WORD_0 src1_sel:DWORD
	v_cndmask_b32_e64 v4, v4, v9, s[4:5]
	v_accvgpr_write_b32 a57, v4
; %bb.1577:                             ;   in Loop: Header=BB403_1003 Depth=1
	s_or_b64 exec, exec, s[12:13]
	v_lshlrev_b32_e32 v4, 16, v10
	v_mul_f32_e32 v9, v51, v4
	v_and_b32_e32 v4, 0x7f800000, v9
	v_cmp_ne_u32_e64 s[4:5], s15, v4
                                        ; implicit-def: $agpr58
	s_and_saveexec_b64 s[12:13], s[4:5]
	s_xor_b64 s[4:5], exec, s[12:13]
; %bb.1578:                             ;   in Loop: Header=BB403_1003 Depth=1
	v_bfe_u32 v4, v9, 16, 1
	v_add3_u32 v4, v9, v4, s21
	v_accvgpr_write_b32 a58, v4
                                        ; implicit-def: $vgpr9
; %bb.1579:                             ;   in Loop: Header=BB403_1003 Depth=1
	s_andn2_saveexec_b64 s[12:13], s[4:5]
; %bb.1580:                             ;   in Loop: Header=BB403_1003 Depth=1
	v_or_b32_e32 v4, 0x10000, v9
	v_cmp_eq_u32_sdwa s[4:5], v9, v33 src0_sel:WORD_0 src1_sel:DWORD
	v_cndmask_b32_e64 v4, v4, v9, s[4:5]
	v_accvgpr_write_b32 a58, v4
; %bb.1581:                             ;   in Loop: Header=BB403_1003 Depth=1
	s_or_b64 exec, exec, s[12:13]
	v_lshlrev_b32_e32 v4, 16, v11
	v_mul_f32_e32 v9, v49, v4
	v_and_b32_e32 v4, 0x7f800000, v9
	v_cmp_ne_u32_e64 s[4:5], s15, v4
                                        ; implicit-def: $agpr59
	s_and_saveexec_b64 s[12:13], s[4:5]
	s_xor_b64 s[4:5], exec, s[12:13]
; %bb.1582:                             ;   in Loop: Header=BB403_1003 Depth=1
	v_bfe_u32 v4, v9, 16, 1
	v_add3_u32 v4, v9, v4, s21
	v_accvgpr_write_b32 a59, v4
                                        ; implicit-def: $vgpr9
; %bb.1583:                             ;   in Loop: Header=BB403_1003 Depth=1
	s_andn2_saveexec_b64 s[12:13], s[4:5]
; %bb.1584:                             ;   in Loop: Header=BB403_1003 Depth=1
	v_or_b32_e32 v4, 0x10000, v9
	v_cmp_eq_u32_sdwa s[4:5], v9, v33 src0_sel:WORD_0 src1_sel:DWORD
	v_cndmask_b32_e64 v4, v4, v9, s[4:5]
	v_accvgpr_write_b32 a59, v4
; %bb.1585:                             ;   in Loop: Header=BB403_1003 Depth=1
	s_or_b64 exec, exec, s[12:13]
	v_lshlrev_b32_e32 v4, 16, v16
	v_mul_f32_e32 v9, v23, v4
	v_and_b32_e32 v4, 0x7f800000, v9
	v_cmp_ne_u32_e64 s[4:5], s15, v4
                                        ; implicit-def: $agpr60
	s_and_saveexec_b64 s[12:13], s[4:5]
	s_xor_b64 s[4:5], exec, s[12:13]
; %bb.1586:                             ;   in Loop: Header=BB403_1003 Depth=1
	v_bfe_u32 v4, v9, 16, 1
	v_add3_u32 v4, v9, v4, s21
	v_accvgpr_write_b32 a60, v4
                                        ; implicit-def: $vgpr9
; %bb.1587:                             ;   in Loop: Header=BB403_1003 Depth=1
	s_andn2_saveexec_b64 s[12:13], s[4:5]
; %bb.1588:                             ;   in Loop: Header=BB403_1003 Depth=1
	v_or_b32_e32 v4, 0x10000, v9
	v_cmp_eq_u32_sdwa s[4:5], v9, v33 src0_sel:WORD_0 src1_sel:DWORD
	v_cndmask_b32_e64 v4, v4, v9, s[4:5]
	v_accvgpr_write_b32 a60, v4
; %bb.1589:                             ;   in Loop: Header=BB403_1003 Depth=1
	s_or_b64 exec, exec, s[12:13]
	v_lshlrev_b32_e32 v4, 16, v22
	v_mul_f32_e32 v9, v54, v4
	v_and_b32_e32 v4, 0x7f800000, v9
	v_cmp_ne_u32_e64 s[4:5], s15, v4
                                        ; implicit-def: $agpr61
	s_and_saveexec_b64 s[12:13], s[4:5]
	s_xor_b64 s[4:5], exec, s[12:13]
; %bb.1590:                             ;   in Loop: Header=BB403_1003 Depth=1
	v_bfe_u32 v4, v9, 16, 1
	v_add3_u32 v4, v9, v4, s21
	v_accvgpr_write_b32 a61, v4
                                        ; implicit-def: $vgpr9
; %bb.1591:                             ;   in Loop: Header=BB403_1003 Depth=1
	s_andn2_saveexec_b64 s[12:13], s[4:5]
; %bb.1592:                             ;   in Loop: Header=BB403_1003 Depth=1
	v_or_b32_e32 v4, 0x10000, v9
	v_cmp_eq_u32_sdwa s[4:5], v9, v33 src0_sel:WORD_0 src1_sel:DWORD
	v_cndmask_b32_e64 v4, v4, v9, s[4:5]
	v_accvgpr_write_b32 a61, v4
; %bb.1593:                             ;   in Loop: Header=BB403_1003 Depth=1
	s_or_b64 exec, exec, s[12:13]
	v_lshlrev_b32_e32 v4, 16, v8
	v_mul_f32_e32 v8, v61, v4
	v_and_b32_e32 v4, 0x7f800000, v8
	v_cmp_ne_u32_e64 s[4:5], s15, v4
                                        ; implicit-def: $agpr62
	s_and_saveexec_b64 s[12:13], s[4:5]
	s_xor_b64 s[4:5], exec, s[12:13]
; %bb.1594:                             ;   in Loop: Header=BB403_1003 Depth=1
	v_bfe_u32 v4, v8, 16, 1
	v_add3_u32 v4, v8, v4, s21
	v_accvgpr_write_b32 a62, v4
                                        ; implicit-def: $vgpr8
; %bb.1595:                             ;   in Loop: Header=BB403_1003 Depth=1
	s_andn2_saveexec_b64 s[12:13], s[4:5]
; %bb.1596:                             ;   in Loop: Header=BB403_1003 Depth=1
	v_or_b32_e32 v4, 0x10000, v8
	v_cmp_eq_u32_sdwa s[4:5], v8, v33 src0_sel:WORD_0 src1_sel:DWORD
	v_cndmask_b32_e64 v4, v4, v8, s[4:5]
	v_accvgpr_write_b32 a62, v4
; %bb.1597:                             ;   in Loop: Header=BB403_1003 Depth=1
	s_or_b64 exec, exec, s[12:13]
	v_lshlrev_b32_e32 v4, 16, v7
	v_mul_f32_e32 v7, v35, v4
	v_and_b32_e32 v4, 0x7f800000, v7
	v_cmp_ne_u32_e64 s[4:5], s15, v4
                                        ; implicit-def: $agpr63
	s_and_saveexec_b64 s[12:13], s[4:5]
	s_xor_b64 s[4:5], exec, s[12:13]
; %bb.1598:                             ;   in Loop: Header=BB403_1003 Depth=1
	v_bfe_u32 v4, v7, 16, 1
	v_add3_u32 v4, v7, v4, s21
	v_accvgpr_write_b32 a63, v4
                                        ; implicit-def: $vgpr7
; %bb.1599:                             ;   in Loop: Header=BB403_1003 Depth=1
	s_andn2_saveexec_b64 s[12:13], s[4:5]
; %bb.1600:                             ;   in Loop: Header=BB403_1003 Depth=1
	v_or_b32_e32 v4, 0x10000, v7
	v_cmp_eq_u32_sdwa s[4:5], v7, v33 src0_sel:WORD_0 src1_sel:DWORD
	v_cndmask_b32_e64 v4, v4, v7, s[4:5]
	v_accvgpr_write_b32 a63, v4
; %bb.1601:                             ;   in Loop: Header=BB403_1003 Depth=1
	s_or_b64 exec, exec, s[12:13]
	v_lshlrev_b32_e32 v4, 16, v6
	v_mul_f32_e32 v6, v50, v4
	v_and_b32_e32 v4, 0x7f800000, v6
	v_cmp_ne_u32_e64 s[4:5], s15, v4
                                        ; implicit-def: $agpr8
	s_and_saveexec_b64 s[12:13], s[4:5]
	s_xor_b64 s[4:5], exec, s[12:13]
; %bb.1602:                             ;   in Loop: Header=BB403_1003 Depth=1
	v_bfe_u32 v4, v6, 16, 1
	v_add3_u32 v4, v6, v4, s21
	v_accvgpr_write_b32 a8, v4
                                        ; implicit-def: $vgpr6
; %bb.1603:                             ;   in Loop: Header=BB403_1003 Depth=1
	s_andn2_saveexec_b64 s[12:13], s[4:5]
; %bb.1604:                             ;   in Loop: Header=BB403_1003 Depth=1
	v_or_b32_e32 v4, 0x10000, v6
	v_cmp_eq_u32_sdwa s[4:5], v6, v33 src0_sel:WORD_0 src1_sel:DWORD
	v_cndmask_b32_e64 v4, v4, v6, s[4:5]
	v_accvgpr_write_b32 a8, v4
; %bb.1605:                             ;   in Loop: Header=BB403_1003 Depth=1
	s_or_b64 exec, exec, s[12:13]
	flat_load_dwordx2 v[6:7], v[2:3] offset:2560
	v_mov_b32_e32 v8, 0
	s_waitcnt vmcnt(0) lgkmcnt(0)
	v_cmp_ne_u16_sdwa s[4:5], v6, v33 src0_sel:BYTE_0 src1_sel:DWORD
	s_and_saveexec_b64 s[12:13], s[4:5]
	s_cbranch_execz .LBB403_1611
; %bb.1606:                             ;   in Loop: Header=BB403_1003 Depth=1
	v_cmp_ne_u16_sdwa s[4:5], v6, s28 src0_sel:BYTE_0 src1_sel:DWORD
	v_bfrev_b32_e32 v8, 1
	s_and_saveexec_b64 s[24:25], s[4:5]
	s_cbranch_execz .LBB403_1610
; %bb.1607:                             ;   in Loop: Header=BB403_1003 Depth=1
	v_and_b32_e32 v9, 0x7f, v6
	v_cmp_ne_u32_e64 s[4:5], s29, v9
	v_mov_b32_e32 v8, 0x7f800001
	s_and_saveexec_b64 s[26:27], s[4:5]
	s_cbranch_execz .LBB403_1609
; %bb.1608:                             ;   in Loop: Header=BB403_1003 Depth=1
	v_and_b32_e32 v4, 7, v6
	v_ffbh_u32_e32 v4, v4
	v_min_u32_e32 v4, 32, v4
	v_lshrrev_b32_e32 v5, 3, v9
	v_subrev_u32_e32 v8, 28, v4
	v_sub_u32_e32 v4, 29, v4
	v_cmp_gt_u32_e64 s[4:5], 8, v9
	v_cndmask_b32_e64 v4, v5, v4, s[4:5]
	v_cndmask_b32_e64 v5, 0, v8, s[4:5]
	v_lshlrev_b64 v[8:9], v5, v[6:7]
	v_lshlrev_b32_e32 v5, 20, v8
	v_lshlrev_b32_e32 v8, 24, v6
	v_bfrev_b32_e32 v9, 60
	v_and_b32_e32 v5, 0x700000, v5
	v_and_b32_e32 v8, 0x80000000, v8
	v_lshl_add_u32 v4, v4, 23, v9
	v_or3_b32 v8, v8, v4, v5
.LBB403_1609:                           ;   in Loop: Header=BB403_1003 Depth=1
	s_or_b64 exec, exec, s[26:27]
.LBB403_1610:                           ;   in Loop: Header=BB403_1003 Depth=1
	s_or_b64 exec, exec, s[24:25]
.LBB403_1611:                           ;   in Loop: Header=BB403_1003 Depth=1
	s_or_b64 exec, exec, s[12:13]
	v_mul_f32_e32 v8, v27, v8
	v_and_b32_e32 v4, 0x7f800000, v8
	v_cmp_ne_u32_e64 s[4:5], s15, v4
                                        ; implicit-def: $vgpr9
	s_and_saveexec_b64 s[12:13], s[4:5]
	s_xor_b64 s[4:5], exec, s[12:13]
; %bb.1612:                             ;   in Loop: Header=BB403_1003 Depth=1
	v_bfe_u32 v4, v8, 16, 1
	v_add3_u32 v9, v8, v4, s21
                                        ; implicit-def: $vgpr8
; %bb.1613:                             ;   in Loop: Header=BB403_1003 Depth=1
	s_andn2_saveexec_b64 s[12:13], s[4:5]
; %bb.1614:                             ;   in Loop: Header=BB403_1003 Depth=1
	v_or_b32_e32 v4, 0x10000, v8
	v_cmp_eq_u32_sdwa s[4:5], v8, v33 src0_sel:WORD_0 src1_sel:DWORD
	v_cndmask_b32_e64 v9, v4, v8, s[4:5]
; %bb.1615:                             ;   in Loop: Header=BB403_1003 Depth=1
	s_or_b64 exec, exec, s[12:13]
	v_lshrrev_b16_e32 v8, 8, v6
	v_cmp_ne_u16_e64 s[4:5], 0, v8
	v_mov_b32_e32 v10, 0
	s_and_saveexec_b64 s[12:13], s[4:5]
	s_cbranch_execz .LBB403_1621
; %bb.1616:                             ;   in Loop: Header=BB403_1003 Depth=1
	v_cmp_ne_u16_e64 s[4:5], s28, v8
	v_bfrev_b32_e32 v10, 1
	s_and_saveexec_b64 s[24:25], s[4:5]
	s_cbranch_execz .LBB403_1620
; %bb.1617:                             ;   in Loop: Header=BB403_1003 Depth=1
	v_and_b32_e32 v11, 0x7f, v8
	v_cmp_ne_u32_e64 s[4:5], s29, v11
	v_mov_b32_e32 v10, 0x7f800001
	s_and_saveexec_b64 s[26:27], s[4:5]
	s_cbranch_execz .LBB403_1619
; %bb.1618:                             ;   in Loop: Header=BB403_1003 Depth=1
	v_and_b32_e32 v4, 7, v8
	v_ffbh_u32_e32 v10, v4
	v_min_u32_e32 v10, 32, v10
	v_subrev_u32_e32 v16, 28, v10
	v_lshlrev_b64 v[38:39], v16, v[8:9]
	v_lshrrev_b32_e32 v5, 3, v11
	v_sub_u32_e32 v8, 29, v10
	v_and_b32_e32 v10, 7, v38
	v_cmp_gt_u32_e64 s[4:5], 8, v11
	v_cndmask_b32_e64 v5, v5, v8, s[4:5]
	v_cndmask_b32_e64 v4, v4, v10, s[4:5]
	v_lshlrev_b32_e32 v8, 16, v6
	v_bfrev_b32_e32 v10, 60
	v_lshlrev_b32_e32 v4, 20, v4
	v_and_b32_e32 v8, 0x80000000, v8
	v_lshl_add_u32 v5, v5, 23, v10
	v_or3_b32 v10, v8, v5, v4
.LBB403_1619:                           ;   in Loop: Header=BB403_1003 Depth=1
	s_or_b64 exec, exec, s[26:27]
.LBB403_1620:                           ;   in Loop: Header=BB403_1003 Depth=1
	s_or_b64 exec, exec, s[24:25]
.LBB403_1621:                           ;   in Loop: Header=BB403_1003 Depth=1
	s_or_b64 exec, exec, s[12:13]
	v_mul_f32_e32 v8, v27, v10
	v_and_b32_e32 v4, 0x7f800000, v8
	v_cmp_ne_u32_e64 s[4:5], s15, v4
                                        ; implicit-def: $vgpr10
	s_and_saveexec_b64 s[12:13], s[4:5]
	s_xor_b64 s[4:5], exec, s[12:13]
; %bb.1622:                             ;   in Loop: Header=BB403_1003 Depth=1
	v_bfe_u32 v4, v8, 16, 1
	v_add3_u32 v10, v8, v4, s21
                                        ; implicit-def: $vgpr8
; %bb.1623:                             ;   in Loop: Header=BB403_1003 Depth=1
	s_andn2_saveexec_b64 s[12:13], s[4:5]
; %bb.1624:                             ;   in Loop: Header=BB403_1003 Depth=1
	v_or_b32_e32 v4, 0x10000, v8
	v_cmp_eq_u32_sdwa s[4:5], v8, v33 src0_sel:WORD_0 src1_sel:DWORD
	v_cndmask_b32_e64 v10, v4, v8, s[4:5]
; %bb.1625:                             ;   in Loop: Header=BB403_1003 Depth=1
	s_or_b64 exec, exec, s[12:13]
	v_lshrrev_b32_e32 v8, 16, v6
	v_cmp_ne_u16_sdwa s[4:5], v8, v33 src0_sel:BYTE_0 src1_sel:DWORD
	v_mov_b32_e32 v11, 0
	s_and_saveexec_b64 s[12:13], s[4:5]
	s_cbranch_execz .LBB403_1631
; %bb.1626:                             ;   in Loop: Header=BB403_1003 Depth=1
	v_cmp_ne_u16_sdwa s[4:5], v8, s28 src0_sel:BYTE_0 src1_sel:DWORD
	v_bfrev_b32_e32 v11, 1
	s_and_saveexec_b64 s[24:25], s[4:5]
	s_cbranch_execz .LBB403_1630
; %bb.1627:                             ;   in Loop: Header=BB403_1003 Depth=1
	v_bfe_u32 v16, v6, 16, 7
	v_cmp_ne_u32_e64 s[4:5], s29, v16
	v_mov_b32_e32 v11, 0x7f800001
	s_and_saveexec_b64 s[26:27], s[4:5]
	s_cbranch_execz .LBB403_1629
; %bb.1628:                             ;   in Loop: Header=BB403_1003 Depth=1
	v_and_b32_e32 v4, 7, v8
	v_ffbh_u32_e32 v11, v4
	v_min_u32_e32 v11, 32, v11
	v_subrev_u32_e32 v22, 28, v11
	v_lshlrev_b64 v[38:39], v22, v[8:9]
	v_lshrrev_b32_e32 v5, 3, v16
	v_sub_u32_e32 v11, 29, v11
	v_and_b32_e32 v22, 7, v38
	v_cmp_gt_u32_e64 s[4:5], 8, v16
	v_cndmask_b32_e64 v5, v5, v11, s[4:5]
	v_cndmask_b32_e64 v4, v4, v22, s[4:5]
	v_lshlrev_b32_e32 v8, 24, v8
	v_bfrev_b32_e32 v11, 60
	v_lshlrev_b32_e32 v4, 20, v4
	v_and_b32_e32 v8, 0x80000000, v8
	v_lshl_add_u32 v5, v5, 23, v11
	v_or3_b32 v11, v8, v5, v4
.LBB403_1629:                           ;   in Loop: Header=BB403_1003 Depth=1
	s_or_b64 exec, exec, s[26:27]
.LBB403_1630:                           ;   in Loop: Header=BB403_1003 Depth=1
	s_or_b64 exec, exec, s[24:25]
.LBB403_1631:                           ;   in Loop: Header=BB403_1003 Depth=1
	s_or_b64 exec, exec, s[12:13]
	v_mul_f32_e32 v8, v27, v11
	v_and_b32_e32 v4, 0x7f800000, v8
	v_cmp_ne_u32_e64 s[4:5], s15, v4
                                        ; implicit-def: $vgpr11
	s_and_saveexec_b64 s[12:13], s[4:5]
	s_xor_b64 s[4:5], exec, s[12:13]
; %bb.1632:                             ;   in Loop: Header=BB403_1003 Depth=1
	v_bfe_u32 v4, v8, 16, 1
	v_add3_u32 v11, v8, v4, s21
                                        ; implicit-def: $vgpr8
; %bb.1633:                             ;   in Loop: Header=BB403_1003 Depth=1
	s_andn2_saveexec_b64 s[12:13], s[4:5]
; %bb.1634:                             ;   in Loop: Header=BB403_1003 Depth=1
	v_or_b32_e32 v4, 0x10000, v8
	v_cmp_eq_u32_sdwa s[4:5], v8, v33 src0_sel:WORD_0 src1_sel:DWORD
	v_cndmask_b32_e64 v11, v4, v8, s[4:5]
; %bb.1635:                             ;   in Loop: Header=BB403_1003 Depth=1
	s_or_b64 exec, exec, s[12:13]
	v_cmp_lt_u32_e64 s[4:5], s9, v6
	v_mov_b32_e32 v16, 0
	s_and_saveexec_b64 s[12:13], s[4:5]
	s_cbranch_execz .LBB403_1641
; %bb.1636:                             ;   in Loop: Header=BB403_1003 Depth=1
	v_lshrrev_b32_e32 v8, 24, v6
	v_cmp_ne_u32_e64 s[4:5], s28, v8
	v_bfrev_b32_e32 v16, 1
	s_and_saveexec_b64 s[24:25], s[4:5]
	s_cbranch_execz .LBB403_1640
; %bb.1637:                             ;   in Loop: Header=BB403_1003 Depth=1
	v_bfe_u32 v22, v6, 24, 7
	v_cmp_ne_u32_e64 s[4:5], s29, v22
	v_mov_b32_e32 v16, 0x7f800001
	s_and_saveexec_b64 s[26:27], s[4:5]
	s_cbranch_execz .LBB403_1639
; %bb.1638:                             ;   in Loop: Header=BB403_1003 Depth=1
	v_and_b32_e32 v4, 7, v8
	v_ffbh_u32_e32 v16, v4
	v_min_u32_e32 v16, 32, v16
	v_subrev_u32_e32 v26, 28, v16
	v_lshlrev_b64 v[38:39], v26, v[8:9]
	v_lshrrev_b32_e32 v5, 3, v22
	v_sub_u32_e32 v16, 29, v16
	v_and_b32_e32 v26, 7, v38
	v_cmp_gt_u32_e64 s[4:5], 8, v22
	v_cndmask_b32_e64 v5, v5, v16, s[4:5]
	v_cndmask_b32_e64 v4, v4, v26, s[4:5]
	v_lshlrev_b32_e32 v8, 24, v8
	v_bfrev_b32_e32 v16, 60
	v_lshlrev_b32_e32 v4, 20, v4
	v_and_b32_e32 v8, 0x80000000, v8
	v_lshl_add_u32 v5, v5, 23, v16
	v_or3_b32 v16, v8, v5, v4
.LBB403_1639:                           ;   in Loop: Header=BB403_1003 Depth=1
	s_or_b64 exec, exec, s[26:27]
.LBB403_1640:                           ;   in Loop: Header=BB403_1003 Depth=1
	s_or_b64 exec, exec, s[24:25]
.LBB403_1641:                           ;   in Loop: Header=BB403_1003 Depth=1
	s_or_b64 exec, exec, s[12:13]
	v_mul_f32_e32 v8, v27, v16
	v_and_b32_e32 v4, 0x7f800000, v8
	v_cmp_ne_u32_e64 s[4:5], s15, v4
                                        ; implicit-def: $vgpr16
	s_and_saveexec_b64 s[12:13], s[4:5]
	s_xor_b64 s[4:5], exec, s[12:13]
; %bb.1642:                             ;   in Loop: Header=BB403_1003 Depth=1
	v_bfe_u32 v4, v8, 16, 1
	v_add3_u32 v16, v8, v4, s21
                                        ; implicit-def: $vgpr8
; %bb.1643:                             ;   in Loop: Header=BB403_1003 Depth=1
	s_andn2_saveexec_b64 s[12:13], s[4:5]
; %bb.1644:                             ;   in Loop: Header=BB403_1003 Depth=1
	v_or_b32_e32 v4, 0x10000, v8
	v_cmp_eq_u32_sdwa s[4:5], v8, v33 src0_sel:WORD_0 src1_sel:DWORD
	v_cndmask_b32_e64 v16, v4, v8, s[4:5]
; %bb.1645:                             ;   in Loop: Header=BB403_1003 Depth=1
	s_or_b64 exec, exec, s[12:13]
	v_mov_b32_e32 v32, v7
	v_cmp_ne_u16_sdwa s[4:5], v7, v33 src0_sel:BYTE_0 src1_sel:DWORD
	v_mov_b32_e32 v8, 0
	s_and_saveexec_b64 s[12:13], s[4:5]
	s_cbranch_execz .LBB403_1651
; %bb.1646:                             ;   in Loop: Header=BB403_1003 Depth=1
	v_cmp_ne_u16_sdwa s[4:5], v7, s28 src0_sel:BYTE_0 src1_sel:DWORD
	v_bfrev_b32_e32 v8, 1
	s_and_saveexec_b64 s[24:25], s[4:5]
	s_cbranch_execz .LBB403_1650
; %bb.1647:                             ;   in Loop: Header=BB403_1003 Depth=1
	v_and_b32_e32 v22, 0x7f, v7
	v_cmp_ne_u32_e64 s[4:5], s29, v22
	v_mov_b32_e32 v8, 0x7f800001
	s_and_saveexec_b64 s[26:27], s[4:5]
	s_cbranch_execz .LBB403_1649
; %bb.1648:                             ;   in Loop: Header=BB403_1003 Depth=1
	v_and_b32_e32 v4, 7, v7
	v_ffbh_u32_e32 v4, v4
	v_min_u32_e32 v4, 32, v4
	v_lshrrev_b32_e32 v5, 3, v22
	v_subrev_u32_e32 v8, 28, v4
	v_sub_u32_e32 v4, 29, v4
	v_cmp_gt_u32_e64 s[4:5], 8, v22
	v_cndmask_b32_e64 v4, v5, v4, s[4:5]
	v_cndmask_b32_e64 v5, 0, v8, s[4:5]
	v_lshlrev_b64 v[38:39], v5, v[32:33]
	v_lshlrev_b32_e32 v5, 20, v38
	v_lshlrev_b32_e32 v8, 24, v32
	v_bfrev_b32_e32 v22, 60
	v_and_b32_e32 v5, 0x700000, v5
	v_and_b32_e32 v8, 0x80000000, v8
	v_lshl_add_u32 v4, v4, 23, v22
	v_or3_b32 v8, v8, v4, v5
.LBB403_1649:                           ;   in Loop: Header=BB403_1003 Depth=1
	s_or_b64 exec, exec, s[26:27]
.LBB403_1650:                           ;   in Loop: Header=BB403_1003 Depth=1
	s_or_b64 exec, exec, s[24:25]
.LBB403_1651:                           ;   in Loop: Header=BB403_1003 Depth=1
	s_or_b64 exec, exec, s[12:13]
	v_mul_f32_e32 v8, v27, v8
	v_and_b32_e32 v4, 0x7f800000, v8
	v_cmp_ne_u32_e64 s[4:5], s15, v4
                                        ; implicit-def: $vgpr22
	s_and_saveexec_b64 s[12:13], s[4:5]
	s_xor_b64 s[4:5], exec, s[12:13]
; %bb.1652:                             ;   in Loop: Header=BB403_1003 Depth=1
	v_bfe_u32 v4, v8, 16, 1
	v_add3_u32 v22, v8, v4, s21
                                        ; implicit-def: $vgpr8
; %bb.1653:                             ;   in Loop: Header=BB403_1003 Depth=1
	s_andn2_saveexec_b64 s[12:13], s[4:5]
; %bb.1654:                             ;   in Loop: Header=BB403_1003 Depth=1
	v_or_b32_e32 v4, 0x10000, v8
	v_cmp_eq_u32_sdwa s[4:5], v8, v33 src0_sel:WORD_0 src1_sel:DWORD
	v_cndmask_b32_e64 v22, v4, v8, s[4:5]
; %bb.1655:                             ;   in Loop: Header=BB403_1003 Depth=1
	s_or_b64 exec, exec, s[12:13]
	v_lshrrev_b16_e32 v8, 8, v32
	v_cmp_ne_u16_e64 s[4:5], 0, v8
	v_mov_b32_e32 v26, 0
	s_and_saveexec_b64 s[12:13], s[4:5]
	s_cbranch_execz .LBB403_1661
; %bb.1656:                             ;   in Loop: Header=BB403_1003 Depth=1
	v_cmp_ne_u16_e64 s[4:5], s28, v8
	v_bfrev_b32_e32 v26, 1
	s_and_saveexec_b64 s[24:25], s[4:5]
	s_cbranch_execz .LBB403_1660
; %bb.1657:                             ;   in Loop: Header=BB403_1003 Depth=1
	v_and_b32_e32 v34, 0x7f, v8
	v_cmp_ne_u32_e64 s[4:5], s29, v34
	v_mov_b32_e32 v26, 0x7f800001
	s_and_saveexec_b64 s[26:27], s[4:5]
	s_cbranch_execz .LBB403_1659
; %bb.1658:                             ;   in Loop: Header=BB403_1003 Depth=1
	v_and_b32_e32 v4, 7, v8
	v_ffbh_u32_e32 v26, v4
	v_min_u32_e32 v26, 32, v26
	v_subrev_u32_e32 v36, 28, v26
	v_lshlrev_b64 v[38:39], v36, v[8:9]
	v_lshrrev_b32_e32 v5, 3, v34
	v_sub_u32_e32 v8, 29, v26
	v_and_b32_e32 v26, 7, v38
	v_cmp_gt_u32_e64 s[4:5], 8, v34
	v_cndmask_b32_e64 v5, v5, v8, s[4:5]
	v_cndmask_b32_e64 v4, v4, v26, s[4:5]
	v_lshlrev_b32_e32 v8, 16, v32
	v_bfrev_b32_e32 v26, 60
	v_lshlrev_b32_e32 v4, 20, v4
	v_and_b32_e32 v8, 0x80000000, v8
	v_lshl_add_u32 v5, v5, 23, v26
	v_or3_b32 v26, v8, v5, v4
.LBB403_1659:                           ;   in Loop: Header=BB403_1003 Depth=1
	s_or_b64 exec, exec, s[26:27]
.LBB403_1660:                           ;   in Loop: Header=BB403_1003 Depth=1
	s_or_b64 exec, exec, s[24:25]
.LBB403_1661:                           ;   in Loop: Header=BB403_1003 Depth=1
	s_or_b64 exec, exec, s[12:13]
	v_mul_f32_e32 v8, v27, v26
	v_and_b32_e32 v4, 0x7f800000, v8
	v_cmp_ne_u32_e64 s[4:5], s15, v4
                                        ; implicit-def: $vgpr26
	s_and_saveexec_b64 s[12:13], s[4:5]
	s_xor_b64 s[4:5], exec, s[12:13]
; %bb.1662:                             ;   in Loop: Header=BB403_1003 Depth=1
	v_bfe_u32 v4, v8, 16, 1
	v_add3_u32 v26, v8, v4, s21
                                        ; implicit-def: $vgpr8
; %bb.1663:                             ;   in Loop: Header=BB403_1003 Depth=1
	s_andn2_saveexec_b64 s[12:13], s[4:5]
; %bb.1664:                             ;   in Loop: Header=BB403_1003 Depth=1
	v_or_b32_e32 v4, 0x10000, v8
	v_cmp_eq_u32_sdwa s[4:5], v8, v33 src0_sel:WORD_0 src1_sel:DWORD
	v_cndmask_b32_e64 v26, v4, v8, s[4:5]
; %bb.1665:                             ;   in Loop: Header=BB403_1003 Depth=1
	s_or_b64 exec, exec, s[12:13]
	v_lshrrev_b32_e32 v8, 16, v7
	v_cmp_ne_u16_sdwa s[4:5], v8, v33 src0_sel:BYTE_0 src1_sel:DWORD
	v_mov_b32_e32 v32, 0
	s_and_saveexec_b64 s[12:13], s[4:5]
	s_cbranch_execz .LBB403_1671
; %bb.1666:                             ;   in Loop: Header=BB403_1003 Depth=1
	v_cmp_ne_u16_sdwa s[4:5], v8, s28 src0_sel:BYTE_0 src1_sel:DWORD
	v_bfrev_b32_e32 v32, 1
	s_and_saveexec_b64 s[24:25], s[4:5]
	s_cbranch_execz .LBB403_1670
; %bb.1667:                             ;   in Loop: Header=BB403_1003 Depth=1
	v_bfe_u32 v34, v7, 16, 7
	v_cmp_ne_u32_e64 s[4:5], s29, v34
	v_mov_b32_e32 v32, 0x7f800001
	s_and_saveexec_b64 s[26:27], s[4:5]
	s_cbranch_execz .LBB403_1669
; %bb.1668:                             ;   in Loop: Header=BB403_1003 Depth=1
	v_and_b32_e32 v4, 7, v8
	v_ffbh_u32_e32 v32, v4
	v_min_u32_e32 v32, 32, v32
	v_subrev_u32_e32 v36, 28, v32
	v_lshlrev_b64 v[38:39], v36, v[8:9]
	v_lshrrev_b32_e32 v5, 3, v34
	v_sub_u32_e32 v32, 29, v32
	v_and_b32_e32 v36, 7, v38
	v_cmp_gt_u32_e64 s[4:5], 8, v34
	v_cndmask_b32_e64 v5, v5, v32, s[4:5]
	v_cndmask_b32_e64 v4, v4, v36, s[4:5]
	v_lshlrev_b32_e32 v8, 24, v8
	v_bfrev_b32_e32 v32, 60
	v_lshlrev_b32_e32 v4, 20, v4
	v_and_b32_e32 v8, 0x80000000, v8
	v_lshl_add_u32 v5, v5, 23, v32
	v_or3_b32 v32, v8, v5, v4
.LBB403_1669:                           ;   in Loop: Header=BB403_1003 Depth=1
	s_or_b64 exec, exec, s[26:27]
.LBB403_1670:                           ;   in Loop: Header=BB403_1003 Depth=1
	s_or_b64 exec, exec, s[24:25]
.LBB403_1671:                           ;   in Loop: Header=BB403_1003 Depth=1
	s_or_b64 exec, exec, s[12:13]
	v_mul_f32_e32 v8, v27, v32
	v_and_b32_e32 v4, 0x7f800000, v8
	v_cmp_ne_u32_e64 s[4:5], s15, v4
                                        ; implicit-def: $vgpr32
	s_and_saveexec_b64 s[12:13], s[4:5]
	s_xor_b64 s[4:5], exec, s[12:13]
; %bb.1672:                             ;   in Loop: Header=BB403_1003 Depth=1
	v_bfe_u32 v4, v8, 16, 1
	v_add3_u32 v32, v8, v4, s21
                                        ; implicit-def: $vgpr8
; %bb.1673:                             ;   in Loop: Header=BB403_1003 Depth=1
	s_andn2_saveexec_b64 s[12:13], s[4:5]
; %bb.1674:                             ;   in Loop: Header=BB403_1003 Depth=1
	v_or_b32_e32 v4, 0x10000, v8
	v_cmp_eq_u32_sdwa s[4:5], v8, v33 src0_sel:WORD_0 src1_sel:DWORD
	v_cndmask_b32_e64 v32, v4, v8, s[4:5]
; %bb.1675:                             ;   in Loop: Header=BB403_1003 Depth=1
	s_or_b64 exec, exec, s[12:13]
	v_cmp_lt_u64_e64 s[4:5], s[8:9], v[6:7]
	v_mov_b32_e32 v8, 0
	s_and_saveexec_b64 s[12:13], s[4:5]
	s_cbranch_execz .LBB403_1681
; %bb.1676:                             ;   in Loop: Header=BB403_1003 Depth=1
	v_lshrrev_b32_e32 v6, 24, v7
	v_cmp_ne_u32_e64 s[4:5], s28, v6
	v_bfrev_b32_e32 v8, 1
	s_and_saveexec_b64 s[24:25], s[4:5]
	s_cbranch_execz .LBB403_1680
; %bb.1677:                             ;   in Loop: Header=BB403_1003 Depth=1
	v_bfe_u32 v7, v7, 24, 7
	v_cmp_ne_u32_e64 s[4:5], s29, v7
	v_mov_b32_e32 v8, 0x7f800001
	s_and_saveexec_b64 s[26:27], s[4:5]
	s_cbranch_execz .LBB403_1679
; %bb.1678:                             ;   in Loop: Header=BB403_1003 Depth=1
	v_and_b32_e32 v4, 7, v6
	v_ffbh_u32_e32 v8, v4
	v_min_u32_e32 v8, 32, v8
	v_subrev_u32_e32 v34, 28, v8
	v_lshlrev_b64 v[38:39], v34, v[6:7]
	v_lshrrev_b32_e32 v5, 3, v7
	v_sub_u32_e32 v8, 29, v8
	v_and_b32_e32 v34, 7, v38
	v_cmp_gt_u32_e64 s[4:5], 8, v7
	v_cndmask_b32_e64 v5, v5, v8, s[4:5]
	v_cndmask_b32_e64 v4, v4, v34, s[4:5]
	v_lshlrev_b32_e32 v6, 24, v6
	v_bfrev_b32_e32 v7, 60
	v_lshlrev_b32_e32 v4, 20, v4
	v_and_b32_e32 v6, 0x80000000, v6
	v_lshl_add_u32 v5, v5, 23, v7
	v_or3_b32 v8, v6, v5, v4
.LBB403_1679:                           ;   in Loop: Header=BB403_1003 Depth=1
	s_or_b64 exec, exec, s[26:27]
.LBB403_1680:                           ;   in Loop: Header=BB403_1003 Depth=1
	s_or_b64 exec, exec, s[24:25]
.LBB403_1681:                           ;   in Loop: Header=BB403_1003 Depth=1
	s_or_b64 exec, exec, s[12:13]
	v_mul_f32_e32 v7, v27, v8
	v_and_b32_e32 v4, 0x7f800000, v7
	v_cmp_ne_u32_e64 s[4:5], s15, v4
                                        ; implicit-def: $vgpr6
	s_and_saveexec_b64 s[12:13], s[4:5]
	s_xor_b64 s[4:5], exec, s[12:13]
; %bb.1682:                             ;   in Loop: Header=BB403_1003 Depth=1
	v_bfe_u32 v4, v7, 16, 1
	v_add3_u32 v6, v7, v4, s21
                                        ; implicit-def: $vgpr7
; %bb.1683:                             ;   in Loop: Header=BB403_1003 Depth=1
	s_andn2_saveexec_b64 s[12:13], s[4:5]
; %bb.1684:                             ;   in Loop: Header=BB403_1003 Depth=1
	v_or_b32_e32 v4, 0x10000, v7
	v_cmp_eq_u32_sdwa s[4:5], v7, v33 src0_sel:WORD_0 src1_sel:DWORD
	v_cndmask_b32_e64 v6, v4, v7, s[4:5]
; %bb.1685:                             ;   in Loop: Header=BB403_1003 Depth=1
	s_or_b64 exec, exec, s[12:13]
	v_lshrrev_b32_e32 v8, 16, v26
	v_lshrrev_b32_e32 v22, 16, v22
	;; [unrolled: 1-line block ×8, first 2 shown]
	s_and_saveexec_b64 s[12:13], vcc
	s_cbranch_execz .LBB403_1687
; %bb.1686:                             ;   in Loop: Header=BB403_1003 Depth=1
	v_accvgpr_read_b32 v4, a26
	v_cmp_lt_i32_e64 s[4:5], v4, v37
	v_accvgpr_read_b32 v4, a32
	v_cndmask_b32_e64 v9, 0, v9, s[4:5]
	v_cmp_lt_i32_e64 s[4:5], v4, v37
	v_accvgpr_read_b32 v4, a31
	v_cndmask_b32_e64 v10, 0, v10, s[4:5]
	v_cmp_lt_i32_e64 s[4:5], v4, v37
	v_accvgpr_read_b32 v4, a30
	v_cndmask_b32_e64 v11, 0, v11, s[4:5]
	v_cmp_lt_i32_e64 s[4:5], v4, v37
	v_accvgpr_read_b32 v4, a29
	v_cndmask_b32_e64 v16, 0, v16, s[4:5]
	v_cmp_lt_i32_e64 s[4:5], v4, v37
	v_accvgpr_read_b32 v4, a28
	v_cndmask_b32_e64 v22, 0, v22, s[4:5]
	v_cmp_lt_i32_e64 s[4:5], v4, v37
	v_accvgpr_read_b32 v4, a27
	v_cndmask_b32_e64 v8, 0, v8, s[4:5]
	v_cmp_lt_i32_e64 s[4:5], v4, v37
	v_cndmask_b32_e64 v7, 0, v7, s[4:5]
	v_cmp_lt_i32_e64 s[4:5], v17, v37
	v_cndmask_b32_e64 v6, 0, v6, s[4:5]
.LBB403_1687:                           ;   in Loop: Header=BB403_1003 Depth=1
	s_or_b64 exec, exec, s[12:13]
	v_lshlrev_b32_e32 v4, 16, v9
	v_mul_f32_e32 v9, v48, v4
	v_and_b32_e32 v4, 0x7f800000, v9
	v_cmp_ne_u32_e64 s[4:5], s15, v4
                                        ; implicit-def: $agpr9
	s_and_saveexec_b64 s[12:13], s[4:5]
	s_xor_b64 s[4:5], exec, s[12:13]
; %bb.1688:                             ;   in Loop: Header=BB403_1003 Depth=1
	v_bfe_u32 v4, v9, 16, 1
	v_add3_u32 v4, v9, v4, s21
	v_accvgpr_write_b32 a9, v4
                                        ; implicit-def: $vgpr9
; %bb.1689:                             ;   in Loop: Header=BB403_1003 Depth=1
	s_andn2_saveexec_b64 s[12:13], s[4:5]
; %bb.1690:                             ;   in Loop: Header=BB403_1003 Depth=1
	v_or_b32_e32 v4, 0x10000, v9
	v_cmp_eq_u32_sdwa s[4:5], v9, v33 src0_sel:WORD_0 src1_sel:DWORD
	v_cndmask_b32_e64 v4, v4, v9, s[4:5]
	v_accvgpr_write_b32 a9, v4
; %bb.1691:                             ;   in Loop: Header=BB403_1003 Depth=1
	s_or_b64 exec, exec, s[12:13]
	v_lshlrev_b32_e32 v4, 16, v10
	v_mul_f32_e32 v9, v51, v4
	v_and_b32_e32 v4, 0x7f800000, v9
	v_cmp_ne_u32_e64 s[4:5], s15, v4
                                        ; implicit-def: $agpr5
	s_and_saveexec_b64 s[12:13], s[4:5]
	s_xor_b64 s[4:5], exec, s[12:13]
; %bb.1692:                             ;   in Loop: Header=BB403_1003 Depth=1
	v_bfe_u32 v4, v9, 16, 1
	v_add3_u32 v4, v9, v4, s21
	v_accvgpr_write_b32 a5, v4
                                        ; implicit-def: $vgpr9
; %bb.1693:                             ;   in Loop: Header=BB403_1003 Depth=1
	s_andn2_saveexec_b64 s[12:13], s[4:5]
; %bb.1694:                             ;   in Loop: Header=BB403_1003 Depth=1
	v_or_b32_e32 v4, 0x10000, v9
	v_cmp_eq_u32_sdwa s[4:5], v9, v33 src0_sel:WORD_0 src1_sel:DWORD
	v_cndmask_b32_e64 v4, v4, v9, s[4:5]
	v_accvgpr_write_b32 a5, v4
; %bb.1695:                             ;   in Loop: Header=BB403_1003 Depth=1
	s_or_b64 exec, exec, s[12:13]
	v_lshlrev_b32_e32 v4, 16, v11
	v_mul_f32_e32 v9, v49, v4
	v_and_b32_e32 v4, 0x7f800000, v9
	v_cmp_ne_u32_e64 s[4:5], s15, v4
                                        ; implicit-def: $agpr7
	s_and_saveexec_b64 s[12:13], s[4:5]
	s_xor_b64 s[4:5], exec, s[12:13]
; %bb.1696:                             ;   in Loop: Header=BB403_1003 Depth=1
	v_bfe_u32 v4, v9, 16, 1
	v_add3_u32 v4, v9, v4, s21
	v_accvgpr_write_b32 a7, v4
                                        ; implicit-def: $vgpr9
; %bb.1697:                             ;   in Loop: Header=BB403_1003 Depth=1
	s_andn2_saveexec_b64 s[12:13], s[4:5]
; %bb.1698:                             ;   in Loop: Header=BB403_1003 Depth=1
	v_or_b32_e32 v4, 0x10000, v9
	v_cmp_eq_u32_sdwa s[4:5], v9, v33 src0_sel:WORD_0 src1_sel:DWORD
	v_cndmask_b32_e64 v4, v4, v9, s[4:5]
	v_accvgpr_write_b32 a7, v4
; %bb.1699:                             ;   in Loop: Header=BB403_1003 Depth=1
	s_or_b64 exec, exec, s[12:13]
	v_lshlrev_b32_e32 v4, 16, v16
	v_mul_f32_e32 v9, v23, v4
	v_and_b32_e32 v4, 0x7f800000, v9
	v_cmp_ne_u32_e64 s[4:5], s15, v4
                                        ; implicit-def: $agpr1
	s_and_saveexec_b64 s[12:13], s[4:5]
	s_xor_b64 s[4:5], exec, s[12:13]
; %bb.1700:                             ;   in Loop: Header=BB403_1003 Depth=1
	v_bfe_u32 v4, v9, 16, 1
	v_add3_u32 v4, v9, v4, s21
	v_accvgpr_write_b32 a1, v4
                                        ; implicit-def: $vgpr9
; %bb.1701:                             ;   in Loop: Header=BB403_1003 Depth=1
	s_andn2_saveexec_b64 s[12:13], s[4:5]
; %bb.1702:                             ;   in Loop: Header=BB403_1003 Depth=1
	v_or_b32_e32 v4, 0x10000, v9
	v_cmp_eq_u32_sdwa s[4:5], v9, v33 src0_sel:WORD_0 src1_sel:DWORD
	v_cndmask_b32_e64 v4, v4, v9, s[4:5]
	v_accvgpr_write_b32 a1, v4
; %bb.1703:                             ;   in Loop: Header=BB403_1003 Depth=1
	s_or_b64 exec, exec, s[12:13]
	v_lshlrev_b32_e32 v4, 16, v22
	v_mul_f32_e32 v9, v54, v4
	v_and_b32_e32 v4, 0x7f800000, v9
	v_cmp_ne_u32_e64 s[4:5], s15, v4
                                        ; implicit-def: $agpr0
	s_and_saveexec_b64 s[12:13], s[4:5]
	s_xor_b64 s[4:5], exec, s[12:13]
; %bb.1704:                             ;   in Loop: Header=BB403_1003 Depth=1
	v_bfe_u32 v4, v9, 16, 1
	v_add3_u32 v4, v9, v4, s21
	v_accvgpr_write_b32 a0, v4
                                        ; implicit-def: $vgpr9
; %bb.1705:                             ;   in Loop: Header=BB403_1003 Depth=1
	s_andn2_saveexec_b64 s[12:13], s[4:5]
; %bb.1706:                             ;   in Loop: Header=BB403_1003 Depth=1
	v_or_b32_e32 v4, 0x10000, v9
	v_cmp_eq_u32_sdwa s[4:5], v9, v33 src0_sel:WORD_0 src1_sel:DWORD
	v_cndmask_b32_e64 v4, v4, v9, s[4:5]
	v_accvgpr_write_b32 a0, v4
; %bb.1707:                             ;   in Loop: Header=BB403_1003 Depth=1
	s_or_b64 exec, exec, s[12:13]
	v_lshlrev_b32_e32 v4, 16, v8
	v_mul_f32_e32 v8, v61, v4
	v_and_b32_e32 v4, 0x7f800000, v8
	v_cmp_ne_u32_e64 s[4:5], s15, v4
                                        ; implicit-def: $agpr12
	s_and_saveexec_b64 s[12:13], s[4:5]
	s_xor_b64 s[4:5], exec, s[12:13]
; %bb.1708:                             ;   in Loop: Header=BB403_1003 Depth=1
	v_bfe_u32 v4, v8, 16, 1
	v_add3_u32 v4, v8, v4, s21
	v_accvgpr_write_b32 a12, v4
                                        ; implicit-def: $vgpr8
; %bb.1709:                             ;   in Loop: Header=BB403_1003 Depth=1
	s_andn2_saveexec_b64 s[12:13], s[4:5]
; %bb.1710:                             ;   in Loop: Header=BB403_1003 Depth=1
	v_or_b32_e32 v4, 0x10000, v8
	v_cmp_eq_u32_sdwa s[4:5], v8, v33 src0_sel:WORD_0 src1_sel:DWORD
	v_cndmask_b32_e64 v4, v4, v8, s[4:5]
	v_accvgpr_write_b32 a12, v4
; %bb.1711:                             ;   in Loop: Header=BB403_1003 Depth=1
	s_or_b64 exec, exec, s[12:13]
	v_lshlrev_b32_e32 v4, 16, v7
	v_mul_f32_e32 v7, v35, v4
	v_and_b32_e32 v4, 0x7f800000, v7
	v_cmp_ne_u32_e64 s[4:5], s15, v4
                                        ; implicit-def: $agpr10
	s_and_saveexec_b64 s[12:13], s[4:5]
	s_xor_b64 s[4:5], exec, s[12:13]
; %bb.1712:                             ;   in Loop: Header=BB403_1003 Depth=1
	v_bfe_u32 v4, v7, 16, 1
	v_add3_u32 v4, v7, v4, s21
	v_accvgpr_write_b32 a10, v4
                                        ; implicit-def: $vgpr7
; %bb.1713:                             ;   in Loop: Header=BB403_1003 Depth=1
	s_andn2_saveexec_b64 s[12:13], s[4:5]
; %bb.1714:                             ;   in Loop: Header=BB403_1003 Depth=1
	v_or_b32_e32 v4, 0x10000, v7
	v_cmp_eq_u32_sdwa s[4:5], v7, v33 src0_sel:WORD_0 src1_sel:DWORD
	v_cndmask_b32_e64 v4, v4, v7, s[4:5]
	v_accvgpr_write_b32 a10, v4
; %bb.1715:                             ;   in Loop: Header=BB403_1003 Depth=1
	s_or_b64 exec, exec, s[12:13]
	v_lshlrev_b32_e32 v4, 16, v6
	v_mul_f32_e32 v6, v50, v4
	v_and_b32_e32 v4, 0x7f800000, v6
	v_cmp_ne_u32_e64 s[4:5], s15, v4
                                        ; implicit-def: $agpr11
	s_and_saveexec_b64 s[12:13], s[4:5]
	s_xor_b64 s[4:5], exec, s[12:13]
; %bb.1716:                             ;   in Loop: Header=BB403_1003 Depth=1
	v_bfe_u32 v4, v6, 16, 1
	v_add3_u32 v4, v6, v4, s21
	v_accvgpr_write_b32 a11, v4
                                        ; implicit-def: $vgpr6
; %bb.1717:                             ;   in Loop: Header=BB403_1003 Depth=1
	s_andn2_saveexec_b64 s[12:13], s[4:5]
; %bb.1718:                             ;   in Loop: Header=BB403_1003 Depth=1
	v_or_b32_e32 v4, 0x10000, v6
	v_cmp_eq_u32_sdwa s[4:5], v6, v33 src0_sel:WORD_0 src1_sel:DWORD
	v_cndmask_b32_e64 v4, v4, v6, s[4:5]
	v_accvgpr_write_b32 a11, v4
; %bb.1719:                             ;   in Loop: Header=BB403_1003 Depth=1
	s_or_b64 exec, exec, s[12:13]
	flat_load_dwordx2 v[6:7], v[2:3] offset:3072
	v_mov_b32_e32 v8, 0
	s_waitcnt vmcnt(0) lgkmcnt(0)
	v_cmp_ne_u16_sdwa s[4:5], v6, v33 src0_sel:BYTE_0 src1_sel:DWORD
	s_and_saveexec_b64 s[12:13], s[4:5]
	s_cbranch_execz .LBB403_1725
; %bb.1720:                             ;   in Loop: Header=BB403_1003 Depth=1
	v_cmp_ne_u16_sdwa s[4:5], v6, s28 src0_sel:BYTE_0 src1_sel:DWORD
	v_bfrev_b32_e32 v8, 1
	s_and_saveexec_b64 s[24:25], s[4:5]
	s_cbranch_execz .LBB403_1724
; %bb.1721:                             ;   in Loop: Header=BB403_1003 Depth=1
	v_and_b32_e32 v9, 0x7f, v6
	v_cmp_ne_u32_e64 s[4:5], s29, v9
	v_mov_b32_e32 v8, 0x7f800001
	s_and_saveexec_b64 s[26:27], s[4:5]
	s_cbranch_execz .LBB403_1723
; %bb.1722:                             ;   in Loop: Header=BB403_1003 Depth=1
	v_and_b32_e32 v4, 7, v6
	v_ffbh_u32_e32 v4, v4
	v_min_u32_e32 v4, 32, v4
	v_lshrrev_b32_e32 v5, 3, v9
	v_subrev_u32_e32 v8, 28, v4
	v_sub_u32_e32 v4, 29, v4
	v_cmp_gt_u32_e64 s[4:5], 8, v9
	v_cndmask_b32_e64 v4, v5, v4, s[4:5]
	v_cndmask_b32_e64 v5, 0, v8, s[4:5]
	v_lshlrev_b64 v[8:9], v5, v[6:7]
	v_lshlrev_b32_e32 v5, 20, v8
	v_lshlrev_b32_e32 v8, 24, v6
	v_bfrev_b32_e32 v9, 60
	v_and_b32_e32 v5, 0x700000, v5
	v_and_b32_e32 v8, 0x80000000, v8
	v_lshl_add_u32 v4, v4, 23, v9
	v_or3_b32 v8, v8, v4, v5
.LBB403_1723:                           ;   in Loop: Header=BB403_1003 Depth=1
	s_or_b64 exec, exec, s[26:27]
.LBB403_1724:                           ;   in Loop: Header=BB403_1003 Depth=1
	s_or_b64 exec, exec, s[24:25]
.LBB403_1725:                           ;   in Loop: Header=BB403_1003 Depth=1
	s_or_b64 exec, exec, s[12:13]
	v_mul_f32_e32 v8, v27, v8
	v_and_b32_e32 v4, 0x7f800000, v8
	v_cmp_ne_u32_e64 s[4:5], s15, v4
                                        ; implicit-def: $vgpr9
	s_and_saveexec_b64 s[12:13], s[4:5]
	s_xor_b64 s[4:5], exec, s[12:13]
; %bb.1726:                             ;   in Loop: Header=BB403_1003 Depth=1
	v_bfe_u32 v4, v8, 16, 1
	v_add3_u32 v9, v8, v4, s21
                                        ; implicit-def: $vgpr8
; %bb.1727:                             ;   in Loop: Header=BB403_1003 Depth=1
	s_andn2_saveexec_b64 s[12:13], s[4:5]
; %bb.1728:                             ;   in Loop: Header=BB403_1003 Depth=1
	v_or_b32_e32 v4, 0x10000, v8
	v_cmp_eq_u32_sdwa s[4:5], v8, v33 src0_sel:WORD_0 src1_sel:DWORD
	v_cndmask_b32_e64 v9, v4, v8, s[4:5]
; %bb.1729:                             ;   in Loop: Header=BB403_1003 Depth=1
	s_or_b64 exec, exec, s[12:13]
	v_lshrrev_b16_e32 v8, 8, v6
	v_cmp_ne_u16_e64 s[4:5], 0, v8
	v_mov_b32_e32 v10, 0
	s_and_saveexec_b64 s[12:13], s[4:5]
	s_cbranch_execz .LBB403_1735
; %bb.1730:                             ;   in Loop: Header=BB403_1003 Depth=1
	v_cmp_ne_u16_e64 s[4:5], s28, v8
	v_bfrev_b32_e32 v10, 1
	s_and_saveexec_b64 s[24:25], s[4:5]
	s_cbranch_execz .LBB403_1734
; %bb.1731:                             ;   in Loop: Header=BB403_1003 Depth=1
	v_and_b32_e32 v11, 0x7f, v8
	v_cmp_ne_u32_e64 s[4:5], s29, v11
	v_mov_b32_e32 v10, 0x7f800001
	s_and_saveexec_b64 s[26:27], s[4:5]
	s_cbranch_execz .LBB403_1733
; %bb.1732:                             ;   in Loop: Header=BB403_1003 Depth=1
	v_and_b32_e32 v4, 7, v8
	v_ffbh_u32_e32 v10, v4
	v_min_u32_e32 v10, 32, v10
	v_subrev_u32_e32 v16, 28, v10
	v_lshlrev_b64 v[38:39], v16, v[8:9]
	v_lshrrev_b32_e32 v5, 3, v11
	v_sub_u32_e32 v8, 29, v10
	v_and_b32_e32 v10, 7, v38
	v_cmp_gt_u32_e64 s[4:5], 8, v11
	v_cndmask_b32_e64 v5, v5, v8, s[4:5]
	v_cndmask_b32_e64 v4, v4, v10, s[4:5]
	v_lshlrev_b32_e32 v8, 16, v6
	v_bfrev_b32_e32 v10, 60
	v_lshlrev_b32_e32 v4, 20, v4
	v_and_b32_e32 v8, 0x80000000, v8
	v_lshl_add_u32 v5, v5, 23, v10
	v_or3_b32 v10, v8, v5, v4
.LBB403_1733:                           ;   in Loop: Header=BB403_1003 Depth=1
	s_or_b64 exec, exec, s[26:27]
.LBB403_1734:                           ;   in Loop: Header=BB403_1003 Depth=1
	s_or_b64 exec, exec, s[24:25]
.LBB403_1735:                           ;   in Loop: Header=BB403_1003 Depth=1
	s_or_b64 exec, exec, s[12:13]
	v_mul_f32_e32 v8, v27, v10
	v_and_b32_e32 v4, 0x7f800000, v8
	v_cmp_ne_u32_e64 s[4:5], s15, v4
                                        ; implicit-def: $vgpr10
	s_and_saveexec_b64 s[12:13], s[4:5]
	s_xor_b64 s[4:5], exec, s[12:13]
; %bb.1736:                             ;   in Loop: Header=BB403_1003 Depth=1
	v_bfe_u32 v4, v8, 16, 1
	v_add3_u32 v10, v8, v4, s21
                                        ; implicit-def: $vgpr8
; %bb.1737:                             ;   in Loop: Header=BB403_1003 Depth=1
	s_andn2_saveexec_b64 s[12:13], s[4:5]
; %bb.1738:                             ;   in Loop: Header=BB403_1003 Depth=1
	v_or_b32_e32 v4, 0x10000, v8
	v_cmp_eq_u32_sdwa s[4:5], v8, v33 src0_sel:WORD_0 src1_sel:DWORD
	v_cndmask_b32_e64 v10, v4, v8, s[4:5]
; %bb.1739:                             ;   in Loop: Header=BB403_1003 Depth=1
	s_or_b64 exec, exec, s[12:13]
	v_lshrrev_b32_e32 v8, 16, v6
	v_cmp_ne_u16_sdwa s[4:5], v8, v33 src0_sel:BYTE_0 src1_sel:DWORD
	v_mov_b32_e32 v11, 0
	s_and_saveexec_b64 s[12:13], s[4:5]
	s_cbranch_execz .LBB403_1745
; %bb.1740:                             ;   in Loop: Header=BB403_1003 Depth=1
	v_cmp_ne_u16_sdwa s[4:5], v8, s28 src0_sel:BYTE_0 src1_sel:DWORD
	v_bfrev_b32_e32 v11, 1
	s_and_saveexec_b64 s[24:25], s[4:5]
	s_cbranch_execz .LBB403_1744
; %bb.1741:                             ;   in Loop: Header=BB403_1003 Depth=1
	v_bfe_u32 v16, v6, 16, 7
	v_cmp_ne_u32_e64 s[4:5], s29, v16
	v_mov_b32_e32 v11, 0x7f800001
	s_and_saveexec_b64 s[26:27], s[4:5]
	s_cbranch_execz .LBB403_1743
; %bb.1742:                             ;   in Loop: Header=BB403_1003 Depth=1
	v_and_b32_e32 v4, 7, v8
	v_ffbh_u32_e32 v11, v4
	v_min_u32_e32 v11, 32, v11
	v_subrev_u32_e32 v22, 28, v11
	v_lshlrev_b64 v[38:39], v22, v[8:9]
	v_lshrrev_b32_e32 v5, 3, v16
	v_sub_u32_e32 v11, 29, v11
	v_and_b32_e32 v22, 7, v38
	v_cmp_gt_u32_e64 s[4:5], 8, v16
	v_cndmask_b32_e64 v5, v5, v11, s[4:5]
	v_cndmask_b32_e64 v4, v4, v22, s[4:5]
	v_lshlrev_b32_e32 v8, 24, v8
	v_bfrev_b32_e32 v11, 60
	v_lshlrev_b32_e32 v4, 20, v4
	v_and_b32_e32 v8, 0x80000000, v8
	v_lshl_add_u32 v5, v5, 23, v11
	v_or3_b32 v11, v8, v5, v4
.LBB403_1743:                           ;   in Loop: Header=BB403_1003 Depth=1
	s_or_b64 exec, exec, s[26:27]
.LBB403_1744:                           ;   in Loop: Header=BB403_1003 Depth=1
	s_or_b64 exec, exec, s[24:25]
.LBB403_1745:                           ;   in Loop: Header=BB403_1003 Depth=1
	s_or_b64 exec, exec, s[12:13]
	v_mul_f32_e32 v8, v27, v11
	v_and_b32_e32 v4, 0x7f800000, v8
	v_cmp_ne_u32_e64 s[4:5], s15, v4
                                        ; implicit-def: $vgpr11
	s_and_saveexec_b64 s[12:13], s[4:5]
	s_xor_b64 s[4:5], exec, s[12:13]
; %bb.1746:                             ;   in Loop: Header=BB403_1003 Depth=1
	v_bfe_u32 v4, v8, 16, 1
	v_add3_u32 v11, v8, v4, s21
                                        ; implicit-def: $vgpr8
; %bb.1747:                             ;   in Loop: Header=BB403_1003 Depth=1
	s_andn2_saveexec_b64 s[12:13], s[4:5]
; %bb.1748:                             ;   in Loop: Header=BB403_1003 Depth=1
	v_or_b32_e32 v4, 0x10000, v8
	v_cmp_eq_u32_sdwa s[4:5], v8, v33 src0_sel:WORD_0 src1_sel:DWORD
	v_cndmask_b32_e64 v11, v4, v8, s[4:5]
; %bb.1749:                             ;   in Loop: Header=BB403_1003 Depth=1
	s_or_b64 exec, exec, s[12:13]
	v_cmp_lt_u32_e64 s[4:5], s9, v6
	v_mov_b32_e32 v16, 0
	s_and_saveexec_b64 s[12:13], s[4:5]
	s_cbranch_execz .LBB403_1755
; %bb.1750:                             ;   in Loop: Header=BB403_1003 Depth=1
	v_lshrrev_b32_e32 v8, 24, v6
	v_cmp_ne_u32_e64 s[4:5], s28, v8
	v_bfrev_b32_e32 v16, 1
	s_and_saveexec_b64 s[24:25], s[4:5]
	s_cbranch_execz .LBB403_1754
; %bb.1751:                             ;   in Loop: Header=BB403_1003 Depth=1
	v_bfe_u32 v22, v6, 24, 7
	v_cmp_ne_u32_e64 s[4:5], s29, v22
	v_mov_b32_e32 v16, 0x7f800001
	s_and_saveexec_b64 s[26:27], s[4:5]
	s_cbranch_execz .LBB403_1753
; %bb.1752:                             ;   in Loop: Header=BB403_1003 Depth=1
	v_and_b32_e32 v4, 7, v8
	v_ffbh_u32_e32 v16, v4
	v_min_u32_e32 v16, 32, v16
	v_subrev_u32_e32 v26, 28, v16
	v_lshlrev_b64 v[38:39], v26, v[8:9]
	v_lshrrev_b32_e32 v5, 3, v22
	v_sub_u32_e32 v16, 29, v16
	v_and_b32_e32 v26, 7, v38
	v_cmp_gt_u32_e64 s[4:5], 8, v22
	v_cndmask_b32_e64 v5, v5, v16, s[4:5]
	v_cndmask_b32_e64 v4, v4, v26, s[4:5]
	v_lshlrev_b32_e32 v8, 24, v8
	v_bfrev_b32_e32 v16, 60
	v_lshlrev_b32_e32 v4, 20, v4
	v_and_b32_e32 v8, 0x80000000, v8
	v_lshl_add_u32 v5, v5, 23, v16
	v_or3_b32 v16, v8, v5, v4
.LBB403_1753:                           ;   in Loop: Header=BB403_1003 Depth=1
	s_or_b64 exec, exec, s[26:27]
.LBB403_1754:                           ;   in Loop: Header=BB403_1003 Depth=1
	s_or_b64 exec, exec, s[24:25]
.LBB403_1755:                           ;   in Loop: Header=BB403_1003 Depth=1
	s_or_b64 exec, exec, s[12:13]
	v_mul_f32_e32 v8, v27, v16
	v_and_b32_e32 v4, 0x7f800000, v8
	v_cmp_ne_u32_e64 s[4:5], s15, v4
                                        ; implicit-def: $vgpr16
	s_and_saveexec_b64 s[12:13], s[4:5]
	s_xor_b64 s[4:5], exec, s[12:13]
; %bb.1756:                             ;   in Loop: Header=BB403_1003 Depth=1
	v_bfe_u32 v4, v8, 16, 1
	v_add3_u32 v16, v8, v4, s21
                                        ; implicit-def: $vgpr8
; %bb.1757:                             ;   in Loop: Header=BB403_1003 Depth=1
	s_andn2_saveexec_b64 s[12:13], s[4:5]
; %bb.1758:                             ;   in Loop: Header=BB403_1003 Depth=1
	v_or_b32_e32 v4, 0x10000, v8
	v_cmp_eq_u32_sdwa s[4:5], v8, v33 src0_sel:WORD_0 src1_sel:DWORD
	v_cndmask_b32_e64 v16, v4, v8, s[4:5]
; %bb.1759:                             ;   in Loop: Header=BB403_1003 Depth=1
	s_or_b64 exec, exec, s[12:13]
	v_mov_b32_e32 v32, v7
	v_cmp_ne_u16_sdwa s[4:5], v7, v33 src0_sel:BYTE_0 src1_sel:DWORD
	v_mov_b32_e32 v8, 0
	s_and_saveexec_b64 s[12:13], s[4:5]
	s_cbranch_execz .LBB403_1765
; %bb.1760:                             ;   in Loop: Header=BB403_1003 Depth=1
	v_cmp_ne_u16_sdwa s[4:5], v7, s28 src0_sel:BYTE_0 src1_sel:DWORD
	v_bfrev_b32_e32 v8, 1
	s_and_saveexec_b64 s[24:25], s[4:5]
	s_cbranch_execz .LBB403_1764
; %bb.1761:                             ;   in Loop: Header=BB403_1003 Depth=1
	v_and_b32_e32 v22, 0x7f, v7
	v_cmp_ne_u32_e64 s[4:5], s29, v22
	v_mov_b32_e32 v8, 0x7f800001
	s_and_saveexec_b64 s[26:27], s[4:5]
	s_cbranch_execz .LBB403_1763
; %bb.1762:                             ;   in Loop: Header=BB403_1003 Depth=1
	v_and_b32_e32 v4, 7, v7
	v_ffbh_u32_e32 v4, v4
	v_min_u32_e32 v4, 32, v4
	v_lshrrev_b32_e32 v5, 3, v22
	v_subrev_u32_e32 v8, 28, v4
	v_sub_u32_e32 v4, 29, v4
	v_cmp_gt_u32_e64 s[4:5], 8, v22
	v_cndmask_b32_e64 v4, v5, v4, s[4:5]
	v_cndmask_b32_e64 v5, 0, v8, s[4:5]
	v_lshlrev_b64 v[38:39], v5, v[32:33]
	v_lshlrev_b32_e32 v5, 20, v38
	v_lshlrev_b32_e32 v8, 24, v32
	v_bfrev_b32_e32 v22, 60
	v_and_b32_e32 v5, 0x700000, v5
	v_and_b32_e32 v8, 0x80000000, v8
	v_lshl_add_u32 v4, v4, 23, v22
	v_or3_b32 v8, v8, v4, v5
.LBB403_1763:                           ;   in Loop: Header=BB403_1003 Depth=1
	s_or_b64 exec, exec, s[26:27]
.LBB403_1764:                           ;   in Loop: Header=BB403_1003 Depth=1
	s_or_b64 exec, exec, s[24:25]
.LBB403_1765:                           ;   in Loop: Header=BB403_1003 Depth=1
	s_or_b64 exec, exec, s[12:13]
	v_mul_f32_e32 v8, v27, v8
	v_and_b32_e32 v4, 0x7f800000, v8
	v_cmp_ne_u32_e64 s[4:5], s15, v4
                                        ; implicit-def: $vgpr22
	s_and_saveexec_b64 s[12:13], s[4:5]
	s_xor_b64 s[4:5], exec, s[12:13]
; %bb.1766:                             ;   in Loop: Header=BB403_1003 Depth=1
	v_bfe_u32 v4, v8, 16, 1
	v_add3_u32 v22, v8, v4, s21
                                        ; implicit-def: $vgpr8
; %bb.1767:                             ;   in Loop: Header=BB403_1003 Depth=1
	s_andn2_saveexec_b64 s[12:13], s[4:5]
; %bb.1768:                             ;   in Loop: Header=BB403_1003 Depth=1
	v_or_b32_e32 v4, 0x10000, v8
	v_cmp_eq_u32_sdwa s[4:5], v8, v33 src0_sel:WORD_0 src1_sel:DWORD
	v_cndmask_b32_e64 v22, v4, v8, s[4:5]
; %bb.1769:                             ;   in Loop: Header=BB403_1003 Depth=1
	s_or_b64 exec, exec, s[12:13]
	v_lshrrev_b16_e32 v8, 8, v32
	v_cmp_ne_u16_e64 s[4:5], 0, v8
	v_mov_b32_e32 v26, 0
	s_and_saveexec_b64 s[12:13], s[4:5]
	s_cbranch_execz .LBB403_1775
; %bb.1770:                             ;   in Loop: Header=BB403_1003 Depth=1
	v_cmp_ne_u16_e64 s[4:5], s28, v8
	v_bfrev_b32_e32 v26, 1
	s_and_saveexec_b64 s[24:25], s[4:5]
	s_cbranch_execz .LBB403_1774
; %bb.1771:                             ;   in Loop: Header=BB403_1003 Depth=1
	v_and_b32_e32 v34, 0x7f, v8
	v_cmp_ne_u32_e64 s[4:5], s29, v34
	v_mov_b32_e32 v26, 0x7f800001
	s_and_saveexec_b64 s[26:27], s[4:5]
	s_cbranch_execz .LBB403_1773
; %bb.1772:                             ;   in Loop: Header=BB403_1003 Depth=1
	v_and_b32_e32 v4, 7, v8
	v_ffbh_u32_e32 v26, v4
	v_min_u32_e32 v26, 32, v26
	v_subrev_u32_e32 v36, 28, v26
	v_lshlrev_b64 v[38:39], v36, v[8:9]
	v_lshrrev_b32_e32 v5, 3, v34
	v_sub_u32_e32 v8, 29, v26
	v_and_b32_e32 v26, 7, v38
	v_cmp_gt_u32_e64 s[4:5], 8, v34
	v_cndmask_b32_e64 v5, v5, v8, s[4:5]
	v_cndmask_b32_e64 v4, v4, v26, s[4:5]
	v_lshlrev_b32_e32 v8, 16, v32
	v_bfrev_b32_e32 v26, 60
	v_lshlrev_b32_e32 v4, 20, v4
	v_and_b32_e32 v8, 0x80000000, v8
	v_lshl_add_u32 v5, v5, 23, v26
	v_or3_b32 v26, v8, v5, v4
.LBB403_1773:                           ;   in Loop: Header=BB403_1003 Depth=1
	s_or_b64 exec, exec, s[26:27]
.LBB403_1774:                           ;   in Loop: Header=BB403_1003 Depth=1
	s_or_b64 exec, exec, s[24:25]
.LBB403_1775:                           ;   in Loop: Header=BB403_1003 Depth=1
	s_or_b64 exec, exec, s[12:13]
	v_mul_f32_e32 v8, v27, v26
	v_and_b32_e32 v4, 0x7f800000, v8
	v_cmp_ne_u32_e64 s[4:5], s15, v4
                                        ; implicit-def: $vgpr26
	s_and_saveexec_b64 s[12:13], s[4:5]
	s_xor_b64 s[4:5], exec, s[12:13]
; %bb.1776:                             ;   in Loop: Header=BB403_1003 Depth=1
	v_bfe_u32 v4, v8, 16, 1
	v_add3_u32 v26, v8, v4, s21
                                        ; implicit-def: $vgpr8
; %bb.1777:                             ;   in Loop: Header=BB403_1003 Depth=1
	s_andn2_saveexec_b64 s[12:13], s[4:5]
; %bb.1778:                             ;   in Loop: Header=BB403_1003 Depth=1
	v_or_b32_e32 v4, 0x10000, v8
	v_cmp_eq_u32_sdwa s[4:5], v8, v33 src0_sel:WORD_0 src1_sel:DWORD
	v_cndmask_b32_e64 v26, v4, v8, s[4:5]
; %bb.1779:                             ;   in Loop: Header=BB403_1003 Depth=1
	s_or_b64 exec, exec, s[12:13]
	v_lshrrev_b32_e32 v8, 16, v7
	v_cmp_ne_u16_sdwa s[4:5], v8, v33 src0_sel:BYTE_0 src1_sel:DWORD
	v_mov_b32_e32 v32, 0
	s_and_saveexec_b64 s[12:13], s[4:5]
	s_cbranch_execz .LBB403_1785
; %bb.1780:                             ;   in Loop: Header=BB403_1003 Depth=1
	v_cmp_ne_u16_sdwa s[4:5], v8, s28 src0_sel:BYTE_0 src1_sel:DWORD
	v_bfrev_b32_e32 v32, 1
	s_and_saveexec_b64 s[24:25], s[4:5]
	s_cbranch_execz .LBB403_1784
; %bb.1781:                             ;   in Loop: Header=BB403_1003 Depth=1
	v_bfe_u32 v34, v7, 16, 7
	v_cmp_ne_u32_e64 s[4:5], s29, v34
	v_mov_b32_e32 v32, 0x7f800001
	s_and_saveexec_b64 s[26:27], s[4:5]
	s_cbranch_execz .LBB403_1783
; %bb.1782:                             ;   in Loop: Header=BB403_1003 Depth=1
	v_and_b32_e32 v4, 7, v8
	v_ffbh_u32_e32 v32, v4
	v_min_u32_e32 v32, 32, v32
	v_subrev_u32_e32 v36, 28, v32
	v_lshlrev_b64 v[38:39], v36, v[8:9]
	v_lshrrev_b32_e32 v5, 3, v34
	v_sub_u32_e32 v32, 29, v32
	v_and_b32_e32 v36, 7, v38
	v_cmp_gt_u32_e64 s[4:5], 8, v34
	v_cndmask_b32_e64 v5, v5, v32, s[4:5]
	v_cndmask_b32_e64 v4, v4, v36, s[4:5]
	v_lshlrev_b32_e32 v8, 24, v8
	v_bfrev_b32_e32 v32, 60
	v_lshlrev_b32_e32 v4, 20, v4
	v_and_b32_e32 v8, 0x80000000, v8
	v_lshl_add_u32 v5, v5, 23, v32
	v_or3_b32 v32, v8, v5, v4
.LBB403_1783:                           ;   in Loop: Header=BB403_1003 Depth=1
	s_or_b64 exec, exec, s[26:27]
.LBB403_1784:                           ;   in Loop: Header=BB403_1003 Depth=1
	s_or_b64 exec, exec, s[24:25]
.LBB403_1785:                           ;   in Loop: Header=BB403_1003 Depth=1
	s_or_b64 exec, exec, s[12:13]
	v_mul_f32_e32 v8, v27, v32
	v_and_b32_e32 v4, 0x7f800000, v8
	v_cmp_ne_u32_e64 s[4:5], s15, v4
                                        ; implicit-def: $vgpr32
	s_and_saveexec_b64 s[12:13], s[4:5]
	s_xor_b64 s[4:5], exec, s[12:13]
; %bb.1786:                             ;   in Loop: Header=BB403_1003 Depth=1
	v_bfe_u32 v4, v8, 16, 1
	v_add3_u32 v32, v8, v4, s21
                                        ; implicit-def: $vgpr8
; %bb.1787:                             ;   in Loop: Header=BB403_1003 Depth=1
	s_andn2_saveexec_b64 s[12:13], s[4:5]
; %bb.1788:                             ;   in Loop: Header=BB403_1003 Depth=1
	v_or_b32_e32 v4, 0x10000, v8
	v_cmp_eq_u32_sdwa s[4:5], v8, v33 src0_sel:WORD_0 src1_sel:DWORD
	v_cndmask_b32_e64 v32, v4, v8, s[4:5]
; %bb.1789:                             ;   in Loop: Header=BB403_1003 Depth=1
	s_or_b64 exec, exec, s[12:13]
	v_cmp_lt_u64_e64 s[4:5], s[8:9], v[6:7]
	v_mov_b32_e32 v8, 0
	s_and_saveexec_b64 s[12:13], s[4:5]
	s_cbranch_execz .LBB403_1795
; %bb.1790:                             ;   in Loop: Header=BB403_1003 Depth=1
	v_lshrrev_b32_e32 v6, 24, v7
	v_cmp_ne_u32_e64 s[4:5], s28, v6
	v_bfrev_b32_e32 v8, 1
	s_and_saveexec_b64 s[24:25], s[4:5]
	s_cbranch_execz .LBB403_1794
; %bb.1791:                             ;   in Loop: Header=BB403_1003 Depth=1
	v_bfe_u32 v7, v7, 24, 7
	v_cmp_ne_u32_e64 s[4:5], s29, v7
	v_mov_b32_e32 v8, 0x7f800001
	s_and_saveexec_b64 s[26:27], s[4:5]
	s_cbranch_execz .LBB403_1793
; %bb.1792:                             ;   in Loop: Header=BB403_1003 Depth=1
	v_and_b32_e32 v4, 7, v6
	v_ffbh_u32_e32 v8, v4
	v_min_u32_e32 v8, 32, v8
	v_subrev_u32_e32 v34, 28, v8
	v_lshlrev_b64 v[38:39], v34, v[6:7]
	v_lshrrev_b32_e32 v5, 3, v7
	v_sub_u32_e32 v8, 29, v8
	v_and_b32_e32 v34, 7, v38
	v_cmp_gt_u32_e64 s[4:5], 8, v7
	v_cndmask_b32_e64 v5, v5, v8, s[4:5]
	v_cndmask_b32_e64 v4, v4, v34, s[4:5]
	v_lshlrev_b32_e32 v6, 24, v6
	v_bfrev_b32_e32 v7, 60
	v_lshlrev_b32_e32 v4, 20, v4
	v_and_b32_e32 v6, 0x80000000, v6
	v_lshl_add_u32 v5, v5, 23, v7
	v_or3_b32 v8, v6, v5, v4
.LBB403_1793:                           ;   in Loop: Header=BB403_1003 Depth=1
	s_or_b64 exec, exec, s[26:27]
.LBB403_1794:                           ;   in Loop: Header=BB403_1003 Depth=1
	s_or_b64 exec, exec, s[24:25]
.LBB403_1795:                           ;   in Loop: Header=BB403_1003 Depth=1
	s_or_b64 exec, exec, s[12:13]
	v_mul_f32_e32 v7, v27, v8
	v_and_b32_e32 v4, 0x7f800000, v7
	v_cmp_ne_u32_e64 s[4:5], s15, v4
                                        ; implicit-def: $vgpr6
	s_and_saveexec_b64 s[12:13], s[4:5]
	s_xor_b64 s[4:5], exec, s[12:13]
; %bb.1796:                             ;   in Loop: Header=BB403_1003 Depth=1
	v_bfe_u32 v4, v7, 16, 1
	v_add3_u32 v6, v7, v4, s21
                                        ; implicit-def: $vgpr7
; %bb.1797:                             ;   in Loop: Header=BB403_1003 Depth=1
	s_andn2_saveexec_b64 s[12:13], s[4:5]
; %bb.1798:                             ;   in Loop: Header=BB403_1003 Depth=1
	v_or_b32_e32 v4, 0x10000, v7
	v_cmp_eq_u32_sdwa s[4:5], v7, v33 src0_sel:WORD_0 src1_sel:DWORD
	v_cndmask_b32_e64 v6, v4, v7, s[4:5]
; %bb.1799:                             ;   in Loop: Header=BB403_1003 Depth=1
	s_or_b64 exec, exec, s[12:13]
	v_lshrrev_b32_e32 v8, 16, v26
	v_lshrrev_b32_e32 v22, 16, v22
	v_lshrrev_b32_e32 v16, 16, v16
	v_lshrrev_b32_e32 v11, 16, v11
	v_lshrrev_b32_e32 v10, 16, v10
	v_lshrrev_b32_e32 v9, 16, v9
	v_lshrrev_b32_e32 v7, 16, v32
	v_lshrrev_b32_e32 v6, 16, v6
	s_and_saveexec_b64 s[12:13], vcc
	s_cbranch_execz .LBB403_1801
; %bb.1800:                             ;   in Loop: Header=BB403_1003 Depth=1
	v_accvgpr_read_b32 v4, a26
	v_cmp_lt_i32_e64 s[4:5], v4, v37
	v_accvgpr_read_b32 v4, a32
	v_cndmask_b32_e64 v9, 0, v9, s[4:5]
	v_cmp_lt_i32_e64 s[4:5], v4, v37
	v_accvgpr_read_b32 v4, a31
	v_cndmask_b32_e64 v10, 0, v10, s[4:5]
	;; [unrolled: 3-line block ×6, first 2 shown]
	v_cmp_lt_i32_e64 s[4:5], v4, v37
	v_cndmask_b32_e64 v7, 0, v7, s[4:5]
	v_cmp_lt_i32_e64 s[4:5], v17, v37
	v_cndmask_b32_e64 v6, 0, v6, s[4:5]
.LBB403_1801:                           ;   in Loop: Header=BB403_1003 Depth=1
	s_or_b64 exec, exec, s[12:13]
	v_lshlrev_b32_e32 v4, 16, v9
	v_mul_f32_e32 v9, v48, v4
	v_and_b32_e32 v4, 0x7f800000, v9
	v_cmp_ne_u32_e64 s[4:5], s15, v4
                                        ; implicit-def: $agpr16
	s_and_saveexec_b64 s[12:13], s[4:5]
	s_xor_b64 s[4:5], exec, s[12:13]
; %bb.1802:                             ;   in Loop: Header=BB403_1003 Depth=1
	v_bfe_u32 v4, v9, 16, 1
	v_add3_u32 v4, v9, v4, s21
	v_accvgpr_write_b32 a16, v4
                                        ; implicit-def: $vgpr9
; %bb.1803:                             ;   in Loop: Header=BB403_1003 Depth=1
	s_andn2_saveexec_b64 s[12:13], s[4:5]
; %bb.1804:                             ;   in Loop: Header=BB403_1003 Depth=1
	v_or_b32_e32 v4, 0x10000, v9
	v_cmp_eq_u32_sdwa s[4:5], v9, v33 src0_sel:WORD_0 src1_sel:DWORD
	v_cndmask_b32_e64 v4, v4, v9, s[4:5]
	v_accvgpr_write_b32 a16, v4
; %bb.1805:                             ;   in Loop: Header=BB403_1003 Depth=1
	s_or_b64 exec, exec, s[12:13]
	v_lshlrev_b32_e32 v4, 16, v10
	v_mul_f32_e32 v9, v51, v4
	v_and_b32_e32 v4, 0x7f800000, v9
	v_cmp_ne_u32_e64 s[4:5], s15, v4
                                        ; implicit-def: $agpr18
	s_and_saveexec_b64 s[12:13], s[4:5]
	s_xor_b64 s[4:5], exec, s[12:13]
; %bb.1806:                             ;   in Loop: Header=BB403_1003 Depth=1
	v_bfe_u32 v4, v9, 16, 1
	v_add3_u32 v4, v9, v4, s21
	v_accvgpr_write_b32 a18, v4
                                        ; implicit-def: $vgpr9
; %bb.1807:                             ;   in Loop: Header=BB403_1003 Depth=1
	s_andn2_saveexec_b64 s[12:13], s[4:5]
; %bb.1808:                             ;   in Loop: Header=BB403_1003 Depth=1
	v_or_b32_e32 v4, 0x10000, v9
	v_cmp_eq_u32_sdwa s[4:5], v9, v33 src0_sel:WORD_0 src1_sel:DWORD
	v_cndmask_b32_e64 v4, v4, v9, s[4:5]
	v_accvgpr_write_b32 a18, v4
; %bb.1809:                             ;   in Loop: Header=BB403_1003 Depth=1
	s_or_b64 exec, exec, s[12:13]
	v_lshlrev_b32_e32 v4, 16, v11
	v_mul_f32_e32 v9, v49, v4
	v_and_b32_e32 v4, 0x7f800000, v9
	v_cmp_ne_u32_e64 s[4:5], s15, v4
                                        ; implicit-def: $agpr20
	s_and_saveexec_b64 s[12:13], s[4:5]
	s_xor_b64 s[4:5], exec, s[12:13]
; %bb.1810:                             ;   in Loop: Header=BB403_1003 Depth=1
	v_bfe_u32 v4, v9, 16, 1
	v_add3_u32 v4, v9, v4, s21
	v_accvgpr_write_b32 a20, v4
                                        ; implicit-def: $vgpr9
; %bb.1811:                             ;   in Loop: Header=BB403_1003 Depth=1
	s_andn2_saveexec_b64 s[12:13], s[4:5]
; %bb.1812:                             ;   in Loop: Header=BB403_1003 Depth=1
	v_or_b32_e32 v4, 0x10000, v9
	v_cmp_eq_u32_sdwa s[4:5], v9, v33 src0_sel:WORD_0 src1_sel:DWORD
	v_cndmask_b32_e64 v4, v4, v9, s[4:5]
	v_accvgpr_write_b32 a20, v4
; %bb.1813:                             ;   in Loop: Header=BB403_1003 Depth=1
	s_or_b64 exec, exec, s[12:13]
	v_lshlrev_b32_e32 v4, 16, v16
	v_mul_f32_e32 v9, v23, v4
	v_and_b32_e32 v4, 0x7f800000, v9
	v_cmp_ne_u32_e64 s[4:5], s15, v4
                                        ; implicit-def: $agpr14
	s_and_saveexec_b64 s[12:13], s[4:5]
	s_xor_b64 s[4:5], exec, s[12:13]
; %bb.1814:                             ;   in Loop: Header=BB403_1003 Depth=1
	v_bfe_u32 v4, v9, 16, 1
	v_add3_u32 v4, v9, v4, s21
	v_accvgpr_write_b32 a14, v4
                                        ; implicit-def: $vgpr9
; %bb.1815:                             ;   in Loop: Header=BB403_1003 Depth=1
	s_andn2_saveexec_b64 s[12:13], s[4:5]
; %bb.1816:                             ;   in Loop: Header=BB403_1003 Depth=1
	v_or_b32_e32 v4, 0x10000, v9
	v_cmp_eq_u32_sdwa s[4:5], v9, v33 src0_sel:WORD_0 src1_sel:DWORD
	v_cndmask_b32_e64 v4, v4, v9, s[4:5]
	v_accvgpr_write_b32 a14, v4
; %bb.1817:                             ;   in Loop: Header=BB403_1003 Depth=1
	s_or_b64 exec, exec, s[12:13]
	v_lshlrev_b32_e32 v4, 16, v22
	v_mul_f32_e32 v9, v54, v4
	v_and_b32_e32 v4, 0x7f800000, v9
	v_cmp_ne_u32_e64 s[4:5], s15, v4
                                        ; implicit-def: $agpr22
	s_and_saveexec_b64 s[12:13], s[4:5]
	s_xor_b64 s[4:5], exec, s[12:13]
; %bb.1818:                             ;   in Loop: Header=BB403_1003 Depth=1
	v_bfe_u32 v4, v9, 16, 1
	v_add3_u32 v4, v9, v4, s21
	v_accvgpr_write_b32 a22, v4
                                        ; implicit-def: $vgpr9
; %bb.1819:                             ;   in Loop: Header=BB403_1003 Depth=1
	s_andn2_saveexec_b64 s[12:13], s[4:5]
; %bb.1820:                             ;   in Loop: Header=BB403_1003 Depth=1
	v_or_b32_e32 v4, 0x10000, v9
	v_cmp_eq_u32_sdwa s[4:5], v9, v33 src0_sel:WORD_0 src1_sel:DWORD
	v_cndmask_b32_e64 v4, v4, v9, s[4:5]
	v_accvgpr_write_b32 a22, v4
; %bb.1821:                             ;   in Loop: Header=BB403_1003 Depth=1
	s_or_b64 exec, exec, s[12:13]
	v_lshlrev_b32_e32 v4, 16, v8
	v_mul_f32_e32 v8, v61, v4
	v_and_b32_e32 v4, 0x7f800000, v8
	v_cmp_ne_u32_e64 s[4:5], s15, v4
                                        ; implicit-def: $agpr4
	s_and_saveexec_b64 s[12:13], s[4:5]
	s_xor_b64 s[4:5], exec, s[12:13]
; %bb.1822:                             ;   in Loop: Header=BB403_1003 Depth=1
	v_bfe_u32 v4, v8, 16, 1
	v_add3_u32 v4, v8, v4, s21
	v_accvgpr_write_b32 a4, v4
                                        ; implicit-def: $vgpr8
; %bb.1823:                             ;   in Loop: Header=BB403_1003 Depth=1
	s_andn2_saveexec_b64 s[12:13], s[4:5]
; %bb.1824:                             ;   in Loop: Header=BB403_1003 Depth=1
	v_or_b32_e32 v4, 0x10000, v8
	v_cmp_eq_u32_sdwa s[4:5], v8, v33 src0_sel:WORD_0 src1_sel:DWORD
	v_cndmask_b32_e64 v4, v4, v8, s[4:5]
	v_accvgpr_write_b32 a4, v4
; %bb.1825:                             ;   in Loop: Header=BB403_1003 Depth=1
	s_or_b64 exec, exec, s[12:13]
	v_lshlrev_b32_e32 v4, 16, v7
	v_mul_f32_e32 v7, v35, v4
	v_and_b32_e32 v4, 0x7f800000, v7
	v_cmp_ne_u32_e64 s[4:5], s15, v4
                                        ; implicit-def: $agpr13
	s_and_saveexec_b64 s[12:13], s[4:5]
	s_xor_b64 s[4:5], exec, s[12:13]
; %bb.1826:                             ;   in Loop: Header=BB403_1003 Depth=1
	v_bfe_u32 v4, v7, 16, 1
	v_add3_u32 v4, v7, v4, s21
	v_accvgpr_write_b32 a13, v4
                                        ; implicit-def: $vgpr7
; %bb.1827:                             ;   in Loop: Header=BB403_1003 Depth=1
	s_andn2_saveexec_b64 s[12:13], s[4:5]
; %bb.1828:                             ;   in Loop: Header=BB403_1003 Depth=1
	v_or_b32_e32 v4, 0x10000, v7
	v_cmp_eq_u32_sdwa s[4:5], v7, v33 src0_sel:WORD_0 src1_sel:DWORD
	v_cndmask_b32_e64 v4, v4, v7, s[4:5]
	v_accvgpr_write_b32 a13, v4
; %bb.1829:                             ;   in Loop: Header=BB403_1003 Depth=1
	s_or_b64 exec, exec, s[12:13]
	v_lshlrev_b32_e32 v4, 16, v6
	v_mul_f32_e32 v6, v50, v4
	v_and_b32_e32 v4, 0x7f800000, v6
	v_cmp_ne_u32_e64 s[4:5], s15, v4
                                        ; implicit-def: $agpr15
	s_and_saveexec_b64 s[12:13], s[4:5]
	s_xor_b64 s[4:5], exec, s[12:13]
; %bb.1830:                             ;   in Loop: Header=BB403_1003 Depth=1
	v_bfe_u32 v4, v6, 16, 1
	v_add3_u32 v4, v6, v4, s21
	v_accvgpr_write_b32 a15, v4
                                        ; implicit-def: $vgpr6
; %bb.1831:                             ;   in Loop: Header=BB403_1003 Depth=1
	s_andn2_saveexec_b64 s[12:13], s[4:5]
; %bb.1832:                             ;   in Loop: Header=BB403_1003 Depth=1
	v_or_b32_e32 v4, 0x10000, v6
	v_cmp_eq_u32_sdwa s[4:5], v6, v33 src0_sel:WORD_0 src1_sel:DWORD
	v_cndmask_b32_e64 v4, v4, v6, s[4:5]
	v_accvgpr_write_b32 a15, v4
; %bb.1833:                             ;   in Loop: Header=BB403_1003 Depth=1
	s_or_b64 exec, exec, s[12:13]
	flat_load_dwordx2 v[2:3], v[2:3] offset:3584
	v_mov_b32_e32 v6, 0
	s_waitcnt vmcnt(0) lgkmcnt(0)
	v_cmp_ne_u16_sdwa s[4:5], v2, v33 src0_sel:BYTE_0 src1_sel:DWORD
	s_and_saveexec_b64 s[12:13], s[4:5]
	s_cbranch_execz .LBB403_1839
; %bb.1834:                             ;   in Loop: Header=BB403_1003 Depth=1
	v_cmp_ne_u16_sdwa s[4:5], v2, s28 src0_sel:BYTE_0 src1_sel:DWORD
	v_bfrev_b32_e32 v6, 1
	s_and_saveexec_b64 s[24:25], s[4:5]
	s_cbranch_execz .LBB403_1838
; %bb.1835:                             ;   in Loop: Header=BB403_1003 Depth=1
	v_and_b32_e32 v7, 0x7f, v2
	v_cmp_ne_u32_e64 s[4:5], s29, v7
	v_mov_b32_e32 v6, 0x7f800001
	s_and_saveexec_b64 s[26:27], s[4:5]
	s_cbranch_execz .LBB403_1837
; %bb.1836:                             ;   in Loop: Header=BB403_1003 Depth=1
	v_and_b32_e32 v4, 7, v2
	v_ffbh_u32_e32 v4, v4
	v_min_u32_e32 v4, 32, v4
	v_lshrrev_b32_e32 v5, 3, v7
	v_subrev_u32_e32 v6, 28, v4
	v_sub_u32_e32 v4, 29, v4
	v_cmp_gt_u32_e64 s[4:5], 8, v7
	v_cndmask_b32_e64 v4, v5, v4, s[4:5]
	v_cndmask_b32_e64 v5, 0, v6, s[4:5]
	v_lshlrev_b64 v[6:7], v5, v[2:3]
	v_lshlrev_b32_e32 v5, 20, v6
	v_lshlrev_b32_e32 v6, 24, v2
	v_bfrev_b32_e32 v7, 60
	v_and_b32_e32 v5, 0x700000, v5
	v_and_b32_e32 v6, 0x80000000, v6
	v_lshl_add_u32 v4, v4, 23, v7
	v_or3_b32 v6, v6, v4, v5
.LBB403_1837:                           ;   in Loop: Header=BB403_1003 Depth=1
	s_or_b64 exec, exec, s[26:27]
.LBB403_1838:                           ;   in Loop: Header=BB403_1003 Depth=1
	s_or_b64 exec, exec, s[24:25]
.LBB403_1839:                           ;   in Loop: Header=BB403_1003 Depth=1
	s_or_b64 exec, exec, s[12:13]
	v_mul_f32_e32 v6, v27, v6
	v_and_b32_e32 v4, 0x7f800000, v6
	v_cmp_ne_u32_e64 s[4:5], s15, v4
                                        ; implicit-def: $vgpr7
	s_and_saveexec_b64 s[12:13], s[4:5]
	s_xor_b64 s[4:5], exec, s[12:13]
; %bb.1840:                             ;   in Loop: Header=BB403_1003 Depth=1
	v_bfe_u32 v4, v6, 16, 1
	v_add3_u32 v7, v6, v4, s21
                                        ; implicit-def: $vgpr6
; %bb.1841:                             ;   in Loop: Header=BB403_1003 Depth=1
	s_andn2_saveexec_b64 s[12:13], s[4:5]
; %bb.1842:                             ;   in Loop: Header=BB403_1003 Depth=1
	v_or_b32_e32 v4, 0x10000, v6
	v_cmp_eq_u32_sdwa s[4:5], v6, v33 src0_sel:WORD_0 src1_sel:DWORD
	v_cndmask_b32_e64 v7, v4, v6, s[4:5]
; %bb.1843:                             ;   in Loop: Header=BB403_1003 Depth=1
	s_or_b64 exec, exec, s[12:13]
	v_lshrrev_b16_e32 v6, 8, v2
	v_cmp_ne_u16_e64 s[4:5], 0, v6
	v_mov_b32_e32 v8, 0
	s_and_saveexec_b64 s[12:13], s[4:5]
	s_cbranch_execz .LBB403_1849
; %bb.1844:                             ;   in Loop: Header=BB403_1003 Depth=1
	v_cmp_ne_u16_e64 s[4:5], s28, v6
	v_bfrev_b32_e32 v8, 1
	s_and_saveexec_b64 s[24:25], s[4:5]
	s_cbranch_execz .LBB403_1848
; %bb.1845:                             ;   in Loop: Header=BB403_1003 Depth=1
	v_and_b32_e32 v9, 0x7f, v6
	v_cmp_ne_u32_e64 s[4:5], s29, v9
	v_mov_b32_e32 v8, 0x7f800001
	s_and_saveexec_b64 s[26:27], s[4:5]
	s_cbranch_execz .LBB403_1847
; %bb.1846:                             ;   in Loop: Header=BB403_1003 Depth=1
	v_and_b32_e32 v4, 7, v6
	v_ffbh_u32_e32 v8, v4
	v_min_u32_e32 v8, 32, v8
	v_subrev_u32_e32 v10, 28, v8
	v_lshlrev_b64 v[10:11], v10, v[6:7]
	v_lshrrev_b32_e32 v5, 3, v9
	v_sub_u32_e32 v6, 29, v8
	v_and_b32_e32 v8, 7, v10
	v_cmp_gt_u32_e64 s[4:5], 8, v9
	v_cndmask_b32_e64 v5, v5, v6, s[4:5]
	v_cndmask_b32_e64 v4, v4, v8, s[4:5]
	v_lshlrev_b32_e32 v6, 16, v2
	v_bfrev_b32_e32 v8, 60
	v_lshlrev_b32_e32 v4, 20, v4
	v_and_b32_e32 v6, 0x80000000, v6
	v_lshl_add_u32 v5, v5, 23, v8
	v_or3_b32 v8, v6, v5, v4
.LBB403_1847:                           ;   in Loop: Header=BB403_1003 Depth=1
	s_or_b64 exec, exec, s[26:27]
.LBB403_1848:                           ;   in Loop: Header=BB403_1003 Depth=1
	s_or_b64 exec, exec, s[24:25]
.LBB403_1849:                           ;   in Loop: Header=BB403_1003 Depth=1
	s_or_b64 exec, exec, s[12:13]
	v_mul_f32_e32 v6, v27, v8
	v_and_b32_e32 v4, 0x7f800000, v6
	v_cmp_ne_u32_e64 s[4:5], s15, v4
                                        ; implicit-def: $vgpr8
	s_and_saveexec_b64 s[12:13], s[4:5]
	s_xor_b64 s[4:5], exec, s[12:13]
; %bb.1850:                             ;   in Loop: Header=BB403_1003 Depth=1
	v_bfe_u32 v4, v6, 16, 1
	v_add3_u32 v8, v6, v4, s21
                                        ; implicit-def: $vgpr6
; %bb.1851:                             ;   in Loop: Header=BB403_1003 Depth=1
	s_andn2_saveexec_b64 s[12:13], s[4:5]
; %bb.1852:                             ;   in Loop: Header=BB403_1003 Depth=1
	v_or_b32_e32 v4, 0x10000, v6
	v_cmp_eq_u32_sdwa s[4:5], v6, v33 src0_sel:WORD_0 src1_sel:DWORD
	v_cndmask_b32_e64 v8, v4, v6, s[4:5]
; %bb.1853:                             ;   in Loop: Header=BB403_1003 Depth=1
	s_or_b64 exec, exec, s[12:13]
	v_lshrrev_b32_e32 v6, 16, v2
	v_cmp_ne_u16_sdwa s[4:5], v6, v33 src0_sel:BYTE_0 src1_sel:DWORD
	v_mov_b32_e32 v9, 0
	s_and_saveexec_b64 s[12:13], s[4:5]
	s_cbranch_execz .LBB403_1859
; %bb.1854:                             ;   in Loop: Header=BB403_1003 Depth=1
	v_cmp_ne_u16_sdwa s[4:5], v6, s28 src0_sel:BYTE_0 src1_sel:DWORD
	v_bfrev_b32_e32 v9, 1
	s_and_saveexec_b64 s[24:25], s[4:5]
	s_cbranch_execz .LBB403_1858
; %bb.1855:                             ;   in Loop: Header=BB403_1003 Depth=1
	v_bfe_u32 v10, v2, 16, 7
	v_cmp_ne_u32_e64 s[4:5], s29, v10
	v_mov_b32_e32 v9, 0x7f800001
	s_and_saveexec_b64 s[26:27], s[4:5]
	s_cbranch_execz .LBB403_1857
; %bb.1856:                             ;   in Loop: Header=BB403_1003 Depth=1
	v_and_b32_e32 v4, 7, v6
	v_ffbh_u32_e32 v9, v4
	v_min_u32_e32 v9, 32, v9
	v_subrev_u32_e32 v11, 28, v9
	v_lshlrev_b64 v[38:39], v11, v[6:7]
	v_lshrrev_b32_e32 v5, 3, v10
	v_sub_u32_e32 v9, 29, v9
	v_and_b32_e32 v11, 7, v38
	v_cmp_gt_u32_e64 s[4:5], 8, v10
	v_cndmask_b32_e64 v5, v5, v9, s[4:5]
	v_cndmask_b32_e64 v4, v4, v11, s[4:5]
	v_lshlrev_b32_e32 v6, 24, v6
	v_bfrev_b32_e32 v9, 60
	v_lshlrev_b32_e32 v4, 20, v4
	v_and_b32_e32 v6, 0x80000000, v6
	v_lshl_add_u32 v5, v5, 23, v9
	v_or3_b32 v9, v6, v5, v4
.LBB403_1857:                           ;   in Loop: Header=BB403_1003 Depth=1
	s_or_b64 exec, exec, s[26:27]
.LBB403_1858:                           ;   in Loop: Header=BB403_1003 Depth=1
	s_or_b64 exec, exec, s[24:25]
.LBB403_1859:                           ;   in Loop: Header=BB403_1003 Depth=1
	s_or_b64 exec, exec, s[12:13]
	v_mul_f32_e32 v6, v27, v9
	v_and_b32_e32 v4, 0x7f800000, v6
	v_cmp_ne_u32_e64 s[4:5], s15, v4
                                        ; implicit-def: $vgpr9
	s_and_saveexec_b64 s[12:13], s[4:5]
	s_xor_b64 s[4:5], exec, s[12:13]
; %bb.1860:                             ;   in Loop: Header=BB403_1003 Depth=1
	v_bfe_u32 v4, v6, 16, 1
	v_add3_u32 v9, v6, v4, s21
                                        ; implicit-def: $vgpr6
; %bb.1861:                             ;   in Loop: Header=BB403_1003 Depth=1
	s_andn2_saveexec_b64 s[12:13], s[4:5]
; %bb.1862:                             ;   in Loop: Header=BB403_1003 Depth=1
	v_or_b32_e32 v4, 0x10000, v6
	v_cmp_eq_u32_sdwa s[4:5], v6, v33 src0_sel:WORD_0 src1_sel:DWORD
	v_cndmask_b32_e64 v9, v4, v6, s[4:5]
; %bb.1863:                             ;   in Loop: Header=BB403_1003 Depth=1
	s_or_b64 exec, exec, s[12:13]
	v_cmp_lt_u32_e64 s[4:5], s9, v2
	v_mov_b32_e32 v10, 0
	s_and_saveexec_b64 s[12:13], s[4:5]
	s_cbranch_execz .LBB403_1869
; %bb.1864:                             ;   in Loop: Header=BB403_1003 Depth=1
	v_lshrrev_b32_e32 v6, 24, v2
	v_cmp_ne_u32_e64 s[4:5], s28, v6
	v_bfrev_b32_e32 v10, 1
	s_and_saveexec_b64 s[24:25], s[4:5]
	s_cbranch_execz .LBB403_1868
; %bb.1865:                             ;   in Loop: Header=BB403_1003 Depth=1
	v_bfe_u32 v11, v2, 24, 7
	v_cmp_ne_u32_e64 s[4:5], s29, v11
	v_mov_b32_e32 v10, 0x7f800001
	s_and_saveexec_b64 s[26:27], s[4:5]
	s_cbranch_execz .LBB403_1867
; %bb.1866:                             ;   in Loop: Header=BB403_1003 Depth=1
	v_and_b32_e32 v4, 7, v6
	v_ffbh_u32_e32 v10, v4
	v_min_u32_e32 v10, 32, v10
	v_subrev_u32_e32 v16, 28, v10
	v_lshlrev_b64 v[38:39], v16, v[6:7]
	v_lshrrev_b32_e32 v5, 3, v11
	v_sub_u32_e32 v10, 29, v10
	v_and_b32_e32 v16, 7, v38
	v_cmp_gt_u32_e64 s[4:5], 8, v11
	v_cndmask_b32_e64 v5, v5, v10, s[4:5]
	v_cndmask_b32_e64 v4, v4, v16, s[4:5]
	v_lshlrev_b32_e32 v6, 24, v6
	v_bfrev_b32_e32 v10, 60
	v_lshlrev_b32_e32 v4, 20, v4
	v_and_b32_e32 v6, 0x80000000, v6
	v_lshl_add_u32 v5, v5, 23, v10
	v_or3_b32 v10, v6, v5, v4
.LBB403_1867:                           ;   in Loop: Header=BB403_1003 Depth=1
	s_or_b64 exec, exec, s[26:27]
.LBB403_1868:                           ;   in Loop: Header=BB403_1003 Depth=1
	s_or_b64 exec, exec, s[24:25]
.LBB403_1869:                           ;   in Loop: Header=BB403_1003 Depth=1
	s_or_b64 exec, exec, s[12:13]
	v_mul_f32_e32 v6, v27, v10
	v_and_b32_e32 v4, 0x7f800000, v6
	v_cmp_ne_u32_e64 s[4:5], s15, v4
                                        ; implicit-def: $vgpr10
	s_and_saveexec_b64 s[12:13], s[4:5]
	s_xor_b64 s[4:5], exec, s[12:13]
; %bb.1870:                             ;   in Loop: Header=BB403_1003 Depth=1
	v_bfe_u32 v4, v6, 16, 1
	v_add3_u32 v10, v6, v4, s21
                                        ; implicit-def: $vgpr6
; %bb.1871:                             ;   in Loop: Header=BB403_1003 Depth=1
	s_andn2_saveexec_b64 s[12:13], s[4:5]
; %bb.1872:                             ;   in Loop: Header=BB403_1003 Depth=1
	v_or_b32_e32 v4, 0x10000, v6
	v_cmp_eq_u32_sdwa s[4:5], v6, v33 src0_sel:WORD_0 src1_sel:DWORD
	v_cndmask_b32_e64 v10, v4, v6, s[4:5]
; %bb.1873:                             ;   in Loop: Header=BB403_1003 Depth=1
	s_or_b64 exec, exec, s[12:13]
	v_mov_b32_e32 v32, v3
	v_cmp_ne_u16_sdwa s[4:5], v3, v33 src0_sel:BYTE_0 src1_sel:DWORD
	v_mov_b32_e32 v6, 0
	s_and_saveexec_b64 s[12:13], s[4:5]
	s_cbranch_execz .LBB403_1879
; %bb.1874:                             ;   in Loop: Header=BB403_1003 Depth=1
	v_cmp_ne_u16_sdwa s[4:5], v3, s28 src0_sel:BYTE_0 src1_sel:DWORD
	v_bfrev_b32_e32 v6, 1
	s_and_saveexec_b64 s[24:25], s[4:5]
	s_cbranch_execz .LBB403_1878
; %bb.1875:                             ;   in Loop: Header=BB403_1003 Depth=1
	v_and_b32_e32 v11, 0x7f, v3
	v_cmp_ne_u32_e64 s[4:5], s29, v11
	v_mov_b32_e32 v6, 0x7f800001
	s_and_saveexec_b64 s[26:27], s[4:5]
	s_cbranch_execz .LBB403_1877
; %bb.1876:                             ;   in Loop: Header=BB403_1003 Depth=1
	v_and_b32_e32 v4, 7, v3
	v_ffbh_u32_e32 v4, v4
	v_min_u32_e32 v4, 32, v4
	v_lshrrev_b32_e32 v5, 3, v11
	v_subrev_u32_e32 v6, 28, v4
	v_sub_u32_e32 v4, 29, v4
	v_cmp_gt_u32_e64 s[4:5], 8, v11
	v_cndmask_b32_e64 v4, v5, v4, s[4:5]
	v_cndmask_b32_e64 v5, 0, v6, s[4:5]
	v_lshlrev_b64 v[38:39], v5, v[32:33]
	v_lshlrev_b32_e32 v5, 20, v38
	v_lshlrev_b32_e32 v6, 24, v32
	v_bfrev_b32_e32 v11, 60
	v_and_b32_e32 v5, 0x700000, v5
	v_and_b32_e32 v6, 0x80000000, v6
	v_lshl_add_u32 v4, v4, 23, v11
	v_or3_b32 v6, v6, v4, v5
.LBB403_1877:                           ;   in Loop: Header=BB403_1003 Depth=1
	s_or_b64 exec, exec, s[26:27]
.LBB403_1878:                           ;   in Loop: Header=BB403_1003 Depth=1
	s_or_b64 exec, exec, s[24:25]
.LBB403_1879:                           ;   in Loop: Header=BB403_1003 Depth=1
	s_or_b64 exec, exec, s[12:13]
	v_mul_f32_e32 v6, v27, v6
	v_and_b32_e32 v4, 0x7f800000, v6
	v_cmp_ne_u32_e64 s[4:5], s15, v4
                                        ; implicit-def: $vgpr11
	s_and_saveexec_b64 s[12:13], s[4:5]
	s_xor_b64 s[4:5], exec, s[12:13]
; %bb.1880:                             ;   in Loop: Header=BB403_1003 Depth=1
	v_bfe_u32 v4, v6, 16, 1
	v_add3_u32 v11, v6, v4, s21
                                        ; implicit-def: $vgpr6
; %bb.1881:                             ;   in Loop: Header=BB403_1003 Depth=1
	s_andn2_saveexec_b64 s[12:13], s[4:5]
; %bb.1882:                             ;   in Loop: Header=BB403_1003 Depth=1
	v_or_b32_e32 v4, 0x10000, v6
	v_cmp_eq_u32_sdwa s[4:5], v6, v33 src0_sel:WORD_0 src1_sel:DWORD
	v_cndmask_b32_e64 v11, v4, v6, s[4:5]
; %bb.1883:                             ;   in Loop: Header=BB403_1003 Depth=1
	s_or_b64 exec, exec, s[12:13]
	v_lshrrev_b16_e32 v6, 8, v32
	v_cmp_ne_u16_e64 s[4:5], 0, v6
	v_mov_b32_e32 v16, 0
	s_and_saveexec_b64 s[12:13], s[4:5]
	s_cbranch_execz .LBB403_1889
; %bb.1884:                             ;   in Loop: Header=BB403_1003 Depth=1
	v_cmp_ne_u16_e64 s[4:5], s28, v6
	v_bfrev_b32_e32 v16, 1
	s_and_saveexec_b64 s[24:25], s[4:5]
	s_cbranch_execz .LBB403_1888
; %bb.1885:                             ;   in Loop: Header=BB403_1003 Depth=1
	v_and_b32_e32 v22, 0x7f, v6
	v_cmp_ne_u32_e64 s[4:5], s29, v22
	v_mov_b32_e32 v16, 0x7f800001
	s_and_saveexec_b64 s[26:27], s[4:5]
	s_cbranch_execz .LBB403_1887
; %bb.1886:                             ;   in Loop: Header=BB403_1003 Depth=1
	v_and_b32_e32 v4, 7, v6
	v_ffbh_u32_e32 v16, v4
	v_min_u32_e32 v16, 32, v16
	v_subrev_u32_e32 v26, 28, v16
	v_lshlrev_b64 v[38:39], v26, v[6:7]
	v_lshrrev_b32_e32 v5, 3, v22
	v_sub_u32_e32 v6, 29, v16
	v_and_b32_e32 v16, 7, v38
	v_cmp_gt_u32_e64 s[4:5], 8, v22
	v_cndmask_b32_e64 v5, v5, v6, s[4:5]
	v_cndmask_b32_e64 v4, v4, v16, s[4:5]
	v_lshlrev_b32_e32 v6, 16, v32
	v_bfrev_b32_e32 v16, 60
	v_lshlrev_b32_e32 v4, 20, v4
	v_and_b32_e32 v6, 0x80000000, v6
	v_lshl_add_u32 v5, v5, 23, v16
	v_or3_b32 v16, v6, v5, v4
.LBB403_1887:                           ;   in Loop: Header=BB403_1003 Depth=1
	s_or_b64 exec, exec, s[26:27]
.LBB403_1888:                           ;   in Loop: Header=BB403_1003 Depth=1
	s_or_b64 exec, exec, s[24:25]
.LBB403_1889:                           ;   in Loop: Header=BB403_1003 Depth=1
	s_or_b64 exec, exec, s[12:13]
	v_mul_f32_e32 v6, v27, v16
	v_and_b32_e32 v4, 0x7f800000, v6
	v_cmp_ne_u32_e64 s[4:5], s15, v4
                                        ; implicit-def: $vgpr16
	s_and_saveexec_b64 s[12:13], s[4:5]
	s_xor_b64 s[4:5], exec, s[12:13]
; %bb.1890:                             ;   in Loop: Header=BB403_1003 Depth=1
	v_bfe_u32 v4, v6, 16, 1
	v_add3_u32 v16, v6, v4, s21
                                        ; implicit-def: $vgpr6
; %bb.1891:                             ;   in Loop: Header=BB403_1003 Depth=1
	s_andn2_saveexec_b64 s[12:13], s[4:5]
; %bb.1892:                             ;   in Loop: Header=BB403_1003 Depth=1
	v_or_b32_e32 v4, 0x10000, v6
	v_cmp_eq_u32_sdwa s[4:5], v6, v33 src0_sel:WORD_0 src1_sel:DWORD
	v_cndmask_b32_e64 v16, v4, v6, s[4:5]
; %bb.1893:                             ;   in Loop: Header=BB403_1003 Depth=1
	s_or_b64 exec, exec, s[12:13]
	v_lshrrev_b32_e32 v6, 16, v3
	v_cmp_ne_u16_sdwa s[4:5], v6, v33 src0_sel:BYTE_0 src1_sel:DWORD
	v_mov_b32_e32 v22, 0
	s_and_saveexec_b64 s[12:13], s[4:5]
	s_cbranch_execz .LBB403_1899
; %bb.1894:                             ;   in Loop: Header=BB403_1003 Depth=1
	v_cmp_ne_u16_sdwa s[4:5], v6, s28 src0_sel:BYTE_0 src1_sel:DWORD
	v_bfrev_b32_e32 v22, 1
	s_and_saveexec_b64 s[24:25], s[4:5]
	s_cbranch_execz .LBB403_1898
; %bb.1895:                             ;   in Loop: Header=BB403_1003 Depth=1
	v_bfe_u32 v26, v3, 16, 7
	v_cmp_ne_u32_e64 s[4:5], s29, v26
	v_mov_b32_e32 v22, 0x7f800001
	s_and_saveexec_b64 s[26:27], s[4:5]
	s_cbranch_execz .LBB403_1897
; %bb.1896:                             ;   in Loop: Header=BB403_1003 Depth=1
	v_and_b32_e32 v4, 7, v6
	v_ffbh_u32_e32 v22, v4
	v_min_u32_e32 v22, 32, v22
	v_subrev_u32_e32 v32, 28, v22
	v_lshlrev_b64 v[38:39], v32, v[6:7]
	v_lshrrev_b32_e32 v5, 3, v26
	v_sub_u32_e32 v22, 29, v22
	v_and_b32_e32 v32, 7, v38
	v_cmp_gt_u32_e64 s[4:5], 8, v26
	v_cndmask_b32_e64 v5, v5, v22, s[4:5]
	v_cndmask_b32_e64 v4, v4, v32, s[4:5]
	v_lshlrev_b32_e32 v6, 24, v6
	v_bfrev_b32_e32 v22, 60
	v_lshlrev_b32_e32 v4, 20, v4
	v_and_b32_e32 v6, 0x80000000, v6
	v_lshl_add_u32 v5, v5, 23, v22
	v_or3_b32 v22, v6, v5, v4
.LBB403_1897:                           ;   in Loop: Header=BB403_1003 Depth=1
	s_or_b64 exec, exec, s[26:27]
.LBB403_1898:                           ;   in Loop: Header=BB403_1003 Depth=1
	s_or_b64 exec, exec, s[24:25]
.LBB403_1899:                           ;   in Loop: Header=BB403_1003 Depth=1
	s_or_b64 exec, exec, s[12:13]
	v_mul_f32_e32 v6, v27, v22
	v_and_b32_e32 v4, 0x7f800000, v6
	v_cmp_ne_u32_e64 s[4:5], s15, v4
                                        ; implicit-def: $vgpr22
	s_and_saveexec_b64 s[12:13], s[4:5]
	s_xor_b64 s[4:5], exec, s[12:13]
; %bb.1900:                             ;   in Loop: Header=BB403_1003 Depth=1
	v_bfe_u32 v4, v6, 16, 1
	v_add3_u32 v22, v6, v4, s21
                                        ; implicit-def: $vgpr6
; %bb.1901:                             ;   in Loop: Header=BB403_1003 Depth=1
	s_andn2_saveexec_b64 s[12:13], s[4:5]
; %bb.1902:                             ;   in Loop: Header=BB403_1003 Depth=1
	v_or_b32_e32 v4, 0x10000, v6
	v_cmp_eq_u32_sdwa s[4:5], v6, v33 src0_sel:WORD_0 src1_sel:DWORD
	v_cndmask_b32_e64 v22, v4, v6, s[4:5]
; %bb.1903:                             ;   in Loop: Header=BB403_1003 Depth=1
	s_or_b64 exec, exec, s[12:13]
	v_cmp_lt_u64_e64 s[4:5], s[8:9], v[2:3]
	v_mov_b32_e32 v6, 0
	s_and_saveexec_b64 s[12:13], s[4:5]
	s_cbranch_execz .LBB403_1909
; %bb.1904:                             ;   in Loop: Header=BB403_1003 Depth=1
	v_lshrrev_b32_e32 v2, 24, v3
	v_cmp_ne_u32_e64 s[4:5], s28, v2
	v_bfrev_b32_e32 v6, 1
	s_and_saveexec_b64 s[24:25], s[4:5]
	s_cbranch_execz .LBB403_1908
; %bb.1905:                             ;   in Loop: Header=BB403_1003 Depth=1
	v_bfe_u32 v3, v3, 24, 7
	v_cmp_ne_u32_e64 s[4:5], s29, v3
	v_mov_b32_e32 v6, 0x7f800001
	s_and_saveexec_b64 s[26:27], s[4:5]
	s_cbranch_execz .LBB403_1907
; %bb.1906:                             ;   in Loop: Header=BB403_1003 Depth=1
	v_and_b32_e32 v4, 7, v2
	v_ffbh_u32_e32 v6, v4
	v_min_u32_e32 v6, 32, v6
	v_subrev_u32_e32 v26, 28, v6
	v_lshlrev_b64 v[38:39], v26, v[2:3]
	v_lshrrev_b32_e32 v5, 3, v3
	v_sub_u32_e32 v6, 29, v6
	v_and_b32_e32 v26, 7, v38
	v_cmp_gt_u32_e64 s[4:5], 8, v3
	v_cndmask_b32_e64 v3, v5, v6, s[4:5]
	v_cndmask_b32_e64 v4, v4, v26, s[4:5]
	v_lshlrev_b32_e32 v2, 24, v2
	v_bfrev_b32_e32 v5, 60
	v_lshlrev_b32_e32 v4, 20, v4
	v_and_b32_e32 v2, 0x80000000, v2
	v_lshl_add_u32 v3, v3, 23, v5
	v_or3_b32 v6, v2, v3, v4
.LBB403_1907:                           ;   in Loop: Header=BB403_1003 Depth=1
	s_or_b64 exec, exec, s[26:27]
.LBB403_1908:                           ;   in Loop: Header=BB403_1003 Depth=1
	s_or_b64 exec, exec, s[24:25]
.LBB403_1909:                           ;   in Loop: Header=BB403_1003 Depth=1
	s_or_b64 exec, exec, s[12:13]
	v_mul_f32_e32 v3, v27, v6
	v_and_b32_e32 v2, 0x7f800000, v3
	v_cmp_ne_u32_e64 s[4:5], s15, v2
                                        ; implicit-def: $vgpr2
	s_and_saveexec_b64 s[12:13], s[4:5]
	s_xor_b64 s[4:5], exec, s[12:13]
; %bb.1910:                             ;   in Loop: Header=BB403_1003 Depth=1
	v_bfe_u32 v2, v3, 16, 1
	v_add3_u32 v2, v3, v2, s21
                                        ; implicit-def: $vgpr3
; %bb.1911:                             ;   in Loop: Header=BB403_1003 Depth=1
	s_andn2_saveexec_b64 s[12:13], s[4:5]
; %bb.1912:                             ;   in Loop: Header=BB403_1003 Depth=1
	v_or_b32_e32 v2, 0x10000, v3
	v_cmp_eq_u32_sdwa s[4:5], v3, v33 src0_sel:WORD_0 src1_sel:DWORD
	v_cndmask_b32_e64 v2, v2, v3, s[4:5]
; %bb.1913:                             ;   in Loop: Header=BB403_1003 Depth=1
	s_or_b64 exec, exec, s[12:13]
	v_lshrrev_b32_e32 v6, 16, v16
	v_lshrrev_b32_e32 v11, 16, v11
	;; [unrolled: 1-line block ×8, first 2 shown]
	s_and_saveexec_b64 s[12:13], vcc
	s_cbranch_execz .LBB403_1915
; %bb.1914:                             ;   in Loop: Header=BB403_1003 Depth=1
	v_accvgpr_read_b32 v4, a26
	v_cmp_lt_i32_e64 s[4:5], v4, v37
	v_accvgpr_read_b32 v4, a32
	v_cndmask_b32_e64 v7, 0, v7, s[4:5]
	v_cmp_lt_i32_e64 s[4:5], v4, v37
	v_accvgpr_read_b32 v4, a31
	v_cndmask_b32_e64 v8, 0, v8, s[4:5]
	;; [unrolled: 3-line block ×6, first 2 shown]
	v_cmp_lt_i32_e64 s[4:5], v4, v37
	v_cndmask_b32_e64 v3, 0, v3, s[4:5]
	v_cmp_lt_i32_e64 s[4:5], v17, v37
	v_cndmask_b32_e64 v2, 0, v2, s[4:5]
.LBB403_1915:                           ;   in Loop: Header=BB403_1003 Depth=1
	s_or_b64 exec, exec, s[12:13]
	v_lshlrev_b32_e32 v4, 16, v7
	v_mul_f32_e32 v7, v48, v4
	v_and_b32_e32 v4, 0x7f800000, v7
	v_cmp_ne_u32_e64 s[4:5], s15, v4
                                        ; implicit-def: $agpr17
	s_and_saveexec_b64 s[12:13], s[4:5]
	s_xor_b64 s[4:5], exec, s[12:13]
; %bb.1916:                             ;   in Loop: Header=BB403_1003 Depth=1
	v_bfe_u32 v4, v7, 16, 1
	v_add3_u32 v4, v7, v4, s21
	v_accvgpr_write_b32 a17, v4
                                        ; implicit-def: $vgpr7
; %bb.1917:                             ;   in Loop: Header=BB403_1003 Depth=1
	s_andn2_saveexec_b64 s[12:13], s[4:5]
; %bb.1918:                             ;   in Loop: Header=BB403_1003 Depth=1
	v_or_b32_e32 v4, 0x10000, v7
	v_cmp_eq_u32_sdwa s[4:5], v7, v33 src0_sel:WORD_0 src1_sel:DWORD
	v_cndmask_b32_e64 v4, v4, v7, s[4:5]
	v_accvgpr_write_b32 a17, v4
; %bb.1919:                             ;   in Loop: Header=BB403_1003 Depth=1
	s_or_b64 exec, exec, s[12:13]
	v_lshlrev_b32_e32 v4, 16, v8
	v_mul_f32_e32 v7, v51, v4
	v_and_b32_e32 v4, 0x7f800000, v7
	v_cmp_ne_u32_e64 s[4:5], s15, v4
                                        ; implicit-def: $agpr19
	s_and_saveexec_b64 s[12:13], s[4:5]
	s_xor_b64 s[4:5], exec, s[12:13]
; %bb.1920:                             ;   in Loop: Header=BB403_1003 Depth=1
	v_bfe_u32 v4, v7, 16, 1
	v_add3_u32 v4, v7, v4, s21
	v_accvgpr_write_b32 a19, v4
                                        ; implicit-def: $vgpr7
; %bb.1921:                             ;   in Loop: Header=BB403_1003 Depth=1
	s_andn2_saveexec_b64 s[12:13], s[4:5]
; %bb.1922:                             ;   in Loop: Header=BB403_1003 Depth=1
	v_or_b32_e32 v4, 0x10000, v7
	v_cmp_eq_u32_sdwa s[4:5], v7, v33 src0_sel:WORD_0 src1_sel:DWORD
	v_cndmask_b32_e64 v4, v4, v7, s[4:5]
	v_accvgpr_write_b32 a19, v4
; %bb.1923:                             ;   in Loop: Header=BB403_1003 Depth=1
	s_or_b64 exec, exec, s[12:13]
	v_lshlrev_b32_e32 v4, 16, v9
	v_mul_f32_e32 v7, v49, v4
	v_and_b32_e32 v4, 0x7f800000, v7
	v_cmp_ne_u32_e64 s[4:5], s15, v4
                                        ; implicit-def: $agpr21
	s_and_saveexec_b64 s[12:13], s[4:5]
	s_xor_b64 s[4:5], exec, s[12:13]
; %bb.1924:                             ;   in Loop: Header=BB403_1003 Depth=1
	v_bfe_u32 v4, v7, 16, 1
	v_add3_u32 v4, v7, v4, s21
	v_accvgpr_write_b32 a21, v4
                                        ; implicit-def: $vgpr7
; %bb.1925:                             ;   in Loop: Header=BB403_1003 Depth=1
	s_andn2_saveexec_b64 s[12:13], s[4:5]
; %bb.1926:                             ;   in Loop: Header=BB403_1003 Depth=1
	v_or_b32_e32 v4, 0x10000, v7
	v_cmp_eq_u32_sdwa s[4:5], v7, v33 src0_sel:WORD_0 src1_sel:DWORD
	v_cndmask_b32_e64 v4, v4, v7, s[4:5]
	v_accvgpr_write_b32 a21, v4
; %bb.1927:                             ;   in Loop: Header=BB403_1003 Depth=1
	s_or_b64 exec, exec, s[12:13]
	v_lshlrev_b32_e32 v4, 16, v10
	v_mul_f32_e32 v7, v23, v4
	v_and_b32_e32 v4, 0x7f800000, v7
	v_cmp_ne_u32_e64 s[4:5], s15, v4
                                        ; implicit-def: $agpr23
	s_and_saveexec_b64 s[12:13], s[4:5]
	s_xor_b64 s[4:5], exec, s[12:13]
; %bb.1928:                             ;   in Loop: Header=BB403_1003 Depth=1
	v_bfe_u32 v4, v7, 16, 1
	v_add3_u32 v4, v7, v4, s21
	v_accvgpr_write_b32 a23, v4
                                        ; implicit-def: $vgpr7
; %bb.1929:                             ;   in Loop: Header=BB403_1003 Depth=1
	s_andn2_saveexec_b64 s[12:13], s[4:5]
; %bb.1930:                             ;   in Loop: Header=BB403_1003 Depth=1
	v_or_b32_e32 v4, 0x10000, v7
	v_cmp_eq_u32_sdwa s[4:5], v7, v33 src0_sel:WORD_0 src1_sel:DWORD
	v_cndmask_b32_e64 v4, v4, v7, s[4:5]
	v_accvgpr_write_b32 a23, v4
; %bb.1931:                             ;   in Loop: Header=BB403_1003 Depth=1
	s_or_b64 exec, exec, s[12:13]
	v_lshlrev_b32_e32 v4, 16, v11
	v_mul_f32_e32 v7, v54, v4
	v_and_b32_e32 v4, 0x7f800000, v7
	v_cmp_ne_u32_e64 s[4:5], s15, v4
                                        ; implicit-def: $agpr24
	s_and_saveexec_b64 s[12:13], s[4:5]
	s_xor_b64 s[4:5], exec, s[12:13]
; %bb.1932:                             ;   in Loop: Header=BB403_1003 Depth=1
	v_bfe_u32 v4, v7, 16, 1
	v_add3_u32 v4, v7, v4, s21
	v_accvgpr_write_b32 a24, v4
                                        ; implicit-def: $vgpr7
; %bb.1933:                             ;   in Loop: Header=BB403_1003 Depth=1
	s_andn2_saveexec_b64 s[12:13], s[4:5]
; %bb.1934:                             ;   in Loop: Header=BB403_1003 Depth=1
	v_or_b32_e32 v4, 0x10000, v7
	v_cmp_eq_u32_sdwa s[4:5], v7, v33 src0_sel:WORD_0 src1_sel:DWORD
	v_cndmask_b32_e64 v4, v4, v7, s[4:5]
	v_accvgpr_write_b32 a24, v4
; %bb.1935:                             ;   in Loop: Header=BB403_1003 Depth=1
	s_or_b64 exec, exec, s[12:13]
	v_lshlrev_b32_e32 v4, 16, v6
	v_mul_f32_e32 v6, v61, v4
	v_and_b32_e32 v4, 0x7f800000, v6
	v_cmp_ne_u32_e64 s[4:5], s15, v4
                                        ; implicit-def: $agpr25
	s_and_saveexec_b64 s[12:13], s[4:5]
	s_xor_b64 s[4:5], exec, s[12:13]
; %bb.1936:                             ;   in Loop: Header=BB403_1003 Depth=1
	v_bfe_u32 v4, v6, 16, 1
	v_add3_u32 v4, v6, v4, s21
	v_accvgpr_write_b32 a25, v4
                                        ; implicit-def: $vgpr6
; %bb.1937:                             ;   in Loop: Header=BB403_1003 Depth=1
	s_andn2_saveexec_b64 s[12:13], s[4:5]
; %bb.1938:                             ;   in Loop: Header=BB403_1003 Depth=1
	v_or_b32_e32 v4, 0x10000, v6
	v_cmp_eq_u32_sdwa s[4:5], v6, v33 src0_sel:WORD_0 src1_sel:DWORD
	v_cndmask_b32_e64 v4, v4, v6, s[4:5]
	v_accvgpr_write_b32 a25, v4
; %bb.1939:                             ;   in Loop: Header=BB403_1003 Depth=1
	s_or_b64 exec, exec, s[12:13]
	v_lshlrev_b32_e32 v3, 16, v3
	v_mul_f32_e32 v3, v35, v3
	v_and_b32_e32 v4, 0x7f800000, v3
	v_cmp_ne_u32_e64 s[4:5], s15, v4
                                        ; implicit-def: $agpr35
	s_and_saveexec_b64 s[12:13], s[4:5]
	s_xor_b64 s[4:5], exec, s[12:13]
; %bb.1940:                             ;   in Loop: Header=BB403_1003 Depth=1
	v_bfe_u32 v4, v3, 16, 1
	v_add3_u32 v3, v3, v4, s21
	v_accvgpr_write_b32 a35, v3
                                        ; implicit-def: $vgpr3
; %bb.1941:                             ;   in Loop: Header=BB403_1003 Depth=1
	s_andn2_saveexec_b64 s[12:13], s[4:5]
; %bb.1942:                             ;   in Loop: Header=BB403_1003 Depth=1
	v_or_b32_e32 v4, 0x10000, v3
	v_cmp_eq_u32_sdwa s[4:5], v3, v33 src0_sel:WORD_0 src1_sel:DWORD
	v_cndmask_b32_e64 v3, v4, v3, s[4:5]
	v_accvgpr_write_b32 a35, v3
; %bb.1943:                             ;   in Loop: Header=BB403_1003 Depth=1
	s_or_b64 exec, exec, s[12:13]
	v_lshlrev_b32_e32 v2, 16, v2
	v_mul_f32_e32 v2, v50, v2
	v_and_b32_e32 v3, 0x7f800000, v2
	v_cmp_ne_u32_e64 s[4:5], s15, v3
                                        ; implicit-def: $agpr36
	s_and_saveexec_b64 s[12:13], s[4:5]
	s_xor_b64 s[4:5], exec, s[12:13]
; %bb.1944:                             ;   in Loop: Header=BB403_1003 Depth=1
	v_bfe_u32 v3, v2, 16, 1
	v_add3_u32 v2, v2, v3, s21
	v_accvgpr_write_b32 a36, v2
                                        ; implicit-def: $vgpr2
; %bb.1945:                             ;   in Loop: Header=BB403_1003 Depth=1
	s_andn2_saveexec_b64 s[12:13], s[4:5]
; %bb.1946:                             ;   in Loop: Header=BB403_1003 Depth=1
	v_or_b32_e32 v3, 0x10000, v2
	v_cmp_eq_u32_sdwa s[4:5], v2, v33 src0_sel:WORD_0 src1_sel:DWORD
	v_cndmask_b32_e64 v2, v3, v2, s[4:5]
	v_accvgpr_write_b32 a36, v2
; %bb.1947:                             ;   in Loop: Header=BB403_1003 Depth=1
	s_or_b64 exec, exec, s[12:13]
	buffer_load_dword v2, off, s[0:3], s32 offset:248 ; 4-byte Folded Reload
	buffer_load_dword v3, off, s[0:3], s32 offset:252 ; 4-byte Folded Reload
	v_mov_b32_e32 v6, 0
	s_waitcnt vmcnt(1)
	v_add_co_u32_e64 v2, s[4:5], v0, v2
	s_waitcnt vmcnt(0)
	v_addc_co_u32_e64 v3, s[4:5], 0, v1, s[4:5]
	flat_load_dwordx2 v[2:3], v[2:3]
	s_waitcnt vmcnt(0) lgkmcnt(0)
	v_cmp_ne_u16_sdwa s[4:5], v2, v33 src0_sel:BYTE_0 src1_sel:DWORD
	s_and_saveexec_b64 s[12:13], s[4:5]
	s_cbranch_execz .LBB403_1953
; %bb.1948:                             ;   in Loop: Header=BB403_1003 Depth=1
	v_cmp_ne_u16_sdwa s[4:5], v2, s28 src0_sel:BYTE_0 src1_sel:DWORD
	v_bfrev_b32_e32 v6, 1
	s_and_saveexec_b64 s[24:25], s[4:5]
	s_cbranch_execz .LBB403_1952
; %bb.1949:                             ;   in Loop: Header=BB403_1003 Depth=1
	v_and_b32_e32 v7, 0x7f, v2
	v_cmp_ne_u32_e64 s[4:5], s29, v7
	v_mov_b32_e32 v6, 0x7f800001
	s_and_saveexec_b64 s[26:27], s[4:5]
	s_cbranch_execz .LBB403_1951
; %bb.1950:                             ;   in Loop: Header=BB403_1003 Depth=1
	v_and_b32_e32 v4, 7, v2
	v_ffbh_u32_e32 v4, v4
	v_min_u32_e32 v4, 32, v4
	v_lshrrev_b32_e32 v5, 3, v7
	v_subrev_u32_e32 v6, 28, v4
	v_sub_u32_e32 v4, 29, v4
	v_cmp_gt_u32_e64 s[4:5], 8, v7
	v_cndmask_b32_e64 v4, v5, v4, s[4:5]
	v_cndmask_b32_e64 v5, 0, v6, s[4:5]
	v_lshlrev_b64 v[6:7], v5, v[2:3]
	v_lshlrev_b32_e32 v5, 20, v6
	v_lshlrev_b32_e32 v6, 24, v2
	v_bfrev_b32_e32 v7, 60
	v_and_b32_e32 v5, 0x700000, v5
	v_and_b32_e32 v6, 0x80000000, v6
	v_lshl_add_u32 v4, v4, 23, v7
	v_or3_b32 v6, v6, v4, v5
.LBB403_1951:                           ;   in Loop: Header=BB403_1003 Depth=1
	s_or_b64 exec, exec, s[26:27]
.LBB403_1952:                           ;   in Loop: Header=BB403_1003 Depth=1
	s_or_b64 exec, exec, s[24:25]
.LBB403_1953:                           ;   in Loop: Header=BB403_1003 Depth=1
	s_or_b64 exec, exec, s[12:13]
	v_mul_f32_e32 v6, v27, v6
	v_and_b32_e32 v4, 0x7f800000, v6
	v_cmp_ne_u32_e64 s[4:5], s15, v4
                                        ; implicit-def: $vgpr7
	s_and_saveexec_b64 s[12:13], s[4:5]
	s_xor_b64 s[4:5], exec, s[12:13]
; %bb.1954:                             ;   in Loop: Header=BB403_1003 Depth=1
	v_bfe_u32 v4, v6, 16, 1
	v_add3_u32 v7, v6, v4, s21
                                        ; implicit-def: $vgpr6
; %bb.1955:                             ;   in Loop: Header=BB403_1003 Depth=1
	s_andn2_saveexec_b64 s[12:13], s[4:5]
; %bb.1956:                             ;   in Loop: Header=BB403_1003 Depth=1
	v_or_b32_e32 v4, 0x10000, v6
	v_cmp_eq_u32_sdwa s[4:5], v6, v33 src0_sel:WORD_0 src1_sel:DWORD
	v_cndmask_b32_e64 v7, v4, v6, s[4:5]
; %bb.1957:                             ;   in Loop: Header=BB403_1003 Depth=1
	s_or_b64 exec, exec, s[12:13]
	v_lshrrev_b16_e32 v6, 8, v2
	v_cmp_ne_u16_e64 s[4:5], 0, v6
	v_mov_b32_e32 v8, 0
	s_and_saveexec_b64 s[12:13], s[4:5]
	s_cbranch_execz .LBB403_1963
; %bb.1958:                             ;   in Loop: Header=BB403_1003 Depth=1
	v_cmp_ne_u16_e64 s[4:5], s28, v6
	v_bfrev_b32_e32 v8, 1
	s_and_saveexec_b64 s[24:25], s[4:5]
	s_cbranch_execz .LBB403_1962
; %bb.1959:                             ;   in Loop: Header=BB403_1003 Depth=1
	v_and_b32_e32 v9, 0x7f, v6
	v_cmp_ne_u32_e64 s[4:5], s29, v9
	v_mov_b32_e32 v8, 0x7f800001
	s_and_saveexec_b64 s[26:27], s[4:5]
	s_cbranch_execz .LBB403_1961
; %bb.1960:                             ;   in Loop: Header=BB403_1003 Depth=1
	v_and_b32_e32 v4, 7, v6
	v_ffbh_u32_e32 v8, v4
	v_min_u32_e32 v10, 32, v8
	v_subrev_u32_e32 v8, 28, v10
	v_lshrrev_b32_e32 v5, 3, v9
	v_cmp_gt_u32_e64 s[4:5], 8, v9
	v_lshlrev_b64 v[8:9], v8, v[6:7]
	v_sub_u32_e32 v6, 29, v10
	v_and_b32_e32 v8, 7, v8
	v_cndmask_b32_e64 v5, v5, v6, s[4:5]
	v_cndmask_b32_e64 v4, v4, v8, s[4:5]
	v_lshlrev_b32_e32 v6, 16, v2
	v_bfrev_b32_e32 v8, 60
	v_lshlrev_b32_e32 v4, 20, v4
	v_and_b32_e32 v6, 0x80000000, v6
	v_lshl_add_u32 v5, v5, 23, v8
	v_or3_b32 v8, v6, v5, v4
.LBB403_1961:                           ;   in Loop: Header=BB403_1003 Depth=1
	s_or_b64 exec, exec, s[26:27]
.LBB403_1962:                           ;   in Loop: Header=BB403_1003 Depth=1
	s_or_b64 exec, exec, s[24:25]
.LBB403_1963:                           ;   in Loop: Header=BB403_1003 Depth=1
	s_or_b64 exec, exec, s[12:13]
	v_mul_f32_e32 v6, v27, v8
	v_and_b32_e32 v4, 0x7f800000, v6
	v_cmp_ne_u32_e64 s[4:5], s15, v4
                                        ; implicit-def: $vgpr8
	s_and_saveexec_b64 s[12:13], s[4:5]
	s_xor_b64 s[4:5], exec, s[12:13]
; %bb.1964:                             ;   in Loop: Header=BB403_1003 Depth=1
	v_bfe_u32 v4, v6, 16, 1
	v_add3_u32 v8, v6, v4, s21
                                        ; implicit-def: $vgpr6
; %bb.1965:                             ;   in Loop: Header=BB403_1003 Depth=1
	s_andn2_saveexec_b64 s[12:13], s[4:5]
; %bb.1966:                             ;   in Loop: Header=BB403_1003 Depth=1
	v_or_b32_e32 v4, 0x10000, v6
	v_cmp_eq_u32_sdwa s[4:5], v6, v33 src0_sel:WORD_0 src1_sel:DWORD
	v_cndmask_b32_e64 v8, v4, v6, s[4:5]
; %bb.1967:                             ;   in Loop: Header=BB403_1003 Depth=1
	s_or_b64 exec, exec, s[12:13]
	v_lshrrev_b32_e32 v6, 16, v2
	v_cmp_ne_u16_sdwa s[4:5], v6, v33 src0_sel:BYTE_0 src1_sel:DWORD
	v_mov_b32_e32 v9, 0
	s_and_saveexec_b64 s[12:13], s[4:5]
	s_cbranch_execz .LBB403_1973
; %bb.1968:                             ;   in Loop: Header=BB403_1003 Depth=1
	v_cmp_ne_u16_sdwa s[4:5], v6, s28 src0_sel:BYTE_0 src1_sel:DWORD
	v_bfrev_b32_e32 v9, 1
	s_and_saveexec_b64 s[24:25], s[4:5]
	s_cbranch_execz .LBB403_1972
; %bb.1969:                             ;   in Loop: Header=BB403_1003 Depth=1
	v_bfe_u32 v10, v2, 16, 7
	v_cmp_ne_u32_e64 s[4:5], s29, v10
	v_mov_b32_e32 v9, 0x7f800001
	s_and_saveexec_b64 s[26:27], s[4:5]
	s_cbranch_execz .LBB403_1971
; %bb.1970:                             ;   in Loop: Header=BB403_1003 Depth=1
	v_and_b32_e32 v4, 7, v6
	v_ffbh_u32_e32 v9, v4
	v_min_u32_e32 v9, 32, v9
	v_lshrrev_b32_e32 v5, 3, v10
	v_cmp_gt_u32_e64 s[4:5], 8, v10
	v_subrev_u32_e32 v10, 28, v9
	v_lshlrev_b64 v[10:11], v10, v[6:7]
	v_sub_u32_e32 v9, 29, v9
	v_and_b32_e32 v10, 7, v10
	v_cndmask_b32_e64 v5, v5, v9, s[4:5]
	v_cndmask_b32_e64 v4, v4, v10, s[4:5]
	v_lshlrev_b32_e32 v6, 24, v6
	v_bfrev_b32_e32 v9, 60
	v_lshlrev_b32_e32 v4, 20, v4
	v_and_b32_e32 v6, 0x80000000, v6
	v_lshl_add_u32 v5, v5, 23, v9
	v_or3_b32 v9, v6, v5, v4
.LBB403_1971:                           ;   in Loop: Header=BB403_1003 Depth=1
	s_or_b64 exec, exec, s[26:27]
.LBB403_1972:                           ;   in Loop: Header=BB403_1003 Depth=1
	s_or_b64 exec, exec, s[24:25]
.LBB403_1973:                           ;   in Loop: Header=BB403_1003 Depth=1
	s_or_b64 exec, exec, s[12:13]
	v_mul_f32_e32 v6, v27, v9
	v_and_b32_e32 v4, 0x7f800000, v6
	v_cmp_ne_u32_e64 s[4:5], s15, v4
                                        ; implicit-def: $vgpr9
	s_and_saveexec_b64 s[12:13], s[4:5]
	s_xor_b64 s[4:5], exec, s[12:13]
; %bb.1974:                             ;   in Loop: Header=BB403_1003 Depth=1
	v_bfe_u32 v4, v6, 16, 1
	v_add3_u32 v9, v6, v4, s21
                                        ; implicit-def: $vgpr6
; %bb.1975:                             ;   in Loop: Header=BB403_1003 Depth=1
	s_andn2_saveexec_b64 s[12:13], s[4:5]
; %bb.1976:                             ;   in Loop: Header=BB403_1003 Depth=1
	v_or_b32_e32 v4, 0x10000, v6
	v_cmp_eq_u32_sdwa s[4:5], v6, v33 src0_sel:WORD_0 src1_sel:DWORD
	v_cndmask_b32_e64 v9, v4, v6, s[4:5]
; %bb.1977:                             ;   in Loop: Header=BB403_1003 Depth=1
	s_or_b64 exec, exec, s[12:13]
	v_cmp_lt_u32_e64 s[4:5], s9, v2
	v_mov_b32_e32 v10, 0
	s_and_saveexec_b64 s[12:13], s[4:5]
	s_cbranch_execz .LBB403_1983
; %bb.1978:                             ;   in Loop: Header=BB403_1003 Depth=1
	v_lshrrev_b32_e32 v6, 24, v2
	v_cmp_ne_u32_e64 s[4:5], s28, v6
	v_bfrev_b32_e32 v10, 1
	s_and_saveexec_b64 s[24:25], s[4:5]
	s_cbranch_execz .LBB403_1982
; %bb.1979:                             ;   in Loop: Header=BB403_1003 Depth=1
	v_bfe_u32 v11, v2, 24, 7
	v_cmp_ne_u32_e64 s[4:5], s29, v11
	v_mov_b32_e32 v10, 0x7f800001
	s_and_saveexec_b64 s[26:27], s[4:5]
	s_cbranch_execz .LBB403_1981
; %bb.1980:                             ;   in Loop: Header=BB403_1003 Depth=1
	v_and_b32_e32 v4, 7, v6
	v_ffbh_u32_e32 v10, v4
	v_min_u32_e32 v16, 32, v10
	v_subrev_u32_e32 v10, 28, v16
	v_lshrrev_b32_e32 v5, 3, v11
	v_cmp_gt_u32_e64 s[4:5], 8, v11
	v_lshlrev_b64 v[10:11], v10, v[6:7]
	v_sub_u32_e32 v11, 29, v16
	v_and_b32_e32 v10, 7, v10
	v_cndmask_b32_e64 v5, v5, v11, s[4:5]
	v_cndmask_b32_e64 v4, v4, v10, s[4:5]
	v_lshlrev_b32_e32 v6, 24, v6
	v_bfrev_b32_e32 v10, 60
	v_lshlrev_b32_e32 v4, 20, v4
	v_and_b32_e32 v6, 0x80000000, v6
	v_lshl_add_u32 v5, v5, 23, v10
	v_or3_b32 v10, v6, v5, v4
.LBB403_1981:                           ;   in Loop: Header=BB403_1003 Depth=1
	s_or_b64 exec, exec, s[26:27]
.LBB403_1982:                           ;   in Loop: Header=BB403_1003 Depth=1
	s_or_b64 exec, exec, s[24:25]
.LBB403_1983:                           ;   in Loop: Header=BB403_1003 Depth=1
	s_or_b64 exec, exec, s[12:13]
	v_mul_f32_e32 v6, v27, v10
	v_and_b32_e32 v4, 0x7f800000, v6
	v_cmp_ne_u32_e64 s[4:5], s15, v4
                                        ; implicit-def: $vgpr10
	s_and_saveexec_b64 s[12:13], s[4:5]
	s_xor_b64 s[4:5], exec, s[12:13]
; %bb.1984:                             ;   in Loop: Header=BB403_1003 Depth=1
	v_bfe_u32 v4, v6, 16, 1
	v_add3_u32 v10, v6, v4, s21
                                        ; implicit-def: $vgpr6
; %bb.1985:                             ;   in Loop: Header=BB403_1003 Depth=1
	s_andn2_saveexec_b64 s[12:13], s[4:5]
; %bb.1986:                             ;   in Loop: Header=BB403_1003 Depth=1
	v_or_b32_e32 v4, 0x10000, v6
	v_cmp_eq_u32_sdwa s[4:5], v6, v33 src0_sel:WORD_0 src1_sel:DWORD
	v_cndmask_b32_e64 v10, v4, v6, s[4:5]
; %bb.1987:                             ;   in Loop: Header=BB403_1003 Depth=1
	s_or_b64 exec, exec, s[12:13]
	v_mov_b32_e32 v32, v3
	v_cmp_ne_u16_sdwa s[4:5], v3, v33 src0_sel:BYTE_0 src1_sel:DWORD
	v_mov_b32_e32 v6, 0
	s_and_saveexec_b64 s[12:13], s[4:5]
	s_cbranch_execz .LBB403_1993
; %bb.1988:                             ;   in Loop: Header=BB403_1003 Depth=1
	v_cmp_ne_u16_sdwa s[4:5], v3, s28 src0_sel:BYTE_0 src1_sel:DWORD
	v_bfrev_b32_e32 v6, 1
	s_and_saveexec_b64 s[24:25], s[4:5]
	s_cbranch_execz .LBB403_1992
; %bb.1989:                             ;   in Loop: Header=BB403_1003 Depth=1
	v_and_b32_e32 v11, 0x7f, v3
	v_cmp_ne_u32_e64 s[4:5], s29, v11
	v_mov_b32_e32 v6, 0x7f800001
	s_and_saveexec_b64 s[26:27], s[4:5]
	s_cbranch_execz .LBB403_1991
; %bb.1990:                             ;   in Loop: Header=BB403_1003 Depth=1
	v_and_b32_e32 v4, 7, v3
	v_ffbh_u32_e32 v4, v4
	v_min_u32_e32 v4, 32, v4
	v_lshrrev_b32_e32 v5, 3, v11
	v_cmp_gt_u32_e64 s[4:5], 8, v11
	v_subrev_u32_e32 v6, 28, v4
	v_sub_u32_e32 v4, 29, v4
	v_cndmask_b32_e64 v4, v5, v4, s[4:5]
	v_cndmask_b32_e64 v5, 0, v6, s[4:5]
	v_lshlrev_b64 v[38:39], v5, v[32:33]
	v_lshlrev_b32_e32 v5, 20, v38
	v_lshlrev_b32_e32 v6, 24, v32
	v_bfrev_b32_e32 v11, 60
	v_and_b32_e32 v5, 0x700000, v5
	v_and_b32_e32 v6, 0x80000000, v6
	v_lshl_add_u32 v4, v4, 23, v11
	v_or3_b32 v6, v6, v4, v5
.LBB403_1991:                           ;   in Loop: Header=BB403_1003 Depth=1
	s_or_b64 exec, exec, s[26:27]
.LBB403_1992:                           ;   in Loop: Header=BB403_1003 Depth=1
	s_or_b64 exec, exec, s[24:25]
.LBB403_1993:                           ;   in Loop: Header=BB403_1003 Depth=1
	s_or_b64 exec, exec, s[12:13]
	v_mul_f32_e32 v6, v27, v6
	v_and_b32_e32 v4, 0x7f800000, v6
	v_cmp_ne_u32_e64 s[4:5], s15, v4
                                        ; implicit-def: $vgpr11
	s_and_saveexec_b64 s[12:13], s[4:5]
	s_xor_b64 s[4:5], exec, s[12:13]
; %bb.1994:                             ;   in Loop: Header=BB403_1003 Depth=1
	v_bfe_u32 v4, v6, 16, 1
	v_add3_u32 v11, v6, v4, s21
                                        ; implicit-def: $vgpr6
; %bb.1995:                             ;   in Loop: Header=BB403_1003 Depth=1
	s_andn2_saveexec_b64 s[12:13], s[4:5]
; %bb.1996:                             ;   in Loop: Header=BB403_1003 Depth=1
	v_or_b32_e32 v4, 0x10000, v6
	v_cmp_eq_u32_sdwa s[4:5], v6, v33 src0_sel:WORD_0 src1_sel:DWORD
	v_cndmask_b32_e64 v11, v4, v6, s[4:5]
; %bb.1997:                             ;   in Loop: Header=BB403_1003 Depth=1
	s_or_b64 exec, exec, s[12:13]
	v_lshrrev_b16_e32 v6, 8, v32
	v_cmp_ne_u16_e64 s[4:5], 0, v6
	v_mov_b32_e32 v16, 0
	s_and_saveexec_b64 s[12:13], s[4:5]
	s_cbranch_execz .LBB403_2003
; %bb.1998:                             ;   in Loop: Header=BB403_1003 Depth=1
	v_cmp_ne_u16_e64 s[4:5], s28, v6
	v_bfrev_b32_e32 v16, 1
	s_and_saveexec_b64 s[24:25], s[4:5]
	s_cbranch_execz .LBB403_2002
; %bb.1999:                             ;   in Loop: Header=BB403_1003 Depth=1
	v_and_b32_e32 v22, 0x7f, v6
	v_cmp_ne_u32_e64 s[4:5], s29, v22
	v_mov_b32_e32 v16, 0x7f800001
	s_and_saveexec_b64 s[26:27], s[4:5]
	s_cbranch_execz .LBB403_2001
; %bb.2000:                             ;   in Loop: Header=BB403_1003 Depth=1
	v_and_b32_e32 v4, 7, v6
	v_ffbh_u32_e32 v16, v4
	v_min_u32_e32 v16, 32, v16
	v_lshrrev_b32_e32 v5, 3, v22
	v_cmp_gt_u32_e64 s[4:5], 8, v22
	v_subrev_u32_e32 v22, 28, v16
	v_lshlrev_b64 v[38:39], v22, v[6:7]
	v_sub_u32_e32 v6, 29, v16
	v_and_b32_e32 v16, 7, v38
	v_cndmask_b32_e64 v5, v5, v6, s[4:5]
	v_cndmask_b32_e64 v4, v4, v16, s[4:5]
	v_lshlrev_b32_e32 v6, 16, v32
	v_bfrev_b32_e32 v16, 60
	v_lshlrev_b32_e32 v4, 20, v4
	v_and_b32_e32 v6, 0x80000000, v6
	v_lshl_add_u32 v5, v5, 23, v16
	v_or3_b32 v16, v6, v5, v4
.LBB403_2001:                           ;   in Loop: Header=BB403_1003 Depth=1
	s_or_b64 exec, exec, s[26:27]
.LBB403_2002:                           ;   in Loop: Header=BB403_1003 Depth=1
	s_or_b64 exec, exec, s[24:25]
.LBB403_2003:                           ;   in Loop: Header=BB403_1003 Depth=1
	s_or_b64 exec, exec, s[12:13]
	v_mul_f32_e32 v6, v27, v16
	v_and_b32_e32 v4, 0x7f800000, v6
	v_cmp_ne_u32_e64 s[4:5], s15, v4
                                        ; implicit-def: $vgpr16
	s_and_saveexec_b64 s[12:13], s[4:5]
	s_xor_b64 s[4:5], exec, s[12:13]
; %bb.2004:                             ;   in Loop: Header=BB403_1003 Depth=1
	v_bfe_u32 v4, v6, 16, 1
	v_add3_u32 v16, v6, v4, s21
                                        ; implicit-def: $vgpr6
; %bb.2005:                             ;   in Loop: Header=BB403_1003 Depth=1
	s_andn2_saveexec_b64 s[12:13], s[4:5]
; %bb.2006:                             ;   in Loop: Header=BB403_1003 Depth=1
	v_or_b32_e32 v4, 0x10000, v6
	v_cmp_eq_u32_sdwa s[4:5], v6, v33 src0_sel:WORD_0 src1_sel:DWORD
	v_cndmask_b32_e64 v16, v4, v6, s[4:5]
; %bb.2007:                             ;   in Loop: Header=BB403_1003 Depth=1
	s_or_b64 exec, exec, s[12:13]
	v_lshrrev_b32_e32 v6, 16, v3
	v_cmp_ne_u16_sdwa s[4:5], v6, v33 src0_sel:BYTE_0 src1_sel:DWORD
	v_mov_b32_e32 v22, 0
	s_and_saveexec_b64 s[12:13], s[4:5]
	s_cbranch_execz .LBB403_2013
; %bb.2008:                             ;   in Loop: Header=BB403_1003 Depth=1
	v_cmp_ne_u16_sdwa s[4:5], v6, s28 src0_sel:BYTE_0 src1_sel:DWORD
	v_bfrev_b32_e32 v22, 1
	s_and_saveexec_b64 s[24:25], s[4:5]
	s_cbranch_execz .LBB403_2012
; %bb.2009:                             ;   in Loop: Header=BB403_1003 Depth=1
	v_bfe_u32 v26, v3, 16, 7
	v_cmp_ne_u32_e64 s[4:5], s29, v26
	v_mov_b32_e32 v22, 0x7f800001
	s_and_saveexec_b64 s[26:27], s[4:5]
	s_cbranch_execz .LBB403_2011
; %bb.2010:                             ;   in Loop: Header=BB403_1003 Depth=1
	v_and_b32_e32 v4, 7, v6
	v_ffbh_u32_e32 v22, v4
	v_min_u32_e32 v22, 32, v22
	v_lshrrev_b32_e32 v5, 3, v26
	v_cmp_gt_u32_e64 s[4:5], 8, v26
	v_subrev_u32_e32 v26, 28, v22
	v_lshlrev_b64 v[38:39], v26, v[6:7]
	v_sub_u32_e32 v22, 29, v22
	v_and_b32_e32 v26, 7, v38
	v_cndmask_b32_e64 v5, v5, v22, s[4:5]
	v_cndmask_b32_e64 v4, v4, v26, s[4:5]
	v_lshlrev_b32_e32 v6, 24, v6
	v_bfrev_b32_e32 v22, 60
	v_lshlrev_b32_e32 v4, 20, v4
	v_and_b32_e32 v6, 0x80000000, v6
	v_lshl_add_u32 v5, v5, 23, v22
	v_or3_b32 v22, v6, v5, v4
.LBB403_2011:                           ;   in Loop: Header=BB403_1003 Depth=1
	s_or_b64 exec, exec, s[26:27]
.LBB403_2012:                           ;   in Loop: Header=BB403_1003 Depth=1
	s_or_b64 exec, exec, s[24:25]
.LBB403_2013:                           ;   in Loop: Header=BB403_1003 Depth=1
	s_or_b64 exec, exec, s[12:13]
	v_mul_f32_e32 v6, v27, v22
	v_and_b32_e32 v4, 0x7f800000, v6
	v_cmp_ne_u32_e64 s[4:5], s15, v4
                                        ; implicit-def: $vgpr22
	s_and_saveexec_b64 s[12:13], s[4:5]
	s_xor_b64 s[4:5], exec, s[12:13]
; %bb.2014:                             ;   in Loop: Header=BB403_1003 Depth=1
	v_bfe_u32 v4, v6, 16, 1
	v_add3_u32 v22, v6, v4, s21
                                        ; implicit-def: $vgpr6
; %bb.2015:                             ;   in Loop: Header=BB403_1003 Depth=1
	s_andn2_saveexec_b64 s[12:13], s[4:5]
; %bb.2016:                             ;   in Loop: Header=BB403_1003 Depth=1
	v_or_b32_e32 v4, 0x10000, v6
	v_cmp_eq_u32_sdwa s[4:5], v6, v33 src0_sel:WORD_0 src1_sel:DWORD
	v_cndmask_b32_e64 v22, v4, v6, s[4:5]
; %bb.2017:                             ;   in Loop: Header=BB403_1003 Depth=1
	s_or_b64 exec, exec, s[12:13]
	v_cmp_lt_u64_e64 s[4:5], s[8:9], v[2:3]
	v_mov_b32_e32 v6, 0
	s_and_saveexec_b64 s[12:13], s[4:5]
	s_cbranch_execz .LBB403_2023
; %bb.2018:                             ;   in Loop: Header=BB403_1003 Depth=1
	v_lshrrev_b32_e32 v2, 24, v3
	v_cmp_ne_u32_e64 s[4:5], s28, v2
	v_bfrev_b32_e32 v6, 1
	s_and_saveexec_b64 s[24:25], s[4:5]
	s_cbranch_execz .LBB403_2022
; %bb.2019:                             ;   in Loop: Header=BB403_1003 Depth=1
	v_bfe_u32 v3, v3, 24, 7
	v_cmp_ne_u32_e64 s[4:5], s29, v3
	v_mov_b32_e32 v6, 0x7f800001
	s_and_saveexec_b64 s[26:27], s[4:5]
	s_cbranch_execz .LBB403_2021
; %bb.2020:                             ;   in Loop: Header=BB403_1003 Depth=1
	v_and_b32_e32 v4, 7, v2
	v_lshrrev_b32_e32 v5, 3, v3
	v_cmp_gt_u32_e64 s[4:5], 8, v3
	v_ffbh_u32_e32 v3, v4
	v_min_u32_e32 v3, 32, v3
	v_subrev_u32_e32 v6, 28, v3
	v_lshlrev_b64 v[38:39], v6, v[2:3]
	v_sub_u32_e32 v3, 29, v3
	v_and_b32_e32 v6, 7, v38
	v_cndmask_b32_e64 v3, v5, v3, s[4:5]
	v_cndmask_b32_e64 v4, v4, v6, s[4:5]
	v_lshlrev_b32_e32 v2, 24, v2
	v_bfrev_b32_e32 v5, 60
	v_lshlrev_b32_e32 v4, 20, v4
	v_and_b32_e32 v2, 0x80000000, v2
	v_lshl_add_u32 v3, v3, 23, v5
	v_or3_b32 v6, v2, v3, v4
.LBB403_2021:                           ;   in Loop: Header=BB403_1003 Depth=1
	s_or_b64 exec, exec, s[26:27]
.LBB403_2022:                           ;   in Loop: Header=BB403_1003 Depth=1
	s_or_b64 exec, exec, s[24:25]
.LBB403_2023:                           ;   in Loop: Header=BB403_1003 Depth=1
	s_or_b64 exec, exec, s[12:13]
	v_mul_f32_e32 v3, v27, v6
	v_and_b32_e32 v2, 0x7f800000, v3
	v_cmp_ne_u32_e64 s[4:5], s15, v2
                                        ; implicit-def: $vgpr2
	s_and_saveexec_b64 s[12:13], s[4:5]
	s_xor_b64 s[4:5], exec, s[12:13]
; %bb.2024:                             ;   in Loop: Header=BB403_1003 Depth=1
	v_bfe_u32 v2, v3, 16, 1
	v_add3_u32 v2, v3, v2, s21
                                        ; implicit-def: $vgpr3
; %bb.2025:                             ;   in Loop: Header=BB403_1003 Depth=1
	s_andn2_saveexec_b64 s[12:13], s[4:5]
; %bb.2026:                             ;   in Loop: Header=BB403_1003 Depth=1
	v_or_b32_e32 v2, 0x10000, v3
	v_cmp_eq_u32_sdwa s[4:5], v3, v33 src0_sel:WORD_0 src1_sel:DWORD
	v_cndmask_b32_e64 v2, v2, v3, s[4:5]
; %bb.2027:                             ;   in Loop: Header=BB403_1003 Depth=1
	s_or_b64 exec, exec, s[12:13]
	v_lshrrev_b32_e32 v6, 16, v16
	v_lshrrev_b32_e32 v11, 16, v11
	;; [unrolled: 1-line block ×8, first 2 shown]
	s_and_saveexec_b64 s[12:13], vcc
	s_cbranch_execz .LBB403_2029
; %bb.2028:                             ;   in Loop: Header=BB403_1003 Depth=1
	v_accvgpr_read_b32 v4, a26
	v_cmp_lt_i32_e64 s[4:5], v4, v37
	v_accvgpr_read_b32 v4, a32
	v_cndmask_b32_e64 v7, 0, v7, s[4:5]
	v_cmp_lt_i32_e64 s[4:5], v4, v37
	v_accvgpr_read_b32 v4, a31
	v_cndmask_b32_e64 v8, 0, v8, s[4:5]
	v_cmp_lt_i32_e64 s[4:5], v4, v37
	v_accvgpr_read_b32 v4, a30
	v_cndmask_b32_e64 v9, 0, v9, s[4:5]
	v_cmp_lt_i32_e64 s[4:5], v4, v37
	v_accvgpr_read_b32 v4, a29
	v_cndmask_b32_e64 v10, 0, v10, s[4:5]
	v_cmp_lt_i32_e64 s[4:5], v4, v37
	v_accvgpr_read_b32 v4, a28
	v_cndmask_b32_e64 v11, 0, v11, s[4:5]
	v_cmp_lt_i32_e64 s[4:5], v4, v37
	v_accvgpr_read_b32 v4, a27
	v_cndmask_b32_e64 v6, 0, v6, s[4:5]
	v_cmp_lt_i32_e64 s[4:5], v4, v37
	v_cndmask_b32_e64 v3, 0, v3, s[4:5]
	v_cmp_lt_i32_e64 s[4:5], v17, v37
	v_cndmask_b32_e64 v2, 0, v2, s[4:5]
.LBB403_2029:                           ;   in Loop: Header=BB403_1003 Depth=1
	s_or_b64 exec, exec, s[12:13]
	v_lshlrev_b32_e32 v4, 16, v7
	v_mul_f32_e32 v7, v48, v4
	v_and_b32_e32 v4, 0x7f800000, v7
	v_cmp_ne_u32_e64 s[4:5], s15, v4
                                        ; implicit-def: $vgpr43
	s_and_saveexec_b64 s[12:13], s[4:5]
	s_xor_b64 s[4:5], exec, s[12:13]
; %bb.2030:                             ;   in Loop: Header=BB403_1003 Depth=1
	v_bfe_u32 v4, v7, 16, 1
	v_add3_u32 v43, v7, v4, s21
                                        ; implicit-def: $vgpr7
; %bb.2031:                             ;   in Loop: Header=BB403_1003 Depth=1
	s_andn2_saveexec_b64 s[12:13], s[4:5]
; %bb.2032:                             ;   in Loop: Header=BB403_1003 Depth=1
	v_or_b32_e32 v4, 0x10000, v7
	v_cmp_eq_u32_sdwa s[4:5], v7, v33 src0_sel:WORD_0 src1_sel:DWORD
	v_cndmask_b32_e64 v43, v4, v7, s[4:5]
; %bb.2033:                             ;   in Loop: Header=BB403_1003 Depth=1
	s_or_b64 exec, exec, s[12:13]
	v_lshlrev_b32_e32 v4, 16, v8
	v_mul_f32_e32 v7, v51, v4
	v_and_b32_e32 v4, 0x7f800000, v7
	v_cmp_ne_u32_e64 s[4:5], s15, v4
                                        ; implicit-def: $vgpr46
	s_and_saveexec_b64 s[12:13], s[4:5]
	s_xor_b64 s[4:5], exec, s[12:13]
; %bb.2034:                             ;   in Loop: Header=BB403_1003 Depth=1
	v_bfe_u32 v4, v7, 16, 1
	v_add3_u32 v46, v7, v4, s21
                                        ; implicit-def: $vgpr7
; %bb.2035:                             ;   in Loop: Header=BB403_1003 Depth=1
	s_andn2_saveexec_b64 s[12:13], s[4:5]
; %bb.2036:                             ;   in Loop: Header=BB403_1003 Depth=1
	v_or_b32_e32 v4, 0x10000, v7
	v_cmp_eq_u32_sdwa s[4:5], v7, v33 src0_sel:WORD_0 src1_sel:DWORD
	v_cndmask_b32_e64 v46, v4, v7, s[4:5]
; %bb.2037:                             ;   in Loop: Header=BB403_1003 Depth=1
	s_or_b64 exec, exec, s[12:13]
	v_lshlrev_b32_e32 v4, 16, v9
	v_mul_f32_e32 v7, v49, v4
	v_and_b32_e32 v4, 0x7f800000, v7
	v_cmp_ne_u32_e64 s[4:5], s15, v4
                                        ; implicit-def: $vgpr47
	s_and_saveexec_b64 s[12:13], s[4:5]
	s_xor_b64 s[4:5], exec, s[12:13]
; %bb.2038:                             ;   in Loop: Header=BB403_1003 Depth=1
	v_bfe_u32 v4, v7, 16, 1
	v_add3_u32 v47, v7, v4, s21
                                        ; implicit-def: $vgpr7
; %bb.2039:                             ;   in Loop: Header=BB403_1003 Depth=1
	s_andn2_saveexec_b64 s[12:13], s[4:5]
; %bb.2040:                             ;   in Loop: Header=BB403_1003 Depth=1
	v_or_b32_e32 v4, 0x10000, v7
	v_cmp_eq_u32_sdwa s[4:5], v7, v33 src0_sel:WORD_0 src1_sel:DWORD
	v_cndmask_b32_e64 v47, v4, v7, s[4:5]
; %bb.2041:                             ;   in Loop: Header=BB403_1003 Depth=1
	s_or_b64 exec, exec, s[12:13]
	v_lshlrev_b32_e32 v4, 16, v10
	v_mul_f32_e32 v7, v23, v4
	v_and_b32_e32 v4, 0x7f800000, v7
	v_cmp_ne_u32_e64 s[4:5], s15, v4
                                        ; implicit-def: $vgpr56
	s_and_saveexec_b64 s[12:13], s[4:5]
	s_xor_b64 s[4:5], exec, s[12:13]
; %bb.2042:                             ;   in Loop: Header=BB403_1003 Depth=1
	v_bfe_u32 v4, v7, 16, 1
	v_add3_u32 v56, v7, v4, s21
                                        ; implicit-def: $vgpr7
; %bb.2043:                             ;   in Loop: Header=BB403_1003 Depth=1
	s_andn2_saveexec_b64 s[12:13], s[4:5]
; %bb.2044:                             ;   in Loop: Header=BB403_1003 Depth=1
	v_or_b32_e32 v4, 0x10000, v7
	v_cmp_eq_u32_sdwa s[4:5], v7, v33 src0_sel:WORD_0 src1_sel:DWORD
	v_cndmask_b32_e64 v56, v4, v7, s[4:5]
; %bb.2045:                             ;   in Loop: Header=BB403_1003 Depth=1
	s_or_b64 exec, exec, s[12:13]
	v_lshlrev_b32_e32 v4, 16, v11
	v_mul_f32_e32 v7, v54, v4
	v_and_b32_e32 v4, 0x7f800000, v7
	v_cmp_ne_u32_e64 s[4:5], s15, v4
                                        ; implicit-def: $vgpr57
	s_and_saveexec_b64 s[12:13], s[4:5]
	s_xor_b64 s[4:5], exec, s[12:13]
; %bb.2046:                             ;   in Loop: Header=BB403_1003 Depth=1
	v_bfe_u32 v4, v7, 16, 1
	v_add3_u32 v57, v7, v4, s21
                                        ; implicit-def: $vgpr7
; %bb.2047:                             ;   in Loop: Header=BB403_1003 Depth=1
	s_andn2_saveexec_b64 s[12:13], s[4:5]
; %bb.2048:                             ;   in Loop: Header=BB403_1003 Depth=1
	v_or_b32_e32 v4, 0x10000, v7
	v_cmp_eq_u32_sdwa s[4:5], v7, v33 src0_sel:WORD_0 src1_sel:DWORD
	v_cndmask_b32_e64 v57, v4, v7, s[4:5]
; %bb.2049:                             ;   in Loop: Header=BB403_1003 Depth=1
	s_or_b64 exec, exec, s[12:13]
	v_lshlrev_b32_e32 v4, 16, v6
	v_mul_f32_e32 v6, v61, v4
	v_and_b32_e32 v4, 0x7f800000, v6
	v_cmp_ne_u32_e64 s[4:5], s15, v4
                                        ; implicit-def: $vgpr58
	s_and_saveexec_b64 s[12:13], s[4:5]
	s_xor_b64 s[4:5], exec, s[12:13]
; %bb.2050:                             ;   in Loop: Header=BB403_1003 Depth=1
	v_bfe_u32 v4, v6, 16, 1
	v_add3_u32 v58, v6, v4, s21
                                        ; implicit-def: $vgpr6
; %bb.2051:                             ;   in Loop: Header=BB403_1003 Depth=1
	s_andn2_saveexec_b64 s[12:13], s[4:5]
; %bb.2052:                             ;   in Loop: Header=BB403_1003 Depth=1
	v_or_b32_e32 v4, 0x10000, v6
	v_cmp_eq_u32_sdwa s[4:5], v6, v33 src0_sel:WORD_0 src1_sel:DWORD
	v_cndmask_b32_e64 v58, v4, v6, s[4:5]
; %bb.2053:                             ;   in Loop: Header=BB403_1003 Depth=1
	s_or_b64 exec, exec, s[12:13]
	v_lshlrev_b32_e32 v3, 16, v3
	v_mul_f32_e32 v3, v35, v3
	v_and_b32_e32 v4, 0x7f800000, v3
	v_cmp_ne_u32_e64 s[4:5], s15, v4
                                        ; implicit-def: $vgpr59
	s_and_saveexec_b64 s[12:13], s[4:5]
	s_xor_b64 s[4:5], exec, s[12:13]
; %bb.2054:                             ;   in Loop: Header=BB403_1003 Depth=1
	v_bfe_u32 v4, v3, 16, 1
	v_add3_u32 v59, v3, v4, s21
                                        ; implicit-def: $vgpr3
; %bb.2055:                             ;   in Loop: Header=BB403_1003 Depth=1
	s_andn2_saveexec_b64 s[12:13], s[4:5]
; %bb.2056:                             ;   in Loop: Header=BB403_1003 Depth=1
	v_or_b32_e32 v4, 0x10000, v3
	v_cmp_eq_u32_sdwa s[4:5], v3, v33 src0_sel:WORD_0 src1_sel:DWORD
	v_cndmask_b32_e64 v59, v4, v3, s[4:5]
; %bb.2057:                             ;   in Loop: Header=BB403_1003 Depth=1
	s_or_b64 exec, exec, s[12:13]
	v_lshlrev_b32_e32 v2, 16, v2
	v_mul_f32_e32 v2, v50, v2
	v_and_b32_e32 v3, 0x7f800000, v2
	v_cmp_ne_u32_e64 s[4:5], s15, v3
                                        ; implicit-def: $vgpr60
	s_and_saveexec_b64 s[12:13], s[4:5]
	s_xor_b64 s[4:5], exec, s[12:13]
; %bb.2058:                             ;   in Loop: Header=BB403_1003 Depth=1
	v_bfe_u32 v3, v2, 16, 1
	v_add3_u32 v60, v2, v3, s21
                                        ; implicit-def: $vgpr2
; %bb.2059:                             ;   in Loop: Header=BB403_1003 Depth=1
	s_andn2_saveexec_b64 s[12:13], s[4:5]
; %bb.2060:                             ;   in Loop: Header=BB403_1003 Depth=1
	v_or_b32_e32 v3, 0x10000, v2
	v_cmp_eq_u32_sdwa s[4:5], v2, v33 src0_sel:WORD_0 src1_sel:DWORD
	v_cndmask_b32_e64 v60, v3, v2, s[4:5]
; %bb.2061:                             ;   in Loop: Header=BB403_1003 Depth=1
	s_or_b64 exec, exec, s[12:13]
	buffer_load_dword v2, off, s[0:3], s32 offset:256 ; 4-byte Folded Reload
	buffer_load_dword v3, off, s[0:3], s32 offset:260 ; 4-byte Folded Reload
	v_mov_b32_e32 v6, 0
	s_waitcnt vmcnt(1)
	v_add_co_u32_e64 v2, s[4:5], v0, v2
	s_waitcnt vmcnt(0)
	v_addc_co_u32_e64 v3, s[4:5], 0, v1, s[4:5]
	flat_load_dwordx2 v[2:3], v[2:3]
	s_waitcnt vmcnt(0) lgkmcnt(0)
	v_cmp_ne_u16_sdwa s[4:5], v2, v33 src0_sel:BYTE_0 src1_sel:DWORD
	s_and_saveexec_b64 s[12:13], s[4:5]
	s_cbranch_execz .LBB403_2067
; %bb.2062:                             ;   in Loop: Header=BB403_1003 Depth=1
	v_cmp_ne_u16_sdwa s[4:5], v2, s28 src0_sel:BYTE_0 src1_sel:DWORD
	v_bfrev_b32_e32 v6, 1
	s_and_saveexec_b64 s[24:25], s[4:5]
	s_cbranch_execz .LBB403_2066
; %bb.2063:                             ;   in Loop: Header=BB403_1003 Depth=1
	v_and_b32_e32 v7, 0x7f, v2
	v_cmp_ne_u32_e64 s[4:5], s29, v7
	v_mov_b32_e32 v6, 0x7f800001
	s_and_saveexec_b64 s[26:27], s[4:5]
	s_cbranch_execz .LBB403_2065
; %bb.2064:                             ;   in Loop: Header=BB403_1003 Depth=1
	v_and_b32_e32 v4, 7, v2
	v_ffbh_u32_e32 v4, v4
	v_min_u32_e32 v4, 32, v4
	v_lshrrev_b32_e32 v5, 3, v7
	v_cmp_gt_u32_e64 s[4:5], 8, v7
	v_subrev_u32_e32 v6, 28, v4
	v_sub_u32_e32 v4, 29, v4
	v_cndmask_b32_e64 v4, v5, v4, s[4:5]
	v_cndmask_b32_e64 v5, 0, v6, s[4:5]
	v_lshlrev_b64 v[6:7], v5, v[2:3]
	v_lshlrev_b32_e32 v5, 20, v6
	v_lshlrev_b32_e32 v6, 24, v2
	v_bfrev_b32_e32 v7, 60
	v_and_b32_e32 v5, 0x700000, v5
	v_and_b32_e32 v6, 0x80000000, v6
	v_lshl_add_u32 v4, v4, 23, v7
	v_or3_b32 v6, v6, v4, v5
.LBB403_2065:                           ;   in Loop: Header=BB403_1003 Depth=1
	s_or_b64 exec, exec, s[26:27]
.LBB403_2066:                           ;   in Loop: Header=BB403_1003 Depth=1
	s_or_b64 exec, exec, s[24:25]
.LBB403_2067:                           ;   in Loop: Header=BB403_1003 Depth=1
	s_or_b64 exec, exec, s[12:13]
	v_mul_f32_e32 v6, v27, v6
	v_and_b32_e32 v4, 0x7f800000, v6
	v_cmp_ne_u32_e64 s[4:5], s15, v4
                                        ; implicit-def: $vgpr7
	s_and_saveexec_b64 s[12:13], s[4:5]
	s_xor_b64 s[4:5], exec, s[12:13]
; %bb.2068:                             ;   in Loop: Header=BB403_1003 Depth=1
	v_bfe_u32 v4, v6, 16, 1
	v_add3_u32 v7, v6, v4, s21
                                        ; implicit-def: $vgpr6
; %bb.2069:                             ;   in Loop: Header=BB403_1003 Depth=1
	s_andn2_saveexec_b64 s[12:13], s[4:5]
; %bb.2070:                             ;   in Loop: Header=BB403_1003 Depth=1
	v_or_b32_e32 v4, 0x10000, v6
	v_cmp_eq_u32_sdwa s[4:5], v6, v33 src0_sel:WORD_0 src1_sel:DWORD
	v_cndmask_b32_e64 v7, v4, v6, s[4:5]
; %bb.2071:                             ;   in Loop: Header=BB403_1003 Depth=1
	s_or_b64 exec, exec, s[12:13]
	v_lshrrev_b16_e32 v6, 8, v2
	v_cmp_ne_u16_e64 s[4:5], 0, v6
	v_mov_b32_e32 v8, 0
	s_and_saveexec_b64 s[12:13], s[4:5]
	s_cbranch_execz .LBB403_2077
; %bb.2072:                             ;   in Loop: Header=BB403_1003 Depth=1
	v_cmp_ne_u16_e64 s[4:5], s28, v6
	v_bfrev_b32_e32 v8, 1
	s_and_saveexec_b64 s[24:25], s[4:5]
	s_cbranch_execz .LBB403_2076
; %bb.2073:                             ;   in Loop: Header=BB403_1003 Depth=1
	v_and_b32_e32 v9, 0x7f, v6
	v_cmp_ne_u32_e64 s[4:5], s29, v9
	v_mov_b32_e32 v8, 0x7f800001
	s_and_saveexec_b64 s[26:27], s[4:5]
	s_cbranch_execz .LBB403_2075
; %bb.2074:                             ;   in Loop: Header=BB403_1003 Depth=1
	v_and_b32_e32 v4, 7, v6
	v_ffbh_u32_e32 v8, v4
	v_min_u32_e32 v10, 32, v8
	v_subrev_u32_e32 v8, 28, v10
	v_lshrrev_b32_e32 v5, 3, v9
	v_cmp_gt_u32_e64 s[4:5], 8, v9
	v_lshlrev_b64 v[8:9], v8, v[6:7]
	v_sub_u32_e32 v6, 29, v10
	v_and_b32_e32 v8, 7, v8
	v_cndmask_b32_e64 v5, v5, v6, s[4:5]
	v_cndmask_b32_e64 v4, v4, v8, s[4:5]
	v_lshlrev_b32_e32 v6, 16, v2
	v_bfrev_b32_e32 v8, 60
	v_lshlrev_b32_e32 v4, 20, v4
	v_and_b32_e32 v6, 0x80000000, v6
	v_lshl_add_u32 v5, v5, 23, v8
	v_or3_b32 v8, v6, v5, v4
.LBB403_2075:                           ;   in Loop: Header=BB403_1003 Depth=1
	s_or_b64 exec, exec, s[26:27]
.LBB403_2076:                           ;   in Loop: Header=BB403_1003 Depth=1
	s_or_b64 exec, exec, s[24:25]
.LBB403_2077:                           ;   in Loop: Header=BB403_1003 Depth=1
	s_or_b64 exec, exec, s[12:13]
	v_mul_f32_e32 v6, v27, v8
	v_and_b32_e32 v4, 0x7f800000, v6
	v_cmp_ne_u32_e64 s[4:5], s15, v4
                                        ; implicit-def: $vgpr8
	s_and_saveexec_b64 s[12:13], s[4:5]
	s_xor_b64 s[4:5], exec, s[12:13]
; %bb.2078:                             ;   in Loop: Header=BB403_1003 Depth=1
	v_bfe_u32 v4, v6, 16, 1
	v_add3_u32 v8, v6, v4, s21
                                        ; implicit-def: $vgpr6
; %bb.2079:                             ;   in Loop: Header=BB403_1003 Depth=1
	s_andn2_saveexec_b64 s[12:13], s[4:5]
; %bb.2080:                             ;   in Loop: Header=BB403_1003 Depth=1
	v_or_b32_e32 v4, 0x10000, v6
	v_cmp_eq_u32_sdwa s[4:5], v6, v33 src0_sel:WORD_0 src1_sel:DWORD
	v_cndmask_b32_e64 v8, v4, v6, s[4:5]
; %bb.2081:                             ;   in Loop: Header=BB403_1003 Depth=1
	s_or_b64 exec, exec, s[12:13]
	v_lshrrev_b32_e32 v6, 16, v2
	v_cmp_ne_u16_sdwa s[4:5], v6, v33 src0_sel:BYTE_0 src1_sel:DWORD
	v_mov_b32_e32 v9, 0
	s_and_saveexec_b64 s[12:13], s[4:5]
	s_cbranch_execz .LBB403_2087
; %bb.2082:                             ;   in Loop: Header=BB403_1003 Depth=1
	v_cmp_ne_u16_sdwa s[4:5], v6, s28 src0_sel:BYTE_0 src1_sel:DWORD
	v_bfrev_b32_e32 v9, 1
	s_and_saveexec_b64 s[24:25], s[4:5]
	s_cbranch_execz .LBB403_2086
; %bb.2083:                             ;   in Loop: Header=BB403_1003 Depth=1
	v_bfe_u32 v10, v2, 16, 7
	v_cmp_ne_u32_e64 s[4:5], s29, v10
	v_mov_b32_e32 v9, 0x7f800001
	s_and_saveexec_b64 s[26:27], s[4:5]
	s_cbranch_execz .LBB403_2085
; %bb.2084:                             ;   in Loop: Header=BB403_1003 Depth=1
	v_and_b32_e32 v4, 7, v6
	v_ffbh_u32_e32 v9, v4
	v_min_u32_e32 v9, 32, v9
	v_lshrrev_b32_e32 v5, 3, v10
	v_cmp_gt_u32_e64 s[4:5], 8, v10
	v_subrev_u32_e32 v10, 28, v9
	v_lshlrev_b64 v[10:11], v10, v[6:7]
	v_sub_u32_e32 v9, 29, v9
	v_and_b32_e32 v10, 7, v10
	v_cndmask_b32_e64 v5, v5, v9, s[4:5]
	v_cndmask_b32_e64 v4, v4, v10, s[4:5]
	v_lshlrev_b32_e32 v6, 24, v6
	v_bfrev_b32_e32 v9, 60
	v_lshlrev_b32_e32 v4, 20, v4
	v_and_b32_e32 v6, 0x80000000, v6
	v_lshl_add_u32 v5, v5, 23, v9
	v_or3_b32 v9, v6, v5, v4
.LBB403_2085:                           ;   in Loop: Header=BB403_1003 Depth=1
	s_or_b64 exec, exec, s[26:27]
.LBB403_2086:                           ;   in Loop: Header=BB403_1003 Depth=1
	s_or_b64 exec, exec, s[24:25]
.LBB403_2087:                           ;   in Loop: Header=BB403_1003 Depth=1
	s_or_b64 exec, exec, s[12:13]
	v_mul_f32_e32 v6, v27, v9
	v_and_b32_e32 v4, 0x7f800000, v6
	v_cmp_ne_u32_e64 s[4:5], s15, v4
                                        ; implicit-def: $vgpr9
	s_and_saveexec_b64 s[12:13], s[4:5]
	s_xor_b64 s[4:5], exec, s[12:13]
; %bb.2088:                             ;   in Loop: Header=BB403_1003 Depth=1
	v_bfe_u32 v4, v6, 16, 1
	v_add3_u32 v9, v6, v4, s21
                                        ; implicit-def: $vgpr6
; %bb.2089:                             ;   in Loop: Header=BB403_1003 Depth=1
	s_andn2_saveexec_b64 s[12:13], s[4:5]
; %bb.2090:                             ;   in Loop: Header=BB403_1003 Depth=1
	v_or_b32_e32 v4, 0x10000, v6
	v_cmp_eq_u32_sdwa s[4:5], v6, v33 src0_sel:WORD_0 src1_sel:DWORD
	v_cndmask_b32_e64 v9, v4, v6, s[4:5]
; %bb.2091:                             ;   in Loop: Header=BB403_1003 Depth=1
	s_or_b64 exec, exec, s[12:13]
	v_cmp_lt_u32_e64 s[4:5], s9, v2
	v_mov_b32_e32 v10, 0
	s_and_saveexec_b64 s[12:13], s[4:5]
	s_cbranch_execz .LBB403_2097
; %bb.2092:                             ;   in Loop: Header=BB403_1003 Depth=1
	v_lshrrev_b32_e32 v6, 24, v2
	v_cmp_ne_u32_e64 s[4:5], s28, v6
	v_bfrev_b32_e32 v10, 1
	s_and_saveexec_b64 s[24:25], s[4:5]
	s_cbranch_execz .LBB403_2096
; %bb.2093:                             ;   in Loop: Header=BB403_1003 Depth=1
	v_bfe_u32 v11, v2, 24, 7
	v_cmp_ne_u32_e64 s[4:5], s29, v11
	v_mov_b32_e32 v10, 0x7f800001
	s_and_saveexec_b64 s[26:27], s[4:5]
	s_cbranch_execz .LBB403_2095
; %bb.2094:                             ;   in Loop: Header=BB403_1003 Depth=1
	v_and_b32_e32 v4, 7, v6
	v_ffbh_u32_e32 v10, v4
	v_min_u32_e32 v16, 32, v10
	v_subrev_u32_e32 v10, 28, v16
	v_lshrrev_b32_e32 v5, 3, v11
	v_cmp_gt_u32_e64 s[4:5], 8, v11
	v_lshlrev_b64 v[10:11], v10, v[6:7]
	v_sub_u32_e32 v11, 29, v16
	v_and_b32_e32 v10, 7, v10
	v_cndmask_b32_e64 v5, v5, v11, s[4:5]
	v_cndmask_b32_e64 v4, v4, v10, s[4:5]
	v_lshlrev_b32_e32 v6, 24, v6
	v_bfrev_b32_e32 v10, 60
	v_lshlrev_b32_e32 v4, 20, v4
	v_and_b32_e32 v6, 0x80000000, v6
	v_lshl_add_u32 v5, v5, 23, v10
	v_or3_b32 v10, v6, v5, v4
.LBB403_2095:                           ;   in Loop: Header=BB403_1003 Depth=1
	s_or_b64 exec, exec, s[26:27]
.LBB403_2096:                           ;   in Loop: Header=BB403_1003 Depth=1
	s_or_b64 exec, exec, s[24:25]
.LBB403_2097:                           ;   in Loop: Header=BB403_1003 Depth=1
	s_or_b64 exec, exec, s[12:13]
	v_mul_f32_e32 v6, v27, v10
	v_and_b32_e32 v4, 0x7f800000, v6
	v_cmp_ne_u32_e64 s[4:5], s15, v4
                                        ; implicit-def: $vgpr10
	s_and_saveexec_b64 s[12:13], s[4:5]
	s_xor_b64 s[4:5], exec, s[12:13]
; %bb.2098:                             ;   in Loop: Header=BB403_1003 Depth=1
	v_bfe_u32 v4, v6, 16, 1
	v_add3_u32 v10, v6, v4, s21
                                        ; implicit-def: $vgpr6
; %bb.2099:                             ;   in Loop: Header=BB403_1003 Depth=1
	s_andn2_saveexec_b64 s[12:13], s[4:5]
; %bb.2100:                             ;   in Loop: Header=BB403_1003 Depth=1
	v_or_b32_e32 v4, 0x10000, v6
	v_cmp_eq_u32_sdwa s[4:5], v6, v33 src0_sel:WORD_0 src1_sel:DWORD
	v_cndmask_b32_e64 v10, v4, v6, s[4:5]
; %bb.2101:                             ;   in Loop: Header=BB403_1003 Depth=1
	s_or_b64 exec, exec, s[12:13]
	v_mov_b32_e32 v32, v3
	v_cmp_ne_u16_sdwa s[4:5], v3, v33 src0_sel:BYTE_0 src1_sel:DWORD
	v_mov_b32_e32 v6, 0
	s_and_saveexec_b64 s[12:13], s[4:5]
	s_cbranch_execz .LBB403_2107
; %bb.2102:                             ;   in Loop: Header=BB403_1003 Depth=1
	v_cmp_ne_u16_sdwa s[4:5], v3, s28 src0_sel:BYTE_0 src1_sel:DWORD
	v_bfrev_b32_e32 v6, 1
	s_and_saveexec_b64 s[24:25], s[4:5]
	s_cbranch_execz .LBB403_2106
; %bb.2103:                             ;   in Loop: Header=BB403_1003 Depth=1
	v_and_b32_e32 v11, 0x7f, v3
	v_cmp_ne_u32_e64 s[4:5], s29, v11
	v_mov_b32_e32 v6, 0x7f800001
	s_and_saveexec_b64 s[26:27], s[4:5]
	s_cbranch_execz .LBB403_2105
; %bb.2104:                             ;   in Loop: Header=BB403_1003 Depth=1
	v_and_b32_e32 v4, 7, v3
	v_ffbh_u32_e32 v4, v4
	v_min_u32_e32 v4, 32, v4
	v_lshrrev_b32_e32 v5, 3, v11
	v_cmp_gt_u32_e64 s[4:5], 8, v11
	v_subrev_u32_e32 v6, 28, v4
	v_sub_u32_e32 v4, 29, v4
	v_cndmask_b32_e64 v4, v5, v4, s[4:5]
	v_cndmask_b32_e64 v5, 0, v6, s[4:5]
	v_lshlrev_b64 v[38:39], v5, v[32:33]
	v_lshlrev_b32_e32 v5, 20, v38
	v_lshlrev_b32_e32 v6, 24, v32
	v_bfrev_b32_e32 v11, 60
	v_and_b32_e32 v5, 0x700000, v5
	v_and_b32_e32 v6, 0x80000000, v6
	v_lshl_add_u32 v4, v4, 23, v11
	v_or3_b32 v6, v6, v4, v5
.LBB403_2105:                           ;   in Loop: Header=BB403_1003 Depth=1
	s_or_b64 exec, exec, s[26:27]
.LBB403_2106:                           ;   in Loop: Header=BB403_1003 Depth=1
	s_or_b64 exec, exec, s[24:25]
.LBB403_2107:                           ;   in Loop: Header=BB403_1003 Depth=1
	s_or_b64 exec, exec, s[12:13]
	v_mul_f32_e32 v6, v27, v6
	v_and_b32_e32 v4, 0x7f800000, v6
	v_cmp_ne_u32_e64 s[4:5], s15, v4
                                        ; implicit-def: $vgpr11
	s_and_saveexec_b64 s[12:13], s[4:5]
	s_xor_b64 s[4:5], exec, s[12:13]
; %bb.2108:                             ;   in Loop: Header=BB403_1003 Depth=1
	v_bfe_u32 v4, v6, 16, 1
	v_add3_u32 v11, v6, v4, s21
                                        ; implicit-def: $vgpr6
; %bb.2109:                             ;   in Loop: Header=BB403_1003 Depth=1
	s_andn2_saveexec_b64 s[12:13], s[4:5]
; %bb.2110:                             ;   in Loop: Header=BB403_1003 Depth=1
	v_or_b32_e32 v4, 0x10000, v6
	v_cmp_eq_u32_sdwa s[4:5], v6, v33 src0_sel:WORD_0 src1_sel:DWORD
	v_cndmask_b32_e64 v11, v4, v6, s[4:5]
; %bb.2111:                             ;   in Loop: Header=BB403_1003 Depth=1
	s_or_b64 exec, exec, s[12:13]
	v_lshrrev_b16_e32 v6, 8, v32
	v_cmp_ne_u16_e64 s[4:5], 0, v6
	v_mov_b32_e32 v16, 0
	s_and_saveexec_b64 s[12:13], s[4:5]
	s_cbranch_execz .LBB403_2117
; %bb.2112:                             ;   in Loop: Header=BB403_1003 Depth=1
	v_cmp_ne_u16_e64 s[4:5], s28, v6
	v_bfrev_b32_e32 v16, 1
	s_and_saveexec_b64 s[24:25], s[4:5]
	s_cbranch_execz .LBB403_2116
; %bb.2113:                             ;   in Loop: Header=BB403_1003 Depth=1
	v_and_b32_e32 v22, 0x7f, v6
	v_cmp_ne_u32_e64 s[4:5], s29, v22
	v_mov_b32_e32 v16, 0x7f800001
	s_and_saveexec_b64 s[26:27], s[4:5]
	s_cbranch_execz .LBB403_2115
; %bb.2114:                             ;   in Loop: Header=BB403_1003 Depth=1
	v_and_b32_e32 v4, 7, v6
	v_ffbh_u32_e32 v16, v4
	v_min_u32_e32 v16, 32, v16
	v_lshrrev_b32_e32 v5, 3, v22
	v_cmp_gt_u32_e64 s[4:5], 8, v22
	v_subrev_u32_e32 v22, 28, v16
	v_lshlrev_b64 v[38:39], v22, v[6:7]
	v_sub_u32_e32 v6, 29, v16
	v_and_b32_e32 v16, 7, v38
	v_cndmask_b32_e64 v5, v5, v6, s[4:5]
	v_cndmask_b32_e64 v4, v4, v16, s[4:5]
	v_lshlrev_b32_e32 v6, 16, v32
	v_bfrev_b32_e32 v16, 60
	v_lshlrev_b32_e32 v4, 20, v4
	v_and_b32_e32 v6, 0x80000000, v6
	v_lshl_add_u32 v5, v5, 23, v16
	v_or3_b32 v16, v6, v5, v4
.LBB403_2115:                           ;   in Loop: Header=BB403_1003 Depth=1
	s_or_b64 exec, exec, s[26:27]
.LBB403_2116:                           ;   in Loop: Header=BB403_1003 Depth=1
	s_or_b64 exec, exec, s[24:25]
.LBB403_2117:                           ;   in Loop: Header=BB403_1003 Depth=1
	s_or_b64 exec, exec, s[12:13]
	v_mul_f32_e32 v6, v27, v16
	v_and_b32_e32 v4, 0x7f800000, v6
	v_cmp_ne_u32_e64 s[4:5], s15, v4
                                        ; implicit-def: $vgpr16
	s_and_saveexec_b64 s[12:13], s[4:5]
	s_xor_b64 s[4:5], exec, s[12:13]
; %bb.2118:                             ;   in Loop: Header=BB403_1003 Depth=1
	v_bfe_u32 v4, v6, 16, 1
	v_add3_u32 v16, v6, v4, s21
                                        ; implicit-def: $vgpr6
; %bb.2119:                             ;   in Loop: Header=BB403_1003 Depth=1
	s_andn2_saveexec_b64 s[12:13], s[4:5]
; %bb.2120:                             ;   in Loop: Header=BB403_1003 Depth=1
	v_or_b32_e32 v4, 0x10000, v6
	v_cmp_eq_u32_sdwa s[4:5], v6, v33 src0_sel:WORD_0 src1_sel:DWORD
	v_cndmask_b32_e64 v16, v4, v6, s[4:5]
; %bb.2121:                             ;   in Loop: Header=BB403_1003 Depth=1
	s_or_b64 exec, exec, s[12:13]
	v_lshrrev_b32_e32 v6, 16, v3
	v_cmp_ne_u16_sdwa s[4:5], v6, v33 src0_sel:BYTE_0 src1_sel:DWORD
	v_mov_b32_e32 v22, 0
	s_and_saveexec_b64 s[12:13], s[4:5]
	s_cbranch_execz .LBB403_2127
; %bb.2122:                             ;   in Loop: Header=BB403_1003 Depth=1
	v_cmp_ne_u16_sdwa s[4:5], v6, s28 src0_sel:BYTE_0 src1_sel:DWORD
	v_bfrev_b32_e32 v22, 1
	s_and_saveexec_b64 s[24:25], s[4:5]
	s_cbranch_execz .LBB403_2126
; %bb.2123:                             ;   in Loop: Header=BB403_1003 Depth=1
	v_bfe_u32 v26, v3, 16, 7
	v_cmp_ne_u32_e64 s[4:5], s29, v26
	v_mov_b32_e32 v22, 0x7f800001
	s_and_saveexec_b64 s[26:27], s[4:5]
	s_cbranch_execz .LBB403_2125
; %bb.2124:                             ;   in Loop: Header=BB403_1003 Depth=1
	v_and_b32_e32 v4, 7, v6
	v_ffbh_u32_e32 v22, v4
	v_min_u32_e32 v22, 32, v22
	v_lshrrev_b32_e32 v5, 3, v26
	v_cmp_gt_u32_e64 s[4:5], 8, v26
	v_subrev_u32_e32 v26, 28, v22
	v_lshlrev_b64 v[38:39], v26, v[6:7]
	v_sub_u32_e32 v22, 29, v22
	v_and_b32_e32 v26, 7, v38
	v_cndmask_b32_e64 v5, v5, v22, s[4:5]
	v_cndmask_b32_e64 v4, v4, v26, s[4:5]
	v_lshlrev_b32_e32 v6, 24, v6
	v_bfrev_b32_e32 v22, 60
	v_lshlrev_b32_e32 v4, 20, v4
	v_and_b32_e32 v6, 0x80000000, v6
	v_lshl_add_u32 v5, v5, 23, v22
	v_or3_b32 v22, v6, v5, v4
.LBB403_2125:                           ;   in Loop: Header=BB403_1003 Depth=1
	s_or_b64 exec, exec, s[26:27]
.LBB403_2126:                           ;   in Loop: Header=BB403_1003 Depth=1
	s_or_b64 exec, exec, s[24:25]
.LBB403_2127:                           ;   in Loop: Header=BB403_1003 Depth=1
	s_or_b64 exec, exec, s[12:13]
	v_mul_f32_e32 v6, v27, v22
	v_and_b32_e32 v4, 0x7f800000, v6
	v_cmp_ne_u32_e64 s[4:5], s15, v4
                                        ; implicit-def: $vgpr22
	s_and_saveexec_b64 s[12:13], s[4:5]
	s_xor_b64 s[4:5], exec, s[12:13]
; %bb.2128:                             ;   in Loop: Header=BB403_1003 Depth=1
	v_bfe_u32 v4, v6, 16, 1
	v_add3_u32 v22, v6, v4, s21
                                        ; implicit-def: $vgpr6
; %bb.2129:                             ;   in Loop: Header=BB403_1003 Depth=1
	s_andn2_saveexec_b64 s[12:13], s[4:5]
; %bb.2130:                             ;   in Loop: Header=BB403_1003 Depth=1
	v_or_b32_e32 v4, 0x10000, v6
	v_cmp_eq_u32_sdwa s[4:5], v6, v33 src0_sel:WORD_0 src1_sel:DWORD
	v_cndmask_b32_e64 v22, v4, v6, s[4:5]
; %bb.2131:                             ;   in Loop: Header=BB403_1003 Depth=1
	s_or_b64 exec, exec, s[12:13]
	v_cmp_lt_u64_e64 s[4:5], s[8:9], v[2:3]
	v_mov_b32_e32 v6, 0
	s_and_saveexec_b64 s[12:13], s[4:5]
	s_cbranch_execz .LBB403_2137
; %bb.2132:                             ;   in Loop: Header=BB403_1003 Depth=1
	v_lshrrev_b32_e32 v2, 24, v3
	v_cmp_ne_u32_e64 s[4:5], s28, v2
	v_bfrev_b32_e32 v6, 1
	s_and_saveexec_b64 s[24:25], s[4:5]
	s_cbranch_execz .LBB403_2136
; %bb.2133:                             ;   in Loop: Header=BB403_1003 Depth=1
	v_bfe_u32 v3, v3, 24, 7
	v_cmp_ne_u32_e64 s[4:5], s29, v3
	v_mov_b32_e32 v6, 0x7f800001
	s_and_saveexec_b64 s[26:27], s[4:5]
	s_cbranch_execz .LBB403_2135
; %bb.2134:                             ;   in Loop: Header=BB403_1003 Depth=1
	v_and_b32_e32 v4, 7, v2
	v_lshrrev_b32_e32 v5, 3, v3
	v_cmp_gt_u32_e64 s[4:5], 8, v3
	v_ffbh_u32_e32 v3, v4
	v_min_u32_e32 v3, 32, v3
	v_subrev_u32_e32 v6, 28, v3
	v_lshlrev_b64 v[38:39], v6, v[2:3]
	v_sub_u32_e32 v3, 29, v3
	v_and_b32_e32 v6, 7, v38
	v_cndmask_b32_e64 v3, v5, v3, s[4:5]
	v_cndmask_b32_e64 v4, v4, v6, s[4:5]
	v_lshlrev_b32_e32 v2, 24, v2
	v_bfrev_b32_e32 v5, 60
	v_lshlrev_b32_e32 v4, 20, v4
	v_and_b32_e32 v2, 0x80000000, v2
	v_lshl_add_u32 v3, v3, 23, v5
	v_or3_b32 v6, v2, v3, v4
.LBB403_2135:                           ;   in Loop: Header=BB403_1003 Depth=1
	s_or_b64 exec, exec, s[26:27]
.LBB403_2136:                           ;   in Loop: Header=BB403_1003 Depth=1
	s_or_b64 exec, exec, s[24:25]
.LBB403_2137:                           ;   in Loop: Header=BB403_1003 Depth=1
	s_or_b64 exec, exec, s[12:13]
	v_mul_f32_e32 v3, v27, v6
	v_and_b32_e32 v2, 0x7f800000, v3
	v_cmp_ne_u32_e64 s[4:5], s15, v2
                                        ; implicit-def: $vgpr2
	s_and_saveexec_b64 s[12:13], s[4:5]
	s_xor_b64 s[4:5], exec, s[12:13]
; %bb.2138:                             ;   in Loop: Header=BB403_1003 Depth=1
	v_bfe_u32 v2, v3, 16, 1
	v_add3_u32 v2, v3, v2, s21
                                        ; implicit-def: $vgpr3
; %bb.2139:                             ;   in Loop: Header=BB403_1003 Depth=1
	s_andn2_saveexec_b64 s[12:13], s[4:5]
; %bb.2140:                             ;   in Loop: Header=BB403_1003 Depth=1
	v_or_b32_e32 v2, 0x10000, v3
	v_cmp_eq_u32_sdwa s[4:5], v3, v33 src0_sel:WORD_0 src1_sel:DWORD
	v_cndmask_b32_e64 v2, v2, v3, s[4:5]
; %bb.2141:                             ;   in Loop: Header=BB403_1003 Depth=1
	s_or_b64 exec, exec, s[12:13]
	v_lshrrev_b32_e32 v6, 16, v16
	v_lshrrev_b32_e32 v11, 16, v11
	;; [unrolled: 1-line block ×8, first 2 shown]
	s_and_saveexec_b64 s[12:13], vcc
	s_cbranch_execz .LBB403_2143
; %bb.2142:                             ;   in Loop: Header=BB403_1003 Depth=1
	v_accvgpr_read_b32 v4, a26
	v_cmp_lt_i32_e64 s[4:5], v4, v37
	v_accvgpr_read_b32 v4, a32
	v_cndmask_b32_e64 v7, 0, v7, s[4:5]
	v_cmp_lt_i32_e64 s[4:5], v4, v37
	v_accvgpr_read_b32 v4, a31
	v_cndmask_b32_e64 v8, 0, v8, s[4:5]
	;; [unrolled: 3-line block ×6, first 2 shown]
	v_cmp_lt_i32_e64 s[4:5], v4, v37
	v_cndmask_b32_e64 v3, 0, v3, s[4:5]
	v_cmp_lt_i32_e64 s[4:5], v17, v37
	v_cndmask_b32_e64 v2, 0, v2, s[4:5]
.LBB403_2143:                           ;   in Loop: Header=BB403_1003 Depth=1
	s_or_b64 exec, exec, s[12:13]
	v_lshlrev_b32_e32 v4, 16, v7
	v_mul_f32_e32 v7, v48, v4
	v_and_b32_e32 v4, 0x7f800000, v7
	v_accvgpr_write_b32 a33, v48
	v_cmp_ne_u32_e64 s[4:5], s15, v4
                                        ; implicit-def: $vgpr44
	s_and_saveexec_b64 s[12:13], s[4:5]
	s_xor_b64 s[4:5], exec, s[12:13]
; %bb.2144:                             ;   in Loop: Header=BB403_1003 Depth=1
	v_bfe_u32 v4, v7, 16, 1
	v_add3_u32 v44, v7, v4, s21
                                        ; implicit-def: $vgpr7
; %bb.2145:                             ;   in Loop: Header=BB403_1003 Depth=1
	s_andn2_saveexec_b64 s[12:13], s[4:5]
; %bb.2146:                             ;   in Loop: Header=BB403_1003 Depth=1
	v_or_b32_e32 v4, 0x10000, v7
	v_cmp_eq_u32_sdwa s[4:5], v7, v33 src0_sel:WORD_0 src1_sel:DWORD
	v_cndmask_b32_e64 v44, v4, v7, s[4:5]
; %bb.2147:                             ;   in Loop: Header=BB403_1003 Depth=1
	s_or_b64 exec, exec, s[12:13]
	v_lshlrev_b32_e32 v4, 16, v8
	v_mul_f32_e32 v7, v51, v4
	v_and_b32_e32 v4, 0x7f800000, v7
	v_accvgpr_write_b32 a34, v51
	v_cmp_ne_u32_e64 s[4:5], s15, v4
                                        ; implicit-def: $vgpr45
	s_and_saveexec_b64 s[12:13], s[4:5]
	s_xor_b64 s[4:5], exec, s[12:13]
; %bb.2148:                             ;   in Loop: Header=BB403_1003 Depth=1
	v_bfe_u32 v4, v7, 16, 1
	v_add3_u32 v45, v7, v4, s21
                                        ; implicit-def: $vgpr7
; %bb.2149:                             ;   in Loop: Header=BB403_1003 Depth=1
	s_andn2_saveexec_b64 s[12:13], s[4:5]
; %bb.2150:                             ;   in Loop: Header=BB403_1003 Depth=1
	v_or_b32_e32 v4, 0x10000, v7
	v_cmp_eq_u32_sdwa s[4:5], v7, v33 src0_sel:WORD_0 src1_sel:DWORD
	v_cndmask_b32_e64 v45, v4, v7, s[4:5]
; %bb.2151:                             ;   in Loop: Header=BB403_1003 Depth=1
	s_or_b64 exec, exec, s[12:13]
	v_lshlrev_b32_e32 v4, 16, v9
	v_mul_f32_e32 v7, v49, v4
	v_and_b32_e32 v4, 0x7f800000, v7
	v_cmp_ne_u32_e64 s[4:5], s15, v4
                                        ; implicit-def: $vgpr51
	s_and_saveexec_b64 s[12:13], s[4:5]
	s_xor_b64 s[4:5], exec, s[12:13]
; %bb.2152:                             ;   in Loop: Header=BB403_1003 Depth=1
	v_bfe_u32 v4, v7, 16, 1
	v_add3_u32 v51, v7, v4, s21
                                        ; implicit-def: $vgpr7
; %bb.2153:                             ;   in Loop: Header=BB403_1003 Depth=1
	s_andn2_saveexec_b64 s[12:13], s[4:5]
; %bb.2154:                             ;   in Loop: Header=BB403_1003 Depth=1
	v_or_b32_e32 v4, 0x10000, v7
	v_cmp_eq_u32_sdwa s[4:5], v7, v33 src0_sel:WORD_0 src1_sel:DWORD
	v_cndmask_b32_e64 v51, v4, v7, s[4:5]
; %bb.2155:                             ;   in Loop: Header=BB403_1003 Depth=1
	s_or_b64 exec, exec, s[12:13]
	v_lshlrev_b32_e32 v4, 16, v10
	v_mul_f32_e32 v7, v23, v4
	v_and_b32_e32 v4, 0x7f800000, v7
	v_cmp_ne_u32_e64 s[4:5], s15, v4
                                        ; implicit-def: $vgpr52
	s_and_saveexec_b64 s[12:13], s[4:5]
	s_xor_b64 s[4:5], exec, s[12:13]
; %bb.2156:                             ;   in Loop: Header=BB403_1003 Depth=1
	v_bfe_u32 v4, v7, 16, 1
	v_add3_u32 v52, v7, v4, s21
                                        ; implicit-def: $vgpr7
; %bb.2157:                             ;   in Loop: Header=BB403_1003 Depth=1
	s_andn2_saveexec_b64 s[12:13], s[4:5]
; %bb.2158:                             ;   in Loop: Header=BB403_1003 Depth=1
	v_or_b32_e32 v4, 0x10000, v7
	v_cmp_eq_u32_sdwa s[4:5], v7, v33 src0_sel:WORD_0 src1_sel:DWORD
	v_cndmask_b32_e64 v52, v4, v7, s[4:5]
; %bb.2159:                             ;   in Loop: Header=BB403_1003 Depth=1
	s_or_b64 exec, exec, s[12:13]
	v_lshlrev_b32_e32 v4, 16, v11
	v_mul_f32_e32 v8, v54, v4
	v_and_b32_e32 v4, 0x7f800000, v8
	v_cmp_ne_u32_e64 s[4:5], s15, v4
                                        ; implicit-def: $vgpr7
	s_and_saveexec_b64 s[12:13], s[4:5]
	s_xor_b64 s[4:5], exec, s[12:13]
; %bb.2160:                             ;   in Loop: Header=BB403_1003 Depth=1
	v_bfe_u32 v4, v8, 16, 1
	v_add3_u32 v7, v8, v4, s21
                                        ; implicit-def: $vgpr8
; %bb.2161:                             ;   in Loop: Header=BB403_1003 Depth=1
	s_andn2_saveexec_b64 s[12:13], s[4:5]
; %bb.2162:                             ;   in Loop: Header=BB403_1003 Depth=1
	v_or_b32_e32 v4, 0x10000, v8
	v_cmp_eq_u32_sdwa s[4:5], v8, v33 src0_sel:WORD_0 src1_sel:DWORD
	v_cndmask_b32_e64 v7, v4, v8, s[4:5]
; %bb.2163:                             ;   in Loop: Header=BB403_1003 Depth=1
	s_or_b64 exec, exec, s[12:13]
	v_lshlrev_b32_e32 v4, 16, v6
	v_mul_f32_e32 v6, v61, v4
	v_and_b32_e32 v4, 0x7f800000, v6
	v_cmp_ne_u32_e64 s[4:5], s15, v4
                                        ; implicit-def: $vgpr8
	s_and_saveexec_b64 s[12:13], s[4:5]
	s_xor_b64 s[4:5], exec, s[12:13]
; %bb.2164:                             ;   in Loop: Header=BB403_1003 Depth=1
	v_bfe_u32 v4, v6, 16, 1
	v_add3_u32 v8, v6, v4, s21
                                        ; implicit-def: $vgpr6
; %bb.2165:                             ;   in Loop: Header=BB403_1003 Depth=1
	s_andn2_saveexec_b64 s[12:13], s[4:5]
; %bb.2166:                             ;   in Loop: Header=BB403_1003 Depth=1
	v_or_b32_e32 v4, 0x10000, v6
	v_cmp_eq_u32_sdwa s[4:5], v6, v33 src0_sel:WORD_0 src1_sel:DWORD
	v_cndmask_b32_e64 v8, v4, v6, s[4:5]
; %bb.2167:                             ;   in Loop: Header=BB403_1003 Depth=1
	s_or_b64 exec, exec, s[12:13]
	v_lshlrev_b32_e32 v3, 16, v3
	v_mul_f32_e32 v3, v35, v3
	v_and_b32_e32 v4, 0x7f800000, v3
	v_cmp_ne_u32_e64 s[4:5], s15, v4
                                        ; implicit-def: $vgpr34
	s_and_saveexec_b64 s[12:13], s[4:5]
	s_xor_b64 s[4:5], exec, s[12:13]
; %bb.2168:                             ;   in Loop: Header=BB403_1003 Depth=1
	v_bfe_u32 v4, v3, 16, 1
	v_add3_u32 v34, v3, v4, s21
                                        ; implicit-def: $vgpr3
; %bb.2169:                             ;   in Loop: Header=BB403_1003 Depth=1
	s_andn2_saveexec_b64 s[12:13], s[4:5]
; %bb.2170:                             ;   in Loop: Header=BB403_1003 Depth=1
	v_or_b32_e32 v4, 0x10000, v3
	v_cmp_eq_u32_sdwa s[4:5], v3, v33 src0_sel:WORD_0 src1_sel:DWORD
	v_cndmask_b32_e64 v34, v4, v3, s[4:5]
; %bb.2171:                             ;   in Loop: Header=BB403_1003 Depth=1
	s_or_b64 exec, exec, s[12:13]
	v_lshlrev_b32_e32 v2, 16, v2
	v_mul_f32_e32 v2, v50, v2
	v_and_b32_e32 v3, 0x7f800000, v2
	v_cmp_ne_u32_e64 s[4:5], s15, v3
                                        ; implicit-def: $vgpr36
	s_and_saveexec_b64 s[12:13], s[4:5]
	s_xor_b64 s[4:5], exec, s[12:13]
; %bb.2172:                             ;   in Loop: Header=BB403_1003 Depth=1
	v_bfe_u32 v3, v2, 16, 1
	v_add3_u32 v36, v2, v3, s21
                                        ; implicit-def: $vgpr2
; %bb.2173:                             ;   in Loop: Header=BB403_1003 Depth=1
	s_andn2_saveexec_b64 s[12:13], s[4:5]
; %bb.2174:                             ;   in Loop: Header=BB403_1003 Depth=1
	v_or_b32_e32 v3, 0x10000, v2
	v_cmp_eq_u32_sdwa s[4:5], v2, v33 src0_sel:WORD_0 src1_sel:DWORD
	v_cndmask_b32_e64 v36, v3, v2, s[4:5]
; %bb.2175:                             ;   in Loop: Header=BB403_1003 Depth=1
	s_or_b64 exec, exec, s[12:13]
	buffer_load_dword v2, off, s[0:3], s32 offset:264 ; 4-byte Folded Reload
	buffer_load_dword v3, off, s[0:3], s32 offset:268 ; 4-byte Folded Reload
	v_mov_b32_e32 v6, 0
	s_waitcnt vmcnt(1)
	v_add_co_u32_e64 v2, s[4:5], v0, v2
	s_waitcnt vmcnt(0)
	v_addc_co_u32_e64 v3, s[4:5], 0, v1, s[4:5]
	flat_load_dwordx2 v[2:3], v[2:3]
	s_waitcnt vmcnt(0) lgkmcnt(0)
	v_cmp_ne_u16_sdwa s[4:5], v2, v33 src0_sel:BYTE_0 src1_sel:DWORD
	s_and_saveexec_b64 s[12:13], s[4:5]
	s_cbranch_execz .LBB403_2181
; %bb.2176:                             ;   in Loop: Header=BB403_1003 Depth=1
	v_cmp_ne_u16_sdwa s[4:5], v2, s28 src0_sel:BYTE_0 src1_sel:DWORD
	v_bfrev_b32_e32 v6, 1
	s_and_saveexec_b64 s[24:25], s[4:5]
	s_cbranch_execz .LBB403_2180
; %bb.2177:                             ;   in Loop: Header=BB403_1003 Depth=1
	v_and_b32_e32 v9, 0x7f, v2
	v_cmp_ne_u32_e64 s[4:5], s29, v9
	v_mov_b32_e32 v6, 0x7f800001
	s_and_saveexec_b64 s[26:27], s[4:5]
	s_cbranch_execz .LBB403_2179
; %bb.2178:                             ;   in Loop: Header=BB403_1003 Depth=1
	v_and_b32_e32 v4, 7, v2
	v_ffbh_u32_e32 v4, v4
	v_min_u32_e32 v4, 32, v4
	v_lshrrev_b32_e32 v5, 3, v9
	v_cmp_gt_u32_e64 s[4:5], 8, v9
	v_subrev_u32_e32 v6, 28, v4
	v_sub_u32_e32 v4, 29, v4
	v_cndmask_b32_e64 v4, v5, v4, s[4:5]
	v_cndmask_b32_e64 v5, 0, v6, s[4:5]
	v_lshlrev_b64 v[10:11], v5, v[2:3]
	v_lshlrev_b32_e32 v5, 20, v10
	v_lshlrev_b32_e32 v6, 24, v2
	v_bfrev_b32_e32 v9, 60
	v_and_b32_e32 v5, 0x700000, v5
	v_and_b32_e32 v6, 0x80000000, v6
	v_lshl_add_u32 v4, v4, 23, v9
	v_or3_b32 v6, v6, v4, v5
.LBB403_2179:                           ;   in Loop: Header=BB403_1003 Depth=1
	s_or_b64 exec, exec, s[26:27]
.LBB403_2180:                           ;   in Loop: Header=BB403_1003 Depth=1
	s_or_b64 exec, exec, s[24:25]
.LBB403_2181:                           ;   in Loop: Header=BB403_1003 Depth=1
	s_or_b64 exec, exec, s[12:13]
	v_mul_f32_e32 v6, v27, v6
	v_and_b32_e32 v4, 0x7f800000, v6
	v_cmp_ne_u32_e64 s[4:5], s15, v4
                                        ; implicit-def: $vgpr10
	s_and_saveexec_b64 s[12:13], s[4:5]
	s_xor_b64 s[4:5], exec, s[12:13]
; %bb.2182:                             ;   in Loop: Header=BB403_1003 Depth=1
	v_bfe_u32 v4, v6, 16, 1
	v_add3_u32 v10, v6, v4, s21
                                        ; implicit-def: $vgpr6
; %bb.2183:                             ;   in Loop: Header=BB403_1003 Depth=1
	s_andn2_saveexec_b64 s[12:13], s[4:5]
; %bb.2184:                             ;   in Loop: Header=BB403_1003 Depth=1
	v_or_b32_e32 v4, 0x10000, v6
	v_cmp_eq_u32_sdwa s[4:5], v6, v33 src0_sel:WORD_0 src1_sel:DWORD
	v_cndmask_b32_e64 v10, v4, v6, s[4:5]
; %bb.2185:                             ;   in Loop: Header=BB403_1003 Depth=1
	s_or_b64 exec, exec, s[12:13]
	v_lshrrev_b16_e32 v6, 8, v2
	v_cmp_ne_u16_e64 s[4:5], 0, v6
	v_mov_b32_e32 v9, 0
	s_and_saveexec_b64 s[12:13], s[4:5]
	s_cbranch_execz .LBB403_2191
; %bb.2186:                             ;   in Loop: Header=BB403_1003 Depth=1
	v_cmp_ne_u16_e64 s[4:5], s28, v6
	v_bfrev_b32_e32 v9, 1
	s_and_saveexec_b64 s[24:25], s[4:5]
	s_cbranch_execz .LBB403_2190
; %bb.2187:                             ;   in Loop: Header=BB403_1003 Depth=1
	v_and_b32_e32 v11, 0x7f, v6
	v_cmp_ne_u32_e64 s[4:5], s29, v11
	v_mov_b32_e32 v9, 0x7f800001
	s_and_saveexec_b64 s[26:27], s[4:5]
	s_cbranch_execz .LBB403_2189
; %bb.2188:                             ;   in Loop: Header=BB403_1003 Depth=1
	v_and_b32_e32 v4, 7, v6
	v_ffbh_u32_e32 v9, v4
	v_min_u32_e32 v9, 32, v9
	v_lshrrev_b32_e32 v5, 3, v11
	v_cmp_gt_u32_e64 s[4:5], 8, v11
	v_subrev_u32_e32 v11, 28, v9
	v_lshlrev_b64 v[38:39], v11, v[6:7]
	v_sub_u32_e32 v6, 29, v9
	v_and_b32_e32 v9, 7, v38
	v_cndmask_b32_e64 v5, v5, v6, s[4:5]
	v_cndmask_b32_e64 v4, v4, v9, s[4:5]
	v_lshlrev_b32_e32 v6, 16, v2
	v_bfrev_b32_e32 v9, 60
	v_lshlrev_b32_e32 v4, 20, v4
	v_and_b32_e32 v6, 0x80000000, v6
	v_lshl_add_u32 v5, v5, 23, v9
	v_or3_b32 v9, v6, v5, v4
.LBB403_2189:                           ;   in Loop: Header=BB403_1003 Depth=1
	s_or_b64 exec, exec, s[26:27]
.LBB403_2190:                           ;   in Loop: Header=BB403_1003 Depth=1
	s_or_b64 exec, exec, s[24:25]
.LBB403_2191:                           ;   in Loop: Header=BB403_1003 Depth=1
	s_or_b64 exec, exec, s[12:13]
	v_mul_f32_e32 v6, v27, v9
	v_and_b32_e32 v4, 0x7f800000, v6
	v_cmp_ne_u32_e64 s[4:5], s15, v4
                                        ; implicit-def: $vgpr11
	s_and_saveexec_b64 s[12:13], s[4:5]
	s_xor_b64 s[4:5], exec, s[12:13]
; %bb.2192:                             ;   in Loop: Header=BB403_1003 Depth=1
	v_bfe_u32 v4, v6, 16, 1
	v_add3_u32 v11, v6, v4, s21
                                        ; implicit-def: $vgpr6
; %bb.2193:                             ;   in Loop: Header=BB403_1003 Depth=1
	s_andn2_saveexec_b64 s[12:13], s[4:5]
; %bb.2194:                             ;   in Loop: Header=BB403_1003 Depth=1
	v_or_b32_e32 v4, 0x10000, v6
	v_cmp_eq_u32_sdwa s[4:5], v6, v33 src0_sel:WORD_0 src1_sel:DWORD
	v_cndmask_b32_e64 v11, v4, v6, s[4:5]
; %bb.2195:                             ;   in Loop: Header=BB403_1003 Depth=1
	s_or_b64 exec, exec, s[12:13]
	v_lshrrev_b32_e32 v6, 16, v2
	v_cmp_ne_u16_sdwa s[4:5], v6, v33 src0_sel:BYTE_0 src1_sel:DWORD
	v_mov_b32_e32 v9, 0
	s_and_saveexec_b64 s[12:13], s[4:5]
	s_cbranch_execz .LBB403_2201
; %bb.2196:                             ;   in Loop: Header=BB403_1003 Depth=1
	v_cmp_ne_u16_sdwa s[4:5], v6, s28 src0_sel:BYTE_0 src1_sel:DWORD
	v_bfrev_b32_e32 v9, 1
	s_and_saveexec_b64 s[24:25], s[4:5]
	s_cbranch_execz .LBB403_2200
; %bb.2197:                             ;   in Loop: Header=BB403_1003 Depth=1
	v_bfe_u32 v16, v2, 16, 7
	v_cmp_ne_u32_e64 s[4:5], s29, v16
	v_mov_b32_e32 v9, 0x7f800001
	s_and_saveexec_b64 s[26:27], s[4:5]
	s_cbranch_execz .LBB403_2199
; %bb.2198:                             ;   in Loop: Header=BB403_1003 Depth=1
	v_and_b32_e32 v4, 7, v6
	v_ffbh_u32_e32 v9, v4
	v_min_u32_e32 v9, 32, v9
	v_lshrrev_b32_e32 v5, 3, v16
	v_cmp_gt_u32_e64 s[4:5], 8, v16
	v_subrev_u32_e32 v16, 28, v9
	v_lshlrev_b64 v[38:39], v16, v[6:7]
	v_sub_u32_e32 v9, 29, v9
	v_and_b32_e32 v16, 7, v38
	v_cndmask_b32_e64 v5, v5, v9, s[4:5]
	v_cndmask_b32_e64 v4, v4, v16, s[4:5]
	v_lshlrev_b32_e32 v6, 24, v6
	v_bfrev_b32_e32 v9, 60
	v_lshlrev_b32_e32 v4, 20, v4
	v_and_b32_e32 v6, 0x80000000, v6
	v_lshl_add_u32 v5, v5, 23, v9
	v_or3_b32 v9, v6, v5, v4
.LBB403_2199:                           ;   in Loop: Header=BB403_1003 Depth=1
	s_or_b64 exec, exec, s[26:27]
.LBB403_2200:                           ;   in Loop: Header=BB403_1003 Depth=1
	s_or_b64 exec, exec, s[24:25]
.LBB403_2201:                           ;   in Loop: Header=BB403_1003 Depth=1
	s_or_b64 exec, exec, s[12:13]
	v_mul_f32_e32 v6, v27, v9
	v_and_b32_e32 v4, 0x7f800000, v6
	v_cmp_ne_u32_e64 s[4:5], s15, v4
                                        ; implicit-def: $vgpr9
	s_and_saveexec_b64 s[12:13], s[4:5]
	s_xor_b64 s[4:5], exec, s[12:13]
; %bb.2202:                             ;   in Loop: Header=BB403_1003 Depth=1
	v_bfe_u32 v4, v6, 16, 1
	v_add3_u32 v9, v6, v4, s21
                                        ; implicit-def: $vgpr6
; %bb.2203:                             ;   in Loop: Header=BB403_1003 Depth=1
	s_andn2_saveexec_b64 s[12:13], s[4:5]
; %bb.2204:                             ;   in Loop: Header=BB403_1003 Depth=1
	v_or_b32_e32 v4, 0x10000, v6
	v_cmp_eq_u32_sdwa s[4:5], v6, v33 src0_sel:WORD_0 src1_sel:DWORD
	v_cndmask_b32_e64 v9, v4, v6, s[4:5]
; %bb.2205:                             ;   in Loop: Header=BB403_1003 Depth=1
	s_or_b64 exec, exec, s[12:13]
	v_cmp_lt_u32_e64 s[4:5], s9, v2
	v_mov_b32_e32 v16, 0
	s_and_saveexec_b64 s[12:13], s[4:5]
	s_cbranch_execz .LBB403_2211
; %bb.2206:                             ;   in Loop: Header=BB403_1003 Depth=1
	v_lshrrev_b32_e32 v6, 24, v2
	v_cmp_ne_u32_e64 s[4:5], s28, v6
	v_bfrev_b32_e32 v16, 1
	s_and_saveexec_b64 s[24:25], s[4:5]
	s_cbranch_execz .LBB403_2210
; %bb.2207:                             ;   in Loop: Header=BB403_1003 Depth=1
	v_bfe_u32 v22, v2, 24, 7
	v_cmp_ne_u32_e64 s[4:5], s29, v22
	v_mov_b32_e32 v16, 0x7f800001
	s_and_saveexec_b64 s[26:27], s[4:5]
	s_cbranch_execz .LBB403_2209
; %bb.2208:                             ;   in Loop: Header=BB403_1003 Depth=1
	v_and_b32_e32 v4, 7, v6
	v_ffbh_u32_e32 v16, v4
	v_min_u32_e32 v16, 32, v16
	v_lshrrev_b32_e32 v5, 3, v22
	v_cmp_gt_u32_e64 s[4:5], 8, v22
	v_subrev_u32_e32 v22, 28, v16
	v_lshlrev_b64 v[38:39], v22, v[6:7]
	v_sub_u32_e32 v16, 29, v16
	v_and_b32_e32 v22, 7, v38
	v_cndmask_b32_e64 v5, v5, v16, s[4:5]
	v_cndmask_b32_e64 v4, v4, v22, s[4:5]
	v_lshlrev_b32_e32 v6, 24, v6
	v_bfrev_b32_e32 v16, 60
	v_lshlrev_b32_e32 v4, 20, v4
	v_and_b32_e32 v6, 0x80000000, v6
	v_lshl_add_u32 v5, v5, 23, v16
	v_or3_b32 v16, v6, v5, v4
.LBB403_2209:                           ;   in Loop: Header=BB403_1003 Depth=1
	s_or_b64 exec, exec, s[26:27]
.LBB403_2210:                           ;   in Loop: Header=BB403_1003 Depth=1
	s_or_b64 exec, exec, s[24:25]
.LBB403_2211:                           ;   in Loop: Header=BB403_1003 Depth=1
	s_or_b64 exec, exec, s[12:13]
	v_mul_f32_e32 v6, v27, v16
	v_and_b32_e32 v4, 0x7f800000, v6
	v_cmp_ne_u32_e64 s[4:5], s15, v4
                                        ; implicit-def: $vgpr16
	s_and_saveexec_b64 s[12:13], s[4:5]
	s_xor_b64 s[4:5], exec, s[12:13]
; %bb.2212:                             ;   in Loop: Header=BB403_1003 Depth=1
	v_bfe_u32 v4, v6, 16, 1
	v_add3_u32 v16, v6, v4, s21
                                        ; implicit-def: $vgpr6
; %bb.2213:                             ;   in Loop: Header=BB403_1003 Depth=1
	s_andn2_saveexec_b64 s[12:13], s[4:5]
; %bb.2214:                             ;   in Loop: Header=BB403_1003 Depth=1
	v_or_b32_e32 v4, 0x10000, v6
	v_cmp_eq_u32_sdwa s[4:5], v6, v33 src0_sel:WORD_0 src1_sel:DWORD
	v_cndmask_b32_e64 v16, v4, v6, s[4:5]
; %bb.2215:                             ;   in Loop: Header=BB403_1003 Depth=1
	s_or_b64 exec, exec, s[12:13]
	v_mov_b32_e32 v32, v3
	v_cmp_ne_u16_sdwa s[4:5], v3, v33 src0_sel:BYTE_0 src1_sel:DWORD
	v_mov_b32_e32 v6, 0
	s_and_saveexec_b64 s[12:13], s[4:5]
	s_cbranch_execz .LBB403_2221
; %bb.2216:                             ;   in Loop: Header=BB403_1003 Depth=1
	v_cmp_ne_u16_sdwa s[4:5], v3, s28 src0_sel:BYTE_0 src1_sel:DWORD
	v_bfrev_b32_e32 v6, 1
	s_and_saveexec_b64 s[24:25], s[4:5]
	s_cbranch_execz .LBB403_2220
; %bb.2217:                             ;   in Loop: Header=BB403_1003 Depth=1
	v_and_b32_e32 v22, 0x7f, v3
	v_cmp_ne_u32_e64 s[4:5], s29, v22
	v_mov_b32_e32 v6, 0x7f800001
	s_and_saveexec_b64 s[26:27], s[4:5]
	s_cbranch_execz .LBB403_2219
; %bb.2218:                             ;   in Loop: Header=BB403_1003 Depth=1
	v_and_b32_e32 v4, 7, v3
	v_ffbh_u32_e32 v4, v4
	v_min_u32_e32 v4, 32, v4
	v_lshrrev_b32_e32 v5, 3, v22
	v_cmp_gt_u32_e64 s[4:5], 8, v22
	v_subrev_u32_e32 v6, 28, v4
	v_sub_u32_e32 v4, 29, v4
	v_cndmask_b32_e64 v4, v5, v4, s[4:5]
	v_cndmask_b32_e64 v5, 0, v6, s[4:5]
	v_lshlrev_b64 v[38:39], v5, v[32:33]
	v_lshlrev_b32_e32 v5, 20, v38
	v_lshlrev_b32_e32 v6, 24, v32
	v_bfrev_b32_e32 v22, 60
	v_and_b32_e32 v5, 0x700000, v5
	v_and_b32_e32 v6, 0x80000000, v6
	v_lshl_add_u32 v4, v4, 23, v22
	v_or3_b32 v6, v6, v4, v5
.LBB403_2219:                           ;   in Loop: Header=BB403_1003 Depth=1
	s_or_b64 exec, exec, s[26:27]
.LBB403_2220:                           ;   in Loop: Header=BB403_1003 Depth=1
	s_or_b64 exec, exec, s[24:25]
.LBB403_2221:                           ;   in Loop: Header=BB403_1003 Depth=1
	s_or_b64 exec, exec, s[12:13]
	v_mul_f32_e32 v6, v27, v6
	v_and_b32_e32 v4, 0x7f800000, v6
	v_cmp_ne_u32_e64 s[4:5], s15, v4
                                        ; implicit-def: $vgpr22
	s_and_saveexec_b64 s[12:13], s[4:5]
	s_xor_b64 s[4:5], exec, s[12:13]
; %bb.2222:                             ;   in Loop: Header=BB403_1003 Depth=1
	v_bfe_u32 v4, v6, 16, 1
	v_add3_u32 v22, v6, v4, s21
                                        ; implicit-def: $vgpr6
; %bb.2223:                             ;   in Loop: Header=BB403_1003 Depth=1
	s_andn2_saveexec_b64 s[12:13], s[4:5]
; %bb.2224:                             ;   in Loop: Header=BB403_1003 Depth=1
	v_or_b32_e32 v4, 0x10000, v6
	v_cmp_eq_u32_sdwa s[4:5], v6, v33 src0_sel:WORD_0 src1_sel:DWORD
	v_cndmask_b32_e64 v22, v4, v6, s[4:5]
; %bb.2225:                             ;   in Loop: Header=BB403_1003 Depth=1
	s_or_b64 exec, exec, s[12:13]
	v_lshrrev_b16_e32 v6, 8, v32
	v_cmp_ne_u16_e64 s[4:5], 0, v6
	v_mov_b32_e32 v26, 0
	s_and_saveexec_b64 s[12:13], s[4:5]
	s_cbranch_execz .LBB403_2231
; %bb.2226:                             ;   in Loop: Header=BB403_1003 Depth=1
	v_cmp_ne_u16_e64 s[4:5], s28, v6
	v_bfrev_b32_e32 v26, 1
	s_and_saveexec_b64 s[24:25], s[4:5]
	s_cbranch_execz .LBB403_2230
; %bb.2227:                             ;   in Loop: Header=BB403_1003 Depth=1
	v_and_b32_e32 v38, 0x7f, v6
	v_cmp_ne_u32_e64 s[4:5], s29, v38
	v_mov_b32_e32 v26, 0x7f800001
	s_and_saveexec_b64 s[26:27], s[4:5]
	s_cbranch_execz .LBB403_2229
; %bb.2228:                             ;   in Loop: Header=BB403_1003 Depth=1
	v_and_b32_e32 v4, 7, v6
	v_ffbh_u32_e32 v26, v4
	v_min_u32_e32 v26, 32, v26
	v_lshrrev_b32_e32 v5, 3, v38
	v_cmp_gt_u32_e64 s[4:5], 8, v38
	v_subrev_u32_e32 v38, 28, v26
	v_lshlrev_b64 v[38:39], v38, v[6:7]
	v_sub_u32_e32 v6, 29, v26
	v_and_b32_e32 v26, 7, v38
	v_cndmask_b32_e64 v5, v5, v6, s[4:5]
	v_cndmask_b32_e64 v4, v4, v26, s[4:5]
	v_lshlrev_b32_e32 v6, 16, v32
	v_bfrev_b32_e32 v26, 60
	v_lshlrev_b32_e32 v4, 20, v4
	v_and_b32_e32 v6, 0x80000000, v6
	v_lshl_add_u32 v5, v5, 23, v26
	v_or3_b32 v26, v6, v5, v4
.LBB403_2229:                           ;   in Loop: Header=BB403_1003 Depth=1
	s_or_b64 exec, exec, s[26:27]
.LBB403_2230:                           ;   in Loop: Header=BB403_1003 Depth=1
	s_or_b64 exec, exec, s[24:25]
.LBB403_2231:                           ;   in Loop: Header=BB403_1003 Depth=1
	s_or_b64 exec, exec, s[12:13]
	v_mul_f32_e32 v6, v27, v26
	v_and_b32_e32 v4, 0x7f800000, v6
	v_cmp_ne_u32_e64 s[4:5], s15, v4
                                        ; implicit-def: $vgpr26
	s_and_saveexec_b64 s[12:13], s[4:5]
	s_xor_b64 s[4:5], exec, s[12:13]
; %bb.2232:                             ;   in Loop: Header=BB403_1003 Depth=1
	v_bfe_u32 v4, v6, 16, 1
	v_add3_u32 v26, v6, v4, s21
                                        ; implicit-def: $vgpr6
; %bb.2233:                             ;   in Loop: Header=BB403_1003 Depth=1
	s_andn2_saveexec_b64 s[12:13], s[4:5]
; %bb.2234:                             ;   in Loop: Header=BB403_1003 Depth=1
	v_or_b32_e32 v4, 0x10000, v6
	v_cmp_eq_u32_sdwa s[4:5], v6, v33 src0_sel:WORD_0 src1_sel:DWORD
	v_cndmask_b32_e64 v26, v4, v6, s[4:5]
; %bb.2235:                             ;   in Loop: Header=BB403_1003 Depth=1
	s_or_b64 exec, exec, s[12:13]
	v_lshrrev_b32_e32 v6, 16, v3
	v_cmp_ne_u16_sdwa s[4:5], v6, v33 src0_sel:BYTE_0 src1_sel:DWORD
	v_mov_b32_e32 v32, 0
	s_and_saveexec_b64 s[12:13], s[4:5]
	s_cbranch_execz .LBB403_2241
; %bb.2236:                             ;   in Loop: Header=BB403_1003 Depth=1
	v_cmp_ne_u16_sdwa s[4:5], v6, s28 src0_sel:BYTE_0 src1_sel:DWORD
	v_bfrev_b32_e32 v32, 1
	s_and_saveexec_b64 s[24:25], s[4:5]
	s_cbranch_execz .LBB403_2240
; %bb.2237:                             ;   in Loop: Header=BB403_1003 Depth=1
	v_bfe_u32 v38, v3, 16, 7
	v_cmp_ne_u32_e64 s[4:5], s29, v38
	v_mov_b32_e32 v32, 0x7f800001
	s_and_saveexec_b64 s[26:27], s[4:5]
	s_cbranch_execz .LBB403_2239
; %bb.2238:                             ;   in Loop: Header=BB403_1003 Depth=1
	v_and_b32_e32 v4, 7, v6
	v_ffbh_u32_e32 v32, v4
	v_min_u32_e32 v32, 32, v32
	v_lshrrev_b32_e32 v5, 3, v38
	v_cmp_gt_u32_e64 s[4:5], 8, v38
	v_subrev_u32_e32 v38, 28, v32
	v_lshlrev_b64 v[38:39], v38, v[6:7]
	v_sub_u32_e32 v32, 29, v32
	v_and_b32_e32 v38, 7, v38
	v_cndmask_b32_e64 v5, v5, v32, s[4:5]
	v_cndmask_b32_e64 v4, v4, v38, s[4:5]
	v_lshlrev_b32_e32 v6, 24, v6
	v_bfrev_b32_e32 v32, 60
	v_lshlrev_b32_e32 v4, 20, v4
	v_and_b32_e32 v6, 0x80000000, v6
	v_lshl_add_u32 v5, v5, 23, v32
	v_or3_b32 v32, v6, v5, v4
.LBB403_2239:                           ;   in Loop: Header=BB403_1003 Depth=1
	s_or_b64 exec, exec, s[26:27]
.LBB403_2240:                           ;   in Loop: Header=BB403_1003 Depth=1
	s_or_b64 exec, exec, s[24:25]
.LBB403_2241:                           ;   in Loop: Header=BB403_1003 Depth=1
	s_or_b64 exec, exec, s[12:13]
	v_mul_f32_e32 v32, v27, v32
	v_and_b32_e32 v4, 0x7f800000, v32
	v_cmp_ne_u32_e64 s[4:5], s15, v4
                                        ; implicit-def: $vgpr6
	s_and_saveexec_b64 s[12:13], s[4:5]
	s_xor_b64 s[4:5], exec, s[12:13]
; %bb.2242:                             ;   in Loop: Header=BB403_1003 Depth=1
	v_bfe_u32 v4, v32, 16, 1
	v_add3_u32 v6, v32, v4, s21
                                        ; implicit-def: $vgpr32
; %bb.2243:                             ;   in Loop: Header=BB403_1003 Depth=1
	s_andn2_saveexec_b64 s[12:13], s[4:5]
; %bb.2244:                             ;   in Loop: Header=BB403_1003 Depth=1
	v_or_b32_e32 v4, 0x10000, v32
	v_cmp_eq_u32_sdwa s[4:5], v32, v33 src0_sel:WORD_0 src1_sel:DWORD
	v_cndmask_b32_e64 v6, v4, v32, s[4:5]
; %bb.2245:                             ;   in Loop: Header=BB403_1003 Depth=1
	s_or_b64 exec, exec, s[12:13]
	v_cmp_lt_u64_e64 s[4:5], s[8:9], v[2:3]
	v_mov_b32_e32 v32, 0
	s_and_saveexec_b64 s[12:13], s[4:5]
	s_cbranch_execz .LBB403_2251
; %bb.2246:                             ;   in Loop: Header=BB403_1003 Depth=1
	v_lshrrev_b32_e32 v2, 24, v3
	v_cmp_ne_u32_e64 s[4:5], s28, v2
	v_bfrev_b32_e32 v32, 1
	s_and_saveexec_b64 s[24:25], s[4:5]
	s_cbranch_execz .LBB403_2250
; %bb.2247:                             ;   in Loop: Header=BB403_1003 Depth=1
	v_bfe_u32 v3, v3, 24, 7
	v_cmp_ne_u32_e64 s[4:5], s29, v3
	v_mov_b32_e32 v32, 0x7f800001
	s_and_saveexec_b64 s[26:27], s[4:5]
	s_cbranch_execz .LBB403_2249
; %bb.2248:                             ;   in Loop: Header=BB403_1003 Depth=1
	v_and_b32_e32 v4, 7, v2
	v_lshrrev_b32_e32 v5, 3, v3
	v_cmp_gt_u32_e64 s[4:5], 8, v3
	v_ffbh_u32_e32 v3, v4
	v_min_u32_e32 v3, 32, v3
	v_subrev_u32_e32 v32, 28, v3
	v_lshlrev_b64 v[38:39], v32, v[2:3]
	v_sub_u32_e32 v3, 29, v3
	v_and_b32_e32 v32, 7, v38
	v_cndmask_b32_e64 v3, v5, v3, s[4:5]
	v_cndmask_b32_e64 v4, v4, v32, s[4:5]
	v_lshlrev_b32_e32 v2, 24, v2
	v_bfrev_b32_e32 v5, 60
	v_lshlrev_b32_e32 v4, 20, v4
	v_and_b32_e32 v2, 0x80000000, v2
	v_lshl_add_u32 v3, v3, 23, v5
	v_or3_b32 v32, v2, v3, v4
.LBB403_2249:                           ;   in Loop: Header=BB403_1003 Depth=1
	s_or_b64 exec, exec, s[26:27]
.LBB403_2250:                           ;   in Loop: Header=BB403_1003 Depth=1
	s_or_b64 exec, exec, s[24:25]
.LBB403_2251:                           ;   in Loop: Header=BB403_1003 Depth=1
	s_or_b64 exec, exec, s[12:13]
	v_mul_f32_e32 v3, v27, v32
	v_and_b32_e32 v2, 0x7f800000, v3
	v_cmp_ne_u32_e64 s[4:5], s15, v2
                                        ; implicit-def: $vgpr2
	s_and_saveexec_b64 s[12:13], s[4:5]
	s_xor_b64 s[4:5], exec, s[12:13]
; %bb.2252:                             ;   in Loop: Header=BB403_1003 Depth=1
	v_bfe_u32 v2, v3, 16, 1
	v_add3_u32 v2, v3, v2, s21
                                        ; implicit-def: $vgpr3
; %bb.2253:                             ;   in Loop: Header=BB403_1003 Depth=1
	s_andn2_saveexec_b64 s[12:13], s[4:5]
; %bb.2254:                             ;   in Loop: Header=BB403_1003 Depth=1
	v_or_b32_e32 v2, 0x10000, v3
	v_cmp_eq_u32_sdwa s[4:5], v3, v33 src0_sel:WORD_0 src1_sel:DWORD
	v_cndmask_b32_e64 v2, v2, v3, s[4:5]
; %bb.2255:                             ;   in Loop: Header=BB403_1003 Depth=1
	s_or_b64 exec, exec, s[12:13]
	v_lshrrev_b32_e32 v26, 16, v26
	v_lshrrev_b32_e32 v22, 16, v22
	;; [unrolled: 1-line block ×8, first 2 shown]
	s_and_saveexec_b64 s[12:13], vcc
	s_cbranch_execz .LBB403_2257
; %bb.2256:                             ;   in Loop: Header=BB403_1003 Depth=1
	v_accvgpr_read_b32 v4, a26
	v_cmp_lt_i32_e64 s[4:5], v4, v37
	v_accvgpr_read_b32 v4, a32
	v_cndmask_b32_e64 v3, 0, v3, s[4:5]
	v_cmp_lt_i32_e64 s[4:5], v4, v37
	v_accvgpr_read_b32 v4, a31
	v_cndmask_b32_e64 v11, 0, v11, s[4:5]
	;; [unrolled: 3-line block ×6, first 2 shown]
	v_cmp_lt_i32_e64 s[4:5], v4, v37
	v_cndmask_b32_e64 v9, 0, v9, s[4:5]
	v_cmp_lt_i32_e64 s[4:5], v17, v37
	v_cndmask_b32_e64 v2, 0, v2, s[4:5]
.LBB403_2257:                           ;   in Loop: Header=BB403_1003 Depth=1
	s_or_b64 exec, exec, s[12:13]
	v_lshlrev_b32_e32 v3, 16, v3
	v_accvgpr_read_b32 v4, a33
	v_mul_f32_e32 v6, v4, v3
	v_and_b32_e32 v3, 0x7f800000, v6
	v_cmp_ne_u32_e64 s[4:5], s15, v3
                                        ; implicit-def: $vgpr3
	s_and_saveexec_b64 s[12:13], s[4:5]
	s_xor_b64 s[4:5], exec, s[12:13]
; %bb.2258:                             ;   in Loop: Header=BB403_1003 Depth=1
	v_bfe_u32 v3, v6, 16, 1
	v_add3_u32 v3, v6, v3, s21
                                        ; implicit-def: $vgpr6
; %bb.2259:                             ;   in Loop: Header=BB403_1003 Depth=1
	s_andn2_saveexec_b64 s[12:13], s[4:5]
; %bb.2260:                             ;   in Loop: Header=BB403_1003 Depth=1
	v_or_b32_e32 v3, 0x10000, v6
	v_cmp_eq_u32_sdwa s[4:5], v6, v33 src0_sel:WORD_0 src1_sel:DWORD
	v_cndmask_b32_e64 v3, v3, v6, s[4:5]
; %bb.2261:                             ;   in Loop: Header=BB403_1003 Depth=1
	s_or_b64 exec, exec, s[12:13]
	v_lshlrev_b32_e32 v4, 16, v11
	v_accvgpr_read_b32 v5, a34
	v_mul_f32_e32 v10, v5, v4
	v_and_b32_e32 v4, 0x7f800000, v10
	v_cmp_ne_u32_e64 s[4:5], s15, v4
                                        ; implicit-def: $vgpr6
	s_and_saveexec_b64 s[12:13], s[4:5]
	s_xor_b64 s[4:5], exec, s[12:13]
; %bb.2262:                             ;   in Loop: Header=BB403_1003 Depth=1
	v_bfe_u32 v4, v10, 16, 1
	v_add3_u32 v6, v10, v4, s21
                                        ; implicit-def: $vgpr10
; %bb.2263:                             ;   in Loop: Header=BB403_1003 Depth=1
	s_andn2_saveexec_b64 s[12:13], s[4:5]
; %bb.2264:                             ;   in Loop: Header=BB403_1003 Depth=1
	v_or_b32_e32 v4, 0x10000, v10
	v_cmp_eq_u32_sdwa s[4:5], v10, v33 src0_sel:WORD_0 src1_sel:DWORD
	v_cndmask_b32_e64 v6, v4, v10, s[4:5]
; %bb.2265:                             ;   in Loop: Header=BB403_1003 Depth=1
	s_or_b64 exec, exec, s[12:13]
	v_lshlrev_b32_e32 v4, 16, v16
	v_mul_f32_e32 v10, v49, v4
	v_and_b32_e32 v4, 0x7f800000, v10
	v_cmp_ne_u32_e64 s[4:5], s15, v4
                                        ; implicit-def: $vgpr16
	s_and_saveexec_b64 s[12:13], s[4:5]
	s_xor_b64 s[4:5], exec, s[12:13]
; %bb.2266:                             ;   in Loop: Header=BB403_1003 Depth=1
	v_bfe_u32 v4, v10, 16, 1
	v_add3_u32 v16, v10, v4, s21
                                        ; implicit-def: $vgpr10
; %bb.2267:                             ;   in Loop: Header=BB403_1003 Depth=1
	s_andn2_saveexec_b64 s[12:13], s[4:5]
; %bb.2268:                             ;   in Loop: Header=BB403_1003 Depth=1
	v_or_b32_e32 v4, 0x10000, v10
	v_cmp_eq_u32_sdwa s[4:5], v10, v33 src0_sel:WORD_0 src1_sel:DWORD
	v_cndmask_b32_e64 v16, v4, v10, s[4:5]
; %bb.2269:                             ;   in Loop: Header=BB403_1003 Depth=1
	s_or_b64 exec, exec, s[12:13]
	v_lshlrev_b32_e32 v4, 16, v32
	v_mul_f32_e32 v10, v23, v4
	v_and_b32_e32 v4, 0x7f800000, v10
	v_cmp_ne_u32_e64 s[4:5], s15, v4
                                        ; implicit-def: $vgpr38
	s_and_saveexec_b64 s[12:13], s[4:5]
	s_xor_b64 s[4:5], exec, s[12:13]
; %bb.2270:                             ;   in Loop: Header=BB403_1003 Depth=1
	v_bfe_u32 v4, v10, 16, 1
	v_add3_u32 v38, v10, v4, s21
                                        ; implicit-def: $vgpr10
; %bb.2271:                             ;   in Loop: Header=BB403_1003 Depth=1
	s_andn2_saveexec_b64 s[12:13], s[4:5]
; %bb.2272:                             ;   in Loop: Header=BB403_1003 Depth=1
	v_or_b32_e32 v4, 0x10000, v10
	v_cmp_eq_u32_sdwa s[4:5], v10, v33 src0_sel:WORD_0 src1_sel:DWORD
	v_cndmask_b32_e64 v38, v4, v10, s[4:5]
; %bb.2273:                             ;   in Loop: Header=BB403_1003 Depth=1
	s_or_b64 exec, exec, s[12:13]
	v_lshlrev_b32_e32 v4, 16, v22
	v_mul_f32_e32 v10, v54, v4
	v_and_b32_e32 v4, 0x7f800000, v10
	v_cmp_ne_u32_e64 s[4:5], s15, v4
                                        ; implicit-def: $vgpr48
	s_and_saveexec_b64 s[12:13], s[4:5]
	s_xor_b64 s[4:5], exec, s[12:13]
; %bb.2274:                             ;   in Loop: Header=BB403_1003 Depth=1
	v_bfe_u32 v4, v10, 16, 1
	v_add3_u32 v48, v10, v4, s21
                                        ; implicit-def: $vgpr10
; %bb.2275:                             ;   in Loop: Header=BB403_1003 Depth=1
	s_andn2_saveexec_b64 s[12:13], s[4:5]
; %bb.2276:                             ;   in Loop: Header=BB403_1003 Depth=1
	v_or_b32_e32 v4, 0x10000, v10
	v_cmp_eq_u32_sdwa s[4:5], v10, v33 src0_sel:WORD_0 src1_sel:DWORD
	v_cndmask_b32_e64 v48, v4, v10, s[4:5]
; %bb.2277:                             ;   in Loop: Header=BB403_1003 Depth=1
	s_or_b64 exec, exec, s[12:13]
	v_lshlrev_b32_e32 v4, 16, v26
	v_mul_f32_e32 v10, v61, v4
	v_and_b32_e32 v4, 0x7f800000, v10
	v_cmp_ne_u32_e64 s[4:5], s15, v4
                                        ; implicit-def: $vgpr26
	s_and_saveexec_b64 s[12:13], s[4:5]
	s_xor_b64 s[4:5], exec, s[12:13]
; %bb.2278:                             ;   in Loop: Header=BB403_1003 Depth=1
	v_bfe_u32 v4, v10, 16, 1
	v_add3_u32 v26, v10, v4, s21
                                        ; implicit-def: $vgpr10
; %bb.2279:                             ;   in Loop: Header=BB403_1003 Depth=1
	s_andn2_saveexec_b64 s[12:13], s[4:5]
; %bb.2280:                             ;   in Loop: Header=BB403_1003 Depth=1
	v_or_b32_e32 v4, 0x10000, v10
	v_cmp_eq_u32_sdwa s[4:5], v10, v33 src0_sel:WORD_0 src1_sel:DWORD
	v_cndmask_b32_e64 v26, v4, v10, s[4:5]
; %bb.2281:                             ;   in Loop: Header=BB403_1003 Depth=1
	s_or_b64 exec, exec, s[12:13]
	v_lshlrev_b32_e32 v4, 16, v9
	v_mul_f32_e32 v9, v35, v4
	v_and_b32_e32 v4, 0x7f800000, v9
	v_cmp_ne_u32_e64 s[4:5], s15, v4
                                        ; implicit-def: $vgpr39
	s_and_saveexec_b64 s[12:13], s[4:5]
	s_xor_b64 s[4:5], exec, s[12:13]
; %bb.2282:                             ;   in Loop: Header=BB403_1003 Depth=1
	v_bfe_u32 v4, v9, 16, 1
	v_add3_u32 v39, v9, v4, s21
                                        ; implicit-def: $vgpr9
; %bb.2283:                             ;   in Loop: Header=BB403_1003 Depth=1
	s_andn2_saveexec_b64 s[12:13], s[4:5]
; %bb.2284:                             ;   in Loop: Header=BB403_1003 Depth=1
	v_or_b32_e32 v4, 0x10000, v9
	v_cmp_eq_u32_sdwa s[4:5], v9, v33 src0_sel:WORD_0 src1_sel:DWORD
	v_cndmask_b32_e64 v39, v4, v9, s[4:5]
; %bb.2285:                             ;   in Loop: Header=BB403_1003 Depth=1
	s_or_b64 exec, exec, s[12:13]
	v_lshlrev_b32_e32 v2, 16, v2
	v_mul_f32_e32 v2, v50, v2
	v_and_b32_e32 v4, 0x7f800000, v2
	v_cmp_ne_u32_e64 s[4:5], s15, v4
                                        ; implicit-def: $vgpr10
	s_and_saveexec_b64 s[12:13], s[4:5]
	s_xor_b64 s[4:5], exec, s[12:13]
; %bb.2286:                             ;   in Loop: Header=BB403_1003 Depth=1
	v_bfe_u32 v4, v2, 16, 1
	v_add3_u32 v10, v2, v4, s21
                                        ; implicit-def: $vgpr2
; %bb.2287:                             ;   in Loop: Header=BB403_1003 Depth=1
	s_andn2_saveexec_b64 s[12:13], s[4:5]
; %bb.2288:                             ;   in Loop: Header=BB403_1003 Depth=1
	v_or_b32_e32 v4, 0x10000, v2
	v_cmp_eq_u32_sdwa s[4:5], v2, v33 src0_sel:WORD_0 src1_sel:DWORD
	v_cndmask_b32_e64 v10, v4, v2, s[4:5]
; %bb.2289:                             ;   in Loop: Header=BB403_1003 Depth=1
	s_or_b64 exec, exec, s[12:13]
	buffer_load_dword v4, off, s[0:3], s32 offset:280 ; 4-byte Folded Reload
	buffer_load_dword v5, off, s[0:3], s32 offset:284 ; 4-byte Folded Reload
	v_mov_b32_e32 v2, 0
	s_waitcnt vmcnt(1)
	v_add_co_u32_e64 v0, s[4:5], v0, v4
	v_addc_co_u32_e64 v1, s[4:5], 0, v1, s[4:5]
	flat_load_dwordx2 v[0:1], v[0:1]
	s_waitcnt vmcnt(0) lgkmcnt(0)
	v_cmp_ne_u16_sdwa s[4:5], v0, v33 src0_sel:BYTE_0 src1_sel:DWORD
	s_and_saveexec_b64 s[12:13], s[4:5]
	s_cbranch_execz .LBB403_2295
; %bb.2290:                             ;   in Loop: Header=BB403_1003 Depth=1
	v_cmp_ne_u16_sdwa s[4:5], v0, s28 src0_sel:BYTE_0 src1_sel:DWORD
	v_bfrev_b32_e32 v2, 1
	s_and_saveexec_b64 s[24:25], s[4:5]
	s_cbranch_execz .LBB403_2294
; %bb.2291:                             ;   in Loop: Header=BB403_1003 Depth=1
	v_and_b32_e32 v9, 0x7f, v0
	v_cmp_ne_u32_e64 s[4:5], s29, v9
	v_mov_b32_e32 v2, 0x7f800001
	s_and_saveexec_b64 s[26:27], s[4:5]
	s_cbranch_execz .LBB403_2293
; %bb.2292:                             ;   in Loop: Header=BB403_1003 Depth=1
	v_and_b32_e32 v2, 7, v0
	v_ffbh_u32_e32 v2, v2
	v_min_u32_e32 v2, 32, v2
	v_lshrrev_b32_e32 v4, 3, v9
	v_cmp_gt_u32_e64 s[4:5], 8, v9
	v_subrev_u32_e32 v5, 28, v2
	v_sub_u32_e32 v2, 29, v2
	v_cndmask_b32_e64 v2, v4, v2, s[4:5]
	v_cndmask_b32_e64 v4, 0, v5, s[4:5]
	v_lshlrev_b64 v[40:41], v4, v[0:1]
	v_lshlrev_b32_e32 v4, 20, v40
	v_lshlrev_b32_e32 v5, 24, v0
	v_bfrev_b32_e32 v9, 60
	v_and_b32_e32 v4, 0x700000, v4
	v_and_b32_e32 v5, 0x80000000, v5
	v_lshl_add_u32 v2, v2, 23, v9
	v_or3_b32 v2, v5, v2, v4
.LBB403_2293:                           ;   in Loop: Header=BB403_1003 Depth=1
	s_or_b64 exec, exec, s[26:27]
.LBB403_2294:                           ;   in Loop: Header=BB403_1003 Depth=1
	s_or_b64 exec, exec, s[24:25]
.LBB403_2295:                           ;   in Loop: Header=BB403_1003 Depth=1
	s_or_b64 exec, exec, s[12:13]
	v_mul_f32_e32 v2, v27, v2
	v_and_b32_e32 v4, 0x7f800000, v2
	v_cmp_ne_u32_e64 s[4:5], s15, v4
                                        ; implicit-def: $vgpr11
	s_and_saveexec_b64 s[12:13], s[4:5]
	s_xor_b64 s[4:5], exec, s[12:13]
; %bb.2296:                             ;   in Loop: Header=BB403_1003 Depth=1
	v_bfe_u32 v4, v2, 16, 1
	v_add3_u32 v11, v2, v4, s21
                                        ; implicit-def: $vgpr2
; %bb.2297:                             ;   in Loop: Header=BB403_1003 Depth=1
	s_andn2_saveexec_b64 s[12:13], s[4:5]
; %bb.2298:                             ;   in Loop: Header=BB403_1003 Depth=1
	v_or_b32_e32 v4, 0x10000, v2
	v_cmp_eq_u32_sdwa s[4:5], v2, v33 src0_sel:WORD_0 src1_sel:DWORD
	v_cndmask_b32_e64 v11, v4, v2, s[4:5]
; %bb.2299:                             ;   in Loop: Header=BB403_1003 Depth=1
	s_or_b64 exec, exec, s[12:13]
	v_lshrrev_b16_e32 v2, 8, v0
	v_cmp_ne_u16_e64 s[4:5], 0, v2
	v_mov_b32_e32 v9, 0
	s_and_saveexec_b64 s[12:13], s[4:5]
	s_cbranch_execz .LBB403_2305
; %bb.2300:                             ;   in Loop: Header=BB403_1003 Depth=1
	v_cmp_ne_u16_e64 s[4:5], s28, v2
	v_bfrev_b32_e32 v9, 1
	s_and_saveexec_b64 s[24:25], s[4:5]
	s_cbranch_execz .LBB403_2304
; %bb.2301:                             ;   in Loop: Header=BB403_1003 Depth=1
	v_and_b32_e32 v22, 0x7f, v2
	v_cmp_ne_u32_e64 s[4:5], s29, v22
	v_mov_b32_e32 v9, 0x7f800001
	s_and_saveexec_b64 s[26:27], s[4:5]
	s_cbranch_execz .LBB403_2303
; %bb.2302:                             ;   in Loop: Header=BB403_1003 Depth=1
	v_and_b32_e32 v4, 7, v2
	v_ffbh_u32_e32 v9, v4
	v_min_u32_e32 v9, 32, v9
	v_lshrrev_b32_e32 v5, 3, v22
	v_cmp_gt_u32_e64 s[4:5], 8, v22
	v_subrev_u32_e32 v22, 28, v9
	v_lshlrev_b64 v[40:41], v22, v[2:3]
	v_sub_u32_e32 v2, 29, v9
	v_and_b32_e32 v9, 7, v40
	v_cndmask_b32_e64 v2, v5, v2, s[4:5]
	v_cndmask_b32_e64 v4, v4, v9, s[4:5]
	v_lshlrev_b32_e32 v5, 16, v0
	v_bfrev_b32_e32 v9, 60
	v_lshlrev_b32_e32 v4, 20, v4
	v_and_b32_e32 v5, 0x80000000, v5
	v_lshl_add_u32 v2, v2, 23, v9
	v_or3_b32 v9, v5, v2, v4
.LBB403_2303:                           ;   in Loop: Header=BB403_1003 Depth=1
	s_or_b64 exec, exec, s[26:27]
.LBB403_2304:                           ;   in Loop: Header=BB403_1003 Depth=1
	s_or_b64 exec, exec, s[24:25]
.LBB403_2305:                           ;   in Loop: Header=BB403_1003 Depth=1
	s_or_b64 exec, exec, s[12:13]
	v_mul_f32_e32 v2, v27, v9
	v_and_b32_e32 v4, 0x7f800000, v2
	v_cmp_ne_u32_e64 s[4:5], s15, v4
                                        ; implicit-def: $vgpr9
	s_and_saveexec_b64 s[12:13], s[4:5]
	s_xor_b64 s[4:5], exec, s[12:13]
; %bb.2306:                             ;   in Loop: Header=BB403_1003 Depth=1
	v_bfe_u32 v4, v2, 16, 1
	v_add3_u32 v9, v2, v4, s21
                                        ; implicit-def: $vgpr2
; %bb.2307:                             ;   in Loop: Header=BB403_1003 Depth=1
	s_andn2_saveexec_b64 s[12:13], s[4:5]
; %bb.2308:                             ;   in Loop: Header=BB403_1003 Depth=1
	v_or_b32_e32 v4, 0x10000, v2
	v_cmp_eq_u32_sdwa s[4:5], v2, v33 src0_sel:WORD_0 src1_sel:DWORD
	v_cndmask_b32_e64 v9, v4, v2, s[4:5]
; %bb.2309:                             ;   in Loop: Header=BB403_1003 Depth=1
	s_or_b64 exec, exec, s[12:13]
	v_lshrrev_b32_e32 v2, 16, v0
	v_cmp_ne_u16_sdwa s[4:5], v2, v33 src0_sel:BYTE_0 src1_sel:DWORD
	v_mov_b32_e32 v22, 0
	s_and_saveexec_b64 s[12:13], s[4:5]
	s_cbranch_execz .LBB403_2315
; %bb.2310:                             ;   in Loop: Header=BB403_1003 Depth=1
	v_cmp_ne_u16_sdwa s[4:5], v2, s28 src0_sel:BYTE_0 src1_sel:DWORD
	v_bfrev_b32_e32 v22, 1
	s_and_saveexec_b64 s[24:25], s[4:5]
	s_cbranch_execz .LBB403_2314
; %bb.2311:                             ;   in Loop: Header=BB403_1003 Depth=1
	v_bfe_u32 v32, v0, 16, 7
	v_cmp_ne_u32_e64 s[4:5], s29, v32
	v_mov_b32_e32 v22, 0x7f800001
	s_and_saveexec_b64 s[26:27], s[4:5]
	s_cbranch_execz .LBB403_2313
; %bb.2312:                             ;   in Loop: Header=BB403_1003 Depth=1
	v_and_b32_e32 v4, 7, v2
	v_ffbh_u32_e32 v22, v4
	v_min_u32_e32 v22, 32, v22
	v_lshrrev_b32_e32 v5, 3, v32
	v_cmp_gt_u32_e64 s[4:5], 8, v32
	v_subrev_u32_e32 v32, 28, v22
	v_lshlrev_b64 v[40:41], v32, v[2:3]
	v_sub_u32_e32 v22, 29, v22
	v_and_b32_e32 v32, 7, v40
	v_cndmask_b32_e64 v5, v5, v22, s[4:5]
	v_cndmask_b32_e64 v4, v4, v32, s[4:5]
	v_lshlrev_b32_e32 v2, 24, v2
	v_bfrev_b32_e32 v22, 60
	v_lshlrev_b32_e32 v4, 20, v4
	v_and_b32_e32 v2, 0x80000000, v2
	v_lshl_add_u32 v5, v5, 23, v22
	v_or3_b32 v22, v2, v5, v4
.LBB403_2313:                           ;   in Loop: Header=BB403_1003 Depth=1
	s_or_b64 exec, exec, s[26:27]
.LBB403_2314:                           ;   in Loop: Header=BB403_1003 Depth=1
	s_or_b64 exec, exec, s[24:25]
.LBB403_2315:                           ;   in Loop: Header=BB403_1003 Depth=1
	s_or_b64 exec, exec, s[12:13]
	v_mul_f32_e32 v2, v27, v22
	v_and_b32_e32 v4, 0x7f800000, v2
	v_cmp_ne_u32_e64 s[4:5], s15, v4
                                        ; implicit-def: $vgpr22
	s_and_saveexec_b64 s[12:13], s[4:5]
	s_xor_b64 s[4:5], exec, s[12:13]
; %bb.2316:                             ;   in Loop: Header=BB403_1003 Depth=1
	v_bfe_u32 v4, v2, 16, 1
	v_add3_u32 v22, v2, v4, s21
                                        ; implicit-def: $vgpr2
; %bb.2317:                             ;   in Loop: Header=BB403_1003 Depth=1
	s_andn2_saveexec_b64 s[12:13], s[4:5]
; %bb.2318:                             ;   in Loop: Header=BB403_1003 Depth=1
	v_or_b32_e32 v4, 0x10000, v2
	v_cmp_eq_u32_sdwa s[4:5], v2, v33 src0_sel:WORD_0 src1_sel:DWORD
	v_cndmask_b32_e64 v22, v4, v2, s[4:5]
; %bb.2319:                             ;   in Loop: Header=BB403_1003 Depth=1
	s_or_b64 exec, exec, s[12:13]
	v_cmp_lt_u32_e64 s[4:5], s9, v0
	v_mov_b32_e32 v32, 0
	s_and_saveexec_b64 s[12:13], s[4:5]
	s_cbranch_execz .LBB403_2325
; %bb.2320:                             ;   in Loop: Header=BB403_1003 Depth=1
	v_lshrrev_b32_e32 v2, 24, v0
	v_cmp_ne_u32_e64 s[4:5], s28, v2
	v_bfrev_b32_e32 v32, 1
	s_and_saveexec_b64 s[24:25], s[4:5]
	s_cbranch_execz .LBB403_2324
; %bb.2321:                             ;   in Loop: Header=BB403_1003 Depth=1
	v_bfe_u32 v55, v0, 24, 7
	v_cmp_ne_u32_e64 s[4:5], s29, v55
	v_mov_b32_e32 v32, 0x7f800001
	s_and_saveexec_b64 s[26:27], s[4:5]
	s_cbranch_execz .LBB403_2323
; %bb.2322:                             ;   in Loop: Header=BB403_1003 Depth=1
	v_and_b32_e32 v4, 7, v2
	v_ffbh_u32_e32 v32, v4
	v_min_u32_e32 v32, 32, v32
	v_lshrrev_b32_e32 v5, 3, v55
	v_cmp_gt_u32_e64 s[4:5], 8, v55
	v_subrev_u32_e32 v55, 28, v32
	v_lshlrev_b64 v[40:41], v55, v[2:3]
	v_sub_u32_e32 v32, 29, v32
	v_and_b32_e32 v55, 7, v40
	v_cndmask_b32_e64 v5, v5, v32, s[4:5]
	v_cndmask_b32_e64 v4, v4, v55, s[4:5]
	v_lshlrev_b32_e32 v2, 24, v2
	v_bfrev_b32_e32 v32, 60
	v_lshlrev_b32_e32 v4, 20, v4
	v_and_b32_e32 v2, 0x80000000, v2
	v_lshl_add_u32 v5, v5, 23, v32
	v_or3_b32 v32, v2, v5, v4
.LBB403_2323:                           ;   in Loop: Header=BB403_1003 Depth=1
	s_or_b64 exec, exec, s[26:27]
.LBB403_2324:                           ;   in Loop: Header=BB403_1003 Depth=1
	s_or_b64 exec, exec, s[24:25]
.LBB403_2325:                           ;   in Loop: Header=BB403_1003 Depth=1
	s_or_b64 exec, exec, s[12:13]
	v_mul_f32_e32 v2, v27, v32
	v_and_b32_e32 v4, 0x7f800000, v2
	v_cmp_ne_u32_e64 s[4:5], s15, v4
                                        ; implicit-def: $vgpr55
	s_and_saveexec_b64 s[12:13], s[4:5]
	s_xor_b64 s[4:5], exec, s[12:13]
; %bb.2326:                             ;   in Loop: Header=BB403_1003 Depth=1
	v_bfe_u32 v4, v2, 16, 1
	v_add3_u32 v55, v2, v4, s21
                                        ; implicit-def: $vgpr2
; %bb.2327:                             ;   in Loop: Header=BB403_1003 Depth=1
	s_andn2_saveexec_b64 s[12:13], s[4:5]
; %bb.2328:                             ;   in Loop: Header=BB403_1003 Depth=1
	v_or_b32_e32 v4, 0x10000, v2
	v_cmp_eq_u32_sdwa s[4:5], v2, v33 src0_sel:WORD_0 src1_sel:DWORD
	v_cndmask_b32_e64 v55, v4, v2, s[4:5]
; %bb.2329:                             ;   in Loop: Header=BB403_1003 Depth=1
	s_or_b64 exec, exec, s[12:13]
	v_mov_b32_e32 v32, v1
	v_cmp_ne_u16_sdwa s[4:5], v1, v33 src0_sel:BYTE_0 src1_sel:DWORD
	v_mov_b32_e32 v2, 0
	s_and_saveexec_b64 s[12:13], s[4:5]
	s_cbranch_execz .LBB403_2335
; %bb.2330:                             ;   in Loop: Header=BB403_1003 Depth=1
	v_cmp_ne_u16_sdwa s[4:5], v1, s28 src0_sel:BYTE_0 src1_sel:DWORD
	v_bfrev_b32_e32 v2, 1
	s_and_saveexec_b64 s[24:25], s[4:5]
	s_cbranch_execz .LBB403_2334
; %bb.2331:                             ;   in Loop: Header=BB403_1003 Depth=1
	v_and_b32_e32 v40, 0x7f, v1
	v_cmp_ne_u32_e64 s[4:5], s29, v40
	v_mov_b32_e32 v2, 0x7f800001
	s_and_saveexec_b64 s[26:27], s[4:5]
	s_cbranch_execz .LBB403_2333
; %bb.2332:                             ;   in Loop: Header=BB403_1003 Depth=1
	v_and_b32_e32 v2, 7, v1
	v_ffbh_u32_e32 v2, v2
	v_min_u32_e32 v2, 32, v2
	v_lshrrev_b32_e32 v4, 3, v40
	v_cmp_gt_u32_e64 s[4:5], 8, v40
	v_subrev_u32_e32 v5, 28, v2
	v_sub_u32_e32 v2, 29, v2
	v_cndmask_b32_e64 v2, v4, v2, s[4:5]
	v_cndmask_b32_e64 v4, 0, v5, s[4:5]
	v_lshlrev_b64 v[40:41], v4, v[32:33]
	v_lshlrev_b32_e32 v4, 20, v40
	v_lshlrev_b32_e32 v5, 24, v32
	v_bfrev_b32_e32 v40, 60
	v_and_b32_e32 v4, 0x700000, v4
	v_and_b32_e32 v5, 0x80000000, v5
	v_lshl_add_u32 v2, v2, 23, v40
	v_or3_b32 v2, v5, v2, v4
.LBB403_2333:                           ;   in Loop: Header=BB403_1003 Depth=1
	s_or_b64 exec, exec, s[26:27]
.LBB403_2334:                           ;   in Loop: Header=BB403_1003 Depth=1
	s_or_b64 exec, exec, s[24:25]
.LBB403_2335:                           ;   in Loop: Header=BB403_1003 Depth=1
	s_or_b64 exec, exec, s[12:13]
	v_mul_f32_e32 v2, v27, v2
	v_and_b32_e32 v4, 0x7f800000, v2
	v_cmp_ne_u32_e64 s[4:5], s15, v4
                                        ; implicit-def: $vgpr40
	s_and_saveexec_b64 s[12:13], s[4:5]
	s_xor_b64 s[4:5], exec, s[12:13]
; %bb.2336:                             ;   in Loop: Header=BB403_1003 Depth=1
	v_bfe_u32 v4, v2, 16, 1
	v_add3_u32 v40, v2, v4, s21
                                        ; implicit-def: $vgpr2
; %bb.2337:                             ;   in Loop: Header=BB403_1003 Depth=1
	s_andn2_saveexec_b64 s[12:13], s[4:5]
; %bb.2338:                             ;   in Loop: Header=BB403_1003 Depth=1
	v_or_b32_e32 v4, 0x10000, v2
	v_cmp_eq_u32_sdwa s[4:5], v2, v33 src0_sel:WORD_0 src1_sel:DWORD
	v_cndmask_b32_e64 v40, v4, v2, s[4:5]
; %bb.2339:                             ;   in Loop: Header=BB403_1003 Depth=1
	s_or_b64 exec, exec, s[12:13]
	v_lshrrev_b16_e32 v2, 8, v32
	v_cmp_ne_u16_e64 s[4:5], 0, v2
	v_mov_b32_e32 v41, 0
	s_and_saveexec_b64 s[12:13], s[4:5]
	s_cbranch_execz .LBB403_2345
; %bb.2340:                             ;   in Loop: Header=BB403_1003 Depth=1
	v_cmp_ne_u16_e64 s[4:5], s28, v2
	v_bfrev_b32_e32 v41, 1
	s_and_saveexec_b64 s[24:25], s[4:5]
	s_cbranch_execz .LBB403_2344
; %bb.2341:                             ;   in Loop: Header=BB403_1003 Depth=1
	v_and_b32_e32 v42, 0x7f, v2
	v_cmp_ne_u32_e64 s[4:5], s29, v42
	v_mov_b32_e32 v41, 0x7f800001
	s_and_saveexec_b64 s[26:27], s[4:5]
	s_cbranch_execz .LBB403_2343
; %bb.2342:                             ;   in Loop: Header=BB403_1003 Depth=1
	v_and_b32_e32 v41, 7, v2
	v_ffbh_u32_e32 v4, v41
	v_lshrrev_b32_e32 v62, 3, v42
	v_cmp_gt_u32_e64 s[4:5], 8, v42
	v_min_u32_e32 v42, 32, v4
	v_subrev_u32_e32 v4, 28, v42
	v_lshlrev_b64 v[4:5], v4, v[2:3]
	v_sub_u32_e32 v2, 29, v42
	v_cndmask_b32_e64 v2, v62, v2, s[4:5]
	buffer_load_dword v62, off, s[0:3], s32 offset:288 ; 4-byte Folded Reload
	v_and_b32_e32 v4, 7, v4
	v_cndmask_b32_e64 v4, v41, v4, s[4:5]
	v_lshlrev_b32_e32 v5, 16, v32
	v_bfrev_b32_e32 v32, 60
	v_lshlrev_b32_e32 v4, 20, v4
	v_and_b32_e32 v5, 0x80000000, v5
	v_lshl_add_u32 v2, v2, 23, v32
	v_or3_b32 v41, v5, v2, v4
.LBB403_2343:                           ;   in Loop: Header=BB403_1003 Depth=1
	s_or_b64 exec, exec, s[26:27]
.LBB403_2344:                           ;   in Loop: Header=BB403_1003 Depth=1
	s_or_b64 exec, exec, s[24:25]
.LBB403_2345:                           ;   in Loop: Header=BB403_1003 Depth=1
	s_or_b64 exec, exec, s[12:13]
	v_mul_f32_e32 v2, v27, v41
	v_and_b32_e32 v4, 0x7f800000, v2
	v_cmp_ne_u32_e64 s[4:5], s15, v4
                                        ; implicit-def: $vgpr32
	s_and_saveexec_b64 s[12:13], s[4:5]
	s_xor_b64 s[4:5], exec, s[12:13]
; %bb.2346:                             ;   in Loop: Header=BB403_1003 Depth=1
	v_bfe_u32 v4, v2, 16, 1
	v_add3_u32 v32, v2, v4, s21
                                        ; implicit-def: $vgpr2
; %bb.2347:                             ;   in Loop: Header=BB403_1003 Depth=1
	s_andn2_saveexec_b64 s[12:13], s[4:5]
; %bb.2348:                             ;   in Loop: Header=BB403_1003 Depth=1
	v_or_b32_e32 v4, 0x10000, v2
	v_cmp_eq_u32_sdwa s[4:5], v2, v33 src0_sel:WORD_0 src1_sel:DWORD
	v_cndmask_b32_e64 v32, v4, v2, s[4:5]
; %bb.2349:                             ;   in Loop: Header=BB403_1003 Depth=1
	s_or_b64 exec, exec, s[12:13]
	v_lshrrev_b32_e32 v2, 16, v1
	v_cmp_ne_u16_sdwa s[4:5], v2, v33 src0_sel:BYTE_0 src1_sel:DWORD
	v_mov_b32_e32 v41, 0
	s_and_saveexec_b64 s[12:13], s[4:5]
	s_cbranch_execz .LBB403_2355
; %bb.2350:                             ;   in Loop: Header=BB403_1003 Depth=1
	v_cmp_ne_u16_sdwa s[4:5], v2, s28 src0_sel:BYTE_0 src1_sel:DWORD
	v_bfrev_b32_e32 v41, 1
	s_and_saveexec_b64 s[24:25], s[4:5]
	s_cbranch_execz .LBB403_2354
; %bb.2351:                             ;   in Loop: Header=BB403_1003 Depth=1
	v_bfe_u32 v42, v1, 16, 7
	v_cmp_ne_u32_e64 s[4:5], s29, v42
	v_mov_b32_e32 v41, 0x7f800001
	s_and_saveexec_b64 s[26:27], s[4:5]
	s_cbranch_execz .LBB403_2353
; %bb.2352:                             ;   in Loop: Header=BB403_1003 Depth=1
	v_and_b32_e32 v41, 7, v2
	v_ffbh_u32_e32 v4, v41
	s_waitcnt vmcnt(0)
	v_lshrrev_b32_e32 v62, 3, v42
	v_cmp_gt_u32_e64 s[4:5], 8, v42
	v_min_u32_e32 v42, 32, v4
	v_subrev_u32_e32 v4, 28, v42
	v_lshlrev_b64 v[4:5], v4, v[2:3]
	v_sub_u32_e32 v5, 29, v42
	v_cndmask_b32_e64 v5, v62, v5, s[4:5]
	buffer_load_dword v62, off, s[0:3], s32 offset:288 ; 4-byte Folded Reload
	v_and_b32_e32 v4, 7, v4
	v_cndmask_b32_e64 v4, v41, v4, s[4:5]
	v_lshlrev_b32_e32 v2, 24, v2
	v_bfrev_b32_e32 v41, 60
	v_lshlrev_b32_e32 v4, 20, v4
	v_and_b32_e32 v2, 0x80000000, v2
	v_lshl_add_u32 v5, v5, 23, v41
	v_or3_b32 v41, v2, v5, v4
.LBB403_2353:                           ;   in Loop: Header=BB403_1003 Depth=1
	s_or_b64 exec, exec, s[26:27]
.LBB403_2354:                           ;   in Loop: Header=BB403_1003 Depth=1
	s_or_b64 exec, exec, s[24:25]
.LBB403_2355:                           ;   in Loop: Header=BB403_1003 Depth=1
	s_or_b64 exec, exec, s[12:13]
	v_mul_f32_e32 v41, v27, v41
	v_and_b32_e32 v2, 0x7f800000, v41
	v_cmp_ne_u32_e64 s[4:5], s15, v2
                                        ; implicit-def: $vgpr2
	s_and_saveexec_b64 s[12:13], s[4:5]
	s_xor_b64 s[4:5], exec, s[12:13]
; %bb.2356:                             ;   in Loop: Header=BB403_1003 Depth=1
	v_bfe_u32 v2, v41, 16, 1
	v_add3_u32 v2, v41, v2, s21
                                        ; implicit-def: $vgpr41
; %bb.2357:                             ;   in Loop: Header=BB403_1003 Depth=1
	s_andn2_saveexec_b64 s[12:13], s[4:5]
; %bb.2358:                             ;   in Loop: Header=BB403_1003 Depth=1
	v_or_b32_e32 v2, 0x10000, v41
	v_cmp_eq_u32_sdwa s[4:5], v41, v33 src0_sel:WORD_0 src1_sel:DWORD
	v_cndmask_b32_e64 v2, v2, v41, s[4:5]
; %bb.2359:                             ;   in Loop: Header=BB403_1003 Depth=1
	s_or_b64 exec, exec, s[12:13]
	v_cmp_lt_u64_e64 s[4:5], s[8:9], v[0:1]
	v_mov_b32_e32 v41, 0
	s_and_saveexec_b64 s[12:13], s[4:5]
	s_cbranch_execz .LBB403_2365
; %bb.2360:                             ;   in Loop: Header=BB403_1003 Depth=1
	v_lshrrev_b32_e32 v0, 24, v1
	v_cmp_ne_u32_e64 s[4:5], s28, v0
	v_bfrev_b32_e32 v41, 1
	s_and_saveexec_b64 s[24:25], s[4:5]
	s_cbranch_execz .LBB403_2364
; %bb.2361:                             ;   in Loop: Header=BB403_1003 Depth=1
	v_bfe_u32 v1, v1, 24, 7
	v_cmp_ne_u32_e64 s[4:5], s29, v1
	v_mov_b32_e32 v41, 0x7f800001
	s_and_saveexec_b64 s[26:27], s[4:5]
	s_cbranch_execz .LBB403_2363
; %bb.2362:                             ;   in Loop: Header=BB403_1003 Depth=1
	v_and_b32_e32 v41, 7, v0
	v_lshrrev_b32_e32 v42, 3, v1
	v_cmp_gt_u32_e64 s[4:5], 8, v1
	v_ffbh_u32_e32 v1, v41
	v_min_u32_e32 v1, 32, v1
	v_subrev_u32_e32 v4, 28, v1
	v_lshlrev_b64 v[4:5], v4, v[0:1]
	v_sub_u32_e32 v1, 29, v1
	v_and_b32_e32 v4, 7, v4
	v_cndmask_b32_e64 v1, v42, v1, s[4:5]
	v_cndmask_b32_e64 v4, v41, v4, s[4:5]
	v_lshlrev_b32_e32 v0, 24, v0
	v_bfrev_b32_e32 v5, 60
	v_lshlrev_b32_e32 v4, 20, v4
	v_and_b32_e32 v0, 0x80000000, v0
	v_lshl_add_u32 v1, v1, 23, v5
	v_or3_b32 v41, v0, v1, v4
.LBB403_2363:                           ;   in Loop: Header=BB403_1003 Depth=1
	s_or_b64 exec, exec, s[26:27]
.LBB403_2364:                           ;   in Loop: Header=BB403_1003 Depth=1
	s_or_b64 exec, exec, s[24:25]
.LBB403_2365:                           ;   in Loop: Header=BB403_1003 Depth=1
	s_or_b64 exec, exec, s[12:13]
	v_mul_f32_e32 v0, v27, v41
	v_and_b32_e32 v1, 0x7f800000, v0
	v_cmp_ne_u32_e64 s[4:5], s15, v1
                                        ; implicit-def: $vgpr42
	s_and_saveexec_b64 s[12:13], s[4:5]
	s_xor_b64 s[4:5], exec, s[12:13]
; %bb.2366:                             ;   in Loop: Header=BB403_1003 Depth=1
	v_bfe_u32 v1, v0, 16, 1
	v_add3_u32 v42, v0, v1, s21
                                        ; implicit-def: $vgpr0
; %bb.2367:                             ;   in Loop: Header=BB403_1003 Depth=1
	s_andn2_saveexec_b64 s[12:13], s[4:5]
; %bb.2368:                             ;   in Loop: Header=BB403_1003 Depth=1
	v_or_b32_e32 v1, 0x10000, v0
	v_cmp_eq_u32_sdwa s[4:5], v0, v33 src0_sel:WORD_0 src1_sel:DWORD
	v_cndmask_b32_e64 v42, v1, v0, s[4:5]
; %bb.2369:                             ;   in Loop: Header=BB403_1003 Depth=1
	s_or_b64 exec, exec, s[12:13]
	v_lshrrev_b32_e32 v32, 16, v32
	v_lshrrev_b32_e32 v40, 16, v40
	v_lshrrev_b32_e32 v55, 16, v55
	v_lshrrev_b32_e32 v41, 16, v22
	v_lshrrev_b32_e32 v1, 16, v9
	v_lshrrev_b32_e32 v0, 16, v11
	v_lshrrev_b32_e32 v22, 16, v2
	v_lshrrev_b32_e32 v11, 16, v42
	s_and_saveexec_b64 s[4:5], vcc
	s_cbranch_execz .LBB403_2371
; %bb.2370:                             ;   in Loop: Header=BB403_1003 Depth=1
	v_accvgpr_read_b32 v2, a26
	v_cmp_lt_i32_e32 vcc, v2, v37
	v_accvgpr_read_b32 v2, a32
	v_cndmask_b32_e32 v0, 0, v0, vcc
	v_cmp_lt_i32_e32 vcc, v2, v37
	v_accvgpr_read_b32 v2, a31
	v_cndmask_b32_e32 v1, 0, v1, vcc
	;; [unrolled: 3-line block ×6, first 2 shown]
	v_cmp_lt_i32_e32 vcc, v2, v37
	v_cndmask_b32_e32 v22, 0, v22, vcc
	v_cmp_lt_i32_e32 vcc, v17, v37
	v_cndmask_b32_e32 v11, 0, v11, vcc
.LBB403_2371:                           ;   in Loop: Header=BB403_1003 Depth=1
	s_or_b64 exec, exec, s[4:5]
	v_lshlrev_b32_e32 v0, 16, v0
	v_accvgpr_read_b32 v2, a33
	v_mul_f32_e32 v2, v2, v0
	v_and_b32_e32 v0, 0x7f800000, v2
	v_cmp_ne_u32_e32 vcc, s15, v0
                                        ; implicit-def: $vgpr0
	s_and_saveexec_b64 s[4:5], vcc
	s_xor_b64 s[4:5], exec, s[4:5]
; %bb.2372:                             ;   in Loop: Header=BB403_1003 Depth=1
	v_bfe_u32 v0, v2, 16, 1
	v_add3_u32 v0, v2, v0, s21
                                        ; implicit-def: $vgpr2
; %bb.2373:                             ;   in Loop: Header=BB403_1003 Depth=1
	s_andn2_saveexec_b64 s[4:5], s[4:5]
; %bb.2374:                             ;   in Loop: Header=BB403_1003 Depth=1
	v_or_b32_e32 v0, 0x10000, v2
	v_cmp_eq_u32_sdwa vcc, v2, v33 src0_sel:WORD_0 src1_sel:DWORD
	v_cndmask_b32_e32 v0, v0, v2, vcc
; %bb.2375:                             ;   in Loop: Header=BB403_1003 Depth=1
	s_or_b64 exec, exec, s[4:5]
	v_lshlrev_b32_e32 v1, 16, v1
	v_accvgpr_read_b32 v2, a34
	v_mul_f32_e32 v2, v2, v1
	v_and_b32_e32 v1, 0x7f800000, v2
	v_cmp_ne_u32_e32 vcc, s15, v1
                                        ; implicit-def: $vgpr1
	s_and_saveexec_b64 s[4:5], vcc
	s_xor_b64 s[4:5], exec, s[4:5]
; %bb.2376:                             ;   in Loop: Header=BB403_1003 Depth=1
	v_bfe_u32 v1, v2, 16, 1
	v_add3_u32 v1, v2, v1, s21
                                        ; implicit-def: $vgpr2
; %bb.2377:                             ;   in Loop: Header=BB403_1003 Depth=1
	s_andn2_saveexec_b64 s[4:5], s[4:5]
; %bb.2378:                             ;   in Loop: Header=BB403_1003 Depth=1
	v_or_b32_e32 v1, 0x10000, v2
	v_cmp_eq_u32_sdwa vcc, v2, v33 src0_sel:WORD_0 src1_sel:DWORD
	v_cndmask_b32_e32 v1, v1, v2, vcc
; %bb.2379:                             ;   in Loop: Header=BB403_1003 Depth=1
	s_or_b64 exec, exec, s[4:5]
	v_lshlrev_b32_e32 v2, 16, v41
	v_mul_f32_e32 v9, v49, v2
	v_and_b32_e32 v2, 0x7f800000, v9
	v_cmp_ne_u32_e32 vcc, s15, v2
                                        ; implicit-def: $vgpr2
	s_and_saveexec_b64 s[4:5], vcc
	s_xor_b64 s[4:5], exec, s[4:5]
; %bb.2380:                             ;   in Loop: Header=BB403_1003 Depth=1
	v_bfe_u32 v2, v9, 16, 1
	v_add3_u32 v2, v9, v2, s21
                                        ; implicit-def: $vgpr9
; %bb.2381:                             ;   in Loop: Header=BB403_1003 Depth=1
	s_andn2_saveexec_b64 s[4:5], s[4:5]
; %bb.2382:                             ;   in Loop: Header=BB403_1003 Depth=1
	v_or_b32_e32 v2, 0x10000, v9
	v_cmp_eq_u32_sdwa vcc, v9, v33 src0_sel:WORD_0 src1_sel:DWORD
	v_cndmask_b32_e32 v2, v2, v9, vcc
; %bb.2383:                             ;   in Loop: Header=BB403_1003 Depth=1
	s_or_b64 exec, exec, s[4:5]
	v_lshlrev_b32_e32 v4, 16, v55
	v_mul_f32_e32 v23, v23, v4
	v_and_b32_e32 v4, 0x7f800000, v23
	v_cmp_ne_u32_e32 vcc, s15, v4
                                        ; implicit-def: $vgpr9
	s_and_saveexec_b64 s[4:5], vcc
	s_xor_b64 s[4:5], exec, s[4:5]
; %bb.2384:                             ;   in Loop: Header=BB403_1003 Depth=1
	v_bfe_u32 v4, v23, 16, 1
	v_add3_u32 v9, v23, v4, s21
                                        ; implicit-def: $vgpr23
; %bb.2385:                             ;   in Loop: Header=BB403_1003 Depth=1
	s_andn2_saveexec_b64 s[4:5], s[4:5]
; %bb.2386:                             ;   in Loop: Header=BB403_1003 Depth=1
	v_or_b32_e32 v4, 0x10000, v23
	v_cmp_eq_u32_sdwa vcc, v23, v33 src0_sel:WORD_0 src1_sel:DWORD
	v_cndmask_b32_e32 v9, v4, v23, vcc
; %bb.2387:                             ;   in Loop: Header=BB403_1003 Depth=1
	s_or_b64 exec, exec, s[4:5]
	v_lshlrev_b32_e32 v4, 16, v40
	v_mul_f32_e32 v23, v54, v4
	v_and_b32_e32 v4, 0x7f800000, v23
	v_cmp_ne_u32_e32 vcc, s15, v4
                                        ; implicit-def: $vgpr5
	s_and_saveexec_b64 s[4:5], vcc
	s_xor_b64 s[4:5], exec, s[4:5]
; %bb.2388:                             ;   in Loop: Header=BB403_1003 Depth=1
	v_bfe_u32 v4, v23, 16, 1
	v_add3_u32 v5, v23, v4, s21
                                        ; implicit-def: $vgpr23
; %bb.2389:                             ;   in Loop: Header=BB403_1003 Depth=1
	s_andn2_saveexec_b64 s[4:5], s[4:5]
; %bb.2390:                             ;   in Loop: Header=BB403_1003 Depth=1
	v_or_b32_e32 v4, 0x10000, v23
	v_cmp_eq_u32_sdwa vcc, v23, v33 src0_sel:WORD_0 src1_sel:DWORD
	v_cndmask_b32_e32 v5, v4, v23, vcc
; %bb.2391:                             ;   in Loop: Header=BB403_1003 Depth=1
	s_or_b64 exec, exec, s[4:5]
	v_lshlrev_b32_e32 v4, 16, v32
	v_mul_f32_e32 v23, v61, v4
	v_and_b32_e32 v4, 0x7f800000, v23
	v_cmp_ne_u32_e32 vcc, s15, v4
                                        ; implicit-def: $vgpr4
	s_and_saveexec_b64 s[4:5], vcc
	s_xor_b64 s[4:5], exec, s[4:5]
; %bb.2392:                             ;   in Loop: Header=BB403_1003 Depth=1
	v_bfe_u32 v4, v23, 16, 1
	v_add3_u32 v4, v23, v4, s21
                                        ; implicit-def: $vgpr23
; %bb.2393:                             ;   in Loop: Header=BB403_1003 Depth=1
	s_andn2_saveexec_b64 s[4:5], s[4:5]
; %bb.2394:                             ;   in Loop: Header=BB403_1003 Depth=1
	v_or_b32_e32 v4, 0x10000, v23
	v_cmp_eq_u32_sdwa vcc, v23, v33 src0_sel:WORD_0 src1_sel:DWORD
	v_cndmask_b32_e32 v4, v4, v23, vcc
; %bb.2395:                             ;   in Loop: Header=BB403_1003 Depth=1
	s_or_b64 exec, exec, s[4:5]
	v_lshlrev_b32_e32 v22, 16, v22
	v_mul_f32_e32 v23, v35, v22
	v_and_b32_e32 v22, 0x7f800000, v23
	v_cmp_ne_u32_e32 vcc, s15, v22
                                        ; implicit-def: $vgpr22
	s_and_saveexec_b64 s[4:5], vcc
	s_xor_b64 s[4:5], exec, s[4:5]
; %bb.2396:                             ;   in Loop: Header=BB403_1003 Depth=1
	v_bfe_u32 v22, v23, 16, 1
	v_add3_u32 v22, v23, v22, s21
                                        ; implicit-def: $vgpr23
; %bb.2397:                             ;   in Loop: Header=BB403_1003 Depth=1
	s_andn2_saveexec_b64 s[4:5], s[4:5]
; %bb.2398:                             ;   in Loop: Header=BB403_1003 Depth=1
	v_or_b32_e32 v22, 0x10000, v23
	v_cmp_eq_u32_sdwa vcc, v23, v33 src0_sel:WORD_0 src1_sel:DWORD
	v_cndmask_b32_e32 v22, v22, v23, vcc
; %bb.2399:                             ;   in Loop: Header=BB403_1003 Depth=1
	s_or_b64 exec, exec, s[4:5]
	v_lshlrev_b32_e32 v11, 16, v11
	v_mul_f32_e32 v23, v50, v11
	v_and_b32_e32 v11, 0x7f800000, v23
	v_cmp_ne_u32_e32 vcc, s15, v11
                                        ; implicit-def: $vgpr11
	s_and_saveexec_b64 s[4:5], vcc
	s_xor_b64 s[4:5], exec, s[4:5]
; %bb.2400:                             ;   in Loop: Header=BB403_1003 Depth=1
	v_bfe_u32 v11, v23, 16, 1
	v_add3_u32 v11, v23, v11, s21
                                        ; implicit-def: $vgpr23
; %bb.2401:                             ;   in Loop: Header=BB403_1003 Depth=1
	s_andn2_saveexec_b64 s[4:5], s[4:5]
	s_cbranch_execz .LBB403_1002
; %bb.2402:                             ;   in Loop: Header=BB403_1003 Depth=1
	v_or_b32_e32 v11, 0x10000, v23
	v_cmp_eq_u32_sdwa vcc, v23, v33 src0_sel:WORD_0 src1_sel:DWORD
	v_cndmask_b32_e32 v11, v11, v23, vcc
	s_branch .LBB403_1002
.LBB403_2403:
	s_or_b64 exec, exec, s[10:11]
	buffer_load_dword v35, off, s[0:3], s32 offset:600 ; 4-byte Folded Reload
	buffer_load_dword v36, off, s[0:3], s32 offset:596 ; 4-byte Folded Reload
	;; [unrolled: 1-line block ×6, first 2 shown]
.LBB403_2404:
	s_or_b64 exec, exec, s[6:7]
	s_waitcnt vmcnt(0)
	ds_bpermute_b32 v0, v23, v30
	ds_bpermute_b32 v1, v23, v31
	;; [unrolled: 1-line block ×6, first 2 shown]
	s_waitcnt lgkmcnt(0)
	v_pk_add_f32 v[0:1], v[30:31], v[0:1]
	ds_bpermute_b32 v4, v33, v0
	ds_bpermute_b32 v5, v33, v1
	v_pk_add_f32 v[2:3], v[28:29], v[2:3]
	ds_bpermute_b32 v8, v33, v2
	ds_bpermute_b32 v9, v33, v3
	;; [unrolled: 1-line block ×3, first 2 shown]
	s_waitcnt lgkmcnt(3)
	v_pk_add_f32 v[14:15], v[0:1], v[4:5]
	ds_bpermute_b32 v4, v23, v20
	ds_bpermute_b32 v5, v23, v21
	v_pk_add_f32 v[0:1], v[24:25], v[6:7]
	ds_bpermute_b32 v6, v33, v0
	ds_bpermute_b32 v11, v23, v19
	;; [unrolled: 1-line block ×3, first 2 shown]
	s_waitcnt lgkmcnt(3)
	v_pk_add_f32 v[4:5], v[20:21], v[4:5]
	ds_bpermute_b32 v16, v33, v4
	ds_bpermute_b32 v17, v33, v5
	s_waitcnt lgkmcnt(3)
	v_pk_add_f32 v[18:19], v[18:19], v[10:11]
	v_pk_add_f32 v[10:11], v[2:3], v[8:9]
	s_waitcnt lgkmcnt(2)
	v_pk_add_f32 v[8:9], v[0:1], v[6:7]
	s_waitcnt lgkmcnt(0)
	v_pk_add_f32 v[6:7], v[4:5], v[16:17]
	s_barrier
	buffer_load_dword v16, off, s[0:3], s32 offset:584 ; 4-byte Folded Reload
	ds_bpermute_b32 v22, v23, v12
	ds_bpermute_b32 v23, v23, v13
	;; [unrolled: 1-line block ×4, first 2 shown]
	s_waitcnt lgkmcnt(2)
	v_pk_add_f32 v[2:3], v[12:13], v[22:23]
	ds_bpermute_b32 v12, v33, v2
	ds_bpermute_b32 v13, v33, v3
	s_waitcnt lgkmcnt(2)
	v_pk_add_f32 v[0:1], v[18:19], v[20:21]
	s_waitcnt vmcnt(0)
	v_and_b32_e32 v4, 0x3c3, v16
	v_cmp_ne_u32_e32 vcc, 64, v4
	s_and_saveexec_b64 s[4:5], vcc
	s_xor_b64 s[4:5], exec, s[4:5]
; %bb.2405:
                                        ; implicit-def: $vgpr32
; %bb.2406:
	s_or_saveexec_b64 s[4:5], s[4:5]
	s_waitcnt lgkmcnt(0)
	v_pk_add_f32 v[2:3], v[2:3], v[12:13]
	s_xor_b64 exec, exec, s[4:5]
	s_cbranch_execz .LBB403_2408
; %bb.2407:
	s_ashr_i32 s21, s20, 31
	s_lshl_b64 s[6:7], s[20:21], 2
	s_getpc_b64 s[8:9]
	s_add_u32 s8, s8, llvm.amdgcn.dynlds.offset.table@rel32@lo+4
	s_addc_u32 s9, s9, llvm.amdgcn.dynlds.offset.table@rel32@hi+12
	s_add_u32 s6, s6, s8
	s_addc_u32 s7, s7, s9
	s_load_dword s6, s[6:7], 0x0
	s_waitcnt lgkmcnt(0)
	v_add_u32_e32 v4, s6, v32
	ds_write2_b32 v4, v14, v15 offset1:16
	ds_write2_b32 v4, v10, v11 offset0:32 offset1:48
	ds_write2_b32 v4, v8, v9 offset0:64 offset1:80
	;; [unrolled: 1-line block ×5, first 2 shown]
.LBB403_2408:
	s_or_b64 exec, exec, s[4:5]
	v_cmp_gt_u32_e32 vcc, 64, v16
	v_cmp_lt_u32_e64 s[4:5], 63, v16
	s_waitcnt lgkmcnt(0)
	s_barrier
	s_and_saveexec_b64 s[6:7], s[4:5]
	s_xor_b64 s[4:5], exec, s[6:7]
	s_andn2_saveexec_b64 s[6:7], s[4:5]
	s_cbranch_execz .LBB403_2423
; %bb.2409:
	v_cmp_eq_u32_e64 s[4:5], 0, v34
	v_lshrrev_b32_e32 v4, 2, v16
	s_and_saveexec_b64 s[8:9], s[4:5]
	s_cbranch_execnz .LBB403_2475
; %bb.2410:
	s_or_b64 exec, exec, s[8:9]
	s_and_saveexec_b64 s[8:9], s[4:5]
	s_cbranch_execnz .LBB403_2476
.LBB403_2411:
	s_or_b64 exec, exec, s[8:9]
	s_and_saveexec_b64 s[8:9], s[4:5]
	s_cbranch_execnz .LBB403_2477
.LBB403_2412:
	s_or_b64 exec, exec, s[8:9]
	s_and_saveexec_b64 s[8:9], s[4:5]
	s_cbranch_execnz .LBB403_2478
.LBB403_2413:
	s_or_b64 exec, exec, s[8:9]
	s_and_saveexec_b64 s[8:9], s[4:5]
	s_cbranch_execnz .LBB403_2479
.LBB403_2414:
	s_or_b64 exec, exec, s[8:9]
	s_and_saveexec_b64 s[8:9], s[4:5]
	s_cbranch_execnz .LBB403_2480
.LBB403_2415:
	s_or_b64 exec, exec, s[8:9]
	s_and_saveexec_b64 s[8:9], s[4:5]
	s_cbranch_execnz .LBB403_2481
.LBB403_2416:
	s_or_b64 exec, exec, s[8:9]
	s_and_saveexec_b64 s[8:9], s[4:5]
	s_cbranch_execnz .LBB403_2482
.LBB403_2417:
	s_or_b64 exec, exec, s[8:9]
	s_and_saveexec_b64 s[8:9], s[4:5]
	s_cbranch_execnz .LBB403_2483
.LBB403_2418:
	s_or_b64 exec, exec, s[8:9]
	s_and_saveexec_b64 s[8:9], s[4:5]
	s_cbranch_execnz .LBB403_2484
.LBB403_2419:
	s_or_b64 exec, exec, s[8:9]
	s_and_saveexec_b64 s[8:9], s[4:5]
	s_cbranch_execnz .LBB403_2485
.LBB403_2420:
	s_or_b64 exec, exec, s[8:9]
	s_and_saveexec_b64 s[8:9], s[4:5]
	s_cbranch_execz .LBB403_2422
.LBB403_2421:
	s_ashr_i32 s21, s20, 31
	s_lshl_b64 s[4:5], s[20:21], 2
	s_getpc_b64 s[10:11]
	s_add_u32 s10, s10, llvm.amdgcn.dynlds.offset.table@rel32@lo+4
	s_addc_u32 s11, s11, llvm.amdgcn.dynlds.offset.table@rel32@hi+12
	s_add_u32 s4, s4, s10
	s_addc_u32 s5, s5, s11
	s_load_dword s4, s[4:5], 0x0
	s_waitcnt lgkmcnt(0)
	v_lshl_add_u32 v4, v4, 2, s4
	ds_read_b32 v4, v4 offset:704
	s_waitcnt lgkmcnt(0)
	v_add_f32_e32 v3, v4, v3
.LBB403_2422:
	s_or_b64 exec, exec, s[8:9]
.LBB403_2423:
	s_or_b64 exec, exec, s[6:7]
	s_barrier
	s_and_b64 exec, exec, vcc
	s_cbranch_execz .LBB403_2474
; %bb.2424:
	v_cmp_eq_u32_e32 vcc, 0, v34
	s_and_b64 exec, exec, vcc
	s_cbranch_execz .LBB403_2474
; %bb.2425:
	s_mov_b32 s4, 0x7f800000
	v_and_b32_e32 v4, 0x7f800000, v14
	v_cmp_ne_u32_e32 vcc, s4, v4
                                        ; implicit-def: $vgpr12
	s_and_saveexec_b64 s[4:5], vcc
	s_xor_b64 s[4:5], exec, s[4:5]
; %bb.2426:
	v_bfe_u32 v4, v14, 16, 1
	s_movk_i32 s6, 0x7fff
	v_add3_u32 v12, v14, v4, s6
; %bb.2427:
	s_andn2_saveexec_b64 s[4:5], s[4:5]
; %bb.2428:
	v_mov_b32_e32 v4, 0
	v_or_b32_e32 v5, 0x10000, v14
	v_cmp_eq_u32_sdwa vcc, v14, v4 src0_sel:WORD_0 src1_sel:DWORD
	v_cndmask_b32_e32 v12, v5, v14, vcc
; %bb.2429:
	s_or_b64 exec, exec, s[4:5]
	s_mul_i32 s4, s23, s18
	s_mul_i32 s4, s4, s19
	s_mulk_i32 s4, 0xc0
	s_mul_i32 s6, s22, s23
	s_mul_i32 s8, s14, 0xc0
	s_ashr_i32 s5, s4, 31
	s_ashr_i32 s7, s6, 31
	;; [unrolled: 1-line block ×3, first 2 shown]
	s_lshl_b64 s[4:5], s[4:5], 1
	s_lshl_b64 s[6:7], s[6:7], 1
	;; [unrolled: 1-line block ×3, first 2 shown]
	s_add_u32 s6, s8, s6
	s_addc_u32 s7, s9, s7
	s_add_u32 s4, s6, s4
	s_addc_u32 s5, s7, s5
	v_mov_b32_e32 v4, s5
	v_add_co_u32_e32 v5, vcc, s4, v36
	v_addc_co_u32_e32 v13, vcc, v4, v35, vcc
	v_lshrrev_b32_e32 v4, 1, v16
	v_and_b32_e32 v4, 0x1fe, v4
	v_add_co_u32_e32 v4, vcc, v5, v4
	v_addc_co_u32_e32 v5, vcc, 0, v13, vcc
	flat_store_short_d16_hi v[4:5], v12
	s_mov_b32 s4, 0x7f800000
	v_and_b32_e32 v12, 0x7f800000, v15
	v_cmp_ne_u32_e32 vcc, s4, v12
                                        ; implicit-def: $vgpr12
	s_and_saveexec_b64 s[4:5], vcc
	s_xor_b64 s[4:5], exec, s[4:5]
; %bb.2430:
	v_bfe_u32 v12, v15, 16, 1
	s_movk_i32 s6, 0x7fff
	v_add3_u32 v12, v15, v12, s6
                                        ; implicit-def: $vgpr14_vgpr15
; %bb.2431:
	s_andn2_saveexec_b64 s[4:5], s[4:5]
; %bb.2432:
	v_mov_b32_e32 v12, 0
	v_or_b32_e32 v13, 0x10000, v15
	v_cmp_eq_u32_sdwa vcc, v15, v12 src0_sel:WORD_0 src1_sel:DWORD
	v_cndmask_b32_e32 v12, v13, v15, vcc
; %bb.2433:
	s_or_b64 exec, exec, s[4:5]
	flat_store_short_d16_hi v[4:5], v12 offset:32
	s_mov_b32 s4, 0x7f800000
	v_and_b32_e32 v12, 0x7f800000, v10
	v_cmp_ne_u32_e32 vcc, s4, v12
                                        ; implicit-def: $vgpr12
	s_and_saveexec_b64 s[4:5], vcc
	s_xor_b64 s[4:5], exec, s[4:5]
; %bb.2434:
	v_bfe_u32 v12, v10, 16, 1
	s_movk_i32 s6, 0x7fff
	v_add3_u32 v12, v10, v12, s6
; %bb.2435:
	s_andn2_saveexec_b64 s[4:5], s[4:5]
; %bb.2436:
	v_mov_b32_e32 v12, 0
	v_or_b32_e32 v13, 0x10000, v10
	v_cmp_eq_u32_sdwa vcc, v10, v12 src0_sel:WORD_0 src1_sel:DWORD
	v_cndmask_b32_e32 v12, v13, v10, vcc
; %bb.2437:
	s_or_b64 exec, exec, s[4:5]
	s_mov_b32 s4, 0x7f800000
	v_and_b32_e32 v10, 0x7f800000, v11
	v_cmp_ne_u32_e32 vcc, s4, v10
	flat_store_short_d16_hi v[4:5], v12 offset:64
                                        ; implicit-def: $vgpr12
	s_and_saveexec_b64 s[4:5], vcc
	s_xor_b64 s[4:5], exec, s[4:5]
; %bb.2438:
	v_bfe_u32 v10, v11, 16, 1
	s_movk_i32 s6, 0x7fff
	v_add3_u32 v12, v11, v10, s6
                                        ; implicit-def: $vgpr10_vgpr11
; %bb.2439:
	s_andn2_saveexec_b64 s[4:5], s[4:5]
; %bb.2440:
	v_mov_b32_e32 v10, 0
	v_or_b32_e32 v12, 0x10000, v11
	v_cmp_eq_u32_sdwa vcc, v11, v10 src0_sel:WORD_0 src1_sel:DWORD
	v_cndmask_b32_e32 v12, v12, v11, vcc
; %bb.2441:
	s_or_b64 exec, exec, s[4:5]
	s_mov_b32 s4, 0x7f800000
	v_and_b32_e32 v10, 0x7f800000, v8
	v_cmp_ne_u32_e32 vcc, s4, v10
	flat_store_short_d16_hi v[4:5], v12 offset:96
                                        ; implicit-def: $vgpr10
	s_and_saveexec_b64 s[4:5], vcc
	s_xor_b64 s[4:5], exec, s[4:5]
; %bb.2442:
	v_bfe_u32 v10, v8, 16, 1
	s_movk_i32 s6, 0x7fff
	v_add3_u32 v10, v8, v10, s6
; %bb.2443:
	s_andn2_saveexec_b64 s[4:5], s[4:5]
; %bb.2444:
	v_mov_b32_e32 v10, 0
	v_or_b32_e32 v11, 0x10000, v8
	v_cmp_eq_u32_sdwa vcc, v8, v10 src0_sel:WORD_0 src1_sel:DWORD
	v_cndmask_b32_e32 v10, v11, v8, vcc
; %bb.2445:
	s_or_b64 exec, exec, s[4:5]
	s_mov_b32 s4, 0x7f800000
	v_and_b32_e32 v8, 0x7f800000, v9
	v_cmp_ne_u32_e32 vcc, s4, v8
	flat_store_short_d16_hi v[4:5], v10 offset:128
                                        ; implicit-def: $vgpr10
	s_and_saveexec_b64 s[4:5], vcc
	s_xor_b64 s[4:5], exec, s[4:5]
; %bb.2446:
	v_bfe_u32 v8, v9, 16, 1
	s_movk_i32 s6, 0x7fff
	v_add3_u32 v10, v9, v8, s6
                                        ; implicit-def: $vgpr8_vgpr9
; %bb.2447:
	s_andn2_saveexec_b64 s[4:5], s[4:5]
; %bb.2448:
	v_mov_b32_e32 v8, 0
	v_or_b32_e32 v10, 0x10000, v9
	v_cmp_eq_u32_sdwa vcc, v9, v8 src0_sel:WORD_0 src1_sel:DWORD
	v_cndmask_b32_e32 v10, v10, v9, vcc
; %bb.2449:
	s_or_b64 exec, exec, s[4:5]
	s_mov_b32 s4, 0x7f800000
	v_and_b32_e32 v8, 0x7f800000, v6
	v_cmp_ne_u32_e32 vcc, s4, v8
	flat_store_short_d16_hi v[4:5], v10 offset:160
                                        ; implicit-def: $vgpr8
	s_and_saveexec_b64 s[4:5], vcc
	s_xor_b64 s[4:5], exec, s[4:5]
; %bb.2450:
	v_bfe_u32 v8, v6, 16, 1
	s_movk_i32 s6, 0x7fff
	v_add3_u32 v8, v6, v8, s6
; %bb.2451:
	s_andn2_saveexec_b64 s[4:5], s[4:5]
; %bb.2452:
	v_mov_b32_e32 v8, 0
	v_or_b32_e32 v9, 0x10000, v6
	v_cmp_eq_u32_sdwa vcc, v6, v8 src0_sel:WORD_0 src1_sel:DWORD
	v_cndmask_b32_e32 v8, v9, v6, vcc
; %bb.2453:
	s_or_b64 exec, exec, s[4:5]
	s_mov_b32 s4, 0x7f800000
	v_and_b32_e32 v6, 0x7f800000, v7
	v_cmp_ne_u32_e32 vcc, s4, v6
	flat_store_short_d16_hi v[4:5], v8 offset:192
                                        ; implicit-def: $vgpr8
	s_and_saveexec_b64 s[4:5], vcc
	s_xor_b64 s[4:5], exec, s[4:5]
; %bb.2454:
	v_bfe_u32 v6, v7, 16, 1
	s_movk_i32 s6, 0x7fff
	v_add3_u32 v8, v7, v6, s6
                                        ; implicit-def: $vgpr6_vgpr7
; %bb.2455:
	s_andn2_saveexec_b64 s[4:5], s[4:5]
; %bb.2456:
	v_mov_b32_e32 v6, 0
	v_or_b32_e32 v8, 0x10000, v7
	v_cmp_eq_u32_sdwa vcc, v7, v6 src0_sel:WORD_0 src1_sel:DWORD
	v_cndmask_b32_e32 v8, v8, v7, vcc
; %bb.2457:
	s_or_b64 exec, exec, s[4:5]
	s_mov_b32 s4, 0x7f800000
	v_and_b32_e32 v6, 0x7f800000, v0
	v_cmp_ne_u32_e32 vcc, s4, v6
	flat_store_short_d16_hi v[4:5], v8 offset:224
                                        ; implicit-def: $vgpr6
	s_and_saveexec_b64 s[4:5], vcc
	s_xor_b64 s[4:5], exec, s[4:5]
; %bb.2458:
	v_bfe_u32 v6, v0, 16, 1
	s_movk_i32 s6, 0x7fff
	v_add3_u32 v6, v0, v6, s6
; %bb.2459:
	s_andn2_saveexec_b64 s[4:5], s[4:5]
; %bb.2460:
	v_mov_b32_e32 v6, 0
	v_or_b32_e32 v7, 0x10000, v0
	v_cmp_eq_u32_sdwa vcc, v0, v6 src0_sel:WORD_0 src1_sel:DWORD
	v_cndmask_b32_e32 v6, v7, v0, vcc
; %bb.2461:
	s_or_b64 exec, exec, s[4:5]
	s_mov_b32 s4, 0x7f800000
	v_and_b32_e32 v0, 0x7f800000, v1
	v_cmp_ne_u32_e32 vcc, s4, v0
	flat_store_short_d16_hi v[4:5], v6 offset:256
                                        ; implicit-def: $vgpr6
	s_and_saveexec_b64 s[4:5], vcc
	s_xor_b64 s[4:5], exec, s[4:5]
; %bb.2462:
	v_bfe_u32 v0, v1, 16, 1
	s_movk_i32 s6, 0x7fff
	v_add3_u32 v6, v1, v0, s6
                                        ; implicit-def: $vgpr0_vgpr1
; %bb.2463:
	s_andn2_saveexec_b64 s[4:5], s[4:5]
; %bb.2464:
	v_mov_b32_e32 v0, 0
	v_or_b32_e32 v6, 0x10000, v1
	v_cmp_eq_u32_sdwa vcc, v1, v0 src0_sel:WORD_0 src1_sel:DWORD
	v_cndmask_b32_e32 v6, v6, v1, vcc
; %bb.2465:
	s_or_b64 exec, exec, s[4:5]
	s_mov_b32 s4, 0x7f800000
	v_and_b32_e32 v0, 0x7f800000, v2
	v_cmp_ne_u32_e32 vcc, s4, v0
	flat_store_short_d16_hi v[4:5], v6 offset:288
                                        ; implicit-def: $vgpr0
	s_and_saveexec_b64 s[4:5], vcc
	s_xor_b64 s[4:5], exec, s[4:5]
; %bb.2466:
	v_bfe_u32 v0, v2, 16, 1
	s_movk_i32 s6, 0x7fff
	v_add3_u32 v0, v2, v0, s6
; %bb.2467:
	s_andn2_saveexec_b64 s[4:5], s[4:5]
; %bb.2468:
	v_mov_b32_e32 v0, 0
	v_or_b32_e32 v1, 0x10000, v2
	v_cmp_eq_u32_sdwa vcc, v2, v0 src0_sel:WORD_0 src1_sel:DWORD
	v_cndmask_b32_e32 v0, v1, v2, vcc
; %bb.2469:
	s_or_b64 exec, exec, s[4:5]
	flat_store_short_d16_hi v[4:5], v0 offset:320
	s_mov_b32 s4, 0x7f800000
	v_and_b32_e32 v0, 0x7f800000, v3
	v_cmp_ne_u32_e32 vcc, s4, v0
                                        ; implicit-def: $vgpr0
	s_and_saveexec_b64 s[4:5], vcc
	s_xor_b64 s[4:5], exec, s[4:5]
; %bb.2470:
	v_bfe_u32 v0, v3, 16, 1
	s_movk_i32 s6, 0x7fff
	v_add3_u32 v0, v3, v0, s6
                                        ; implicit-def: $vgpr2_vgpr3
; %bb.2471:
	s_andn2_saveexec_b64 s[4:5], s[4:5]
; %bb.2472:
	v_mov_b32_e32 v0, 0
	v_or_b32_e32 v1, 0x10000, v3
	v_cmp_eq_u32_sdwa vcc, v3, v0 src0_sel:WORD_0 src1_sel:DWORD
	v_cndmask_b32_e32 v0, v1, v3, vcc
; %bb.2473:
	s_or_b64 exec, exec, s[4:5]
	flat_store_short_d16_hi v[4:5], v0 offset:352
.LBB403_2474:
	s_or_b64 exec, exec, s[16:17]
	buffer_load_dword a63, off, s[0:3], s32 ; 4-byte Folded Reload
	buffer_load_dword a62, off, s[0:3], s32 offset:4 ; 4-byte Folded Reload
	buffer_load_dword a61, off, s[0:3], s32 offset:8 ; 4-byte Folded Reload
	;; [unrolled: 1-line block ×46, first 2 shown]
	v_readlane_b32 s30, v63, 7
	v_readlane_b32 s31, v63, 8
	;; [unrolled: 1-line block ×9, first 2 shown]
	s_or_saveexec_b64 s[4:5], -1
	buffer_load_dword v63, off, s[0:3], s32 offset:672 ; 4-byte Folded Reload
	s_mov_b64 exec, s[4:5]
	s_waitcnt vmcnt(0) lgkmcnt(0)
	s_setpc_b64 s[30:31]
.LBB403_2475:
	s_ashr_i32 s21, s20, 31
	s_lshl_b64 s[10:11], s[20:21], 2
	s_getpc_b64 s[12:13]
	s_add_u32 s12, s12, llvm.amdgcn.dynlds.offset.table@rel32@lo+4
	s_addc_u32 s13, s13, llvm.amdgcn.dynlds.offset.table@rel32@hi+12
	s_add_u32 s10, s10, s12
	s_addc_u32 s11, s11, s13
	s_load_dword s10, s[10:11], 0x0
	s_waitcnt lgkmcnt(0)
	v_lshl_add_u32 v5, v4, 2, s10
	ds_read_b32 v5, v5
	s_waitcnt lgkmcnt(0)
	v_add_f32_e32 v14, v5, v14
	s_or_b64 exec, exec, s[8:9]
	s_and_saveexec_b64 s[8:9], s[4:5]
	s_cbranch_execz .LBB403_2411
.LBB403_2476:
	s_ashr_i32 s21, s20, 31
	s_lshl_b64 s[10:11], s[20:21], 2
	s_getpc_b64 s[12:13]
	s_add_u32 s12, s12, llvm.amdgcn.dynlds.offset.table@rel32@lo+4
	s_addc_u32 s13, s13, llvm.amdgcn.dynlds.offset.table@rel32@hi+12
	s_add_u32 s10, s10, s12
	s_addc_u32 s11, s11, s13
	s_load_dword s10, s[10:11], 0x0
	s_waitcnt lgkmcnt(0)
	v_lshl_add_u32 v5, v4, 2, s10
	ds_read_b32 v5, v5 offset:64
	s_waitcnt lgkmcnt(0)
	v_add_f32_e32 v15, v5, v15
	s_or_b64 exec, exec, s[8:9]
	s_and_saveexec_b64 s[8:9], s[4:5]
	s_cbranch_execz .LBB403_2412
.LBB403_2477:
	s_ashr_i32 s21, s20, 31
	s_lshl_b64 s[10:11], s[20:21], 2
	s_getpc_b64 s[12:13]
	s_add_u32 s12, s12, llvm.amdgcn.dynlds.offset.table@rel32@lo+4
	s_addc_u32 s13, s13, llvm.amdgcn.dynlds.offset.table@rel32@hi+12
	s_add_u32 s10, s10, s12
	s_addc_u32 s11, s11, s13
	s_load_dword s10, s[10:11], 0x0
	s_waitcnt lgkmcnt(0)
	v_lshl_add_u32 v5, v4, 2, s10
	ds_read_b32 v5, v5 offset:128
	s_waitcnt lgkmcnt(0)
	v_add_f32_e32 v10, v5, v10
	s_or_b64 exec, exec, s[8:9]
	s_and_saveexec_b64 s[8:9], s[4:5]
	s_cbranch_execz .LBB403_2413
.LBB403_2478:
	s_ashr_i32 s21, s20, 31
	s_lshl_b64 s[10:11], s[20:21], 2
	s_getpc_b64 s[12:13]
	s_add_u32 s12, s12, llvm.amdgcn.dynlds.offset.table@rel32@lo+4
	s_addc_u32 s13, s13, llvm.amdgcn.dynlds.offset.table@rel32@hi+12
	s_add_u32 s10, s10, s12
	s_addc_u32 s11, s11, s13
	s_load_dword s10, s[10:11], 0x0
	s_waitcnt lgkmcnt(0)
	v_lshl_add_u32 v5, v4, 2, s10
	ds_read_b32 v5, v5 offset:192
	s_waitcnt lgkmcnt(0)
	v_add_f32_e32 v11, v5, v11
	s_or_b64 exec, exec, s[8:9]
	s_and_saveexec_b64 s[8:9], s[4:5]
	s_cbranch_execz .LBB403_2414
.LBB403_2479:
	s_ashr_i32 s21, s20, 31
	s_lshl_b64 s[10:11], s[20:21], 2
	s_getpc_b64 s[12:13]
	s_add_u32 s12, s12, llvm.amdgcn.dynlds.offset.table@rel32@lo+4
	s_addc_u32 s13, s13, llvm.amdgcn.dynlds.offset.table@rel32@hi+12
	s_add_u32 s10, s10, s12
	s_addc_u32 s11, s11, s13
	s_load_dword s10, s[10:11], 0x0
	s_waitcnt lgkmcnt(0)
	v_lshl_add_u32 v5, v4, 2, s10
	ds_read_b32 v5, v5 offset:256
	s_waitcnt lgkmcnt(0)
	v_add_f32_e32 v8, v5, v8
	s_or_b64 exec, exec, s[8:9]
	s_and_saveexec_b64 s[8:9], s[4:5]
	s_cbranch_execz .LBB403_2415
.LBB403_2480:
	s_ashr_i32 s21, s20, 31
	s_lshl_b64 s[10:11], s[20:21], 2
	s_getpc_b64 s[12:13]
	s_add_u32 s12, s12, llvm.amdgcn.dynlds.offset.table@rel32@lo+4
	s_addc_u32 s13, s13, llvm.amdgcn.dynlds.offset.table@rel32@hi+12
	s_add_u32 s10, s10, s12
	s_addc_u32 s11, s11, s13
	s_load_dword s10, s[10:11], 0x0
	s_waitcnt lgkmcnt(0)
	v_lshl_add_u32 v5, v4, 2, s10
	ds_read_b32 v5, v5 offset:320
	s_waitcnt lgkmcnt(0)
	v_add_f32_e32 v9, v5, v9
	s_or_b64 exec, exec, s[8:9]
	s_and_saveexec_b64 s[8:9], s[4:5]
	s_cbranch_execz .LBB403_2416
.LBB403_2481:
	s_ashr_i32 s21, s20, 31
	s_lshl_b64 s[10:11], s[20:21], 2
	s_getpc_b64 s[12:13]
	s_add_u32 s12, s12, llvm.amdgcn.dynlds.offset.table@rel32@lo+4
	s_addc_u32 s13, s13, llvm.amdgcn.dynlds.offset.table@rel32@hi+12
	s_add_u32 s10, s10, s12
	s_addc_u32 s11, s11, s13
	s_load_dword s10, s[10:11], 0x0
	s_waitcnt lgkmcnt(0)
	v_lshl_add_u32 v5, v4, 2, s10
	ds_read_b32 v5, v5 offset:384
	s_waitcnt lgkmcnt(0)
	v_add_f32_e32 v6, v5, v6
	s_or_b64 exec, exec, s[8:9]
	s_and_saveexec_b64 s[8:9], s[4:5]
	s_cbranch_execz .LBB403_2417
.LBB403_2482:
	s_ashr_i32 s21, s20, 31
	s_lshl_b64 s[10:11], s[20:21], 2
	s_getpc_b64 s[12:13]
	s_add_u32 s12, s12, llvm.amdgcn.dynlds.offset.table@rel32@lo+4
	s_addc_u32 s13, s13, llvm.amdgcn.dynlds.offset.table@rel32@hi+12
	s_add_u32 s10, s10, s12
	s_addc_u32 s11, s11, s13
	s_load_dword s10, s[10:11], 0x0
	s_waitcnt lgkmcnt(0)
	v_lshl_add_u32 v5, v4, 2, s10
	ds_read_b32 v5, v5 offset:448
	s_waitcnt lgkmcnt(0)
	v_add_f32_e32 v7, v5, v7
	s_or_b64 exec, exec, s[8:9]
	s_and_saveexec_b64 s[8:9], s[4:5]
	s_cbranch_execz .LBB403_2418
.LBB403_2483:
	s_ashr_i32 s21, s20, 31
	s_lshl_b64 s[10:11], s[20:21], 2
	s_getpc_b64 s[12:13]
	s_add_u32 s12, s12, llvm.amdgcn.dynlds.offset.table@rel32@lo+4
	s_addc_u32 s13, s13, llvm.amdgcn.dynlds.offset.table@rel32@hi+12
	s_add_u32 s10, s10, s12
	s_addc_u32 s11, s11, s13
	s_load_dword s10, s[10:11], 0x0
	s_waitcnt lgkmcnt(0)
	v_lshl_add_u32 v5, v4, 2, s10
	ds_read_b32 v5, v5 offset:512
	s_waitcnt lgkmcnt(0)
	v_add_f32_e32 v0, v5, v0
	s_or_b64 exec, exec, s[8:9]
	s_and_saveexec_b64 s[8:9], s[4:5]
	s_cbranch_execz .LBB403_2419
.LBB403_2484:
	s_ashr_i32 s21, s20, 31
	s_lshl_b64 s[10:11], s[20:21], 2
	s_getpc_b64 s[12:13]
	s_add_u32 s12, s12, llvm.amdgcn.dynlds.offset.table@rel32@lo+4
	s_addc_u32 s13, s13, llvm.amdgcn.dynlds.offset.table@rel32@hi+12
	s_add_u32 s10, s10, s12
	s_addc_u32 s11, s11, s13
	s_load_dword s10, s[10:11], 0x0
	s_waitcnt lgkmcnt(0)
	v_lshl_add_u32 v5, v4, 2, s10
	ds_read_b32 v5, v5 offset:576
	s_waitcnt lgkmcnt(0)
	v_add_f32_e32 v1, v5, v1
	s_or_b64 exec, exec, s[8:9]
	s_and_saveexec_b64 s[8:9], s[4:5]
	s_cbranch_execz .LBB403_2420
.LBB403_2485:
	s_ashr_i32 s21, s20, 31
	s_lshl_b64 s[10:11], s[20:21], 2
	s_getpc_b64 s[12:13]
	s_add_u32 s12, s12, llvm.amdgcn.dynlds.offset.table@rel32@lo+4
	s_addc_u32 s13, s13, llvm.amdgcn.dynlds.offset.table@rel32@hi+12
	s_add_u32 s10, s10, s12
	s_addc_u32 s11, s11, s13
	s_load_dword s10, s[10:11], 0x0
	s_waitcnt lgkmcnt(0)
	v_lshl_add_u32 v5, v4, 2, s10
	ds_read_b32 v5, v5 offset:640
	s_waitcnt lgkmcnt(0)
	v_add_f32_e32 v2, v5, v2
	s_or_b64 exec, exec, s[8:9]
	s_and_saveexec_b64 s[8:9], s[4:5]
	s_cbranch_execnz .LBB403_2421
	s_branch .LBB403_2422
.Lfunc_end403:
	.size	_ZN4vllm22paged_attention_kernelI14__hip_bfloat16hLi192ELi32ELi128ELNS_18Fp8KVCacheDataTypeE1ELb0ELi512EEEvPfS3_PT_PKS4_PKT0_SA_ifPKiSC_iPKfiiiSE_SE_iiiii, .Lfunc_end403-_ZN4vllm22paged_attention_kernelI14__hip_bfloat16hLi192ELi32ELi128ELNS_18Fp8KVCacheDataTypeE1ELb0ELi512EEEvPfS3_PT_PKS4_PKT0_SA_ifPKiSC_iPKfiiiSE_SE_iiiii
                                        ; -- End function
	.section	.AMDGPU.csdata,"",@progbits
; Function info:
; codeLenInByte = 74068
; NumSgprs: 45
; NumVgprs: 64
; NumAgprs: 64
; TotalNumVgprs: 128
; ScratchSize: 680
; MemoryBound: 0
	.section	.text._ZN4vllm25paged_attention_v2_kernelI14__hip_bfloat16hLi192ELi32ELi128ELNS_18Fp8KVCacheDataTypeE1ELb0ELi512EEEvPfS3_PT_PKS4_PKT0_SA_ifPKiSC_iPKfiiiSE_SE_iiiii,"axG",@progbits,_ZN4vllm25paged_attention_v2_kernelI14__hip_bfloat16hLi192ELi32ELi128ELNS_18Fp8KVCacheDataTypeE1ELb0ELi512EEEvPfS3_PT_PKS4_PKT0_SA_ifPKiSC_iPKfiiiSE_SE_iiiii,comdat
	.protected	_ZN4vllm25paged_attention_v2_kernelI14__hip_bfloat16hLi192ELi32ELi128ELNS_18Fp8KVCacheDataTypeE1ELb0ELi512EEEvPfS3_PT_PKS4_PKT0_SA_ifPKiSC_iPKfiiiSE_SE_iiiii ; -- Begin function _ZN4vllm25paged_attention_v2_kernelI14__hip_bfloat16hLi192ELi32ELi128ELNS_18Fp8KVCacheDataTypeE1ELb0ELi512EEEvPfS3_PT_PKS4_PKT0_SA_ifPKiSC_iPKfiiiSE_SE_iiiii
	.globl	_ZN4vllm25paged_attention_v2_kernelI14__hip_bfloat16hLi192ELi32ELi128ELNS_18Fp8KVCacheDataTypeE1ELb0ELi512EEEvPfS3_PT_PKS4_PKT0_SA_ifPKiSC_iPKfiiiSE_SE_iiiii
	.p2align	8
	.type	_ZN4vllm25paged_attention_v2_kernelI14__hip_bfloat16hLi192ELi32ELi128ELNS_18Fp8KVCacheDataTypeE1ELb0ELi512EEEvPfS3_PT_PKS4_PKT0_SA_ifPKiSC_iPKfiiiSE_SE_iiiii,@function
_ZN4vllm25paged_attention_v2_kernelI14__hip_bfloat16hLi192ELi32ELi128ELNS_18Fp8KVCacheDataTypeE1ELb0ELi512EEEvPfS3_PT_PKS4_PKT0_SA_ifPKiSC_iPKfiiiSE_SE_iiiii: ; @_ZN4vllm25paged_attention_v2_kernelI14__hip_bfloat16hLi192ELi32ELi128ELNS_18Fp8KVCacheDataTypeE1ELb0ELi512EEEvPfS3_PT_PKS4_PKT0_SA_ifPKiSC_iPKfiiiSE_SE_iiiii
; %bb.0:
	s_add_u32 flat_scratch_lo, s6, s11
	s_addc_u32 flat_scratch_hi, s7, 0
	s_add_u32 s0, s0, s11
	s_load_dwordx8 s[24:31], s[4:5], 0x0
	s_load_dwordx8 s[16:23], s[4:5], 0x20
	s_load_dwordx2 s[6:7], s[4:5], 0x40
	s_load_dwordx2 s[34:35], s[4:5], 0x50
	s_load_dword s11, s[4:5], 0x48
	s_load_dwordx8 s[36:43], s[4:5], 0x58
	s_addc_u32 s1, s1, 0
	s_mov_b32 s12, s8
	s_add_u32 s8, s4, 0x90
	s_mov_b32 s13, s9
	s_addc_u32 s9, s5, 0
	s_mov_b32 s14, s10
	s_mov_b32 s15, 14
	v_mov_b32_e32 v31, v0
	s_waitcnt lgkmcnt(0)
	v_mov_b32_e32 v0, s24
	v_mov_b32_e32 v1, s25
	;; [unrolled: 1-line block ×28, first 2 shown]
	s_mov_b32 s32, 0
	s_getpc_b64 s[4:5]
	s_add_u32 s4, s4, _ZN4vllm22paged_attention_kernelI14__hip_bfloat16hLi192ELi32ELi128ELNS_18Fp8KVCacheDataTypeE1ELb0ELi512EEEvPfS3_PT_PKS4_PKT0_SA_ifPKiSC_iPKfiiiSE_SE_iiiii@rel32@lo+4
	s_addc_u32 s5, s5, _ZN4vllm22paged_attention_kernelI14__hip_bfloat16hLi192ELi32ELi128ELNS_18Fp8KVCacheDataTypeE1ELb0ELi512EEEvPfS3_PT_PKS4_PKT0_SA_ifPKiSC_iPKfiiiSE_SE_iiiii@rel32@hi+12
	s_swappc_b64 s[30:31], s[4:5]
	s_endpgm
	.section	.rodata,"a",@progbits
	.p2align	6, 0x0
	.amdhsa_kernel _ZN4vllm25paged_attention_v2_kernelI14__hip_bfloat16hLi192ELi32ELi128ELNS_18Fp8KVCacheDataTypeE1ELb0ELi512EEEvPfS3_PT_PKS4_PKT0_SA_ifPKiSC_iPKfiiiSE_SE_iiiii
		.amdhsa_group_segment_fixed_size 400
		.amdhsa_private_segment_fixed_size 680
		.amdhsa_kernarg_size 400
		.amdhsa_user_sgpr_count 8
		.amdhsa_user_sgpr_private_segment_buffer 1
		.amdhsa_user_sgpr_dispatch_ptr 0
		.amdhsa_user_sgpr_queue_ptr 0
		.amdhsa_user_sgpr_kernarg_segment_ptr 1
		.amdhsa_user_sgpr_dispatch_id 0
		.amdhsa_user_sgpr_flat_scratch_init 1
		.amdhsa_user_sgpr_kernarg_preload_length 0
		.amdhsa_user_sgpr_kernarg_preload_offset 0
		.amdhsa_user_sgpr_private_segment_size 0
		.amdhsa_uses_dynamic_stack 0
		.amdhsa_system_sgpr_private_segment_wavefront_offset 1
		.amdhsa_system_sgpr_workgroup_id_x 1
		.amdhsa_system_sgpr_workgroup_id_y 1
		.amdhsa_system_sgpr_workgroup_id_z 1
		.amdhsa_system_sgpr_workgroup_info 0
		.amdhsa_system_vgpr_workitem_id 0
		.amdhsa_next_free_vgpr 128
		.amdhsa_next_free_sgpr 44
		.amdhsa_accum_offset 64
		.amdhsa_reserve_vcc 1
		.amdhsa_reserve_flat_scratch 1
		.amdhsa_float_round_mode_32 0
		.amdhsa_float_round_mode_16_64 0
		.amdhsa_float_denorm_mode_32 3
		.amdhsa_float_denorm_mode_16_64 3
		.amdhsa_dx10_clamp 1
		.amdhsa_ieee_mode 1
		.amdhsa_fp16_overflow 0
		.amdhsa_tg_split 0
		.amdhsa_exception_fp_ieee_invalid_op 0
		.amdhsa_exception_fp_denorm_src 0
		.amdhsa_exception_fp_ieee_div_zero 0
		.amdhsa_exception_fp_ieee_overflow 0
		.amdhsa_exception_fp_ieee_underflow 0
		.amdhsa_exception_fp_ieee_inexact 0
		.amdhsa_exception_int_div_zero 0
	.end_amdhsa_kernel
	.section	.text._ZN4vllm25paged_attention_v2_kernelI14__hip_bfloat16hLi192ELi32ELi128ELNS_18Fp8KVCacheDataTypeE1ELb0ELi512EEEvPfS3_PT_PKS4_PKT0_SA_ifPKiSC_iPKfiiiSE_SE_iiiii,"axG",@progbits,_ZN4vllm25paged_attention_v2_kernelI14__hip_bfloat16hLi192ELi32ELi128ELNS_18Fp8KVCacheDataTypeE1ELb0ELi512EEEvPfS3_PT_PKS4_PKT0_SA_ifPKiSC_iPKfiiiSE_SE_iiiii,comdat
.Lfunc_end404:
	.size	_ZN4vllm25paged_attention_v2_kernelI14__hip_bfloat16hLi192ELi32ELi128ELNS_18Fp8KVCacheDataTypeE1ELb0ELi512EEEvPfS3_PT_PKS4_PKT0_SA_ifPKiSC_iPKfiiiSE_SE_iiiii, .Lfunc_end404-_ZN4vllm25paged_attention_v2_kernelI14__hip_bfloat16hLi192ELi32ELi128ELNS_18Fp8KVCacheDataTypeE1ELb0ELi512EEEvPfS3_PT_PKS4_PKT0_SA_ifPKiSC_iPKfiiiSE_SE_iiiii
                                        ; -- End function
	.section	.AMDGPU.csdata,"",@progbits
; Kernel info:
; codeLenInByte = 244
; NumSgprs: 50
; NumVgprs: 64
; NumAgprs: 64
; TotalNumVgprs: 128
; ScratchSize: 680
; MemoryBound: 0
; FloatMode: 240
; IeeeMode: 1
; LDSByteSize: 400 bytes/workgroup (compile time only)
; SGPRBlocks: 6
; VGPRBlocks: 15
; NumSGPRsForWavesPerEU: 50
; NumVGPRsForWavesPerEU: 128
; AccumOffset: 64
; Occupancy: 4
; WaveLimiterHint : 1
; COMPUTE_PGM_RSRC2:SCRATCH_EN: 1
; COMPUTE_PGM_RSRC2:USER_SGPR: 8
; COMPUTE_PGM_RSRC2:TRAP_HANDLER: 0
; COMPUTE_PGM_RSRC2:TGID_X_EN: 1
; COMPUTE_PGM_RSRC2:TGID_Y_EN: 1
; COMPUTE_PGM_RSRC2:TGID_Z_EN: 1
; COMPUTE_PGM_RSRC2:TIDIG_COMP_CNT: 0
; COMPUTE_PGM_RSRC3_GFX90A:ACCUM_OFFSET: 15
; COMPUTE_PGM_RSRC3_GFX90A:TG_SPLIT: 0
	.text
	.p2align	2                               ; -- Begin function _ZN4vllm22paged_attention_kernelI14__hip_bfloat16hLi256ELi32ELi128ELNS_18Fp8KVCacheDataTypeE1ELb0ELi512EEEvPfS3_PT_PKS4_PKT0_SA_ifPKiSC_iPKfiiiSE_SE_iiiii
	.type	_ZN4vllm22paged_attention_kernelI14__hip_bfloat16hLi256ELi32ELi128ELNS_18Fp8KVCacheDataTypeE1ELb0ELi512EEEvPfS3_PT_PKS4_PKT0_SA_ifPKiSC_iPKfiiiSE_SE_iiiii,@function
_ZN4vllm22paged_attention_kernelI14__hip_bfloat16hLi256ELi32ELi128ELNS_18Fp8KVCacheDataTypeE1ELb0ELi512EEEvPfS3_PT_PKS4_PKT0_SA_ifPKiSC_iPKfiiiSE_SE_iiiii: ; @_ZN4vllm22paged_attention_kernelI14__hip_bfloat16hLi256ELi32ELi128ELNS_18Fp8KVCacheDataTypeE1ELb0ELi512EEEvPfS3_PT_PKS4_PKT0_SA_ifPKiSC_iPKfiiiSE_SE_iiiii
; %bb.0:
	s_waitcnt vmcnt(0) expcnt(0) lgkmcnt(0)
	s_or_saveexec_b64 s[4:5], -1
	buffer_store_dword v63, off, s[0:3], s32 offset:952 ; 4-byte Folded Spill
	s_mov_b64 exec, s[4:5]
	buffer_store_dword v40, off, s[0:3], s32 offset:184 ; 4-byte Folded Spill
	buffer_store_dword v41, off, s[0:3], s32 offset:180 ; 4-byte Folded Spill
	;; [unrolled: 1-line block ×46, first 2 shown]
	buffer_store_dword a63, off, s[0:3], s32 ; 4-byte Folded Spill
	v_writelane_b32 v63, s34, 0
	v_writelane_b32 v63, s35, 1
	;; [unrolled: 1-line block ×13, first 2 shown]
	s_mov_b32 s22, s13
	s_ashr_i32 s23, s13, 31
	buffer_store_dword v26, off, s[0:3], s32 offset:880 ; 4-byte Folded Spill
	s_nop 0
	buffer_store_dword v27, off, s[0:3], s32 offset:884 ; 4-byte Folded Spill
	buffer_store_dword v24, off, s[0:3], s32 offset:272 ; 4-byte Folded Spill
	s_nop 0
	buffer_store_dword v25, off, s[0:3], s32 offset:276 ; 4-byte Folded Spill
	;; [unrolled: 3-line block ×3, first 2 shown]
	s_lshl_b64 s[4:5], s[22:23], 2
	v_mov_b32_e32 v26, v1
	v_mov_b32_e32 v27, v0
	;; [unrolled: 1-line block ×3, first 2 shown]
	v_add_co_u32_e32 v0, vcc, s4, v16
	buffer_store_dword v15, off, s[0:3], s32 offset:868 ; 4-byte Folded Spill
	buffer_store_dword v14, off, s[0:3], s32 offset:872 ; 4-byte Folded Spill
	buffer_store_dword v13, off, s[0:3], s32 offset:860 ; 4-byte Folded Spill
	buffer_store_dword v5, off, s[0:3], s32 offset:888 ; 4-byte Folded Spill
	buffer_store_dword v4, off, s[0:3], s32 offset:892 ; 4-byte Folded Spill
	v_addc_co_u32_e32 v1, vcc, v17, v1, vcc
	flat_load_dword v49, v[0:1]
	s_lshl_b32 s40, s14, 9
	v_mov_b32_e32 v29, v20
	v_mov_b32_e32 v28, v19
	;; [unrolled: 1-line block ×4, first 2 shown]
	s_waitcnt vmcnt(0) lgkmcnt(0)
	v_cmp_lt_i32_e32 vcc, s40, v49
	s_and_saveexec_b64 s[20:21], vcc
	s_cbranch_execz .LBB405_3270
; %bb.1:
	v_sub_u32_e32 v0, 0, v12
	v_max_i32_e32 v0, v12, v0
	v_cvt_f32_u32_e32 v1, v0
	s_load_dword s4, s[8:9], 0x10
	s_load_dword s6, s[8:9], 0x0
	v_sub_u32_e32 v3, 0, v0
	s_mov_b32 s24, s15
	v_rcp_iflag_f32_e32 v1, v1
	s_waitcnt lgkmcnt(0)
	s_lshr_b32 s4, s4, 16
	s_cmp_lg_u32 s4, 0
	s_cselect_b64 s[4:5], -1, 0
	v_mul_f32_e32 v1, 0x4f7ffffe, v1
	v_cvt_u32_f32_e32 v1, v1
	s_cmp_lg_u64 s[4:5], 0
	s_addc_u32 s23, s6, 0
	s_abs_i32 s4, s23
	v_mul_lo_u32 v3, v3, v1
	v_mul_hi_u32 v3, v1, v3
	v_add_u32_e32 v1, v1, v3
	v_mul_hi_u32 v1, s4, v1
	v_mul_lo_u32 v3, v1, v0
	v_sub_u32_e32 v3, s4, v3
	v_add_u32_e32 v4, 1, v1
	v_cmp_ge_u32_e32 vcc, v3, v0
	v_cndmask_b32_e32 v1, v1, v4, vcc
	v_sub_u32_e32 v4, v3, v0
	v_cndmask_b32_e32 v3, v3, v4, vcc
	v_xor_b32_e32 v2, s23, v12
	v_add_u32_e32 v4, 1, v1
	v_cmp_ge_u32_e32 vcc, v3, v0
	v_ashrrev_i32_e32 v2, 31, v2
	v_cndmask_b32_e32 v0, v1, v4, vcc
	v_xor_b32_e32 v0, v0, v2
	v_sub_u32_e32 v0, v0, v2
	v_sub_u32_e32 v1, 0, v0
	v_max_i32_e32 v1, v0, v1
	v_cvt_f32_u32_e32 v2, v1
	v_sub_u32_e32 v3, 0, v1
	s_abs_i32 s16, s12
	v_cmp_ne_u64_e32 vcc, 0, v[28:29]
	v_rcp_iflag_f32_e32 v2, v2
	v_mul_f32_e32 v2, 0x4f7ffffe, v2
	v_cvt_u32_f32_e32 v2, v2
	v_mul_lo_u32 v3, v3, v2
	v_mul_hi_u32 v3, v2, v3
	v_add_u32_e32 v2, v2, v3
	v_mad_u64_u32 v[16:17], s[4:5], s16, v2, 0
	v_mov_b32_e32 v2, 0
	buffer_store_dword v2, off, s[0:3], s32 offset:856 ; 4-byte Folded Spill
	s_and_saveexec_b64 s[4:5], vcc
	s_cbranch_execz .LBB405_3
; %bb.2:
	s_ashr_i32 s13, s12, 31
	s_lshl_b64 s[6:7], s[12:13], 2
	v_mov_b32_e32 v3, s7
	v_add_co_u32_e32 v2, vcc, s6, v28
	v_addc_co_u32_e32 v3, vcc, v29, v3, vcc
	flat_load_dword v2, v[2:3]
	s_waitcnt vmcnt(0) lgkmcnt(0)
	buffer_store_dword v2, off, s[0:3], s32 offset:856 ; 4-byte Folded Spill
.LBB405_3:
	s_or_b64 exec, exec, s[4:5]
	v_and_b32_e32 v19, 0x3ff, v31
	s_ashr_i32 s13, s12, 31
	v_ashrrev_i32_e32 v2, 31, v0
	v_and_b32_e32 v0, 1, v19
	s_lshl_b32 s26, s12, 8
	v_cmp_lt_u32_e64 s[6:7], 63, v19
	v_cmp_gt_u32_e64 s[4:5], 64, v19
	v_lshlrev_b32_e32 v3, 3, v19
	buffer_store_dword v3, off, s[0:3], s32 offset:916 ; 4-byte Folded Spill
	s_and_saveexec_b64 s[10:11], s[4:5]
	s_cbranch_execz .LBB405_5
; %bb.4:
	v_mul_lo_u32 v4, s22, v21
	v_ashrrev_i32_e32 v5, 31, v4
	v_lshlrev_b64 v[4:5], 1, v[4:5]
	v_add_co_u32_e32 v3, vcc, v6, v4
	s_ashr_i32 s27, s26, 31
	v_addc_co_u32_e32 v4, vcc, v7, v5, vcc
	s_lshl_b64 s[18:19], s[26:27], 1
	v_mov_b32_e32 v5, s19
	v_add_co_u32_e32 v3, vcc, s18, v3
	v_addc_co_u32_e32 v5, vcc, v4, v5, vcc
	v_lshlrev_b32_e32 v4, 3, v19
	v_add_co_u32_e32 v4, vcc, v3, v4
	v_addc_co_u32_e32 v5, vcc, 0, v5, vcc
	flat_load_dwordx2 v[4:5], v[4:5]
	v_lshlrev_b32_e32 v3, 2, v19
	v_and_b32_e32 v3, 0xff8, v3
	v_lshl_add_u32 v3, v0, 8, v3
	s_waitcnt vmcnt(0) lgkmcnt(0)
	ds_write_b64 v3, v[4:5]
.LBB405_5:
	s_or_b64 exec, exec, s[10:11]
	v_add_u32_e32 v3, 31, v49
	v_ashrrev_i32_e32 v4, 31, v3
	v_lshrrev_b32_e32 v4, 27, v4
	v_add_u32_e32 v3, v3, v4
	s_lshl_b32 s15, s14, 4
	v_ashrrev_i32_e32 v3, 5, v3
	s_add_i32 s10, s15, 16
	buffer_store_dword v3, off, s[0:3], s32 offset:912 ; 4-byte Folded Spill
	v_min_i32_e32 v13, s10, v3
	v_mul_lo_u32 v3, v17, v1
	v_sub_u32_e32 v3, s16, v3
	v_add_u32_e32 v4, 1, v17
	v_cmp_ge_u32_e32 vcc, v3, v1
	v_sub_u32_e32 v5, v3, v1
	v_cndmask_b32_e32 v4, v17, v4, vcc
	v_cndmask_b32_e32 v3, v3, v5, vcc
	v_add_u32_e32 v5, 1, v4
	v_cmp_ge_u32_e32 vcc, v3, v1
	v_lshrrev_b32_e32 v12, 6, v19
	v_xor_b32_e32 v2, s13, v2
	v_cndmask_b32_e32 v1, v4, v5, vcc
	v_xor_b32_e32 v1, v1, v2
	s_waitcnt lgkmcnt(0)
	s_barrier
	v_mul_lo_u32 v6, s22, v18
	buffer_store_dword v12, off, s[0:3], s32 offset:864 ; 4-byte Folded Spill
	v_or_b32_e32 v12, s15, v12
	v_sub_u32_e32 v2, v1, v2
	v_ashrrev_i32_e32 v7, 31, v6
	v_cmp_lt_i32_e64 s[18:19], v12, v13
	v_mov_b32_e32 v4, v12
	v_cmp_ge_i32_e32 vcc, v12, v13
	v_mbcnt_lo_u32_b32 v1, -1, 0
	buffer_store_dword v13, off, s[0:3], s32 offset:196 ; 4-byte Folded Spill
                                        ; implicit-def: $sgpr16
                                        ; implicit-def: $vgpr12
                                        ; implicit-def: $vgpr13
	s_and_saveexec_b64 s[10:11], vcc
	s_xor_b64 s[10:11], exec, s[10:11]
	s_cbranch_execz .LBB405_7
; %bb.6:
	v_mbcnt_hi_u32_b32 v12, -1, v1
	v_and_b32_e32 v0, 64, v12
	v_add_u32_e32 v13, 64, v0
                                        ; implicit-def: $vgpr0
                                        ; kill: killed $vgpr0
                                        ; implicit-def: $vgpr0
                                        ; kill: killed $vgpr0
                                        ; implicit-def: $vgpr0
	s_mov_b32 s16, 0xff7fffff
	buffer_store_dword v0, off, s[0:3], s32 offset:272 ; 4-byte Folded Spill
	s_nop 0
	buffer_store_dword v1, off, s[0:3], s32 offset:276 ; 4-byte Folded Spill
                                        ; implicit-def: $vgpr8
                                        ; implicit-def: $vgpr9
                                        ; implicit-def: $vgpr0
                                        ; implicit-def: $vgpr1
.LBB405_7:
	s_or_saveexec_b64 s[28:29], s[10:11]
	s_load_dword s27, s[8:9], 0x14
	s_load_dword s13, s[8:9], 0x8
	v_mul_lo_u32 v2, v2, v23
	v_ashrrev_i32_e32 v5, 31, v4
	buffer_store_dword v4, off, s[0:3], s32 offset:188 ; 4-byte Folded Spill
	s_nop 0
	buffer_store_dword v5, off, s[0:3], s32 offset:192 ; 4-byte Folded Spill
	buffer_store_dword v2, off, s[0:3], s32 offset:908 ; 4-byte Folded Spill
	v_ashrrev_i32_e32 v2, 31, v2
	v_mov_b32_e32 v15, s16
	buffer_store_dword v2, off, s[0:3], s32 offset:904 ; 4-byte Folded Spill
	v_lshlrev_b64 v[2:3], 2, v[6:7]
	buffer_store_dword v2, off, s[0:3], s32 offset:896 ; 4-byte Folded Spill
	s_nop 0
	buffer_store_dword v3, off, s[0:3], s32 offset:900 ; 4-byte Folded Spill
	buffer_store_dword v19, off, s[0:3], s32 offset:876 ; 4-byte Folded Spill
	s_xor_b64 exec, exec, s[28:29]
	s_cbranch_execz .LBB405_1293
; %bb.8:
	buffer_store_dword v24, off, s[0:3], s32 offset:920 ; 4-byte Folded Spill
	buffer_store_dword v20, off, s[0:3], s32 offset:936 ; 4-byte Folded Spill
	;; [unrolled: 1-line block ×6, first 2 shown]
	v_lshlrev_b32_e32 v2, 8, v0
	ds_read_b128 v[4:7], v2
	ds_read_b128 v[10:13], v2 offset:16
	ds_read_b128 v[24:27], v2 offset:32
	v_mov_b32_e32 v22, v19
	ds_read_b128 v[18:21], v2 offset:48
	s_waitcnt lgkmcnt(0)
	v_lshlrev_b32_e32 v3, 16, v4
	buffer_store_dword v3, off, s[0:3], s32 offset:284 ; 4-byte Folded Spill
	v_and_b32_e32 v3, 0xffff0000, v4
	buffer_store_dword v3, off, s[0:3], s32 offset:288 ; 4-byte Folded Spill
	v_lshlrev_b32_e32 v3, 16, v5
	buffer_store_dword v3, off, s[0:3], s32 offset:292 ; 4-byte Folded Spill
	v_and_b32_e32 v3, 0xffff0000, v5
	buffer_store_dword v3, off, s[0:3], s32 offset:296 ; 4-byte Folded Spill
	;; [unrolled: 4-line block ×3, first 2 shown]
	v_lshlrev_b32_e32 v3, 16, v7
	buffer_store_dword v3, off, s[0:3], s32 offset:308 ; 4-byte Folded Spill
	v_and_b32_e32 v3, 0xffff0000, v7
	ds_read_b128 v[4:7], v2 offset:64
	buffer_store_dword v3, off, s[0:3], s32 offset:312 ; 4-byte Folded Spill
	v_lshlrev_b32_e32 v3, 16, v10
	buffer_store_dword v3, off, s[0:3], s32 offset:316 ; 4-byte Folded Spill
	v_and_b32_e32 v3, 0xffff0000, v10
	buffer_store_dword v3, off, s[0:3], s32 offset:320 ; 4-byte Folded Spill
	v_lshlrev_b32_e32 v3, 16, v11
	buffer_store_dword v3, off, s[0:3], s32 offset:324 ; 4-byte Folded Spill
	v_and_b32_e32 v3, 0xffff0000, v11
	;; [unrolled: 4-line block ×12, first 2 shown]
	buffer_store_dword v3, off, s[0:3], s32 offset:416 ; 4-byte Folded Spill
	s_waitcnt lgkmcnt(0)
	v_lshlrev_b32_e32 v3, 16, v4
	buffer_store_dword v3, off, s[0:3], s32 offset:424 ; 4-byte Folded Spill
	v_and_b32_e32 v3, 0xffff0000, v4
	buffer_store_dword v3, off, s[0:3], s32 offset:432 ; 4-byte Folded Spill
	v_lshlrev_b32_e32 v3, 16, v5
	ds_read_b128 v[10:13], v2 offset:80
	buffer_store_dword v3, off, s[0:3], s32 offset:440 ; 4-byte Folded Spill
	v_and_b32_e32 v3, 0xffff0000, v5
	buffer_store_dword v3, off, s[0:3], s32 offset:448 ; 4-byte Folded Spill
	v_lshlrev_b32_e32 v3, 16, v6
	buffer_store_dword v3, off, s[0:3], s32 offset:456 ; 4-byte Folded Spill
	v_and_b32_e32 v3, 0xffff0000, v6
	buffer_store_dword v3, off, s[0:3], s32 offset:464 ; 4-byte Folded Spill
	v_lshlrev_b32_e32 v3, 16, v7
	buffer_store_dword v3, off, s[0:3], s32 offset:472 ; 4-byte Folded Spill
	v_and_b32_e32 v3, 0xffff0000, v7
	buffer_store_dword v3, off, s[0:3], s32 offset:480 ; 4-byte Folded Spill
	s_waitcnt lgkmcnt(0)
	v_lshlrev_b32_e32 v3, 16, v10
	buffer_store_dword v3, off, s[0:3], s32 offset:484 ; 4-byte Folded Spill
	v_and_b32_e32 v3, 0xffff0000, v10
	buffer_store_dword v3, off, s[0:3], s32 offset:488 ; 4-byte Folded Spill
	v_lshlrev_b32_e32 v3, 16, v11
	buffer_store_dword v3, off, s[0:3], s32 offset:492 ; 4-byte Folded Spill
	v_and_b32_e32 v3, 0xffff0000, v11
	buffer_store_dword v3, off, s[0:3], s32 offset:496 ; 4-byte Folded Spill
	;; [unrolled: 4-line block ×4, first 2 shown]
	ds_read_b128 v[4:7], v2 offset:96
	ds_read_b128 v[10:13], v2 offset:112
	s_ashr_i32 s25, s24, 31
	v_cmp_eq_u32_e64 s[10:11], 0, v0
	s_lshl_b64 s[8:9], s[24:25], 2
	s_waitcnt lgkmcnt(1)
	v_lshlrev_b32_e32 v3, 16, v4
	buffer_store_dword v3, off, s[0:3], s32 offset:516 ; 4-byte Folded Spill
	v_and_b32_e32 v3, 0xffff0000, v4
	buffer_store_dword v3, off, s[0:3], s32 offset:520 ; 4-byte Folded Spill
	v_lshlrev_b32_e32 v3, 16, v5
	buffer_store_dword v3, off, s[0:3], s32 offset:524 ; 4-byte Folded Spill
	v_and_b32_e32 v3, 0xffff0000, v5
	buffer_store_dword v3, off, s[0:3], s32 offset:528 ; 4-byte Folded Spill
	;; [unrolled: 4-line block ×4, first 2 shown]
	s_waitcnt lgkmcnt(0)
	v_lshlrev_b32_e32 v3, 16, v10
	buffer_store_dword v3, off, s[0:3], s32 offset:548 ; 4-byte Folded Spill
	v_and_b32_e32 v3, 0xffff0000, v10
	buffer_store_dword v3, off, s[0:3], s32 offset:552 ; 4-byte Folded Spill
	v_lshlrev_b32_e32 v3, 16, v11
	buffer_store_dword v3, off, s[0:3], s32 offset:556 ; 4-byte Folded Spill
	v_and_b32_e32 v3, 0xffff0000, v11
	buffer_store_dword v3, off, s[0:3], s32 offset:560 ; 4-byte Folded Spill
	;; [unrolled: 4-line block ×4, first 2 shown]
	ds_read_b128 v[4:7], v2 offset:128
	ds_read_b128 v[10:13], v2 offset:144
	v_lshlrev_b32_e32 v0, 2, v0
	s_mov_b64 s[30:31], 0
	s_movk_i32 s25, 0x80
	s_waitcnt lgkmcnt(1)
	v_lshlrev_b32_e32 v3, 16, v4
	buffer_store_dword v3, off, s[0:3], s32 offset:580 ; 4-byte Folded Spill
	v_and_b32_e32 v3, 0xffff0000, v4
	buffer_store_dword v3, off, s[0:3], s32 offset:584 ; 4-byte Folded Spill
	v_lshlrev_b32_e32 v3, 16, v5
	buffer_store_dword v3, off, s[0:3], s32 offset:588 ; 4-byte Folded Spill
	v_and_b32_e32 v3, 0xffff0000, v5
	buffer_store_dword v3, off, s[0:3], s32 offset:592 ; 4-byte Folded Spill
	;; [unrolled: 4-line block ×4, first 2 shown]
	s_waitcnt lgkmcnt(0)
	v_lshlrev_b32_e32 v3, 16, v10
	buffer_store_dword v3, off, s[0:3], s32 offset:612 ; 4-byte Folded Spill
	v_and_b32_e32 v3, 0xffff0000, v10
	buffer_store_dword v3, off, s[0:3], s32 offset:616 ; 4-byte Folded Spill
	v_lshlrev_b32_e32 v3, 16, v11
	buffer_store_dword v3, off, s[0:3], s32 offset:620 ; 4-byte Folded Spill
	v_and_b32_e32 v3, 0xffff0000, v11
	buffer_store_dword v3, off, s[0:3], s32 offset:624 ; 4-byte Folded Spill
	;; [unrolled: 4-line block ×4, first 2 shown]
	ds_read_b128 v[4:7], v2 offset:160
	ds_read_b128 v[10:13], v2 offset:176
	s_movk_i32 s41, 0x7f
	s_mov_b32 s42, 0x7f800000
	s_movk_i32 s43, 0x7fff
	s_waitcnt lgkmcnt(1)
	v_lshlrev_b32_e32 v3, 16, v4
	buffer_store_dword v3, off, s[0:3], s32 offset:644 ; 4-byte Folded Spill
	v_and_b32_e32 v3, 0xffff0000, v4
	buffer_store_dword v3, off, s[0:3], s32 offset:648 ; 4-byte Folded Spill
	v_lshlrev_b32_e32 v3, 16, v5
	buffer_store_dword v3, off, s[0:3], s32 offset:652 ; 4-byte Folded Spill
	v_and_b32_e32 v3, 0xffff0000, v5
	buffer_store_dword v3, off, s[0:3], s32 offset:656 ; 4-byte Folded Spill
	;; [unrolled: 4-line block ×4, first 2 shown]
	s_waitcnt lgkmcnt(0)
	v_lshlrev_b32_e32 v3, 16, v10
	buffer_store_dword v3, off, s[0:3], s32 offset:676 ; 4-byte Folded Spill
	v_and_b32_e32 v3, 0xffff0000, v10
	buffer_store_dword v3, off, s[0:3], s32 offset:680 ; 4-byte Folded Spill
	v_lshlrev_b32_e32 v3, 16, v11
	buffer_store_dword v3, off, s[0:3], s32 offset:684 ; 4-byte Folded Spill
	v_and_b32_e32 v3, 0xffff0000, v11
	buffer_store_dword v3, off, s[0:3], s32 offset:688 ; 4-byte Folded Spill
	;; [unrolled: 4-line block ×4, first 2 shown]
	ds_read_b128 v[4:7], v2 offset:192
	ds_read_b128 v[10:13], v2 offset:208
	s_mov_b32 s44, 0xffffff
	s_waitcnt lgkmcnt(1)
	v_lshlrev_b32_e32 v3, 16, v4
	buffer_store_dword v3, off, s[0:3], s32 offset:708 ; 4-byte Folded Spill
	v_and_b32_e32 v3, 0xffff0000, v4
	buffer_store_dword v3, off, s[0:3], s32 offset:712 ; 4-byte Folded Spill
	v_lshlrev_b32_e32 v3, 16, v5
	buffer_store_dword v3, off, s[0:3], s32 offset:716 ; 4-byte Folded Spill
	v_and_b32_e32 v3, 0xffff0000, v5
	buffer_store_dword v3, off, s[0:3], s32 offset:720 ; 4-byte Folded Spill
	;; [unrolled: 4-line block ×4, first 2 shown]
	s_waitcnt lgkmcnt(0)
	v_lshlrev_b32_e32 v3, 16, v10
	buffer_store_dword v3, off, s[0:3], s32 offset:740 ; 4-byte Folded Spill
	v_and_b32_e32 v3, 0xffff0000, v10
	buffer_store_dword v3, off, s[0:3], s32 offset:744 ; 4-byte Folded Spill
	v_lshlrev_b32_e32 v3, 16, v11
	buffer_store_dword v3, off, s[0:3], s32 offset:748 ; 4-byte Folded Spill
	v_and_b32_e32 v3, 0xffff0000, v11
	buffer_store_dword v3, off, s[0:3], s32 offset:752 ; 4-byte Folded Spill
	v_lshlrev_b32_e32 v3, 16, v12
	buffer_store_dword v3, off, s[0:3], s32 offset:756 ; 4-byte Folded Spill
	v_and_b32_e32 v3, 0xffff0000, v12
	buffer_store_dword v3, off, s[0:3], s32 offset:760 ; 4-byte Folded Spill
	v_lshlrev_b32_e32 v3, 16, v13
	buffer_store_dword v3, off, s[0:3], s32 offset:764 ; 4-byte Folded Spill
	v_and_b32_e32 v3, 0xffff0000, v13
	buffer_store_dword v3, off, s[0:3], s32 offset:768 ; 4-byte Folded Spill
	ds_read_b128 v[4:7], v2 offset:224
	ds_read_b128 v[10:13], v2 offset:240
	buffer_load_dword v3, off, s[0:3], s32 offset:904 ; 4-byte Folded Reload
	s_waitcnt lgkmcnt(1)
	v_lshlrev_b32_e32 v2, 16, v4
	buffer_store_dword v2, off, s[0:3], s32 offset:772 ; 4-byte Folded Spill
	v_and_b32_e32 v2, 0xffff0000, v4
	buffer_store_dword v2, off, s[0:3], s32 offset:776 ; 4-byte Folded Spill
	v_lshlrev_b32_e32 v2, 16, v5
	buffer_store_dword v2, off, s[0:3], s32 offset:780 ; 4-byte Folded Spill
	v_and_b32_e32 v2, 0xffff0000, v5
	buffer_store_dword v2, off, s[0:3], s32 offset:784 ; 4-byte Folded Spill
	;; [unrolled: 4-line block ×4, first 2 shown]
	s_waitcnt lgkmcnt(0)
	v_lshlrev_b32_e32 v2, 16, v10
	buffer_store_dword v2, off, s[0:3], s32 offset:804 ; 4-byte Folded Spill
	v_and_b32_e32 v2, 0xffff0000, v10
	buffer_store_dword v2, off, s[0:3], s32 offset:808 ; 4-byte Folded Spill
	v_lshlrev_b32_e32 v2, 16, v11
	buffer_store_dword v2, off, s[0:3], s32 offset:812 ; 4-byte Folded Spill
	v_and_b32_e32 v2, 0xffff0000, v11
	buffer_store_dword v2, off, s[0:3], s32 offset:816 ; 4-byte Folded Spill
	;; [unrolled: 4-line block ×4, first 2 shown]
	buffer_load_dword v2, off, s[0:3], s32 offset:908 ; 4-byte Folded Reload
	v_bfe_u32 v4, v22, 1, 5
	v_lshlrev_b32_e32 v5, 4, v4
	s_waitcnt vmcnt(0)
	v_add_co_u32_e32 v2, vcc, v8, v2
	v_addc_co_u32_e32 v3, vcc, v9, v3, vcc
	v_add_co_u32_e32 v2, vcc, v2, v5
	v_addc_co_u32_e32 v3, vcc, 0, v3, vcc
	buffer_store_dword v2, off, s[0:3], s32 offset:840 ; 4-byte Folded Spill
	s_nop 0
	buffer_store_dword v3, off, s[0:3], s32 offset:844 ; 4-byte Folded Spill
	buffer_load_dword v6, off, s[0:3], s32 offset:188 ; 4-byte Folded Reload
	buffer_load_dword v7, off, s[0:3], s32 offset:192 ; 4-byte Folded Reload
	;; [unrolled: 1-line block ×5, first 2 shown]
	s_waitcnt vmcnt(3)
	v_lshlrev_b64 v[2:3], 2, v[6:7]
	s_waitcnt vmcnt(2)
	v_add_co_u32_e32 v2, vcc, v8, v2
	s_waitcnt vmcnt(1)
	v_addc_co_u32_e32 v3, vcc, v9, v3, vcc
	s_waitcnt vmcnt(0)
	v_add_co_u32_e32 v18, vcc, v5, v2
	buffer_load_dword v2, off, s[0:3], s32 offset:868 ; 4-byte Folded Reload
	s_waitcnt vmcnt(0)
	v_addc_co_u32_e32 v19, vcc, v2, v3, vcc
	v_mbcnt_hi_u32_b32 v2, -1, v1
	v_and_b32_e32 v1, 64, v2
	v_add_u32_e32 v3, 64, v1
	v_xor_b32_e32 v1, 1, v2
	v_cmp_lt_i32_e32 vcc, v1, v3
	v_cndmask_b32_e32 v1, v2, v1, vcc
	v_lshlrev_b32_e32 v1, 2, v1
	buffer_store_dword v2, off, s[0:3], s32 offset:928 ; 4-byte Folded Spill
	buffer_store_dword v1, off, s[0:3], s32 offset:836 ; 4-byte Folded Spill
	buffer_load_dword v1, off, s[0:3], s32 offset:856 ; 4-byte Folded Reload
	s_getpc_b64 vcc
	s_add_u32 vcc_lo, vcc_lo, llvm.amdgcn.dynlds.offset.table@rel32@lo+4
	s_addc_u32 vcc_hi, vcc_hi, llvm.amdgcn.dynlds.offset.table@rel32@hi+12
	buffer_load_dword v2, off, s[0:3], s32 offset:864 ; 4-byte Folded Reload
	s_add_u32 s8, s8, vcc_lo
	buffer_store_dword v3, off, s[0:3], s32 offset:932 ; 4-byte Folded Spill
	s_addc_u32 s9, s9, vcc_hi
	v_mov_b32_e32 v3, v6
	s_waitcnt vmcnt(2)
	v_cmp_neq_f32_e64 s[16:17], 0, v1
	s_waitcnt vmcnt(1)
	v_lshlrev_b32_e32 v1, 5, v2
	v_add3_u32 v11, s40, v1, v4
	v_lshlrev_b32_e32 v1, 2, v4
	v_lshl_or_b32 v10, v2, 7, v1
	v_mov_b32_e32 v1, 0
	buffer_store_dword v0, off, s[0:3], s32 offset:848 ; 4-byte Folded Spill
	s_nop 0
	buffer_store_dword v1, off, s[0:3], s32 offset:852 ; 4-byte Folded Spill
	v_mov_b32_e32 v0, 0xff7fffff
	buffer_store_dword v0, off, s[0:3], s32 offset:280 ; 4-byte Folded Spill
	v_bfrev_b32_e32 v0, 60
	s_branch .LBB405_10
.LBB405_9:                              ;   in Loop: Header=BB405_10 Depth=1
	s_or_b64 exec, exec, s[34:35]
	buffer_load_dword v2, off, s[0:3], s32 offset:196 ; 4-byte Folded Reload
	v_add_co_u32_e32 v18, vcc, 8, v18
	v_add_u32_e32 v3, 2, v3
	v_addc_co_u32_e32 v19, vcc, 0, v19, vcc
	v_add_u32_e32 v11, 64, v11
	v_add_u32_e32 v10, 0x100, v10
	s_waitcnt vmcnt(0)
	v_cmp_ge_i32_e32 vcc, v3, v2
	s_or_b64 s[30:31], vcc, s[30:31]
	s_andn2_b64 exec, exec, s[30:31]
	s_cbranch_execz .LBB405_1292
.LBB405_10:                             ; =>This Inner Loop Header: Depth=1
	flat_load_dword v2, v[18:19]
	s_waitcnt lgkmcnt(0)
	buffer_load_dword v4, off, s[0:3], s32 offset:200 ; 4-byte Folded Reload
	buffer_load_dword v5, off, s[0:3], s32 offset:204 ; 4-byte Folded Reload
	;; [unrolled: 1-line block ×4, first 2 shown]
	s_waitcnt vmcnt(0) lgkmcnt(0)
	v_mad_i64_i32 v[4:5], vcc, v2, v4, v[6:7]
	buffer_load_dword v6, off, s[0:3], s32 offset:848 ; 4-byte Folded Reload
	buffer_load_dword v7, off, s[0:3], s32 offset:852 ; 4-byte Folded Reload
	v_mov_b32_e32 v2, 0
	s_waitcnt vmcnt(1)
	v_add_co_u32_e32 v20, vcc, v4, v6
	v_addc_co_u32_e32 v21, vcc, 0, v5, vcc
	flat_load_dword v28, v[20:21]
	buffer_load_dword v4, off, s[0:3], s32 offset:272 ; 4-byte Folded Reload
	buffer_load_dword v5, off, s[0:3], s32 offset:276 ; 4-byte Folded Reload
	s_waitcnt vmcnt(0) lgkmcnt(0)
	v_cmp_ne_u16_sdwa vcc, v28, v1 src0_sel:BYTE_0 src1_sel:DWORD
	flat_load_dword v62, v[4:5]
	s_and_saveexec_b64 s[34:35], vcc
	s_cbranch_execz .LBB405_16
; %bb.11:                               ;   in Loop: Header=BB405_10 Depth=1
	v_cmp_ne_u16_sdwa vcc, v28, s25 src0_sel:BYTE_0 src1_sel:DWORD
	v_bfrev_b32_e32 v2, 1
	s_and_saveexec_b64 s[36:37], vcc
	s_cbranch_execz .LBB405_15
; %bb.12:                               ;   in Loop: Header=BB405_10 Depth=1
	v_and_b32_e32 v4, 0x7f, v28
	v_cmp_ne_u32_e32 vcc, s41, v4
	v_mov_b32_e32 v2, 0x7f800001
	s_and_saveexec_b64 s[38:39], vcc
	s_cbranch_execz .LBB405_14
; %bb.13:                               ;   in Loop: Header=BB405_10 Depth=1
	v_and_b32_e32 v2, 7, v28
	v_lshrrev_b32_e32 v6, 3, v4
	v_cmp_gt_u32_e32 vcc, 8, v4
	v_ffbh_u32_e32 v4, v2
	v_min_u32_e32 v7, 32, v4
	v_subrev_u32_e32 v4, 28, v7
	v_lshlrev_b64 v[4:5], v4, v[28:29]
	v_sub_u32_e32 v5, 29, v7
	v_and_b32_e32 v4, 7, v4
	v_cndmask_b32_e32 v5, v6, v5, vcc
	v_cndmask_b32_e32 v2, v2, v4, vcc
	v_lshlrev_b32_e32 v4, 24, v28
	v_lshlrev_b32_e32 v2, 20, v2
	v_and_b32_e32 v4, 0x80000000, v4
	v_lshl_add_u32 v5, v5, 23, v0
	v_or3_b32 v2, v4, v5, v2
.LBB405_14:                             ;   in Loop: Header=BB405_10 Depth=1
	s_or_b64 exec, exec, s[38:39]
.LBB405_15:                             ;   in Loop: Header=BB405_10 Depth=1
	s_or_b64 exec, exec, s[36:37]
.LBB405_16:                             ;   in Loop: Header=BB405_10 Depth=1
	s_or_b64 exec, exec, s[34:35]
	s_waitcnt vmcnt(0) lgkmcnt(0)
	v_mul_f32_e32 v2, v62, v2
	v_and_b32_e32 v4, 0x7f800000, v2
	v_cmp_ne_u32_e32 vcc, s42, v4
                                        ; implicit-def: $vgpr60
	s_and_saveexec_b64 s[34:35], vcc
	s_xor_b64 vcc, exec, s[34:35]
; %bb.17:                               ;   in Loop: Header=BB405_10 Depth=1
	v_bfe_u32 v4, v2, 16, 1
	v_add3_u32 v60, v2, v4, s43
                                        ; implicit-def: $vgpr2
; %bb.18:                               ;   in Loop: Header=BB405_10 Depth=1
	s_andn2_saveexec_b64 s[34:35], vcc
; %bb.19:                               ;   in Loop: Header=BB405_10 Depth=1
	v_or_b32_e32 v4, 0x10000, v2
	v_cmp_eq_u32_sdwa vcc, v2, v1 src0_sel:WORD_0 src1_sel:DWORD
	v_cndmask_b32_e32 v60, v4, v2, vcc
; %bb.20:                               ;   in Loop: Header=BB405_10 Depth=1
	s_or_b64 exec, exec, s[34:35]
	v_lshrrev_b16_e32 v30, 8, v28
	v_cmp_ne_u16_e32 vcc, 0, v30
	v_mov_b32_e32 v2, 0
	s_and_saveexec_b64 s[34:35], vcc
	s_cbranch_execz .LBB405_26
; %bb.21:                               ;   in Loop: Header=BB405_10 Depth=1
	v_cmp_ne_u16_e32 vcc, s25, v30
	v_bfrev_b32_e32 v2, 1
	s_and_saveexec_b64 s[36:37], vcc
	s_cbranch_execz .LBB405_25
; %bb.22:                               ;   in Loop: Header=BB405_10 Depth=1
	v_and_b32_e32 v4, 0x7f, v30
	v_cmp_ne_u32_e32 vcc, s41, v4
	v_mov_b32_e32 v2, 0x7f800001
	s_and_saveexec_b64 s[38:39], vcc
	s_cbranch_execz .LBB405_24
; %bb.23:                               ;   in Loop: Header=BB405_10 Depth=1
	v_and_b32_e32 v2, 7, v30
	v_lshrrev_b32_e32 v6, 3, v4
	v_cmp_gt_u32_e32 vcc, 8, v4
	v_ffbh_u32_e32 v4, v2
	v_min_u32_e32 v7, 32, v4
	v_subrev_u32_e32 v4, 28, v7
	v_lshlrev_b64 v[4:5], v4, v[30:31]
	v_sub_u32_e32 v5, 29, v7
	v_and_b32_e32 v4, 7, v4
	v_cndmask_b32_e32 v5, v6, v5, vcc
	v_cndmask_b32_e32 v2, v2, v4, vcc
	v_lshlrev_b32_e32 v4, 16, v28
	v_lshlrev_b32_e32 v2, 20, v2
	v_and_b32_e32 v4, 0x80000000, v4
	v_lshl_add_u32 v5, v5, 23, v0
	v_or3_b32 v2, v4, v5, v2
.LBB405_24:                             ;   in Loop: Header=BB405_10 Depth=1
	s_or_b64 exec, exec, s[38:39]
.LBB405_25:                             ;   in Loop: Header=BB405_10 Depth=1
	s_or_b64 exec, exec, s[36:37]
.LBB405_26:                             ;   in Loop: Header=BB405_10 Depth=1
	s_or_b64 exec, exec, s[34:35]
	v_mul_f32_e32 v2, v62, v2
	v_and_b32_e32 v4, 0x7f800000, v2
	v_cmp_ne_u32_e32 vcc, s42, v4
                                        ; implicit-def: $vgpr37
	s_and_saveexec_b64 s[34:35], vcc
	s_xor_b64 vcc, exec, s[34:35]
; %bb.27:                               ;   in Loop: Header=BB405_10 Depth=1
	v_bfe_u32 v4, v2, 16, 1
	v_add3_u32 v37, v2, v4, s43
                                        ; implicit-def: $vgpr2
; %bb.28:                               ;   in Loop: Header=BB405_10 Depth=1
	s_andn2_saveexec_b64 s[34:35], vcc
; %bb.29:                               ;   in Loop: Header=BB405_10 Depth=1
	v_or_b32_e32 v4, 0x10000, v2
	v_cmp_eq_u32_sdwa vcc, v2, v1 src0_sel:WORD_0 src1_sel:DWORD
	v_cndmask_b32_e32 v37, v4, v2, vcc
; %bb.30:                               ;   in Loop: Header=BB405_10 Depth=1
	s_or_b64 exec, exec, s[34:35]
	v_lshrrev_b32_e32 v30, 16, v28
	v_cmp_ne_u16_sdwa vcc, v30, v1 src0_sel:BYTE_0 src1_sel:DWORD
	v_mov_b32_e32 v2, 0
	s_and_saveexec_b64 s[34:35], vcc
	s_cbranch_execz .LBB405_36
; %bb.31:                               ;   in Loop: Header=BB405_10 Depth=1
	v_cmp_ne_u16_sdwa vcc, v30, s25 src0_sel:BYTE_0 src1_sel:DWORD
	v_bfrev_b32_e32 v2, 1
	s_and_saveexec_b64 s[36:37], vcc
	s_cbranch_execz .LBB405_35
; %bb.32:                               ;   in Loop: Header=BB405_10 Depth=1
	v_bfe_u32 v4, v28, 16, 7
	v_cmp_ne_u32_e32 vcc, s41, v4
	v_mov_b32_e32 v2, 0x7f800001
	s_and_saveexec_b64 s[38:39], vcc
	s_cbranch_execz .LBB405_34
; %bb.33:                               ;   in Loop: Header=BB405_10 Depth=1
	v_and_b32_e32 v2, 7, v30
	v_lshrrev_b32_e32 v6, 3, v4
	v_cmp_gt_u32_e32 vcc, 8, v4
	v_ffbh_u32_e32 v4, v2
	v_min_u32_e32 v7, 32, v4
	v_subrev_u32_e32 v4, 28, v7
	v_lshlrev_b64 v[4:5], v4, v[30:31]
	v_sub_u32_e32 v5, 29, v7
	v_and_b32_e32 v4, 7, v4
	v_cndmask_b32_e32 v5, v6, v5, vcc
	v_cndmask_b32_e32 v2, v2, v4, vcc
	v_lshlrev_b32_e32 v4, 24, v30
	v_lshlrev_b32_e32 v2, 20, v2
	v_and_b32_e32 v4, 0x80000000, v4
	v_lshl_add_u32 v5, v5, 23, v0
	v_or3_b32 v2, v4, v5, v2
.LBB405_34:                             ;   in Loop: Header=BB405_10 Depth=1
	s_or_b64 exec, exec, s[38:39]
.LBB405_35:                             ;   in Loop: Header=BB405_10 Depth=1
	s_or_b64 exec, exec, s[36:37]
.LBB405_36:                             ;   in Loop: Header=BB405_10 Depth=1
	s_or_b64 exec, exec, s[34:35]
	v_mul_f32_e32 v2, v62, v2
	v_and_b32_e32 v4, 0x7f800000, v2
	v_cmp_ne_u32_e32 vcc, s42, v4
                                        ; implicit-def: $vgpr15
	s_and_saveexec_b64 s[34:35], vcc
	s_xor_b64 vcc, exec, s[34:35]
; %bb.37:                               ;   in Loop: Header=BB405_10 Depth=1
	v_bfe_u32 v4, v2, 16, 1
	v_add3_u32 v15, v2, v4, s43
                                        ; implicit-def: $vgpr2
; %bb.38:                               ;   in Loop: Header=BB405_10 Depth=1
	s_andn2_saveexec_b64 s[34:35], vcc
; %bb.39:                               ;   in Loop: Header=BB405_10 Depth=1
	v_or_b32_e32 v4, 0x10000, v2
	v_cmp_eq_u32_sdwa vcc, v2, v1 src0_sel:WORD_0 src1_sel:DWORD
	v_cndmask_b32_e32 v15, v4, v2, vcc
; %bb.40:                               ;   in Loop: Header=BB405_10 Depth=1
	s_or_b64 exec, exec, s[34:35]
	v_cmp_lt_u32_e32 vcc, s44, v28
	v_mov_b32_e32 v2, 0
	s_and_saveexec_b64 s[34:35], vcc
	s_cbranch_execz .LBB405_46
; %bb.41:                               ;   in Loop: Header=BB405_10 Depth=1
	v_lshrrev_b32_e32 v30, 24, v28
	v_cmp_ne_u32_e32 vcc, s25, v30
	v_bfrev_b32_e32 v2, 1
	s_and_saveexec_b64 s[36:37], vcc
	s_cbranch_execz .LBB405_45
; %bb.42:                               ;   in Loop: Header=BB405_10 Depth=1
	v_bfe_u32 v4, v28, 24, 7
	v_cmp_ne_u32_e32 vcc, s41, v4
	v_mov_b32_e32 v2, 0x7f800001
	s_and_saveexec_b64 s[38:39], vcc
	s_cbranch_execz .LBB405_44
; %bb.43:                               ;   in Loop: Header=BB405_10 Depth=1
	v_and_b32_e32 v2, 7, v30
	v_lshrrev_b32_e32 v6, 3, v4
	v_cmp_gt_u32_e32 vcc, 8, v4
	v_ffbh_u32_e32 v4, v2
	v_min_u32_e32 v7, 32, v4
	v_subrev_u32_e32 v4, 28, v7
	v_lshlrev_b64 v[4:5], v4, v[30:31]
	v_sub_u32_e32 v5, 29, v7
	v_and_b32_e32 v4, 7, v4
	v_cndmask_b32_e32 v5, v6, v5, vcc
	v_cndmask_b32_e32 v2, v2, v4, vcc
	v_lshlrev_b32_e32 v4, 24, v30
	v_lshlrev_b32_e32 v2, 20, v2
	v_and_b32_e32 v4, 0x80000000, v4
	v_lshl_add_u32 v5, v5, 23, v0
	v_or3_b32 v2, v4, v5, v2
.LBB405_44:                             ;   in Loop: Header=BB405_10 Depth=1
	s_or_b64 exec, exec, s[38:39]
.LBB405_45:                             ;   in Loop: Header=BB405_10 Depth=1
	s_or_b64 exec, exec, s[36:37]
.LBB405_46:                             ;   in Loop: Header=BB405_10 Depth=1
	s_or_b64 exec, exec, s[34:35]
	v_mul_f32_e32 v2, v62, v2
	v_and_b32_e32 v4, 0x7f800000, v2
	v_cmp_ne_u32_e32 vcc, s42, v4
                                        ; implicit-def: $vgpr22
	s_and_saveexec_b64 s[34:35], vcc
	s_xor_b64 vcc, exec, s[34:35]
; %bb.47:                               ;   in Loop: Header=BB405_10 Depth=1
	v_bfe_u32 v4, v2, 16, 1
	v_add3_u32 v22, v2, v4, s43
                                        ; implicit-def: $vgpr2
; %bb.48:                               ;   in Loop: Header=BB405_10 Depth=1
	s_andn2_saveexec_b64 s[34:35], vcc
; %bb.49:                               ;   in Loop: Header=BB405_10 Depth=1
	v_or_b32_e32 v4, 0x10000, v2
	v_cmp_eq_u32_sdwa vcc, v2, v1 src0_sel:WORD_0 src1_sel:DWORD
	v_cndmask_b32_e32 v22, v4, v2, vcc
; %bb.50:                               ;   in Loop: Header=BB405_10 Depth=1
	s_or_b64 exec, exec, s[34:35]
	flat_load_dword v28, v[20:21] offset:8
	v_mov_b32_e32 v2, 0
	s_waitcnt vmcnt(0) lgkmcnt(0)
	v_cmp_ne_u16_sdwa vcc, v28, v1 src0_sel:BYTE_0 src1_sel:DWORD
	s_and_saveexec_b64 s[34:35], vcc
	s_cbranch_execz .LBB405_56
; %bb.51:                               ;   in Loop: Header=BB405_10 Depth=1
	v_cmp_ne_u16_sdwa vcc, v28, s25 src0_sel:BYTE_0 src1_sel:DWORD
	v_bfrev_b32_e32 v2, 1
	s_and_saveexec_b64 s[36:37], vcc
	s_cbranch_execz .LBB405_55
; %bb.52:                               ;   in Loop: Header=BB405_10 Depth=1
	v_and_b32_e32 v4, 0x7f, v28
	v_cmp_ne_u32_e32 vcc, s41, v4
	v_mov_b32_e32 v2, 0x7f800001
	s_and_saveexec_b64 s[38:39], vcc
	s_cbranch_execz .LBB405_54
; %bb.53:                               ;   in Loop: Header=BB405_10 Depth=1
	v_and_b32_e32 v2, 7, v28
	v_lshrrev_b32_e32 v6, 3, v4
	v_cmp_gt_u32_e32 vcc, 8, v4
	v_ffbh_u32_e32 v4, v2
	v_min_u32_e32 v7, 32, v4
	v_subrev_u32_e32 v4, 28, v7
	v_lshlrev_b64 v[4:5], v4, v[28:29]
	v_sub_u32_e32 v5, 29, v7
	v_and_b32_e32 v4, 7, v4
	v_cndmask_b32_e32 v5, v6, v5, vcc
	v_cndmask_b32_e32 v2, v2, v4, vcc
	v_lshlrev_b32_e32 v4, 24, v28
	v_lshlrev_b32_e32 v2, 20, v2
	v_and_b32_e32 v4, 0x80000000, v4
	v_lshl_add_u32 v5, v5, 23, v0
	v_or3_b32 v2, v4, v5, v2
.LBB405_54:                             ;   in Loop: Header=BB405_10 Depth=1
	s_or_b64 exec, exec, s[38:39]
.LBB405_55:                             ;   in Loop: Header=BB405_10 Depth=1
	s_or_b64 exec, exec, s[36:37]
.LBB405_56:                             ;   in Loop: Header=BB405_10 Depth=1
	s_or_b64 exec, exec, s[34:35]
	v_mul_f32_e32 v2, v62, v2
	v_and_b32_e32 v4, 0x7f800000, v2
	v_cmp_ne_u32_e32 vcc, s42, v4
                                        ; implicit-def: $vgpr59
	s_and_saveexec_b64 s[34:35], vcc
	s_xor_b64 vcc, exec, s[34:35]
; %bb.57:                               ;   in Loop: Header=BB405_10 Depth=1
	v_bfe_u32 v4, v2, 16, 1
	v_add3_u32 v59, v2, v4, s43
                                        ; implicit-def: $vgpr2
; %bb.58:                               ;   in Loop: Header=BB405_10 Depth=1
	s_andn2_saveexec_b64 s[34:35], vcc
; %bb.59:                               ;   in Loop: Header=BB405_10 Depth=1
	v_or_b32_e32 v4, 0x10000, v2
	v_cmp_eq_u32_sdwa vcc, v2, v1 src0_sel:WORD_0 src1_sel:DWORD
	v_cndmask_b32_e32 v59, v4, v2, vcc
; %bb.60:                               ;   in Loop: Header=BB405_10 Depth=1
	s_or_b64 exec, exec, s[34:35]
	v_lshrrev_b16_e32 v30, 8, v28
	v_cmp_ne_u16_e32 vcc, 0, v30
	v_mov_b32_e32 v2, 0
	s_and_saveexec_b64 s[34:35], vcc
	s_cbranch_execz .LBB405_66
; %bb.61:                               ;   in Loop: Header=BB405_10 Depth=1
	v_cmp_ne_u16_e32 vcc, s25, v30
	v_bfrev_b32_e32 v2, 1
	s_and_saveexec_b64 s[36:37], vcc
	s_cbranch_execz .LBB405_65
; %bb.62:                               ;   in Loop: Header=BB405_10 Depth=1
	v_and_b32_e32 v4, 0x7f, v30
	v_cmp_ne_u32_e32 vcc, s41, v4
	v_mov_b32_e32 v2, 0x7f800001
	s_and_saveexec_b64 s[38:39], vcc
	s_cbranch_execz .LBB405_64
; %bb.63:                               ;   in Loop: Header=BB405_10 Depth=1
	v_and_b32_e32 v2, 7, v30
	v_lshrrev_b32_e32 v6, 3, v4
	v_cmp_gt_u32_e32 vcc, 8, v4
	v_ffbh_u32_e32 v4, v2
	v_min_u32_e32 v7, 32, v4
	v_subrev_u32_e32 v4, 28, v7
	v_lshlrev_b64 v[4:5], v4, v[30:31]
	v_sub_u32_e32 v5, 29, v7
	v_and_b32_e32 v4, 7, v4
	v_cndmask_b32_e32 v5, v6, v5, vcc
	v_cndmask_b32_e32 v2, v2, v4, vcc
	v_lshlrev_b32_e32 v4, 16, v28
	v_lshlrev_b32_e32 v2, 20, v2
	v_and_b32_e32 v4, 0x80000000, v4
	v_lshl_add_u32 v5, v5, 23, v0
	v_or3_b32 v2, v4, v5, v2
.LBB405_64:                             ;   in Loop: Header=BB405_10 Depth=1
	s_or_b64 exec, exec, s[38:39]
.LBB405_65:                             ;   in Loop: Header=BB405_10 Depth=1
	s_or_b64 exec, exec, s[36:37]
.LBB405_66:                             ;   in Loop: Header=BB405_10 Depth=1
	s_or_b64 exec, exec, s[34:35]
	v_mul_f32_e32 v2, v62, v2
	v_and_b32_e32 v4, 0x7f800000, v2
	v_cmp_ne_u32_e32 vcc, s42, v4
                                        ; implicit-def: $vgpr16
	s_and_saveexec_b64 s[34:35], vcc
	s_xor_b64 vcc, exec, s[34:35]
; %bb.67:                               ;   in Loop: Header=BB405_10 Depth=1
	v_bfe_u32 v4, v2, 16, 1
	v_add3_u32 v16, v2, v4, s43
                                        ; implicit-def: $vgpr2
; %bb.68:                               ;   in Loop: Header=BB405_10 Depth=1
	s_andn2_saveexec_b64 s[34:35], vcc
; %bb.69:                               ;   in Loop: Header=BB405_10 Depth=1
	v_or_b32_e32 v4, 0x10000, v2
	v_cmp_eq_u32_sdwa vcc, v2, v1 src0_sel:WORD_0 src1_sel:DWORD
	v_cndmask_b32_e32 v16, v4, v2, vcc
; %bb.70:                               ;   in Loop: Header=BB405_10 Depth=1
	s_or_b64 exec, exec, s[34:35]
	v_lshrrev_b32_e32 v30, 16, v28
	v_cmp_ne_u16_sdwa vcc, v30, v1 src0_sel:BYTE_0 src1_sel:DWORD
	v_mov_b32_e32 v2, 0
	s_and_saveexec_b64 s[34:35], vcc
	s_cbranch_execz .LBB405_76
; %bb.71:                               ;   in Loop: Header=BB405_10 Depth=1
	v_cmp_ne_u16_sdwa vcc, v30, s25 src0_sel:BYTE_0 src1_sel:DWORD
	v_bfrev_b32_e32 v2, 1
	s_and_saveexec_b64 s[36:37], vcc
	s_cbranch_execz .LBB405_75
; %bb.72:                               ;   in Loop: Header=BB405_10 Depth=1
	v_bfe_u32 v4, v28, 16, 7
	v_cmp_ne_u32_e32 vcc, s41, v4
	v_mov_b32_e32 v2, 0x7f800001
	s_and_saveexec_b64 s[38:39], vcc
	s_cbranch_execz .LBB405_74
; %bb.73:                               ;   in Loop: Header=BB405_10 Depth=1
	v_and_b32_e32 v2, 7, v30
	v_lshrrev_b32_e32 v6, 3, v4
	v_cmp_gt_u32_e32 vcc, 8, v4
	v_ffbh_u32_e32 v4, v2
	v_min_u32_e32 v7, 32, v4
	v_subrev_u32_e32 v4, 28, v7
	v_lshlrev_b64 v[4:5], v4, v[30:31]
	v_sub_u32_e32 v5, 29, v7
	v_and_b32_e32 v4, 7, v4
	v_cndmask_b32_e32 v5, v6, v5, vcc
	v_cndmask_b32_e32 v2, v2, v4, vcc
	v_lshlrev_b32_e32 v4, 24, v30
	v_lshlrev_b32_e32 v2, 20, v2
	v_and_b32_e32 v4, 0x80000000, v4
	v_lshl_add_u32 v5, v5, 23, v0
	v_or3_b32 v2, v4, v5, v2
.LBB405_74:                             ;   in Loop: Header=BB405_10 Depth=1
	s_or_b64 exec, exec, s[38:39]
.LBB405_75:                             ;   in Loop: Header=BB405_10 Depth=1
	s_or_b64 exec, exec, s[36:37]
.LBB405_76:                             ;   in Loop: Header=BB405_10 Depth=1
	s_or_b64 exec, exec, s[34:35]
	v_mul_f32_e32 v2, v62, v2
	v_and_b32_e32 v4, 0x7f800000, v2
	v_cmp_ne_u32_e32 vcc, s42, v4
                                        ; implicit-def: $vgpr17
	s_and_saveexec_b64 s[34:35], vcc
	s_xor_b64 vcc, exec, s[34:35]
; %bb.77:                               ;   in Loop: Header=BB405_10 Depth=1
	v_bfe_u32 v4, v2, 16, 1
	v_add3_u32 v17, v2, v4, s43
                                        ; implicit-def: $vgpr2
; %bb.78:                               ;   in Loop: Header=BB405_10 Depth=1
	s_andn2_saveexec_b64 s[34:35], vcc
; %bb.79:                               ;   in Loop: Header=BB405_10 Depth=1
	v_or_b32_e32 v4, 0x10000, v2
	v_cmp_eq_u32_sdwa vcc, v2, v1 src0_sel:WORD_0 src1_sel:DWORD
	v_cndmask_b32_e32 v17, v4, v2, vcc
; %bb.80:                               ;   in Loop: Header=BB405_10 Depth=1
	s_or_b64 exec, exec, s[34:35]
	v_cmp_lt_u32_e32 vcc, s44, v28
	v_mov_b32_e32 v2, 0
	s_and_saveexec_b64 s[34:35], vcc
	s_cbranch_execz .LBB405_86
; %bb.81:                               ;   in Loop: Header=BB405_10 Depth=1
	v_lshrrev_b32_e32 v30, 24, v28
	v_cmp_ne_u32_e32 vcc, s25, v30
	v_bfrev_b32_e32 v2, 1
	s_and_saveexec_b64 s[36:37], vcc
	s_cbranch_execz .LBB405_85
; %bb.82:                               ;   in Loop: Header=BB405_10 Depth=1
	v_bfe_u32 v4, v28, 24, 7
	v_cmp_ne_u32_e32 vcc, s41, v4
	v_mov_b32_e32 v2, 0x7f800001
	s_and_saveexec_b64 s[38:39], vcc
	s_cbranch_execz .LBB405_84
; %bb.83:                               ;   in Loop: Header=BB405_10 Depth=1
	v_and_b32_e32 v2, 7, v30
	v_lshrrev_b32_e32 v6, 3, v4
	v_cmp_gt_u32_e32 vcc, 8, v4
	v_ffbh_u32_e32 v4, v2
	v_min_u32_e32 v7, 32, v4
	v_subrev_u32_e32 v4, 28, v7
	v_lshlrev_b64 v[4:5], v4, v[30:31]
	v_sub_u32_e32 v5, 29, v7
	v_and_b32_e32 v4, 7, v4
	v_cndmask_b32_e32 v5, v6, v5, vcc
	v_cndmask_b32_e32 v2, v2, v4, vcc
	v_lshlrev_b32_e32 v4, 24, v30
	v_lshlrev_b32_e32 v2, 20, v2
	v_and_b32_e32 v4, 0x80000000, v4
	v_lshl_add_u32 v5, v5, 23, v0
	v_or3_b32 v2, v4, v5, v2
.LBB405_84:                             ;   in Loop: Header=BB405_10 Depth=1
	s_or_b64 exec, exec, s[38:39]
.LBB405_85:                             ;   in Loop: Header=BB405_10 Depth=1
	s_or_b64 exec, exec, s[36:37]
.LBB405_86:                             ;   in Loop: Header=BB405_10 Depth=1
	s_or_b64 exec, exec, s[34:35]
	v_mul_f32_e32 v2, v62, v2
	v_and_b32_e32 v4, 0x7f800000, v2
	v_cmp_ne_u32_e32 vcc, s42, v4
                                        ; implicit-def: $vgpr4
                                        ; kill: killed $vgpr4
	s_and_saveexec_b64 s[34:35], vcc
	s_xor_b64 vcc, exec, s[34:35]
	s_cbranch_execz .LBB405_88
; %bb.87:                               ;   in Loop: Header=BB405_10 Depth=1
	v_bfe_u32 v4, v2, 16, 1
	v_add3_u32 v2, v2, v4, s43
	buffer_store_dword v2, off, s[0:3], s32 offset:208 ; 4-byte Folded Spill
                                        ; implicit-def: $vgpr2
.LBB405_88:                             ;   in Loop: Header=BB405_10 Depth=1
	s_andn2_saveexec_b64 s[34:35], vcc
	s_cbranch_execz .LBB405_90
; %bb.89:                               ;   in Loop: Header=BB405_10 Depth=1
	v_or_b32_e32 v4, 0x10000, v2
	v_cmp_eq_u32_sdwa vcc, v2, v1 src0_sel:WORD_0 src1_sel:DWORD
	v_cndmask_b32_e32 v2, v4, v2, vcc
	buffer_store_dword v2, off, s[0:3], s32 offset:208 ; 4-byte Folded Spill
.LBB405_90:                             ;   in Loop: Header=BB405_10 Depth=1
	s_or_b64 exec, exec, s[34:35]
	flat_load_dword v28, v[20:21] offset:512
	v_mov_b32_e32 v2, 0
	s_waitcnt vmcnt(0) lgkmcnt(0)
	v_cmp_ne_u16_sdwa vcc, v28, v1 src0_sel:BYTE_0 src1_sel:DWORD
	s_and_saveexec_b64 s[34:35], vcc
	s_cbranch_execz .LBB405_96
; %bb.91:                               ;   in Loop: Header=BB405_10 Depth=1
	v_cmp_ne_u16_sdwa vcc, v28, s25 src0_sel:BYTE_0 src1_sel:DWORD
	v_bfrev_b32_e32 v2, 1
	s_and_saveexec_b64 s[36:37], vcc
	s_cbranch_execz .LBB405_95
; %bb.92:                               ;   in Loop: Header=BB405_10 Depth=1
	v_and_b32_e32 v4, 0x7f, v28
	v_cmp_ne_u32_e32 vcc, s41, v4
	v_mov_b32_e32 v2, 0x7f800001
	s_and_saveexec_b64 s[38:39], vcc
	s_cbranch_execz .LBB405_94
; %bb.93:                               ;   in Loop: Header=BB405_10 Depth=1
	v_and_b32_e32 v2, 7, v28
	v_lshrrev_b32_e32 v6, 3, v4
	v_cmp_gt_u32_e32 vcc, 8, v4
	v_ffbh_u32_e32 v4, v2
	v_min_u32_e32 v7, 32, v4
	v_subrev_u32_e32 v4, 28, v7
	v_lshlrev_b64 v[4:5], v4, v[28:29]
	v_sub_u32_e32 v5, 29, v7
	v_and_b32_e32 v4, 7, v4
	v_cndmask_b32_e32 v5, v6, v5, vcc
	v_cndmask_b32_e32 v2, v2, v4, vcc
	v_lshlrev_b32_e32 v4, 24, v28
	v_lshlrev_b32_e32 v2, 20, v2
	v_and_b32_e32 v4, 0x80000000, v4
	v_lshl_add_u32 v5, v5, 23, v0
	v_or3_b32 v2, v4, v5, v2
.LBB405_94:                             ;   in Loop: Header=BB405_10 Depth=1
	s_or_b64 exec, exec, s[38:39]
.LBB405_95:                             ;   in Loop: Header=BB405_10 Depth=1
	s_or_b64 exec, exec, s[36:37]
.LBB405_96:                             ;   in Loop: Header=BB405_10 Depth=1
	s_or_b64 exec, exec, s[34:35]
	v_mul_f32_e32 v2, v62, v2
	v_and_b32_e32 v4, 0x7f800000, v2
	v_cmp_ne_u32_e32 vcc, s42, v4
                                        ; implicit-def: $vgpr4
                                        ; kill: killed $vgpr4
	s_and_saveexec_b64 s[34:35], vcc
	s_xor_b64 vcc, exec, s[34:35]
	s_cbranch_execz .LBB405_98
; %bb.97:                               ;   in Loop: Header=BB405_10 Depth=1
	v_bfe_u32 v4, v2, 16, 1
	v_add3_u32 v2, v2, v4, s43
	buffer_store_dword v2, off, s[0:3], s32 offset:212 ; 4-byte Folded Spill
                                        ; implicit-def: $vgpr2
.LBB405_98:                             ;   in Loop: Header=BB405_10 Depth=1
	s_andn2_saveexec_b64 s[34:35], vcc
	s_cbranch_execz .LBB405_100
; %bb.99:                               ;   in Loop: Header=BB405_10 Depth=1
	v_or_b32_e32 v4, 0x10000, v2
	v_cmp_eq_u32_sdwa vcc, v2, v1 src0_sel:WORD_0 src1_sel:DWORD
	v_cndmask_b32_e32 v2, v4, v2, vcc
	buffer_store_dword v2, off, s[0:3], s32 offset:212 ; 4-byte Folded Spill
.LBB405_100:                            ;   in Loop: Header=BB405_10 Depth=1
	s_or_b64 exec, exec, s[34:35]
	v_lshrrev_b16_e32 v30, 8, v28
	v_cmp_ne_u16_e32 vcc, 0, v30
	v_mov_b32_e32 v2, 0
	s_and_saveexec_b64 s[34:35], vcc
	s_cbranch_execz .LBB405_106
; %bb.101:                              ;   in Loop: Header=BB405_10 Depth=1
	v_cmp_ne_u16_e32 vcc, s25, v30
	v_bfrev_b32_e32 v2, 1
	s_and_saveexec_b64 s[36:37], vcc
	s_cbranch_execz .LBB405_105
; %bb.102:                              ;   in Loop: Header=BB405_10 Depth=1
	v_and_b32_e32 v4, 0x7f, v30
	v_cmp_ne_u32_e32 vcc, s41, v4
	v_mov_b32_e32 v2, 0x7f800001
	s_and_saveexec_b64 s[38:39], vcc
	s_cbranch_execz .LBB405_104
; %bb.103:                              ;   in Loop: Header=BB405_10 Depth=1
	v_and_b32_e32 v2, 7, v30
	v_lshrrev_b32_e32 v6, 3, v4
	v_cmp_gt_u32_e32 vcc, 8, v4
	v_ffbh_u32_e32 v4, v2
	v_min_u32_e32 v7, 32, v4
	v_subrev_u32_e32 v4, 28, v7
	v_lshlrev_b64 v[4:5], v4, v[30:31]
	v_sub_u32_e32 v5, 29, v7
	v_and_b32_e32 v4, 7, v4
	v_cndmask_b32_e32 v5, v6, v5, vcc
	v_cndmask_b32_e32 v2, v2, v4, vcc
	v_lshlrev_b32_e32 v4, 16, v28
	v_lshlrev_b32_e32 v2, 20, v2
	v_and_b32_e32 v4, 0x80000000, v4
	v_lshl_add_u32 v5, v5, 23, v0
	v_or3_b32 v2, v4, v5, v2
.LBB405_104:                            ;   in Loop: Header=BB405_10 Depth=1
	s_or_b64 exec, exec, s[38:39]
.LBB405_105:                            ;   in Loop: Header=BB405_10 Depth=1
	s_or_b64 exec, exec, s[36:37]
.LBB405_106:                            ;   in Loop: Header=BB405_10 Depth=1
	s_or_b64 exec, exec, s[34:35]
	v_mul_f32_e32 v2, v62, v2
	v_and_b32_e32 v4, 0x7f800000, v2
	v_cmp_ne_u32_e32 vcc, s42, v4
                                        ; implicit-def: $vgpr4
                                        ; kill: killed $vgpr4
	s_and_saveexec_b64 s[34:35], vcc
	s_xor_b64 vcc, exec, s[34:35]
	s_cbranch_execz .LBB405_108
; %bb.107:                              ;   in Loop: Header=BB405_10 Depth=1
	v_bfe_u32 v4, v2, 16, 1
	v_add3_u32 v2, v2, v4, s43
	buffer_store_dword v2, off, s[0:3], s32 offset:216 ; 4-byte Folded Spill
                                        ; implicit-def: $vgpr2
.LBB405_108:                            ;   in Loop: Header=BB405_10 Depth=1
	s_andn2_saveexec_b64 s[34:35], vcc
	s_cbranch_execz .LBB405_110
; %bb.109:                              ;   in Loop: Header=BB405_10 Depth=1
	v_or_b32_e32 v4, 0x10000, v2
	v_cmp_eq_u32_sdwa vcc, v2, v1 src0_sel:WORD_0 src1_sel:DWORD
	v_cndmask_b32_e32 v2, v4, v2, vcc
	buffer_store_dword v2, off, s[0:3], s32 offset:216 ; 4-byte Folded Spill
.LBB405_110:                            ;   in Loop: Header=BB405_10 Depth=1
	s_or_b64 exec, exec, s[34:35]
	v_lshrrev_b32_e32 v30, 16, v28
	v_cmp_ne_u16_sdwa vcc, v30, v1 src0_sel:BYTE_0 src1_sel:DWORD
	v_mov_b32_e32 v2, 0
	s_and_saveexec_b64 s[34:35], vcc
	s_cbranch_execz .LBB405_116
; %bb.111:                              ;   in Loop: Header=BB405_10 Depth=1
	v_cmp_ne_u16_sdwa vcc, v30, s25 src0_sel:BYTE_0 src1_sel:DWORD
	v_bfrev_b32_e32 v2, 1
	s_and_saveexec_b64 s[36:37], vcc
	s_cbranch_execz .LBB405_115
; %bb.112:                              ;   in Loop: Header=BB405_10 Depth=1
	v_bfe_u32 v4, v28, 16, 7
	v_cmp_ne_u32_e32 vcc, s41, v4
	v_mov_b32_e32 v2, 0x7f800001
	s_and_saveexec_b64 s[38:39], vcc
	s_cbranch_execz .LBB405_114
; %bb.113:                              ;   in Loop: Header=BB405_10 Depth=1
	v_and_b32_e32 v2, 7, v30
	v_lshrrev_b32_e32 v6, 3, v4
	v_cmp_gt_u32_e32 vcc, 8, v4
	v_ffbh_u32_e32 v4, v2
	v_min_u32_e32 v7, 32, v4
	v_subrev_u32_e32 v4, 28, v7
	v_lshlrev_b64 v[4:5], v4, v[30:31]
	v_sub_u32_e32 v5, 29, v7
	v_and_b32_e32 v4, 7, v4
	v_cndmask_b32_e32 v5, v6, v5, vcc
	v_cndmask_b32_e32 v2, v2, v4, vcc
	v_lshlrev_b32_e32 v4, 24, v30
	v_lshlrev_b32_e32 v2, 20, v2
	v_and_b32_e32 v4, 0x80000000, v4
	v_lshl_add_u32 v5, v5, 23, v0
	v_or3_b32 v2, v4, v5, v2
.LBB405_114:                            ;   in Loop: Header=BB405_10 Depth=1
	s_or_b64 exec, exec, s[38:39]
.LBB405_115:                            ;   in Loop: Header=BB405_10 Depth=1
	s_or_b64 exec, exec, s[36:37]
.LBB405_116:                            ;   in Loop: Header=BB405_10 Depth=1
	s_or_b64 exec, exec, s[34:35]
	v_mul_f32_e32 v2, v62, v2
	v_and_b32_e32 v4, 0x7f800000, v2
	v_cmp_ne_u32_e32 vcc, s42, v4
                                        ; implicit-def: $vgpr4
                                        ; kill: killed $vgpr4
	s_and_saveexec_b64 s[34:35], vcc
	s_xor_b64 vcc, exec, s[34:35]
	s_cbranch_execz .LBB405_118
; %bb.117:                              ;   in Loop: Header=BB405_10 Depth=1
	v_bfe_u32 v4, v2, 16, 1
	v_add3_u32 v2, v2, v4, s43
	buffer_store_dword v2, off, s[0:3], s32 offset:220 ; 4-byte Folded Spill
                                        ; implicit-def: $vgpr2
.LBB405_118:                            ;   in Loop: Header=BB405_10 Depth=1
	s_andn2_saveexec_b64 s[34:35], vcc
	s_cbranch_execz .LBB405_120
; %bb.119:                              ;   in Loop: Header=BB405_10 Depth=1
	v_or_b32_e32 v4, 0x10000, v2
	v_cmp_eq_u32_sdwa vcc, v2, v1 src0_sel:WORD_0 src1_sel:DWORD
	v_cndmask_b32_e32 v2, v4, v2, vcc
	buffer_store_dword v2, off, s[0:3], s32 offset:220 ; 4-byte Folded Spill
.LBB405_120:                            ;   in Loop: Header=BB405_10 Depth=1
	s_or_b64 exec, exec, s[34:35]
	v_cmp_lt_u32_e32 vcc, s44, v28
	v_mov_b32_e32 v2, 0
	s_and_saveexec_b64 s[34:35], vcc
	s_cbranch_execz .LBB405_126
; %bb.121:                              ;   in Loop: Header=BB405_10 Depth=1
	v_lshrrev_b32_e32 v30, 24, v28
	v_cmp_ne_u32_e32 vcc, s25, v30
	v_bfrev_b32_e32 v2, 1
	s_and_saveexec_b64 s[36:37], vcc
	s_cbranch_execz .LBB405_125
; %bb.122:                              ;   in Loop: Header=BB405_10 Depth=1
	v_bfe_u32 v4, v28, 24, 7
	v_cmp_ne_u32_e32 vcc, s41, v4
	v_mov_b32_e32 v2, 0x7f800001
	s_and_saveexec_b64 s[38:39], vcc
	s_cbranch_execz .LBB405_124
; %bb.123:                              ;   in Loop: Header=BB405_10 Depth=1
	v_and_b32_e32 v2, 7, v30
	v_lshrrev_b32_e32 v6, 3, v4
	v_cmp_gt_u32_e32 vcc, 8, v4
	v_ffbh_u32_e32 v4, v2
	v_min_u32_e32 v7, 32, v4
	v_subrev_u32_e32 v4, 28, v7
	v_lshlrev_b64 v[4:5], v4, v[30:31]
	v_sub_u32_e32 v5, 29, v7
	v_and_b32_e32 v4, 7, v4
	v_cndmask_b32_e32 v5, v6, v5, vcc
	v_cndmask_b32_e32 v2, v2, v4, vcc
	v_lshlrev_b32_e32 v4, 24, v30
	v_lshlrev_b32_e32 v2, 20, v2
	v_and_b32_e32 v4, 0x80000000, v4
	v_lshl_add_u32 v5, v5, 23, v0
	v_or3_b32 v2, v4, v5, v2
.LBB405_124:                            ;   in Loop: Header=BB405_10 Depth=1
	s_or_b64 exec, exec, s[38:39]
.LBB405_125:                            ;   in Loop: Header=BB405_10 Depth=1
	s_or_b64 exec, exec, s[36:37]
.LBB405_126:                            ;   in Loop: Header=BB405_10 Depth=1
	s_or_b64 exec, exec, s[34:35]
	v_mul_f32_e32 v2, v62, v2
	v_and_b32_e32 v4, 0x7f800000, v2
	v_cmp_ne_u32_e32 vcc, s42, v4
                                        ; implicit-def: $vgpr4
                                        ; kill: killed $vgpr4
	s_and_saveexec_b64 s[34:35], vcc
	s_xor_b64 vcc, exec, s[34:35]
	s_cbranch_execz .LBB405_128
; %bb.127:                              ;   in Loop: Header=BB405_10 Depth=1
	v_bfe_u32 v4, v2, 16, 1
	v_add3_u32 v2, v2, v4, s43
	buffer_store_dword v2, off, s[0:3], s32 offset:224 ; 4-byte Folded Spill
                                        ; implicit-def: $vgpr2
.LBB405_128:                            ;   in Loop: Header=BB405_10 Depth=1
	s_andn2_saveexec_b64 s[34:35], vcc
	s_cbranch_execz .LBB405_130
; %bb.129:                              ;   in Loop: Header=BB405_10 Depth=1
	v_or_b32_e32 v4, 0x10000, v2
	v_cmp_eq_u32_sdwa vcc, v2, v1 src0_sel:WORD_0 src1_sel:DWORD
	v_cndmask_b32_e32 v2, v4, v2, vcc
	buffer_store_dword v2, off, s[0:3], s32 offset:224 ; 4-byte Folded Spill
.LBB405_130:                            ;   in Loop: Header=BB405_10 Depth=1
	s_or_b64 exec, exec, s[34:35]
	flat_load_dword v28, v[20:21] offset:520
	v_mov_b32_e32 v2, 0
	s_waitcnt vmcnt(0) lgkmcnt(0)
	v_cmp_ne_u16_sdwa vcc, v28, v1 src0_sel:BYTE_0 src1_sel:DWORD
	s_and_saveexec_b64 s[34:35], vcc
	s_cbranch_execz .LBB405_136
; %bb.131:                              ;   in Loop: Header=BB405_10 Depth=1
	v_cmp_ne_u16_sdwa vcc, v28, s25 src0_sel:BYTE_0 src1_sel:DWORD
	v_bfrev_b32_e32 v2, 1
	s_and_saveexec_b64 s[36:37], vcc
	s_cbranch_execz .LBB405_135
; %bb.132:                              ;   in Loop: Header=BB405_10 Depth=1
	v_and_b32_e32 v4, 0x7f, v28
	v_cmp_ne_u32_e32 vcc, s41, v4
	v_mov_b32_e32 v2, 0x7f800001
	s_and_saveexec_b64 s[38:39], vcc
	s_cbranch_execz .LBB405_134
; %bb.133:                              ;   in Loop: Header=BB405_10 Depth=1
	v_and_b32_e32 v2, 7, v28
	v_lshrrev_b32_e32 v6, 3, v4
	v_cmp_gt_u32_e32 vcc, 8, v4
	v_ffbh_u32_e32 v4, v2
	v_min_u32_e32 v7, 32, v4
	v_subrev_u32_e32 v4, 28, v7
	v_lshlrev_b64 v[4:5], v4, v[28:29]
	v_sub_u32_e32 v5, 29, v7
	v_and_b32_e32 v4, 7, v4
	v_cndmask_b32_e32 v5, v6, v5, vcc
	v_cndmask_b32_e32 v2, v2, v4, vcc
	v_lshlrev_b32_e32 v4, 24, v28
	v_lshlrev_b32_e32 v2, 20, v2
	v_and_b32_e32 v4, 0x80000000, v4
	v_lshl_add_u32 v5, v5, 23, v0
	v_or3_b32 v2, v4, v5, v2
.LBB405_134:                            ;   in Loop: Header=BB405_10 Depth=1
	s_or_b64 exec, exec, s[38:39]
.LBB405_135:                            ;   in Loop: Header=BB405_10 Depth=1
	s_or_b64 exec, exec, s[36:37]
.LBB405_136:                            ;   in Loop: Header=BB405_10 Depth=1
	s_or_b64 exec, exec, s[34:35]
	v_mul_f32_e32 v2, v62, v2
	v_and_b32_e32 v4, 0x7f800000, v2
	v_cmp_ne_u32_e32 vcc, s42, v4
                                        ; implicit-def: $vgpr4
                                        ; kill: killed $vgpr4
	s_and_saveexec_b64 s[34:35], vcc
	s_xor_b64 vcc, exec, s[34:35]
	s_cbranch_execz .LBB405_138
; %bb.137:                              ;   in Loop: Header=BB405_10 Depth=1
	v_bfe_u32 v4, v2, 16, 1
	v_add3_u32 v2, v2, v4, s43
	buffer_store_dword v2, off, s[0:3], s32 offset:228 ; 4-byte Folded Spill
                                        ; implicit-def: $vgpr2
.LBB405_138:                            ;   in Loop: Header=BB405_10 Depth=1
	s_andn2_saveexec_b64 s[34:35], vcc
	s_cbranch_execz .LBB405_140
; %bb.139:                              ;   in Loop: Header=BB405_10 Depth=1
	v_or_b32_e32 v4, 0x10000, v2
	v_cmp_eq_u32_sdwa vcc, v2, v1 src0_sel:WORD_0 src1_sel:DWORD
	v_cndmask_b32_e32 v2, v4, v2, vcc
	buffer_store_dword v2, off, s[0:3], s32 offset:228 ; 4-byte Folded Spill
.LBB405_140:                            ;   in Loop: Header=BB405_10 Depth=1
	s_or_b64 exec, exec, s[34:35]
	v_lshrrev_b16_e32 v30, 8, v28
	v_cmp_ne_u16_e32 vcc, 0, v30
	v_mov_b32_e32 v2, 0
	s_and_saveexec_b64 s[34:35], vcc
	s_cbranch_execz .LBB405_146
; %bb.141:                              ;   in Loop: Header=BB405_10 Depth=1
	v_cmp_ne_u16_e32 vcc, s25, v30
	v_bfrev_b32_e32 v2, 1
	s_and_saveexec_b64 s[36:37], vcc
	s_cbranch_execz .LBB405_145
; %bb.142:                              ;   in Loop: Header=BB405_10 Depth=1
	v_and_b32_e32 v4, 0x7f, v30
	v_cmp_ne_u32_e32 vcc, s41, v4
	v_mov_b32_e32 v2, 0x7f800001
	s_and_saveexec_b64 s[38:39], vcc
	s_cbranch_execz .LBB405_144
; %bb.143:                              ;   in Loop: Header=BB405_10 Depth=1
	v_and_b32_e32 v2, 7, v30
	v_lshrrev_b32_e32 v6, 3, v4
	v_cmp_gt_u32_e32 vcc, 8, v4
	v_ffbh_u32_e32 v4, v2
	v_min_u32_e32 v7, 32, v4
	v_subrev_u32_e32 v4, 28, v7
	v_lshlrev_b64 v[4:5], v4, v[30:31]
	v_sub_u32_e32 v5, 29, v7
	v_and_b32_e32 v4, 7, v4
	v_cndmask_b32_e32 v5, v6, v5, vcc
	v_cndmask_b32_e32 v2, v2, v4, vcc
	v_lshlrev_b32_e32 v4, 16, v28
	v_lshlrev_b32_e32 v2, 20, v2
	v_and_b32_e32 v4, 0x80000000, v4
	v_lshl_add_u32 v5, v5, 23, v0
	v_or3_b32 v2, v4, v5, v2
.LBB405_144:                            ;   in Loop: Header=BB405_10 Depth=1
	s_or_b64 exec, exec, s[38:39]
.LBB405_145:                            ;   in Loop: Header=BB405_10 Depth=1
	s_or_b64 exec, exec, s[36:37]
.LBB405_146:                            ;   in Loop: Header=BB405_10 Depth=1
	s_or_b64 exec, exec, s[34:35]
	v_mul_f32_e32 v2, v62, v2
	v_and_b32_e32 v4, 0x7f800000, v2
	v_cmp_ne_u32_e32 vcc, s42, v4
                                        ; implicit-def: $vgpr4
                                        ; kill: killed $vgpr4
	s_and_saveexec_b64 s[34:35], vcc
	s_xor_b64 vcc, exec, s[34:35]
	s_cbranch_execz .LBB405_148
; %bb.147:                              ;   in Loop: Header=BB405_10 Depth=1
	v_bfe_u32 v4, v2, 16, 1
	v_add3_u32 v2, v2, v4, s43
	buffer_store_dword v2, off, s[0:3], s32 offset:232 ; 4-byte Folded Spill
                                        ; implicit-def: $vgpr2
.LBB405_148:                            ;   in Loop: Header=BB405_10 Depth=1
	s_andn2_saveexec_b64 s[34:35], vcc
	s_cbranch_execz .LBB405_150
; %bb.149:                              ;   in Loop: Header=BB405_10 Depth=1
	v_or_b32_e32 v4, 0x10000, v2
	v_cmp_eq_u32_sdwa vcc, v2, v1 src0_sel:WORD_0 src1_sel:DWORD
	v_cndmask_b32_e32 v2, v4, v2, vcc
	buffer_store_dword v2, off, s[0:3], s32 offset:232 ; 4-byte Folded Spill
.LBB405_150:                            ;   in Loop: Header=BB405_10 Depth=1
	s_or_b64 exec, exec, s[34:35]
	v_lshrrev_b32_e32 v30, 16, v28
	v_cmp_ne_u16_sdwa vcc, v30, v1 src0_sel:BYTE_0 src1_sel:DWORD
	v_mov_b32_e32 v2, 0
	s_and_saveexec_b64 s[34:35], vcc
	s_cbranch_execz .LBB405_156
; %bb.151:                              ;   in Loop: Header=BB405_10 Depth=1
	v_cmp_ne_u16_sdwa vcc, v30, s25 src0_sel:BYTE_0 src1_sel:DWORD
	v_bfrev_b32_e32 v2, 1
	s_and_saveexec_b64 s[36:37], vcc
	s_cbranch_execz .LBB405_155
; %bb.152:                              ;   in Loop: Header=BB405_10 Depth=1
	v_bfe_u32 v4, v28, 16, 7
	v_cmp_ne_u32_e32 vcc, s41, v4
	v_mov_b32_e32 v2, 0x7f800001
	s_and_saveexec_b64 s[38:39], vcc
	s_cbranch_execz .LBB405_154
; %bb.153:                              ;   in Loop: Header=BB405_10 Depth=1
	v_and_b32_e32 v2, 7, v30
	v_lshrrev_b32_e32 v6, 3, v4
	v_cmp_gt_u32_e32 vcc, 8, v4
	v_ffbh_u32_e32 v4, v2
	v_min_u32_e32 v7, 32, v4
	v_subrev_u32_e32 v4, 28, v7
	v_lshlrev_b64 v[4:5], v4, v[30:31]
	v_sub_u32_e32 v5, 29, v7
	v_and_b32_e32 v4, 7, v4
	v_cndmask_b32_e32 v5, v6, v5, vcc
	v_cndmask_b32_e32 v2, v2, v4, vcc
	v_lshlrev_b32_e32 v4, 24, v30
	v_lshlrev_b32_e32 v2, 20, v2
	v_and_b32_e32 v4, 0x80000000, v4
	v_lshl_add_u32 v5, v5, 23, v0
	v_or3_b32 v2, v4, v5, v2
.LBB405_154:                            ;   in Loop: Header=BB405_10 Depth=1
	s_or_b64 exec, exec, s[38:39]
.LBB405_155:                            ;   in Loop: Header=BB405_10 Depth=1
	s_or_b64 exec, exec, s[36:37]
.LBB405_156:                            ;   in Loop: Header=BB405_10 Depth=1
	s_or_b64 exec, exec, s[34:35]
	v_mul_f32_e32 v2, v62, v2
	v_and_b32_e32 v4, 0x7f800000, v2
	v_cmp_ne_u32_e32 vcc, s42, v4
                                        ; implicit-def: $vgpr4
                                        ; kill: killed $vgpr4
	s_and_saveexec_b64 s[34:35], vcc
	s_xor_b64 vcc, exec, s[34:35]
	s_cbranch_execz .LBB405_158
; %bb.157:                              ;   in Loop: Header=BB405_10 Depth=1
	v_bfe_u32 v4, v2, 16, 1
	v_add3_u32 v2, v2, v4, s43
	buffer_store_dword v2, off, s[0:3], s32 offset:236 ; 4-byte Folded Spill
                                        ; implicit-def: $vgpr2
.LBB405_158:                            ;   in Loop: Header=BB405_10 Depth=1
	s_andn2_saveexec_b64 s[34:35], vcc
	s_cbranch_execz .LBB405_160
; %bb.159:                              ;   in Loop: Header=BB405_10 Depth=1
	v_or_b32_e32 v4, 0x10000, v2
	v_cmp_eq_u32_sdwa vcc, v2, v1 src0_sel:WORD_0 src1_sel:DWORD
	v_cndmask_b32_e32 v2, v4, v2, vcc
	buffer_store_dword v2, off, s[0:3], s32 offset:236 ; 4-byte Folded Spill
.LBB405_160:                            ;   in Loop: Header=BB405_10 Depth=1
	s_or_b64 exec, exec, s[34:35]
	v_cmp_lt_u32_e32 vcc, s44, v28
	v_mov_b32_e32 v2, 0
	s_and_saveexec_b64 s[34:35], vcc
	s_cbranch_execz .LBB405_166
; %bb.161:                              ;   in Loop: Header=BB405_10 Depth=1
	v_lshrrev_b32_e32 v30, 24, v28
	v_cmp_ne_u32_e32 vcc, s25, v30
	v_bfrev_b32_e32 v2, 1
	s_and_saveexec_b64 s[36:37], vcc
	s_cbranch_execz .LBB405_165
; %bb.162:                              ;   in Loop: Header=BB405_10 Depth=1
	v_bfe_u32 v4, v28, 24, 7
	v_cmp_ne_u32_e32 vcc, s41, v4
	v_mov_b32_e32 v2, 0x7f800001
	s_and_saveexec_b64 s[38:39], vcc
	s_cbranch_execz .LBB405_164
; %bb.163:                              ;   in Loop: Header=BB405_10 Depth=1
	v_and_b32_e32 v2, 7, v30
	v_lshrrev_b32_e32 v6, 3, v4
	v_cmp_gt_u32_e32 vcc, 8, v4
	v_ffbh_u32_e32 v4, v2
	v_min_u32_e32 v7, 32, v4
	v_subrev_u32_e32 v4, 28, v7
	v_lshlrev_b64 v[4:5], v4, v[30:31]
	v_sub_u32_e32 v5, 29, v7
	v_and_b32_e32 v4, 7, v4
	v_cndmask_b32_e32 v5, v6, v5, vcc
	v_cndmask_b32_e32 v2, v2, v4, vcc
	v_lshlrev_b32_e32 v4, 24, v30
	v_lshlrev_b32_e32 v2, 20, v2
	v_and_b32_e32 v4, 0x80000000, v4
	v_lshl_add_u32 v5, v5, 23, v0
	v_or3_b32 v2, v4, v5, v2
.LBB405_164:                            ;   in Loop: Header=BB405_10 Depth=1
	s_or_b64 exec, exec, s[38:39]
.LBB405_165:                            ;   in Loop: Header=BB405_10 Depth=1
	s_or_b64 exec, exec, s[36:37]
.LBB405_166:                            ;   in Loop: Header=BB405_10 Depth=1
	s_or_b64 exec, exec, s[34:35]
	v_mul_f32_e32 v2, v62, v2
	v_and_b32_e32 v4, 0x7f800000, v2
	v_cmp_ne_u32_e32 vcc, s42, v4
                                        ; implicit-def: $vgpr4
                                        ; kill: killed $vgpr4
	s_and_saveexec_b64 s[34:35], vcc
	s_xor_b64 vcc, exec, s[34:35]
	s_cbranch_execz .LBB405_168
; %bb.167:                              ;   in Loop: Header=BB405_10 Depth=1
	v_bfe_u32 v4, v2, 16, 1
	v_add3_u32 v2, v2, v4, s43
	buffer_store_dword v2, off, s[0:3], s32 offset:240 ; 4-byte Folded Spill
                                        ; implicit-def: $vgpr2
.LBB405_168:                            ;   in Loop: Header=BB405_10 Depth=1
	s_andn2_saveexec_b64 s[34:35], vcc
	s_cbranch_execz .LBB405_170
; %bb.169:                              ;   in Loop: Header=BB405_10 Depth=1
	v_or_b32_e32 v4, 0x10000, v2
	v_cmp_eq_u32_sdwa vcc, v2, v1 src0_sel:WORD_0 src1_sel:DWORD
	v_cndmask_b32_e32 v2, v4, v2, vcc
	buffer_store_dword v2, off, s[0:3], s32 offset:240 ; 4-byte Folded Spill
.LBB405_170:                            ;   in Loop: Header=BB405_10 Depth=1
	s_or_b64 exec, exec, s[34:35]
	flat_load_dword v28, v[20:21] offset:1024
	v_mov_b32_e32 v2, 0
	s_waitcnt vmcnt(0) lgkmcnt(0)
	v_cmp_ne_u16_sdwa vcc, v28, v1 src0_sel:BYTE_0 src1_sel:DWORD
	s_and_saveexec_b64 s[34:35], vcc
	s_cbranch_execz .LBB405_176
; %bb.171:                              ;   in Loop: Header=BB405_10 Depth=1
	v_cmp_ne_u16_sdwa vcc, v28, s25 src0_sel:BYTE_0 src1_sel:DWORD
	v_bfrev_b32_e32 v2, 1
	s_and_saveexec_b64 s[36:37], vcc
	s_cbranch_execz .LBB405_175
; %bb.172:                              ;   in Loop: Header=BB405_10 Depth=1
	v_and_b32_e32 v4, 0x7f, v28
	v_cmp_ne_u32_e32 vcc, s41, v4
	v_mov_b32_e32 v2, 0x7f800001
	s_and_saveexec_b64 s[38:39], vcc
	s_cbranch_execz .LBB405_174
; %bb.173:                              ;   in Loop: Header=BB405_10 Depth=1
	v_and_b32_e32 v2, 7, v28
	v_lshrrev_b32_e32 v6, 3, v4
	v_cmp_gt_u32_e32 vcc, 8, v4
	v_ffbh_u32_e32 v4, v2
	v_min_u32_e32 v7, 32, v4
	v_subrev_u32_e32 v4, 28, v7
	v_lshlrev_b64 v[4:5], v4, v[28:29]
	v_sub_u32_e32 v5, 29, v7
	v_and_b32_e32 v4, 7, v4
	v_cndmask_b32_e32 v5, v6, v5, vcc
	v_cndmask_b32_e32 v2, v2, v4, vcc
	v_lshlrev_b32_e32 v4, 24, v28
	v_lshlrev_b32_e32 v2, 20, v2
	v_and_b32_e32 v4, 0x80000000, v4
	v_lshl_add_u32 v5, v5, 23, v0
	v_or3_b32 v2, v4, v5, v2
.LBB405_174:                            ;   in Loop: Header=BB405_10 Depth=1
	s_or_b64 exec, exec, s[38:39]
.LBB405_175:                            ;   in Loop: Header=BB405_10 Depth=1
	s_or_b64 exec, exec, s[36:37]
.LBB405_176:                            ;   in Loop: Header=BB405_10 Depth=1
	s_or_b64 exec, exec, s[34:35]
	v_mul_f32_e32 v2, v62, v2
	v_and_b32_e32 v4, 0x7f800000, v2
	v_cmp_ne_u32_e32 vcc, s42, v4
                                        ; implicit-def: $vgpr4
                                        ; kill: killed $vgpr4
	s_and_saveexec_b64 s[34:35], vcc
	s_xor_b64 vcc, exec, s[34:35]
	s_cbranch_execz .LBB405_178
; %bb.177:                              ;   in Loop: Header=BB405_10 Depth=1
	v_bfe_u32 v4, v2, 16, 1
	v_add3_u32 v2, v2, v4, s43
	buffer_store_dword v2, off, s[0:3], s32 offset:244 ; 4-byte Folded Spill
                                        ; implicit-def: $vgpr2
.LBB405_178:                            ;   in Loop: Header=BB405_10 Depth=1
	s_andn2_saveexec_b64 s[34:35], vcc
	s_cbranch_execz .LBB405_180
; %bb.179:                              ;   in Loop: Header=BB405_10 Depth=1
	v_or_b32_e32 v4, 0x10000, v2
	v_cmp_eq_u32_sdwa vcc, v2, v1 src0_sel:WORD_0 src1_sel:DWORD
	v_cndmask_b32_e32 v2, v4, v2, vcc
	buffer_store_dword v2, off, s[0:3], s32 offset:244 ; 4-byte Folded Spill
.LBB405_180:                            ;   in Loop: Header=BB405_10 Depth=1
	s_or_b64 exec, exec, s[34:35]
	v_lshrrev_b16_e32 v30, 8, v28
	v_cmp_ne_u16_e32 vcc, 0, v30
	v_mov_b32_e32 v2, 0
	s_and_saveexec_b64 s[34:35], vcc
	s_cbranch_execz .LBB405_186
; %bb.181:                              ;   in Loop: Header=BB405_10 Depth=1
	v_cmp_ne_u16_e32 vcc, s25, v30
	v_bfrev_b32_e32 v2, 1
	s_and_saveexec_b64 s[36:37], vcc
	s_cbranch_execz .LBB405_185
; %bb.182:                              ;   in Loop: Header=BB405_10 Depth=1
	v_and_b32_e32 v4, 0x7f, v30
	v_cmp_ne_u32_e32 vcc, s41, v4
	v_mov_b32_e32 v2, 0x7f800001
	s_and_saveexec_b64 s[38:39], vcc
	s_cbranch_execz .LBB405_184
; %bb.183:                              ;   in Loop: Header=BB405_10 Depth=1
	v_and_b32_e32 v2, 7, v30
	v_lshrrev_b32_e32 v6, 3, v4
	v_cmp_gt_u32_e32 vcc, 8, v4
	v_ffbh_u32_e32 v4, v2
	v_min_u32_e32 v7, 32, v4
	v_subrev_u32_e32 v4, 28, v7
	v_lshlrev_b64 v[4:5], v4, v[30:31]
	v_sub_u32_e32 v5, 29, v7
	v_and_b32_e32 v4, 7, v4
	v_cndmask_b32_e32 v5, v6, v5, vcc
	v_cndmask_b32_e32 v2, v2, v4, vcc
	v_lshlrev_b32_e32 v4, 16, v28
	v_lshlrev_b32_e32 v2, 20, v2
	v_and_b32_e32 v4, 0x80000000, v4
	v_lshl_add_u32 v5, v5, 23, v0
	v_or3_b32 v2, v4, v5, v2
.LBB405_184:                            ;   in Loop: Header=BB405_10 Depth=1
	s_or_b64 exec, exec, s[38:39]
.LBB405_185:                            ;   in Loop: Header=BB405_10 Depth=1
	s_or_b64 exec, exec, s[36:37]
.LBB405_186:                            ;   in Loop: Header=BB405_10 Depth=1
	s_or_b64 exec, exec, s[34:35]
	v_mul_f32_e32 v2, v62, v2
	v_and_b32_e32 v4, 0x7f800000, v2
	v_cmp_ne_u32_e32 vcc, s42, v4
                                        ; implicit-def: $vgpr4
                                        ; kill: killed $vgpr4
	s_and_saveexec_b64 s[34:35], vcc
	s_xor_b64 vcc, exec, s[34:35]
	s_cbranch_execz .LBB405_188
; %bb.187:                              ;   in Loop: Header=BB405_10 Depth=1
	v_bfe_u32 v4, v2, 16, 1
	v_add3_u32 v2, v2, v4, s43
	buffer_store_dword v2, off, s[0:3], s32 offset:248 ; 4-byte Folded Spill
                                        ; implicit-def: $vgpr2
.LBB405_188:                            ;   in Loop: Header=BB405_10 Depth=1
	s_andn2_saveexec_b64 s[34:35], vcc
	s_cbranch_execz .LBB405_190
; %bb.189:                              ;   in Loop: Header=BB405_10 Depth=1
	v_or_b32_e32 v4, 0x10000, v2
	v_cmp_eq_u32_sdwa vcc, v2, v1 src0_sel:WORD_0 src1_sel:DWORD
	v_cndmask_b32_e32 v2, v4, v2, vcc
	buffer_store_dword v2, off, s[0:3], s32 offset:248 ; 4-byte Folded Spill
.LBB405_190:                            ;   in Loop: Header=BB405_10 Depth=1
	s_or_b64 exec, exec, s[34:35]
	v_lshrrev_b32_e32 v30, 16, v28
	v_cmp_ne_u16_sdwa vcc, v30, v1 src0_sel:BYTE_0 src1_sel:DWORD
	v_mov_b32_e32 v2, 0
	s_and_saveexec_b64 s[34:35], vcc
	s_cbranch_execz .LBB405_196
; %bb.191:                              ;   in Loop: Header=BB405_10 Depth=1
	v_cmp_ne_u16_sdwa vcc, v30, s25 src0_sel:BYTE_0 src1_sel:DWORD
	v_bfrev_b32_e32 v2, 1
	s_and_saveexec_b64 s[36:37], vcc
	s_cbranch_execz .LBB405_195
; %bb.192:                              ;   in Loop: Header=BB405_10 Depth=1
	v_bfe_u32 v4, v28, 16, 7
	v_cmp_ne_u32_e32 vcc, s41, v4
	v_mov_b32_e32 v2, 0x7f800001
	s_and_saveexec_b64 s[38:39], vcc
	s_cbranch_execz .LBB405_194
; %bb.193:                              ;   in Loop: Header=BB405_10 Depth=1
	v_and_b32_e32 v2, 7, v30
	v_lshrrev_b32_e32 v6, 3, v4
	v_cmp_gt_u32_e32 vcc, 8, v4
	v_ffbh_u32_e32 v4, v2
	v_min_u32_e32 v7, 32, v4
	v_subrev_u32_e32 v4, 28, v7
	v_lshlrev_b64 v[4:5], v4, v[30:31]
	v_sub_u32_e32 v5, 29, v7
	v_and_b32_e32 v4, 7, v4
	v_cndmask_b32_e32 v5, v6, v5, vcc
	v_cndmask_b32_e32 v2, v2, v4, vcc
	v_lshlrev_b32_e32 v4, 24, v30
	v_lshlrev_b32_e32 v2, 20, v2
	v_and_b32_e32 v4, 0x80000000, v4
	v_lshl_add_u32 v5, v5, 23, v0
	v_or3_b32 v2, v4, v5, v2
.LBB405_194:                            ;   in Loop: Header=BB405_10 Depth=1
	s_or_b64 exec, exec, s[38:39]
.LBB405_195:                            ;   in Loop: Header=BB405_10 Depth=1
	s_or_b64 exec, exec, s[36:37]
.LBB405_196:                            ;   in Loop: Header=BB405_10 Depth=1
	s_or_b64 exec, exec, s[34:35]
	v_mul_f32_e32 v2, v62, v2
	v_and_b32_e32 v4, 0x7f800000, v2
	v_cmp_ne_u32_e32 vcc, s42, v4
                                        ; implicit-def: $vgpr4
                                        ; kill: killed $vgpr4
	s_and_saveexec_b64 s[34:35], vcc
	s_xor_b64 vcc, exec, s[34:35]
	s_cbranch_execz .LBB405_198
; %bb.197:                              ;   in Loop: Header=BB405_10 Depth=1
	v_bfe_u32 v4, v2, 16, 1
	v_add3_u32 v2, v2, v4, s43
	buffer_store_dword v2, off, s[0:3], s32 offset:252 ; 4-byte Folded Spill
                                        ; implicit-def: $vgpr2
.LBB405_198:                            ;   in Loop: Header=BB405_10 Depth=1
	s_andn2_saveexec_b64 s[34:35], vcc
	s_cbranch_execz .LBB405_200
; %bb.199:                              ;   in Loop: Header=BB405_10 Depth=1
	v_or_b32_e32 v4, 0x10000, v2
	v_cmp_eq_u32_sdwa vcc, v2, v1 src0_sel:WORD_0 src1_sel:DWORD
	v_cndmask_b32_e32 v2, v4, v2, vcc
	buffer_store_dword v2, off, s[0:3], s32 offset:252 ; 4-byte Folded Spill
.LBB405_200:                            ;   in Loop: Header=BB405_10 Depth=1
	s_or_b64 exec, exec, s[34:35]
	v_cmp_lt_u32_e32 vcc, s44, v28
	v_mov_b32_e32 v2, 0
	s_and_saveexec_b64 s[34:35], vcc
	s_cbranch_execz .LBB405_206
; %bb.201:                              ;   in Loop: Header=BB405_10 Depth=1
	v_lshrrev_b32_e32 v30, 24, v28
	v_cmp_ne_u32_e32 vcc, s25, v30
	v_bfrev_b32_e32 v2, 1
	s_and_saveexec_b64 s[36:37], vcc
	s_cbranch_execz .LBB405_205
; %bb.202:                              ;   in Loop: Header=BB405_10 Depth=1
	v_bfe_u32 v4, v28, 24, 7
	v_cmp_ne_u32_e32 vcc, s41, v4
	v_mov_b32_e32 v2, 0x7f800001
	s_and_saveexec_b64 s[38:39], vcc
	s_cbranch_execz .LBB405_204
; %bb.203:                              ;   in Loop: Header=BB405_10 Depth=1
	v_and_b32_e32 v2, 7, v30
	v_lshrrev_b32_e32 v6, 3, v4
	v_cmp_gt_u32_e32 vcc, 8, v4
	v_ffbh_u32_e32 v4, v2
	v_min_u32_e32 v7, 32, v4
	v_subrev_u32_e32 v4, 28, v7
	v_lshlrev_b64 v[4:5], v4, v[30:31]
	v_sub_u32_e32 v5, 29, v7
	v_and_b32_e32 v4, 7, v4
	v_cndmask_b32_e32 v5, v6, v5, vcc
	v_cndmask_b32_e32 v2, v2, v4, vcc
	v_lshlrev_b32_e32 v4, 24, v30
	v_lshlrev_b32_e32 v2, 20, v2
	v_and_b32_e32 v4, 0x80000000, v4
	v_lshl_add_u32 v5, v5, 23, v0
	v_or3_b32 v2, v4, v5, v2
.LBB405_204:                            ;   in Loop: Header=BB405_10 Depth=1
	s_or_b64 exec, exec, s[38:39]
.LBB405_205:                            ;   in Loop: Header=BB405_10 Depth=1
	s_or_b64 exec, exec, s[36:37]
.LBB405_206:                            ;   in Loop: Header=BB405_10 Depth=1
	s_or_b64 exec, exec, s[34:35]
	v_mul_f32_e32 v2, v62, v2
	v_and_b32_e32 v4, 0x7f800000, v2
	v_cmp_ne_u32_e32 vcc, s42, v4
                                        ; implicit-def: $vgpr4
                                        ; kill: killed $vgpr4
	s_and_saveexec_b64 s[34:35], vcc
	s_xor_b64 vcc, exec, s[34:35]
	s_cbranch_execz .LBB405_208
; %bb.207:                              ;   in Loop: Header=BB405_10 Depth=1
	v_bfe_u32 v4, v2, 16, 1
	v_add3_u32 v2, v2, v4, s43
	buffer_store_dword v2, off, s[0:3], s32 offset:256 ; 4-byte Folded Spill
                                        ; implicit-def: $vgpr2
.LBB405_208:                            ;   in Loop: Header=BB405_10 Depth=1
	s_andn2_saveexec_b64 s[34:35], vcc
	s_cbranch_execz .LBB405_210
; %bb.209:                              ;   in Loop: Header=BB405_10 Depth=1
	v_or_b32_e32 v4, 0x10000, v2
	v_cmp_eq_u32_sdwa vcc, v2, v1 src0_sel:WORD_0 src1_sel:DWORD
	v_cndmask_b32_e32 v2, v4, v2, vcc
	buffer_store_dword v2, off, s[0:3], s32 offset:256 ; 4-byte Folded Spill
.LBB405_210:                            ;   in Loop: Header=BB405_10 Depth=1
	s_or_b64 exec, exec, s[34:35]
	flat_load_dword v28, v[20:21] offset:1032
	v_mov_b32_e32 v2, 0
	s_waitcnt vmcnt(0) lgkmcnt(0)
	v_cmp_ne_u16_sdwa vcc, v28, v1 src0_sel:BYTE_0 src1_sel:DWORD
	s_and_saveexec_b64 s[34:35], vcc
	s_cbranch_execz .LBB405_216
; %bb.211:                              ;   in Loop: Header=BB405_10 Depth=1
	v_cmp_ne_u16_sdwa vcc, v28, s25 src0_sel:BYTE_0 src1_sel:DWORD
	v_bfrev_b32_e32 v2, 1
	s_and_saveexec_b64 s[36:37], vcc
	s_cbranch_execz .LBB405_215
; %bb.212:                              ;   in Loop: Header=BB405_10 Depth=1
	v_and_b32_e32 v4, 0x7f, v28
	v_cmp_ne_u32_e32 vcc, s41, v4
	v_mov_b32_e32 v2, 0x7f800001
	s_and_saveexec_b64 s[38:39], vcc
	s_cbranch_execz .LBB405_214
; %bb.213:                              ;   in Loop: Header=BB405_10 Depth=1
	v_and_b32_e32 v2, 7, v28
	v_lshrrev_b32_e32 v6, 3, v4
	v_cmp_gt_u32_e32 vcc, 8, v4
	v_ffbh_u32_e32 v4, v2
	v_min_u32_e32 v7, 32, v4
	v_subrev_u32_e32 v4, 28, v7
	v_lshlrev_b64 v[4:5], v4, v[28:29]
	v_sub_u32_e32 v5, 29, v7
	v_and_b32_e32 v4, 7, v4
	v_cndmask_b32_e32 v5, v6, v5, vcc
	v_cndmask_b32_e32 v2, v2, v4, vcc
	v_lshlrev_b32_e32 v4, 24, v28
	v_lshlrev_b32_e32 v2, 20, v2
	v_and_b32_e32 v4, 0x80000000, v4
	v_lshl_add_u32 v5, v5, 23, v0
	v_or3_b32 v2, v4, v5, v2
.LBB405_214:                            ;   in Loop: Header=BB405_10 Depth=1
	s_or_b64 exec, exec, s[38:39]
.LBB405_215:                            ;   in Loop: Header=BB405_10 Depth=1
	s_or_b64 exec, exec, s[36:37]
.LBB405_216:                            ;   in Loop: Header=BB405_10 Depth=1
	s_or_b64 exec, exec, s[34:35]
	v_mul_f32_e32 v2, v62, v2
	v_and_b32_e32 v4, 0x7f800000, v2
	v_cmp_ne_u32_e32 vcc, s42, v4
                                        ; implicit-def: $vgpr4
                                        ; kill: killed $vgpr4
	s_and_saveexec_b64 s[34:35], vcc
	s_xor_b64 vcc, exec, s[34:35]
	s_cbranch_execz .LBB405_218
; %bb.217:                              ;   in Loop: Header=BB405_10 Depth=1
	v_bfe_u32 v4, v2, 16, 1
	v_add3_u32 v2, v2, v4, s43
	buffer_store_dword v2, off, s[0:3], s32 offset:260 ; 4-byte Folded Spill
                                        ; implicit-def: $vgpr2
.LBB405_218:                            ;   in Loop: Header=BB405_10 Depth=1
	s_andn2_saveexec_b64 s[34:35], vcc
	s_cbranch_execz .LBB405_220
; %bb.219:                              ;   in Loop: Header=BB405_10 Depth=1
	v_or_b32_e32 v4, 0x10000, v2
	v_cmp_eq_u32_sdwa vcc, v2, v1 src0_sel:WORD_0 src1_sel:DWORD
	v_cndmask_b32_e32 v2, v4, v2, vcc
	buffer_store_dword v2, off, s[0:3], s32 offset:260 ; 4-byte Folded Spill
.LBB405_220:                            ;   in Loop: Header=BB405_10 Depth=1
	s_or_b64 exec, exec, s[34:35]
	v_lshrrev_b16_e32 v30, 8, v28
	v_cmp_ne_u16_e32 vcc, 0, v30
	v_mov_b32_e32 v2, 0
	s_and_saveexec_b64 s[34:35], vcc
	s_cbranch_execz .LBB405_226
; %bb.221:                              ;   in Loop: Header=BB405_10 Depth=1
	v_cmp_ne_u16_e32 vcc, s25, v30
	v_bfrev_b32_e32 v2, 1
	s_and_saveexec_b64 s[36:37], vcc
	s_cbranch_execz .LBB405_225
; %bb.222:                              ;   in Loop: Header=BB405_10 Depth=1
	v_and_b32_e32 v4, 0x7f, v30
	v_cmp_ne_u32_e32 vcc, s41, v4
	v_mov_b32_e32 v2, 0x7f800001
	s_and_saveexec_b64 s[38:39], vcc
	s_cbranch_execz .LBB405_224
; %bb.223:                              ;   in Loop: Header=BB405_10 Depth=1
	v_and_b32_e32 v2, 7, v30
	v_lshrrev_b32_e32 v6, 3, v4
	v_cmp_gt_u32_e32 vcc, 8, v4
	v_ffbh_u32_e32 v4, v2
	v_min_u32_e32 v7, 32, v4
	v_subrev_u32_e32 v4, 28, v7
	v_lshlrev_b64 v[4:5], v4, v[30:31]
	v_sub_u32_e32 v5, 29, v7
	v_and_b32_e32 v4, 7, v4
	v_cndmask_b32_e32 v5, v6, v5, vcc
	v_cndmask_b32_e32 v2, v2, v4, vcc
	v_lshlrev_b32_e32 v4, 16, v28
	v_lshlrev_b32_e32 v2, 20, v2
	v_and_b32_e32 v4, 0x80000000, v4
	v_lshl_add_u32 v5, v5, 23, v0
	v_or3_b32 v2, v4, v5, v2
.LBB405_224:                            ;   in Loop: Header=BB405_10 Depth=1
	s_or_b64 exec, exec, s[38:39]
.LBB405_225:                            ;   in Loop: Header=BB405_10 Depth=1
	s_or_b64 exec, exec, s[36:37]
.LBB405_226:                            ;   in Loop: Header=BB405_10 Depth=1
	s_or_b64 exec, exec, s[34:35]
	v_mul_f32_e32 v2, v62, v2
	v_and_b32_e32 v4, 0x7f800000, v2
	v_cmp_ne_u32_e32 vcc, s42, v4
                                        ; implicit-def: $vgpr4
                                        ; kill: killed $vgpr4
	s_and_saveexec_b64 s[34:35], vcc
	s_xor_b64 vcc, exec, s[34:35]
	s_cbranch_execz .LBB405_228
; %bb.227:                              ;   in Loop: Header=BB405_10 Depth=1
	v_bfe_u32 v4, v2, 16, 1
	v_add3_u32 v2, v2, v4, s43
	buffer_store_dword v2, off, s[0:3], s32 offset:264 ; 4-byte Folded Spill
                                        ; implicit-def: $vgpr2
.LBB405_228:                            ;   in Loop: Header=BB405_10 Depth=1
	s_andn2_saveexec_b64 s[34:35], vcc
	s_cbranch_execz .LBB405_230
; %bb.229:                              ;   in Loop: Header=BB405_10 Depth=1
	v_or_b32_e32 v4, 0x10000, v2
	v_cmp_eq_u32_sdwa vcc, v2, v1 src0_sel:WORD_0 src1_sel:DWORD
	v_cndmask_b32_e32 v2, v4, v2, vcc
	buffer_store_dword v2, off, s[0:3], s32 offset:264 ; 4-byte Folded Spill
.LBB405_230:                            ;   in Loop: Header=BB405_10 Depth=1
	s_or_b64 exec, exec, s[34:35]
	v_lshrrev_b32_e32 v30, 16, v28
	v_cmp_ne_u16_sdwa vcc, v30, v1 src0_sel:BYTE_0 src1_sel:DWORD
	v_mov_b32_e32 v2, 0
	s_and_saveexec_b64 s[34:35], vcc
	s_cbranch_execz .LBB405_236
; %bb.231:                              ;   in Loop: Header=BB405_10 Depth=1
	v_cmp_ne_u16_sdwa vcc, v30, s25 src0_sel:BYTE_0 src1_sel:DWORD
	v_bfrev_b32_e32 v2, 1
	s_and_saveexec_b64 s[36:37], vcc
	s_cbranch_execz .LBB405_235
; %bb.232:                              ;   in Loop: Header=BB405_10 Depth=1
	v_bfe_u32 v4, v28, 16, 7
	v_cmp_ne_u32_e32 vcc, s41, v4
	v_mov_b32_e32 v2, 0x7f800001
	s_and_saveexec_b64 s[38:39], vcc
	s_cbranch_execz .LBB405_234
; %bb.233:                              ;   in Loop: Header=BB405_10 Depth=1
	v_and_b32_e32 v2, 7, v30
	v_lshrrev_b32_e32 v6, 3, v4
	v_cmp_gt_u32_e32 vcc, 8, v4
	v_ffbh_u32_e32 v4, v2
	v_min_u32_e32 v7, 32, v4
	v_subrev_u32_e32 v4, 28, v7
	v_lshlrev_b64 v[4:5], v4, v[30:31]
	v_sub_u32_e32 v5, 29, v7
	v_and_b32_e32 v4, 7, v4
	v_cndmask_b32_e32 v5, v6, v5, vcc
	v_cndmask_b32_e32 v2, v2, v4, vcc
	v_lshlrev_b32_e32 v4, 24, v30
	v_lshlrev_b32_e32 v2, 20, v2
	v_and_b32_e32 v4, 0x80000000, v4
	v_lshl_add_u32 v5, v5, 23, v0
	v_or3_b32 v2, v4, v5, v2
.LBB405_234:                            ;   in Loop: Header=BB405_10 Depth=1
	s_or_b64 exec, exec, s[38:39]
.LBB405_235:                            ;   in Loop: Header=BB405_10 Depth=1
	s_or_b64 exec, exec, s[36:37]
.LBB405_236:                            ;   in Loop: Header=BB405_10 Depth=1
	s_or_b64 exec, exec, s[34:35]
	v_mul_f32_e32 v2, v62, v2
	v_and_b32_e32 v4, 0x7f800000, v2
	v_cmp_ne_u32_e32 vcc, s42, v4
                                        ; implicit-def: $vgpr4
                                        ; kill: killed $vgpr4
	s_and_saveexec_b64 s[34:35], vcc
	s_xor_b64 vcc, exec, s[34:35]
	s_cbranch_execz .LBB405_238
; %bb.237:                              ;   in Loop: Header=BB405_10 Depth=1
	v_bfe_u32 v4, v2, 16, 1
	v_add3_u32 v2, v2, v4, s43
	buffer_store_dword v2, off, s[0:3], s32 offset:268 ; 4-byte Folded Spill
                                        ; implicit-def: $vgpr2
.LBB405_238:                            ;   in Loop: Header=BB405_10 Depth=1
	s_andn2_saveexec_b64 s[34:35], vcc
	s_cbranch_execz .LBB405_240
; %bb.239:                              ;   in Loop: Header=BB405_10 Depth=1
	v_or_b32_e32 v4, 0x10000, v2
	v_cmp_eq_u32_sdwa vcc, v2, v1 src0_sel:WORD_0 src1_sel:DWORD
	v_cndmask_b32_e32 v2, v4, v2, vcc
	buffer_store_dword v2, off, s[0:3], s32 offset:268 ; 4-byte Folded Spill
.LBB405_240:                            ;   in Loop: Header=BB405_10 Depth=1
	s_or_b64 exec, exec, s[34:35]
	v_cmp_lt_u32_e32 vcc, s44, v28
	v_mov_b32_e32 v2, 0
	s_and_saveexec_b64 s[34:35], vcc
	s_cbranch_execz .LBB405_246
; %bb.241:                              ;   in Loop: Header=BB405_10 Depth=1
	v_lshrrev_b32_e32 v30, 24, v28
	v_cmp_ne_u32_e32 vcc, s25, v30
	v_bfrev_b32_e32 v2, 1
	s_and_saveexec_b64 s[36:37], vcc
	s_cbranch_execz .LBB405_245
; %bb.242:                              ;   in Loop: Header=BB405_10 Depth=1
	v_bfe_u32 v4, v28, 24, 7
	v_cmp_ne_u32_e32 vcc, s41, v4
	v_mov_b32_e32 v2, 0x7f800001
	s_and_saveexec_b64 s[38:39], vcc
	s_cbranch_execz .LBB405_244
; %bb.243:                              ;   in Loop: Header=BB405_10 Depth=1
	v_and_b32_e32 v2, 7, v30
	v_lshrrev_b32_e32 v6, 3, v4
	v_cmp_gt_u32_e32 vcc, 8, v4
	v_ffbh_u32_e32 v4, v2
	v_min_u32_e32 v7, 32, v4
	v_subrev_u32_e32 v4, 28, v7
	v_lshlrev_b64 v[4:5], v4, v[30:31]
	v_sub_u32_e32 v5, 29, v7
	v_and_b32_e32 v4, 7, v4
	v_cndmask_b32_e32 v5, v6, v5, vcc
	v_cndmask_b32_e32 v2, v2, v4, vcc
	v_lshlrev_b32_e32 v4, 24, v30
	v_lshlrev_b32_e32 v2, 20, v2
	v_and_b32_e32 v4, 0x80000000, v4
	v_lshl_add_u32 v5, v5, 23, v0
	v_or3_b32 v2, v4, v5, v2
.LBB405_244:                            ;   in Loop: Header=BB405_10 Depth=1
	s_or_b64 exec, exec, s[38:39]
.LBB405_245:                            ;   in Loop: Header=BB405_10 Depth=1
	s_or_b64 exec, exec, s[36:37]
.LBB405_246:                            ;   in Loop: Header=BB405_10 Depth=1
	s_or_b64 exec, exec, s[34:35]
	v_mul_f32_e32 v2, v62, v2
	v_and_b32_e32 v4, 0x7f800000, v2
	v_cmp_ne_u32_e32 vcc, s42, v4
                                        ; implicit-def: $agpr57
	s_and_saveexec_b64 s[34:35], vcc
	s_xor_b64 vcc, exec, s[34:35]
; %bb.247:                              ;   in Loop: Header=BB405_10 Depth=1
	v_bfe_u32 v4, v2, 16, 1
	v_add3_u32 v2, v2, v4, s43
	v_accvgpr_write_b32 a57, v2
                                        ; implicit-def: $vgpr2
; %bb.248:                              ;   in Loop: Header=BB405_10 Depth=1
	s_andn2_saveexec_b64 s[34:35], vcc
; %bb.249:                              ;   in Loop: Header=BB405_10 Depth=1
	v_or_b32_e32 v4, 0x10000, v2
	v_cmp_eq_u32_sdwa vcc, v2, v1 src0_sel:WORD_0 src1_sel:DWORD
	v_cndmask_b32_e32 v2, v4, v2, vcc
	v_accvgpr_write_b32 a57, v2
; %bb.250:                              ;   in Loop: Header=BB405_10 Depth=1
	s_or_b64 exec, exec, s[34:35]
	flat_load_dword v28, v[20:21] offset:1536
	v_mov_b32_e32 v2, 0
	s_waitcnt vmcnt(0) lgkmcnt(0)
	v_cmp_ne_u16_sdwa vcc, v28, v1 src0_sel:BYTE_0 src1_sel:DWORD
	s_and_saveexec_b64 s[34:35], vcc
	s_cbranch_execz .LBB405_256
; %bb.251:                              ;   in Loop: Header=BB405_10 Depth=1
	v_cmp_ne_u16_sdwa vcc, v28, s25 src0_sel:BYTE_0 src1_sel:DWORD
	v_bfrev_b32_e32 v2, 1
	s_and_saveexec_b64 s[36:37], vcc
	s_cbranch_execz .LBB405_255
; %bb.252:                              ;   in Loop: Header=BB405_10 Depth=1
	v_and_b32_e32 v4, 0x7f, v28
	v_cmp_ne_u32_e32 vcc, s41, v4
	v_mov_b32_e32 v2, 0x7f800001
	s_and_saveexec_b64 s[38:39], vcc
	s_cbranch_execz .LBB405_254
; %bb.253:                              ;   in Loop: Header=BB405_10 Depth=1
	v_and_b32_e32 v2, 7, v28
	v_lshrrev_b32_e32 v6, 3, v4
	v_cmp_gt_u32_e32 vcc, 8, v4
	v_ffbh_u32_e32 v4, v2
	v_min_u32_e32 v7, 32, v4
	v_subrev_u32_e32 v4, 28, v7
	v_lshlrev_b64 v[4:5], v4, v[28:29]
	v_sub_u32_e32 v5, 29, v7
	v_and_b32_e32 v4, 7, v4
	v_cndmask_b32_e32 v5, v6, v5, vcc
	v_cndmask_b32_e32 v2, v2, v4, vcc
	v_lshlrev_b32_e32 v4, 24, v28
	v_lshlrev_b32_e32 v2, 20, v2
	v_and_b32_e32 v4, 0x80000000, v4
	v_lshl_add_u32 v5, v5, 23, v0
	v_or3_b32 v2, v4, v5, v2
.LBB405_254:                            ;   in Loop: Header=BB405_10 Depth=1
	s_or_b64 exec, exec, s[38:39]
.LBB405_255:                            ;   in Loop: Header=BB405_10 Depth=1
	s_or_b64 exec, exec, s[36:37]
.LBB405_256:                            ;   in Loop: Header=BB405_10 Depth=1
	s_or_b64 exec, exec, s[34:35]
	v_mul_f32_e32 v2, v62, v2
	v_and_b32_e32 v4, 0x7f800000, v2
	v_cmp_ne_u32_e32 vcc, s42, v4
                                        ; implicit-def: $agpr58
	s_and_saveexec_b64 s[34:35], vcc
	s_xor_b64 vcc, exec, s[34:35]
; %bb.257:                              ;   in Loop: Header=BB405_10 Depth=1
	v_bfe_u32 v4, v2, 16, 1
	v_add3_u32 v2, v2, v4, s43
	v_accvgpr_write_b32 a58, v2
                                        ; implicit-def: $vgpr2
; %bb.258:                              ;   in Loop: Header=BB405_10 Depth=1
	s_andn2_saveexec_b64 s[34:35], vcc
; %bb.259:                              ;   in Loop: Header=BB405_10 Depth=1
	v_or_b32_e32 v4, 0x10000, v2
	v_cmp_eq_u32_sdwa vcc, v2, v1 src0_sel:WORD_0 src1_sel:DWORD
	v_cndmask_b32_e32 v2, v4, v2, vcc
	v_accvgpr_write_b32 a58, v2
; %bb.260:                              ;   in Loop: Header=BB405_10 Depth=1
	s_or_b64 exec, exec, s[34:35]
	v_lshrrev_b16_e32 v30, 8, v28
	v_cmp_ne_u16_e32 vcc, 0, v30
	v_mov_b32_e32 v2, 0
	s_and_saveexec_b64 s[34:35], vcc
	s_cbranch_execz .LBB405_266
; %bb.261:                              ;   in Loop: Header=BB405_10 Depth=1
	v_cmp_ne_u16_e32 vcc, s25, v30
	v_bfrev_b32_e32 v2, 1
	s_and_saveexec_b64 s[36:37], vcc
	s_cbranch_execz .LBB405_265
; %bb.262:                              ;   in Loop: Header=BB405_10 Depth=1
	v_and_b32_e32 v4, 0x7f, v30
	v_cmp_ne_u32_e32 vcc, s41, v4
	v_mov_b32_e32 v2, 0x7f800001
	s_and_saveexec_b64 s[38:39], vcc
	s_cbranch_execz .LBB405_264
; %bb.263:                              ;   in Loop: Header=BB405_10 Depth=1
	v_and_b32_e32 v2, 7, v30
	v_lshrrev_b32_e32 v6, 3, v4
	v_cmp_gt_u32_e32 vcc, 8, v4
	v_ffbh_u32_e32 v4, v2
	v_min_u32_e32 v7, 32, v4
	v_subrev_u32_e32 v4, 28, v7
	v_lshlrev_b64 v[4:5], v4, v[30:31]
	v_sub_u32_e32 v5, 29, v7
	v_and_b32_e32 v4, 7, v4
	v_cndmask_b32_e32 v5, v6, v5, vcc
	v_cndmask_b32_e32 v2, v2, v4, vcc
	v_lshlrev_b32_e32 v4, 16, v28
	v_lshlrev_b32_e32 v2, 20, v2
	v_and_b32_e32 v4, 0x80000000, v4
	v_lshl_add_u32 v5, v5, 23, v0
	v_or3_b32 v2, v4, v5, v2
.LBB405_264:                            ;   in Loop: Header=BB405_10 Depth=1
	s_or_b64 exec, exec, s[38:39]
.LBB405_265:                            ;   in Loop: Header=BB405_10 Depth=1
	s_or_b64 exec, exec, s[36:37]
.LBB405_266:                            ;   in Loop: Header=BB405_10 Depth=1
	s_or_b64 exec, exec, s[34:35]
	v_mul_f32_e32 v2, v62, v2
	v_and_b32_e32 v4, 0x7f800000, v2
	v_cmp_ne_u32_e32 vcc, s42, v4
                                        ; implicit-def: $agpr59
	s_and_saveexec_b64 s[34:35], vcc
	s_xor_b64 vcc, exec, s[34:35]
; %bb.267:                              ;   in Loop: Header=BB405_10 Depth=1
	v_bfe_u32 v4, v2, 16, 1
	v_add3_u32 v2, v2, v4, s43
	v_accvgpr_write_b32 a59, v2
                                        ; implicit-def: $vgpr2
; %bb.268:                              ;   in Loop: Header=BB405_10 Depth=1
	s_andn2_saveexec_b64 s[34:35], vcc
; %bb.269:                              ;   in Loop: Header=BB405_10 Depth=1
	v_or_b32_e32 v4, 0x10000, v2
	v_cmp_eq_u32_sdwa vcc, v2, v1 src0_sel:WORD_0 src1_sel:DWORD
	v_cndmask_b32_e32 v2, v4, v2, vcc
	v_accvgpr_write_b32 a59, v2
; %bb.270:                              ;   in Loop: Header=BB405_10 Depth=1
	s_or_b64 exec, exec, s[34:35]
	v_lshrrev_b32_e32 v30, 16, v28
	v_cmp_ne_u16_sdwa vcc, v30, v1 src0_sel:BYTE_0 src1_sel:DWORD
	v_mov_b32_e32 v2, 0
	s_and_saveexec_b64 s[34:35], vcc
	s_cbranch_execz .LBB405_276
; %bb.271:                              ;   in Loop: Header=BB405_10 Depth=1
	v_cmp_ne_u16_sdwa vcc, v30, s25 src0_sel:BYTE_0 src1_sel:DWORD
	v_bfrev_b32_e32 v2, 1
	s_and_saveexec_b64 s[36:37], vcc
	s_cbranch_execz .LBB405_275
; %bb.272:                              ;   in Loop: Header=BB405_10 Depth=1
	v_bfe_u32 v4, v28, 16, 7
	v_cmp_ne_u32_e32 vcc, s41, v4
	v_mov_b32_e32 v2, 0x7f800001
	s_and_saveexec_b64 s[38:39], vcc
	s_cbranch_execz .LBB405_274
; %bb.273:                              ;   in Loop: Header=BB405_10 Depth=1
	v_and_b32_e32 v2, 7, v30
	v_lshrrev_b32_e32 v6, 3, v4
	v_cmp_gt_u32_e32 vcc, 8, v4
	v_ffbh_u32_e32 v4, v2
	v_min_u32_e32 v7, 32, v4
	v_subrev_u32_e32 v4, 28, v7
	v_lshlrev_b64 v[4:5], v4, v[30:31]
	v_sub_u32_e32 v5, 29, v7
	v_and_b32_e32 v4, 7, v4
	v_cndmask_b32_e32 v5, v6, v5, vcc
	v_cndmask_b32_e32 v2, v2, v4, vcc
	v_lshlrev_b32_e32 v4, 24, v30
	v_lshlrev_b32_e32 v2, 20, v2
	v_and_b32_e32 v4, 0x80000000, v4
	v_lshl_add_u32 v5, v5, 23, v0
	v_or3_b32 v2, v4, v5, v2
.LBB405_274:                            ;   in Loop: Header=BB405_10 Depth=1
	s_or_b64 exec, exec, s[38:39]
.LBB405_275:                            ;   in Loop: Header=BB405_10 Depth=1
	s_or_b64 exec, exec, s[36:37]
.LBB405_276:                            ;   in Loop: Header=BB405_10 Depth=1
	s_or_b64 exec, exec, s[34:35]
	v_mul_f32_e32 v2, v62, v2
	v_and_b32_e32 v4, 0x7f800000, v2
	v_cmp_ne_u32_e32 vcc, s42, v4
                                        ; implicit-def: $agpr60
	s_and_saveexec_b64 s[34:35], vcc
	s_xor_b64 vcc, exec, s[34:35]
; %bb.277:                              ;   in Loop: Header=BB405_10 Depth=1
	v_bfe_u32 v4, v2, 16, 1
	v_add3_u32 v2, v2, v4, s43
	v_accvgpr_write_b32 a60, v2
                                        ; implicit-def: $vgpr2
; %bb.278:                              ;   in Loop: Header=BB405_10 Depth=1
	s_andn2_saveexec_b64 s[34:35], vcc
; %bb.279:                              ;   in Loop: Header=BB405_10 Depth=1
	v_or_b32_e32 v4, 0x10000, v2
	v_cmp_eq_u32_sdwa vcc, v2, v1 src0_sel:WORD_0 src1_sel:DWORD
	v_cndmask_b32_e32 v2, v4, v2, vcc
	v_accvgpr_write_b32 a60, v2
; %bb.280:                              ;   in Loop: Header=BB405_10 Depth=1
	s_or_b64 exec, exec, s[34:35]
	v_cmp_lt_u32_e32 vcc, s44, v28
	v_mov_b32_e32 v2, 0
	s_and_saveexec_b64 s[34:35], vcc
	s_cbranch_execz .LBB405_286
; %bb.281:                              ;   in Loop: Header=BB405_10 Depth=1
	v_lshrrev_b32_e32 v30, 24, v28
	v_cmp_ne_u32_e32 vcc, s25, v30
	v_bfrev_b32_e32 v2, 1
	s_and_saveexec_b64 s[36:37], vcc
	s_cbranch_execz .LBB405_285
; %bb.282:                              ;   in Loop: Header=BB405_10 Depth=1
	v_bfe_u32 v4, v28, 24, 7
	v_cmp_ne_u32_e32 vcc, s41, v4
	v_mov_b32_e32 v2, 0x7f800001
	s_and_saveexec_b64 s[38:39], vcc
	s_cbranch_execz .LBB405_284
; %bb.283:                              ;   in Loop: Header=BB405_10 Depth=1
	v_and_b32_e32 v2, 7, v30
	v_lshrrev_b32_e32 v6, 3, v4
	v_cmp_gt_u32_e32 vcc, 8, v4
	v_ffbh_u32_e32 v4, v2
	v_min_u32_e32 v7, 32, v4
	v_subrev_u32_e32 v4, 28, v7
	v_lshlrev_b64 v[4:5], v4, v[30:31]
	v_sub_u32_e32 v5, 29, v7
	v_and_b32_e32 v4, 7, v4
	v_cndmask_b32_e32 v5, v6, v5, vcc
	v_cndmask_b32_e32 v2, v2, v4, vcc
	v_lshlrev_b32_e32 v4, 24, v30
	v_lshlrev_b32_e32 v2, 20, v2
	v_and_b32_e32 v4, 0x80000000, v4
	v_lshl_add_u32 v5, v5, 23, v0
	v_or3_b32 v2, v4, v5, v2
.LBB405_284:                            ;   in Loop: Header=BB405_10 Depth=1
	s_or_b64 exec, exec, s[38:39]
.LBB405_285:                            ;   in Loop: Header=BB405_10 Depth=1
	s_or_b64 exec, exec, s[36:37]
.LBB405_286:                            ;   in Loop: Header=BB405_10 Depth=1
	s_or_b64 exec, exec, s[34:35]
	v_mul_f32_e32 v2, v62, v2
	v_and_b32_e32 v4, 0x7f800000, v2
	v_cmp_ne_u32_e32 vcc, s42, v4
                                        ; implicit-def: $agpr61
	s_and_saveexec_b64 s[34:35], vcc
	s_xor_b64 vcc, exec, s[34:35]
; %bb.287:                              ;   in Loop: Header=BB405_10 Depth=1
	v_bfe_u32 v4, v2, 16, 1
	v_add3_u32 v2, v2, v4, s43
	v_accvgpr_write_b32 a61, v2
                                        ; implicit-def: $vgpr2
; %bb.288:                              ;   in Loop: Header=BB405_10 Depth=1
	s_andn2_saveexec_b64 s[34:35], vcc
; %bb.289:                              ;   in Loop: Header=BB405_10 Depth=1
	v_or_b32_e32 v4, 0x10000, v2
	v_cmp_eq_u32_sdwa vcc, v2, v1 src0_sel:WORD_0 src1_sel:DWORD
	v_cndmask_b32_e32 v2, v4, v2, vcc
	v_accvgpr_write_b32 a61, v2
; %bb.290:                              ;   in Loop: Header=BB405_10 Depth=1
	s_or_b64 exec, exec, s[34:35]
	flat_load_dword v28, v[20:21] offset:1544
	v_mov_b32_e32 v2, 0
	s_waitcnt vmcnt(0) lgkmcnt(0)
	v_cmp_ne_u16_sdwa vcc, v28, v1 src0_sel:BYTE_0 src1_sel:DWORD
	s_and_saveexec_b64 s[34:35], vcc
	s_cbranch_execz .LBB405_296
; %bb.291:                              ;   in Loop: Header=BB405_10 Depth=1
	v_cmp_ne_u16_sdwa vcc, v28, s25 src0_sel:BYTE_0 src1_sel:DWORD
	v_bfrev_b32_e32 v2, 1
	s_and_saveexec_b64 s[36:37], vcc
	s_cbranch_execz .LBB405_295
; %bb.292:                              ;   in Loop: Header=BB405_10 Depth=1
	v_and_b32_e32 v4, 0x7f, v28
	v_cmp_ne_u32_e32 vcc, s41, v4
	v_mov_b32_e32 v2, 0x7f800001
	s_and_saveexec_b64 s[38:39], vcc
	s_cbranch_execz .LBB405_294
; %bb.293:                              ;   in Loop: Header=BB405_10 Depth=1
	v_and_b32_e32 v2, 7, v28
	v_lshrrev_b32_e32 v6, 3, v4
	v_cmp_gt_u32_e32 vcc, 8, v4
	v_ffbh_u32_e32 v4, v2
	v_min_u32_e32 v7, 32, v4
	v_subrev_u32_e32 v4, 28, v7
	v_lshlrev_b64 v[4:5], v4, v[28:29]
	v_sub_u32_e32 v5, 29, v7
	v_and_b32_e32 v4, 7, v4
	v_cndmask_b32_e32 v5, v6, v5, vcc
	v_cndmask_b32_e32 v2, v2, v4, vcc
	v_lshlrev_b32_e32 v4, 24, v28
	v_lshlrev_b32_e32 v2, 20, v2
	v_and_b32_e32 v4, 0x80000000, v4
	v_lshl_add_u32 v5, v5, 23, v0
	v_or3_b32 v2, v4, v5, v2
.LBB405_294:                            ;   in Loop: Header=BB405_10 Depth=1
	s_or_b64 exec, exec, s[38:39]
.LBB405_295:                            ;   in Loop: Header=BB405_10 Depth=1
	s_or_b64 exec, exec, s[36:37]
.LBB405_296:                            ;   in Loop: Header=BB405_10 Depth=1
	s_or_b64 exec, exec, s[34:35]
	v_mul_f32_e32 v2, v62, v2
	v_and_b32_e32 v4, 0x7f800000, v2
	v_cmp_ne_u32_e32 vcc, s42, v4
                                        ; implicit-def: $agpr62
	s_and_saveexec_b64 s[34:35], vcc
	s_xor_b64 vcc, exec, s[34:35]
; %bb.297:                              ;   in Loop: Header=BB405_10 Depth=1
	v_bfe_u32 v4, v2, 16, 1
	v_add3_u32 v2, v2, v4, s43
	v_accvgpr_write_b32 a62, v2
                                        ; implicit-def: $vgpr2
; %bb.298:                              ;   in Loop: Header=BB405_10 Depth=1
	s_andn2_saveexec_b64 s[34:35], vcc
; %bb.299:                              ;   in Loop: Header=BB405_10 Depth=1
	v_or_b32_e32 v4, 0x10000, v2
	v_cmp_eq_u32_sdwa vcc, v2, v1 src0_sel:WORD_0 src1_sel:DWORD
	v_cndmask_b32_e32 v2, v4, v2, vcc
	v_accvgpr_write_b32 a62, v2
; %bb.300:                              ;   in Loop: Header=BB405_10 Depth=1
	s_or_b64 exec, exec, s[34:35]
	v_lshrrev_b16_e32 v30, 8, v28
	v_cmp_ne_u16_e32 vcc, 0, v30
	v_mov_b32_e32 v2, 0
	s_and_saveexec_b64 s[34:35], vcc
	s_cbranch_execz .LBB405_306
; %bb.301:                              ;   in Loop: Header=BB405_10 Depth=1
	v_cmp_ne_u16_e32 vcc, s25, v30
	v_bfrev_b32_e32 v2, 1
	s_and_saveexec_b64 s[36:37], vcc
	s_cbranch_execz .LBB405_305
; %bb.302:                              ;   in Loop: Header=BB405_10 Depth=1
	v_and_b32_e32 v4, 0x7f, v30
	v_cmp_ne_u32_e32 vcc, s41, v4
	v_mov_b32_e32 v2, 0x7f800001
	s_and_saveexec_b64 s[38:39], vcc
	s_cbranch_execz .LBB405_304
; %bb.303:                              ;   in Loop: Header=BB405_10 Depth=1
	v_and_b32_e32 v2, 7, v30
	v_lshrrev_b32_e32 v6, 3, v4
	v_cmp_gt_u32_e32 vcc, 8, v4
	v_ffbh_u32_e32 v4, v2
	v_min_u32_e32 v7, 32, v4
	v_subrev_u32_e32 v4, 28, v7
	v_lshlrev_b64 v[4:5], v4, v[30:31]
	v_sub_u32_e32 v5, 29, v7
	v_and_b32_e32 v4, 7, v4
	v_cndmask_b32_e32 v5, v6, v5, vcc
	v_cndmask_b32_e32 v2, v2, v4, vcc
	v_lshlrev_b32_e32 v4, 16, v28
	v_lshlrev_b32_e32 v2, 20, v2
	v_and_b32_e32 v4, 0x80000000, v4
	v_lshl_add_u32 v5, v5, 23, v0
	v_or3_b32 v2, v4, v5, v2
.LBB405_304:                            ;   in Loop: Header=BB405_10 Depth=1
	s_or_b64 exec, exec, s[38:39]
.LBB405_305:                            ;   in Loop: Header=BB405_10 Depth=1
	s_or_b64 exec, exec, s[36:37]
.LBB405_306:                            ;   in Loop: Header=BB405_10 Depth=1
	s_or_b64 exec, exec, s[34:35]
	v_mul_f32_e32 v2, v62, v2
	v_and_b32_e32 v4, 0x7f800000, v2
	v_cmp_ne_u32_e32 vcc, s42, v4
                                        ; implicit-def: $agpr63
	s_and_saveexec_b64 s[34:35], vcc
	s_xor_b64 vcc, exec, s[34:35]
; %bb.307:                              ;   in Loop: Header=BB405_10 Depth=1
	v_bfe_u32 v4, v2, 16, 1
	v_add3_u32 v2, v2, v4, s43
	v_accvgpr_write_b32 a63, v2
                                        ; implicit-def: $vgpr2
; %bb.308:                              ;   in Loop: Header=BB405_10 Depth=1
	s_andn2_saveexec_b64 s[34:35], vcc
; %bb.309:                              ;   in Loop: Header=BB405_10 Depth=1
	v_or_b32_e32 v4, 0x10000, v2
	v_cmp_eq_u32_sdwa vcc, v2, v1 src0_sel:WORD_0 src1_sel:DWORD
	v_cndmask_b32_e32 v2, v4, v2, vcc
	v_accvgpr_write_b32 a63, v2
; %bb.310:                              ;   in Loop: Header=BB405_10 Depth=1
	s_or_b64 exec, exec, s[34:35]
	v_lshrrev_b32_e32 v30, 16, v28
	v_cmp_ne_u16_sdwa vcc, v30, v1 src0_sel:BYTE_0 src1_sel:DWORD
	v_mov_b32_e32 v2, 0
	s_and_saveexec_b64 s[34:35], vcc
	s_cbranch_execz .LBB405_316
; %bb.311:                              ;   in Loop: Header=BB405_10 Depth=1
	v_cmp_ne_u16_sdwa vcc, v30, s25 src0_sel:BYTE_0 src1_sel:DWORD
	v_bfrev_b32_e32 v2, 1
	s_and_saveexec_b64 s[36:37], vcc
	s_cbranch_execz .LBB405_315
; %bb.312:                              ;   in Loop: Header=BB405_10 Depth=1
	v_bfe_u32 v4, v28, 16, 7
	v_cmp_ne_u32_e32 vcc, s41, v4
	v_mov_b32_e32 v2, 0x7f800001
	s_and_saveexec_b64 s[38:39], vcc
	s_cbranch_execz .LBB405_314
; %bb.313:                              ;   in Loop: Header=BB405_10 Depth=1
	v_and_b32_e32 v2, 7, v30
	v_lshrrev_b32_e32 v6, 3, v4
	v_cmp_gt_u32_e32 vcc, 8, v4
	v_ffbh_u32_e32 v4, v2
	v_min_u32_e32 v7, 32, v4
	v_subrev_u32_e32 v4, 28, v7
	v_lshlrev_b64 v[4:5], v4, v[30:31]
	v_sub_u32_e32 v5, 29, v7
	v_and_b32_e32 v4, 7, v4
	v_cndmask_b32_e32 v5, v6, v5, vcc
	v_cndmask_b32_e32 v2, v2, v4, vcc
	v_lshlrev_b32_e32 v4, 24, v30
	v_lshlrev_b32_e32 v2, 20, v2
	v_and_b32_e32 v4, 0x80000000, v4
	v_lshl_add_u32 v5, v5, 23, v0
	v_or3_b32 v2, v4, v5, v2
.LBB405_314:                            ;   in Loop: Header=BB405_10 Depth=1
	s_or_b64 exec, exec, s[38:39]
.LBB405_315:                            ;   in Loop: Header=BB405_10 Depth=1
	s_or_b64 exec, exec, s[36:37]
.LBB405_316:                            ;   in Loop: Header=BB405_10 Depth=1
	s_or_b64 exec, exec, s[34:35]
	v_mul_f32_e32 v2, v62, v2
	v_and_b32_e32 v4, 0x7f800000, v2
	v_cmp_ne_u32_e32 vcc, s42, v4
                                        ; implicit-def: $agpr18
	s_and_saveexec_b64 s[34:35], vcc
	s_xor_b64 vcc, exec, s[34:35]
; %bb.317:                              ;   in Loop: Header=BB405_10 Depth=1
	v_bfe_u32 v4, v2, 16, 1
	v_add3_u32 v2, v2, v4, s43
	v_accvgpr_write_b32 a18, v2
                                        ; implicit-def: $vgpr2
; %bb.318:                              ;   in Loop: Header=BB405_10 Depth=1
	s_andn2_saveexec_b64 s[34:35], vcc
; %bb.319:                              ;   in Loop: Header=BB405_10 Depth=1
	v_or_b32_e32 v4, 0x10000, v2
	v_cmp_eq_u32_sdwa vcc, v2, v1 src0_sel:WORD_0 src1_sel:DWORD
	v_cndmask_b32_e32 v2, v4, v2, vcc
	v_accvgpr_write_b32 a18, v2
; %bb.320:                              ;   in Loop: Header=BB405_10 Depth=1
	s_or_b64 exec, exec, s[34:35]
	v_cmp_lt_u32_e32 vcc, s44, v28
	v_mov_b32_e32 v2, 0
	s_and_saveexec_b64 s[34:35], vcc
	s_cbranch_execz .LBB405_326
; %bb.321:                              ;   in Loop: Header=BB405_10 Depth=1
	v_lshrrev_b32_e32 v30, 24, v28
	v_cmp_ne_u32_e32 vcc, s25, v30
	v_bfrev_b32_e32 v2, 1
	s_and_saveexec_b64 s[36:37], vcc
	s_cbranch_execz .LBB405_325
; %bb.322:                              ;   in Loop: Header=BB405_10 Depth=1
	v_bfe_u32 v4, v28, 24, 7
	v_cmp_ne_u32_e32 vcc, s41, v4
	v_mov_b32_e32 v2, 0x7f800001
	s_and_saveexec_b64 s[38:39], vcc
	s_cbranch_execz .LBB405_324
; %bb.323:                              ;   in Loop: Header=BB405_10 Depth=1
	v_and_b32_e32 v2, 7, v30
	v_lshrrev_b32_e32 v6, 3, v4
	v_cmp_gt_u32_e32 vcc, 8, v4
	v_ffbh_u32_e32 v4, v2
	v_min_u32_e32 v7, 32, v4
	v_subrev_u32_e32 v4, 28, v7
	v_lshlrev_b64 v[4:5], v4, v[30:31]
	v_sub_u32_e32 v5, 29, v7
	v_and_b32_e32 v4, 7, v4
	v_cndmask_b32_e32 v5, v6, v5, vcc
	v_cndmask_b32_e32 v2, v2, v4, vcc
	v_lshlrev_b32_e32 v4, 24, v30
	v_lshlrev_b32_e32 v2, 20, v2
	v_and_b32_e32 v4, 0x80000000, v4
	v_lshl_add_u32 v5, v5, 23, v0
	v_or3_b32 v2, v4, v5, v2
.LBB405_324:                            ;   in Loop: Header=BB405_10 Depth=1
	s_or_b64 exec, exec, s[38:39]
.LBB405_325:                            ;   in Loop: Header=BB405_10 Depth=1
	s_or_b64 exec, exec, s[36:37]
.LBB405_326:                            ;   in Loop: Header=BB405_10 Depth=1
	s_or_b64 exec, exec, s[34:35]
	v_mul_f32_e32 v2, v62, v2
	v_and_b32_e32 v4, 0x7f800000, v2
	v_cmp_ne_u32_e32 vcc, s42, v4
                                        ; implicit-def: $agpr0
	s_and_saveexec_b64 s[34:35], vcc
	s_xor_b64 vcc, exec, s[34:35]
; %bb.327:                              ;   in Loop: Header=BB405_10 Depth=1
	v_bfe_u32 v4, v2, 16, 1
	v_add3_u32 v2, v2, v4, s43
	v_accvgpr_write_b32 a0, v2
                                        ; implicit-def: $vgpr2
; %bb.328:                              ;   in Loop: Header=BB405_10 Depth=1
	s_andn2_saveexec_b64 s[34:35], vcc
; %bb.329:                              ;   in Loop: Header=BB405_10 Depth=1
	v_or_b32_e32 v4, 0x10000, v2
	v_cmp_eq_u32_sdwa vcc, v2, v1 src0_sel:WORD_0 src1_sel:DWORD
	v_cndmask_b32_e32 v2, v4, v2, vcc
	v_accvgpr_write_b32 a0, v2
; %bb.330:                              ;   in Loop: Header=BB405_10 Depth=1
	s_or_b64 exec, exec, s[34:35]
	flat_load_dword v28, v[20:21] offset:2048
	v_mov_b32_e32 v2, 0
	s_waitcnt vmcnt(0) lgkmcnt(0)
	v_cmp_ne_u16_sdwa vcc, v28, v1 src0_sel:BYTE_0 src1_sel:DWORD
	s_and_saveexec_b64 s[34:35], vcc
	s_cbranch_execz .LBB405_336
; %bb.331:                              ;   in Loop: Header=BB405_10 Depth=1
	v_cmp_ne_u16_sdwa vcc, v28, s25 src0_sel:BYTE_0 src1_sel:DWORD
	v_bfrev_b32_e32 v2, 1
	s_and_saveexec_b64 s[36:37], vcc
	s_cbranch_execz .LBB405_335
; %bb.332:                              ;   in Loop: Header=BB405_10 Depth=1
	v_and_b32_e32 v4, 0x7f, v28
	v_cmp_ne_u32_e32 vcc, s41, v4
	v_mov_b32_e32 v2, 0x7f800001
	s_and_saveexec_b64 s[38:39], vcc
	s_cbranch_execz .LBB405_334
; %bb.333:                              ;   in Loop: Header=BB405_10 Depth=1
	v_and_b32_e32 v2, 7, v28
	v_lshrrev_b32_e32 v6, 3, v4
	v_cmp_gt_u32_e32 vcc, 8, v4
	v_ffbh_u32_e32 v4, v2
	v_min_u32_e32 v7, 32, v4
	v_subrev_u32_e32 v4, 28, v7
	v_lshlrev_b64 v[4:5], v4, v[28:29]
	v_sub_u32_e32 v5, 29, v7
	v_and_b32_e32 v4, 7, v4
	v_cndmask_b32_e32 v5, v6, v5, vcc
	v_cndmask_b32_e32 v2, v2, v4, vcc
	v_lshlrev_b32_e32 v4, 24, v28
	v_lshlrev_b32_e32 v2, 20, v2
	v_and_b32_e32 v4, 0x80000000, v4
	v_lshl_add_u32 v5, v5, 23, v0
	v_or3_b32 v2, v4, v5, v2
.LBB405_334:                            ;   in Loop: Header=BB405_10 Depth=1
	s_or_b64 exec, exec, s[38:39]
.LBB405_335:                            ;   in Loop: Header=BB405_10 Depth=1
	s_or_b64 exec, exec, s[36:37]
.LBB405_336:                            ;   in Loop: Header=BB405_10 Depth=1
	s_or_b64 exec, exec, s[34:35]
	v_mul_f32_e32 v2, v62, v2
	v_and_b32_e32 v4, 0x7f800000, v2
	v_cmp_ne_u32_e32 vcc, s42, v4
                                        ; implicit-def: $agpr1
	s_and_saveexec_b64 s[34:35], vcc
	s_xor_b64 vcc, exec, s[34:35]
; %bb.337:                              ;   in Loop: Header=BB405_10 Depth=1
	v_bfe_u32 v4, v2, 16, 1
	v_add3_u32 v2, v2, v4, s43
	v_accvgpr_write_b32 a1, v2
                                        ; implicit-def: $vgpr2
; %bb.338:                              ;   in Loop: Header=BB405_10 Depth=1
	s_andn2_saveexec_b64 s[34:35], vcc
; %bb.339:                              ;   in Loop: Header=BB405_10 Depth=1
	v_or_b32_e32 v4, 0x10000, v2
	v_cmp_eq_u32_sdwa vcc, v2, v1 src0_sel:WORD_0 src1_sel:DWORD
	v_cndmask_b32_e32 v2, v4, v2, vcc
	v_accvgpr_write_b32 a1, v2
; %bb.340:                              ;   in Loop: Header=BB405_10 Depth=1
	s_or_b64 exec, exec, s[34:35]
	v_lshrrev_b16_e32 v30, 8, v28
	v_cmp_ne_u16_e32 vcc, 0, v30
	v_mov_b32_e32 v2, 0
	s_and_saveexec_b64 s[34:35], vcc
	s_cbranch_execz .LBB405_346
; %bb.341:                              ;   in Loop: Header=BB405_10 Depth=1
	v_cmp_ne_u16_e32 vcc, s25, v30
	v_bfrev_b32_e32 v2, 1
	s_and_saveexec_b64 s[36:37], vcc
	s_cbranch_execz .LBB405_345
; %bb.342:                              ;   in Loop: Header=BB405_10 Depth=1
	v_and_b32_e32 v4, 0x7f, v30
	v_cmp_ne_u32_e32 vcc, s41, v4
	v_mov_b32_e32 v2, 0x7f800001
	s_and_saveexec_b64 s[38:39], vcc
	s_cbranch_execz .LBB405_344
; %bb.343:                              ;   in Loop: Header=BB405_10 Depth=1
	v_and_b32_e32 v2, 7, v30
	v_lshrrev_b32_e32 v6, 3, v4
	v_cmp_gt_u32_e32 vcc, 8, v4
	v_ffbh_u32_e32 v4, v2
	v_min_u32_e32 v7, 32, v4
	v_subrev_u32_e32 v4, 28, v7
	v_lshlrev_b64 v[4:5], v4, v[30:31]
	v_sub_u32_e32 v5, 29, v7
	v_and_b32_e32 v4, 7, v4
	v_cndmask_b32_e32 v5, v6, v5, vcc
	v_cndmask_b32_e32 v2, v2, v4, vcc
	v_lshlrev_b32_e32 v4, 16, v28
	v_lshlrev_b32_e32 v2, 20, v2
	v_and_b32_e32 v4, 0x80000000, v4
	v_lshl_add_u32 v5, v5, 23, v0
	v_or3_b32 v2, v4, v5, v2
.LBB405_344:                            ;   in Loop: Header=BB405_10 Depth=1
	s_or_b64 exec, exec, s[38:39]
.LBB405_345:                            ;   in Loop: Header=BB405_10 Depth=1
	s_or_b64 exec, exec, s[36:37]
.LBB405_346:                            ;   in Loop: Header=BB405_10 Depth=1
	s_or_b64 exec, exec, s[34:35]
	v_mul_f32_e32 v2, v62, v2
	v_and_b32_e32 v4, 0x7f800000, v2
	v_cmp_ne_u32_e32 vcc, s42, v4
                                        ; implicit-def: $agpr16
	s_and_saveexec_b64 s[34:35], vcc
	s_xor_b64 vcc, exec, s[34:35]
; %bb.347:                              ;   in Loop: Header=BB405_10 Depth=1
	v_bfe_u32 v4, v2, 16, 1
	v_add3_u32 v2, v2, v4, s43
	v_accvgpr_write_b32 a16, v2
                                        ; implicit-def: $vgpr2
; %bb.348:                              ;   in Loop: Header=BB405_10 Depth=1
	s_andn2_saveexec_b64 s[34:35], vcc
; %bb.349:                              ;   in Loop: Header=BB405_10 Depth=1
	v_or_b32_e32 v4, 0x10000, v2
	v_cmp_eq_u32_sdwa vcc, v2, v1 src0_sel:WORD_0 src1_sel:DWORD
	v_cndmask_b32_e32 v2, v4, v2, vcc
	v_accvgpr_write_b32 a16, v2
; %bb.350:                              ;   in Loop: Header=BB405_10 Depth=1
	s_or_b64 exec, exec, s[34:35]
	v_lshrrev_b32_e32 v30, 16, v28
	v_cmp_ne_u16_sdwa vcc, v30, v1 src0_sel:BYTE_0 src1_sel:DWORD
	v_mov_b32_e32 v2, 0
	s_and_saveexec_b64 s[34:35], vcc
	s_cbranch_execz .LBB405_356
; %bb.351:                              ;   in Loop: Header=BB405_10 Depth=1
	v_cmp_ne_u16_sdwa vcc, v30, s25 src0_sel:BYTE_0 src1_sel:DWORD
	v_bfrev_b32_e32 v2, 1
	s_and_saveexec_b64 s[36:37], vcc
	s_cbranch_execz .LBB405_355
; %bb.352:                              ;   in Loop: Header=BB405_10 Depth=1
	v_bfe_u32 v4, v28, 16, 7
	v_cmp_ne_u32_e32 vcc, s41, v4
	v_mov_b32_e32 v2, 0x7f800001
	s_and_saveexec_b64 s[38:39], vcc
	s_cbranch_execz .LBB405_354
; %bb.353:                              ;   in Loop: Header=BB405_10 Depth=1
	v_and_b32_e32 v2, 7, v30
	v_lshrrev_b32_e32 v6, 3, v4
	v_cmp_gt_u32_e32 vcc, 8, v4
	v_ffbh_u32_e32 v4, v2
	v_min_u32_e32 v7, 32, v4
	v_subrev_u32_e32 v4, 28, v7
	v_lshlrev_b64 v[4:5], v4, v[30:31]
	v_sub_u32_e32 v5, 29, v7
	v_and_b32_e32 v4, 7, v4
	v_cndmask_b32_e32 v5, v6, v5, vcc
	v_cndmask_b32_e32 v2, v2, v4, vcc
	v_lshlrev_b32_e32 v4, 24, v30
	v_lshlrev_b32_e32 v2, 20, v2
	v_and_b32_e32 v4, 0x80000000, v4
	v_lshl_add_u32 v5, v5, 23, v0
	v_or3_b32 v2, v4, v5, v2
.LBB405_354:                            ;   in Loop: Header=BB405_10 Depth=1
	s_or_b64 exec, exec, s[38:39]
.LBB405_355:                            ;   in Loop: Header=BB405_10 Depth=1
	s_or_b64 exec, exec, s[36:37]
.LBB405_356:                            ;   in Loop: Header=BB405_10 Depth=1
	s_or_b64 exec, exec, s[34:35]
	v_mul_f32_e32 v2, v62, v2
	v_and_b32_e32 v4, 0x7f800000, v2
	v_cmp_ne_u32_e32 vcc, s42, v4
                                        ; implicit-def: $agpr32
	s_and_saveexec_b64 s[34:35], vcc
	s_xor_b64 vcc, exec, s[34:35]
; %bb.357:                              ;   in Loop: Header=BB405_10 Depth=1
	v_bfe_u32 v4, v2, 16, 1
	v_add3_u32 v2, v2, v4, s43
	v_accvgpr_write_b32 a32, v2
                                        ; implicit-def: $vgpr2
; %bb.358:                              ;   in Loop: Header=BB405_10 Depth=1
	s_andn2_saveexec_b64 s[34:35], vcc
; %bb.359:                              ;   in Loop: Header=BB405_10 Depth=1
	v_or_b32_e32 v4, 0x10000, v2
	v_cmp_eq_u32_sdwa vcc, v2, v1 src0_sel:WORD_0 src1_sel:DWORD
	v_cndmask_b32_e32 v2, v4, v2, vcc
	v_accvgpr_write_b32 a32, v2
; %bb.360:                              ;   in Loop: Header=BB405_10 Depth=1
	s_or_b64 exec, exec, s[34:35]
	v_cmp_lt_u32_e32 vcc, s44, v28
	v_mov_b32_e32 v2, 0
	s_and_saveexec_b64 s[34:35], vcc
	s_cbranch_execz .LBB405_366
; %bb.361:                              ;   in Loop: Header=BB405_10 Depth=1
	v_lshrrev_b32_e32 v30, 24, v28
	v_cmp_ne_u32_e32 vcc, s25, v30
	v_bfrev_b32_e32 v2, 1
	s_and_saveexec_b64 s[36:37], vcc
	s_cbranch_execz .LBB405_365
; %bb.362:                              ;   in Loop: Header=BB405_10 Depth=1
	v_bfe_u32 v4, v28, 24, 7
	v_cmp_ne_u32_e32 vcc, s41, v4
	v_mov_b32_e32 v2, 0x7f800001
	s_and_saveexec_b64 s[38:39], vcc
	s_cbranch_execz .LBB405_364
; %bb.363:                              ;   in Loop: Header=BB405_10 Depth=1
	v_and_b32_e32 v2, 7, v30
	v_lshrrev_b32_e32 v6, 3, v4
	v_cmp_gt_u32_e32 vcc, 8, v4
	v_ffbh_u32_e32 v4, v2
	v_min_u32_e32 v7, 32, v4
	v_subrev_u32_e32 v4, 28, v7
	v_lshlrev_b64 v[4:5], v4, v[30:31]
	v_sub_u32_e32 v5, 29, v7
	v_and_b32_e32 v4, 7, v4
	v_cndmask_b32_e32 v5, v6, v5, vcc
	v_cndmask_b32_e32 v2, v2, v4, vcc
	v_lshlrev_b32_e32 v4, 24, v30
	v_lshlrev_b32_e32 v2, 20, v2
	v_and_b32_e32 v4, 0x80000000, v4
	v_lshl_add_u32 v5, v5, 23, v0
	v_or3_b32 v2, v4, v5, v2
.LBB405_364:                            ;   in Loop: Header=BB405_10 Depth=1
	s_or_b64 exec, exec, s[38:39]
.LBB405_365:                            ;   in Loop: Header=BB405_10 Depth=1
	s_or_b64 exec, exec, s[36:37]
.LBB405_366:                            ;   in Loop: Header=BB405_10 Depth=1
	s_or_b64 exec, exec, s[34:35]
	v_mul_f32_e32 v2, v62, v2
	v_and_b32_e32 v4, 0x7f800000, v2
	v_cmp_ne_u32_e32 vcc, s42, v4
                                        ; implicit-def: $agpr33
	s_and_saveexec_b64 s[34:35], vcc
	s_xor_b64 vcc, exec, s[34:35]
; %bb.367:                              ;   in Loop: Header=BB405_10 Depth=1
	v_bfe_u32 v4, v2, 16, 1
	v_add3_u32 v2, v2, v4, s43
	v_accvgpr_write_b32 a33, v2
                                        ; implicit-def: $vgpr2
; %bb.368:                              ;   in Loop: Header=BB405_10 Depth=1
	s_andn2_saveexec_b64 s[34:35], vcc
; %bb.369:                              ;   in Loop: Header=BB405_10 Depth=1
	v_or_b32_e32 v4, 0x10000, v2
	v_cmp_eq_u32_sdwa vcc, v2, v1 src0_sel:WORD_0 src1_sel:DWORD
	v_cndmask_b32_e32 v2, v4, v2, vcc
	v_accvgpr_write_b32 a33, v2
; %bb.370:                              ;   in Loop: Header=BB405_10 Depth=1
	s_or_b64 exec, exec, s[34:35]
	flat_load_dword v28, v[20:21] offset:2056
	v_mov_b32_e32 v2, 0
	s_waitcnt vmcnt(0) lgkmcnt(0)
	v_cmp_ne_u16_sdwa vcc, v28, v1 src0_sel:BYTE_0 src1_sel:DWORD
	s_and_saveexec_b64 s[34:35], vcc
	s_cbranch_execz .LBB405_376
; %bb.371:                              ;   in Loop: Header=BB405_10 Depth=1
	v_cmp_ne_u16_sdwa vcc, v28, s25 src0_sel:BYTE_0 src1_sel:DWORD
	v_bfrev_b32_e32 v2, 1
	s_and_saveexec_b64 s[36:37], vcc
	s_cbranch_execz .LBB405_375
; %bb.372:                              ;   in Loop: Header=BB405_10 Depth=1
	v_and_b32_e32 v4, 0x7f, v28
	v_cmp_ne_u32_e32 vcc, s41, v4
	v_mov_b32_e32 v2, 0x7f800001
	s_and_saveexec_b64 s[38:39], vcc
	s_cbranch_execz .LBB405_374
; %bb.373:                              ;   in Loop: Header=BB405_10 Depth=1
	v_and_b32_e32 v2, 7, v28
	v_lshrrev_b32_e32 v6, 3, v4
	v_cmp_gt_u32_e32 vcc, 8, v4
	v_ffbh_u32_e32 v4, v2
	v_min_u32_e32 v7, 32, v4
	v_subrev_u32_e32 v4, 28, v7
	v_lshlrev_b64 v[4:5], v4, v[28:29]
	v_sub_u32_e32 v5, 29, v7
	v_and_b32_e32 v4, 7, v4
	v_cndmask_b32_e32 v5, v6, v5, vcc
	v_cndmask_b32_e32 v2, v2, v4, vcc
	v_lshlrev_b32_e32 v4, 24, v28
	v_lshlrev_b32_e32 v2, 20, v2
	v_and_b32_e32 v4, 0x80000000, v4
	v_lshl_add_u32 v5, v5, 23, v0
	v_or3_b32 v2, v4, v5, v2
.LBB405_374:                            ;   in Loop: Header=BB405_10 Depth=1
	s_or_b64 exec, exec, s[38:39]
.LBB405_375:                            ;   in Loop: Header=BB405_10 Depth=1
	s_or_b64 exec, exec, s[36:37]
.LBB405_376:                            ;   in Loop: Header=BB405_10 Depth=1
	s_or_b64 exec, exec, s[34:35]
	v_mul_f32_e32 v2, v62, v2
	v_and_b32_e32 v4, 0x7f800000, v2
	v_cmp_ne_u32_e32 vcc, s42, v4
                                        ; implicit-def: $agpr20
	s_and_saveexec_b64 s[34:35], vcc
	s_xor_b64 vcc, exec, s[34:35]
; %bb.377:                              ;   in Loop: Header=BB405_10 Depth=1
	v_bfe_u32 v4, v2, 16, 1
	v_add3_u32 v2, v2, v4, s43
	v_accvgpr_write_b32 a20, v2
                                        ; implicit-def: $vgpr2
; %bb.378:                              ;   in Loop: Header=BB405_10 Depth=1
	s_andn2_saveexec_b64 s[34:35], vcc
; %bb.379:                              ;   in Loop: Header=BB405_10 Depth=1
	v_or_b32_e32 v4, 0x10000, v2
	v_cmp_eq_u32_sdwa vcc, v2, v1 src0_sel:WORD_0 src1_sel:DWORD
	v_cndmask_b32_e32 v2, v4, v2, vcc
	v_accvgpr_write_b32 a20, v2
; %bb.380:                              ;   in Loop: Header=BB405_10 Depth=1
	s_or_b64 exec, exec, s[34:35]
	v_lshrrev_b16_e32 v30, 8, v28
	v_cmp_ne_u16_e32 vcc, 0, v30
	v_mov_b32_e32 v2, 0
	s_and_saveexec_b64 s[34:35], vcc
	s_cbranch_execz .LBB405_386
; %bb.381:                              ;   in Loop: Header=BB405_10 Depth=1
	v_cmp_ne_u16_e32 vcc, s25, v30
	v_bfrev_b32_e32 v2, 1
	s_and_saveexec_b64 s[36:37], vcc
	s_cbranch_execz .LBB405_385
; %bb.382:                              ;   in Loop: Header=BB405_10 Depth=1
	v_and_b32_e32 v4, 0x7f, v30
	v_cmp_ne_u32_e32 vcc, s41, v4
	v_mov_b32_e32 v2, 0x7f800001
	s_and_saveexec_b64 s[38:39], vcc
	s_cbranch_execz .LBB405_384
; %bb.383:                              ;   in Loop: Header=BB405_10 Depth=1
	v_and_b32_e32 v2, 7, v30
	v_lshrrev_b32_e32 v6, 3, v4
	v_cmp_gt_u32_e32 vcc, 8, v4
	v_ffbh_u32_e32 v4, v2
	v_min_u32_e32 v7, 32, v4
	v_subrev_u32_e32 v4, 28, v7
	v_lshlrev_b64 v[4:5], v4, v[30:31]
	v_sub_u32_e32 v5, 29, v7
	v_and_b32_e32 v4, 7, v4
	v_cndmask_b32_e32 v5, v6, v5, vcc
	v_cndmask_b32_e32 v2, v2, v4, vcc
	v_lshlrev_b32_e32 v4, 16, v28
	v_lshlrev_b32_e32 v2, 20, v2
	v_and_b32_e32 v4, 0x80000000, v4
	v_lshl_add_u32 v5, v5, 23, v0
	v_or3_b32 v2, v4, v5, v2
.LBB405_384:                            ;   in Loop: Header=BB405_10 Depth=1
	s_or_b64 exec, exec, s[38:39]
.LBB405_385:                            ;   in Loop: Header=BB405_10 Depth=1
	s_or_b64 exec, exec, s[36:37]
.LBB405_386:                            ;   in Loop: Header=BB405_10 Depth=1
	s_or_b64 exec, exec, s[34:35]
	v_mul_f32_e32 v2, v62, v2
	v_and_b32_e32 v4, 0x7f800000, v2
	v_cmp_ne_u32_e32 vcc, s42, v4
                                        ; implicit-def: $agpr19
	s_and_saveexec_b64 s[34:35], vcc
	s_xor_b64 vcc, exec, s[34:35]
; %bb.387:                              ;   in Loop: Header=BB405_10 Depth=1
	v_bfe_u32 v4, v2, 16, 1
	v_add3_u32 v2, v2, v4, s43
	v_accvgpr_write_b32 a19, v2
                                        ; implicit-def: $vgpr2
; %bb.388:                              ;   in Loop: Header=BB405_10 Depth=1
	s_andn2_saveexec_b64 s[34:35], vcc
; %bb.389:                              ;   in Loop: Header=BB405_10 Depth=1
	v_or_b32_e32 v4, 0x10000, v2
	v_cmp_eq_u32_sdwa vcc, v2, v1 src0_sel:WORD_0 src1_sel:DWORD
	v_cndmask_b32_e32 v2, v4, v2, vcc
	v_accvgpr_write_b32 a19, v2
; %bb.390:                              ;   in Loop: Header=BB405_10 Depth=1
	s_or_b64 exec, exec, s[34:35]
	v_lshrrev_b32_e32 v30, 16, v28
	v_cmp_ne_u16_sdwa vcc, v30, v1 src0_sel:BYTE_0 src1_sel:DWORD
	v_mov_b32_e32 v2, 0
	s_and_saveexec_b64 s[34:35], vcc
	s_cbranch_execz .LBB405_396
; %bb.391:                              ;   in Loop: Header=BB405_10 Depth=1
	v_cmp_ne_u16_sdwa vcc, v30, s25 src0_sel:BYTE_0 src1_sel:DWORD
	v_bfrev_b32_e32 v2, 1
	s_and_saveexec_b64 s[36:37], vcc
	s_cbranch_execz .LBB405_395
; %bb.392:                              ;   in Loop: Header=BB405_10 Depth=1
	v_bfe_u32 v4, v28, 16, 7
	v_cmp_ne_u32_e32 vcc, s41, v4
	v_mov_b32_e32 v2, 0x7f800001
	s_and_saveexec_b64 s[38:39], vcc
	s_cbranch_execz .LBB405_394
; %bb.393:                              ;   in Loop: Header=BB405_10 Depth=1
	v_and_b32_e32 v2, 7, v30
	v_lshrrev_b32_e32 v6, 3, v4
	v_cmp_gt_u32_e32 vcc, 8, v4
	v_ffbh_u32_e32 v4, v2
	v_min_u32_e32 v7, 32, v4
	v_subrev_u32_e32 v4, 28, v7
	v_lshlrev_b64 v[4:5], v4, v[30:31]
	v_sub_u32_e32 v5, 29, v7
	v_and_b32_e32 v4, 7, v4
	v_cndmask_b32_e32 v5, v6, v5, vcc
	v_cndmask_b32_e32 v2, v2, v4, vcc
	v_lshlrev_b32_e32 v4, 24, v30
	v_lshlrev_b32_e32 v2, 20, v2
	v_and_b32_e32 v4, 0x80000000, v4
	v_lshl_add_u32 v5, v5, 23, v0
	v_or3_b32 v2, v4, v5, v2
.LBB405_394:                            ;   in Loop: Header=BB405_10 Depth=1
	s_or_b64 exec, exec, s[38:39]
.LBB405_395:                            ;   in Loop: Header=BB405_10 Depth=1
	s_or_b64 exec, exec, s[36:37]
.LBB405_396:                            ;   in Loop: Header=BB405_10 Depth=1
	s_or_b64 exec, exec, s[34:35]
	v_mul_f32_e32 v2, v62, v2
	v_and_b32_e32 v4, 0x7f800000, v2
	v_cmp_ne_u32_e32 vcc, s42, v4
                                        ; implicit-def: $agpr15
	s_and_saveexec_b64 s[34:35], vcc
	s_xor_b64 vcc, exec, s[34:35]
; %bb.397:                              ;   in Loop: Header=BB405_10 Depth=1
	v_bfe_u32 v4, v2, 16, 1
	v_add3_u32 v2, v2, v4, s43
	v_accvgpr_write_b32 a15, v2
                                        ; implicit-def: $vgpr2
; %bb.398:                              ;   in Loop: Header=BB405_10 Depth=1
	s_andn2_saveexec_b64 s[34:35], vcc
; %bb.399:                              ;   in Loop: Header=BB405_10 Depth=1
	v_or_b32_e32 v4, 0x10000, v2
	v_cmp_eq_u32_sdwa vcc, v2, v1 src0_sel:WORD_0 src1_sel:DWORD
	v_cndmask_b32_e32 v2, v4, v2, vcc
	v_accvgpr_write_b32 a15, v2
; %bb.400:                              ;   in Loop: Header=BB405_10 Depth=1
	s_or_b64 exec, exec, s[34:35]
	v_cmp_lt_u32_e32 vcc, s44, v28
	v_mov_b32_e32 v2, 0
	s_and_saveexec_b64 s[34:35], vcc
	s_cbranch_execz .LBB405_406
; %bb.401:                              ;   in Loop: Header=BB405_10 Depth=1
	v_lshrrev_b32_e32 v30, 24, v28
	v_cmp_ne_u32_e32 vcc, s25, v30
	v_bfrev_b32_e32 v2, 1
	s_and_saveexec_b64 s[36:37], vcc
	s_cbranch_execz .LBB405_405
; %bb.402:                              ;   in Loop: Header=BB405_10 Depth=1
	v_bfe_u32 v4, v28, 24, 7
	v_cmp_ne_u32_e32 vcc, s41, v4
	v_mov_b32_e32 v2, 0x7f800001
	s_and_saveexec_b64 s[38:39], vcc
	s_cbranch_execz .LBB405_404
; %bb.403:                              ;   in Loop: Header=BB405_10 Depth=1
	v_and_b32_e32 v2, 7, v30
	v_lshrrev_b32_e32 v6, 3, v4
	v_cmp_gt_u32_e32 vcc, 8, v4
	v_ffbh_u32_e32 v4, v2
	v_min_u32_e32 v7, 32, v4
	v_subrev_u32_e32 v4, 28, v7
	v_lshlrev_b64 v[4:5], v4, v[30:31]
	v_sub_u32_e32 v5, 29, v7
	v_and_b32_e32 v4, 7, v4
	v_cndmask_b32_e32 v5, v6, v5, vcc
	v_cndmask_b32_e32 v2, v2, v4, vcc
	v_lshlrev_b32_e32 v4, 24, v30
	v_lshlrev_b32_e32 v2, 20, v2
	v_and_b32_e32 v4, 0x80000000, v4
	v_lshl_add_u32 v5, v5, 23, v0
	v_or3_b32 v2, v4, v5, v2
.LBB405_404:                            ;   in Loop: Header=BB405_10 Depth=1
	s_or_b64 exec, exec, s[38:39]
.LBB405_405:                            ;   in Loop: Header=BB405_10 Depth=1
	s_or_b64 exec, exec, s[36:37]
.LBB405_406:                            ;   in Loop: Header=BB405_10 Depth=1
	s_or_b64 exec, exec, s[34:35]
	v_mul_f32_e32 v2, v62, v2
	v_and_b32_e32 v4, 0x7f800000, v2
	v_cmp_ne_u32_e32 vcc, s42, v4
                                        ; implicit-def: $agpr11
	s_and_saveexec_b64 s[34:35], vcc
	s_xor_b64 vcc, exec, s[34:35]
; %bb.407:                              ;   in Loop: Header=BB405_10 Depth=1
	v_bfe_u32 v4, v2, 16, 1
	v_add3_u32 v2, v2, v4, s43
	v_accvgpr_write_b32 a11, v2
                                        ; implicit-def: $vgpr2
; %bb.408:                              ;   in Loop: Header=BB405_10 Depth=1
	s_andn2_saveexec_b64 s[34:35], vcc
; %bb.409:                              ;   in Loop: Header=BB405_10 Depth=1
	v_or_b32_e32 v4, 0x10000, v2
	v_cmp_eq_u32_sdwa vcc, v2, v1 src0_sel:WORD_0 src1_sel:DWORD
	v_cndmask_b32_e32 v2, v4, v2, vcc
	v_accvgpr_write_b32 a11, v2
; %bb.410:                              ;   in Loop: Header=BB405_10 Depth=1
	s_or_b64 exec, exec, s[34:35]
	flat_load_dword v28, v[20:21] offset:2560
	v_mov_b32_e32 v2, 0
	s_waitcnt vmcnt(0) lgkmcnt(0)
	v_cmp_ne_u16_sdwa vcc, v28, v1 src0_sel:BYTE_0 src1_sel:DWORD
	s_and_saveexec_b64 s[34:35], vcc
	s_cbranch_execz .LBB405_416
; %bb.411:                              ;   in Loop: Header=BB405_10 Depth=1
	v_cmp_ne_u16_sdwa vcc, v28, s25 src0_sel:BYTE_0 src1_sel:DWORD
	v_bfrev_b32_e32 v2, 1
	s_and_saveexec_b64 s[36:37], vcc
	s_cbranch_execz .LBB405_415
; %bb.412:                              ;   in Loop: Header=BB405_10 Depth=1
	v_and_b32_e32 v4, 0x7f, v28
	v_cmp_ne_u32_e32 vcc, s41, v4
	v_mov_b32_e32 v2, 0x7f800001
	s_and_saveexec_b64 s[38:39], vcc
	s_cbranch_execz .LBB405_414
; %bb.413:                              ;   in Loop: Header=BB405_10 Depth=1
	v_and_b32_e32 v2, 7, v28
	v_lshrrev_b32_e32 v6, 3, v4
	v_cmp_gt_u32_e32 vcc, 8, v4
	v_ffbh_u32_e32 v4, v2
	v_min_u32_e32 v7, 32, v4
	v_subrev_u32_e32 v4, 28, v7
	v_lshlrev_b64 v[4:5], v4, v[28:29]
	v_sub_u32_e32 v5, 29, v7
	v_and_b32_e32 v4, 7, v4
	v_cndmask_b32_e32 v5, v6, v5, vcc
	v_cndmask_b32_e32 v2, v2, v4, vcc
	v_lshlrev_b32_e32 v4, 24, v28
	v_lshlrev_b32_e32 v2, 20, v2
	v_and_b32_e32 v4, 0x80000000, v4
	v_lshl_add_u32 v5, v5, 23, v0
	v_or3_b32 v2, v4, v5, v2
.LBB405_414:                            ;   in Loop: Header=BB405_10 Depth=1
	s_or_b64 exec, exec, s[38:39]
.LBB405_415:                            ;   in Loop: Header=BB405_10 Depth=1
	s_or_b64 exec, exec, s[36:37]
.LBB405_416:                            ;   in Loop: Header=BB405_10 Depth=1
	s_or_b64 exec, exec, s[34:35]
	v_mul_f32_e32 v2, v62, v2
	v_and_b32_e32 v4, 0x7f800000, v2
	v_cmp_ne_u32_e32 vcc, s42, v4
                                        ; implicit-def: $agpr14
	s_and_saveexec_b64 s[34:35], vcc
	s_xor_b64 vcc, exec, s[34:35]
; %bb.417:                              ;   in Loop: Header=BB405_10 Depth=1
	v_bfe_u32 v4, v2, 16, 1
	v_add3_u32 v2, v2, v4, s43
	v_accvgpr_write_b32 a14, v2
                                        ; implicit-def: $vgpr2
; %bb.418:                              ;   in Loop: Header=BB405_10 Depth=1
	s_andn2_saveexec_b64 s[34:35], vcc
; %bb.419:                              ;   in Loop: Header=BB405_10 Depth=1
	v_or_b32_e32 v4, 0x10000, v2
	v_cmp_eq_u32_sdwa vcc, v2, v1 src0_sel:WORD_0 src1_sel:DWORD
	v_cndmask_b32_e32 v2, v4, v2, vcc
	v_accvgpr_write_b32 a14, v2
; %bb.420:                              ;   in Loop: Header=BB405_10 Depth=1
	s_or_b64 exec, exec, s[34:35]
	v_lshrrev_b16_e32 v30, 8, v28
	v_cmp_ne_u16_e32 vcc, 0, v30
	v_mov_b32_e32 v2, 0
	s_and_saveexec_b64 s[34:35], vcc
	s_cbranch_execz .LBB405_426
; %bb.421:                              ;   in Loop: Header=BB405_10 Depth=1
	v_cmp_ne_u16_e32 vcc, s25, v30
	v_bfrev_b32_e32 v2, 1
	s_and_saveexec_b64 s[36:37], vcc
	s_cbranch_execz .LBB405_425
; %bb.422:                              ;   in Loop: Header=BB405_10 Depth=1
	v_and_b32_e32 v4, 0x7f, v30
	v_cmp_ne_u32_e32 vcc, s41, v4
	v_mov_b32_e32 v2, 0x7f800001
	s_and_saveexec_b64 s[38:39], vcc
	s_cbranch_execz .LBB405_424
; %bb.423:                              ;   in Loop: Header=BB405_10 Depth=1
	v_and_b32_e32 v2, 7, v30
	v_lshrrev_b32_e32 v6, 3, v4
	v_cmp_gt_u32_e32 vcc, 8, v4
	v_ffbh_u32_e32 v4, v2
	v_min_u32_e32 v7, 32, v4
	v_subrev_u32_e32 v4, 28, v7
	v_lshlrev_b64 v[4:5], v4, v[30:31]
	v_sub_u32_e32 v5, 29, v7
	v_and_b32_e32 v4, 7, v4
	v_cndmask_b32_e32 v5, v6, v5, vcc
	v_cndmask_b32_e32 v2, v2, v4, vcc
	v_lshlrev_b32_e32 v4, 16, v28
	v_lshlrev_b32_e32 v2, 20, v2
	v_and_b32_e32 v4, 0x80000000, v4
	v_lshl_add_u32 v5, v5, 23, v0
	v_or3_b32 v2, v4, v5, v2
.LBB405_424:                            ;   in Loop: Header=BB405_10 Depth=1
	s_or_b64 exec, exec, s[38:39]
.LBB405_425:                            ;   in Loop: Header=BB405_10 Depth=1
	s_or_b64 exec, exec, s[36:37]
.LBB405_426:                            ;   in Loop: Header=BB405_10 Depth=1
	s_or_b64 exec, exec, s[34:35]
	v_mul_f32_e32 v2, v62, v2
	v_and_b32_e32 v4, 0x7f800000, v2
	v_cmp_ne_u32_e32 vcc, s42, v4
                                        ; implicit-def: $agpr9
	s_and_saveexec_b64 s[34:35], vcc
	s_xor_b64 vcc, exec, s[34:35]
; %bb.427:                              ;   in Loop: Header=BB405_10 Depth=1
	v_bfe_u32 v4, v2, 16, 1
	v_add3_u32 v2, v2, v4, s43
	v_accvgpr_write_b32 a9, v2
                                        ; implicit-def: $vgpr2
; %bb.428:                              ;   in Loop: Header=BB405_10 Depth=1
	s_andn2_saveexec_b64 s[34:35], vcc
; %bb.429:                              ;   in Loop: Header=BB405_10 Depth=1
	v_or_b32_e32 v4, 0x10000, v2
	v_cmp_eq_u32_sdwa vcc, v2, v1 src0_sel:WORD_0 src1_sel:DWORD
	v_cndmask_b32_e32 v2, v4, v2, vcc
	v_accvgpr_write_b32 a9, v2
; %bb.430:                              ;   in Loop: Header=BB405_10 Depth=1
	s_or_b64 exec, exec, s[34:35]
	v_lshrrev_b32_e32 v30, 16, v28
	v_cmp_ne_u16_sdwa vcc, v30, v1 src0_sel:BYTE_0 src1_sel:DWORD
	v_mov_b32_e32 v2, 0
	s_and_saveexec_b64 s[34:35], vcc
	s_cbranch_execz .LBB405_436
; %bb.431:                              ;   in Loop: Header=BB405_10 Depth=1
	v_cmp_ne_u16_sdwa vcc, v30, s25 src0_sel:BYTE_0 src1_sel:DWORD
	v_bfrev_b32_e32 v2, 1
	s_and_saveexec_b64 s[36:37], vcc
	s_cbranch_execz .LBB405_435
; %bb.432:                              ;   in Loop: Header=BB405_10 Depth=1
	v_bfe_u32 v4, v28, 16, 7
	v_cmp_ne_u32_e32 vcc, s41, v4
	v_mov_b32_e32 v2, 0x7f800001
	s_and_saveexec_b64 s[38:39], vcc
	s_cbranch_execz .LBB405_434
; %bb.433:                              ;   in Loop: Header=BB405_10 Depth=1
	v_and_b32_e32 v2, 7, v30
	v_lshrrev_b32_e32 v6, 3, v4
	v_cmp_gt_u32_e32 vcc, 8, v4
	v_ffbh_u32_e32 v4, v2
	v_min_u32_e32 v7, 32, v4
	v_subrev_u32_e32 v4, 28, v7
	v_lshlrev_b64 v[4:5], v4, v[30:31]
	v_sub_u32_e32 v5, 29, v7
	v_and_b32_e32 v4, 7, v4
	v_cndmask_b32_e32 v5, v6, v5, vcc
	v_cndmask_b32_e32 v2, v2, v4, vcc
	v_lshlrev_b32_e32 v4, 24, v30
	v_lshlrev_b32_e32 v2, 20, v2
	v_and_b32_e32 v4, 0x80000000, v4
	v_lshl_add_u32 v5, v5, 23, v0
	v_or3_b32 v2, v4, v5, v2
.LBB405_434:                            ;   in Loop: Header=BB405_10 Depth=1
	s_or_b64 exec, exec, s[38:39]
.LBB405_435:                            ;   in Loop: Header=BB405_10 Depth=1
	s_or_b64 exec, exec, s[36:37]
.LBB405_436:                            ;   in Loop: Header=BB405_10 Depth=1
	s_or_b64 exec, exec, s[34:35]
	v_mul_f32_e32 v2, v62, v2
	v_and_b32_e32 v4, 0x7f800000, v2
	v_cmp_ne_u32_e32 vcc, s42, v4
                                        ; implicit-def: $agpr10
	s_and_saveexec_b64 s[34:35], vcc
	s_xor_b64 vcc, exec, s[34:35]
; %bb.437:                              ;   in Loop: Header=BB405_10 Depth=1
	v_bfe_u32 v4, v2, 16, 1
	v_add3_u32 v2, v2, v4, s43
	v_accvgpr_write_b32 a10, v2
                                        ; implicit-def: $vgpr2
; %bb.438:                              ;   in Loop: Header=BB405_10 Depth=1
	s_andn2_saveexec_b64 s[34:35], vcc
; %bb.439:                              ;   in Loop: Header=BB405_10 Depth=1
	v_or_b32_e32 v4, 0x10000, v2
	v_cmp_eq_u32_sdwa vcc, v2, v1 src0_sel:WORD_0 src1_sel:DWORD
	v_cndmask_b32_e32 v2, v4, v2, vcc
	v_accvgpr_write_b32 a10, v2
; %bb.440:                              ;   in Loop: Header=BB405_10 Depth=1
	s_or_b64 exec, exec, s[34:35]
	v_cmp_lt_u32_e32 vcc, s44, v28
	v_mov_b32_e32 v2, 0
	s_and_saveexec_b64 s[34:35], vcc
	s_cbranch_execz .LBB405_446
; %bb.441:                              ;   in Loop: Header=BB405_10 Depth=1
	v_lshrrev_b32_e32 v30, 24, v28
	v_cmp_ne_u32_e32 vcc, s25, v30
	v_bfrev_b32_e32 v2, 1
	s_and_saveexec_b64 s[36:37], vcc
	s_cbranch_execz .LBB405_445
; %bb.442:                              ;   in Loop: Header=BB405_10 Depth=1
	v_bfe_u32 v4, v28, 24, 7
	v_cmp_ne_u32_e32 vcc, s41, v4
	v_mov_b32_e32 v2, 0x7f800001
	s_and_saveexec_b64 s[38:39], vcc
	s_cbranch_execz .LBB405_444
; %bb.443:                              ;   in Loop: Header=BB405_10 Depth=1
	v_and_b32_e32 v2, 7, v30
	v_lshrrev_b32_e32 v6, 3, v4
	v_cmp_gt_u32_e32 vcc, 8, v4
	v_ffbh_u32_e32 v4, v2
	v_min_u32_e32 v7, 32, v4
	v_subrev_u32_e32 v4, 28, v7
	v_lshlrev_b64 v[4:5], v4, v[30:31]
	v_sub_u32_e32 v5, 29, v7
	v_and_b32_e32 v4, 7, v4
	v_cndmask_b32_e32 v5, v6, v5, vcc
	v_cndmask_b32_e32 v2, v2, v4, vcc
	v_lshlrev_b32_e32 v4, 24, v30
	v_lshlrev_b32_e32 v2, 20, v2
	v_and_b32_e32 v4, 0x80000000, v4
	v_lshl_add_u32 v5, v5, 23, v0
	v_or3_b32 v2, v4, v5, v2
.LBB405_444:                            ;   in Loop: Header=BB405_10 Depth=1
	s_or_b64 exec, exec, s[38:39]
.LBB405_445:                            ;   in Loop: Header=BB405_10 Depth=1
	s_or_b64 exec, exec, s[36:37]
.LBB405_446:                            ;   in Loop: Header=BB405_10 Depth=1
	s_or_b64 exec, exec, s[34:35]
	v_mul_f32_e32 v2, v62, v2
	v_and_b32_e32 v4, 0x7f800000, v2
	v_cmp_ne_u32_e32 vcc, s42, v4
                                        ; implicit-def: $agpr8
	s_and_saveexec_b64 s[34:35], vcc
	s_xor_b64 vcc, exec, s[34:35]
; %bb.447:                              ;   in Loop: Header=BB405_10 Depth=1
	v_bfe_u32 v4, v2, 16, 1
	v_add3_u32 v2, v2, v4, s43
	v_accvgpr_write_b32 a8, v2
                                        ; implicit-def: $vgpr2
; %bb.448:                              ;   in Loop: Header=BB405_10 Depth=1
	s_andn2_saveexec_b64 s[34:35], vcc
; %bb.449:                              ;   in Loop: Header=BB405_10 Depth=1
	v_or_b32_e32 v4, 0x10000, v2
	v_cmp_eq_u32_sdwa vcc, v2, v1 src0_sel:WORD_0 src1_sel:DWORD
	v_cndmask_b32_e32 v2, v4, v2, vcc
	v_accvgpr_write_b32 a8, v2
; %bb.450:                              ;   in Loop: Header=BB405_10 Depth=1
	s_or_b64 exec, exec, s[34:35]
	flat_load_dword v28, v[20:21] offset:2568
	v_mov_b32_e32 v2, 0
	s_waitcnt vmcnt(0) lgkmcnt(0)
	v_cmp_ne_u16_sdwa vcc, v28, v1 src0_sel:BYTE_0 src1_sel:DWORD
	s_and_saveexec_b64 s[34:35], vcc
	s_cbranch_execz .LBB405_456
; %bb.451:                              ;   in Loop: Header=BB405_10 Depth=1
	v_cmp_ne_u16_sdwa vcc, v28, s25 src0_sel:BYTE_0 src1_sel:DWORD
	v_bfrev_b32_e32 v2, 1
	s_and_saveexec_b64 s[36:37], vcc
	s_cbranch_execz .LBB405_455
; %bb.452:                              ;   in Loop: Header=BB405_10 Depth=1
	v_and_b32_e32 v4, 0x7f, v28
	v_cmp_ne_u32_e32 vcc, s41, v4
	v_mov_b32_e32 v2, 0x7f800001
	s_and_saveexec_b64 s[38:39], vcc
	s_cbranch_execz .LBB405_454
; %bb.453:                              ;   in Loop: Header=BB405_10 Depth=1
	v_and_b32_e32 v2, 7, v28
	v_lshrrev_b32_e32 v6, 3, v4
	v_cmp_gt_u32_e32 vcc, 8, v4
	v_ffbh_u32_e32 v4, v2
	v_min_u32_e32 v7, 32, v4
	v_subrev_u32_e32 v4, 28, v7
	v_lshlrev_b64 v[4:5], v4, v[28:29]
	v_sub_u32_e32 v5, 29, v7
	v_and_b32_e32 v4, 7, v4
	v_cndmask_b32_e32 v5, v6, v5, vcc
	v_cndmask_b32_e32 v2, v2, v4, vcc
	v_lshlrev_b32_e32 v4, 24, v28
	v_lshlrev_b32_e32 v2, 20, v2
	v_and_b32_e32 v4, 0x80000000, v4
	v_lshl_add_u32 v5, v5, 23, v0
	v_or3_b32 v2, v4, v5, v2
.LBB405_454:                            ;   in Loop: Header=BB405_10 Depth=1
	s_or_b64 exec, exec, s[38:39]
.LBB405_455:                            ;   in Loop: Header=BB405_10 Depth=1
	s_or_b64 exec, exec, s[36:37]
.LBB405_456:                            ;   in Loop: Header=BB405_10 Depth=1
	s_or_b64 exec, exec, s[34:35]
	v_mul_f32_e32 v2, v62, v2
	v_and_b32_e32 v4, 0x7f800000, v2
	v_cmp_ne_u32_e32 vcc, s42, v4
                                        ; implicit-def: $agpr17
	s_and_saveexec_b64 s[34:35], vcc
	s_xor_b64 vcc, exec, s[34:35]
; %bb.457:                              ;   in Loop: Header=BB405_10 Depth=1
	v_bfe_u32 v4, v2, 16, 1
	v_add3_u32 v2, v2, v4, s43
	v_accvgpr_write_b32 a17, v2
                                        ; implicit-def: $vgpr2
; %bb.458:                              ;   in Loop: Header=BB405_10 Depth=1
	s_andn2_saveexec_b64 s[34:35], vcc
; %bb.459:                              ;   in Loop: Header=BB405_10 Depth=1
	v_or_b32_e32 v4, 0x10000, v2
	v_cmp_eq_u32_sdwa vcc, v2, v1 src0_sel:WORD_0 src1_sel:DWORD
	v_cndmask_b32_e32 v2, v4, v2, vcc
	v_accvgpr_write_b32 a17, v2
; %bb.460:                              ;   in Loop: Header=BB405_10 Depth=1
	s_or_b64 exec, exec, s[34:35]
	v_lshrrev_b16_e32 v30, 8, v28
	v_cmp_ne_u16_e32 vcc, 0, v30
	v_mov_b32_e32 v2, 0
	s_and_saveexec_b64 s[34:35], vcc
	s_cbranch_execz .LBB405_466
; %bb.461:                              ;   in Loop: Header=BB405_10 Depth=1
	v_cmp_ne_u16_e32 vcc, s25, v30
	v_bfrev_b32_e32 v2, 1
	s_and_saveexec_b64 s[36:37], vcc
	s_cbranch_execz .LBB405_465
; %bb.462:                              ;   in Loop: Header=BB405_10 Depth=1
	v_and_b32_e32 v4, 0x7f, v30
	v_cmp_ne_u32_e32 vcc, s41, v4
	v_mov_b32_e32 v2, 0x7f800001
	s_and_saveexec_b64 s[38:39], vcc
	s_cbranch_execz .LBB405_464
; %bb.463:                              ;   in Loop: Header=BB405_10 Depth=1
	v_and_b32_e32 v2, 7, v30
	v_lshrrev_b32_e32 v6, 3, v4
	v_cmp_gt_u32_e32 vcc, 8, v4
	v_ffbh_u32_e32 v4, v2
	v_min_u32_e32 v7, 32, v4
	v_subrev_u32_e32 v4, 28, v7
	v_lshlrev_b64 v[4:5], v4, v[30:31]
	v_sub_u32_e32 v5, 29, v7
	v_and_b32_e32 v4, 7, v4
	v_cndmask_b32_e32 v5, v6, v5, vcc
	v_cndmask_b32_e32 v2, v2, v4, vcc
	v_lshlrev_b32_e32 v4, 16, v28
	v_lshlrev_b32_e32 v2, 20, v2
	v_and_b32_e32 v4, 0x80000000, v4
	v_lshl_add_u32 v5, v5, 23, v0
	v_or3_b32 v2, v4, v5, v2
.LBB405_464:                            ;   in Loop: Header=BB405_10 Depth=1
	s_or_b64 exec, exec, s[38:39]
.LBB405_465:                            ;   in Loop: Header=BB405_10 Depth=1
	s_or_b64 exec, exec, s[36:37]
.LBB405_466:                            ;   in Loop: Header=BB405_10 Depth=1
	s_or_b64 exec, exec, s[34:35]
	v_mul_f32_e32 v2, v62, v2
	v_and_b32_e32 v4, 0x7f800000, v2
	v_cmp_ne_u32_e32 vcc, s42, v4
                                        ; implicit-def: $agpr12
	s_and_saveexec_b64 s[34:35], vcc
	s_xor_b64 vcc, exec, s[34:35]
; %bb.467:                              ;   in Loop: Header=BB405_10 Depth=1
	v_bfe_u32 v4, v2, 16, 1
	v_add3_u32 v2, v2, v4, s43
	v_accvgpr_write_b32 a12, v2
                                        ; implicit-def: $vgpr2
; %bb.468:                              ;   in Loop: Header=BB405_10 Depth=1
	s_andn2_saveexec_b64 s[34:35], vcc
; %bb.469:                              ;   in Loop: Header=BB405_10 Depth=1
	v_or_b32_e32 v4, 0x10000, v2
	v_cmp_eq_u32_sdwa vcc, v2, v1 src0_sel:WORD_0 src1_sel:DWORD
	v_cndmask_b32_e32 v2, v4, v2, vcc
	v_accvgpr_write_b32 a12, v2
; %bb.470:                              ;   in Loop: Header=BB405_10 Depth=1
	s_or_b64 exec, exec, s[34:35]
	v_lshrrev_b32_e32 v30, 16, v28
	v_cmp_ne_u16_sdwa vcc, v30, v1 src0_sel:BYTE_0 src1_sel:DWORD
	v_mov_b32_e32 v2, 0
	s_and_saveexec_b64 s[34:35], vcc
	s_cbranch_execz .LBB405_476
; %bb.471:                              ;   in Loop: Header=BB405_10 Depth=1
	v_cmp_ne_u16_sdwa vcc, v30, s25 src0_sel:BYTE_0 src1_sel:DWORD
	v_bfrev_b32_e32 v2, 1
	s_and_saveexec_b64 s[36:37], vcc
	s_cbranch_execz .LBB405_475
; %bb.472:                              ;   in Loop: Header=BB405_10 Depth=1
	v_bfe_u32 v4, v28, 16, 7
	v_cmp_ne_u32_e32 vcc, s41, v4
	v_mov_b32_e32 v2, 0x7f800001
	s_and_saveexec_b64 s[38:39], vcc
	s_cbranch_execz .LBB405_474
; %bb.473:                              ;   in Loop: Header=BB405_10 Depth=1
	v_and_b32_e32 v2, 7, v30
	v_lshrrev_b32_e32 v6, 3, v4
	v_cmp_gt_u32_e32 vcc, 8, v4
	v_ffbh_u32_e32 v4, v2
	v_min_u32_e32 v7, 32, v4
	v_subrev_u32_e32 v4, 28, v7
	v_lshlrev_b64 v[4:5], v4, v[30:31]
	v_sub_u32_e32 v5, 29, v7
	v_and_b32_e32 v4, 7, v4
	v_cndmask_b32_e32 v5, v6, v5, vcc
	v_cndmask_b32_e32 v2, v2, v4, vcc
	v_lshlrev_b32_e32 v4, 24, v30
	v_lshlrev_b32_e32 v2, 20, v2
	v_and_b32_e32 v4, 0x80000000, v4
	v_lshl_add_u32 v5, v5, 23, v0
	v_or3_b32 v2, v4, v5, v2
.LBB405_474:                            ;   in Loop: Header=BB405_10 Depth=1
	s_or_b64 exec, exec, s[38:39]
.LBB405_475:                            ;   in Loop: Header=BB405_10 Depth=1
	s_or_b64 exec, exec, s[36:37]
.LBB405_476:                            ;   in Loop: Header=BB405_10 Depth=1
	s_or_b64 exec, exec, s[34:35]
	v_mul_f32_e32 v2, v62, v2
	v_and_b32_e32 v4, 0x7f800000, v2
	v_cmp_ne_u32_e32 vcc, s42, v4
                                        ; implicit-def: $agpr13
	s_and_saveexec_b64 s[34:35], vcc
	s_xor_b64 vcc, exec, s[34:35]
; %bb.477:                              ;   in Loop: Header=BB405_10 Depth=1
	v_bfe_u32 v4, v2, 16, 1
	v_add3_u32 v2, v2, v4, s43
	v_accvgpr_write_b32 a13, v2
                                        ; implicit-def: $vgpr2
; %bb.478:                              ;   in Loop: Header=BB405_10 Depth=1
	s_andn2_saveexec_b64 s[34:35], vcc
; %bb.479:                              ;   in Loop: Header=BB405_10 Depth=1
	v_or_b32_e32 v4, 0x10000, v2
	v_cmp_eq_u32_sdwa vcc, v2, v1 src0_sel:WORD_0 src1_sel:DWORD
	v_cndmask_b32_e32 v2, v4, v2, vcc
	v_accvgpr_write_b32 a13, v2
; %bb.480:                              ;   in Loop: Header=BB405_10 Depth=1
	s_or_b64 exec, exec, s[34:35]
	v_cmp_lt_u32_e32 vcc, s44, v28
	v_mov_b32_e32 v2, 0
	s_and_saveexec_b64 s[34:35], vcc
	s_cbranch_execz .LBB405_486
; %bb.481:                              ;   in Loop: Header=BB405_10 Depth=1
	v_lshrrev_b32_e32 v30, 24, v28
	v_cmp_ne_u32_e32 vcc, s25, v30
	v_bfrev_b32_e32 v2, 1
	s_and_saveexec_b64 s[36:37], vcc
	s_cbranch_execz .LBB405_485
; %bb.482:                              ;   in Loop: Header=BB405_10 Depth=1
	v_bfe_u32 v4, v28, 24, 7
	v_cmp_ne_u32_e32 vcc, s41, v4
	v_mov_b32_e32 v2, 0x7f800001
	s_and_saveexec_b64 s[38:39], vcc
	s_cbranch_execz .LBB405_484
; %bb.483:                              ;   in Loop: Header=BB405_10 Depth=1
	v_and_b32_e32 v2, 7, v30
	v_lshrrev_b32_e32 v6, 3, v4
	v_cmp_gt_u32_e32 vcc, 8, v4
	v_ffbh_u32_e32 v4, v2
	v_min_u32_e32 v7, 32, v4
	v_subrev_u32_e32 v4, 28, v7
	v_lshlrev_b64 v[4:5], v4, v[30:31]
	v_sub_u32_e32 v5, 29, v7
	v_and_b32_e32 v4, 7, v4
	v_cndmask_b32_e32 v5, v6, v5, vcc
	v_cndmask_b32_e32 v2, v2, v4, vcc
	v_lshlrev_b32_e32 v4, 24, v30
	v_lshlrev_b32_e32 v2, 20, v2
	v_and_b32_e32 v4, 0x80000000, v4
	v_lshl_add_u32 v5, v5, 23, v0
	v_or3_b32 v2, v4, v5, v2
.LBB405_484:                            ;   in Loop: Header=BB405_10 Depth=1
	s_or_b64 exec, exec, s[38:39]
.LBB405_485:                            ;   in Loop: Header=BB405_10 Depth=1
	s_or_b64 exec, exec, s[36:37]
.LBB405_486:                            ;   in Loop: Header=BB405_10 Depth=1
	s_or_b64 exec, exec, s[34:35]
	v_mul_f32_e32 v2, v62, v2
	v_and_b32_e32 v4, 0x7f800000, v2
	v_cmp_ne_u32_e32 vcc, s42, v4
                                        ; implicit-def: $agpr2
	s_and_saveexec_b64 s[34:35], vcc
	s_xor_b64 vcc, exec, s[34:35]
; %bb.487:                              ;   in Loop: Header=BB405_10 Depth=1
	v_bfe_u32 v4, v2, 16, 1
	v_add3_u32 v2, v2, v4, s43
	v_accvgpr_write_b32 a2, v2
                                        ; implicit-def: $vgpr2
; %bb.488:                              ;   in Loop: Header=BB405_10 Depth=1
	s_andn2_saveexec_b64 s[34:35], vcc
; %bb.489:                              ;   in Loop: Header=BB405_10 Depth=1
	v_or_b32_e32 v4, 0x10000, v2
	v_cmp_eq_u32_sdwa vcc, v2, v1 src0_sel:WORD_0 src1_sel:DWORD
	v_cndmask_b32_e32 v2, v4, v2, vcc
	v_accvgpr_write_b32 a2, v2
; %bb.490:                              ;   in Loop: Header=BB405_10 Depth=1
	s_or_b64 exec, exec, s[34:35]
	flat_load_dword v28, v[20:21] offset:3072
	v_mov_b32_e32 v2, 0
	s_waitcnt vmcnt(0) lgkmcnt(0)
	v_cmp_ne_u16_sdwa vcc, v28, v1 src0_sel:BYTE_0 src1_sel:DWORD
	s_and_saveexec_b64 s[34:35], vcc
	s_cbranch_execz .LBB405_496
; %bb.491:                              ;   in Loop: Header=BB405_10 Depth=1
	v_cmp_ne_u16_sdwa vcc, v28, s25 src0_sel:BYTE_0 src1_sel:DWORD
	v_bfrev_b32_e32 v2, 1
	s_and_saveexec_b64 s[36:37], vcc
	s_cbranch_execz .LBB405_495
; %bb.492:                              ;   in Loop: Header=BB405_10 Depth=1
	v_and_b32_e32 v4, 0x7f, v28
	v_cmp_ne_u32_e32 vcc, s41, v4
	v_mov_b32_e32 v2, 0x7f800001
	s_and_saveexec_b64 s[38:39], vcc
	s_cbranch_execz .LBB405_494
; %bb.493:                              ;   in Loop: Header=BB405_10 Depth=1
	v_and_b32_e32 v2, 7, v28
	v_lshrrev_b32_e32 v6, 3, v4
	v_cmp_gt_u32_e32 vcc, 8, v4
	v_ffbh_u32_e32 v4, v2
	v_min_u32_e32 v7, 32, v4
	v_subrev_u32_e32 v4, 28, v7
	v_lshlrev_b64 v[4:5], v4, v[28:29]
	v_sub_u32_e32 v5, 29, v7
	v_and_b32_e32 v4, 7, v4
	v_cndmask_b32_e32 v5, v6, v5, vcc
	v_cndmask_b32_e32 v2, v2, v4, vcc
	v_lshlrev_b32_e32 v4, 24, v28
	v_lshlrev_b32_e32 v2, 20, v2
	v_and_b32_e32 v4, 0x80000000, v4
	v_lshl_add_u32 v5, v5, 23, v0
	v_or3_b32 v2, v4, v5, v2
.LBB405_494:                            ;   in Loop: Header=BB405_10 Depth=1
	s_or_b64 exec, exec, s[38:39]
.LBB405_495:                            ;   in Loop: Header=BB405_10 Depth=1
	s_or_b64 exec, exec, s[36:37]
.LBB405_496:                            ;   in Loop: Header=BB405_10 Depth=1
	s_or_b64 exec, exec, s[34:35]
	v_mul_f32_e32 v2, v62, v2
	v_and_b32_e32 v4, 0x7f800000, v2
	v_cmp_ne_u32_e32 vcc, s42, v4
                                        ; implicit-def: $agpr5
	s_and_saveexec_b64 s[34:35], vcc
	s_xor_b64 vcc, exec, s[34:35]
; %bb.497:                              ;   in Loop: Header=BB405_10 Depth=1
	v_bfe_u32 v4, v2, 16, 1
	v_add3_u32 v2, v2, v4, s43
	v_accvgpr_write_b32 a5, v2
                                        ; implicit-def: $vgpr2
; %bb.498:                              ;   in Loop: Header=BB405_10 Depth=1
	s_andn2_saveexec_b64 s[34:35], vcc
; %bb.499:                              ;   in Loop: Header=BB405_10 Depth=1
	v_or_b32_e32 v4, 0x10000, v2
	v_cmp_eq_u32_sdwa vcc, v2, v1 src0_sel:WORD_0 src1_sel:DWORD
	v_cndmask_b32_e32 v2, v4, v2, vcc
	v_accvgpr_write_b32 a5, v2
; %bb.500:                              ;   in Loop: Header=BB405_10 Depth=1
	s_or_b64 exec, exec, s[34:35]
	v_lshrrev_b16_e32 v30, 8, v28
	v_cmp_ne_u16_e32 vcc, 0, v30
	v_mov_b32_e32 v2, 0
	s_and_saveexec_b64 s[34:35], vcc
	s_cbranch_execz .LBB405_506
; %bb.501:                              ;   in Loop: Header=BB405_10 Depth=1
	v_cmp_ne_u16_e32 vcc, s25, v30
	v_bfrev_b32_e32 v2, 1
	s_and_saveexec_b64 s[36:37], vcc
	s_cbranch_execz .LBB405_505
; %bb.502:                              ;   in Loop: Header=BB405_10 Depth=1
	v_and_b32_e32 v4, 0x7f, v30
	v_cmp_ne_u32_e32 vcc, s41, v4
	v_mov_b32_e32 v2, 0x7f800001
	s_and_saveexec_b64 s[38:39], vcc
	s_cbranch_execz .LBB405_504
; %bb.503:                              ;   in Loop: Header=BB405_10 Depth=1
	v_and_b32_e32 v2, 7, v30
	v_lshrrev_b32_e32 v6, 3, v4
	v_cmp_gt_u32_e32 vcc, 8, v4
	v_ffbh_u32_e32 v4, v2
	v_min_u32_e32 v7, 32, v4
	v_subrev_u32_e32 v4, 28, v7
	v_lshlrev_b64 v[4:5], v4, v[30:31]
	v_sub_u32_e32 v5, 29, v7
	v_and_b32_e32 v4, 7, v4
	v_cndmask_b32_e32 v5, v6, v5, vcc
	v_cndmask_b32_e32 v2, v2, v4, vcc
	v_lshlrev_b32_e32 v4, 16, v28
	v_lshlrev_b32_e32 v2, 20, v2
	v_and_b32_e32 v4, 0x80000000, v4
	v_lshl_add_u32 v5, v5, 23, v0
	v_or3_b32 v2, v4, v5, v2
.LBB405_504:                            ;   in Loop: Header=BB405_10 Depth=1
	s_or_b64 exec, exec, s[38:39]
.LBB405_505:                            ;   in Loop: Header=BB405_10 Depth=1
	s_or_b64 exec, exec, s[36:37]
.LBB405_506:                            ;   in Loop: Header=BB405_10 Depth=1
	s_or_b64 exec, exec, s[34:35]
	v_mul_f32_e32 v2, v62, v2
	v_and_b32_e32 v4, 0x7f800000, v2
	v_cmp_ne_u32_e32 vcc, s42, v4
                                        ; implicit-def: $agpr3
	s_and_saveexec_b64 s[34:35], vcc
	s_xor_b64 vcc, exec, s[34:35]
; %bb.507:                              ;   in Loop: Header=BB405_10 Depth=1
	v_bfe_u32 v4, v2, 16, 1
	v_add3_u32 v2, v2, v4, s43
	v_accvgpr_write_b32 a3, v2
                                        ; implicit-def: $vgpr2
; %bb.508:                              ;   in Loop: Header=BB405_10 Depth=1
	s_andn2_saveexec_b64 s[34:35], vcc
; %bb.509:                              ;   in Loop: Header=BB405_10 Depth=1
	v_or_b32_e32 v4, 0x10000, v2
	v_cmp_eq_u32_sdwa vcc, v2, v1 src0_sel:WORD_0 src1_sel:DWORD
	v_cndmask_b32_e32 v2, v4, v2, vcc
	v_accvgpr_write_b32 a3, v2
; %bb.510:                              ;   in Loop: Header=BB405_10 Depth=1
	s_or_b64 exec, exec, s[34:35]
	v_lshrrev_b32_e32 v30, 16, v28
	v_cmp_ne_u16_sdwa vcc, v30, v1 src0_sel:BYTE_0 src1_sel:DWORD
	v_mov_b32_e32 v2, 0
	s_and_saveexec_b64 s[34:35], vcc
	s_cbranch_execz .LBB405_516
; %bb.511:                              ;   in Loop: Header=BB405_10 Depth=1
	v_cmp_ne_u16_sdwa vcc, v30, s25 src0_sel:BYTE_0 src1_sel:DWORD
	v_bfrev_b32_e32 v2, 1
	s_and_saveexec_b64 s[36:37], vcc
	s_cbranch_execz .LBB405_515
; %bb.512:                              ;   in Loop: Header=BB405_10 Depth=1
	v_bfe_u32 v4, v28, 16, 7
	v_cmp_ne_u32_e32 vcc, s41, v4
	v_mov_b32_e32 v2, 0x7f800001
	s_and_saveexec_b64 s[38:39], vcc
	s_cbranch_execz .LBB405_514
; %bb.513:                              ;   in Loop: Header=BB405_10 Depth=1
	v_and_b32_e32 v2, 7, v30
	v_lshrrev_b32_e32 v6, 3, v4
	v_cmp_gt_u32_e32 vcc, 8, v4
	v_ffbh_u32_e32 v4, v2
	v_min_u32_e32 v7, 32, v4
	v_subrev_u32_e32 v4, 28, v7
	v_lshlrev_b64 v[4:5], v4, v[30:31]
	v_sub_u32_e32 v5, 29, v7
	v_and_b32_e32 v4, 7, v4
	v_cndmask_b32_e32 v5, v6, v5, vcc
	v_cndmask_b32_e32 v2, v2, v4, vcc
	v_lshlrev_b32_e32 v4, 24, v30
	v_lshlrev_b32_e32 v2, 20, v2
	v_and_b32_e32 v4, 0x80000000, v4
	v_lshl_add_u32 v5, v5, 23, v0
	v_or3_b32 v2, v4, v5, v2
.LBB405_514:                            ;   in Loop: Header=BB405_10 Depth=1
	s_or_b64 exec, exec, s[38:39]
.LBB405_515:                            ;   in Loop: Header=BB405_10 Depth=1
	s_or_b64 exec, exec, s[36:37]
.LBB405_516:                            ;   in Loop: Header=BB405_10 Depth=1
	s_or_b64 exec, exec, s[34:35]
	v_mul_f32_e32 v2, v62, v2
	v_and_b32_e32 v4, 0x7f800000, v2
	v_cmp_ne_u32_e32 vcc, s42, v4
                                        ; implicit-def: $agpr24
	s_and_saveexec_b64 s[34:35], vcc
	s_xor_b64 vcc, exec, s[34:35]
; %bb.517:                              ;   in Loop: Header=BB405_10 Depth=1
	v_bfe_u32 v4, v2, 16, 1
	v_add3_u32 v2, v2, v4, s43
	v_accvgpr_write_b32 a24, v2
                                        ; implicit-def: $vgpr2
; %bb.518:                              ;   in Loop: Header=BB405_10 Depth=1
	s_andn2_saveexec_b64 s[34:35], vcc
; %bb.519:                              ;   in Loop: Header=BB405_10 Depth=1
	v_or_b32_e32 v4, 0x10000, v2
	v_cmp_eq_u32_sdwa vcc, v2, v1 src0_sel:WORD_0 src1_sel:DWORD
	v_cndmask_b32_e32 v2, v4, v2, vcc
	v_accvgpr_write_b32 a24, v2
; %bb.520:                              ;   in Loop: Header=BB405_10 Depth=1
	s_or_b64 exec, exec, s[34:35]
	v_cmp_lt_u32_e32 vcc, s44, v28
	v_mov_b32_e32 v2, 0
	s_and_saveexec_b64 s[34:35], vcc
	s_cbranch_execz .LBB405_526
; %bb.521:                              ;   in Loop: Header=BB405_10 Depth=1
	v_lshrrev_b32_e32 v30, 24, v28
	v_cmp_ne_u32_e32 vcc, s25, v30
	v_bfrev_b32_e32 v2, 1
	s_and_saveexec_b64 s[36:37], vcc
	s_cbranch_execz .LBB405_525
; %bb.522:                              ;   in Loop: Header=BB405_10 Depth=1
	v_bfe_u32 v4, v28, 24, 7
	v_cmp_ne_u32_e32 vcc, s41, v4
	v_mov_b32_e32 v2, 0x7f800001
	s_and_saveexec_b64 s[38:39], vcc
	s_cbranch_execz .LBB405_524
; %bb.523:                              ;   in Loop: Header=BB405_10 Depth=1
	v_and_b32_e32 v2, 7, v30
	v_lshrrev_b32_e32 v6, 3, v4
	v_cmp_gt_u32_e32 vcc, 8, v4
	v_ffbh_u32_e32 v4, v2
	v_min_u32_e32 v7, 32, v4
	v_subrev_u32_e32 v4, 28, v7
	v_lshlrev_b64 v[4:5], v4, v[30:31]
	v_sub_u32_e32 v5, 29, v7
	v_and_b32_e32 v4, 7, v4
	v_cndmask_b32_e32 v5, v6, v5, vcc
	v_cndmask_b32_e32 v2, v2, v4, vcc
	v_lshlrev_b32_e32 v4, 24, v30
	v_lshlrev_b32_e32 v2, 20, v2
	v_and_b32_e32 v4, 0x80000000, v4
	v_lshl_add_u32 v5, v5, 23, v0
	v_or3_b32 v2, v4, v5, v2
.LBB405_524:                            ;   in Loop: Header=BB405_10 Depth=1
	s_or_b64 exec, exec, s[38:39]
.LBB405_525:                            ;   in Loop: Header=BB405_10 Depth=1
	s_or_b64 exec, exec, s[36:37]
.LBB405_526:                            ;   in Loop: Header=BB405_10 Depth=1
	s_or_b64 exec, exec, s[34:35]
	v_mul_f32_e32 v2, v62, v2
	v_and_b32_e32 v4, 0x7f800000, v2
	v_cmp_ne_u32_e32 vcc, s42, v4
                                        ; implicit-def: $agpr25
	s_and_saveexec_b64 s[34:35], vcc
	s_xor_b64 vcc, exec, s[34:35]
; %bb.527:                              ;   in Loop: Header=BB405_10 Depth=1
	v_bfe_u32 v4, v2, 16, 1
	v_add3_u32 v2, v2, v4, s43
	v_accvgpr_write_b32 a25, v2
                                        ; implicit-def: $vgpr2
; %bb.528:                              ;   in Loop: Header=BB405_10 Depth=1
	s_andn2_saveexec_b64 s[34:35], vcc
; %bb.529:                              ;   in Loop: Header=BB405_10 Depth=1
	v_or_b32_e32 v4, 0x10000, v2
	v_cmp_eq_u32_sdwa vcc, v2, v1 src0_sel:WORD_0 src1_sel:DWORD
	v_cndmask_b32_e32 v2, v4, v2, vcc
	v_accvgpr_write_b32 a25, v2
; %bb.530:                              ;   in Loop: Header=BB405_10 Depth=1
	s_or_b64 exec, exec, s[34:35]
	flat_load_dword v28, v[20:21] offset:3080
	v_mov_b32_e32 v2, 0
	s_waitcnt vmcnt(0) lgkmcnt(0)
	v_cmp_ne_u16_sdwa vcc, v28, v1 src0_sel:BYTE_0 src1_sel:DWORD
	s_and_saveexec_b64 s[34:35], vcc
	s_cbranch_execz .LBB405_536
; %bb.531:                              ;   in Loop: Header=BB405_10 Depth=1
	v_cmp_ne_u16_sdwa vcc, v28, s25 src0_sel:BYTE_0 src1_sel:DWORD
	v_bfrev_b32_e32 v2, 1
	s_and_saveexec_b64 s[36:37], vcc
	s_cbranch_execz .LBB405_535
; %bb.532:                              ;   in Loop: Header=BB405_10 Depth=1
	v_and_b32_e32 v4, 0x7f, v28
	v_cmp_ne_u32_e32 vcc, s41, v4
	v_mov_b32_e32 v2, 0x7f800001
	s_and_saveexec_b64 s[38:39], vcc
	s_cbranch_execz .LBB405_534
; %bb.533:                              ;   in Loop: Header=BB405_10 Depth=1
	v_and_b32_e32 v2, 7, v28
	v_lshrrev_b32_e32 v6, 3, v4
	v_cmp_gt_u32_e32 vcc, 8, v4
	v_ffbh_u32_e32 v4, v2
	v_min_u32_e32 v7, 32, v4
	v_subrev_u32_e32 v4, 28, v7
	v_lshlrev_b64 v[4:5], v4, v[28:29]
	v_sub_u32_e32 v5, 29, v7
	v_and_b32_e32 v4, 7, v4
	v_cndmask_b32_e32 v5, v6, v5, vcc
	v_cndmask_b32_e32 v2, v2, v4, vcc
	v_lshlrev_b32_e32 v4, 24, v28
	v_lshlrev_b32_e32 v2, 20, v2
	v_and_b32_e32 v4, 0x80000000, v4
	v_lshl_add_u32 v5, v5, 23, v0
	v_or3_b32 v2, v4, v5, v2
.LBB405_534:                            ;   in Loop: Header=BB405_10 Depth=1
	s_or_b64 exec, exec, s[38:39]
.LBB405_535:                            ;   in Loop: Header=BB405_10 Depth=1
	s_or_b64 exec, exec, s[36:37]
.LBB405_536:                            ;   in Loop: Header=BB405_10 Depth=1
	s_or_b64 exec, exec, s[34:35]
	v_mul_f32_e32 v2, v62, v2
	v_and_b32_e32 v4, 0x7f800000, v2
	v_cmp_ne_u32_e32 vcc, s42, v4
                                        ; implicit-def: $agpr26
	s_and_saveexec_b64 s[34:35], vcc
	s_xor_b64 vcc, exec, s[34:35]
; %bb.537:                              ;   in Loop: Header=BB405_10 Depth=1
	v_bfe_u32 v4, v2, 16, 1
	v_add3_u32 v2, v2, v4, s43
	v_accvgpr_write_b32 a26, v2
                                        ; implicit-def: $vgpr2
; %bb.538:                              ;   in Loop: Header=BB405_10 Depth=1
	s_andn2_saveexec_b64 s[34:35], vcc
; %bb.539:                              ;   in Loop: Header=BB405_10 Depth=1
	v_or_b32_e32 v4, 0x10000, v2
	v_cmp_eq_u32_sdwa vcc, v2, v1 src0_sel:WORD_0 src1_sel:DWORD
	v_cndmask_b32_e32 v2, v4, v2, vcc
	v_accvgpr_write_b32 a26, v2
; %bb.540:                              ;   in Loop: Header=BB405_10 Depth=1
	s_or_b64 exec, exec, s[34:35]
	v_lshrrev_b16_e32 v30, 8, v28
	v_cmp_ne_u16_e32 vcc, 0, v30
	v_mov_b32_e32 v2, 0
	s_and_saveexec_b64 s[34:35], vcc
	s_cbranch_execz .LBB405_546
; %bb.541:                              ;   in Loop: Header=BB405_10 Depth=1
	v_cmp_ne_u16_e32 vcc, s25, v30
	v_bfrev_b32_e32 v2, 1
	s_and_saveexec_b64 s[36:37], vcc
	s_cbranch_execz .LBB405_545
; %bb.542:                              ;   in Loop: Header=BB405_10 Depth=1
	v_and_b32_e32 v4, 0x7f, v30
	v_cmp_ne_u32_e32 vcc, s41, v4
	v_mov_b32_e32 v2, 0x7f800001
	s_and_saveexec_b64 s[38:39], vcc
	s_cbranch_execz .LBB405_544
; %bb.543:                              ;   in Loop: Header=BB405_10 Depth=1
	v_and_b32_e32 v2, 7, v30
	v_lshrrev_b32_e32 v6, 3, v4
	v_cmp_gt_u32_e32 vcc, 8, v4
	v_ffbh_u32_e32 v4, v2
	v_min_u32_e32 v7, 32, v4
	v_subrev_u32_e32 v4, 28, v7
	v_lshlrev_b64 v[4:5], v4, v[30:31]
	v_sub_u32_e32 v5, 29, v7
	v_and_b32_e32 v4, 7, v4
	v_cndmask_b32_e32 v5, v6, v5, vcc
	v_cndmask_b32_e32 v2, v2, v4, vcc
	v_lshlrev_b32_e32 v4, 16, v28
	v_lshlrev_b32_e32 v2, 20, v2
	v_and_b32_e32 v4, 0x80000000, v4
	v_lshl_add_u32 v5, v5, 23, v0
	v_or3_b32 v2, v4, v5, v2
.LBB405_544:                            ;   in Loop: Header=BB405_10 Depth=1
	s_or_b64 exec, exec, s[38:39]
.LBB405_545:                            ;   in Loop: Header=BB405_10 Depth=1
	s_or_b64 exec, exec, s[36:37]
.LBB405_546:                            ;   in Loop: Header=BB405_10 Depth=1
	s_or_b64 exec, exec, s[34:35]
	v_mul_f32_e32 v2, v62, v2
	v_and_b32_e32 v4, 0x7f800000, v2
	v_cmp_ne_u32_e32 vcc, s42, v4
                                        ; implicit-def: $agpr27
	s_and_saveexec_b64 s[34:35], vcc
	s_xor_b64 vcc, exec, s[34:35]
; %bb.547:                              ;   in Loop: Header=BB405_10 Depth=1
	v_bfe_u32 v4, v2, 16, 1
	v_add3_u32 v2, v2, v4, s43
	v_accvgpr_write_b32 a27, v2
                                        ; implicit-def: $vgpr2
; %bb.548:                              ;   in Loop: Header=BB405_10 Depth=1
	s_andn2_saveexec_b64 s[34:35], vcc
; %bb.549:                              ;   in Loop: Header=BB405_10 Depth=1
	v_or_b32_e32 v4, 0x10000, v2
	v_cmp_eq_u32_sdwa vcc, v2, v1 src0_sel:WORD_0 src1_sel:DWORD
	v_cndmask_b32_e32 v2, v4, v2, vcc
	v_accvgpr_write_b32 a27, v2
; %bb.550:                              ;   in Loop: Header=BB405_10 Depth=1
	s_or_b64 exec, exec, s[34:35]
	v_lshrrev_b32_e32 v30, 16, v28
	v_cmp_ne_u16_sdwa vcc, v30, v1 src0_sel:BYTE_0 src1_sel:DWORD
	v_mov_b32_e32 v2, 0
	s_and_saveexec_b64 s[34:35], vcc
	s_cbranch_execz .LBB405_556
; %bb.551:                              ;   in Loop: Header=BB405_10 Depth=1
	v_cmp_ne_u16_sdwa vcc, v30, s25 src0_sel:BYTE_0 src1_sel:DWORD
	v_bfrev_b32_e32 v2, 1
	s_and_saveexec_b64 s[36:37], vcc
	s_cbranch_execz .LBB405_555
; %bb.552:                              ;   in Loop: Header=BB405_10 Depth=1
	v_bfe_u32 v4, v28, 16, 7
	v_cmp_ne_u32_e32 vcc, s41, v4
	v_mov_b32_e32 v2, 0x7f800001
	s_and_saveexec_b64 s[38:39], vcc
	s_cbranch_execz .LBB405_554
; %bb.553:                              ;   in Loop: Header=BB405_10 Depth=1
	v_and_b32_e32 v2, 7, v30
	v_lshrrev_b32_e32 v6, 3, v4
	v_cmp_gt_u32_e32 vcc, 8, v4
	v_ffbh_u32_e32 v4, v2
	v_min_u32_e32 v7, 32, v4
	v_subrev_u32_e32 v4, 28, v7
	v_lshlrev_b64 v[4:5], v4, v[30:31]
	v_sub_u32_e32 v5, 29, v7
	v_and_b32_e32 v4, 7, v4
	v_cndmask_b32_e32 v5, v6, v5, vcc
	v_cndmask_b32_e32 v2, v2, v4, vcc
	v_lshlrev_b32_e32 v4, 24, v30
	v_lshlrev_b32_e32 v2, 20, v2
	v_and_b32_e32 v4, 0x80000000, v4
	v_lshl_add_u32 v5, v5, 23, v0
	v_or3_b32 v2, v4, v5, v2
.LBB405_554:                            ;   in Loop: Header=BB405_10 Depth=1
	s_or_b64 exec, exec, s[38:39]
.LBB405_555:                            ;   in Loop: Header=BB405_10 Depth=1
	s_or_b64 exec, exec, s[36:37]
.LBB405_556:                            ;   in Loop: Header=BB405_10 Depth=1
	s_or_b64 exec, exec, s[34:35]
	v_mul_f32_e32 v2, v62, v2
	v_and_b32_e32 v4, 0x7f800000, v2
	v_cmp_ne_u32_e32 vcc, s42, v4
                                        ; implicit-def: $agpr28
	s_and_saveexec_b64 s[34:35], vcc
	s_xor_b64 vcc, exec, s[34:35]
; %bb.557:                              ;   in Loop: Header=BB405_10 Depth=1
	v_bfe_u32 v4, v2, 16, 1
	v_add3_u32 v2, v2, v4, s43
	v_accvgpr_write_b32 a28, v2
                                        ; implicit-def: $vgpr2
; %bb.558:                              ;   in Loop: Header=BB405_10 Depth=1
	s_andn2_saveexec_b64 s[34:35], vcc
; %bb.559:                              ;   in Loop: Header=BB405_10 Depth=1
	v_or_b32_e32 v4, 0x10000, v2
	v_cmp_eq_u32_sdwa vcc, v2, v1 src0_sel:WORD_0 src1_sel:DWORD
	v_cndmask_b32_e32 v2, v4, v2, vcc
	v_accvgpr_write_b32 a28, v2
; %bb.560:                              ;   in Loop: Header=BB405_10 Depth=1
	s_or_b64 exec, exec, s[34:35]
	v_cmp_lt_u32_e32 vcc, s44, v28
	v_mov_b32_e32 v2, 0
	s_and_saveexec_b64 s[34:35], vcc
	s_cbranch_execz .LBB405_566
; %bb.561:                              ;   in Loop: Header=BB405_10 Depth=1
	v_lshrrev_b32_e32 v30, 24, v28
	v_cmp_ne_u32_e32 vcc, s25, v30
	v_bfrev_b32_e32 v2, 1
	s_and_saveexec_b64 s[36:37], vcc
	s_cbranch_execz .LBB405_565
; %bb.562:                              ;   in Loop: Header=BB405_10 Depth=1
	v_bfe_u32 v4, v28, 24, 7
	v_cmp_ne_u32_e32 vcc, s41, v4
	v_mov_b32_e32 v2, 0x7f800001
	s_and_saveexec_b64 s[38:39], vcc
	s_cbranch_execz .LBB405_564
; %bb.563:                              ;   in Loop: Header=BB405_10 Depth=1
	v_and_b32_e32 v2, 7, v30
	v_lshrrev_b32_e32 v6, 3, v4
	v_cmp_gt_u32_e32 vcc, 8, v4
	v_ffbh_u32_e32 v4, v2
	v_min_u32_e32 v7, 32, v4
	v_subrev_u32_e32 v4, 28, v7
	v_lshlrev_b64 v[4:5], v4, v[30:31]
	v_sub_u32_e32 v5, 29, v7
	v_and_b32_e32 v4, 7, v4
	v_cndmask_b32_e32 v5, v6, v5, vcc
	v_cndmask_b32_e32 v2, v2, v4, vcc
	v_lshlrev_b32_e32 v4, 24, v30
	v_lshlrev_b32_e32 v2, 20, v2
	v_and_b32_e32 v4, 0x80000000, v4
	v_lshl_add_u32 v5, v5, 23, v0
	v_or3_b32 v2, v4, v5, v2
.LBB405_564:                            ;   in Loop: Header=BB405_10 Depth=1
	s_or_b64 exec, exec, s[38:39]
.LBB405_565:                            ;   in Loop: Header=BB405_10 Depth=1
	s_or_b64 exec, exec, s[36:37]
.LBB405_566:                            ;   in Loop: Header=BB405_10 Depth=1
	s_or_b64 exec, exec, s[34:35]
	v_mul_f32_e32 v2, v62, v2
	v_and_b32_e32 v4, 0x7f800000, v2
	v_cmp_ne_u32_e32 vcc, s42, v4
                                        ; implicit-def: $agpr29
	s_and_saveexec_b64 s[34:35], vcc
	s_xor_b64 vcc, exec, s[34:35]
; %bb.567:                              ;   in Loop: Header=BB405_10 Depth=1
	v_bfe_u32 v4, v2, 16, 1
	v_add3_u32 v2, v2, v4, s43
	v_accvgpr_write_b32 a29, v2
                                        ; implicit-def: $vgpr2
; %bb.568:                              ;   in Loop: Header=BB405_10 Depth=1
	s_andn2_saveexec_b64 s[34:35], vcc
; %bb.569:                              ;   in Loop: Header=BB405_10 Depth=1
	v_or_b32_e32 v4, 0x10000, v2
	v_cmp_eq_u32_sdwa vcc, v2, v1 src0_sel:WORD_0 src1_sel:DWORD
	v_cndmask_b32_e32 v2, v4, v2, vcc
	v_accvgpr_write_b32 a29, v2
; %bb.570:                              ;   in Loop: Header=BB405_10 Depth=1
	s_or_b64 exec, exec, s[34:35]
	flat_load_dword v28, v[20:21] offset:3584
	v_mov_b32_e32 v2, 0
	s_waitcnt vmcnt(0) lgkmcnt(0)
	v_cmp_ne_u16_sdwa vcc, v28, v1 src0_sel:BYTE_0 src1_sel:DWORD
	s_and_saveexec_b64 s[34:35], vcc
	s_cbranch_execz .LBB405_576
; %bb.571:                              ;   in Loop: Header=BB405_10 Depth=1
	v_cmp_ne_u16_sdwa vcc, v28, s25 src0_sel:BYTE_0 src1_sel:DWORD
	v_bfrev_b32_e32 v2, 1
	s_and_saveexec_b64 s[36:37], vcc
	s_cbranch_execz .LBB405_575
; %bb.572:                              ;   in Loop: Header=BB405_10 Depth=1
	v_and_b32_e32 v4, 0x7f, v28
	v_cmp_ne_u32_e32 vcc, s41, v4
	v_mov_b32_e32 v2, 0x7f800001
	s_and_saveexec_b64 s[38:39], vcc
	s_cbranch_execz .LBB405_574
; %bb.573:                              ;   in Loop: Header=BB405_10 Depth=1
	v_and_b32_e32 v2, 7, v28
	v_lshrrev_b32_e32 v6, 3, v4
	v_cmp_gt_u32_e32 vcc, 8, v4
	v_ffbh_u32_e32 v4, v2
	v_min_u32_e32 v7, 32, v4
	v_subrev_u32_e32 v4, 28, v7
	v_lshlrev_b64 v[4:5], v4, v[28:29]
	v_sub_u32_e32 v5, 29, v7
	v_and_b32_e32 v4, 7, v4
	v_cndmask_b32_e32 v5, v6, v5, vcc
	v_cndmask_b32_e32 v2, v2, v4, vcc
	v_lshlrev_b32_e32 v4, 24, v28
	v_lshlrev_b32_e32 v2, 20, v2
	v_and_b32_e32 v4, 0x80000000, v4
	v_lshl_add_u32 v5, v5, 23, v0
	v_or3_b32 v2, v4, v5, v2
.LBB405_574:                            ;   in Loop: Header=BB405_10 Depth=1
	s_or_b64 exec, exec, s[38:39]
.LBB405_575:                            ;   in Loop: Header=BB405_10 Depth=1
	s_or_b64 exec, exec, s[36:37]
.LBB405_576:                            ;   in Loop: Header=BB405_10 Depth=1
	s_or_b64 exec, exec, s[34:35]
	v_mul_f32_e32 v2, v62, v2
	v_and_b32_e32 v4, 0x7f800000, v2
	v_cmp_ne_u32_e32 vcc, s42, v4
                                        ; implicit-def: $agpr30
	s_and_saveexec_b64 s[34:35], vcc
	s_xor_b64 vcc, exec, s[34:35]
; %bb.577:                              ;   in Loop: Header=BB405_10 Depth=1
	v_bfe_u32 v4, v2, 16, 1
	v_add3_u32 v2, v2, v4, s43
	v_accvgpr_write_b32 a30, v2
                                        ; implicit-def: $vgpr2
; %bb.578:                              ;   in Loop: Header=BB405_10 Depth=1
	s_andn2_saveexec_b64 s[34:35], vcc
; %bb.579:                              ;   in Loop: Header=BB405_10 Depth=1
	v_or_b32_e32 v4, 0x10000, v2
	v_cmp_eq_u32_sdwa vcc, v2, v1 src0_sel:WORD_0 src1_sel:DWORD
	v_cndmask_b32_e32 v2, v4, v2, vcc
	v_accvgpr_write_b32 a30, v2
; %bb.580:                              ;   in Loop: Header=BB405_10 Depth=1
	s_or_b64 exec, exec, s[34:35]
	v_lshrrev_b16_e32 v30, 8, v28
	v_cmp_ne_u16_e32 vcc, 0, v30
	v_mov_b32_e32 v2, 0
	s_and_saveexec_b64 s[34:35], vcc
	s_cbranch_execz .LBB405_586
; %bb.581:                              ;   in Loop: Header=BB405_10 Depth=1
	v_cmp_ne_u16_e32 vcc, s25, v30
	v_bfrev_b32_e32 v2, 1
	s_and_saveexec_b64 s[36:37], vcc
	s_cbranch_execz .LBB405_585
; %bb.582:                              ;   in Loop: Header=BB405_10 Depth=1
	v_and_b32_e32 v4, 0x7f, v30
	v_cmp_ne_u32_e32 vcc, s41, v4
	v_mov_b32_e32 v2, 0x7f800001
	s_and_saveexec_b64 s[38:39], vcc
	s_cbranch_execz .LBB405_584
; %bb.583:                              ;   in Loop: Header=BB405_10 Depth=1
	v_and_b32_e32 v2, 7, v30
	v_lshrrev_b32_e32 v6, 3, v4
	v_cmp_gt_u32_e32 vcc, 8, v4
	v_ffbh_u32_e32 v4, v2
	v_min_u32_e32 v7, 32, v4
	v_subrev_u32_e32 v4, 28, v7
	v_lshlrev_b64 v[4:5], v4, v[30:31]
	v_sub_u32_e32 v5, 29, v7
	v_and_b32_e32 v4, 7, v4
	v_cndmask_b32_e32 v5, v6, v5, vcc
	v_cndmask_b32_e32 v2, v2, v4, vcc
	v_lshlrev_b32_e32 v4, 16, v28
	v_lshlrev_b32_e32 v2, 20, v2
	v_and_b32_e32 v4, 0x80000000, v4
	v_lshl_add_u32 v5, v5, 23, v0
	v_or3_b32 v2, v4, v5, v2
.LBB405_584:                            ;   in Loop: Header=BB405_10 Depth=1
	s_or_b64 exec, exec, s[38:39]
.LBB405_585:                            ;   in Loop: Header=BB405_10 Depth=1
	s_or_b64 exec, exec, s[36:37]
.LBB405_586:                            ;   in Loop: Header=BB405_10 Depth=1
	s_or_b64 exec, exec, s[34:35]
	v_mul_f32_e32 v2, v62, v2
	v_and_b32_e32 v4, 0x7f800000, v2
	v_cmp_ne_u32_e32 vcc, s42, v4
                                        ; implicit-def: $agpr31
	s_and_saveexec_b64 s[34:35], vcc
	s_xor_b64 vcc, exec, s[34:35]
; %bb.587:                              ;   in Loop: Header=BB405_10 Depth=1
	v_bfe_u32 v4, v2, 16, 1
	v_add3_u32 v2, v2, v4, s43
	v_accvgpr_write_b32 a31, v2
                                        ; implicit-def: $vgpr2
; %bb.588:                              ;   in Loop: Header=BB405_10 Depth=1
	s_andn2_saveexec_b64 s[34:35], vcc
; %bb.589:                              ;   in Loop: Header=BB405_10 Depth=1
	v_or_b32_e32 v4, 0x10000, v2
	v_cmp_eq_u32_sdwa vcc, v2, v1 src0_sel:WORD_0 src1_sel:DWORD
	v_cndmask_b32_e32 v2, v4, v2, vcc
	v_accvgpr_write_b32 a31, v2
; %bb.590:                              ;   in Loop: Header=BB405_10 Depth=1
	s_or_b64 exec, exec, s[34:35]
	v_lshrrev_b32_e32 v30, 16, v28
	v_cmp_ne_u16_sdwa vcc, v30, v1 src0_sel:BYTE_0 src1_sel:DWORD
	v_mov_b32_e32 v2, 0
	s_and_saveexec_b64 s[34:35], vcc
	s_cbranch_execz .LBB405_596
; %bb.591:                              ;   in Loop: Header=BB405_10 Depth=1
	v_cmp_ne_u16_sdwa vcc, v30, s25 src0_sel:BYTE_0 src1_sel:DWORD
	v_bfrev_b32_e32 v2, 1
	s_and_saveexec_b64 s[36:37], vcc
	s_cbranch_execz .LBB405_595
; %bb.592:                              ;   in Loop: Header=BB405_10 Depth=1
	v_bfe_u32 v4, v28, 16, 7
	v_cmp_ne_u32_e32 vcc, s41, v4
	v_mov_b32_e32 v2, 0x7f800001
	s_and_saveexec_b64 s[38:39], vcc
	s_cbranch_execz .LBB405_594
; %bb.593:                              ;   in Loop: Header=BB405_10 Depth=1
	v_and_b32_e32 v2, 7, v30
	v_lshrrev_b32_e32 v6, 3, v4
	v_cmp_gt_u32_e32 vcc, 8, v4
	v_ffbh_u32_e32 v4, v2
	v_min_u32_e32 v7, 32, v4
	v_subrev_u32_e32 v4, 28, v7
	v_lshlrev_b64 v[4:5], v4, v[30:31]
	v_sub_u32_e32 v5, 29, v7
	v_and_b32_e32 v4, 7, v4
	v_cndmask_b32_e32 v5, v6, v5, vcc
	v_cndmask_b32_e32 v2, v2, v4, vcc
	v_lshlrev_b32_e32 v4, 24, v30
	v_lshlrev_b32_e32 v2, 20, v2
	v_and_b32_e32 v4, 0x80000000, v4
	v_lshl_add_u32 v5, v5, 23, v0
	v_or3_b32 v2, v4, v5, v2
.LBB405_594:                            ;   in Loop: Header=BB405_10 Depth=1
	s_or_b64 exec, exec, s[38:39]
.LBB405_595:                            ;   in Loop: Header=BB405_10 Depth=1
	s_or_b64 exec, exec, s[36:37]
.LBB405_596:                            ;   in Loop: Header=BB405_10 Depth=1
	s_or_b64 exec, exec, s[34:35]
	v_mul_f32_e32 v2, v62, v2
	v_and_b32_e32 v4, 0x7f800000, v2
	v_cmp_ne_u32_e32 vcc, s42, v4
                                        ; implicit-def: $agpr34
	s_and_saveexec_b64 s[34:35], vcc
	s_xor_b64 vcc, exec, s[34:35]
; %bb.597:                              ;   in Loop: Header=BB405_10 Depth=1
	v_bfe_u32 v4, v2, 16, 1
	v_add3_u32 v2, v2, v4, s43
	v_accvgpr_write_b32 a34, v2
                                        ; implicit-def: $vgpr2
; %bb.598:                              ;   in Loop: Header=BB405_10 Depth=1
	s_andn2_saveexec_b64 s[34:35], vcc
; %bb.599:                              ;   in Loop: Header=BB405_10 Depth=1
	v_or_b32_e32 v4, 0x10000, v2
	v_cmp_eq_u32_sdwa vcc, v2, v1 src0_sel:WORD_0 src1_sel:DWORD
	v_cndmask_b32_e32 v2, v4, v2, vcc
	v_accvgpr_write_b32 a34, v2
; %bb.600:                              ;   in Loop: Header=BB405_10 Depth=1
	s_or_b64 exec, exec, s[34:35]
	v_cmp_lt_u32_e32 vcc, s44, v28
	v_mov_b32_e32 v2, 0
	s_and_saveexec_b64 s[34:35], vcc
	s_cbranch_execz .LBB405_606
; %bb.601:                              ;   in Loop: Header=BB405_10 Depth=1
	v_lshrrev_b32_e32 v30, 24, v28
	v_cmp_ne_u32_e32 vcc, s25, v30
	v_bfrev_b32_e32 v2, 1
	s_and_saveexec_b64 s[36:37], vcc
	s_cbranch_execz .LBB405_605
; %bb.602:                              ;   in Loop: Header=BB405_10 Depth=1
	v_bfe_u32 v4, v28, 24, 7
	v_cmp_ne_u32_e32 vcc, s41, v4
	v_mov_b32_e32 v2, 0x7f800001
	s_and_saveexec_b64 s[38:39], vcc
	s_cbranch_execz .LBB405_604
; %bb.603:                              ;   in Loop: Header=BB405_10 Depth=1
	v_and_b32_e32 v2, 7, v30
	v_lshrrev_b32_e32 v6, 3, v4
	v_cmp_gt_u32_e32 vcc, 8, v4
	v_ffbh_u32_e32 v4, v2
	v_min_u32_e32 v7, 32, v4
	v_subrev_u32_e32 v4, 28, v7
	v_lshlrev_b64 v[4:5], v4, v[30:31]
	v_sub_u32_e32 v5, 29, v7
	v_and_b32_e32 v4, 7, v4
	v_cndmask_b32_e32 v5, v6, v5, vcc
	v_cndmask_b32_e32 v2, v2, v4, vcc
	v_lshlrev_b32_e32 v4, 24, v30
	v_lshlrev_b32_e32 v2, 20, v2
	v_and_b32_e32 v4, 0x80000000, v4
	v_lshl_add_u32 v5, v5, 23, v0
	v_or3_b32 v2, v4, v5, v2
.LBB405_604:                            ;   in Loop: Header=BB405_10 Depth=1
	s_or_b64 exec, exec, s[38:39]
.LBB405_605:                            ;   in Loop: Header=BB405_10 Depth=1
	s_or_b64 exec, exec, s[36:37]
.LBB405_606:                            ;   in Loop: Header=BB405_10 Depth=1
	s_or_b64 exec, exec, s[34:35]
	v_mul_f32_e32 v2, v62, v2
	v_and_b32_e32 v4, 0x7f800000, v2
	v_cmp_ne_u32_e32 vcc, s42, v4
                                        ; implicit-def: $agpr35
	s_and_saveexec_b64 s[34:35], vcc
	s_xor_b64 vcc, exec, s[34:35]
; %bb.607:                              ;   in Loop: Header=BB405_10 Depth=1
	v_bfe_u32 v4, v2, 16, 1
	v_add3_u32 v2, v2, v4, s43
	v_accvgpr_write_b32 a35, v2
                                        ; implicit-def: $vgpr2
; %bb.608:                              ;   in Loop: Header=BB405_10 Depth=1
	s_andn2_saveexec_b64 s[34:35], vcc
; %bb.609:                              ;   in Loop: Header=BB405_10 Depth=1
	v_or_b32_e32 v4, 0x10000, v2
	v_cmp_eq_u32_sdwa vcc, v2, v1 src0_sel:WORD_0 src1_sel:DWORD
	v_cndmask_b32_e32 v2, v4, v2, vcc
	v_accvgpr_write_b32 a35, v2
; %bb.610:                              ;   in Loop: Header=BB405_10 Depth=1
	s_or_b64 exec, exec, s[34:35]
	flat_load_dword v28, v[20:21] offset:3592
	v_mov_b32_e32 v2, 0
	s_waitcnt vmcnt(0) lgkmcnt(0)
	v_cmp_ne_u16_sdwa vcc, v28, v1 src0_sel:BYTE_0 src1_sel:DWORD
	s_and_saveexec_b64 s[34:35], vcc
	s_cbranch_execz .LBB405_616
; %bb.611:                              ;   in Loop: Header=BB405_10 Depth=1
	v_cmp_ne_u16_sdwa vcc, v28, s25 src0_sel:BYTE_0 src1_sel:DWORD
	v_bfrev_b32_e32 v2, 1
	s_and_saveexec_b64 s[36:37], vcc
	s_cbranch_execz .LBB405_615
; %bb.612:                              ;   in Loop: Header=BB405_10 Depth=1
	v_and_b32_e32 v4, 0x7f, v28
	v_cmp_ne_u32_e32 vcc, s41, v4
	v_mov_b32_e32 v2, 0x7f800001
	s_and_saveexec_b64 s[38:39], vcc
	s_cbranch_execz .LBB405_614
; %bb.613:                              ;   in Loop: Header=BB405_10 Depth=1
	v_and_b32_e32 v2, 7, v28
	v_lshrrev_b32_e32 v6, 3, v4
	v_cmp_gt_u32_e32 vcc, 8, v4
	v_ffbh_u32_e32 v4, v2
	v_min_u32_e32 v7, 32, v4
	v_subrev_u32_e32 v4, 28, v7
	v_lshlrev_b64 v[4:5], v4, v[28:29]
	v_sub_u32_e32 v5, 29, v7
	v_and_b32_e32 v4, 7, v4
	v_cndmask_b32_e32 v5, v6, v5, vcc
	v_cndmask_b32_e32 v2, v2, v4, vcc
	v_lshlrev_b32_e32 v4, 24, v28
	v_lshlrev_b32_e32 v2, 20, v2
	v_and_b32_e32 v4, 0x80000000, v4
	v_lshl_add_u32 v5, v5, 23, v0
	v_or3_b32 v2, v4, v5, v2
.LBB405_614:                            ;   in Loop: Header=BB405_10 Depth=1
	s_or_b64 exec, exec, s[38:39]
.LBB405_615:                            ;   in Loop: Header=BB405_10 Depth=1
	s_or_b64 exec, exec, s[36:37]
.LBB405_616:                            ;   in Loop: Header=BB405_10 Depth=1
	s_or_b64 exec, exec, s[34:35]
	v_mul_f32_e32 v2, v62, v2
	v_and_b32_e32 v4, 0x7f800000, v2
	v_cmp_ne_u32_e32 vcc, s42, v4
                                        ; implicit-def: $agpr36
	s_and_saveexec_b64 s[34:35], vcc
	s_xor_b64 vcc, exec, s[34:35]
; %bb.617:                              ;   in Loop: Header=BB405_10 Depth=1
	v_bfe_u32 v4, v2, 16, 1
	v_add3_u32 v2, v2, v4, s43
	v_accvgpr_write_b32 a36, v2
                                        ; implicit-def: $vgpr2
; %bb.618:                              ;   in Loop: Header=BB405_10 Depth=1
	s_andn2_saveexec_b64 s[34:35], vcc
; %bb.619:                              ;   in Loop: Header=BB405_10 Depth=1
	v_or_b32_e32 v4, 0x10000, v2
	v_cmp_eq_u32_sdwa vcc, v2, v1 src0_sel:WORD_0 src1_sel:DWORD
	v_cndmask_b32_e32 v2, v4, v2, vcc
	v_accvgpr_write_b32 a36, v2
; %bb.620:                              ;   in Loop: Header=BB405_10 Depth=1
	s_or_b64 exec, exec, s[34:35]
	v_lshrrev_b16_e32 v30, 8, v28
	v_cmp_ne_u16_e32 vcc, 0, v30
	v_mov_b32_e32 v2, 0
	s_and_saveexec_b64 s[34:35], vcc
	s_cbranch_execz .LBB405_626
; %bb.621:                              ;   in Loop: Header=BB405_10 Depth=1
	v_cmp_ne_u16_e32 vcc, s25, v30
	v_bfrev_b32_e32 v2, 1
	s_and_saveexec_b64 s[36:37], vcc
	s_cbranch_execz .LBB405_625
; %bb.622:                              ;   in Loop: Header=BB405_10 Depth=1
	v_and_b32_e32 v4, 0x7f, v30
	v_cmp_ne_u32_e32 vcc, s41, v4
	v_mov_b32_e32 v2, 0x7f800001
	s_and_saveexec_b64 s[38:39], vcc
	s_cbranch_execz .LBB405_624
; %bb.623:                              ;   in Loop: Header=BB405_10 Depth=1
	v_and_b32_e32 v2, 7, v30
	v_lshrrev_b32_e32 v6, 3, v4
	v_cmp_gt_u32_e32 vcc, 8, v4
	v_ffbh_u32_e32 v4, v2
	v_min_u32_e32 v7, 32, v4
	v_subrev_u32_e32 v4, 28, v7
	v_lshlrev_b64 v[4:5], v4, v[30:31]
	v_sub_u32_e32 v5, 29, v7
	v_and_b32_e32 v4, 7, v4
	v_cndmask_b32_e32 v5, v6, v5, vcc
	v_cndmask_b32_e32 v2, v2, v4, vcc
	v_lshlrev_b32_e32 v4, 16, v28
	v_lshlrev_b32_e32 v2, 20, v2
	v_and_b32_e32 v4, 0x80000000, v4
	v_lshl_add_u32 v5, v5, 23, v0
	v_or3_b32 v2, v4, v5, v2
.LBB405_624:                            ;   in Loop: Header=BB405_10 Depth=1
	s_or_b64 exec, exec, s[38:39]
.LBB405_625:                            ;   in Loop: Header=BB405_10 Depth=1
	s_or_b64 exec, exec, s[36:37]
.LBB405_626:                            ;   in Loop: Header=BB405_10 Depth=1
	s_or_b64 exec, exec, s[34:35]
	v_mul_f32_e32 v2, v62, v2
	v_and_b32_e32 v4, 0x7f800000, v2
	v_cmp_ne_u32_e32 vcc, s42, v4
                                        ; implicit-def: $agpr37
	s_and_saveexec_b64 s[34:35], vcc
	s_xor_b64 vcc, exec, s[34:35]
; %bb.627:                              ;   in Loop: Header=BB405_10 Depth=1
	v_bfe_u32 v4, v2, 16, 1
	v_add3_u32 v2, v2, v4, s43
	v_accvgpr_write_b32 a37, v2
                                        ; implicit-def: $vgpr2
; %bb.628:                              ;   in Loop: Header=BB405_10 Depth=1
	s_andn2_saveexec_b64 s[34:35], vcc
; %bb.629:                              ;   in Loop: Header=BB405_10 Depth=1
	v_or_b32_e32 v4, 0x10000, v2
	v_cmp_eq_u32_sdwa vcc, v2, v1 src0_sel:WORD_0 src1_sel:DWORD
	v_cndmask_b32_e32 v2, v4, v2, vcc
	v_accvgpr_write_b32 a37, v2
; %bb.630:                              ;   in Loop: Header=BB405_10 Depth=1
	s_or_b64 exec, exec, s[34:35]
	v_lshrrev_b32_e32 v30, 16, v28
	v_cmp_ne_u16_sdwa vcc, v30, v1 src0_sel:BYTE_0 src1_sel:DWORD
	v_mov_b32_e32 v2, 0
	s_and_saveexec_b64 s[34:35], vcc
	s_cbranch_execz .LBB405_636
; %bb.631:                              ;   in Loop: Header=BB405_10 Depth=1
	v_cmp_ne_u16_sdwa vcc, v30, s25 src0_sel:BYTE_0 src1_sel:DWORD
	v_bfrev_b32_e32 v2, 1
	s_and_saveexec_b64 s[36:37], vcc
	s_cbranch_execz .LBB405_635
; %bb.632:                              ;   in Loop: Header=BB405_10 Depth=1
	v_bfe_u32 v4, v28, 16, 7
	v_cmp_ne_u32_e32 vcc, s41, v4
	v_mov_b32_e32 v2, 0x7f800001
	s_and_saveexec_b64 s[38:39], vcc
	s_cbranch_execz .LBB405_634
; %bb.633:                              ;   in Loop: Header=BB405_10 Depth=1
	v_and_b32_e32 v2, 7, v30
	v_lshrrev_b32_e32 v6, 3, v4
	v_cmp_gt_u32_e32 vcc, 8, v4
	v_ffbh_u32_e32 v4, v2
	v_min_u32_e32 v7, 32, v4
	v_subrev_u32_e32 v4, 28, v7
	v_lshlrev_b64 v[4:5], v4, v[30:31]
	v_sub_u32_e32 v5, 29, v7
	v_and_b32_e32 v4, 7, v4
	v_cndmask_b32_e32 v5, v6, v5, vcc
	v_cndmask_b32_e32 v2, v2, v4, vcc
	v_lshlrev_b32_e32 v4, 24, v30
	v_lshlrev_b32_e32 v2, 20, v2
	v_and_b32_e32 v4, 0x80000000, v4
	v_lshl_add_u32 v5, v5, 23, v0
	v_or3_b32 v2, v4, v5, v2
.LBB405_634:                            ;   in Loop: Header=BB405_10 Depth=1
	s_or_b64 exec, exec, s[38:39]
.LBB405_635:                            ;   in Loop: Header=BB405_10 Depth=1
	s_or_b64 exec, exec, s[36:37]
.LBB405_636:                            ;   in Loop: Header=BB405_10 Depth=1
	s_or_b64 exec, exec, s[34:35]
	v_mul_f32_e32 v2, v62, v2
	v_and_b32_e32 v4, 0x7f800000, v2
	v_cmp_ne_u32_e32 vcc, s42, v4
                                        ; implicit-def: $agpr40
	s_and_saveexec_b64 s[34:35], vcc
	s_xor_b64 vcc, exec, s[34:35]
; %bb.637:                              ;   in Loop: Header=BB405_10 Depth=1
	v_bfe_u32 v4, v2, 16, 1
	v_add3_u32 v2, v2, v4, s43
	v_accvgpr_write_b32 a40, v2
                                        ; implicit-def: $vgpr2
; %bb.638:                              ;   in Loop: Header=BB405_10 Depth=1
	s_andn2_saveexec_b64 s[34:35], vcc
; %bb.639:                              ;   in Loop: Header=BB405_10 Depth=1
	v_or_b32_e32 v4, 0x10000, v2
	v_cmp_eq_u32_sdwa vcc, v2, v1 src0_sel:WORD_0 src1_sel:DWORD
	v_cndmask_b32_e32 v2, v4, v2, vcc
	v_accvgpr_write_b32 a40, v2
; %bb.640:                              ;   in Loop: Header=BB405_10 Depth=1
	s_or_b64 exec, exec, s[34:35]
	v_cmp_lt_u32_e32 vcc, s44, v28
	v_mov_b32_e32 v2, 0
	s_and_saveexec_b64 s[34:35], vcc
	s_cbranch_execz .LBB405_646
; %bb.641:                              ;   in Loop: Header=BB405_10 Depth=1
	v_lshrrev_b32_e32 v30, 24, v28
	v_cmp_ne_u32_e32 vcc, s25, v30
	v_bfrev_b32_e32 v2, 1
	s_and_saveexec_b64 s[36:37], vcc
	s_cbranch_execz .LBB405_645
; %bb.642:                              ;   in Loop: Header=BB405_10 Depth=1
	v_bfe_u32 v4, v28, 24, 7
	v_cmp_ne_u32_e32 vcc, s41, v4
	v_mov_b32_e32 v2, 0x7f800001
	s_and_saveexec_b64 s[38:39], vcc
	s_cbranch_execz .LBB405_644
; %bb.643:                              ;   in Loop: Header=BB405_10 Depth=1
	v_and_b32_e32 v2, 7, v30
	v_lshrrev_b32_e32 v6, 3, v4
	v_cmp_gt_u32_e32 vcc, 8, v4
	v_ffbh_u32_e32 v4, v2
	v_min_u32_e32 v7, 32, v4
	v_subrev_u32_e32 v4, 28, v7
	v_lshlrev_b64 v[4:5], v4, v[30:31]
	v_sub_u32_e32 v5, 29, v7
	v_and_b32_e32 v4, 7, v4
	v_cndmask_b32_e32 v5, v6, v5, vcc
	v_cndmask_b32_e32 v2, v2, v4, vcc
	v_lshlrev_b32_e32 v4, 24, v30
	v_lshlrev_b32_e32 v2, 20, v2
	v_and_b32_e32 v4, 0x80000000, v4
	v_lshl_add_u32 v5, v5, 23, v0
	v_or3_b32 v2, v4, v5, v2
.LBB405_644:                            ;   in Loop: Header=BB405_10 Depth=1
	s_or_b64 exec, exec, s[38:39]
.LBB405_645:                            ;   in Loop: Header=BB405_10 Depth=1
	s_or_b64 exec, exec, s[36:37]
.LBB405_646:                            ;   in Loop: Header=BB405_10 Depth=1
	s_or_b64 exec, exec, s[34:35]
	v_mul_f32_e32 v2, v62, v2
	v_and_b32_e32 v4, 0x7f800000, v2
	v_cmp_ne_u32_e32 vcc, s42, v4
                                        ; implicit-def: $agpr21
	s_and_saveexec_b64 s[34:35], vcc
	s_xor_b64 vcc, exec, s[34:35]
; %bb.647:                              ;   in Loop: Header=BB405_10 Depth=1
	v_bfe_u32 v4, v2, 16, 1
	v_add3_u32 v2, v2, v4, s43
	v_accvgpr_write_b32 a21, v2
                                        ; implicit-def: $vgpr2
; %bb.648:                              ;   in Loop: Header=BB405_10 Depth=1
	s_andn2_saveexec_b64 s[34:35], vcc
; %bb.649:                              ;   in Loop: Header=BB405_10 Depth=1
	v_or_b32_e32 v4, 0x10000, v2
	v_cmp_eq_u32_sdwa vcc, v2, v1 src0_sel:WORD_0 src1_sel:DWORD
	v_cndmask_b32_e32 v2, v4, v2, vcc
	v_accvgpr_write_b32 a21, v2
; %bb.650:                              ;   in Loop: Header=BB405_10 Depth=1
	s_or_b64 exec, exec, s[34:35]
	v_add_co_u32_e32 v4, vcc, 0x1000, v20
	v_addc_co_u32_e32 v5, vcc, 0, v21, vcc
	flat_load_dword v28, v[4:5]
	v_mov_b32_e32 v2, 0
	s_waitcnt vmcnt(0) lgkmcnt(0)
	v_cmp_ne_u16_sdwa vcc, v28, v1 src0_sel:BYTE_0 src1_sel:DWORD
	s_and_saveexec_b64 s[34:35], vcc
	s_cbranch_execz .LBB405_656
; %bb.651:                              ;   in Loop: Header=BB405_10 Depth=1
	v_cmp_ne_u16_sdwa vcc, v28, s25 src0_sel:BYTE_0 src1_sel:DWORD
	v_bfrev_b32_e32 v2, 1
	s_and_saveexec_b64 s[36:37], vcc
	s_cbranch_execz .LBB405_655
; %bb.652:                              ;   in Loop: Header=BB405_10 Depth=1
	v_and_b32_e32 v4, 0x7f, v28
	v_cmp_ne_u32_e32 vcc, s41, v4
	v_mov_b32_e32 v2, 0x7f800001
	s_and_saveexec_b64 s[38:39], vcc
	s_cbranch_execz .LBB405_654
; %bb.653:                              ;   in Loop: Header=BB405_10 Depth=1
	v_and_b32_e32 v2, 7, v28
	v_lshrrev_b32_e32 v6, 3, v4
	v_cmp_gt_u32_e32 vcc, 8, v4
	v_ffbh_u32_e32 v4, v2
	v_min_u32_e32 v7, 32, v4
	v_subrev_u32_e32 v4, 28, v7
	v_lshlrev_b64 v[4:5], v4, v[28:29]
	v_sub_u32_e32 v5, 29, v7
	v_and_b32_e32 v4, 7, v4
	v_cndmask_b32_e32 v5, v6, v5, vcc
	v_cndmask_b32_e32 v2, v2, v4, vcc
	v_lshlrev_b32_e32 v4, 24, v28
	v_lshlrev_b32_e32 v2, 20, v2
	v_and_b32_e32 v4, 0x80000000, v4
	v_lshl_add_u32 v5, v5, 23, v0
	v_or3_b32 v2, v4, v5, v2
.LBB405_654:                            ;   in Loop: Header=BB405_10 Depth=1
	s_or_b64 exec, exec, s[38:39]
.LBB405_655:                            ;   in Loop: Header=BB405_10 Depth=1
	s_or_b64 exec, exec, s[36:37]
.LBB405_656:                            ;   in Loop: Header=BB405_10 Depth=1
	s_or_b64 exec, exec, s[34:35]
	v_mul_f32_e32 v2, v62, v2
	v_and_b32_e32 v4, 0x7f800000, v2
	v_cmp_ne_u32_e32 vcc, s42, v4
                                        ; implicit-def: $agpr38
	s_and_saveexec_b64 s[34:35], vcc
	s_xor_b64 vcc, exec, s[34:35]
; %bb.657:                              ;   in Loop: Header=BB405_10 Depth=1
	v_bfe_u32 v4, v2, 16, 1
	v_add3_u32 v2, v2, v4, s43
	v_accvgpr_write_b32 a38, v2
                                        ; implicit-def: $vgpr2
; %bb.658:                              ;   in Loop: Header=BB405_10 Depth=1
	s_andn2_saveexec_b64 s[34:35], vcc
; %bb.659:                              ;   in Loop: Header=BB405_10 Depth=1
	v_or_b32_e32 v4, 0x10000, v2
	v_cmp_eq_u32_sdwa vcc, v2, v1 src0_sel:WORD_0 src1_sel:DWORD
	v_cndmask_b32_e32 v2, v4, v2, vcc
	v_accvgpr_write_b32 a38, v2
; %bb.660:                              ;   in Loop: Header=BB405_10 Depth=1
	s_or_b64 exec, exec, s[34:35]
	v_lshrrev_b16_e32 v30, 8, v28
	v_cmp_ne_u16_e32 vcc, 0, v30
	v_mov_b32_e32 v2, 0
	s_and_saveexec_b64 s[34:35], vcc
	s_cbranch_execz .LBB405_666
; %bb.661:                              ;   in Loop: Header=BB405_10 Depth=1
	v_cmp_ne_u16_e32 vcc, s25, v30
	v_bfrev_b32_e32 v2, 1
	s_and_saveexec_b64 s[36:37], vcc
	s_cbranch_execz .LBB405_665
; %bb.662:                              ;   in Loop: Header=BB405_10 Depth=1
	v_and_b32_e32 v4, 0x7f, v30
	v_cmp_ne_u32_e32 vcc, s41, v4
	v_mov_b32_e32 v2, 0x7f800001
	s_and_saveexec_b64 s[38:39], vcc
	s_cbranch_execz .LBB405_664
; %bb.663:                              ;   in Loop: Header=BB405_10 Depth=1
	v_and_b32_e32 v2, 7, v30
	v_lshrrev_b32_e32 v6, 3, v4
	v_cmp_gt_u32_e32 vcc, 8, v4
	v_ffbh_u32_e32 v4, v2
	v_min_u32_e32 v7, 32, v4
	v_subrev_u32_e32 v4, 28, v7
	v_lshlrev_b64 v[4:5], v4, v[30:31]
	v_sub_u32_e32 v5, 29, v7
	v_and_b32_e32 v4, 7, v4
	v_cndmask_b32_e32 v5, v6, v5, vcc
	v_cndmask_b32_e32 v2, v2, v4, vcc
	v_lshlrev_b32_e32 v4, 16, v28
	v_lshlrev_b32_e32 v2, 20, v2
	v_and_b32_e32 v4, 0x80000000, v4
	v_lshl_add_u32 v5, v5, 23, v0
	v_or3_b32 v2, v4, v5, v2
.LBB405_664:                            ;   in Loop: Header=BB405_10 Depth=1
	s_or_b64 exec, exec, s[38:39]
.LBB405_665:                            ;   in Loop: Header=BB405_10 Depth=1
	s_or_b64 exec, exec, s[36:37]
.LBB405_666:                            ;   in Loop: Header=BB405_10 Depth=1
	s_or_b64 exec, exec, s[34:35]
	v_mul_f32_e32 v2, v62, v2
	v_and_b32_e32 v4, 0x7f800000, v2
	v_cmp_ne_u32_e32 vcc, s42, v4
                                        ; implicit-def: $agpr39
	s_and_saveexec_b64 s[34:35], vcc
	s_xor_b64 vcc, exec, s[34:35]
; %bb.667:                              ;   in Loop: Header=BB405_10 Depth=1
	v_bfe_u32 v4, v2, 16, 1
	v_add3_u32 v2, v2, v4, s43
	v_accvgpr_write_b32 a39, v2
                                        ; implicit-def: $vgpr2
; %bb.668:                              ;   in Loop: Header=BB405_10 Depth=1
	s_andn2_saveexec_b64 s[34:35], vcc
; %bb.669:                              ;   in Loop: Header=BB405_10 Depth=1
	v_or_b32_e32 v4, 0x10000, v2
	v_cmp_eq_u32_sdwa vcc, v2, v1 src0_sel:WORD_0 src1_sel:DWORD
	v_cndmask_b32_e32 v2, v4, v2, vcc
	v_accvgpr_write_b32 a39, v2
; %bb.670:                              ;   in Loop: Header=BB405_10 Depth=1
	s_or_b64 exec, exec, s[34:35]
	v_lshrrev_b32_e32 v30, 16, v28
	v_cmp_ne_u16_sdwa vcc, v30, v1 src0_sel:BYTE_0 src1_sel:DWORD
	v_mov_b32_e32 v2, 0
	s_and_saveexec_b64 s[34:35], vcc
	s_cbranch_execz .LBB405_676
; %bb.671:                              ;   in Loop: Header=BB405_10 Depth=1
	v_cmp_ne_u16_sdwa vcc, v30, s25 src0_sel:BYTE_0 src1_sel:DWORD
	v_bfrev_b32_e32 v2, 1
	s_and_saveexec_b64 s[36:37], vcc
	s_cbranch_execz .LBB405_675
; %bb.672:                              ;   in Loop: Header=BB405_10 Depth=1
	v_bfe_u32 v4, v28, 16, 7
	v_cmp_ne_u32_e32 vcc, s41, v4
	v_mov_b32_e32 v2, 0x7f800001
	s_and_saveexec_b64 s[38:39], vcc
	s_cbranch_execz .LBB405_674
; %bb.673:                              ;   in Loop: Header=BB405_10 Depth=1
	v_and_b32_e32 v2, 7, v30
	v_lshrrev_b32_e32 v6, 3, v4
	v_cmp_gt_u32_e32 vcc, 8, v4
	v_ffbh_u32_e32 v4, v2
	v_min_u32_e32 v7, 32, v4
	v_subrev_u32_e32 v4, 28, v7
	v_lshlrev_b64 v[4:5], v4, v[30:31]
	v_sub_u32_e32 v5, 29, v7
	v_and_b32_e32 v4, 7, v4
	v_cndmask_b32_e32 v5, v6, v5, vcc
	v_cndmask_b32_e32 v2, v2, v4, vcc
	v_lshlrev_b32_e32 v4, 24, v30
	v_lshlrev_b32_e32 v2, 20, v2
	v_and_b32_e32 v4, 0x80000000, v4
	v_lshl_add_u32 v5, v5, 23, v0
	v_or3_b32 v2, v4, v5, v2
.LBB405_674:                            ;   in Loop: Header=BB405_10 Depth=1
	s_or_b64 exec, exec, s[38:39]
.LBB405_675:                            ;   in Loop: Header=BB405_10 Depth=1
	s_or_b64 exec, exec, s[36:37]
.LBB405_676:                            ;   in Loop: Header=BB405_10 Depth=1
	s_or_b64 exec, exec, s[34:35]
	v_mul_f32_e32 v2, v62, v2
	v_and_b32_e32 v4, 0x7f800000, v2
	v_cmp_ne_u32_e32 vcc, s42, v4
                                        ; implicit-def: $agpr42
	s_and_saveexec_b64 s[34:35], vcc
	s_xor_b64 vcc, exec, s[34:35]
; %bb.677:                              ;   in Loop: Header=BB405_10 Depth=1
	v_bfe_u32 v4, v2, 16, 1
	v_add3_u32 v2, v2, v4, s43
	v_accvgpr_write_b32 a42, v2
                                        ; implicit-def: $vgpr2
; %bb.678:                              ;   in Loop: Header=BB405_10 Depth=1
	s_andn2_saveexec_b64 s[34:35], vcc
; %bb.679:                              ;   in Loop: Header=BB405_10 Depth=1
	v_or_b32_e32 v4, 0x10000, v2
	v_cmp_eq_u32_sdwa vcc, v2, v1 src0_sel:WORD_0 src1_sel:DWORD
	v_cndmask_b32_e32 v2, v4, v2, vcc
	v_accvgpr_write_b32 a42, v2
; %bb.680:                              ;   in Loop: Header=BB405_10 Depth=1
	s_or_b64 exec, exec, s[34:35]
	v_cmp_lt_u32_e32 vcc, s44, v28
	v_mov_b32_e32 v2, 0
	s_and_saveexec_b64 s[34:35], vcc
	s_cbranch_execz .LBB405_686
; %bb.681:                              ;   in Loop: Header=BB405_10 Depth=1
	v_lshrrev_b32_e32 v30, 24, v28
	v_cmp_ne_u32_e32 vcc, s25, v30
	v_bfrev_b32_e32 v2, 1
	s_and_saveexec_b64 s[36:37], vcc
	s_cbranch_execz .LBB405_685
; %bb.682:                              ;   in Loop: Header=BB405_10 Depth=1
	v_bfe_u32 v4, v28, 24, 7
	v_cmp_ne_u32_e32 vcc, s41, v4
	v_mov_b32_e32 v2, 0x7f800001
	s_and_saveexec_b64 s[38:39], vcc
	s_cbranch_execz .LBB405_684
; %bb.683:                              ;   in Loop: Header=BB405_10 Depth=1
	v_and_b32_e32 v2, 7, v30
	v_lshrrev_b32_e32 v6, 3, v4
	v_cmp_gt_u32_e32 vcc, 8, v4
	v_ffbh_u32_e32 v4, v2
	v_min_u32_e32 v7, 32, v4
	v_subrev_u32_e32 v4, 28, v7
	v_lshlrev_b64 v[4:5], v4, v[30:31]
	v_sub_u32_e32 v5, 29, v7
	v_and_b32_e32 v4, 7, v4
	v_cndmask_b32_e32 v5, v6, v5, vcc
	v_cndmask_b32_e32 v2, v2, v4, vcc
	v_lshlrev_b32_e32 v4, 24, v30
	v_lshlrev_b32_e32 v2, 20, v2
	v_and_b32_e32 v4, 0x80000000, v4
	v_lshl_add_u32 v5, v5, 23, v0
	v_or3_b32 v2, v4, v5, v2
.LBB405_684:                            ;   in Loop: Header=BB405_10 Depth=1
	s_or_b64 exec, exec, s[38:39]
.LBB405_685:                            ;   in Loop: Header=BB405_10 Depth=1
	s_or_b64 exec, exec, s[36:37]
.LBB405_686:                            ;   in Loop: Header=BB405_10 Depth=1
	s_or_b64 exec, exec, s[34:35]
	v_mul_f32_e32 v2, v62, v2
	v_and_b32_e32 v4, 0x7f800000, v2
	v_cmp_ne_u32_e32 vcc, s42, v4
                                        ; implicit-def: $agpr22
	s_and_saveexec_b64 s[34:35], vcc
	s_xor_b64 vcc, exec, s[34:35]
; %bb.687:                              ;   in Loop: Header=BB405_10 Depth=1
	v_bfe_u32 v4, v2, 16, 1
	v_add3_u32 v2, v2, v4, s43
	v_accvgpr_write_b32 a22, v2
                                        ; implicit-def: $vgpr2
; %bb.688:                              ;   in Loop: Header=BB405_10 Depth=1
	s_andn2_saveexec_b64 s[34:35], vcc
; %bb.689:                              ;   in Loop: Header=BB405_10 Depth=1
	v_or_b32_e32 v4, 0x10000, v2
	v_cmp_eq_u32_sdwa vcc, v2, v1 src0_sel:WORD_0 src1_sel:DWORD
	v_cndmask_b32_e32 v2, v4, v2, vcc
	v_accvgpr_write_b32 a22, v2
; %bb.690:                              ;   in Loop: Header=BB405_10 Depth=1
	s_or_b64 exec, exec, s[34:35]
	v_add_co_u32_e32 v4, vcc, 0x1000, v20
	v_addc_co_u32_e32 v5, vcc, 0, v21, vcc
	flat_load_dword v28, v[4:5] offset:8
	v_mov_b32_e32 v2, 0
	s_waitcnt vmcnt(0) lgkmcnt(0)
	v_cmp_ne_u16_sdwa vcc, v28, v1 src0_sel:BYTE_0 src1_sel:DWORD
	s_and_saveexec_b64 s[34:35], vcc
	s_cbranch_execz .LBB405_696
; %bb.691:                              ;   in Loop: Header=BB405_10 Depth=1
	v_cmp_ne_u16_sdwa vcc, v28, s25 src0_sel:BYTE_0 src1_sel:DWORD
	v_bfrev_b32_e32 v2, 1
	s_and_saveexec_b64 s[36:37], vcc
	s_cbranch_execz .LBB405_695
; %bb.692:                              ;   in Loop: Header=BB405_10 Depth=1
	v_and_b32_e32 v4, 0x7f, v28
	v_cmp_ne_u32_e32 vcc, s41, v4
	v_mov_b32_e32 v2, 0x7f800001
	s_and_saveexec_b64 s[38:39], vcc
	s_cbranch_execz .LBB405_694
; %bb.693:                              ;   in Loop: Header=BB405_10 Depth=1
	v_and_b32_e32 v2, 7, v28
	v_lshrrev_b32_e32 v6, 3, v4
	v_cmp_gt_u32_e32 vcc, 8, v4
	v_ffbh_u32_e32 v4, v2
	v_min_u32_e32 v7, 32, v4
	v_subrev_u32_e32 v4, 28, v7
	v_lshlrev_b64 v[4:5], v4, v[28:29]
	v_sub_u32_e32 v5, 29, v7
	v_and_b32_e32 v4, 7, v4
	v_cndmask_b32_e32 v5, v6, v5, vcc
	v_cndmask_b32_e32 v2, v2, v4, vcc
	v_lshlrev_b32_e32 v4, 24, v28
	v_lshlrev_b32_e32 v2, 20, v2
	v_and_b32_e32 v4, 0x80000000, v4
	v_lshl_add_u32 v5, v5, 23, v0
	v_or3_b32 v2, v4, v5, v2
.LBB405_694:                            ;   in Loop: Header=BB405_10 Depth=1
	s_or_b64 exec, exec, s[38:39]
.LBB405_695:                            ;   in Loop: Header=BB405_10 Depth=1
	s_or_b64 exec, exec, s[36:37]
.LBB405_696:                            ;   in Loop: Header=BB405_10 Depth=1
	s_or_b64 exec, exec, s[34:35]
	v_mul_f32_e32 v2, v62, v2
	v_and_b32_e32 v4, 0x7f800000, v2
	v_cmp_ne_u32_e32 vcc, s42, v4
                                        ; implicit-def: $agpr23
	s_and_saveexec_b64 s[34:35], vcc
	s_xor_b64 vcc, exec, s[34:35]
; %bb.697:                              ;   in Loop: Header=BB405_10 Depth=1
	v_bfe_u32 v4, v2, 16, 1
	v_add3_u32 v2, v2, v4, s43
	v_accvgpr_write_b32 a23, v2
                                        ; implicit-def: $vgpr2
; %bb.698:                              ;   in Loop: Header=BB405_10 Depth=1
	s_andn2_saveexec_b64 s[34:35], vcc
; %bb.699:                              ;   in Loop: Header=BB405_10 Depth=1
	v_or_b32_e32 v4, 0x10000, v2
	v_cmp_eq_u32_sdwa vcc, v2, v1 src0_sel:WORD_0 src1_sel:DWORD
	v_cndmask_b32_e32 v2, v4, v2, vcc
	v_accvgpr_write_b32 a23, v2
; %bb.700:                              ;   in Loop: Header=BB405_10 Depth=1
	s_or_b64 exec, exec, s[34:35]
	v_lshrrev_b16_e32 v30, 8, v28
	v_cmp_ne_u16_e32 vcc, 0, v30
	v_mov_b32_e32 v2, 0
	s_and_saveexec_b64 s[34:35], vcc
	s_cbranch_execz .LBB405_706
; %bb.701:                              ;   in Loop: Header=BB405_10 Depth=1
	v_cmp_ne_u16_e32 vcc, s25, v30
	v_bfrev_b32_e32 v2, 1
	s_and_saveexec_b64 s[36:37], vcc
	s_cbranch_execz .LBB405_705
; %bb.702:                              ;   in Loop: Header=BB405_10 Depth=1
	v_and_b32_e32 v4, 0x7f, v30
	v_cmp_ne_u32_e32 vcc, s41, v4
	v_mov_b32_e32 v2, 0x7f800001
	s_and_saveexec_b64 s[38:39], vcc
	s_cbranch_execz .LBB405_704
; %bb.703:                              ;   in Loop: Header=BB405_10 Depth=1
	v_and_b32_e32 v2, 7, v30
	v_lshrrev_b32_e32 v6, 3, v4
	v_cmp_gt_u32_e32 vcc, 8, v4
	v_ffbh_u32_e32 v4, v2
	v_min_u32_e32 v7, 32, v4
	v_subrev_u32_e32 v4, 28, v7
	v_lshlrev_b64 v[4:5], v4, v[30:31]
	v_sub_u32_e32 v5, 29, v7
	v_and_b32_e32 v4, 7, v4
	v_cndmask_b32_e32 v5, v6, v5, vcc
	v_cndmask_b32_e32 v2, v2, v4, vcc
	v_lshlrev_b32_e32 v4, 16, v28
	v_lshlrev_b32_e32 v2, 20, v2
	v_and_b32_e32 v4, 0x80000000, v4
	v_lshl_add_u32 v5, v5, 23, v0
	v_or3_b32 v2, v4, v5, v2
.LBB405_704:                            ;   in Loop: Header=BB405_10 Depth=1
	s_or_b64 exec, exec, s[38:39]
.LBB405_705:                            ;   in Loop: Header=BB405_10 Depth=1
	s_or_b64 exec, exec, s[36:37]
.LBB405_706:                            ;   in Loop: Header=BB405_10 Depth=1
	s_or_b64 exec, exec, s[34:35]
	v_mul_f32_e32 v2, v62, v2
	v_and_b32_e32 v4, 0x7f800000, v2
	v_cmp_ne_u32_e32 vcc, s42, v4
                                        ; implicit-def: $agpr6
	s_and_saveexec_b64 s[34:35], vcc
	s_xor_b64 vcc, exec, s[34:35]
; %bb.707:                              ;   in Loop: Header=BB405_10 Depth=1
	v_bfe_u32 v4, v2, 16, 1
	v_add3_u32 v2, v2, v4, s43
	v_accvgpr_write_b32 a6, v2
                                        ; implicit-def: $vgpr2
; %bb.708:                              ;   in Loop: Header=BB405_10 Depth=1
	s_andn2_saveexec_b64 s[34:35], vcc
; %bb.709:                              ;   in Loop: Header=BB405_10 Depth=1
	v_or_b32_e32 v4, 0x10000, v2
	v_cmp_eq_u32_sdwa vcc, v2, v1 src0_sel:WORD_0 src1_sel:DWORD
	v_cndmask_b32_e32 v2, v4, v2, vcc
	v_accvgpr_write_b32 a6, v2
; %bb.710:                              ;   in Loop: Header=BB405_10 Depth=1
	s_or_b64 exec, exec, s[34:35]
	v_lshrrev_b32_e32 v30, 16, v28
	v_cmp_ne_u16_sdwa vcc, v30, v1 src0_sel:BYTE_0 src1_sel:DWORD
	v_mov_b32_e32 v2, 0
	s_and_saveexec_b64 s[34:35], vcc
	s_cbranch_execz .LBB405_716
; %bb.711:                              ;   in Loop: Header=BB405_10 Depth=1
	v_cmp_ne_u16_sdwa vcc, v30, s25 src0_sel:BYTE_0 src1_sel:DWORD
	v_bfrev_b32_e32 v2, 1
	s_and_saveexec_b64 s[36:37], vcc
	s_cbranch_execz .LBB405_715
; %bb.712:                              ;   in Loop: Header=BB405_10 Depth=1
	v_bfe_u32 v4, v28, 16, 7
	v_cmp_ne_u32_e32 vcc, s41, v4
	v_mov_b32_e32 v2, 0x7f800001
	s_and_saveexec_b64 s[38:39], vcc
	s_cbranch_execz .LBB405_714
; %bb.713:                              ;   in Loop: Header=BB405_10 Depth=1
	v_and_b32_e32 v2, 7, v30
	v_lshrrev_b32_e32 v6, 3, v4
	v_cmp_gt_u32_e32 vcc, 8, v4
	v_ffbh_u32_e32 v4, v2
	v_min_u32_e32 v7, 32, v4
	v_subrev_u32_e32 v4, 28, v7
	v_lshlrev_b64 v[4:5], v4, v[30:31]
	v_sub_u32_e32 v5, 29, v7
	v_and_b32_e32 v4, 7, v4
	v_cndmask_b32_e32 v5, v6, v5, vcc
	v_cndmask_b32_e32 v2, v2, v4, vcc
	v_lshlrev_b32_e32 v4, 24, v30
	v_lshlrev_b32_e32 v2, 20, v2
	v_and_b32_e32 v4, 0x80000000, v4
	v_lshl_add_u32 v5, v5, 23, v0
	v_or3_b32 v2, v4, v5, v2
.LBB405_714:                            ;   in Loop: Header=BB405_10 Depth=1
	s_or_b64 exec, exec, s[38:39]
.LBB405_715:                            ;   in Loop: Header=BB405_10 Depth=1
	s_or_b64 exec, exec, s[36:37]
.LBB405_716:                            ;   in Loop: Header=BB405_10 Depth=1
	s_or_b64 exec, exec, s[34:35]
	v_mul_f32_e32 v2, v62, v2
	v_and_b32_e32 v4, 0x7f800000, v2
	v_cmp_ne_u32_e32 vcc, s42, v4
                                        ; implicit-def: $agpr7
	s_and_saveexec_b64 s[34:35], vcc
	s_xor_b64 vcc, exec, s[34:35]
; %bb.717:                              ;   in Loop: Header=BB405_10 Depth=1
	v_bfe_u32 v4, v2, 16, 1
	v_add3_u32 v2, v2, v4, s43
	v_accvgpr_write_b32 a7, v2
                                        ; implicit-def: $vgpr2
; %bb.718:                              ;   in Loop: Header=BB405_10 Depth=1
	s_andn2_saveexec_b64 s[34:35], vcc
; %bb.719:                              ;   in Loop: Header=BB405_10 Depth=1
	v_or_b32_e32 v4, 0x10000, v2
	v_cmp_eq_u32_sdwa vcc, v2, v1 src0_sel:WORD_0 src1_sel:DWORD
	v_cndmask_b32_e32 v2, v4, v2, vcc
	v_accvgpr_write_b32 a7, v2
; %bb.720:                              ;   in Loop: Header=BB405_10 Depth=1
	s_or_b64 exec, exec, s[34:35]
	v_cmp_lt_u32_e32 vcc, s44, v28
	v_mov_b32_e32 v2, 0
	s_and_saveexec_b64 s[34:35], vcc
	s_cbranch_execz .LBB405_726
; %bb.721:                              ;   in Loop: Header=BB405_10 Depth=1
	v_lshrrev_b32_e32 v30, 24, v28
	v_cmp_ne_u32_e32 vcc, s25, v30
	v_bfrev_b32_e32 v2, 1
	s_and_saveexec_b64 s[36:37], vcc
	s_cbranch_execz .LBB405_725
; %bb.722:                              ;   in Loop: Header=BB405_10 Depth=1
	v_bfe_u32 v4, v28, 24, 7
	v_cmp_ne_u32_e32 vcc, s41, v4
	v_mov_b32_e32 v2, 0x7f800001
	s_and_saveexec_b64 s[38:39], vcc
	s_cbranch_execz .LBB405_724
; %bb.723:                              ;   in Loop: Header=BB405_10 Depth=1
	v_and_b32_e32 v2, 7, v30
	v_lshrrev_b32_e32 v6, 3, v4
	v_cmp_gt_u32_e32 vcc, 8, v4
	v_ffbh_u32_e32 v4, v2
	v_min_u32_e32 v7, 32, v4
	v_subrev_u32_e32 v4, 28, v7
	v_lshlrev_b64 v[4:5], v4, v[30:31]
	v_sub_u32_e32 v5, 29, v7
	v_and_b32_e32 v4, 7, v4
	v_cndmask_b32_e32 v5, v6, v5, vcc
	v_cndmask_b32_e32 v2, v2, v4, vcc
	v_lshlrev_b32_e32 v4, 24, v30
	v_lshlrev_b32_e32 v2, 20, v2
	v_and_b32_e32 v4, 0x80000000, v4
	v_lshl_add_u32 v5, v5, 23, v0
	v_or3_b32 v2, v4, v5, v2
.LBB405_724:                            ;   in Loop: Header=BB405_10 Depth=1
	s_or_b64 exec, exec, s[38:39]
.LBB405_725:                            ;   in Loop: Header=BB405_10 Depth=1
	s_or_b64 exec, exec, s[36:37]
.LBB405_726:                            ;   in Loop: Header=BB405_10 Depth=1
	s_or_b64 exec, exec, s[34:35]
	v_mul_f32_e32 v2, v62, v2
	v_and_b32_e32 v4, 0x7f800000, v2
	v_cmp_ne_u32_e32 vcc, s42, v4
                                        ; implicit-def: $agpr43
	s_and_saveexec_b64 s[34:35], vcc
	s_xor_b64 vcc, exec, s[34:35]
; %bb.727:                              ;   in Loop: Header=BB405_10 Depth=1
	v_bfe_u32 v4, v2, 16, 1
	v_add3_u32 v2, v2, v4, s43
	v_accvgpr_write_b32 a43, v2
                                        ; implicit-def: $vgpr2
; %bb.728:                              ;   in Loop: Header=BB405_10 Depth=1
	s_andn2_saveexec_b64 s[34:35], vcc
; %bb.729:                              ;   in Loop: Header=BB405_10 Depth=1
	v_or_b32_e32 v4, 0x10000, v2
	v_cmp_eq_u32_sdwa vcc, v2, v1 src0_sel:WORD_0 src1_sel:DWORD
	v_cndmask_b32_e32 v2, v4, v2, vcc
	v_accvgpr_write_b32 a43, v2
; %bb.730:                              ;   in Loop: Header=BB405_10 Depth=1
	s_or_b64 exec, exec, s[34:35]
	v_add_co_u32_e32 v4, vcc, 0x1000, v20
	v_addc_co_u32_e32 v5, vcc, 0, v21, vcc
	flat_load_dword v28, v[4:5] offset:512
	v_mov_b32_e32 v2, 0
	s_waitcnt vmcnt(0) lgkmcnt(0)
	v_cmp_ne_u16_sdwa vcc, v28, v1 src0_sel:BYTE_0 src1_sel:DWORD
	s_and_saveexec_b64 s[34:35], vcc
	s_cbranch_execz .LBB405_736
; %bb.731:                              ;   in Loop: Header=BB405_10 Depth=1
	v_cmp_ne_u16_sdwa vcc, v28, s25 src0_sel:BYTE_0 src1_sel:DWORD
	v_bfrev_b32_e32 v2, 1
	s_and_saveexec_b64 s[36:37], vcc
	s_cbranch_execz .LBB405_735
; %bb.732:                              ;   in Loop: Header=BB405_10 Depth=1
	v_and_b32_e32 v4, 0x7f, v28
	v_cmp_ne_u32_e32 vcc, s41, v4
	v_mov_b32_e32 v2, 0x7f800001
	s_and_saveexec_b64 s[38:39], vcc
	s_cbranch_execz .LBB405_734
; %bb.733:                              ;   in Loop: Header=BB405_10 Depth=1
	v_and_b32_e32 v2, 7, v28
	v_lshrrev_b32_e32 v6, 3, v4
	v_cmp_gt_u32_e32 vcc, 8, v4
	v_ffbh_u32_e32 v4, v2
	v_min_u32_e32 v7, 32, v4
	v_subrev_u32_e32 v4, 28, v7
	v_lshlrev_b64 v[4:5], v4, v[28:29]
	v_sub_u32_e32 v5, 29, v7
	v_and_b32_e32 v4, 7, v4
	v_cndmask_b32_e32 v5, v6, v5, vcc
	v_cndmask_b32_e32 v2, v2, v4, vcc
	v_lshlrev_b32_e32 v4, 24, v28
	v_lshlrev_b32_e32 v2, 20, v2
	v_and_b32_e32 v4, 0x80000000, v4
	v_lshl_add_u32 v5, v5, 23, v0
	v_or3_b32 v2, v4, v5, v2
.LBB405_734:                            ;   in Loop: Header=BB405_10 Depth=1
	s_or_b64 exec, exec, s[38:39]
.LBB405_735:                            ;   in Loop: Header=BB405_10 Depth=1
	s_or_b64 exec, exec, s[36:37]
.LBB405_736:                            ;   in Loop: Header=BB405_10 Depth=1
	s_or_b64 exec, exec, s[34:35]
	v_mul_f32_e32 v2, v62, v2
	v_and_b32_e32 v4, 0x7f800000, v2
	v_cmp_ne_u32_e32 vcc, s42, v4
                                        ; implicit-def: $agpr41
	s_and_saveexec_b64 s[34:35], vcc
	s_xor_b64 vcc, exec, s[34:35]
; %bb.737:                              ;   in Loop: Header=BB405_10 Depth=1
	v_bfe_u32 v4, v2, 16, 1
	v_add3_u32 v2, v2, v4, s43
	v_accvgpr_write_b32 a41, v2
                                        ; implicit-def: $vgpr2
; %bb.738:                              ;   in Loop: Header=BB405_10 Depth=1
	s_andn2_saveexec_b64 s[34:35], vcc
; %bb.739:                              ;   in Loop: Header=BB405_10 Depth=1
	v_or_b32_e32 v4, 0x10000, v2
	v_cmp_eq_u32_sdwa vcc, v2, v1 src0_sel:WORD_0 src1_sel:DWORD
	v_cndmask_b32_e32 v2, v4, v2, vcc
	v_accvgpr_write_b32 a41, v2
; %bb.740:                              ;   in Loop: Header=BB405_10 Depth=1
	s_or_b64 exec, exec, s[34:35]
	v_lshrrev_b16_e32 v30, 8, v28
	v_cmp_ne_u16_e32 vcc, 0, v30
	v_mov_b32_e32 v2, 0
	s_and_saveexec_b64 s[34:35], vcc
	s_cbranch_execz .LBB405_746
; %bb.741:                              ;   in Loop: Header=BB405_10 Depth=1
	v_cmp_ne_u16_e32 vcc, s25, v30
	v_bfrev_b32_e32 v2, 1
	s_and_saveexec_b64 s[36:37], vcc
	s_cbranch_execz .LBB405_745
; %bb.742:                              ;   in Loop: Header=BB405_10 Depth=1
	v_and_b32_e32 v4, 0x7f, v30
	v_cmp_ne_u32_e32 vcc, s41, v4
	v_mov_b32_e32 v2, 0x7f800001
	s_and_saveexec_b64 s[38:39], vcc
	s_cbranch_execz .LBB405_744
; %bb.743:                              ;   in Loop: Header=BB405_10 Depth=1
	v_and_b32_e32 v2, 7, v30
	v_lshrrev_b32_e32 v6, 3, v4
	v_cmp_gt_u32_e32 vcc, 8, v4
	v_ffbh_u32_e32 v4, v2
	v_min_u32_e32 v7, 32, v4
	v_subrev_u32_e32 v4, 28, v7
	v_lshlrev_b64 v[4:5], v4, v[30:31]
	v_sub_u32_e32 v5, 29, v7
	v_and_b32_e32 v4, 7, v4
	v_cndmask_b32_e32 v5, v6, v5, vcc
	v_cndmask_b32_e32 v2, v2, v4, vcc
	v_lshlrev_b32_e32 v4, 16, v28
	v_lshlrev_b32_e32 v2, 20, v2
	v_and_b32_e32 v4, 0x80000000, v4
	v_lshl_add_u32 v5, v5, 23, v0
	v_or3_b32 v2, v4, v5, v2
.LBB405_744:                            ;   in Loop: Header=BB405_10 Depth=1
	s_or_b64 exec, exec, s[38:39]
.LBB405_745:                            ;   in Loop: Header=BB405_10 Depth=1
	s_or_b64 exec, exec, s[36:37]
.LBB405_746:                            ;   in Loop: Header=BB405_10 Depth=1
	s_or_b64 exec, exec, s[34:35]
	v_mul_f32_e32 v2, v62, v2
	v_and_b32_e32 v4, 0x7f800000, v2
	v_cmp_ne_u32_e32 vcc, s42, v4
                                        ; implicit-def: $agpr44
	s_and_saveexec_b64 s[34:35], vcc
	s_xor_b64 vcc, exec, s[34:35]
; %bb.747:                              ;   in Loop: Header=BB405_10 Depth=1
	v_bfe_u32 v4, v2, 16, 1
	v_add3_u32 v2, v2, v4, s43
	v_accvgpr_write_b32 a44, v2
                                        ; implicit-def: $vgpr2
; %bb.748:                              ;   in Loop: Header=BB405_10 Depth=1
	s_andn2_saveexec_b64 s[34:35], vcc
; %bb.749:                              ;   in Loop: Header=BB405_10 Depth=1
	v_or_b32_e32 v4, 0x10000, v2
	v_cmp_eq_u32_sdwa vcc, v2, v1 src0_sel:WORD_0 src1_sel:DWORD
	v_cndmask_b32_e32 v2, v4, v2, vcc
	v_accvgpr_write_b32 a44, v2
; %bb.750:                              ;   in Loop: Header=BB405_10 Depth=1
	s_or_b64 exec, exec, s[34:35]
	v_lshrrev_b32_e32 v30, 16, v28
	v_cmp_ne_u16_sdwa vcc, v30, v1 src0_sel:BYTE_0 src1_sel:DWORD
	v_mov_b32_e32 v2, 0
	s_and_saveexec_b64 s[34:35], vcc
	s_cbranch_execz .LBB405_756
; %bb.751:                              ;   in Loop: Header=BB405_10 Depth=1
	v_cmp_ne_u16_sdwa vcc, v30, s25 src0_sel:BYTE_0 src1_sel:DWORD
	v_bfrev_b32_e32 v2, 1
	s_and_saveexec_b64 s[36:37], vcc
	s_cbranch_execz .LBB405_755
; %bb.752:                              ;   in Loop: Header=BB405_10 Depth=1
	v_bfe_u32 v4, v28, 16, 7
	v_cmp_ne_u32_e32 vcc, s41, v4
	v_mov_b32_e32 v2, 0x7f800001
	s_and_saveexec_b64 s[38:39], vcc
	s_cbranch_execz .LBB405_754
; %bb.753:                              ;   in Loop: Header=BB405_10 Depth=1
	v_and_b32_e32 v2, 7, v30
	v_lshrrev_b32_e32 v6, 3, v4
	v_cmp_gt_u32_e32 vcc, 8, v4
	v_ffbh_u32_e32 v4, v2
	v_min_u32_e32 v7, 32, v4
	v_subrev_u32_e32 v4, 28, v7
	v_lshlrev_b64 v[4:5], v4, v[30:31]
	v_sub_u32_e32 v5, 29, v7
	v_and_b32_e32 v4, 7, v4
	v_cndmask_b32_e32 v5, v6, v5, vcc
	v_cndmask_b32_e32 v2, v2, v4, vcc
	v_lshlrev_b32_e32 v4, 24, v30
	v_lshlrev_b32_e32 v2, 20, v2
	v_and_b32_e32 v4, 0x80000000, v4
	v_lshl_add_u32 v5, v5, 23, v0
	v_or3_b32 v2, v4, v5, v2
.LBB405_754:                            ;   in Loop: Header=BB405_10 Depth=1
	s_or_b64 exec, exec, s[38:39]
.LBB405_755:                            ;   in Loop: Header=BB405_10 Depth=1
	s_or_b64 exec, exec, s[36:37]
.LBB405_756:                            ;   in Loop: Header=BB405_10 Depth=1
	s_or_b64 exec, exec, s[34:35]
	v_mul_f32_e32 v2, v62, v2
	v_and_b32_e32 v4, 0x7f800000, v2
	v_cmp_ne_u32_e32 vcc, s42, v4
                                        ; implicit-def: $agpr45
	s_and_saveexec_b64 s[34:35], vcc
	s_xor_b64 vcc, exec, s[34:35]
; %bb.757:                              ;   in Loop: Header=BB405_10 Depth=1
	v_bfe_u32 v4, v2, 16, 1
	v_add3_u32 v2, v2, v4, s43
	v_accvgpr_write_b32 a45, v2
                                        ; implicit-def: $vgpr2
; %bb.758:                              ;   in Loop: Header=BB405_10 Depth=1
	s_andn2_saveexec_b64 s[34:35], vcc
; %bb.759:                              ;   in Loop: Header=BB405_10 Depth=1
	v_or_b32_e32 v4, 0x10000, v2
	v_cmp_eq_u32_sdwa vcc, v2, v1 src0_sel:WORD_0 src1_sel:DWORD
	v_cndmask_b32_e32 v2, v4, v2, vcc
	v_accvgpr_write_b32 a45, v2
; %bb.760:                              ;   in Loop: Header=BB405_10 Depth=1
	s_or_b64 exec, exec, s[34:35]
	v_cmp_lt_u32_e32 vcc, s44, v28
	v_mov_b32_e32 v2, 0
	s_and_saveexec_b64 s[34:35], vcc
	s_cbranch_execz .LBB405_766
; %bb.761:                              ;   in Loop: Header=BB405_10 Depth=1
	v_lshrrev_b32_e32 v30, 24, v28
	v_cmp_ne_u32_e32 vcc, s25, v30
	v_bfrev_b32_e32 v2, 1
	s_and_saveexec_b64 s[36:37], vcc
	s_cbranch_execz .LBB405_765
; %bb.762:                              ;   in Loop: Header=BB405_10 Depth=1
	v_bfe_u32 v4, v28, 24, 7
	v_cmp_ne_u32_e32 vcc, s41, v4
	v_mov_b32_e32 v2, 0x7f800001
	s_and_saveexec_b64 s[38:39], vcc
	s_cbranch_execz .LBB405_764
; %bb.763:                              ;   in Loop: Header=BB405_10 Depth=1
	v_and_b32_e32 v2, 7, v30
	v_lshrrev_b32_e32 v6, 3, v4
	v_cmp_gt_u32_e32 vcc, 8, v4
	v_ffbh_u32_e32 v4, v2
	v_min_u32_e32 v7, 32, v4
	v_subrev_u32_e32 v4, 28, v7
	v_lshlrev_b64 v[4:5], v4, v[30:31]
	v_sub_u32_e32 v5, 29, v7
	v_and_b32_e32 v4, 7, v4
	v_cndmask_b32_e32 v5, v6, v5, vcc
	v_cndmask_b32_e32 v2, v2, v4, vcc
	v_lshlrev_b32_e32 v4, 24, v30
	v_lshlrev_b32_e32 v2, 20, v2
	v_and_b32_e32 v4, 0x80000000, v4
	v_lshl_add_u32 v5, v5, 23, v0
	v_or3_b32 v2, v4, v5, v2
.LBB405_764:                            ;   in Loop: Header=BB405_10 Depth=1
	s_or_b64 exec, exec, s[38:39]
.LBB405_765:                            ;   in Loop: Header=BB405_10 Depth=1
	s_or_b64 exec, exec, s[36:37]
.LBB405_766:                            ;   in Loop: Header=BB405_10 Depth=1
	s_or_b64 exec, exec, s[34:35]
	v_mul_f32_e32 v2, v62, v2
	v_and_b32_e32 v4, 0x7f800000, v2
	v_cmp_ne_u32_e32 vcc, s42, v4
                                        ; implicit-def: $agpr46
	s_and_saveexec_b64 s[34:35], vcc
	s_xor_b64 vcc, exec, s[34:35]
; %bb.767:                              ;   in Loop: Header=BB405_10 Depth=1
	v_bfe_u32 v4, v2, 16, 1
	v_add3_u32 v2, v2, v4, s43
	v_accvgpr_write_b32 a46, v2
                                        ; implicit-def: $vgpr2
; %bb.768:                              ;   in Loop: Header=BB405_10 Depth=1
	s_andn2_saveexec_b64 s[34:35], vcc
; %bb.769:                              ;   in Loop: Header=BB405_10 Depth=1
	v_or_b32_e32 v4, 0x10000, v2
	v_cmp_eq_u32_sdwa vcc, v2, v1 src0_sel:WORD_0 src1_sel:DWORD
	v_cndmask_b32_e32 v2, v4, v2, vcc
	v_accvgpr_write_b32 a46, v2
; %bb.770:                              ;   in Loop: Header=BB405_10 Depth=1
	s_or_b64 exec, exec, s[34:35]
	v_add_co_u32_e32 v4, vcc, 0x1200, v20
	v_addc_co_u32_e32 v5, vcc, 0, v21, vcc
	flat_load_dword v28, v[4:5] offset:8
	v_mov_b32_e32 v2, 0
	s_waitcnt vmcnt(0) lgkmcnt(0)
	v_cmp_ne_u16_sdwa vcc, v28, v1 src0_sel:BYTE_0 src1_sel:DWORD
	s_and_saveexec_b64 s[34:35], vcc
	s_cbranch_execz .LBB405_776
; %bb.771:                              ;   in Loop: Header=BB405_10 Depth=1
	v_cmp_ne_u16_sdwa vcc, v28, s25 src0_sel:BYTE_0 src1_sel:DWORD
	v_bfrev_b32_e32 v2, 1
	s_and_saveexec_b64 s[36:37], vcc
	s_cbranch_execz .LBB405_775
; %bb.772:                              ;   in Loop: Header=BB405_10 Depth=1
	v_and_b32_e32 v4, 0x7f, v28
	v_cmp_ne_u32_e32 vcc, s41, v4
	v_mov_b32_e32 v2, 0x7f800001
	s_and_saveexec_b64 s[38:39], vcc
	s_cbranch_execz .LBB405_774
; %bb.773:                              ;   in Loop: Header=BB405_10 Depth=1
	v_and_b32_e32 v2, 7, v28
	v_lshrrev_b32_e32 v6, 3, v4
	v_cmp_gt_u32_e32 vcc, 8, v4
	v_ffbh_u32_e32 v4, v2
	v_min_u32_e32 v7, 32, v4
	v_subrev_u32_e32 v4, 28, v7
	v_lshlrev_b64 v[4:5], v4, v[28:29]
	v_sub_u32_e32 v5, 29, v7
	v_and_b32_e32 v4, 7, v4
	v_cndmask_b32_e32 v5, v6, v5, vcc
	v_cndmask_b32_e32 v2, v2, v4, vcc
	v_lshlrev_b32_e32 v4, 24, v28
	v_lshlrev_b32_e32 v2, 20, v2
	v_and_b32_e32 v4, 0x80000000, v4
	v_lshl_add_u32 v5, v5, 23, v0
	v_or3_b32 v2, v4, v5, v2
.LBB405_774:                            ;   in Loop: Header=BB405_10 Depth=1
	s_or_b64 exec, exec, s[38:39]
.LBB405_775:                            ;   in Loop: Header=BB405_10 Depth=1
	s_or_b64 exec, exec, s[36:37]
.LBB405_776:                            ;   in Loop: Header=BB405_10 Depth=1
	s_or_b64 exec, exec, s[34:35]
	v_mul_f32_e32 v2, v62, v2
	v_and_b32_e32 v4, 0x7f800000, v2
	v_cmp_ne_u32_e32 vcc, s42, v4
                                        ; implicit-def: $agpr47
	s_and_saveexec_b64 s[34:35], vcc
	s_xor_b64 vcc, exec, s[34:35]
; %bb.777:                              ;   in Loop: Header=BB405_10 Depth=1
	v_bfe_u32 v4, v2, 16, 1
	v_add3_u32 v2, v2, v4, s43
	v_accvgpr_write_b32 a47, v2
                                        ; implicit-def: $vgpr2
; %bb.778:                              ;   in Loop: Header=BB405_10 Depth=1
	s_andn2_saveexec_b64 s[34:35], vcc
; %bb.779:                              ;   in Loop: Header=BB405_10 Depth=1
	v_or_b32_e32 v4, 0x10000, v2
	v_cmp_eq_u32_sdwa vcc, v2, v1 src0_sel:WORD_0 src1_sel:DWORD
	v_cndmask_b32_e32 v2, v4, v2, vcc
	v_accvgpr_write_b32 a47, v2
; %bb.780:                              ;   in Loop: Header=BB405_10 Depth=1
	s_or_b64 exec, exec, s[34:35]
	v_lshrrev_b16_e32 v30, 8, v28
	v_cmp_ne_u16_e32 vcc, 0, v30
	v_mov_b32_e32 v2, 0
	s_and_saveexec_b64 s[34:35], vcc
	s_cbranch_execz .LBB405_786
; %bb.781:                              ;   in Loop: Header=BB405_10 Depth=1
	v_cmp_ne_u16_e32 vcc, s25, v30
	v_bfrev_b32_e32 v2, 1
	s_and_saveexec_b64 s[36:37], vcc
	s_cbranch_execz .LBB405_785
; %bb.782:                              ;   in Loop: Header=BB405_10 Depth=1
	v_and_b32_e32 v4, 0x7f, v30
	v_cmp_ne_u32_e32 vcc, s41, v4
	v_mov_b32_e32 v2, 0x7f800001
	s_and_saveexec_b64 s[38:39], vcc
	s_cbranch_execz .LBB405_784
; %bb.783:                              ;   in Loop: Header=BB405_10 Depth=1
	v_and_b32_e32 v2, 7, v30
	v_lshrrev_b32_e32 v6, 3, v4
	v_cmp_gt_u32_e32 vcc, 8, v4
	v_ffbh_u32_e32 v4, v2
	v_min_u32_e32 v7, 32, v4
	v_subrev_u32_e32 v4, 28, v7
	v_lshlrev_b64 v[4:5], v4, v[30:31]
	v_sub_u32_e32 v5, 29, v7
	v_and_b32_e32 v4, 7, v4
	v_cndmask_b32_e32 v5, v6, v5, vcc
	v_cndmask_b32_e32 v2, v2, v4, vcc
	v_lshlrev_b32_e32 v4, 16, v28
	v_lshlrev_b32_e32 v2, 20, v2
	v_and_b32_e32 v4, 0x80000000, v4
	v_lshl_add_u32 v5, v5, 23, v0
	v_or3_b32 v2, v4, v5, v2
.LBB405_784:                            ;   in Loop: Header=BB405_10 Depth=1
	s_or_b64 exec, exec, s[38:39]
.LBB405_785:                            ;   in Loop: Header=BB405_10 Depth=1
	s_or_b64 exec, exec, s[36:37]
.LBB405_786:                            ;   in Loop: Header=BB405_10 Depth=1
	s_or_b64 exec, exec, s[34:35]
	v_mul_f32_e32 v2, v62, v2
	v_and_b32_e32 v4, 0x7f800000, v2
	v_cmp_ne_u32_e32 vcc, s42, v4
                                        ; implicit-def: $agpr4
	s_and_saveexec_b64 s[34:35], vcc
	s_xor_b64 vcc, exec, s[34:35]
; %bb.787:                              ;   in Loop: Header=BB405_10 Depth=1
	v_bfe_u32 v4, v2, 16, 1
	v_add3_u32 v2, v2, v4, s43
	v_accvgpr_write_b32 a4, v2
                                        ; implicit-def: $vgpr2
; %bb.788:                              ;   in Loop: Header=BB405_10 Depth=1
	s_andn2_saveexec_b64 s[34:35], vcc
; %bb.789:                              ;   in Loop: Header=BB405_10 Depth=1
	v_or_b32_e32 v4, 0x10000, v2
	v_cmp_eq_u32_sdwa vcc, v2, v1 src0_sel:WORD_0 src1_sel:DWORD
	v_cndmask_b32_e32 v2, v4, v2, vcc
	v_accvgpr_write_b32 a4, v2
; %bb.790:                              ;   in Loop: Header=BB405_10 Depth=1
	s_or_b64 exec, exec, s[34:35]
	v_lshrrev_b32_e32 v30, 16, v28
	v_cmp_ne_u16_sdwa vcc, v30, v1 src0_sel:BYTE_0 src1_sel:DWORD
	v_mov_b32_e32 v2, 0
	s_and_saveexec_b64 s[34:35], vcc
	s_cbranch_execz .LBB405_796
; %bb.791:                              ;   in Loop: Header=BB405_10 Depth=1
	v_cmp_ne_u16_sdwa vcc, v30, s25 src0_sel:BYTE_0 src1_sel:DWORD
	v_bfrev_b32_e32 v2, 1
	s_and_saveexec_b64 s[36:37], vcc
	s_cbranch_execz .LBB405_795
; %bb.792:                              ;   in Loop: Header=BB405_10 Depth=1
	v_bfe_u32 v4, v28, 16, 7
	v_cmp_ne_u32_e32 vcc, s41, v4
	v_mov_b32_e32 v2, 0x7f800001
	s_and_saveexec_b64 s[38:39], vcc
	s_cbranch_execz .LBB405_794
; %bb.793:                              ;   in Loop: Header=BB405_10 Depth=1
	v_and_b32_e32 v2, 7, v30
	v_lshrrev_b32_e32 v6, 3, v4
	v_cmp_gt_u32_e32 vcc, 8, v4
	v_ffbh_u32_e32 v4, v2
	v_min_u32_e32 v7, 32, v4
	v_subrev_u32_e32 v4, 28, v7
	v_lshlrev_b64 v[4:5], v4, v[30:31]
	v_sub_u32_e32 v5, 29, v7
	v_and_b32_e32 v4, 7, v4
	v_cndmask_b32_e32 v5, v6, v5, vcc
	v_cndmask_b32_e32 v2, v2, v4, vcc
	v_lshlrev_b32_e32 v4, 24, v30
	v_lshlrev_b32_e32 v2, 20, v2
	v_and_b32_e32 v4, 0x80000000, v4
	v_lshl_add_u32 v5, v5, 23, v0
	v_or3_b32 v2, v4, v5, v2
.LBB405_794:                            ;   in Loop: Header=BB405_10 Depth=1
	s_or_b64 exec, exec, s[38:39]
.LBB405_795:                            ;   in Loop: Header=BB405_10 Depth=1
	s_or_b64 exec, exec, s[36:37]
.LBB405_796:                            ;   in Loop: Header=BB405_10 Depth=1
	s_or_b64 exec, exec, s[34:35]
	v_mul_f32_e32 v2, v62, v2
	v_and_b32_e32 v4, 0x7f800000, v2
	v_cmp_ne_u32_e32 vcc, s42, v4
                                        ; implicit-def: $agpr48
	s_and_saveexec_b64 s[34:35], vcc
	s_xor_b64 vcc, exec, s[34:35]
; %bb.797:                              ;   in Loop: Header=BB405_10 Depth=1
	v_bfe_u32 v4, v2, 16, 1
	v_add3_u32 v2, v2, v4, s43
	v_accvgpr_write_b32 a48, v2
                                        ; implicit-def: $vgpr2
; %bb.798:                              ;   in Loop: Header=BB405_10 Depth=1
	s_andn2_saveexec_b64 s[34:35], vcc
; %bb.799:                              ;   in Loop: Header=BB405_10 Depth=1
	v_or_b32_e32 v4, 0x10000, v2
	v_cmp_eq_u32_sdwa vcc, v2, v1 src0_sel:WORD_0 src1_sel:DWORD
	v_cndmask_b32_e32 v2, v4, v2, vcc
	v_accvgpr_write_b32 a48, v2
; %bb.800:                              ;   in Loop: Header=BB405_10 Depth=1
	s_or_b64 exec, exec, s[34:35]
	v_cmp_lt_u32_e32 vcc, s44, v28
	v_mov_b32_e32 v2, 0
	s_and_saveexec_b64 s[34:35], vcc
	s_cbranch_execz .LBB405_806
; %bb.801:                              ;   in Loop: Header=BB405_10 Depth=1
	v_lshrrev_b32_e32 v30, 24, v28
	v_cmp_ne_u32_e32 vcc, s25, v30
	v_bfrev_b32_e32 v2, 1
	s_and_saveexec_b64 s[36:37], vcc
	s_cbranch_execz .LBB405_805
; %bb.802:                              ;   in Loop: Header=BB405_10 Depth=1
	v_bfe_u32 v4, v28, 24, 7
	v_cmp_ne_u32_e32 vcc, s41, v4
	v_mov_b32_e32 v2, 0x7f800001
	s_and_saveexec_b64 s[38:39], vcc
	s_cbranch_execz .LBB405_804
; %bb.803:                              ;   in Loop: Header=BB405_10 Depth=1
	v_and_b32_e32 v2, 7, v30
	v_lshrrev_b32_e32 v6, 3, v4
	v_cmp_gt_u32_e32 vcc, 8, v4
	v_ffbh_u32_e32 v4, v2
	v_min_u32_e32 v7, 32, v4
	v_subrev_u32_e32 v4, 28, v7
	v_lshlrev_b64 v[4:5], v4, v[30:31]
	v_sub_u32_e32 v5, 29, v7
	v_and_b32_e32 v4, 7, v4
	v_cndmask_b32_e32 v5, v6, v5, vcc
	v_cndmask_b32_e32 v2, v2, v4, vcc
	v_lshlrev_b32_e32 v4, 24, v30
	v_lshlrev_b32_e32 v2, 20, v2
	v_and_b32_e32 v4, 0x80000000, v4
	v_lshl_add_u32 v5, v5, 23, v0
	v_or3_b32 v2, v4, v5, v2
.LBB405_804:                            ;   in Loop: Header=BB405_10 Depth=1
	s_or_b64 exec, exec, s[38:39]
.LBB405_805:                            ;   in Loop: Header=BB405_10 Depth=1
	s_or_b64 exec, exec, s[36:37]
.LBB405_806:                            ;   in Loop: Header=BB405_10 Depth=1
	s_or_b64 exec, exec, s[34:35]
	v_mul_f32_e32 v2, v62, v2
	v_and_b32_e32 v4, 0x7f800000, v2
	v_cmp_ne_u32_e32 vcc, s42, v4
                                        ; implicit-def: $agpr49
	s_and_saveexec_b64 s[34:35], vcc
	s_xor_b64 vcc, exec, s[34:35]
; %bb.807:                              ;   in Loop: Header=BB405_10 Depth=1
	v_bfe_u32 v4, v2, 16, 1
	v_add3_u32 v2, v2, v4, s43
	v_accvgpr_write_b32 a49, v2
                                        ; implicit-def: $vgpr2
; %bb.808:                              ;   in Loop: Header=BB405_10 Depth=1
	s_andn2_saveexec_b64 s[34:35], vcc
; %bb.809:                              ;   in Loop: Header=BB405_10 Depth=1
	v_or_b32_e32 v4, 0x10000, v2
	v_cmp_eq_u32_sdwa vcc, v2, v1 src0_sel:WORD_0 src1_sel:DWORD
	v_cndmask_b32_e32 v2, v4, v2, vcc
	v_accvgpr_write_b32 a49, v2
; %bb.810:                              ;   in Loop: Header=BB405_10 Depth=1
	s_or_b64 exec, exec, s[34:35]
	v_add_co_u32_e32 v4, vcc, 0x1000, v20
	v_addc_co_u32_e32 v5, vcc, 0, v21, vcc
	flat_load_dword v28, v[4:5] offset:1024
	v_mov_b32_e32 v2, 0
	s_waitcnt vmcnt(0) lgkmcnt(0)
	v_cmp_ne_u16_sdwa vcc, v28, v1 src0_sel:BYTE_0 src1_sel:DWORD
	s_and_saveexec_b64 s[34:35], vcc
	s_cbranch_execz .LBB405_816
; %bb.811:                              ;   in Loop: Header=BB405_10 Depth=1
	v_cmp_ne_u16_sdwa vcc, v28, s25 src0_sel:BYTE_0 src1_sel:DWORD
	v_bfrev_b32_e32 v2, 1
	s_and_saveexec_b64 s[36:37], vcc
	s_cbranch_execz .LBB405_815
; %bb.812:                              ;   in Loop: Header=BB405_10 Depth=1
	v_and_b32_e32 v4, 0x7f, v28
	v_cmp_ne_u32_e32 vcc, s41, v4
	v_mov_b32_e32 v2, 0x7f800001
	s_and_saveexec_b64 s[38:39], vcc
	s_cbranch_execz .LBB405_814
; %bb.813:                              ;   in Loop: Header=BB405_10 Depth=1
	v_and_b32_e32 v2, 7, v28
	v_lshrrev_b32_e32 v6, 3, v4
	v_cmp_gt_u32_e32 vcc, 8, v4
	v_ffbh_u32_e32 v4, v2
	v_min_u32_e32 v7, 32, v4
	v_subrev_u32_e32 v4, 28, v7
	v_lshlrev_b64 v[4:5], v4, v[28:29]
	v_sub_u32_e32 v5, 29, v7
	v_and_b32_e32 v4, 7, v4
	v_cndmask_b32_e32 v5, v6, v5, vcc
	v_cndmask_b32_e32 v2, v2, v4, vcc
	v_lshlrev_b32_e32 v4, 24, v28
	v_lshlrev_b32_e32 v2, 20, v2
	v_and_b32_e32 v4, 0x80000000, v4
	v_lshl_add_u32 v5, v5, 23, v0
	v_or3_b32 v2, v4, v5, v2
.LBB405_814:                            ;   in Loop: Header=BB405_10 Depth=1
	s_or_b64 exec, exec, s[38:39]
.LBB405_815:                            ;   in Loop: Header=BB405_10 Depth=1
	s_or_b64 exec, exec, s[36:37]
.LBB405_816:                            ;   in Loop: Header=BB405_10 Depth=1
	s_or_b64 exec, exec, s[34:35]
	v_mul_f32_e32 v2, v62, v2
	v_and_b32_e32 v4, 0x7f800000, v2
	v_cmp_ne_u32_e32 vcc, s42, v4
                                        ; implicit-def: $agpr50
	s_and_saveexec_b64 s[34:35], vcc
	s_xor_b64 vcc, exec, s[34:35]
; %bb.817:                              ;   in Loop: Header=BB405_10 Depth=1
	v_bfe_u32 v4, v2, 16, 1
	v_add3_u32 v2, v2, v4, s43
	v_accvgpr_write_b32 a50, v2
                                        ; implicit-def: $vgpr2
; %bb.818:                              ;   in Loop: Header=BB405_10 Depth=1
	s_andn2_saveexec_b64 s[34:35], vcc
; %bb.819:                              ;   in Loop: Header=BB405_10 Depth=1
	v_or_b32_e32 v4, 0x10000, v2
	v_cmp_eq_u32_sdwa vcc, v2, v1 src0_sel:WORD_0 src1_sel:DWORD
	v_cndmask_b32_e32 v2, v4, v2, vcc
	v_accvgpr_write_b32 a50, v2
; %bb.820:                              ;   in Loop: Header=BB405_10 Depth=1
	s_or_b64 exec, exec, s[34:35]
	v_lshrrev_b16_e32 v30, 8, v28
	v_cmp_ne_u16_e32 vcc, 0, v30
	v_mov_b32_e32 v2, 0
	s_and_saveexec_b64 s[34:35], vcc
	s_cbranch_execz .LBB405_826
; %bb.821:                              ;   in Loop: Header=BB405_10 Depth=1
	v_cmp_ne_u16_e32 vcc, s25, v30
	v_bfrev_b32_e32 v2, 1
	s_and_saveexec_b64 s[36:37], vcc
	s_cbranch_execz .LBB405_825
; %bb.822:                              ;   in Loop: Header=BB405_10 Depth=1
	v_and_b32_e32 v4, 0x7f, v30
	v_cmp_ne_u32_e32 vcc, s41, v4
	v_mov_b32_e32 v2, 0x7f800001
	s_and_saveexec_b64 s[38:39], vcc
	s_cbranch_execz .LBB405_824
; %bb.823:                              ;   in Loop: Header=BB405_10 Depth=1
	v_and_b32_e32 v2, 7, v30
	v_lshrrev_b32_e32 v6, 3, v4
	v_cmp_gt_u32_e32 vcc, 8, v4
	v_ffbh_u32_e32 v4, v2
	v_min_u32_e32 v7, 32, v4
	v_subrev_u32_e32 v4, 28, v7
	v_lshlrev_b64 v[4:5], v4, v[30:31]
	v_sub_u32_e32 v5, 29, v7
	v_and_b32_e32 v4, 7, v4
	v_cndmask_b32_e32 v5, v6, v5, vcc
	v_cndmask_b32_e32 v2, v2, v4, vcc
	v_lshlrev_b32_e32 v4, 16, v28
	v_lshlrev_b32_e32 v2, 20, v2
	v_and_b32_e32 v4, 0x80000000, v4
	v_lshl_add_u32 v5, v5, 23, v0
	v_or3_b32 v2, v4, v5, v2
.LBB405_824:                            ;   in Loop: Header=BB405_10 Depth=1
	s_or_b64 exec, exec, s[38:39]
.LBB405_825:                            ;   in Loop: Header=BB405_10 Depth=1
	s_or_b64 exec, exec, s[36:37]
.LBB405_826:                            ;   in Loop: Header=BB405_10 Depth=1
	s_or_b64 exec, exec, s[34:35]
	v_mul_f32_e32 v2, v62, v2
	v_and_b32_e32 v4, 0x7f800000, v2
	v_cmp_ne_u32_e32 vcc, s42, v4
                                        ; implicit-def: $agpr51
	s_and_saveexec_b64 s[34:35], vcc
	s_xor_b64 vcc, exec, s[34:35]
; %bb.827:                              ;   in Loop: Header=BB405_10 Depth=1
	v_bfe_u32 v4, v2, 16, 1
	v_add3_u32 v2, v2, v4, s43
	v_accvgpr_write_b32 a51, v2
                                        ; implicit-def: $vgpr2
; %bb.828:                              ;   in Loop: Header=BB405_10 Depth=1
	s_andn2_saveexec_b64 s[34:35], vcc
; %bb.829:                              ;   in Loop: Header=BB405_10 Depth=1
	v_or_b32_e32 v4, 0x10000, v2
	v_cmp_eq_u32_sdwa vcc, v2, v1 src0_sel:WORD_0 src1_sel:DWORD
	v_cndmask_b32_e32 v2, v4, v2, vcc
	v_accvgpr_write_b32 a51, v2
; %bb.830:                              ;   in Loop: Header=BB405_10 Depth=1
	s_or_b64 exec, exec, s[34:35]
	v_lshrrev_b32_e32 v30, 16, v28
	v_cmp_ne_u16_sdwa vcc, v30, v1 src0_sel:BYTE_0 src1_sel:DWORD
	v_mov_b32_e32 v2, 0
	s_and_saveexec_b64 s[34:35], vcc
	s_cbranch_execz .LBB405_836
; %bb.831:                              ;   in Loop: Header=BB405_10 Depth=1
	v_cmp_ne_u16_sdwa vcc, v30, s25 src0_sel:BYTE_0 src1_sel:DWORD
	v_bfrev_b32_e32 v2, 1
	s_and_saveexec_b64 s[36:37], vcc
	s_cbranch_execz .LBB405_835
; %bb.832:                              ;   in Loop: Header=BB405_10 Depth=1
	v_bfe_u32 v4, v28, 16, 7
	v_cmp_ne_u32_e32 vcc, s41, v4
	v_mov_b32_e32 v2, 0x7f800001
	s_and_saveexec_b64 s[38:39], vcc
	s_cbranch_execz .LBB405_834
; %bb.833:                              ;   in Loop: Header=BB405_10 Depth=1
	v_and_b32_e32 v2, 7, v30
	v_lshrrev_b32_e32 v6, 3, v4
	v_cmp_gt_u32_e32 vcc, 8, v4
	v_ffbh_u32_e32 v4, v2
	v_min_u32_e32 v7, 32, v4
	v_subrev_u32_e32 v4, 28, v7
	v_lshlrev_b64 v[4:5], v4, v[30:31]
	v_sub_u32_e32 v5, 29, v7
	v_and_b32_e32 v4, 7, v4
	v_cndmask_b32_e32 v5, v6, v5, vcc
	v_cndmask_b32_e32 v2, v2, v4, vcc
	v_lshlrev_b32_e32 v4, 24, v30
	v_lshlrev_b32_e32 v2, 20, v2
	v_and_b32_e32 v4, 0x80000000, v4
	v_lshl_add_u32 v5, v5, 23, v0
	v_or3_b32 v2, v4, v5, v2
.LBB405_834:                            ;   in Loop: Header=BB405_10 Depth=1
	s_or_b64 exec, exec, s[38:39]
.LBB405_835:                            ;   in Loop: Header=BB405_10 Depth=1
	s_or_b64 exec, exec, s[36:37]
.LBB405_836:                            ;   in Loop: Header=BB405_10 Depth=1
	s_or_b64 exec, exec, s[34:35]
	v_mul_f32_e32 v2, v62, v2
	v_and_b32_e32 v4, 0x7f800000, v2
	v_cmp_ne_u32_e32 vcc, s42, v4
                                        ; implicit-def: $agpr52
	s_and_saveexec_b64 s[34:35], vcc
	s_xor_b64 vcc, exec, s[34:35]
; %bb.837:                              ;   in Loop: Header=BB405_10 Depth=1
	v_bfe_u32 v4, v2, 16, 1
	v_add3_u32 v2, v2, v4, s43
	v_accvgpr_write_b32 a52, v2
                                        ; implicit-def: $vgpr2
; %bb.838:                              ;   in Loop: Header=BB405_10 Depth=1
	s_andn2_saveexec_b64 s[34:35], vcc
; %bb.839:                              ;   in Loop: Header=BB405_10 Depth=1
	v_or_b32_e32 v4, 0x10000, v2
	v_cmp_eq_u32_sdwa vcc, v2, v1 src0_sel:WORD_0 src1_sel:DWORD
	v_cndmask_b32_e32 v2, v4, v2, vcc
	v_accvgpr_write_b32 a52, v2
; %bb.840:                              ;   in Loop: Header=BB405_10 Depth=1
	s_or_b64 exec, exec, s[34:35]
	v_cmp_lt_u32_e32 vcc, s44, v28
	v_mov_b32_e32 v2, 0
	s_and_saveexec_b64 s[34:35], vcc
	s_cbranch_execz .LBB405_846
; %bb.841:                              ;   in Loop: Header=BB405_10 Depth=1
	v_lshrrev_b32_e32 v30, 24, v28
	v_cmp_ne_u32_e32 vcc, s25, v30
	v_bfrev_b32_e32 v2, 1
	s_and_saveexec_b64 s[36:37], vcc
	s_cbranch_execz .LBB405_845
; %bb.842:                              ;   in Loop: Header=BB405_10 Depth=1
	v_bfe_u32 v5, v28, 24, 7
	v_cmp_ne_u32_e32 vcc, s41, v5
	v_mov_b32_e32 v2, 0x7f800001
	s_and_saveexec_b64 s[38:39], vcc
	s_cbranch_execz .LBB405_844
; %bb.843:                              ;   in Loop: Header=BB405_10 Depth=1
	v_and_b32_e32 v2, 7, v30
	v_lshrrev_b32_e32 v8, 3, v5
	v_cmp_gt_u32_e32 vcc, 8, v5
	v_ffbh_u32_e32 v5, v2
	v_min_u32_e32 v5, 32, v5
	v_subrev_u32_e32 v6, 28, v5
	v_lshlrev_b64 v[6:7], v6, v[30:31]
	v_sub_u32_e32 v5, 29, v5
	v_and_b32_e32 v6, 7, v6
	v_cndmask_b32_e32 v5, v8, v5, vcc
	v_cndmask_b32_e32 v2, v2, v6, vcc
	v_lshlrev_b32_e32 v6, 24, v30
	v_lshlrev_b32_e32 v2, 20, v2
	v_and_b32_e32 v6, 0x80000000, v6
	v_lshl_add_u32 v5, v5, 23, v0
	v_or3_b32 v2, v6, v5, v2
.LBB405_844:                            ;   in Loop: Header=BB405_10 Depth=1
	s_or_b64 exec, exec, s[38:39]
.LBB405_845:                            ;   in Loop: Header=BB405_10 Depth=1
	s_or_b64 exec, exec, s[36:37]
.LBB405_846:                            ;   in Loop: Header=BB405_10 Depth=1
	s_or_b64 exec, exec, s[34:35]
	v_mul_f32_e32 v2, v62, v2
	v_and_b32_e32 v5, 0x7f800000, v2
	v_cmp_ne_u32_e32 vcc, s42, v5
                                        ; implicit-def: $agpr53
	s_and_saveexec_b64 s[34:35], vcc
	s_xor_b64 vcc, exec, s[34:35]
; %bb.847:                              ;   in Loop: Header=BB405_10 Depth=1
	v_bfe_u32 v5, v2, 16, 1
	v_add3_u32 v2, v2, v5, s43
	v_accvgpr_write_b32 a53, v2
                                        ; implicit-def: $vgpr2
; %bb.848:                              ;   in Loop: Header=BB405_10 Depth=1
	s_andn2_saveexec_b64 s[34:35], vcc
; %bb.849:                              ;   in Loop: Header=BB405_10 Depth=1
	v_or_b32_e32 v5, 0x10000, v2
	v_cmp_eq_u32_sdwa vcc, v2, v1 src0_sel:WORD_0 src1_sel:DWORD
	v_cndmask_b32_e32 v2, v5, v2, vcc
	v_accvgpr_write_b32 a53, v2
; %bb.850:                              ;   in Loop: Header=BB405_10 Depth=1
	s_or_b64 exec, exec, s[34:35]
	v_add_co_u32_e32 v6, vcc, 0x1400, v20
	v_addc_co_u32_e32 v7, vcc, 0, v21, vcc
	flat_load_dword v28, v[6:7] offset:8
	v_mov_b32_e32 v2, 0
	s_waitcnt vmcnt(0) lgkmcnt(0)
	v_cmp_ne_u16_sdwa vcc, v28, v1 src0_sel:BYTE_0 src1_sel:DWORD
	s_and_saveexec_b64 s[34:35], vcc
	s_cbranch_execz .LBB405_856
; %bb.851:                              ;   in Loop: Header=BB405_10 Depth=1
	v_cmp_ne_u16_sdwa vcc, v28, s25 src0_sel:BYTE_0 src1_sel:DWORD
	v_bfrev_b32_e32 v2, 1
	s_and_saveexec_b64 s[36:37], vcc
	s_cbranch_execz .LBB405_855
; %bb.852:                              ;   in Loop: Header=BB405_10 Depth=1
	v_and_b32_e32 v5, 0x7f, v28
	v_cmp_ne_u32_e32 vcc, s41, v5
	v_mov_b32_e32 v2, 0x7f800001
	s_and_saveexec_b64 s[38:39], vcc
	s_cbranch_execz .LBB405_854
; %bb.853:                              ;   in Loop: Header=BB405_10 Depth=1
	v_and_b32_e32 v2, 7, v28
	v_lshrrev_b32_e32 v8, 3, v5
	v_cmp_gt_u32_e32 vcc, 8, v5
	v_ffbh_u32_e32 v5, v2
	v_min_u32_e32 v5, 32, v5
	v_subrev_u32_e32 v6, 28, v5
	v_lshlrev_b64 v[6:7], v6, v[28:29]
	v_sub_u32_e32 v5, 29, v5
	v_and_b32_e32 v6, 7, v6
	v_cndmask_b32_e32 v5, v8, v5, vcc
	v_cndmask_b32_e32 v2, v2, v6, vcc
	v_lshlrev_b32_e32 v6, 24, v28
	v_lshlrev_b32_e32 v2, 20, v2
	v_and_b32_e32 v6, 0x80000000, v6
	v_lshl_add_u32 v5, v5, 23, v0
	v_or3_b32 v2, v6, v5, v2
.LBB405_854:                            ;   in Loop: Header=BB405_10 Depth=1
	s_or_b64 exec, exec, s[38:39]
.LBB405_855:                            ;   in Loop: Header=BB405_10 Depth=1
	s_or_b64 exec, exec, s[36:37]
.LBB405_856:                            ;   in Loop: Header=BB405_10 Depth=1
	s_or_b64 exec, exec, s[34:35]
	v_mul_f32_e32 v2, v62, v2
	v_and_b32_e32 v5, 0x7f800000, v2
	v_cmp_ne_u32_e32 vcc, s42, v5
                                        ; implicit-def: $vgpr7
	s_and_saveexec_b64 s[34:35], vcc
	s_xor_b64 vcc, exec, s[34:35]
; %bb.857:                              ;   in Loop: Header=BB405_10 Depth=1
	v_bfe_u32 v5, v2, 16, 1
	v_add3_u32 v7, v2, v5, s43
                                        ; implicit-def: $vgpr2
; %bb.858:                              ;   in Loop: Header=BB405_10 Depth=1
	s_andn2_saveexec_b64 s[34:35], vcc
; %bb.859:                              ;   in Loop: Header=BB405_10 Depth=1
	v_or_b32_e32 v5, 0x10000, v2
	v_cmp_eq_u32_sdwa vcc, v2, v1 src0_sel:WORD_0 src1_sel:DWORD
	v_cndmask_b32_e32 v7, v5, v2, vcc
; %bb.860:                              ;   in Loop: Header=BB405_10 Depth=1
	s_or_b64 exec, exec, s[34:35]
	v_lshrrev_b16_e32 v30, 8, v28
	v_cmp_ne_u16_e32 vcc, 0, v30
	v_mov_b32_e32 v2, 0
	s_and_saveexec_b64 s[34:35], vcc
	s_cbranch_execz .LBB405_866
; %bb.861:                              ;   in Loop: Header=BB405_10 Depth=1
	v_cmp_ne_u16_e32 vcc, s25, v30
	v_bfrev_b32_e32 v2, 1
	s_and_saveexec_b64 s[36:37], vcc
	s_cbranch_execz .LBB405_865
; %bb.862:                              ;   in Loop: Header=BB405_10 Depth=1
	v_and_b32_e32 v5, 0x7f, v30
	v_cmp_ne_u32_e32 vcc, s41, v5
	v_mov_b32_e32 v2, 0x7f800001
	s_and_saveexec_b64 s[38:39], vcc
	s_cbranch_execz .LBB405_864
; %bb.863:                              ;   in Loop: Header=BB405_10 Depth=1
	v_and_b32_e32 v2, 7, v30
	v_lshrrev_b32_e32 v8, 3, v5
	v_cmp_gt_u32_e32 vcc, 8, v5
	v_ffbh_u32_e32 v5, v2
	v_min_u32_e32 v5, 32, v5
	v_subrev_u32_e32 v6, 28, v5
	v_mov_b32_e32 v4, v7
	v_lshlrev_b64 v[6:7], v6, v[30:31]
	v_sub_u32_e32 v5, 29, v5
	v_and_b32_e32 v6, 7, v6
	v_cndmask_b32_e32 v5, v8, v5, vcc
	v_cndmask_b32_e32 v2, v2, v6, vcc
	v_lshlrev_b32_e32 v6, 16, v28
	v_lshlrev_b32_e32 v2, 20, v2
	v_and_b32_e32 v6, 0x80000000, v6
	v_lshl_add_u32 v5, v5, 23, v0
	v_mov_b32_e32 v7, v4
	v_or3_b32 v2, v6, v5, v2
.LBB405_864:                            ;   in Loop: Header=BB405_10 Depth=1
	s_or_b64 exec, exec, s[38:39]
.LBB405_865:                            ;   in Loop: Header=BB405_10 Depth=1
	s_or_b64 exec, exec, s[36:37]
.LBB405_866:                            ;   in Loop: Header=BB405_10 Depth=1
	s_or_b64 exec, exec, s[34:35]
	v_mul_f32_e32 v2, v62, v2
	v_and_b32_e32 v5, 0x7f800000, v2
	v_cmp_ne_u32_e32 vcc, s42, v5
                                        ; implicit-def: $agpr55
	s_and_saveexec_b64 s[34:35], vcc
	s_xor_b64 vcc, exec, s[34:35]
; %bb.867:                              ;   in Loop: Header=BB405_10 Depth=1
	v_bfe_u32 v5, v2, 16, 1
	v_add3_u32 v2, v2, v5, s43
	v_accvgpr_write_b32 a55, v2
                                        ; implicit-def: $vgpr2
; %bb.868:                              ;   in Loop: Header=BB405_10 Depth=1
	s_andn2_saveexec_b64 s[34:35], vcc
; %bb.869:                              ;   in Loop: Header=BB405_10 Depth=1
	v_or_b32_e32 v5, 0x10000, v2
	v_cmp_eq_u32_sdwa vcc, v2, v1 src0_sel:WORD_0 src1_sel:DWORD
	v_cndmask_b32_e32 v2, v5, v2, vcc
	v_accvgpr_write_b32 a55, v2
; %bb.870:                              ;   in Loop: Header=BB405_10 Depth=1
	s_or_b64 exec, exec, s[34:35]
	v_lshrrev_b32_e32 v30, 16, v28
	v_cmp_ne_u16_sdwa vcc, v30, v1 src0_sel:BYTE_0 src1_sel:DWORD
	v_mov_b32_e32 v2, 0
	s_and_saveexec_b64 s[34:35], vcc
	s_cbranch_execz .LBB405_876
; %bb.871:                              ;   in Loop: Header=BB405_10 Depth=1
	v_cmp_ne_u16_sdwa vcc, v30, s25 src0_sel:BYTE_0 src1_sel:DWORD
	v_bfrev_b32_e32 v2, 1
	s_and_saveexec_b64 s[36:37], vcc
	s_cbranch_execz .LBB405_875
; %bb.872:                              ;   in Loop: Header=BB405_10 Depth=1
	v_bfe_u32 v5, v28, 16, 7
	v_cmp_ne_u32_e32 vcc, s41, v5
	v_mov_b32_e32 v2, 0x7f800001
	s_and_saveexec_b64 s[38:39], vcc
	s_cbranch_execz .LBB405_874
; %bb.873:                              ;   in Loop: Header=BB405_10 Depth=1
	v_and_b32_e32 v2, 7, v30
	v_mov_b32_e32 v4, v7
	v_lshrrev_b32_e32 v7, 3, v5
	v_cmp_gt_u32_e32 vcc, 8, v5
	v_ffbh_u32_e32 v5, v2
	v_min_u32_e32 v5, 32, v5
	v_subrev_u32_e32 v8, 28, v5
	v_lshlrev_b64 v[8:9], v8, v[30:31]
	v_sub_u32_e32 v5, 29, v5
	v_and_b32_e32 v8, 7, v8
	v_cndmask_b32_e32 v5, v7, v5, vcc
	v_cndmask_b32_e32 v2, v2, v8, vcc
	v_lshlrev_b32_e32 v7, 24, v30
	v_lshlrev_b32_e32 v2, 20, v2
	v_and_b32_e32 v7, 0x80000000, v7
	v_lshl_add_u32 v5, v5, 23, v0
	v_or3_b32 v2, v7, v5, v2
	v_mov_b32_e32 v7, v4
.LBB405_874:                            ;   in Loop: Header=BB405_10 Depth=1
	s_or_b64 exec, exec, s[38:39]
.LBB405_875:                            ;   in Loop: Header=BB405_10 Depth=1
	s_or_b64 exec, exec, s[36:37]
.LBB405_876:                            ;   in Loop: Header=BB405_10 Depth=1
	s_or_b64 exec, exec, s[34:35]
	v_mul_f32_e32 v2, v62, v2
	v_and_b32_e32 v5, 0x7f800000, v2
	v_cmp_ne_u32_e32 vcc, s42, v5
                                        ; implicit-def: $agpr56
	s_and_saveexec_b64 s[34:35], vcc
	s_xor_b64 vcc, exec, s[34:35]
; %bb.877:                              ;   in Loop: Header=BB405_10 Depth=1
	v_bfe_u32 v5, v2, 16, 1
	v_add3_u32 v2, v2, v5, s43
	v_accvgpr_write_b32 a56, v2
                                        ; implicit-def: $vgpr2
; %bb.878:                              ;   in Loop: Header=BB405_10 Depth=1
	s_andn2_saveexec_b64 s[34:35], vcc
; %bb.879:                              ;   in Loop: Header=BB405_10 Depth=1
	v_or_b32_e32 v5, 0x10000, v2
	v_cmp_eq_u32_sdwa vcc, v2, v1 src0_sel:WORD_0 src1_sel:DWORD
	v_cndmask_b32_e32 v2, v5, v2, vcc
	v_accvgpr_write_b32 a56, v2
; %bb.880:                              ;   in Loop: Header=BB405_10 Depth=1
	s_or_b64 exec, exec, s[34:35]
	v_cmp_lt_u32_e32 vcc, s44, v28
	v_mov_b32_e32 v2, 0
	s_and_saveexec_b64 s[34:35], vcc
	s_cbranch_execz .LBB405_886
; %bb.881:                              ;   in Loop: Header=BB405_10 Depth=1
	v_lshrrev_b32_e32 v30, 24, v28
	v_cmp_ne_u32_e32 vcc, s25, v30
	v_bfrev_b32_e32 v2, 1
	s_and_saveexec_b64 s[36:37], vcc
	s_cbranch_execz .LBB405_885
; %bb.882:                              ;   in Loop: Header=BB405_10 Depth=1
	v_bfe_u32 v5, v28, 24, 7
	v_cmp_ne_u32_e32 vcc, s41, v5
	v_mov_b32_e32 v2, 0x7f800001
	s_and_saveexec_b64 s[38:39], vcc
	s_cbranch_execz .LBB405_884
; %bb.883:                              ;   in Loop: Header=BB405_10 Depth=1
	v_and_b32_e32 v2, 7, v30
	v_lshrrev_b32_e32 v12, 3, v5
	v_cmp_gt_u32_e32 vcc, 8, v5
	v_ffbh_u32_e32 v5, v2
	v_min_u32_e32 v5, 32, v5
	v_subrev_u32_e32 v8, 28, v5
	v_lshlrev_b64 v[8:9], v8, v[30:31]
	v_sub_u32_e32 v5, 29, v5
	v_and_b32_e32 v8, 7, v8
	v_cndmask_b32_e32 v5, v12, v5, vcc
	v_cndmask_b32_e32 v2, v2, v8, vcc
	v_lshlrev_b32_e32 v8, 24, v30
	v_lshlrev_b32_e32 v2, 20, v2
	v_and_b32_e32 v8, 0x80000000, v8
	v_lshl_add_u32 v5, v5, 23, v0
	v_or3_b32 v2, v8, v5, v2
.LBB405_884:                            ;   in Loop: Header=BB405_10 Depth=1
	s_or_b64 exec, exec, s[38:39]
.LBB405_885:                            ;   in Loop: Header=BB405_10 Depth=1
	s_or_b64 exec, exec, s[36:37]
.LBB405_886:                            ;   in Loop: Header=BB405_10 Depth=1
	s_or_b64 exec, exec, s[34:35]
	v_mul_f32_e32 v2, v62, v2
	v_and_b32_e32 v5, 0x7f800000, v2
	v_cmp_ne_u32_e32 vcc, s42, v5
                                        ; implicit-def: $vgpr36
	s_and_saveexec_b64 s[34:35], vcc
	s_xor_b64 vcc, exec, s[34:35]
; %bb.887:                              ;   in Loop: Header=BB405_10 Depth=1
	v_bfe_u32 v5, v2, 16, 1
	v_add3_u32 v36, v2, v5, s43
                                        ; implicit-def: $vgpr2
; %bb.888:                              ;   in Loop: Header=BB405_10 Depth=1
	s_andn2_saveexec_b64 s[34:35], vcc
; %bb.889:                              ;   in Loop: Header=BB405_10 Depth=1
	v_or_b32_e32 v5, 0x10000, v2
	v_cmp_eq_u32_sdwa vcc, v2, v1 src0_sel:WORD_0 src1_sel:DWORD
	v_cndmask_b32_e32 v36, v5, v2, vcc
; %bb.890:                              ;   in Loop: Header=BB405_10 Depth=1
	s_or_b64 exec, exec, s[34:35]
	v_add_co_u32_e32 v8, vcc, 0x1000, v20
	v_addc_co_u32_e32 v9, vcc, 0, v21, vcc
	flat_load_dword v28, v[8:9] offset:1536
	v_mov_b32_e32 v2, 0
	s_waitcnt vmcnt(0) lgkmcnt(0)
	v_cmp_ne_u16_sdwa vcc, v28, v1 src0_sel:BYTE_0 src1_sel:DWORD
	s_and_saveexec_b64 s[34:35], vcc
	s_cbranch_execz .LBB405_896
; %bb.891:                              ;   in Loop: Header=BB405_10 Depth=1
	v_cmp_ne_u16_sdwa vcc, v28, s25 src0_sel:BYTE_0 src1_sel:DWORD
	v_bfrev_b32_e32 v2, 1
	s_and_saveexec_b64 s[36:37], vcc
	s_cbranch_execz .LBB405_895
; %bb.892:                              ;   in Loop: Header=BB405_10 Depth=1
	v_and_b32_e32 v5, 0x7f, v28
	v_cmp_ne_u32_e32 vcc, s41, v5
	v_mov_b32_e32 v2, 0x7f800001
	s_and_saveexec_b64 s[38:39], vcc
	s_cbranch_execz .LBB405_894
; %bb.893:                              ;   in Loop: Header=BB405_10 Depth=1
	v_and_b32_e32 v2, 7, v28
	v_lshrrev_b32_e32 v12, 3, v5
	v_cmp_gt_u32_e32 vcc, 8, v5
	v_ffbh_u32_e32 v5, v2
	v_min_u32_e32 v5, 32, v5
	v_subrev_u32_e32 v8, 28, v5
	v_lshlrev_b64 v[8:9], v8, v[28:29]
	v_sub_u32_e32 v5, 29, v5
	v_and_b32_e32 v8, 7, v8
	v_cndmask_b32_e32 v5, v12, v5, vcc
	v_cndmask_b32_e32 v2, v2, v8, vcc
	v_lshlrev_b32_e32 v8, 24, v28
	v_lshlrev_b32_e32 v2, 20, v2
	v_and_b32_e32 v8, 0x80000000, v8
	v_lshl_add_u32 v5, v5, 23, v0
	v_or3_b32 v2, v8, v5, v2
.LBB405_894:                            ;   in Loop: Header=BB405_10 Depth=1
	s_or_b64 exec, exec, s[38:39]
.LBB405_895:                            ;   in Loop: Header=BB405_10 Depth=1
	s_or_b64 exec, exec, s[36:37]
.LBB405_896:                            ;   in Loop: Header=BB405_10 Depth=1
	s_or_b64 exec, exec, s[34:35]
	v_mul_f32_e32 v2, v62, v2
	v_and_b32_e32 v5, 0x7f800000, v2
	v_cmp_ne_u32_e32 vcc, s42, v5
                                        ; implicit-def: $vgpr23
	s_and_saveexec_b64 s[34:35], vcc
	s_xor_b64 vcc, exec, s[34:35]
; %bb.897:                              ;   in Loop: Header=BB405_10 Depth=1
	v_bfe_u32 v5, v2, 16, 1
	v_add3_u32 v23, v2, v5, s43
                                        ; implicit-def: $vgpr2
; %bb.898:                              ;   in Loop: Header=BB405_10 Depth=1
	s_andn2_saveexec_b64 s[34:35], vcc
; %bb.899:                              ;   in Loop: Header=BB405_10 Depth=1
	v_or_b32_e32 v5, 0x10000, v2
	v_cmp_eq_u32_sdwa vcc, v2, v1 src0_sel:WORD_0 src1_sel:DWORD
	v_cndmask_b32_e32 v23, v5, v2, vcc
; %bb.900:                              ;   in Loop: Header=BB405_10 Depth=1
	s_or_b64 exec, exec, s[34:35]
	v_lshrrev_b16_e32 v30, 8, v28
	v_cmp_ne_u16_e32 vcc, 0, v30
	v_mov_b32_e32 v2, 0
	s_and_saveexec_b64 s[34:35], vcc
	s_cbranch_execz .LBB405_906
; %bb.901:                              ;   in Loop: Header=BB405_10 Depth=1
	v_cmp_ne_u16_e32 vcc, s25, v30
	v_bfrev_b32_e32 v2, 1
	s_and_saveexec_b64 s[36:37], vcc
	s_cbranch_execz .LBB405_905
; %bb.902:                              ;   in Loop: Header=BB405_10 Depth=1
	v_and_b32_e32 v5, 0x7f, v30
	v_cmp_ne_u32_e32 vcc, s41, v5
	v_mov_b32_e32 v2, 0x7f800001
	s_and_saveexec_b64 s[38:39], vcc
	s_cbranch_execz .LBB405_904
; %bb.903:                              ;   in Loop: Header=BB405_10 Depth=1
	v_and_b32_e32 v2, 7, v30
	v_lshrrev_b32_e32 v12, 3, v5
	v_cmp_gt_u32_e32 vcc, 8, v5
	v_ffbh_u32_e32 v5, v2
	v_min_u32_e32 v5, 32, v5
	v_subrev_u32_e32 v8, 28, v5
	v_lshlrev_b64 v[8:9], v8, v[30:31]
	v_sub_u32_e32 v5, 29, v5
	v_and_b32_e32 v8, 7, v8
	v_cndmask_b32_e32 v5, v12, v5, vcc
	v_cndmask_b32_e32 v2, v2, v8, vcc
	v_lshlrev_b32_e32 v8, 16, v28
	v_lshlrev_b32_e32 v2, 20, v2
	v_and_b32_e32 v8, 0x80000000, v8
	v_lshl_add_u32 v5, v5, 23, v0
	v_or3_b32 v2, v8, v5, v2
.LBB405_904:                            ;   in Loop: Header=BB405_10 Depth=1
	s_or_b64 exec, exec, s[38:39]
.LBB405_905:                            ;   in Loop: Header=BB405_10 Depth=1
	s_or_b64 exec, exec, s[36:37]
.LBB405_906:                            ;   in Loop: Header=BB405_10 Depth=1
	s_or_b64 exec, exec, s[34:35]
	v_mul_f32_e32 v2, v62, v2
	v_and_b32_e32 v5, 0x7f800000, v2
	v_cmp_ne_u32_e32 vcc, s42, v5
                                        ; implicit-def: $vgpr12
	s_and_saveexec_b64 s[34:35], vcc
	s_xor_b64 vcc, exec, s[34:35]
; %bb.907:                              ;   in Loop: Header=BB405_10 Depth=1
	v_bfe_u32 v5, v2, 16, 1
	v_add3_u32 v12, v2, v5, s43
                                        ; implicit-def: $vgpr2
; %bb.908:                              ;   in Loop: Header=BB405_10 Depth=1
	s_andn2_saveexec_b64 s[34:35], vcc
; %bb.909:                              ;   in Loop: Header=BB405_10 Depth=1
	v_or_b32_e32 v5, 0x10000, v2
	v_cmp_eq_u32_sdwa vcc, v2, v1 src0_sel:WORD_0 src1_sel:DWORD
	v_cndmask_b32_e32 v12, v5, v2, vcc
; %bb.910:                              ;   in Loop: Header=BB405_10 Depth=1
	s_or_b64 exec, exec, s[34:35]
	v_lshrrev_b32_e32 v30, 16, v28
	v_cmp_ne_u16_sdwa vcc, v30, v1 src0_sel:BYTE_0 src1_sel:DWORD
	v_mov_b32_e32 v2, 0
	s_and_saveexec_b64 s[34:35], vcc
	s_cbranch_execz .LBB405_916
; %bb.911:                              ;   in Loop: Header=BB405_10 Depth=1
	v_cmp_ne_u16_sdwa vcc, v30, s25 src0_sel:BYTE_0 src1_sel:DWORD
	v_bfrev_b32_e32 v2, 1
	s_and_saveexec_b64 s[36:37], vcc
	s_cbranch_execz .LBB405_915
; %bb.912:                              ;   in Loop: Header=BB405_10 Depth=1
	v_bfe_u32 v5, v28, 16, 7
	v_cmp_ne_u32_e32 vcc, s41, v5
	v_mov_b32_e32 v2, 0x7f800001
	s_and_saveexec_b64 s[38:39], vcc
	s_cbranch_execz .LBB405_914
; %bb.913:                              ;   in Loop: Header=BB405_10 Depth=1
	v_and_b32_e32 v2, 7, v30
	v_lshrrev_b32_e32 v13, 3, v5
	v_cmp_gt_u32_e32 vcc, 8, v5
	v_ffbh_u32_e32 v5, v2
	v_min_u32_e32 v5, 32, v5
	v_subrev_u32_e32 v8, 28, v5
	v_lshlrev_b64 v[8:9], v8, v[30:31]
	v_sub_u32_e32 v5, 29, v5
	v_and_b32_e32 v8, 7, v8
	v_cndmask_b32_e32 v5, v13, v5, vcc
	v_cndmask_b32_e32 v2, v2, v8, vcc
	v_lshlrev_b32_e32 v8, 24, v30
	v_lshlrev_b32_e32 v2, 20, v2
	v_and_b32_e32 v8, 0x80000000, v8
	v_lshl_add_u32 v5, v5, 23, v0
	v_or3_b32 v2, v8, v5, v2
.LBB405_914:                            ;   in Loop: Header=BB405_10 Depth=1
	s_or_b64 exec, exec, s[38:39]
.LBB405_915:                            ;   in Loop: Header=BB405_10 Depth=1
	s_or_b64 exec, exec, s[36:37]
.LBB405_916:                            ;   in Loop: Header=BB405_10 Depth=1
	s_or_b64 exec, exec, s[34:35]
	v_mul_f32_e32 v2, v62, v2
	v_and_b32_e32 v5, 0x7f800000, v2
	v_cmp_ne_u32_e32 vcc, s42, v5
                                        ; implicit-def: $vgpr32
	s_and_saveexec_b64 s[34:35], vcc
	s_xor_b64 vcc, exec, s[34:35]
; %bb.917:                              ;   in Loop: Header=BB405_10 Depth=1
	v_bfe_u32 v5, v2, 16, 1
	v_add3_u32 v32, v2, v5, s43
                                        ; implicit-def: $vgpr2
; %bb.918:                              ;   in Loop: Header=BB405_10 Depth=1
	s_andn2_saveexec_b64 s[34:35], vcc
; %bb.919:                              ;   in Loop: Header=BB405_10 Depth=1
	v_or_b32_e32 v5, 0x10000, v2
	v_cmp_eq_u32_sdwa vcc, v2, v1 src0_sel:WORD_0 src1_sel:DWORD
	v_cndmask_b32_e32 v32, v5, v2, vcc
; %bb.920:                              ;   in Loop: Header=BB405_10 Depth=1
	s_or_b64 exec, exec, s[34:35]
	v_cmp_lt_u32_e32 vcc, s44, v28
	v_mov_b32_e32 v2, 0
	s_and_saveexec_b64 s[34:35], vcc
	s_cbranch_execz .LBB405_926
; %bb.921:                              ;   in Loop: Header=BB405_10 Depth=1
	v_lshrrev_b32_e32 v30, 24, v28
	v_cmp_ne_u32_e32 vcc, s25, v30
	v_bfrev_b32_e32 v2, 1
	s_and_saveexec_b64 s[36:37], vcc
	s_cbranch_execz .LBB405_925
; %bb.922:                              ;   in Loop: Header=BB405_10 Depth=1
	v_bfe_u32 v5, v28, 24, 7
	v_cmp_ne_u32_e32 vcc, s41, v5
	v_mov_b32_e32 v2, 0x7f800001
	s_and_saveexec_b64 s[38:39], vcc
	s_cbranch_execz .LBB405_924
; %bb.923:                              ;   in Loop: Header=BB405_10 Depth=1
	v_and_b32_e32 v2, 7, v30
	v_lshrrev_b32_e32 v13, 3, v5
	v_cmp_gt_u32_e32 vcc, 8, v5
	v_ffbh_u32_e32 v5, v2
	v_min_u32_e32 v5, 32, v5
	v_subrev_u32_e32 v8, 28, v5
	v_lshlrev_b64 v[8:9], v8, v[30:31]
	v_sub_u32_e32 v5, 29, v5
	v_and_b32_e32 v8, 7, v8
	v_cndmask_b32_e32 v5, v13, v5, vcc
	v_cndmask_b32_e32 v2, v2, v8, vcc
	v_lshlrev_b32_e32 v8, 24, v30
	v_lshlrev_b32_e32 v2, 20, v2
	v_and_b32_e32 v8, 0x80000000, v8
	v_lshl_add_u32 v5, v5, 23, v0
	v_or3_b32 v2, v8, v5, v2
.LBB405_924:                            ;   in Loop: Header=BB405_10 Depth=1
	s_or_b64 exec, exec, s[38:39]
.LBB405_925:                            ;   in Loop: Header=BB405_10 Depth=1
	s_or_b64 exec, exec, s[36:37]
.LBB405_926:                            ;   in Loop: Header=BB405_10 Depth=1
	s_or_b64 exec, exec, s[34:35]
	v_mul_f32_e32 v2, v62, v2
	v_and_b32_e32 v5, 0x7f800000, v2
	v_cmp_ne_u32_e32 vcc, s42, v5
                                        ; implicit-def: $vgpr29
	s_and_saveexec_b64 s[34:35], vcc
	s_xor_b64 vcc, exec, s[34:35]
; %bb.927:                              ;   in Loop: Header=BB405_10 Depth=1
	v_bfe_u32 v5, v2, 16, 1
	v_add3_u32 v29, v2, v5, s43
                                        ; implicit-def: $vgpr2
; %bb.928:                              ;   in Loop: Header=BB405_10 Depth=1
	s_andn2_saveexec_b64 s[34:35], vcc
; %bb.929:                              ;   in Loop: Header=BB405_10 Depth=1
	v_or_b32_e32 v5, 0x10000, v2
	v_cmp_eq_u32_sdwa vcc, v2, v1 src0_sel:WORD_0 src1_sel:DWORD
	v_cndmask_b32_e32 v29, v5, v2, vcc
; %bb.930:                              ;   in Loop: Header=BB405_10 Depth=1
	s_or_b64 exec, exec, s[34:35]
	v_add_co_u32_e32 v8, vcc, 0x1600, v20
	v_addc_co_u32_e32 v9, vcc, 0, v21, vcc
	flat_load_dword v28, v[8:9] offset:8
	v_mov_b32_e32 v2, 0
	s_waitcnt vmcnt(0) lgkmcnt(0)
	v_cmp_ne_u16_sdwa vcc, v28, v1 src0_sel:BYTE_0 src1_sel:DWORD
	s_and_saveexec_b64 s[34:35], vcc
	s_cbranch_execz .LBB405_936
; %bb.931:                              ;   in Loop: Header=BB405_10 Depth=1
	v_cmp_ne_u16_sdwa vcc, v28, s25 src0_sel:BYTE_0 src1_sel:DWORD
	v_bfrev_b32_e32 v2, 1
	s_and_saveexec_b64 s[36:37], vcc
	s_cbranch_execz .LBB405_935
; %bb.932:                              ;   in Loop: Header=BB405_10 Depth=1
	v_and_b32_e32 v5, 0x7f, v28
	v_cmp_ne_u32_e32 vcc, s41, v5
	v_mov_b32_e32 v2, 0x7f800001
	s_and_saveexec_b64 s[38:39], vcc
	s_cbranch_execz .LBB405_934
; %bb.933:                              ;   in Loop: Header=BB405_10 Depth=1
	v_and_b32_e32 v2, 7, v28
	v_lshrrev_b32_e32 v13, 3, v5
	v_cmp_gt_u32_e32 vcc, 8, v5
	v_ffbh_u32_e32 v5, v2
	v_min_u32_e32 v5, 32, v5
	v_subrev_u32_e32 v8, 28, v5
	v_lshlrev_b64 v[8:9], v8, v[28:29]
	v_sub_u32_e32 v5, 29, v5
	v_and_b32_e32 v8, 7, v8
	v_cndmask_b32_e32 v5, v13, v5, vcc
	v_cndmask_b32_e32 v2, v2, v8, vcc
	v_lshlrev_b32_e32 v8, 24, v28
	v_lshlrev_b32_e32 v2, 20, v2
	v_and_b32_e32 v8, 0x80000000, v8
	v_lshl_add_u32 v5, v5, 23, v0
	v_or3_b32 v2, v8, v5, v2
.LBB405_934:                            ;   in Loop: Header=BB405_10 Depth=1
	s_or_b64 exec, exec, s[38:39]
.LBB405_935:                            ;   in Loop: Header=BB405_10 Depth=1
	s_or_b64 exec, exec, s[36:37]
.LBB405_936:                            ;   in Loop: Header=BB405_10 Depth=1
	s_or_b64 exec, exec, s[34:35]
	v_mul_f32_e32 v2, v62, v2
	v_and_b32_e32 v5, 0x7f800000, v2
	v_cmp_ne_u32_e32 vcc, s42, v5
                                        ; implicit-def: $vgpr13
	s_and_saveexec_b64 s[34:35], vcc
	s_xor_b64 vcc, exec, s[34:35]
; %bb.937:                              ;   in Loop: Header=BB405_10 Depth=1
	v_bfe_u32 v5, v2, 16, 1
	v_add3_u32 v13, v2, v5, s43
                                        ; implicit-def: $vgpr2
; %bb.938:                              ;   in Loop: Header=BB405_10 Depth=1
	s_andn2_saveexec_b64 s[34:35], vcc
; %bb.939:                              ;   in Loop: Header=BB405_10 Depth=1
	v_or_b32_e32 v5, 0x10000, v2
	v_cmp_eq_u32_sdwa vcc, v2, v1 src0_sel:WORD_0 src1_sel:DWORD
	v_cndmask_b32_e32 v13, v5, v2, vcc
; %bb.940:                              ;   in Loop: Header=BB405_10 Depth=1
	s_or_b64 exec, exec, s[34:35]
	v_lshrrev_b16_e32 v30, 8, v28
	v_cmp_ne_u16_e32 vcc, 0, v30
	v_mov_b32_e32 v2, 0
	s_and_saveexec_b64 s[34:35], vcc
	s_cbranch_execz .LBB405_946
; %bb.941:                              ;   in Loop: Header=BB405_10 Depth=1
	v_cmp_ne_u16_e32 vcc, s25, v30
	v_bfrev_b32_e32 v2, 1
	s_and_saveexec_b64 s[36:37], vcc
	s_cbranch_execz .LBB405_945
; %bb.942:                              ;   in Loop: Header=BB405_10 Depth=1
	v_and_b32_e32 v5, 0x7f, v30
	v_cmp_ne_u32_e32 vcc, s41, v5
	v_mov_b32_e32 v2, 0x7f800001
	s_and_saveexec_b64 s[38:39], vcc
	s_cbranch_execz .LBB405_944
; %bb.943:                              ;   in Loop: Header=BB405_10 Depth=1
	v_and_b32_e32 v2, 7, v30
	v_lshrrev_b32_e32 v14, 3, v5
	v_cmp_gt_u32_e32 vcc, 8, v5
	v_ffbh_u32_e32 v5, v2
	v_min_u32_e32 v5, 32, v5
	v_subrev_u32_e32 v8, 28, v5
	v_lshlrev_b64 v[8:9], v8, v[30:31]
	v_sub_u32_e32 v5, 29, v5
	v_and_b32_e32 v8, 7, v8
	v_cndmask_b32_e32 v5, v14, v5, vcc
	v_cndmask_b32_e32 v2, v2, v8, vcc
	v_lshlrev_b32_e32 v8, 16, v28
	v_lshlrev_b32_e32 v2, 20, v2
	v_and_b32_e32 v8, 0x80000000, v8
	v_lshl_add_u32 v5, v5, 23, v0
	v_or3_b32 v2, v8, v5, v2
.LBB405_944:                            ;   in Loop: Header=BB405_10 Depth=1
	s_or_b64 exec, exec, s[38:39]
.LBB405_945:                            ;   in Loop: Header=BB405_10 Depth=1
	s_or_b64 exec, exec, s[36:37]
.LBB405_946:                            ;   in Loop: Header=BB405_10 Depth=1
	s_or_b64 exec, exec, s[34:35]
	v_mul_f32_e32 v2, v62, v2
	v_and_b32_e32 v5, 0x7f800000, v2
	v_cmp_ne_u32_e32 vcc, s42, v5
                                        ; implicit-def: $vgpr8
	s_and_saveexec_b64 s[34:35], vcc
	s_xor_b64 vcc, exec, s[34:35]
; %bb.947:                              ;   in Loop: Header=BB405_10 Depth=1
	v_bfe_u32 v5, v2, 16, 1
	v_add3_u32 v8, v2, v5, s43
                                        ; implicit-def: $vgpr2
; %bb.948:                              ;   in Loop: Header=BB405_10 Depth=1
	s_andn2_saveexec_b64 s[34:35], vcc
; %bb.949:                              ;   in Loop: Header=BB405_10 Depth=1
	v_or_b32_e32 v5, 0x10000, v2
	v_cmp_eq_u32_sdwa vcc, v2, v1 src0_sel:WORD_0 src1_sel:DWORD
	v_cndmask_b32_e32 v8, v5, v2, vcc
; %bb.950:                              ;   in Loop: Header=BB405_10 Depth=1
	s_or_b64 exec, exec, s[34:35]
	v_lshrrev_b32_e32 v30, 16, v28
	v_cmp_ne_u16_sdwa vcc, v30, v1 src0_sel:BYTE_0 src1_sel:DWORD
	v_mov_b32_e32 v2, 0
	s_and_saveexec_b64 s[34:35], vcc
	s_cbranch_execz .LBB405_956
; %bb.951:                              ;   in Loop: Header=BB405_10 Depth=1
	v_cmp_ne_u16_sdwa vcc, v30, s25 src0_sel:BYTE_0 src1_sel:DWORD
	v_bfrev_b32_e32 v2, 1
	s_and_saveexec_b64 s[36:37], vcc
	s_cbranch_execz .LBB405_955
; %bb.952:                              ;   in Loop: Header=BB405_10 Depth=1
	v_bfe_u32 v5, v28, 16, 7
	v_cmp_ne_u32_e32 vcc, s41, v5
	v_mov_b32_e32 v2, 0x7f800001
	s_and_saveexec_b64 s[38:39], vcc
	s_cbranch_execz .LBB405_954
; %bb.953:                              ;   in Loop: Header=BB405_10 Depth=1
	v_and_b32_e32 v2, 7, v30
	v_lshrrev_b32_e32 v9, 3, v5
	v_cmp_gt_u32_e32 vcc, 8, v5
	v_ffbh_u32_e32 v5, v2
	v_min_u32_e32 v5, 32, v5
	v_subrev_u32_e32 v14, 28, v5
	v_lshlrev_b64 v[24:25], v14, v[30:31]
	v_sub_u32_e32 v5, 29, v5
	v_and_b32_e32 v14, 7, v24
	v_cndmask_b32_e32 v5, v9, v5, vcc
	v_cndmask_b32_e32 v2, v2, v14, vcc
	v_lshlrev_b32_e32 v9, 24, v30
	v_lshlrev_b32_e32 v2, 20, v2
	v_and_b32_e32 v9, 0x80000000, v9
	v_lshl_add_u32 v5, v5, 23, v0
	v_or3_b32 v2, v9, v5, v2
.LBB405_954:                            ;   in Loop: Header=BB405_10 Depth=1
	s_or_b64 exec, exec, s[38:39]
.LBB405_955:                            ;   in Loop: Header=BB405_10 Depth=1
	s_or_b64 exec, exec, s[36:37]
.LBB405_956:                            ;   in Loop: Header=BB405_10 Depth=1
	s_or_b64 exec, exec, s[34:35]
	v_mul_f32_e32 v2, v62, v2
	v_and_b32_e32 v5, 0x7f800000, v2
	v_cmp_ne_u32_e32 vcc, s42, v5
                                        ; implicit-def: $vgpr9
	s_and_saveexec_b64 s[34:35], vcc
	s_xor_b64 vcc, exec, s[34:35]
; %bb.957:                              ;   in Loop: Header=BB405_10 Depth=1
	v_bfe_u32 v5, v2, 16, 1
	v_add3_u32 v9, v2, v5, s43
                                        ; implicit-def: $vgpr2
; %bb.958:                              ;   in Loop: Header=BB405_10 Depth=1
	s_andn2_saveexec_b64 s[34:35], vcc
; %bb.959:                              ;   in Loop: Header=BB405_10 Depth=1
	v_or_b32_e32 v5, 0x10000, v2
	v_cmp_eq_u32_sdwa vcc, v2, v1 src0_sel:WORD_0 src1_sel:DWORD
	v_cndmask_b32_e32 v9, v5, v2, vcc
; %bb.960:                              ;   in Loop: Header=BB405_10 Depth=1
	s_or_b64 exec, exec, s[34:35]
	v_cmp_lt_u32_e32 vcc, s44, v28
	v_mov_b32_e32 v2, 0
	s_and_saveexec_b64 s[34:35], vcc
	s_cbranch_execz .LBB405_966
; %bb.961:                              ;   in Loop: Header=BB405_10 Depth=1
	v_lshrrev_b32_e32 v30, 24, v28
	v_cmp_ne_u32_e32 vcc, s25, v30
	v_bfrev_b32_e32 v2, 1
	s_and_saveexec_b64 s[36:37], vcc
	s_cbranch_execz .LBB405_965
; %bb.962:                              ;   in Loop: Header=BB405_10 Depth=1
	v_bfe_u32 v5, v28, 24, 7
	v_cmp_ne_u32_e32 vcc, s41, v5
	v_mov_b32_e32 v2, 0x7f800001
	s_and_saveexec_b64 s[38:39], vcc
	s_cbranch_execz .LBB405_964
; %bb.963:                              ;   in Loop: Header=BB405_10 Depth=1
	v_and_b32_e32 v2, 7, v30
	v_lshrrev_b32_e32 v14, 3, v5
	v_cmp_gt_u32_e32 vcc, 8, v5
	v_ffbh_u32_e32 v5, v2
	v_min_u32_e32 v5, 32, v5
	v_subrev_u32_e32 v24, 28, v5
	v_lshlrev_b64 v[24:25], v24, v[30:31]
	v_sub_u32_e32 v5, 29, v5
	v_and_b32_e32 v24, 7, v24
	v_cndmask_b32_e32 v5, v14, v5, vcc
	v_cndmask_b32_e32 v2, v2, v24, vcc
	v_lshlrev_b32_e32 v14, 24, v30
	v_lshlrev_b32_e32 v2, 20, v2
	v_and_b32_e32 v14, 0x80000000, v14
	v_lshl_add_u32 v5, v5, 23, v0
	v_or3_b32 v2, v14, v5, v2
.LBB405_964:                            ;   in Loop: Header=BB405_10 Depth=1
	s_or_b64 exec, exec, s[38:39]
.LBB405_965:                            ;   in Loop: Header=BB405_10 Depth=1
	s_or_b64 exec, exec, s[36:37]
.LBB405_966:                            ;   in Loop: Header=BB405_10 Depth=1
	s_or_b64 exec, exec, s[34:35]
	v_mul_f32_e32 v2, v62, v2
	v_and_b32_e32 v5, 0x7f800000, v2
	v_cmp_ne_u32_e32 vcc, s42, v5
                                        ; implicit-def: $vgpr5
	s_and_saveexec_b64 s[34:35], vcc
	s_xor_b64 vcc, exec, s[34:35]
; %bb.967:                              ;   in Loop: Header=BB405_10 Depth=1
	v_bfe_u32 v5, v2, 16, 1
	v_add3_u32 v5, v2, v5, s43
                                        ; implicit-def: $vgpr2
; %bb.968:                              ;   in Loop: Header=BB405_10 Depth=1
	s_andn2_saveexec_b64 s[34:35], vcc
; %bb.969:                              ;   in Loop: Header=BB405_10 Depth=1
	v_or_b32_e32 v5, 0x10000, v2
	v_cmp_eq_u32_sdwa vcc, v2, v1 src0_sel:WORD_0 src1_sel:DWORD
	v_cndmask_b32_e32 v5, v5, v2, vcc
; %bb.970:                              ;   in Loop: Header=BB405_10 Depth=1
	s_or_b64 exec, exec, s[34:35]
	v_add_co_u32_e32 v24, vcc, 0x1000, v20
	v_addc_co_u32_e32 v25, vcc, 0, v21, vcc
	flat_load_dword v28, v[24:25] offset:2048
	v_mov_b32_e32 v2, 0
	s_waitcnt vmcnt(0) lgkmcnt(0)
	v_cmp_ne_u16_sdwa vcc, v28, v1 src0_sel:BYTE_0 src1_sel:DWORD
	s_and_saveexec_b64 s[34:35], vcc
	s_cbranch_execz .LBB405_976
; %bb.971:                              ;   in Loop: Header=BB405_10 Depth=1
	v_cmp_ne_u16_sdwa vcc, v28, s25 src0_sel:BYTE_0 src1_sel:DWORD
	v_bfrev_b32_e32 v2, 1
	s_and_saveexec_b64 s[36:37], vcc
	s_cbranch_execz .LBB405_975
; %bb.972:                              ;   in Loop: Header=BB405_10 Depth=1
	v_and_b32_e32 v14, 0x7f, v28
	v_cmp_ne_u32_e32 vcc, s41, v14
	v_mov_b32_e32 v2, 0x7f800001
	s_and_saveexec_b64 s[38:39], vcc
	s_cbranch_execz .LBB405_974
; %bb.973:                              ;   in Loop: Header=BB405_10 Depth=1
	v_and_b32_e32 v2, 7, v28
	v_lshrrev_b32_e32 v26, 3, v14
	v_cmp_gt_u32_e32 vcc, 8, v14
	v_ffbh_u32_e32 v14, v2
	v_min_u32_e32 v14, 32, v14
	v_subrev_u32_e32 v24, 28, v14
	v_lshlrev_b64 v[24:25], v24, v[28:29]
	v_sub_u32_e32 v14, 29, v14
	v_and_b32_e32 v24, 7, v24
	v_cndmask_b32_e32 v14, v26, v14, vcc
	v_cndmask_b32_e32 v2, v2, v24, vcc
	v_lshlrev_b32_e32 v24, 24, v28
	v_lshlrev_b32_e32 v2, 20, v2
	v_and_b32_e32 v24, 0x80000000, v24
	v_lshl_add_u32 v14, v14, 23, v0
	v_or3_b32 v2, v24, v14, v2
.LBB405_974:                            ;   in Loop: Header=BB405_10 Depth=1
	s_or_b64 exec, exec, s[38:39]
.LBB405_975:                            ;   in Loop: Header=BB405_10 Depth=1
	s_or_b64 exec, exec, s[36:37]
.LBB405_976:                            ;   in Loop: Header=BB405_10 Depth=1
	s_or_b64 exec, exec, s[34:35]
	v_mul_f32_e32 v2, v62, v2
	v_and_b32_e32 v14, 0x7f800000, v2
	v_cmp_ne_u32_e32 vcc, s42, v14
                                        ; implicit-def: $vgpr25
	s_and_saveexec_b64 s[34:35], vcc
	s_xor_b64 vcc, exec, s[34:35]
; %bb.977:                              ;   in Loop: Header=BB405_10 Depth=1
	v_bfe_u32 v14, v2, 16, 1
	v_add3_u32 v25, v2, v14, s43
                                        ; implicit-def: $vgpr2
; %bb.978:                              ;   in Loop: Header=BB405_10 Depth=1
	s_andn2_saveexec_b64 s[34:35], vcc
; %bb.979:                              ;   in Loop: Header=BB405_10 Depth=1
	v_or_b32_e32 v14, 0x10000, v2
	v_cmp_eq_u32_sdwa vcc, v2, v1 src0_sel:WORD_0 src1_sel:DWORD
	v_cndmask_b32_e32 v25, v14, v2, vcc
; %bb.980:                              ;   in Loop: Header=BB405_10 Depth=1
	s_or_b64 exec, exec, s[34:35]
	v_lshrrev_b16_e32 v30, 8, v28
	v_cmp_ne_u16_e32 vcc, 0, v30
	v_mov_b32_e32 v2, 0
	s_and_saveexec_b64 s[34:35], vcc
	s_cbranch_execz .LBB405_986
; %bb.981:                              ;   in Loop: Header=BB405_10 Depth=1
	v_cmp_ne_u16_e32 vcc, s25, v30
	v_bfrev_b32_e32 v2, 1
	s_and_saveexec_b64 s[36:37], vcc
	s_cbranch_execz .LBB405_985
; %bb.982:                              ;   in Loop: Header=BB405_10 Depth=1
	v_and_b32_e32 v14, 0x7f, v30
	v_cmp_ne_u32_e32 vcc, s41, v14
	v_mov_b32_e32 v2, 0x7f800001
	s_and_saveexec_b64 s[38:39], vcc
	s_cbranch_execz .LBB405_984
; %bb.983:                              ;   in Loop: Header=BB405_10 Depth=1
	v_and_b32_e32 v2, 7, v30
	v_lshrrev_b32_e32 v24, 3, v14
	v_cmp_gt_u32_e32 vcc, 8, v14
	v_ffbh_u32_e32 v14, v2
	v_min_u32_e32 v14, 32, v14
	v_subrev_u32_e32 v26, 28, v14
	v_lshlrev_b64 v[26:27], v26, v[30:31]
	v_sub_u32_e32 v14, 29, v14
	v_and_b32_e32 v26, 7, v26
	v_cndmask_b32_e32 v14, v24, v14, vcc
	v_cndmask_b32_e32 v2, v2, v26, vcc
	v_lshlrev_b32_e32 v24, 16, v28
	v_lshlrev_b32_e32 v2, 20, v2
	v_and_b32_e32 v24, 0x80000000, v24
	v_lshl_add_u32 v14, v14, 23, v0
	v_or3_b32 v2, v24, v14, v2
.LBB405_984:                            ;   in Loop: Header=BB405_10 Depth=1
	s_or_b64 exec, exec, s[38:39]
.LBB405_985:                            ;   in Loop: Header=BB405_10 Depth=1
	s_or_b64 exec, exec, s[36:37]
.LBB405_986:                            ;   in Loop: Header=BB405_10 Depth=1
	s_or_b64 exec, exec, s[34:35]
	v_mul_f32_e32 v2, v62, v2
	v_and_b32_e32 v14, 0x7f800000, v2
	v_cmp_ne_u32_e32 vcc, s42, v14
                                        ; implicit-def: $vgpr24
	s_and_saveexec_b64 s[34:35], vcc
	s_xor_b64 vcc, exec, s[34:35]
; %bb.987:                              ;   in Loop: Header=BB405_10 Depth=1
	v_bfe_u32 v14, v2, 16, 1
	v_add3_u32 v24, v2, v14, s43
                                        ; implicit-def: $vgpr2
; %bb.988:                              ;   in Loop: Header=BB405_10 Depth=1
	s_andn2_saveexec_b64 s[34:35], vcc
; %bb.989:                              ;   in Loop: Header=BB405_10 Depth=1
	v_or_b32_e32 v14, 0x10000, v2
	v_cmp_eq_u32_sdwa vcc, v2, v1 src0_sel:WORD_0 src1_sel:DWORD
	v_cndmask_b32_e32 v24, v14, v2, vcc
; %bb.990:                              ;   in Loop: Header=BB405_10 Depth=1
	s_or_b64 exec, exec, s[34:35]
	v_lshrrev_b32_e32 v30, 16, v28
	v_cmp_ne_u16_sdwa vcc, v30, v1 src0_sel:BYTE_0 src1_sel:DWORD
	v_mov_b32_e32 v2, 0
	s_and_saveexec_b64 s[34:35], vcc
	s_cbranch_execz .LBB405_996
; %bb.991:                              ;   in Loop: Header=BB405_10 Depth=1
	v_cmp_ne_u16_sdwa vcc, v30, s25 src0_sel:BYTE_0 src1_sel:DWORD
	v_bfrev_b32_e32 v2, 1
	s_and_saveexec_b64 s[36:37], vcc
	s_cbranch_execz .LBB405_995
; %bb.992:                              ;   in Loop: Header=BB405_10 Depth=1
	v_bfe_u32 v14, v28, 16, 7
	v_cmp_ne_u32_e32 vcc, s41, v14
	v_mov_b32_e32 v2, 0x7f800001
	s_and_saveexec_b64 s[38:39], vcc
	s_cbranch_execz .LBB405_994
; %bb.993:                              ;   in Loop: Header=BB405_10 Depth=1
	v_and_b32_e32 v2, 7, v30
	v_lshrrev_b32_e32 v31, 3, v14
	v_cmp_gt_u32_e32 vcc, 8, v14
	v_ffbh_u32_e32 v14, v2
	v_min_u32_e32 v14, 32, v14
	v_subrev_u32_e32 v26, 28, v14
	v_lshlrev_b64 v[26:27], v26, v[30:31]
	v_sub_u32_e32 v14, 29, v14
	v_and_b32_e32 v26, 7, v26
	v_cndmask_b32_e32 v14, v31, v14, vcc
	v_cndmask_b32_e32 v2, v2, v26, vcc
	v_lshlrev_b32_e32 v26, 24, v30
	v_lshlrev_b32_e32 v2, 20, v2
	v_and_b32_e32 v26, 0x80000000, v26
	v_lshl_add_u32 v14, v14, 23, v0
	v_or3_b32 v2, v26, v14, v2
.LBB405_994:                            ;   in Loop: Header=BB405_10 Depth=1
	s_or_b64 exec, exec, s[38:39]
.LBB405_995:                            ;   in Loop: Header=BB405_10 Depth=1
	s_or_b64 exec, exec, s[36:37]
.LBB405_996:                            ;   in Loop: Header=BB405_10 Depth=1
	s_or_b64 exec, exec, s[34:35]
	v_mul_f32_e32 v14, v62, v2
	v_and_b32_e32 v2, 0x7f800000, v14
	v_cmp_ne_u32_e32 vcc, s42, v2
                                        ; implicit-def: $vgpr2
	s_and_saveexec_b64 s[34:35], vcc
	s_xor_b64 vcc, exec, s[34:35]
; %bb.997:                              ;   in Loop: Header=BB405_10 Depth=1
	v_bfe_u32 v2, v14, 16, 1
	v_add3_u32 v2, v14, v2, s43
                                        ; implicit-def: $vgpr14
; %bb.998:                              ;   in Loop: Header=BB405_10 Depth=1
	s_andn2_saveexec_b64 s[34:35], vcc
; %bb.999:                              ;   in Loop: Header=BB405_10 Depth=1
	v_or_b32_e32 v2, 0x10000, v14
	v_cmp_eq_u32_sdwa vcc, v14, v1 src0_sel:WORD_0 src1_sel:DWORD
	v_cndmask_b32_e32 v2, v2, v14, vcc
; %bb.1000:                             ;   in Loop: Header=BB405_10 Depth=1
	s_or_b64 exec, exec, s[34:35]
	v_cmp_lt_u32_e32 vcc, s44, v28
	v_mov_b32_e32 v14, 0
	s_and_saveexec_b64 s[34:35], vcc
	s_cbranch_execz .LBB405_1006
; %bb.1001:                             ;   in Loop: Header=BB405_10 Depth=1
	v_lshrrev_b32_e32 v30, 24, v28
	v_cmp_ne_u32_e32 vcc, s25, v30
	v_bfrev_b32_e32 v14, 1
	s_and_saveexec_b64 s[36:37], vcc
	s_cbranch_execz .LBB405_1005
; %bb.1002:                             ;   in Loop: Header=BB405_10 Depth=1
	v_bfe_u32 v26, v28, 24, 7
	v_cmp_ne_u32_e32 vcc, s41, v26
	v_mov_b32_e32 v14, 0x7f800001
	s_and_saveexec_b64 s[38:39], vcc
	s_cbranch_execz .LBB405_1004
; %bb.1003:                             ;   in Loop: Header=BB405_10 Depth=1
	v_and_b32_e32 v14, 7, v30
	v_lshrrev_b32_e32 v28, 3, v26
	v_cmp_gt_u32_e32 vcc, 8, v26
	v_ffbh_u32_e32 v26, v14
	v_min_u32_e32 v31, 32, v26
	v_subrev_u32_e32 v26, 28, v31
	v_lshlrev_b64 v[26:27], v26, v[30:31]
	v_sub_u32_e32 v27, 29, v31
	v_and_b32_e32 v26, 7, v26
	v_cndmask_b32_e32 v27, v28, v27, vcc
	v_cndmask_b32_e32 v14, v14, v26, vcc
	v_lshlrev_b32_e32 v26, 24, v30
	v_lshlrev_b32_e32 v14, 20, v14
	v_and_b32_e32 v26, 0x80000000, v26
	v_lshl_add_u32 v27, v27, 23, v0
	v_or3_b32 v14, v26, v27, v14
.LBB405_1004:                           ;   in Loop: Header=BB405_10 Depth=1
	s_or_b64 exec, exec, s[38:39]
.LBB405_1005:                           ;   in Loop: Header=BB405_10 Depth=1
	s_or_b64 exec, exec, s[36:37]
.LBB405_1006:                           ;   in Loop: Header=BB405_10 Depth=1
	s_or_b64 exec, exec, s[34:35]
	v_mul_f32_e32 v26, v62, v14
	v_and_b32_e32 v14, 0x7f800000, v26
	v_cmp_ne_u32_e32 vcc, s42, v14
                                        ; implicit-def: $vgpr14
	s_and_saveexec_b64 s[34:35], vcc
	s_xor_b64 vcc, exec, s[34:35]
; %bb.1007:                             ;   in Loop: Header=BB405_10 Depth=1
	v_bfe_u32 v14, v26, 16, 1
	v_add3_u32 v14, v26, v14, s43
                                        ; implicit-def: $vgpr26
; %bb.1008:                             ;   in Loop: Header=BB405_10 Depth=1
	s_andn2_saveexec_b64 s[34:35], vcc
; %bb.1009:                             ;   in Loop: Header=BB405_10 Depth=1
	v_or_b32_e32 v14, 0x10000, v26
	v_cmp_eq_u32_sdwa vcc, v26, v1 src0_sel:WORD_0 src1_sel:DWORD
	v_cndmask_b32_e32 v14, v14, v26, vcc
; %bb.1010:                             ;   in Loop: Header=BB405_10 Depth=1
	s_or_b64 exec, exec, s[34:35]
	v_add_co_u32_e32 v26, vcc, 0x1800, v20
	v_addc_co_u32_e32 v27, vcc, 0, v21, vcc
	flat_load_dword v28, v[26:27] offset:8
	v_mov_b32_e32 v26, 0
	s_waitcnt vmcnt(0) lgkmcnt(0)
	v_cmp_ne_u16_sdwa vcc, v28, v1 src0_sel:BYTE_0 src1_sel:DWORD
	s_and_saveexec_b64 s[34:35], vcc
	s_cbranch_execz .LBB405_1016
; %bb.1011:                             ;   in Loop: Header=BB405_10 Depth=1
	v_cmp_ne_u16_sdwa vcc, v28, s25 src0_sel:BYTE_0 src1_sel:DWORD
	v_bfrev_b32_e32 v26, 1
	s_and_saveexec_b64 s[36:37], vcc
	s_cbranch_execz .LBB405_1015
; %bb.1012:                             ;   in Loop: Header=BB405_10 Depth=1
	v_and_b32_e32 v27, 0x7f, v28
	v_cmp_ne_u32_e32 vcc, s41, v27
	v_mov_b32_e32 v26, 0x7f800001
	s_and_saveexec_b64 s[38:39], vcc
	s_cbranch_execz .LBB405_1014
; %bb.1013:                             ;   in Loop: Header=BB405_10 Depth=1
	v_and_b32_e32 v30, 7, v28
	v_ffbh_u32_e32 v26, v30
	v_min_u32_e32 v33, 32, v26
	v_subrev_u32_e32 v26, 28, v33
	v_lshrrev_b32_e32 v31, 3, v27
	v_cmp_gt_u32_e32 vcc, 8, v27
	v_lshlrev_b64 v[26:27], v26, v[28:29]
	v_sub_u32_e32 v27, 29, v33
	v_and_b32_e32 v26, 7, v26
	v_cndmask_b32_e32 v27, v31, v27, vcc
	v_cndmask_b32_e32 v26, v30, v26, vcc
	v_lshlrev_b32_e32 v30, 24, v28
	v_lshlrev_b32_e32 v26, 20, v26
	v_and_b32_e32 v30, 0x80000000, v30
	v_lshl_add_u32 v27, v27, 23, v0
	v_or3_b32 v26, v30, v27, v26
.LBB405_1014:                           ;   in Loop: Header=BB405_10 Depth=1
	s_or_b64 exec, exec, s[38:39]
.LBB405_1015:                           ;   in Loop: Header=BB405_10 Depth=1
	s_or_b64 exec, exec, s[36:37]
.LBB405_1016:                           ;   in Loop: Header=BB405_10 Depth=1
	s_or_b64 exec, exec, s[34:35]
	v_mul_f32_e32 v26, v62, v26
	v_and_b32_e32 v27, 0x7f800000, v26
	v_cmp_ne_u32_e32 vcc, s42, v27
                                        ; implicit-def: $vgpr27
	s_and_saveexec_b64 s[34:35], vcc
	s_xor_b64 vcc, exec, s[34:35]
; %bb.1017:                             ;   in Loop: Header=BB405_10 Depth=1
	v_bfe_u32 v27, v26, 16, 1
	v_add3_u32 v27, v26, v27, s43
                                        ; implicit-def: $vgpr26
; %bb.1018:                             ;   in Loop: Header=BB405_10 Depth=1
	s_andn2_saveexec_b64 s[34:35], vcc
; %bb.1019:                             ;   in Loop: Header=BB405_10 Depth=1
	v_or_b32_e32 v27, 0x10000, v26
	v_cmp_eq_u32_sdwa vcc, v26, v1 src0_sel:WORD_0 src1_sel:DWORD
	v_cndmask_b32_e32 v27, v27, v26, vcc
; %bb.1020:                             ;   in Loop: Header=BB405_10 Depth=1
	s_or_b64 exec, exec, s[34:35]
	v_lshrrev_b16_e32 v30, 8, v28
	v_cmp_ne_u16_e32 vcc, 0, v30
	v_mov_b32_e32 v26, 0
	s_and_saveexec_b64 s[34:35], vcc
	s_cbranch_execz .LBB405_1026
; %bb.1021:                             ;   in Loop: Header=BB405_10 Depth=1
	v_cmp_ne_u16_e32 vcc, s25, v30
	v_bfrev_b32_e32 v26, 1
	s_and_saveexec_b64 s[36:37], vcc
	s_cbranch_execz .LBB405_1025
; %bb.1022:                             ;   in Loop: Header=BB405_10 Depth=1
	v_and_b32_e32 v31, 0x7f, v30
	v_cmp_ne_u32_e32 vcc, s41, v31
	v_mov_b32_e32 v26, 0x7f800001
	s_and_saveexec_b64 s[38:39], vcc
	s_cbranch_execz .LBB405_1024
; %bb.1023:                             ;   in Loop: Header=BB405_10 Depth=1
	v_and_b32_e32 v26, 7, v30
	v_lshrrev_b32_e32 v33, 3, v31
	v_cmp_gt_u32_e32 vcc, 8, v31
	v_ffbh_u32_e32 v31, v26
	v_min_u32_e32 v34, 32, v31
	v_subrev_u32_e32 v31, 28, v34
	v_lshlrev_b64 v[30:31], v31, v[30:31]
	v_sub_u32_e32 v31, 29, v34
	v_and_b32_e32 v30, 7, v30
	v_cndmask_b32_e32 v31, v33, v31, vcc
	v_cndmask_b32_e32 v26, v26, v30, vcc
	v_lshlrev_b32_e32 v30, 16, v28
	v_lshlrev_b32_e32 v26, 20, v26
	v_and_b32_e32 v30, 0x80000000, v30
	v_lshl_add_u32 v31, v31, 23, v0
	v_or3_b32 v26, v30, v31, v26
.LBB405_1024:                           ;   in Loop: Header=BB405_10 Depth=1
	s_or_b64 exec, exec, s[38:39]
.LBB405_1025:                           ;   in Loop: Header=BB405_10 Depth=1
	s_or_b64 exec, exec, s[36:37]
.LBB405_1026:                           ;   in Loop: Header=BB405_10 Depth=1
	s_or_b64 exec, exec, s[34:35]
	v_mul_f32_e32 v30, v62, v26
	v_and_b32_e32 v26, 0x7f800000, v30
	v_cmp_ne_u32_e32 vcc, s42, v26
                                        ; implicit-def: $vgpr26
	s_and_saveexec_b64 s[34:35], vcc
	s_xor_b64 vcc, exec, s[34:35]
; %bb.1027:                             ;   in Loop: Header=BB405_10 Depth=1
	v_bfe_u32 v26, v30, 16, 1
	v_add3_u32 v26, v30, v26, s43
                                        ; implicit-def: $vgpr30
; %bb.1028:                             ;   in Loop: Header=BB405_10 Depth=1
	s_andn2_saveexec_b64 s[34:35], vcc
; %bb.1029:                             ;   in Loop: Header=BB405_10 Depth=1
	v_or_b32_e32 v26, 0x10000, v30
	v_cmp_eq_u32_sdwa vcc, v30, v1 src0_sel:WORD_0 src1_sel:DWORD
	v_cndmask_b32_e32 v26, v26, v30, vcc
; %bb.1030:                             ;   in Loop: Header=BB405_10 Depth=1
	s_or_b64 exec, exec, s[34:35]
	v_lshrrev_b32_e32 v30, 16, v28
	v_cmp_ne_u16_sdwa vcc, v30, v1 src0_sel:BYTE_0 src1_sel:DWORD
	v_mov_b32_e32 v31, 0
	s_and_saveexec_b64 s[34:35], vcc
	s_cbranch_execz .LBB405_1036
; %bb.1031:                             ;   in Loop: Header=BB405_10 Depth=1
	v_cmp_ne_u16_sdwa vcc, v30, s25 src0_sel:BYTE_0 src1_sel:DWORD
	v_bfrev_b32_e32 v31, 1
	s_and_saveexec_b64 s[36:37], vcc
	s_cbranch_execz .LBB405_1035
; %bb.1032:                             ;   in Loop: Header=BB405_10 Depth=1
	v_bfe_u32 v33, v28, 16, 7
	v_cmp_ne_u32_e32 vcc, s41, v33
	v_mov_b32_e32 v31, 0x7f800001
	s_and_saveexec_b64 s[38:39], vcc
	s_cbranch_execz .LBB405_1034
; %bb.1033:                             ;   in Loop: Header=BB405_10 Depth=1
	v_and_b32_e32 v31, 7, v30
	v_lshrrev_b32_e32 v38, 3, v33
	v_cmp_gt_u32_e32 vcc, 8, v33
	v_ffbh_u32_e32 v33, v31
	v_min_u32_e32 v33, 32, v33
	v_subrev_u32_e32 v34, 28, v33
	v_lshlrev_b64 v[34:35], v34, v[30:31]
	v_sub_u32_e32 v33, 29, v33
	v_and_b32_e32 v34, 7, v34
	v_cndmask_b32_e32 v33, v38, v33, vcc
	v_cndmask_b32_e32 v31, v31, v34, vcc
	v_lshlrev_b32_e32 v30, 24, v30
	v_lshlrev_b32_e32 v31, 20, v31
	v_and_b32_e32 v30, 0x80000000, v30
	v_lshl_add_u32 v33, v33, 23, v0
	v_or3_b32 v31, v30, v33, v31
.LBB405_1034:                           ;   in Loop: Header=BB405_10 Depth=1
	s_or_b64 exec, exec, s[38:39]
.LBB405_1035:                           ;   in Loop: Header=BB405_10 Depth=1
	s_or_b64 exec, exec, s[36:37]
.LBB405_1036:                           ;   in Loop: Header=BB405_10 Depth=1
	s_or_b64 exec, exec, s[34:35]
	v_mul_f32_e32 v30, v62, v31
	v_and_b32_e32 v31, 0x7f800000, v30
	v_cmp_ne_u32_e32 vcc, s42, v31
                                        ; implicit-def: $vgpr31
	s_and_saveexec_b64 s[34:35], vcc
	s_xor_b64 vcc, exec, s[34:35]
; %bb.1037:                             ;   in Loop: Header=BB405_10 Depth=1
	v_bfe_u32 v31, v30, 16, 1
	v_add3_u32 v31, v30, v31, s43
                                        ; implicit-def: $vgpr30
; %bb.1038:                             ;   in Loop: Header=BB405_10 Depth=1
	s_andn2_saveexec_b64 s[34:35], vcc
; %bb.1039:                             ;   in Loop: Header=BB405_10 Depth=1
	v_or_b32_e32 v31, 0x10000, v30
	v_cmp_eq_u32_sdwa vcc, v30, v1 src0_sel:WORD_0 src1_sel:DWORD
	v_cndmask_b32_e32 v31, v31, v30, vcc
; %bb.1040:                             ;   in Loop: Header=BB405_10 Depth=1
	s_or_b64 exec, exec, s[34:35]
	v_cmp_lt_u32_e32 vcc, s44, v28
	v_mov_b32_e32 v33, 0
	s_and_saveexec_b64 s[34:35], vcc
	s_cbranch_execz .LBB405_1046
; %bb.1041:                             ;   in Loop: Header=BB405_10 Depth=1
	v_lshrrev_b32_e32 v30, 24, v28
	v_cmp_ne_u32_e32 vcc, s25, v30
	v_bfrev_b32_e32 v33, 1
	s_and_saveexec_b64 s[36:37], vcc
	s_cbranch_execz .LBB405_1045
; %bb.1042:                             ;   in Loop: Header=BB405_10 Depth=1
	v_bfe_u32 v28, v28, 24, 7
	v_cmp_ne_u32_e32 vcc, s41, v28
	v_mov_b32_e32 v33, 0x7f800001
	s_and_saveexec_b64 s[38:39], vcc
	s_cbranch_execz .LBB405_1044
; %bb.1043:                             ;   in Loop: Header=BB405_10 Depth=1
	v_and_b32_e32 v33, 7, v30
	v_lshrrev_b32_e32 v38, 3, v28
	v_cmp_gt_u32_e32 vcc, 8, v28
	v_ffbh_u32_e32 v28, v33
	v_min_u32_e32 v28, 32, v28
	v_subrev_u32_e32 v34, 28, v28
	v_lshlrev_b64 v[34:35], v34, v[30:31]
	v_sub_u32_e32 v28, 29, v28
	v_and_b32_e32 v34, 7, v34
	v_cndmask_b32_e32 v28, v38, v28, vcc
	v_cndmask_b32_e32 v33, v33, v34, vcc
	v_lshlrev_b32_e32 v30, 24, v30
	v_lshlrev_b32_e32 v33, 20, v33
	v_and_b32_e32 v30, 0x80000000, v30
	v_lshl_add_u32 v28, v28, 23, v0
	v_or3_b32 v33, v30, v28, v33
.LBB405_1044:                           ;   in Loop: Header=BB405_10 Depth=1
	s_or_b64 exec, exec, s[38:39]
.LBB405_1045:                           ;   in Loop: Header=BB405_10 Depth=1
	s_or_b64 exec, exec, s[36:37]
.LBB405_1046:                           ;   in Loop: Header=BB405_10 Depth=1
	s_or_b64 exec, exec, s[34:35]
	v_mul_f32_e32 v28, v62, v33
	v_and_b32_e32 v30, 0x7f800000, v28
	v_cmp_ne_u32_e32 vcc, s42, v30
                                        ; implicit-def: $vgpr33
	s_and_saveexec_b64 s[34:35], vcc
	s_xor_b64 vcc, exec, s[34:35]
; %bb.1047:                             ;   in Loop: Header=BB405_10 Depth=1
	v_bfe_u32 v30, v28, 16, 1
	v_add3_u32 v33, v28, v30, s43
                                        ; implicit-def: $vgpr28
; %bb.1048:                             ;   in Loop: Header=BB405_10 Depth=1
	s_andn2_saveexec_b64 s[34:35], vcc
; %bb.1049:                             ;   in Loop: Header=BB405_10 Depth=1
	v_or_b32_e32 v30, 0x10000, v28
	v_cmp_eq_u32_sdwa vcc, v28, v1 src0_sel:WORD_0 src1_sel:DWORD
	v_cndmask_b32_e32 v33, v30, v28, vcc
; %bb.1050:                             ;   in Loop: Header=BB405_10 Depth=1
	s_or_b64 exec, exec, s[34:35]
	v_add_co_u32_e32 v34, vcc, 0x1000, v20
	v_addc_co_u32_e32 v35, vcc, 0, v21, vcc
	flat_load_dword v28, v[34:35] offset:2560
	v_mov_b32_e32 v30, 0
	s_waitcnt vmcnt(0) lgkmcnt(0)
	v_cmp_ne_u16_sdwa vcc, v28, v1 src0_sel:BYTE_0 src1_sel:DWORD
	s_and_saveexec_b64 s[34:35], vcc
	s_cbranch_execz .LBB405_1056
; %bb.1051:                             ;   in Loop: Header=BB405_10 Depth=1
	v_cmp_ne_u16_sdwa vcc, v28, s25 src0_sel:BYTE_0 src1_sel:DWORD
	v_bfrev_b32_e32 v30, 1
	s_and_saveexec_b64 s[36:37], vcc
	s_cbranch_execz .LBB405_1055
; %bb.1052:                             ;   in Loop: Header=BB405_10 Depth=1
	v_and_b32_e32 v34, 0x7f, v28
	v_cmp_ne_u32_e32 vcc, s41, v34
	v_mov_b32_e32 v30, 0x7f800001
	s_and_saveexec_b64 s[38:39], vcc
	s_cbranch_execz .LBB405_1054
; %bb.1053:                             ;   in Loop: Header=BB405_10 Depth=1
	v_and_b32_e32 v30, 7, v28
	v_lshrrev_b32_e32 v38, 3, v34
	v_cmp_gt_u32_e32 vcc, 8, v34
	v_ffbh_u32_e32 v34, v30
	v_min_u32_e32 v39, 32, v34
	v_subrev_u32_e32 v34, 28, v39
	v_lshlrev_b64 v[34:35], v34, v[28:29]
	v_sub_u32_e32 v35, 29, v39
	v_and_b32_e32 v34, 7, v34
	v_cndmask_b32_e32 v35, v38, v35, vcc
	v_cndmask_b32_e32 v30, v30, v34, vcc
	v_lshlrev_b32_e32 v34, 24, v28
	v_lshlrev_b32_e32 v30, 20, v30
	v_and_b32_e32 v34, 0x80000000, v34
	v_lshl_add_u32 v35, v35, 23, v0
	v_or3_b32 v30, v34, v35, v30
.LBB405_1054:                           ;   in Loop: Header=BB405_10 Depth=1
	s_or_b64 exec, exec, s[38:39]
.LBB405_1055:                           ;   in Loop: Header=BB405_10 Depth=1
	s_or_b64 exec, exec, s[36:37]
.LBB405_1056:                           ;   in Loop: Header=BB405_10 Depth=1
	s_or_b64 exec, exec, s[34:35]
	v_mul_f32_e32 v30, v62, v30
	v_and_b32_e32 v34, 0x7f800000, v30
	v_cmp_ne_u32_e32 vcc, s42, v34
                                        ; implicit-def: $vgpr34
	s_and_saveexec_b64 s[34:35], vcc
	s_xor_b64 vcc, exec, s[34:35]
; %bb.1057:                             ;   in Loop: Header=BB405_10 Depth=1
	v_bfe_u32 v34, v30, 16, 1
	v_add3_u32 v34, v30, v34, s43
                                        ; implicit-def: $vgpr30
; %bb.1058:                             ;   in Loop: Header=BB405_10 Depth=1
	s_andn2_saveexec_b64 s[34:35], vcc
; %bb.1059:                             ;   in Loop: Header=BB405_10 Depth=1
	v_or_b32_e32 v34, 0x10000, v30
	v_cmp_eq_u32_sdwa vcc, v30, v1 src0_sel:WORD_0 src1_sel:DWORD
	v_cndmask_b32_e32 v34, v34, v30, vcc
; %bb.1060:                             ;   in Loop: Header=BB405_10 Depth=1
	s_or_b64 exec, exec, s[34:35]
	v_lshrrev_b16_e32 v30, 8, v28
	v_cmp_ne_u16_e32 vcc, 0, v30
	v_mov_b32_e32 v35, 0
	s_and_saveexec_b64 s[34:35], vcc
	s_cbranch_execz .LBB405_1066
; %bb.1061:                             ;   in Loop: Header=BB405_10 Depth=1
	v_cmp_ne_u16_e32 vcc, s25, v30
	v_bfrev_b32_e32 v35, 1
	s_and_saveexec_b64 s[36:37], vcc
	s_cbranch_execz .LBB405_1065
; %bb.1062:                             ;   in Loop: Header=BB405_10 Depth=1
	v_and_b32_e32 v38, 0x7f, v30
	v_cmp_ne_u32_e32 vcc, s41, v38
	v_mov_b32_e32 v35, 0x7f800001
	s_and_saveexec_b64 s[38:39], vcc
	s_cbranch_execz .LBB405_1064
; %bb.1063:                             ;   in Loop: Header=BB405_10 Depth=1
	v_and_b32_e32 v35, 7, v30
	v_lshrrev_b32_e32 v48, 3, v38
	v_cmp_gt_u32_e32 vcc, 8, v38
	v_ffbh_u32_e32 v38, v35
	v_min_u32_e32 v50, 32, v38
	v_subrev_u32_e32 v38, 28, v50
	v_lshlrev_b64 v[38:39], v38, v[30:31]
	v_sub_u32_e32 v30, 29, v50
	v_and_b32_e32 v38, 7, v38
	v_cndmask_b32_e32 v30, v48, v30, vcc
	v_cndmask_b32_e32 v35, v35, v38, vcc
	v_lshlrev_b32_e32 v38, 16, v28
	v_lshlrev_b32_e32 v35, 20, v35
	v_and_b32_e32 v38, 0x80000000, v38
	v_lshl_add_u32 v30, v30, 23, v0
	v_or3_b32 v35, v38, v30, v35
.LBB405_1064:                           ;   in Loop: Header=BB405_10 Depth=1
	s_or_b64 exec, exec, s[38:39]
.LBB405_1065:                           ;   in Loop: Header=BB405_10 Depth=1
	s_or_b64 exec, exec, s[36:37]
.LBB405_1066:                           ;   in Loop: Header=BB405_10 Depth=1
	s_or_b64 exec, exec, s[34:35]
	v_mul_f32_e32 v30, v62, v35
	v_and_b32_e32 v35, 0x7f800000, v30
	v_cmp_ne_u32_e32 vcc, s42, v35
                                        ; implicit-def: $vgpr35
	s_and_saveexec_b64 s[34:35], vcc
	s_xor_b64 vcc, exec, s[34:35]
; %bb.1067:                             ;   in Loop: Header=BB405_10 Depth=1
	v_bfe_u32 v35, v30, 16, 1
	v_add3_u32 v35, v30, v35, s43
                                        ; implicit-def: $vgpr30
; %bb.1068:                             ;   in Loop: Header=BB405_10 Depth=1
	s_andn2_saveexec_b64 s[34:35], vcc
; %bb.1069:                             ;   in Loop: Header=BB405_10 Depth=1
	v_or_b32_e32 v35, 0x10000, v30
	v_cmp_eq_u32_sdwa vcc, v30, v1 src0_sel:WORD_0 src1_sel:DWORD
	v_cndmask_b32_e32 v35, v35, v30, vcc
; %bb.1070:                             ;   in Loop: Header=BB405_10 Depth=1
	s_or_b64 exec, exec, s[34:35]
	v_lshrrev_b32_e32 v30, 16, v28
	v_cmp_ne_u16_sdwa vcc, v30, v1 src0_sel:BYTE_0 src1_sel:DWORD
	v_mov_b32_e32 v38, 0
	s_and_saveexec_b64 s[34:35], vcc
	s_cbranch_execz .LBB405_1076
; %bb.1071:                             ;   in Loop: Header=BB405_10 Depth=1
	v_cmp_ne_u16_sdwa vcc, v30, s25 src0_sel:BYTE_0 src1_sel:DWORD
	v_bfrev_b32_e32 v38, 1
	s_and_saveexec_b64 s[36:37], vcc
	s_cbranch_execz .LBB405_1075
; %bb.1072:                             ;   in Loop: Header=BB405_10 Depth=1
	v_bfe_u32 v39, v28, 16, 7
	v_cmp_ne_u32_e32 vcc, s41, v39
	v_mov_b32_e32 v38, 0x7f800001
	s_and_saveexec_b64 s[38:39], vcc
	s_cbranch_execz .LBB405_1074
; %bb.1073:                             ;   in Loop: Header=BB405_10 Depth=1
	v_and_b32_e32 v48, 7, v30
	v_ffbh_u32_e32 v38, v48
	v_min_u32_e32 v51, 32, v38
	v_subrev_u32_e32 v38, 28, v51
	v_lshrrev_b32_e32 v50, 3, v39
	v_cmp_gt_u32_e32 vcc, 8, v39
	v_lshlrev_b64 v[38:39], v38, v[30:31]
	v_sub_u32_e32 v39, 29, v51
	v_and_b32_e32 v38, 7, v38
	v_cndmask_b32_e32 v39, v50, v39, vcc
	v_cndmask_b32_e32 v38, v48, v38, vcc
	v_lshlrev_b32_e32 v30, 24, v30
	v_lshlrev_b32_e32 v38, 20, v38
	v_and_b32_e32 v30, 0x80000000, v30
	v_lshl_add_u32 v39, v39, 23, v0
	v_or3_b32 v38, v30, v39, v38
.LBB405_1074:                           ;   in Loop: Header=BB405_10 Depth=1
	s_or_b64 exec, exec, s[38:39]
.LBB405_1075:                           ;   in Loop: Header=BB405_10 Depth=1
	s_or_b64 exec, exec, s[36:37]
.LBB405_1076:                           ;   in Loop: Header=BB405_10 Depth=1
	s_or_b64 exec, exec, s[34:35]
	v_mul_f32_e32 v30, v62, v38
	v_and_b32_e32 v38, 0x7f800000, v30
	v_cmp_ne_u32_e32 vcc, s42, v38
                                        ; implicit-def: $vgpr38
	s_and_saveexec_b64 s[34:35], vcc
	s_xor_b64 vcc, exec, s[34:35]
; %bb.1077:                             ;   in Loop: Header=BB405_10 Depth=1
	v_bfe_u32 v38, v30, 16, 1
	v_add3_u32 v38, v30, v38, s43
                                        ; implicit-def: $vgpr30
; %bb.1078:                             ;   in Loop: Header=BB405_10 Depth=1
	s_andn2_saveexec_b64 s[34:35], vcc
; %bb.1079:                             ;   in Loop: Header=BB405_10 Depth=1
	v_or_b32_e32 v38, 0x10000, v30
	v_cmp_eq_u32_sdwa vcc, v30, v1 src0_sel:WORD_0 src1_sel:DWORD
	v_cndmask_b32_e32 v38, v38, v30, vcc
; %bb.1080:                             ;   in Loop: Header=BB405_10 Depth=1
	s_or_b64 exec, exec, s[34:35]
	v_cmp_lt_u32_e32 vcc, s44, v28
	v_mov_b32_e32 v39, 0
	s_and_saveexec_b64 s[34:35], vcc
	s_cbranch_execz .LBB405_1086
; %bb.1081:                             ;   in Loop: Header=BB405_10 Depth=1
	v_lshrrev_b32_e32 v30, 24, v28
	v_cmp_ne_u32_e32 vcc, s25, v30
	v_bfrev_b32_e32 v39, 1
	s_and_saveexec_b64 s[36:37], vcc
	s_cbranch_execz .LBB405_1085
; %bb.1082:                             ;   in Loop: Header=BB405_10 Depth=1
	v_bfe_u32 v28, v28, 24, 7
	v_cmp_ne_u32_e32 vcc, s41, v28
	v_mov_b32_e32 v39, 0x7f800001
	s_and_saveexec_b64 s[38:39], vcc
	s_cbranch_execz .LBB405_1084
; %bb.1083:                             ;   in Loop: Header=BB405_10 Depth=1
	v_and_b32_e32 v39, 7, v30
	v_lshrrev_b32_e32 v48, 3, v28
	v_cmp_gt_u32_e32 vcc, 8, v28
	v_ffbh_u32_e32 v28, v39
	v_min_u32_e32 v28, 32, v28
	v_subrev_u32_e32 v50, 28, v28
	v_lshlrev_b64 v[50:51], v50, v[30:31]
	v_sub_u32_e32 v28, 29, v28
	v_and_b32_e32 v50, 7, v50
	v_cndmask_b32_e32 v28, v48, v28, vcc
	v_cndmask_b32_e32 v39, v39, v50, vcc
	v_lshlrev_b32_e32 v30, 24, v30
	v_lshlrev_b32_e32 v39, 20, v39
	v_and_b32_e32 v30, 0x80000000, v30
	v_lshl_add_u32 v28, v28, 23, v0
	v_or3_b32 v39, v30, v28, v39
.LBB405_1084:                           ;   in Loop: Header=BB405_10 Depth=1
	s_or_b64 exec, exec, s[38:39]
.LBB405_1085:                           ;   in Loop: Header=BB405_10 Depth=1
	s_or_b64 exec, exec, s[36:37]
.LBB405_1086:                           ;   in Loop: Header=BB405_10 Depth=1
	s_or_b64 exec, exec, s[34:35]
	v_mul_f32_e32 v28, v62, v39
	v_and_b32_e32 v30, 0x7f800000, v28
	v_cmp_ne_u32_e32 vcc, s42, v30
                                        ; implicit-def: $vgpr39
	s_and_saveexec_b64 s[34:35], vcc
	s_xor_b64 vcc, exec, s[34:35]
; %bb.1087:                             ;   in Loop: Header=BB405_10 Depth=1
	v_bfe_u32 v30, v28, 16, 1
	v_add3_u32 v39, v28, v30, s43
                                        ; implicit-def: $vgpr28
; %bb.1088:                             ;   in Loop: Header=BB405_10 Depth=1
	s_andn2_saveexec_b64 s[34:35], vcc
; %bb.1089:                             ;   in Loop: Header=BB405_10 Depth=1
	v_or_b32_e32 v30, 0x10000, v28
	v_cmp_eq_u32_sdwa vcc, v28, v1 src0_sel:WORD_0 src1_sel:DWORD
	v_cndmask_b32_e32 v39, v30, v28, vcc
; %bb.1090:                             ;   in Loop: Header=BB405_10 Depth=1
	s_or_b64 exec, exec, s[34:35]
	v_add_co_u32_e32 v50, vcc, 0x1a00, v20
	v_addc_co_u32_e32 v51, vcc, 0, v21, vcc
	flat_load_dword v28, v[50:51] offset:8
	v_mov_b32_e32 v30, 0
	s_waitcnt vmcnt(0) lgkmcnt(0)
	v_cmp_ne_u16_sdwa vcc, v28, v1 src0_sel:BYTE_0 src1_sel:DWORD
	s_and_saveexec_b64 s[34:35], vcc
	s_cbranch_execz .LBB405_1096
; %bb.1091:                             ;   in Loop: Header=BB405_10 Depth=1
	v_cmp_ne_u16_sdwa vcc, v28, s25 src0_sel:BYTE_0 src1_sel:DWORD
	v_bfrev_b32_e32 v30, 1
	s_and_saveexec_b64 s[36:37], vcc
	s_cbranch_execz .LBB405_1095
; %bb.1092:                             ;   in Loop: Header=BB405_10 Depth=1
	v_and_b32_e32 v48, 0x7f, v28
	v_cmp_ne_u32_e32 vcc, s41, v48
	v_mov_b32_e32 v30, 0x7f800001
	s_and_saveexec_b64 s[38:39], vcc
	s_cbranch_execz .LBB405_1094
; %bb.1093:                             ;   in Loop: Header=BB405_10 Depth=1
	v_and_b32_e32 v30, 7, v28
	v_lshrrev_b32_e32 v52, 3, v48
	v_cmp_gt_u32_e32 vcc, 8, v48
	v_ffbh_u32_e32 v48, v30
	v_min_u32_e32 v48, 32, v48
	v_subrev_u32_e32 v50, 28, v48
	v_lshlrev_b64 v[50:51], v50, v[28:29]
	v_sub_u32_e32 v48, 29, v48
	v_and_b32_e32 v50, 7, v50
	v_cndmask_b32_e32 v48, v52, v48, vcc
	v_cndmask_b32_e32 v30, v30, v50, vcc
	v_lshlrev_b32_e32 v50, 24, v28
	v_lshlrev_b32_e32 v30, 20, v30
	v_and_b32_e32 v50, 0x80000000, v50
	v_lshl_add_u32 v48, v48, 23, v0
	v_or3_b32 v30, v50, v48, v30
.LBB405_1094:                           ;   in Loop: Header=BB405_10 Depth=1
	s_or_b64 exec, exec, s[38:39]
.LBB405_1095:                           ;   in Loop: Header=BB405_10 Depth=1
	s_or_b64 exec, exec, s[36:37]
.LBB405_1096:                           ;   in Loop: Header=BB405_10 Depth=1
	s_or_b64 exec, exec, s[34:35]
	v_mul_f32_e32 v30, v62, v30
	v_and_b32_e32 v48, 0x7f800000, v30
	v_cmp_ne_u32_e32 vcc, s42, v48
                                        ; implicit-def: $vgpr48
	s_and_saveexec_b64 s[34:35], vcc
	s_xor_b64 vcc, exec, s[34:35]
; %bb.1097:                             ;   in Loop: Header=BB405_10 Depth=1
	v_bfe_u32 v48, v30, 16, 1
	v_add3_u32 v48, v30, v48, s43
                                        ; implicit-def: $vgpr30
; %bb.1098:                             ;   in Loop: Header=BB405_10 Depth=1
	s_andn2_saveexec_b64 s[34:35], vcc
; %bb.1099:                             ;   in Loop: Header=BB405_10 Depth=1
	v_or_b32_e32 v48, 0x10000, v30
	v_cmp_eq_u32_sdwa vcc, v30, v1 src0_sel:WORD_0 src1_sel:DWORD
	v_cndmask_b32_e32 v48, v48, v30, vcc
; %bb.1100:                             ;   in Loop: Header=BB405_10 Depth=1
	s_or_b64 exec, exec, s[34:35]
	v_lshrrev_b16_e32 v30, 8, v28
	v_cmp_ne_u16_e32 vcc, 0, v30
	v_mov_b32_e32 v50, 0
	s_and_saveexec_b64 s[34:35], vcc
	s_cbranch_execz .LBB405_1106
; %bb.1101:                             ;   in Loop: Header=BB405_10 Depth=1
	v_cmp_ne_u16_e32 vcc, s25, v30
	v_bfrev_b32_e32 v50, 1
	s_and_saveexec_b64 s[36:37], vcc
	s_cbranch_execz .LBB405_1105
; %bb.1102:                             ;   in Loop: Header=BB405_10 Depth=1
	v_and_b32_e32 v51, 0x7f, v30
	v_cmp_ne_u32_e32 vcc, s41, v51
	v_mov_b32_e32 v50, 0x7f800001
	s_and_saveexec_b64 s[38:39], vcc
	s_cbranch_execz .LBB405_1104
; %bb.1103:                             ;   in Loop: Header=BB405_10 Depth=1
	v_and_b32_e32 v52, 7, v30
	v_ffbh_u32_e32 v50, v52
	v_min_u32_e32 v54, 32, v50
	v_subrev_u32_e32 v50, 28, v54
	v_lshrrev_b32_e32 v53, 3, v51
	v_cmp_gt_u32_e32 vcc, 8, v51
	v_lshlrev_b64 v[50:51], v50, v[30:31]
	v_sub_u32_e32 v30, 29, v54
	v_and_b32_e32 v50, 7, v50
	v_cndmask_b32_e32 v30, v53, v30, vcc
	v_cndmask_b32_e32 v50, v52, v50, vcc
	v_lshlrev_b32_e32 v51, 16, v28
	v_lshlrev_b32_e32 v50, 20, v50
	v_and_b32_e32 v51, 0x80000000, v51
	v_lshl_add_u32 v30, v30, 23, v0
	v_or3_b32 v50, v51, v30, v50
.LBB405_1104:                           ;   in Loop: Header=BB405_10 Depth=1
	s_or_b64 exec, exec, s[38:39]
.LBB405_1105:                           ;   in Loop: Header=BB405_10 Depth=1
	s_or_b64 exec, exec, s[36:37]
.LBB405_1106:                           ;   in Loop: Header=BB405_10 Depth=1
	s_or_b64 exec, exec, s[34:35]
	v_mul_f32_e32 v30, v62, v50
	v_and_b32_e32 v50, 0x7f800000, v30
	v_cmp_ne_u32_e32 vcc, s42, v50
                                        ; implicit-def: $vgpr50
	s_and_saveexec_b64 s[34:35], vcc
	s_xor_b64 vcc, exec, s[34:35]
; %bb.1107:                             ;   in Loop: Header=BB405_10 Depth=1
	v_bfe_u32 v50, v30, 16, 1
	v_add3_u32 v50, v30, v50, s43
                                        ; implicit-def: $vgpr30
; %bb.1108:                             ;   in Loop: Header=BB405_10 Depth=1
	s_andn2_saveexec_b64 s[34:35], vcc
; %bb.1109:                             ;   in Loop: Header=BB405_10 Depth=1
	v_or_b32_e32 v50, 0x10000, v30
	v_cmp_eq_u32_sdwa vcc, v30, v1 src0_sel:WORD_0 src1_sel:DWORD
	v_cndmask_b32_e32 v50, v50, v30, vcc
; %bb.1110:                             ;   in Loop: Header=BB405_10 Depth=1
	s_or_b64 exec, exec, s[34:35]
	v_lshrrev_b32_e32 v30, 16, v28
	v_cmp_ne_u16_sdwa vcc, v30, v1 src0_sel:BYTE_0 src1_sel:DWORD
	v_mov_b32_e32 v51, 0
	s_and_saveexec_b64 s[34:35], vcc
	s_cbranch_execz .LBB405_1116
; %bb.1111:                             ;   in Loop: Header=BB405_10 Depth=1
	v_cmp_ne_u16_sdwa vcc, v30, s25 src0_sel:BYTE_0 src1_sel:DWORD
	v_bfrev_b32_e32 v51, 1
	s_and_saveexec_b64 s[36:37], vcc
	s_cbranch_execz .LBB405_1115
; %bb.1112:                             ;   in Loop: Header=BB405_10 Depth=1
	v_bfe_u32 v52, v28, 16, 7
	v_cmp_ne_u32_e32 vcc, s41, v52
	v_mov_b32_e32 v51, 0x7f800001
	s_and_saveexec_b64 s[38:39], vcc
	s_cbranch_execz .LBB405_1114
; %bb.1113:                             ;   in Loop: Header=BB405_10 Depth=1
	v_and_b32_e32 v51, 7, v30
	v_lshrrev_b32_e32 v54, 3, v52
	v_cmp_gt_u32_e32 vcc, 8, v52
	v_ffbh_u32_e32 v52, v51
	v_min_u32_e32 v55, 32, v52
	v_subrev_u32_e32 v52, 28, v55
	v_lshlrev_b64 v[52:53], v52, v[30:31]
	v_sub_u32_e32 v53, 29, v55
	v_and_b32_e32 v52, 7, v52
	v_cndmask_b32_e32 v53, v54, v53, vcc
	v_cndmask_b32_e32 v51, v51, v52, vcc
	v_lshlrev_b32_e32 v30, 24, v30
	v_lshlrev_b32_e32 v51, 20, v51
	v_and_b32_e32 v30, 0x80000000, v30
	v_lshl_add_u32 v52, v53, 23, v0
	v_or3_b32 v51, v30, v52, v51
.LBB405_1114:                           ;   in Loop: Header=BB405_10 Depth=1
	s_or_b64 exec, exec, s[38:39]
.LBB405_1115:                           ;   in Loop: Header=BB405_10 Depth=1
	s_or_b64 exec, exec, s[36:37]
.LBB405_1116:                           ;   in Loop: Header=BB405_10 Depth=1
	s_or_b64 exec, exec, s[34:35]
	v_mul_f32_e32 v30, v62, v51
	v_and_b32_e32 v51, 0x7f800000, v30
	v_cmp_ne_u32_e32 vcc, s42, v51
                                        ; implicit-def: $vgpr51
	s_and_saveexec_b64 s[34:35], vcc
	s_xor_b64 vcc, exec, s[34:35]
; %bb.1117:                             ;   in Loop: Header=BB405_10 Depth=1
	v_bfe_u32 v51, v30, 16, 1
	v_add3_u32 v51, v30, v51, s43
                                        ; implicit-def: $vgpr30
; %bb.1118:                             ;   in Loop: Header=BB405_10 Depth=1
	s_andn2_saveexec_b64 s[34:35], vcc
; %bb.1119:                             ;   in Loop: Header=BB405_10 Depth=1
	v_or_b32_e32 v51, 0x10000, v30
	v_cmp_eq_u32_sdwa vcc, v30, v1 src0_sel:WORD_0 src1_sel:DWORD
	v_cndmask_b32_e32 v51, v51, v30, vcc
; %bb.1120:                             ;   in Loop: Header=BB405_10 Depth=1
	s_or_b64 exec, exec, s[34:35]
	v_cmp_lt_u32_e32 vcc, s44, v28
	v_mov_b32_e32 v52, 0
	s_and_saveexec_b64 s[34:35], vcc
	s_cbranch_execz .LBB405_1126
; %bb.1121:                             ;   in Loop: Header=BB405_10 Depth=1
	v_lshrrev_b32_e32 v30, 24, v28
	v_cmp_ne_u32_e32 vcc, s25, v30
	v_bfrev_b32_e32 v52, 1
	s_and_saveexec_b64 s[36:37], vcc
	s_cbranch_execz .LBB405_1125
; %bb.1122:                             ;   in Loop: Header=BB405_10 Depth=1
	v_bfe_u32 v28, v28, 24, 7
	v_cmp_ne_u32_e32 vcc, s41, v28
	v_mov_b32_e32 v52, 0x7f800001
	s_and_saveexec_b64 s[38:39], vcc
	s_cbranch_execz .LBB405_1124
; %bb.1123:                             ;   in Loop: Header=BB405_10 Depth=1
	v_and_b32_e32 v54, 7, v30
	v_lshrrev_b32_e32 v55, 3, v28
	v_cmp_gt_u32_e32 vcc, 8, v28
	v_ffbh_u32_e32 v28, v54
	v_min_u32_e32 v28, 32, v28
	v_subrev_u32_e32 v52, 28, v28
	v_lshlrev_b64 v[52:53], v52, v[30:31]
	v_sub_u32_e32 v28, 29, v28
	v_and_b32_e32 v52, 7, v52
	v_cndmask_b32_e32 v28, v55, v28, vcc
	v_cndmask_b32_e32 v52, v54, v52, vcc
	v_lshlrev_b32_e32 v30, 24, v30
	v_lshlrev_b32_e32 v52, 20, v52
	v_and_b32_e32 v30, 0x80000000, v30
	v_lshl_add_u32 v28, v28, 23, v0
	v_or3_b32 v52, v30, v28, v52
.LBB405_1124:                           ;   in Loop: Header=BB405_10 Depth=1
	s_or_b64 exec, exec, s[38:39]
.LBB405_1125:                           ;   in Loop: Header=BB405_10 Depth=1
	s_or_b64 exec, exec, s[36:37]
.LBB405_1126:                           ;   in Loop: Header=BB405_10 Depth=1
	s_or_b64 exec, exec, s[34:35]
	v_mul_f32_e32 v28, v62, v52
	v_and_b32_e32 v30, 0x7f800000, v28
	v_cmp_ne_u32_e32 vcc, s42, v30
                                        ; implicit-def: $vgpr52
	s_and_saveexec_b64 s[34:35], vcc
	s_xor_b64 vcc, exec, s[34:35]
; %bb.1127:                             ;   in Loop: Header=BB405_10 Depth=1
	v_bfe_u32 v30, v28, 16, 1
	v_add3_u32 v52, v28, v30, s43
                                        ; implicit-def: $vgpr28
; %bb.1128:                             ;   in Loop: Header=BB405_10 Depth=1
	s_andn2_saveexec_b64 s[34:35], vcc
; %bb.1129:                             ;   in Loop: Header=BB405_10 Depth=1
	v_or_b32_e32 v30, 0x10000, v28
	v_cmp_eq_u32_sdwa vcc, v28, v1 src0_sel:WORD_0 src1_sel:DWORD
	v_cndmask_b32_e32 v52, v30, v28, vcc
; %bb.1130:                             ;   in Loop: Header=BB405_10 Depth=1
	s_or_b64 exec, exec, s[34:35]
	v_add_co_u32_e32 v54, vcc, 0x1000, v20
	v_addc_co_u32_e32 v55, vcc, 0, v21, vcc
	flat_load_dword v28, v[54:55] offset:3072
	v_mov_b32_e32 v30, 0
	s_waitcnt vmcnt(0) lgkmcnt(0)
	v_cmp_ne_u16_sdwa vcc, v28, v1 src0_sel:BYTE_0 src1_sel:DWORD
	s_and_saveexec_b64 s[34:35], vcc
	s_cbranch_execz .LBB405_1136
; %bb.1131:                             ;   in Loop: Header=BB405_10 Depth=1
	v_cmp_ne_u16_sdwa vcc, v28, s25 src0_sel:BYTE_0 src1_sel:DWORD
	v_bfrev_b32_e32 v30, 1
	s_and_saveexec_b64 s[36:37], vcc
	s_cbranch_execz .LBB405_1135
; %bb.1132:                             ;   in Loop: Header=BB405_10 Depth=1
	v_and_b32_e32 v53, 0x7f, v28
	v_cmp_ne_u32_e32 vcc, s41, v53
	v_mov_b32_e32 v30, 0x7f800001
	s_and_saveexec_b64 s[38:39], vcc
	s_cbranch_execz .LBB405_1134
; %bb.1133:                             ;   in Loop: Header=BB405_10 Depth=1
	v_and_b32_e32 v30, 7, v28
	v_lshrrev_b32_e32 v40, 3, v53
	v_cmp_gt_u32_e32 vcc, 8, v53
	v_ffbh_u32_e32 v53, v30
	v_min_u32_e32 v53, 32, v53
	v_subrev_u32_e32 v54, 28, v53
	v_lshlrev_b64 v[54:55], v54, v[28:29]
	v_sub_u32_e32 v53, 29, v53
	v_and_b32_e32 v54, 7, v54
	v_cndmask_b32_e32 v53, v40, v53, vcc
	v_cndmask_b32_e32 v30, v30, v54, vcc
	v_lshlrev_b32_e32 v54, 24, v28
	v_lshlrev_b32_e32 v30, 20, v30
	v_and_b32_e32 v54, 0x80000000, v54
	v_lshl_add_u32 v53, v53, 23, v0
	v_or3_b32 v30, v54, v53, v30
.LBB405_1134:                           ;   in Loop: Header=BB405_10 Depth=1
	s_or_b64 exec, exec, s[38:39]
.LBB405_1135:                           ;   in Loop: Header=BB405_10 Depth=1
	s_or_b64 exec, exec, s[36:37]
.LBB405_1136:                           ;   in Loop: Header=BB405_10 Depth=1
	s_or_b64 exec, exec, s[34:35]
	v_mul_f32_e32 v30, v62, v30
	v_and_b32_e32 v53, 0x7f800000, v30
	v_cmp_ne_u32_e32 vcc, s42, v53
                                        ; implicit-def: $vgpr53
	s_and_saveexec_b64 s[34:35], vcc
	s_xor_b64 vcc, exec, s[34:35]
; %bb.1137:                             ;   in Loop: Header=BB405_10 Depth=1
	v_bfe_u32 v53, v30, 16, 1
	v_add3_u32 v53, v30, v53, s43
                                        ; implicit-def: $vgpr30
; %bb.1138:                             ;   in Loop: Header=BB405_10 Depth=1
	s_andn2_saveexec_b64 s[34:35], vcc
; %bb.1139:                             ;   in Loop: Header=BB405_10 Depth=1
	v_or_b32_e32 v53, 0x10000, v30
	v_cmp_eq_u32_sdwa vcc, v30, v1 src0_sel:WORD_0 src1_sel:DWORD
	v_cndmask_b32_e32 v53, v53, v30, vcc
; %bb.1140:                             ;   in Loop: Header=BB405_10 Depth=1
	s_or_b64 exec, exec, s[34:35]
	v_lshrrev_b16_e32 v30, 8, v28
	v_cmp_ne_u16_e32 vcc, 0, v30
	v_mov_b32_e32 v54, 0
	s_and_saveexec_b64 s[34:35], vcc
	s_cbranch_execz .LBB405_1146
; %bb.1141:                             ;   in Loop: Header=BB405_10 Depth=1
	v_cmp_ne_u16_e32 vcc, s25, v30
	v_bfrev_b32_e32 v54, 1
	s_and_saveexec_b64 s[36:37], vcc
	s_cbranch_execz .LBB405_1145
; %bb.1142:                             ;   in Loop: Header=BB405_10 Depth=1
	v_and_b32_e32 v55, 0x7f, v30
	v_cmp_ne_u32_e32 vcc, s41, v55
	v_mov_b32_e32 v54, 0x7f800001
	s_and_saveexec_b64 s[38:39], vcc
	s_cbranch_execz .LBB405_1144
; %bb.1143:                             ;   in Loop: Header=BB405_10 Depth=1
	v_and_b32_e32 v40, 7, v30
	v_ffbh_u32_e32 v54, v40
	v_min_u32_e32 v42, 32, v54
	v_subrev_u32_e32 v54, 28, v42
	v_lshrrev_b32_e32 v41, 3, v55
	v_cmp_gt_u32_e32 vcc, 8, v55
	v_lshlrev_b64 v[54:55], v54, v[30:31]
	v_sub_u32_e32 v30, 29, v42
	v_and_b32_e32 v54, 7, v54
	v_cndmask_b32_e32 v30, v41, v30, vcc
	v_cndmask_b32_e32 v54, v40, v54, vcc
	v_lshlrev_b32_e32 v55, 16, v28
	v_lshlrev_b32_e32 v54, 20, v54
	v_and_b32_e32 v55, 0x80000000, v55
	v_lshl_add_u32 v30, v30, 23, v0
	v_or3_b32 v54, v55, v30, v54
.LBB405_1144:                           ;   in Loop: Header=BB405_10 Depth=1
	s_or_b64 exec, exec, s[38:39]
.LBB405_1145:                           ;   in Loop: Header=BB405_10 Depth=1
	s_or_b64 exec, exec, s[36:37]
.LBB405_1146:                           ;   in Loop: Header=BB405_10 Depth=1
	s_or_b64 exec, exec, s[34:35]
	v_mul_f32_e32 v30, v62, v54
	v_and_b32_e32 v54, 0x7f800000, v30
	v_cmp_ne_u32_e32 vcc, s42, v54
                                        ; implicit-def: $vgpr54
	s_and_saveexec_b64 s[34:35], vcc
	s_xor_b64 vcc, exec, s[34:35]
; %bb.1147:                             ;   in Loop: Header=BB405_10 Depth=1
	v_bfe_u32 v54, v30, 16, 1
	v_add3_u32 v54, v30, v54, s43
                                        ; implicit-def: $vgpr30
; %bb.1148:                             ;   in Loop: Header=BB405_10 Depth=1
	s_andn2_saveexec_b64 s[34:35], vcc
; %bb.1149:                             ;   in Loop: Header=BB405_10 Depth=1
	v_or_b32_e32 v54, 0x10000, v30
	v_cmp_eq_u32_sdwa vcc, v30, v1 src0_sel:WORD_0 src1_sel:DWORD
	v_cndmask_b32_e32 v54, v54, v30, vcc
; %bb.1150:                             ;   in Loop: Header=BB405_10 Depth=1
	s_or_b64 exec, exec, s[34:35]
	v_lshrrev_b32_e32 v30, 16, v28
	v_cmp_ne_u16_sdwa vcc, v30, v1 src0_sel:BYTE_0 src1_sel:DWORD
	v_mov_b32_e32 v55, 0
	s_and_saveexec_b64 s[34:35], vcc
	s_cbranch_execz .LBB405_1156
; %bb.1151:                             ;   in Loop: Header=BB405_10 Depth=1
	v_cmp_ne_u16_sdwa vcc, v30, s25 src0_sel:BYTE_0 src1_sel:DWORD
	v_bfrev_b32_e32 v55, 1
	s_and_saveexec_b64 s[36:37], vcc
	s_cbranch_execz .LBB405_1155
; %bb.1152:                             ;   in Loop: Header=BB405_10 Depth=1
	v_bfe_u32 v40, v28, 16, 7
	v_cmp_ne_u32_e32 vcc, s41, v40
	v_mov_b32_e32 v55, 0x7f800001
	s_and_saveexec_b64 s[38:39], vcc
	s_cbranch_execz .LBB405_1154
; %bb.1153:                             ;   in Loop: Header=BB405_10 Depth=1
	v_and_b32_e32 v55, 7, v30
	v_lshrrev_b32_e32 v42, 3, v40
	v_cmp_gt_u32_e32 vcc, 8, v40
	v_ffbh_u32_e32 v40, v55
	v_min_u32_e32 v43, 32, v40
	v_subrev_u32_e32 v40, 28, v43
	v_lshlrev_b64 v[40:41], v40, v[30:31]
	v_sub_u32_e32 v41, 29, v43
	v_and_b32_e32 v40, 7, v40
	v_cndmask_b32_e32 v41, v42, v41, vcc
	v_cndmask_b32_e32 v55, v55, v40, vcc
	v_lshlrev_b32_e32 v30, 24, v30
	v_lshlrev_b32_e32 v55, 20, v55
	v_and_b32_e32 v30, 0x80000000, v30
	v_lshl_add_u32 v40, v41, 23, v0
	v_or3_b32 v55, v30, v40, v55
.LBB405_1154:                           ;   in Loop: Header=BB405_10 Depth=1
	s_or_b64 exec, exec, s[38:39]
.LBB405_1155:                           ;   in Loop: Header=BB405_10 Depth=1
	s_or_b64 exec, exec, s[36:37]
.LBB405_1156:                           ;   in Loop: Header=BB405_10 Depth=1
	s_or_b64 exec, exec, s[34:35]
	v_mul_f32_e32 v30, v62, v55
	v_and_b32_e32 v55, 0x7f800000, v30
	v_cmp_ne_u32_e32 vcc, s42, v55
                                        ; implicit-def: $vgpr55
	s_and_saveexec_b64 s[34:35], vcc
	s_xor_b64 vcc, exec, s[34:35]
; %bb.1157:                             ;   in Loop: Header=BB405_10 Depth=1
	v_bfe_u32 v55, v30, 16, 1
	v_add3_u32 v55, v30, v55, s43
                                        ; implicit-def: $vgpr30
; %bb.1158:                             ;   in Loop: Header=BB405_10 Depth=1
	s_andn2_saveexec_b64 s[34:35], vcc
; %bb.1159:                             ;   in Loop: Header=BB405_10 Depth=1
	v_or_b32_e32 v55, 0x10000, v30
	v_cmp_eq_u32_sdwa vcc, v30, v1 src0_sel:WORD_0 src1_sel:DWORD
	v_cndmask_b32_e32 v55, v55, v30, vcc
; %bb.1160:                             ;   in Loop: Header=BB405_10 Depth=1
	s_or_b64 exec, exec, s[34:35]
	v_cmp_lt_u32_e32 vcc, s44, v28
	v_mov_b32_e32 v40, 0
	s_and_saveexec_b64 s[34:35], vcc
	s_cbranch_execz .LBB405_1166
; %bb.1161:                             ;   in Loop: Header=BB405_10 Depth=1
	v_lshrrev_b32_e32 v30, 24, v28
	v_cmp_ne_u32_e32 vcc, s25, v30
	v_bfrev_b32_e32 v40, 1
	s_and_saveexec_b64 s[36:37], vcc
	s_cbranch_execz .LBB405_1165
; %bb.1162:                             ;   in Loop: Header=BB405_10 Depth=1
	v_bfe_u32 v28, v28, 24, 7
	v_cmp_ne_u32_e32 vcc, s41, v28
	v_mov_b32_e32 v40, 0x7f800001
	s_and_saveexec_b64 s[38:39], vcc
	s_cbranch_execz .LBB405_1164
; %bb.1163:                             ;   in Loop: Header=BB405_10 Depth=1
	v_and_b32_e32 v42, 7, v30
	v_lshrrev_b32_e32 v43, 3, v28
	v_cmp_gt_u32_e32 vcc, 8, v28
	v_ffbh_u32_e32 v28, v42
	v_min_u32_e32 v28, 32, v28
	v_subrev_u32_e32 v40, 28, v28
	v_lshlrev_b64 v[40:41], v40, v[30:31]
	v_sub_u32_e32 v28, 29, v28
	v_and_b32_e32 v40, 7, v40
	v_cndmask_b32_e32 v28, v43, v28, vcc
	v_cndmask_b32_e32 v40, v42, v40, vcc
	v_lshlrev_b32_e32 v30, 24, v30
	v_lshlrev_b32_e32 v40, 20, v40
	v_and_b32_e32 v30, 0x80000000, v30
	v_lshl_add_u32 v28, v28, 23, v0
	v_or3_b32 v40, v30, v28, v40
.LBB405_1164:                           ;   in Loop: Header=BB405_10 Depth=1
	s_or_b64 exec, exec, s[38:39]
.LBB405_1165:                           ;   in Loop: Header=BB405_10 Depth=1
	s_or_b64 exec, exec, s[36:37]
.LBB405_1166:                           ;   in Loop: Header=BB405_10 Depth=1
	s_or_b64 exec, exec, s[34:35]
	v_mul_f32_e32 v28, v62, v40
	v_and_b32_e32 v30, 0x7f800000, v28
	v_cmp_ne_u32_e32 vcc, s42, v30
                                        ; implicit-def: $vgpr40
	s_and_saveexec_b64 s[34:35], vcc
	s_xor_b64 vcc, exec, s[34:35]
; %bb.1167:                             ;   in Loop: Header=BB405_10 Depth=1
	v_bfe_u32 v30, v28, 16, 1
	v_add3_u32 v40, v28, v30, s43
                                        ; implicit-def: $vgpr28
; %bb.1168:                             ;   in Loop: Header=BB405_10 Depth=1
	s_andn2_saveexec_b64 s[34:35], vcc
; %bb.1169:                             ;   in Loop: Header=BB405_10 Depth=1
	v_or_b32_e32 v30, 0x10000, v28
	v_cmp_eq_u32_sdwa vcc, v28, v1 src0_sel:WORD_0 src1_sel:DWORD
	v_cndmask_b32_e32 v40, v30, v28, vcc
; %bb.1170:                             ;   in Loop: Header=BB405_10 Depth=1
	s_or_b64 exec, exec, s[34:35]
	v_add_co_u32_e32 v42, vcc, 0x1c00, v20
	v_addc_co_u32_e32 v43, vcc, 0, v21, vcc
	flat_load_dword v28, v[42:43] offset:8
	v_mov_b32_e32 v30, 0
	s_waitcnt vmcnt(0) lgkmcnt(0)
	v_cmp_ne_u16_sdwa vcc, v28, v1 src0_sel:BYTE_0 src1_sel:DWORD
	s_and_saveexec_b64 s[34:35], vcc
	s_cbranch_execz .LBB405_1176
; %bb.1171:                             ;   in Loop: Header=BB405_10 Depth=1
	v_cmp_ne_u16_sdwa vcc, v28, s25 src0_sel:BYTE_0 src1_sel:DWORD
	v_bfrev_b32_e32 v30, 1
	s_and_saveexec_b64 s[36:37], vcc
	s_cbranch_execz .LBB405_1175
; %bb.1172:                             ;   in Loop: Header=BB405_10 Depth=1
	v_and_b32_e32 v41, 0x7f, v28
	v_cmp_ne_u32_e32 vcc, s41, v41
	v_mov_b32_e32 v30, 0x7f800001
	s_and_saveexec_b64 s[38:39], vcc
	s_cbranch_execz .LBB405_1174
; %bb.1173:                             ;   in Loop: Header=BB405_10 Depth=1
	v_and_b32_e32 v30, 7, v28
	v_lshrrev_b32_e32 v44, 3, v41
	v_cmp_gt_u32_e32 vcc, 8, v41
	v_ffbh_u32_e32 v41, v30
	v_min_u32_e32 v41, 32, v41
	v_subrev_u32_e32 v42, 28, v41
	v_lshlrev_b64 v[42:43], v42, v[28:29]
	v_sub_u32_e32 v41, 29, v41
	v_and_b32_e32 v42, 7, v42
	v_cndmask_b32_e32 v41, v44, v41, vcc
	v_cndmask_b32_e32 v30, v30, v42, vcc
	v_lshlrev_b32_e32 v42, 24, v28
	v_lshlrev_b32_e32 v30, 20, v30
	v_and_b32_e32 v42, 0x80000000, v42
	v_lshl_add_u32 v41, v41, 23, v0
	v_or3_b32 v30, v42, v41, v30
.LBB405_1174:                           ;   in Loop: Header=BB405_10 Depth=1
	s_or_b64 exec, exec, s[38:39]
.LBB405_1175:                           ;   in Loop: Header=BB405_10 Depth=1
	s_or_b64 exec, exec, s[36:37]
.LBB405_1176:                           ;   in Loop: Header=BB405_10 Depth=1
	s_or_b64 exec, exec, s[34:35]
	v_mul_f32_e32 v30, v62, v30
	v_and_b32_e32 v41, 0x7f800000, v30
	v_cmp_ne_u32_e32 vcc, s42, v41
                                        ; implicit-def: $vgpr41
	s_and_saveexec_b64 s[34:35], vcc
	s_xor_b64 vcc, exec, s[34:35]
; %bb.1177:                             ;   in Loop: Header=BB405_10 Depth=1
	v_bfe_u32 v41, v30, 16, 1
	v_add3_u32 v41, v30, v41, s43
                                        ; implicit-def: $vgpr30
; %bb.1178:                             ;   in Loop: Header=BB405_10 Depth=1
	s_andn2_saveexec_b64 s[34:35], vcc
; %bb.1179:                             ;   in Loop: Header=BB405_10 Depth=1
	v_or_b32_e32 v41, 0x10000, v30
	v_cmp_eq_u32_sdwa vcc, v30, v1 src0_sel:WORD_0 src1_sel:DWORD
	v_cndmask_b32_e32 v41, v41, v30, vcc
; %bb.1180:                             ;   in Loop: Header=BB405_10 Depth=1
	s_or_b64 exec, exec, s[34:35]
	v_lshrrev_b16_e32 v30, 8, v28
	v_cmp_ne_u16_e32 vcc, 0, v30
	v_mov_b32_e32 v42, 0
	s_and_saveexec_b64 s[34:35], vcc
	s_cbranch_execz .LBB405_1186
; %bb.1181:                             ;   in Loop: Header=BB405_10 Depth=1
	v_cmp_ne_u16_e32 vcc, s25, v30
	v_bfrev_b32_e32 v42, 1
	s_and_saveexec_b64 s[36:37], vcc
	s_cbranch_execz .LBB405_1185
; %bb.1182:                             ;   in Loop: Header=BB405_10 Depth=1
	v_and_b32_e32 v43, 0x7f, v30
	v_cmp_ne_u32_e32 vcc, s41, v43
	v_mov_b32_e32 v42, 0x7f800001
	s_and_saveexec_b64 s[38:39], vcc
	s_cbranch_execz .LBB405_1184
; %bb.1183:                             ;   in Loop: Header=BB405_10 Depth=1
	v_and_b32_e32 v44, 7, v30
	v_ffbh_u32_e32 v42, v44
	v_min_u32_e32 v46, 32, v42
	v_subrev_u32_e32 v42, 28, v46
	v_lshrrev_b32_e32 v45, 3, v43
	v_cmp_gt_u32_e32 vcc, 8, v43
	v_lshlrev_b64 v[42:43], v42, v[30:31]
	v_sub_u32_e32 v30, 29, v46
	v_and_b32_e32 v42, 7, v42
	v_cndmask_b32_e32 v30, v45, v30, vcc
	v_cndmask_b32_e32 v42, v44, v42, vcc
	v_lshlrev_b32_e32 v43, 16, v28
	v_lshlrev_b32_e32 v42, 20, v42
	v_and_b32_e32 v43, 0x80000000, v43
	v_lshl_add_u32 v30, v30, 23, v0
	v_or3_b32 v42, v43, v30, v42
.LBB405_1184:                           ;   in Loop: Header=BB405_10 Depth=1
	s_or_b64 exec, exec, s[38:39]
.LBB405_1185:                           ;   in Loop: Header=BB405_10 Depth=1
	s_or_b64 exec, exec, s[36:37]
.LBB405_1186:                           ;   in Loop: Header=BB405_10 Depth=1
	s_or_b64 exec, exec, s[34:35]
	v_mul_f32_e32 v30, v62, v42
	v_and_b32_e32 v42, 0x7f800000, v30
	v_cmp_ne_u32_e32 vcc, s42, v42
                                        ; implicit-def: $vgpr42
	s_and_saveexec_b64 s[34:35], vcc
	s_xor_b64 vcc, exec, s[34:35]
; %bb.1187:                             ;   in Loop: Header=BB405_10 Depth=1
	v_bfe_u32 v42, v30, 16, 1
	v_add3_u32 v42, v30, v42, s43
                                        ; implicit-def: $vgpr30
; %bb.1188:                             ;   in Loop: Header=BB405_10 Depth=1
	s_andn2_saveexec_b64 s[34:35], vcc
; %bb.1189:                             ;   in Loop: Header=BB405_10 Depth=1
	v_or_b32_e32 v42, 0x10000, v30
	v_cmp_eq_u32_sdwa vcc, v30, v1 src0_sel:WORD_0 src1_sel:DWORD
	v_cndmask_b32_e32 v42, v42, v30, vcc
; %bb.1190:                             ;   in Loop: Header=BB405_10 Depth=1
	s_or_b64 exec, exec, s[34:35]
	v_lshrrev_b32_e32 v30, 16, v28
	v_cmp_ne_u16_sdwa vcc, v30, v1 src0_sel:BYTE_0 src1_sel:DWORD
	v_mov_b32_e32 v43, 0
	s_and_saveexec_b64 s[34:35], vcc
	s_cbranch_execz .LBB405_1196
; %bb.1191:                             ;   in Loop: Header=BB405_10 Depth=1
	v_cmp_ne_u16_sdwa vcc, v30, s25 src0_sel:BYTE_0 src1_sel:DWORD
	v_bfrev_b32_e32 v43, 1
	s_and_saveexec_b64 s[36:37], vcc
	s_cbranch_execz .LBB405_1195
; %bb.1192:                             ;   in Loop: Header=BB405_10 Depth=1
	v_bfe_u32 v44, v28, 16, 7
	v_cmp_ne_u32_e32 vcc, s41, v44
	v_mov_b32_e32 v43, 0x7f800001
	s_and_saveexec_b64 s[38:39], vcc
	s_cbranch_execz .LBB405_1194
; %bb.1193:                             ;   in Loop: Header=BB405_10 Depth=1
	v_and_b32_e32 v43, 7, v30
	v_lshrrev_b32_e32 v46, 3, v44
	v_cmp_gt_u32_e32 vcc, 8, v44
	v_ffbh_u32_e32 v44, v43
	v_min_u32_e32 v47, 32, v44
	v_subrev_u32_e32 v44, 28, v47
	v_lshlrev_b64 v[44:45], v44, v[30:31]
	v_sub_u32_e32 v45, 29, v47
	v_and_b32_e32 v44, 7, v44
	v_cndmask_b32_e32 v45, v46, v45, vcc
	v_cndmask_b32_e32 v43, v43, v44, vcc
	v_lshlrev_b32_e32 v30, 24, v30
	v_lshlrev_b32_e32 v43, 20, v43
	v_and_b32_e32 v30, 0x80000000, v30
	v_lshl_add_u32 v44, v45, 23, v0
	v_or3_b32 v43, v30, v44, v43
.LBB405_1194:                           ;   in Loop: Header=BB405_10 Depth=1
	s_or_b64 exec, exec, s[38:39]
.LBB405_1195:                           ;   in Loop: Header=BB405_10 Depth=1
	s_or_b64 exec, exec, s[36:37]
.LBB405_1196:                           ;   in Loop: Header=BB405_10 Depth=1
	s_or_b64 exec, exec, s[34:35]
	v_mul_f32_e32 v30, v62, v43
	v_and_b32_e32 v43, 0x7f800000, v30
	v_cmp_ne_u32_e32 vcc, s42, v43
                                        ; implicit-def: $vgpr43
	s_and_saveexec_b64 s[34:35], vcc
	s_xor_b64 vcc, exec, s[34:35]
; %bb.1197:                             ;   in Loop: Header=BB405_10 Depth=1
	v_bfe_u32 v43, v30, 16, 1
	v_add3_u32 v43, v30, v43, s43
                                        ; implicit-def: $vgpr30
; %bb.1198:                             ;   in Loop: Header=BB405_10 Depth=1
	s_andn2_saveexec_b64 s[34:35], vcc
; %bb.1199:                             ;   in Loop: Header=BB405_10 Depth=1
	v_or_b32_e32 v43, 0x10000, v30
	v_cmp_eq_u32_sdwa vcc, v30, v1 src0_sel:WORD_0 src1_sel:DWORD
	v_cndmask_b32_e32 v43, v43, v30, vcc
; %bb.1200:                             ;   in Loop: Header=BB405_10 Depth=1
	s_or_b64 exec, exec, s[34:35]
	v_cmp_lt_u32_e32 vcc, s44, v28
	v_mov_b32_e32 v44, 0
	s_and_saveexec_b64 s[34:35], vcc
	s_cbranch_execz .LBB405_1206
; %bb.1201:                             ;   in Loop: Header=BB405_10 Depth=1
	v_lshrrev_b32_e32 v30, 24, v28
	v_cmp_ne_u32_e32 vcc, s25, v30
	v_bfrev_b32_e32 v44, 1
	s_and_saveexec_b64 s[36:37], vcc
	s_cbranch_execz .LBB405_1205
; %bb.1202:                             ;   in Loop: Header=BB405_10 Depth=1
	v_bfe_u32 v28, v28, 24, 7
	v_cmp_ne_u32_e32 vcc, s41, v28
	v_mov_b32_e32 v44, 0x7f800001
	s_and_saveexec_b64 s[38:39], vcc
	s_cbranch_execz .LBB405_1204
; %bb.1203:                             ;   in Loop: Header=BB405_10 Depth=1
	v_and_b32_e32 v46, 7, v30
	v_lshrrev_b32_e32 v47, 3, v28
	v_cmp_gt_u32_e32 vcc, 8, v28
	v_ffbh_u32_e32 v28, v46
	v_min_u32_e32 v28, 32, v28
	v_subrev_u32_e32 v44, 28, v28
	v_lshlrev_b64 v[44:45], v44, v[30:31]
	v_sub_u32_e32 v28, 29, v28
	v_and_b32_e32 v44, 7, v44
	v_cndmask_b32_e32 v28, v47, v28, vcc
	v_cndmask_b32_e32 v44, v46, v44, vcc
	v_lshlrev_b32_e32 v30, 24, v30
	v_lshlrev_b32_e32 v44, 20, v44
	v_and_b32_e32 v30, 0x80000000, v30
	v_lshl_add_u32 v28, v28, 23, v0
	v_or3_b32 v44, v30, v28, v44
.LBB405_1204:                           ;   in Loop: Header=BB405_10 Depth=1
	s_or_b64 exec, exec, s[38:39]
.LBB405_1205:                           ;   in Loop: Header=BB405_10 Depth=1
	s_or_b64 exec, exec, s[36:37]
.LBB405_1206:                           ;   in Loop: Header=BB405_10 Depth=1
	s_or_b64 exec, exec, s[34:35]
	v_mul_f32_e32 v28, v62, v44
	v_and_b32_e32 v30, 0x7f800000, v28
	v_cmp_ne_u32_e32 vcc, s42, v30
                                        ; implicit-def: $vgpr44
	s_and_saveexec_b64 s[34:35], vcc
	s_xor_b64 vcc, exec, s[34:35]
; %bb.1207:                             ;   in Loop: Header=BB405_10 Depth=1
	v_bfe_u32 v30, v28, 16, 1
	v_add3_u32 v44, v28, v30, s43
                                        ; implicit-def: $vgpr28
; %bb.1208:                             ;   in Loop: Header=BB405_10 Depth=1
	s_andn2_saveexec_b64 s[34:35], vcc
; %bb.1209:                             ;   in Loop: Header=BB405_10 Depth=1
	v_or_b32_e32 v30, 0x10000, v28
	v_cmp_eq_u32_sdwa vcc, v28, v1 src0_sel:WORD_0 src1_sel:DWORD
	v_cndmask_b32_e32 v44, v30, v28, vcc
; %bb.1210:                             ;   in Loop: Header=BB405_10 Depth=1
	s_or_b64 exec, exec, s[34:35]
	v_add_co_u32_e32 v46, vcc, 0x1000, v20
	v_addc_co_u32_e32 v47, vcc, 0, v21, vcc
	flat_load_dword v28, v[46:47] offset:3584
	v_mov_b32_e32 v30, 0
	s_waitcnt vmcnt(0) lgkmcnt(0)
	v_cmp_ne_u16_sdwa vcc, v28, v1 src0_sel:BYTE_0 src1_sel:DWORD
	s_and_saveexec_b64 s[34:35], vcc
	s_cbranch_execz .LBB405_1216
; %bb.1211:                             ;   in Loop: Header=BB405_10 Depth=1
	v_cmp_ne_u16_sdwa vcc, v28, s25 src0_sel:BYTE_0 src1_sel:DWORD
	v_bfrev_b32_e32 v30, 1
	s_and_saveexec_b64 s[36:37], vcc
	s_cbranch_execz .LBB405_1215
; %bb.1212:                             ;   in Loop: Header=BB405_10 Depth=1
	v_and_b32_e32 v45, 0x7f, v28
	v_cmp_ne_u32_e32 vcc, s41, v45
	v_mov_b32_e32 v30, 0x7f800001
	s_and_saveexec_b64 s[38:39], vcc
	s_cbranch_execz .LBB405_1214
; %bb.1213:                             ;   in Loop: Header=BB405_10 Depth=1
	v_and_b32_e32 v30, 7, v28
	v_lshrrev_b32_e32 v56, 3, v45
	v_cmp_gt_u32_e32 vcc, 8, v45
	v_ffbh_u32_e32 v45, v30
	v_min_u32_e32 v45, 32, v45
	v_subrev_u32_e32 v46, 28, v45
	v_lshlrev_b64 v[46:47], v46, v[28:29]
	v_sub_u32_e32 v45, 29, v45
	v_and_b32_e32 v46, 7, v46
	v_cndmask_b32_e32 v45, v56, v45, vcc
	v_cndmask_b32_e32 v30, v30, v46, vcc
	v_lshlrev_b32_e32 v46, 24, v28
	v_lshlrev_b32_e32 v30, 20, v30
	v_and_b32_e32 v46, 0x80000000, v46
	v_lshl_add_u32 v45, v45, 23, v0
	v_or3_b32 v30, v46, v45, v30
.LBB405_1214:                           ;   in Loop: Header=BB405_10 Depth=1
	s_or_b64 exec, exec, s[38:39]
.LBB405_1215:                           ;   in Loop: Header=BB405_10 Depth=1
	s_or_b64 exec, exec, s[36:37]
.LBB405_1216:                           ;   in Loop: Header=BB405_10 Depth=1
	s_or_b64 exec, exec, s[34:35]
	v_mul_f32_e32 v30, v62, v30
	v_and_b32_e32 v45, 0x7f800000, v30
	v_cmp_ne_u32_e32 vcc, s42, v45
                                        ; implicit-def: $vgpr45
	s_and_saveexec_b64 s[34:35], vcc
	s_xor_b64 vcc, exec, s[34:35]
; %bb.1217:                             ;   in Loop: Header=BB405_10 Depth=1
	v_bfe_u32 v45, v30, 16, 1
	v_add3_u32 v45, v30, v45, s43
                                        ; implicit-def: $vgpr30
; %bb.1218:                             ;   in Loop: Header=BB405_10 Depth=1
	s_andn2_saveexec_b64 s[34:35], vcc
; %bb.1219:                             ;   in Loop: Header=BB405_10 Depth=1
	v_or_b32_e32 v45, 0x10000, v30
	v_cmp_eq_u32_sdwa vcc, v30, v1 src0_sel:WORD_0 src1_sel:DWORD
	v_cndmask_b32_e32 v45, v45, v30, vcc
; %bb.1220:                             ;   in Loop: Header=BB405_10 Depth=1
	s_or_b64 exec, exec, s[34:35]
	v_lshrrev_b16_e32 v30, 8, v28
	v_cmp_ne_u16_e32 vcc, 0, v30
	v_mov_b32_e32 v46, 0
	s_and_saveexec_b64 s[34:35], vcc
	s_cbranch_execz .LBB405_1226
; %bb.1221:                             ;   in Loop: Header=BB405_10 Depth=1
	v_cmp_ne_u16_e32 vcc, s25, v30
	v_bfrev_b32_e32 v46, 1
	s_and_saveexec_b64 s[36:37], vcc
	s_cbranch_execz .LBB405_1225
; %bb.1222:                             ;   in Loop: Header=BB405_10 Depth=1
	v_and_b32_e32 v47, 0x7f, v30
	v_cmp_ne_u32_e32 vcc, s41, v47
	v_mov_b32_e32 v46, 0x7f800001
	s_and_saveexec_b64 s[38:39], vcc
	s_cbranch_execz .LBB405_1224
; %bb.1223:                             ;   in Loop: Header=BB405_10 Depth=1
	v_and_b32_e32 v56, 7, v30
	v_ffbh_u32_e32 v46, v56
	v_min_u32_e32 v58, 32, v46
	v_subrev_u32_e32 v46, 28, v58
	v_lshrrev_b32_e32 v57, 3, v47
	v_cmp_gt_u32_e32 vcc, 8, v47
	v_lshlrev_b64 v[46:47], v46, v[30:31]
	v_sub_u32_e32 v30, 29, v58
	v_and_b32_e32 v46, 7, v46
	v_cndmask_b32_e32 v30, v57, v30, vcc
	v_cndmask_b32_e32 v46, v56, v46, vcc
	v_lshlrev_b32_e32 v47, 16, v28
	v_lshlrev_b32_e32 v46, 20, v46
	v_and_b32_e32 v47, 0x80000000, v47
	v_lshl_add_u32 v30, v30, 23, v0
	v_or3_b32 v46, v47, v30, v46
.LBB405_1224:                           ;   in Loop: Header=BB405_10 Depth=1
	s_or_b64 exec, exec, s[38:39]
.LBB405_1225:                           ;   in Loop: Header=BB405_10 Depth=1
	s_or_b64 exec, exec, s[36:37]
.LBB405_1226:                           ;   in Loop: Header=BB405_10 Depth=1
	s_or_b64 exec, exec, s[34:35]
	v_mul_f32_e32 v30, v62, v46
	v_and_b32_e32 v46, 0x7f800000, v30
	v_cmp_ne_u32_e32 vcc, s42, v46
                                        ; implicit-def: $vgpr46
	s_and_saveexec_b64 s[34:35], vcc
	s_xor_b64 vcc, exec, s[34:35]
; %bb.1227:                             ;   in Loop: Header=BB405_10 Depth=1
	v_bfe_u32 v46, v30, 16, 1
	v_add3_u32 v46, v30, v46, s43
                                        ; implicit-def: $vgpr30
; %bb.1228:                             ;   in Loop: Header=BB405_10 Depth=1
	s_andn2_saveexec_b64 s[34:35], vcc
; %bb.1229:                             ;   in Loop: Header=BB405_10 Depth=1
	v_or_b32_e32 v46, 0x10000, v30
	v_cmp_eq_u32_sdwa vcc, v30, v1 src0_sel:WORD_0 src1_sel:DWORD
	v_cndmask_b32_e32 v46, v46, v30, vcc
; %bb.1230:                             ;   in Loop: Header=BB405_10 Depth=1
	s_or_b64 exec, exec, s[34:35]
	v_lshrrev_b32_e32 v30, 16, v28
	v_cmp_ne_u16_sdwa vcc, v30, v1 src0_sel:BYTE_0 src1_sel:DWORD
	v_mov_b32_e32 v47, 0
	s_and_saveexec_b64 s[34:35], vcc
	s_cbranch_execz .LBB405_1236
; %bb.1231:                             ;   in Loop: Header=BB405_10 Depth=1
	v_cmp_ne_u16_sdwa vcc, v30, s25 src0_sel:BYTE_0 src1_sel:DWORD
	v_bfrev_b32_e32 v47, 1
	s_and_saveexec_b64 s[36:37], vcc
	s_cbranch_execz .LBB405_1235
; %bb.1232:                             ;   in Loop: Header=BB405_10 Depth=1
	v_bfe_u32 v56, v28, 16, 7
	v_cmp_ne_u32_e32 vcc, s41, v56
	v_mov_b32_e32 v47, 0x7f800001
	s_and_saveexec_b64 s[38:39], vcc
	s_cbranch_execz .LBB405_1234
; %bb.1233:                             ;   in Loop: Header=BB405_10 Depth=1
	v_and_b32_e32 v47, 7, v30
	v_lshrrev_b32_e32 v58, 3, v56
	v_cmp_gt_u32_e32 vcc, 8, v56
	v_ffbh_u32_e32 v56, v47
	v_mov_b32_e32 v4, v59
	v_min_u32_e32 v59, 32, v56
	v_subrev_u32_e32 v56, 28, v59
	v_lshlrev_b64 v[56:57], v56, v[30:31]
	v_sub_u32_e32 v57, 29, v59
	v_and_b32_e32 v56, 7, v56
	v_cndmask_b32_e32 v57, v58, v57, vcc
	v_cndmask_b32_e32 v47, v47, v56, vcc
	v_lshlrev_b32_e32 v30, 24, v30
	v_lshlrev_b32_e32 v47, 20, v47
	v_and_b32_e32 v30, 0x80000000, v30
	v_lshl_add_u32 v56, v57, 23, v0
	v_mov_b32_e32 v59, v4
	v_or3_b32 v47, v30, v56, v47
.LBB405_1234:                           ;   in Loop: Header=BB405_10 Depth=1
	s_or_b64 exec, exec, s[38:39]
.LBB405_1235:                           ;   in Loop: Header=BB405_10 Depth=1
	s_or_b64 exec, exec, s[36:37]
.LBB405_1236:                           ;   in Loop: Header=BB405_10 Depth=1
	s_or_b64 exec, exec, s[34:35]
	v_mul_f32_e32 v30, v62, v47
	v_and_b32_e32 v47, 0x7f800000, v30
	v_cmp_ne_u32_e32 vcc, s42, v47
                                        ; implicit-def: $vgpr47
	s_and_saveexec_b64 s[34:35], vcc
	s_xor_b64 vcc, exec, s[34:35]
; %bb.1237:                             ;   in Loop: Header=BB405_10 Depth=1
	v_bfe_u32 v47, v30, 16, 1
	v_add3_u32 v47, v30, v47, s43
                                        ; implicit-def: $vgpr30
; %bb.1238:                             ;   in Loop: Header=BB405_10 Depth=1
	s_andn2_saveexec_b64 s[34:35], vcc
; %bb.1239:                             ;   in Loop: Header=BB405_10 Depth=1
	v_or_b32_e32 v47, 0x10000, v30
	v_cmp_eq_u32_sdwa vcc, v30, v1 src0_sel:WORD_0 src1_sel:DWORD
	v_cndmask_b32_e32 v47, v47, v30, vcc
; %bb.1240:                             ;   in Loop: Header=BB405_10 Depth=1
	s_or_b64 exec, exec, s[34:35]
	v_cmp_lt_u32_e32 vcc, s44, v28
	v_mov_b32_e32 v56, 0
	s_and_saveexec_b64 s[34:35], vcc
	s_cbranch_execz .LBB405_1246
; %bb.1241:                             ;   in Loop: Header=BB405_10 Depth=1
	v_lshrrev_b32_e32 v30, 24, v28
	v_cmp_ne_u32_e32 vcc, s25, v30
	v_bfrev_b32_e32 v56, 1
	s_and_saveexec_b64 s[36:37], vcc
	s_cbranch_execz .LBB405_1245
; %bb.1242:                             ;   in Loop: Header=BB405_10 Depth=1
	v_bfe_u32 v28, v28, 24, 7
	v_cmp_ne_u32_e32 vcc, s41, v28
	v_mov_b32_e32 v56, 0x7f800001
	s_and_saveexec_b64 s[38:39], vcc
	s_cbranch_execz .LBB405_1244
; %bb.1243:                             ;   in Loop: Header=BB405_10 Depth=1
	v_and_b32_e32 v58, 7, v30
	v_mov_b32_e32 v4, v59
	v_lshrrev_b32_e32 v59, 3, v28
	v_cmp_gt_u32_e32 vcc, 8, v28
	v_ffbh_u32_e32 v28, v58
	v_min_u32_e32 v28, 32, v28
	v_subrev_u32_e32 v56, 28, v28
	v_lshlrev_b64 v[56:57], v56, v[30:31]
	v_sub_u32_e32 v28, 29, v28
	v_and_b32_e32 v56, 7, v56
	v_cndmask_b32_e32 v28, v59, v28, vcc
	v_cndmask_b32_e32 v56, v58, v56, vcc
	v_lshlrev_b32_e32 v30, 24, v30
	v_lshlrev_b32_e32 v56, 20, v56
	v_and_b32_e32 v30, 0x80000000, v30
	v_lshl_add_u32 v28, v28, 23, v0
	v_mov_b32_e32 v59, v4
	v_or3_b32 v56, v30, v28, v56
.LBB405_1244:                           ;   in Loop: Header=BB405_10 Depth=1
	s_or_b64 exec, exec, s[38:39]
.LBB405_1245:                           ;   in Loop: Header=BB405_10 Depth=1
	s_or_b64 exec, exec, s[36:37]
.LBB405_1246:                           ;   in Loop: Header=BB405_10 Depth=1
	s_or_b64 exec, exec, s[34:35]
	v_mul_f32_e32 v28, v62, v56
	v_and_b32_e32 v30, 0x7f800000, v28
	v_cmp_ne_u32_e32 vcc, s42, v30
                                        ; implicit-def: $vgpr30
	s_and_saveexec_b64 s[34:35], vcc
	s_xor_b64 vcc, exec, s[34:35]
; %bb.1247:                             ;   in Loop: Header=BB405_10 Depth=1
	v_bfe_u32 v30, v28, 16, 1
	v_add3_u32 v30, v28, v30, s43
                                        ; implicit-def: $vgpr28
; %bb.1248:                             ;   in Loop: Header=BB405_10 Depth=1
	s_andn2_saveexec_b64 s[34:35], vcc
; %bb.1249:                             ;   in Loop: Header=BB405_10 Depth=1
	v_or_b32_e32 v30, 0x10000, v28
	v_cmp_eq_u32_sdwa vcc, v28, v1 src0_sel:WORD_0 src1_sel:DWORD
	v_cndmask_b32_e32 v30, v30, v28, vcc
; %bb.1250:                             ;   in Loop: Header=BB405_10 Depth=1
	s_or_b64 exec, exec, s[34:35]
	v_add_co_u32_e32 v20, vcc, 0x1e00, v20
	v_addc_co_u32_e32 v21, vcc, 0, v21, vcc
	flat_load_dword v20, v[20:21] offset:8
	v_mov_b32_e32 v21, 0
	s_waitcnt vmcnt(0) lgkmcnt(0)
	v_cmp_ne_u16_sdwa vcc, v20, v1 src0_sel:BYTE_0 src1_sel:DWORD
	s_and_saveexec_b64 s[34:35], vcc
	s_cbranch_execz .LBB405_1256
; %bb.1251:                             ;   in Loop: Header=BB405_10 Depth=1
	v_cmp_ne_u16_sdwa vcc, v20, s25 src0_sel:BYTE_0 src1_sel:DWORD
	v_bfrev_b32_e32 v21, 1
	s_and_saveexec_b64 s[36:37], vcc
	s_cbranch_execz .LBB405_1255
; %bb.1252:                             ;   in Loop: Header=BB405_10 Depth=1
	v_and_b32_e32 v28, 0x7f, v20
	v_cmp_ne_u32_e32 vcc, s41, v28
	v_mov_b32_e32 v21, 0x7f800001
	s_and_saveexec_b64 s[38:39], vcc
	s_cbranch_execz .LBB405_1254
; %bb.1253:                             ;   in Loop: Header=BB405_10 Depth=1
	v_and_b32_e32 v21, 7, v20
	v_lshrrev_b32_e32 v58, 3, v28
	v_cmp_gt_u32_e32 vcc, 8, v28
	v_ffbh_u32_e32 v28, v21
	v_min_u32_e32 v28, 32, v28
	v_subrev_u32_e32 v56, 28, v28
	v_lshlrev_b64 v[56:57], v56, v[20:21]
	v_sub_u32_e32 v28, 29, v28
	v_and_b32_e32 v56, 7, v56
	v_cndmask_b32_e32 v28, v58, v28, vcc
	v_cndmask_b32_e32 v21, v21, v56, vcc
	v_lshlrev_b32_e32 v56, 24, v20
	v_lshlrev_b32_e32 v21, 20, v21
	v_and_b32_e32 v56, 0x80000000, v56
	v_lshl_add_u32 v28, v28, 23, v0
	v_or3_b32 v21, v56, v28, v21
.LBB405_1254:                           ;   in Loop: Header=BB405_10 Depth=1
	s_or_b64 exec, exec, s[38:39]
.LBB405_1255:                           ;   in Loop: Header=BB405_10 Depth=1
	s_or_b64 exec, exec, s[36:37]
.LBB405_1256:                           ;   in Loop: Header=BB405_10 Depth=1
	s_or_b64 exec, exec, s[34:35]
	v_mul_f32_e32 v28, v62, v21
	v_and_b32_e32 v21, 0x7f800000, v28
	v_cmp_ne_u32_e32 vcc, s42, v21
                                        ; implicit-def: $vgpr21
	s_and_saveexec_b64 s[34:35], vcc
	s_xor_b64 vcc, exec, s[34:35]
; %bb.1257:                             ;   in Loop: Header=BB405_10 Depth=1
	v_bfe_u32 v21, v28, 16, 1
	v_add3_u32 v21, v28, v21, s43
                                        ; implicit-def: $vgpr28
; %bb.1258:                             ;   in Loop: Header=BB405_10 Depth=1
	s_andn2_saveexec_b64 s[34:35], vcc
; %bb.1259:                             ;   in Loop: Header=BB405_10 Depth=1
	v_or_b32_e32 v21, 0x10000, v28
	v_cmp_eq_u32_sdwa vcc, v28, v1 src0_sel:WORD_0 src1_sel:DWORD
	v_cndmask_b32_e32 v21, v21, v28, vcc
; %bb.1260:                             ;   in Loop: Header=BB405_10 Depth=1
	s_or_b64 exec, exec, s[34:35]
	v_lshrrev_b16_e32 v28, 8, v20
	v_cmp_ne_u16_e32 vcc, 0, v28
	v_mov_b32_e32 v56, 0
	s_and_saveexec_b64 s[34:35], vcc
	s_cbranch_execz .LBB405_1266
; %bb.1261:                             ;   in Loop: Header=BB405_10 Depth=1
	v_cmp_ne_u16_e32 vcc, s25, v28
	v_bfrev_b32_e32 v56, 1
	s_and_saveexec_b64 s[36:37], vcc
	s_cbranch_execz .LBB405_1265
; %bb.1262:                             ;   in Loop: Header=BB405_10 Depth=1
	v_and_b32_e32 v57, 0x7f, v28
	v_cmp_ne_u32_e32 vcc, s41, v57
	v_mov_b32_e32 v56, 0x7f800001
	s_and_saveexec_b64 s[38:39], vcc
	s_cbranch_execz .LBB405_1264
; %bb.1263:                             ;   in Loop: Header=BB405_10 Depth=1
	v_and_b32_e32 v58, 7, v28
	v_ffbh_u32_e32 v56, v58
	v_mov_b32_e32 v61, v60
	v_min_u32_e32 v60, 32, v56
	v_subrev_u32_e32 v56, 28, v60
	v_mov_b32_e32 v4, v59
	v_lshrrev_b32_e32 v59, 3, v57
	v_cmp_gt_u32_e32 vcc, 8, v57
	v_lshlrev_b64 v[56:57], v56, v[28:29]
	v_sub_u32_e32 v28, 29, v60
	v_and_b32_e32 v56, 7, v56
	v_cndmask_b32_e32 v28, v59, v28, vcc
	v_cndmask_b32_e32 v56, v58, v56, vcc
	v_lshlrev_b32_e32 v57, 16, v20
	v_lshlrev_b32_e32 v56, 20, v56
	v_and_b32_e32 v57, 0x80000000, v57
	v_lshl_add_u32 v28, v28, 23, v0
	v_mov_b32_e32 v60, v61
	v_mov_b32_e32 v59, v4
	v_or3_b32 v56, v57, v28, v56
.LBB405_1264:                           ;   in Loop: Header=BB405_10 Depth=1
	s_or_b64 exec, exec, s[38:39]
.LBB405_1265:                           ;   in Loop: Header=BB405_10 Depth=1
	s_or_b64 exec, exec, s[36:37]
.LBB405_1266:                           ;   in Loop: Header=BB405_10 Depth=1
	s_or_b64 exec, exec, s[34:35]
	v_mul_f32_e32 v28, v62, v56
	v_and_b32_e32 v56, 0x7f800000, v28
	v_cmp_ne_u32_e32 vcc, s42, v56
                                        ; implicit-def: $vgpr56
	s_and_saveexec_b64 s[34:35], vcc
	s_xor_b64 vcc, exec, s[34:35]
; %bb.1267:                             ;   in Loop: Header=BB405_10 Depth=1
	v_bfe_u32 v56, v28, 16, 1
	v_add3_u32 v56, v28, v56, s43
                                        ; implicit-def: $vgpr28
; %bb.1268:                             ;   in Loop: Header=BB405_10 Depth=1
	s_andn2_saveexec_b64 s[34:35], vcc
; %bb.1269:                             ;   in Loop: Header=BB405_10 Depth=1
	v_or_b32_e32 v56, 0x10000, v28
	v_cmp_eq_u32_sdwa vcc, v28, v1 src0_sel:WORD_0 src1_sel:DWORD
	v_cndmask_b32_e32 v56, v56, v28, vcc
; %bb.1270:                             ;   in Loop: Header=BB405_10 Depth=1
	s_or_b64 exec, exec, s[34:35]
	v_lshrrev_b32_e32 v28, 16, v20
	v_cmp_ne_u16_sdwa vcc, v28, v1 src0_sel:BYTE_0 src1_sel:DWORD
	v_mov_b32_e32 v57, 0
	s_and_saveexec_b64 s[34:35], vcc
	s_cbranch_execz .LBB405_1276
; %bb.1271:                             ;   in Loop: Header=BB405_10 Depth=1
	v_cmp_ne_u16_sdwa vcc, v28, s25 src0_sel:BYTE_0 src1_sel:DWORD
	v_bfrev_b32_e32 v57, 1
	s_and_saveexec_b64 s[36:37], vcc
	s_cbranch_execz .LBB405_1275
; %bb.1272:                             ;   in Loop: Header=BB405_10 Depth=1
	v_bfe_u32 v58, v20, 16, 7
	v_cmp_ne_u32_e32 vcc, s41, v58
	v_mov_b32_e32 v57, 0x7f800001
	s_and_saveexec_b64 s[38:39], vcc
	s_cbranch_execz .LBB405_1274
; %bb.1273:                             ;   in Loop: Header=BB405_10 Depth=1
	v_and_b32_e32 v57, 7, v28
	v_lshrrev_b32_e32 v4, 3, v58
	v_cmp_gt_u32_e32 vcc, 8, v58
	v_ffbh_u32_e32 v58, v57
	v_min_u32_e32 v61, 32, v58
	v_subrev_u32_e32 v58, 28, v61
	v_accvgpr_write_b32 a54, v7
	v_lshlrev_b64 v[6:7], v58, v[28:29]
	v_mov_b32_e32 v7, v17
	v_sub_u32_e32 v17, 29, v61
	v_and_b32_e32 v58, 7, v6
	v_cndmask_b32_e32 v4, v4, v17, vcc
	v_cndmask_b32_e32 v57, v57, v58, vcc
	v_lshlrev_b32_e32 v28, 24, v28
	v_lshlrev_b32_e32 v57, 20, v57
	v_and_b32_e32 v28, 0x80000000, v28
	v_lshl_add_u32 v58, v4, 23, v0
	v_mov_b32_e32 v17, v7
	v_accvgpr_read_b32 v7, a54
	v_or3_b32 v57, v28, v58, v57
.LBB405_1274:                           ;   in Loop: Header=BB405_10 Depth=1
	s_or_b64 exec, exec, s[38:39]
.LBB405_1275:                           ;   in Loop: Header=BB405_10 Depth=1
	s_or_b64 exec, exec, s[36:37]
.LBB405_1276:                           ;   in Loop: Header=BB405_10 Depth=1
	s_or_b64 exec, exec, s[34:35]
	v_mul_f32_e32 v28, v62, v57
	v_and_b32_e32 v57, 0x7f800000, v28
	v_cmp_ne_u32_e32 vcc, s42, v57
                                        ; implicit-def: $vgpr57
	s_and_saveexec_b64 s[34:35], vcc
	s_xor_b64 vcc, exec, s[34:35]
; %bb.1277:                             ;   in Loop: Header=BB405_10 Depth=1
	v_bfe_u32 v57, v28, 16, 1
	v_add3_u32 v57, v28, v57, s43
                                        ; implicit-def: $vgpr28
; %bb.1278:                             ;   in Loop: Header=BB405_10 Depth=1
	s_andn2_saveexec_b64 s[34:35], vcc
; %bb.1279:                             ;   in Loop: Header=BB405_10 Depth=1
	v_or_b32_e32 v57, 0x10000, v28
	v_cmp_eq_u32_sdwa vcc, v28, v1 src0_sel:WORD_0 src1_sel:DWORD
	v_cndmask_b32_e32 v57, v57, v28, vcc
; %bb.1280:                             ;   in Loop: Header=BB405_10 Depth=1
	s_or_b64 exec, exec, s[34:35]
	v_cmp_lt_u32_e32 vcc, s44, v20
	v_mov_b32_e32 v58, 0
	s_and_saveexec_b64 s[34:35], vcc
	s_cbranch_execz .LBB405_1286
; %bb.1281:                             ;   in Loop: Header=BB405_10 Depth=1
	v_lshrrev_b32_e32 v28, 24, v20
	v_cmp_ne_u32_e32 vcc, s25, v28
	v_bfrev_b32_e32 v58, 1
	s_and_saveexec_b64 s[36:37], vcc
	s_cbranch_execz .LBB405_1285
; %bb.1282:                             ;   in Loop: Header=BB405_10 Depth=1
	v_bfe_u32 v20, v20, 24, 7
	v_cmp_ne_u32_e32 vcc, s41, v20
	v_mov_b32_e32 v58, 0x7f800001
	s_and_saveexec_b64 s[38:39], vcc
	s_cbranch_execz .LBB405_1284
; %bb.1283:                             ;   in Loop: Header=BB405_10 Depth=1
	v_and_b32_e32 v4, 7, v28
	v_lshrrev_b32_e32 v61, 3, v20
	v_cmp_gt_u32_e32 vcc, 8, v20
	v_ffbh_u32_e32 v20, v4
	v_min_u32_e32 v20, 32, v20
	v_subrev_u32_e32 v58, 28, v20
	v_accvgpr_write_b32 a54, v7
	v_lshlrev_b64 v[6:7], v58, v[28:29]
	v_sub_u32_e32 v20, 29, v20
	v_and_b32_e32 v58, 7, v6
	v_cndmask_b32_e32 v20, v61, v20, vcc
	v_cndmask_b32_e32 v58, v4, v58, vcc
	v_lshlrev_b32_e32 v28, 24, v28
	v_lshlrev_b32_e32 v58, 20, v58
	v_and_b32_e32 v28, 0x80000000, v28
	v_lshl_add_u32 v20, v20, 23, v0
	v_accvgpr_read_b32 v7, a54
	v_or3_b32 v58, v28, v20, v58
.LBB405_1284:                           ;   in Loop: Header=BB405_10 Depth=1
	s_or_b64 exec, exec, s[38:39]
.LBB405_1285:                           ;   in Loop: Header=BB405_10 Depth=1
	s_or_b64 exec, exec, s[36:37]
.LBB405_1286:                           ;   in Loop: Header=BB405_10 Depth=1
	s_or_b64 exec, exec, s[34:35]
	v_mul_f32_e32 v20, v62, v58
	v_and_b32_e32 v28, 0x7f800000, v20
	v_cmp_ne_u32_e32 vcc, s42, v28
                                        ; implicit-def: $vgpr61
	s_and_saveexec_b64 s[34:35], vcc
	s_xor_b64 vcc, exec, s[34:35]
; %bb.1287:                             ;   in Loop: Header=BB405_10 Depth=1
	v_bfe_u32 v28, v20, 16, 1
	v_add3_u32 v61, v20, v28, s43
                                        ; implicit-def: $vgpr20
; %bb.1288:                             ;   in Loop: Header=BB405_10 Depth=1
	s_andn2_saveexec_b64 s[34:35], vcc
; %bb.1289:                             ;   in Loop: Header=BB405_10 Depth=1
	v_or_b32_e32 v28, 0x10000, v20
	v_cmp_eq_u32_sdwa vcc, v20, v1 src0_sel:WORD_0 src1_sel:DWORD
	v_cndmask_b32_e32 v61, v28, v20, vcc
; %bb.1290:                             ;   in Loop: Header=BB405_10 Depth=1
	s_or_b64 exec, exec, s[34:35]
	buffer_load_dword v58, off, s[0:3], s32 offset:300 ; 4-byte Folded Reload
	v_and_b32_e32 v20, 0xffff0000, v59
	v_and_b32_e32 v28, 0xffff0000, v60
	;; [unrolled: 1-line block ×3, first 2 shown]
	buffer_load_dword v59, off, s[0:3], s32 offset:304 ; 4-byte Folded Reload
	buffer_load_dword v4, off, s[0:3], s32 offset:208 ; 4-byte Folded Reload
	;; [unrolled: 1-line block ×5, first 2 shown]
	s_waitcnt vmcnt(5)
	v_mul_f32_e32 v20, v58, v20
	buffer_load_dword v58, off, s[0:3], s32 offset:284 ; 4-byte Folded Reload
	s_waitcnt vmcnt(0)
	v_fmac_f32_e32 v20, v58, v28
	v_and_b32_e32 v28, 0xffff0000, v16
	v_mul_f32_e32 v28, v59, v28
	buffer_load_dword v59, off, s[0:3], s32 offset:288 ; 4-byte Folded Reload
	v_and_b32_e32 v58, 0xffff0000, v37
	s_waitcnt vmcnt(0)
	v_fmac_f32_e32 v28, v59, v58
	v_and_b32_e32 v58, 0xffff0000, v17
	v_mul_f32_e32 v58, v60, v58
	buffer_load_dword v60, off, s[0:3], s32 offset:292 ; 4-byte Folded Reload
	v_and_b32_e32 v59, 0xffff0000, v15
	;; [unrolled: 6-line block ×3, first 2 shown]
	buffer_load_dword v4, off, s[0:3], s32 offset:212 ; 4-byte Folded Reload
	s_waitcnt vmcnt(1)
	v_fmac_f32_e32 v59, v62, v60
	buffer_load_dword v62, off, s[0:3], s32 offset:316 ; 4-byte Folded Reload
	s_waitcnt vmcnt(1)
	v_and_b32_e32 v60, 0xffff0000, v4
	buffer_load_dword v4, off, s[0:3], s32 offset:216 ; 4-byte Folded Reload
	s_waitcnt vmcnt(1)
	v_fmac_f32_e32 v20, v62, v60
	buffer_load_dword v62, off, s[0:3], s32 offset:320 ; 4-byte Folded Reload
	s_waitcnt vmcnt(1)
	v_and_b32_e32 v60, 0xffff0000, v4
	;; [unrolled: 6-line block ×15, first 2 shown]
	v_accvgpr_read_b32 v4, a57
	s_waitcnt vmcnt(0)
	v_fmac_f32_e32 v58, v62, v60
	buffer_load_dword v62, off, s[0:3], s32 offset:376 ; 4-byte Folded Reload
	v_and_b32_e32 v60, 0xffff0000, v4
	v_accvgpr_read_b32 v4, a58
	s_waitcnt vmcnt(0)
	v_fmac_f32_e32 v59, v62, v60
	buffer_load_dword v62, off, s[0:3], s32 offset:380 ; 4-byte Folded Reload
	v_and_b32_e32 v60, 0xffff0000, v4
	;; [unrolled: 5-line block ×51, first 2 shown]
	v_accvgpr_read_b32 v4, a45
	s_waitcnt vmcnt(0)
	v_fmac_f32_e32 v28, v62, v60
	v_and_b32_e32 v60, 0xffff0000, v4
	buffer_load_dword v4, off, s[0:3], s32 offset:620 ; 4-byte Folded Reload
	s_waitcnt vmcnt(0)
	v_fmac_f32_e32 v58, v4, v60
	v_accvgpr_read_b32 v4, a46
	v_and_b32_e32 v60, 0xffff0000, v4
	buffer_load_dword v4, off, s[0:3], s32 offset:624 ; 4-byte Folded Reload
	s_waitcnt vmcnt(0)
	v_fmac_f32_e32 v59, v4, v60
	v_accvgpr_read_b32 v4, a47
	;; [unrolled: 5-line block ×8, first 2 shown]
	v_and_b32_e32 v4, 0xffff0000, v4
	v_fmac_f32_e32 v58, v6, v4
	buffer_load_dword v6, off, s[0:3], s32 offset:656 ; 4-byte Folded Reload
	v_accvgpr_read_b32 v4, a53
	v_and_b32_e32 v4, 0xffff0000, v4
	s_waitcnt vmcnt(0)
	v_fmac_f32_e32 v59, v6, v4
	buffer_load_dword v6, off, s[0:3], s32 offset:660 ; 4-byte Folded Reload
	v_and_b32_e32 v4, 0xffff0000, v7
	s_waitcnt vmcnt(0)
	v_fmac_f32_e32 v20, v6, v4
	buffer_load_dword v6, off, s[0:3], s32 offset:664 ; 4-byte Folded Reload
	v_accvgpr_read_b32 v4, a55
	v_and_b32_e32 v4, 0xffff0000, v4
	s_waitcnt vmcnt(0)
	v_fmac_f32_e32 v28, v6, v4
	buffer_load_dword v6, off, s[0:3], s32 offset:668 ; 4-byte Folded Reload
	v_accvgpr_read_b32 v4, a56
	v_and_b32_e32 v4, 0xffff0000, v4
	s_waitcnt vmcnt(0)
	v_fmac_f32_e32 v58, v6, v4
	buffer_load_dword v6, off, s[0:3], s32 offset:672 ; 4-byte Folded Reload
	v_and_b32_e32 v4, 0xffff0000, v36
	s_waitcnt vmcnt(0)
	v_fmac_f32_e32 v59, v6, v4
	buffer_load_dword v6, off, s[0:3], s32 offset:676 ; 4-byte Folded Reload
	;; [unrolled: 4-line block ×8, first 2 shown]
	v_and_b32_e32 v4, 0xffff0000, v9
	s_waitcnt vmcnt(0)
	v_fmac_f32_e32 v58, v6, v4
	v_and_b32_e32 v4, 0xffff0000, v5
	buffer_load_dword v5, off, s[0:3], s32 offset:704 ; 4-byte Folded Reload
	s_waitcnt vmcnt(0)
	v_fmac_f32_e32 v59, v5, v4
	buffer_load_dword v5, off, s[0:3], s32 offset:708 ; 4-byte Folded Reload
	v_and_b32_e32 v4, 0xffff0000, v25
	s_waitcnt vmcnt(0)
	v_fmac_f32_e32 v20, v5, v4
	buffer_load_dword v5, off, s[0:3], s32 offset:712 ; 4-byte Folded Reload
	v_and_b32_e32 v4, 0xffff0000, v24
	s_waitcnt vmcnt(0)
	v_fmac_f32_e32 v28, v5, v4
	buffer_load_dword v4, off, s[0:3], s32 offset:716 ; 4-byte Folded Reload
	s_waitcnt vmcnt(0)
	v_fmac_f32_e32 v58, v4, v2
	buffer_load_dword v4, off, s[0:3], s32 offset:720 ; 4-byte Folded Reload
	v_and_b32_e32 v2, 0xffff0000, v14
	s_waitcnt vmcnt(0)
	v_fmac_f32_e32 v59, v4, v2
	buffer_load_dword v4, off, s[0:3], s32 offset:724 ; 4-byte Folded Reload
	v_and_b32_e32 v2, 0xffff0000, v27
	;; [unrolled: 4-line block ×29, first 2 shown]
	s_waitcnt vmcnt(0)
	v_fmac_f32_e32 v59, v4, v2
	buffer_load_dword v4, off, s[0:3], s32 offset:836 ; 4-byte Folded Reload
	v_add_f32_e32 v2, v20, v28
	v_add_f32_e32 v2, v2, v58
	;; [unrolled: 1-line block ×3, first 2 shown]
	s_waitcnt vmcnt(0)
	ds_bpermute_b32 v4, v4, v2
	s_and_saveexec_b64 s[34:35], s[10:11]
	s_cbranch_execz .LBB405_9
; %bb.1291:                             ;   in Loop: Header=BB405_10 Depth=1
	s_waitcnt lgkmcnt(0)
	v_add_f32_e32 v2, v2, v4
	buffer_load_dword v4, off, s[0:3], s32 offset:856 ; 4-byte Folded Reload
	buffer_load_dword v6, off, s[0:3], s32 offset:860 ; 4-byte Folded Reload
	v_sub_u32_e32 v5, 1, v49
	v_add_u32_e32 v5, v5, v11
	v_cvt_f32_i32_e32 v5, v5
	s_load_dword vcc_lo, s[8:9], 0x0
	s_waitcnt vmcnt(1)
	v_mul_f32_e32 v4, v4, v5
	v_cndmask_b32_e64 v4, 0, v4, s[16:17]
	s_waitcnt lgkmcnt(0)
	v_add_u32_e32 v5, vcc_lo, v10
	s_waitcnt vmcnt(0)
	v_fmac_f32_e32 v4, v2, v6
	v_cmp_lt_i32_e32 vcc, v11, v49
	v_cndmask_b32_e32 v2, 0, v4, vcc
	ds_write_b32 v5, v2
	buffer_load_dword v5, off, s[0:3], s32 offset:280 ; 4-byte Folded Reload
	s_waitcnt vmcnt(0)
	v_max_f32_e32 v2, v5, v5
	v_max_f32_e32 v2, v2, v4
	v_cndmask_b32_e32 v5, v5, v2, vcc
	buffer_store_dword v5, off, s[0:3], s32 offset:280 ; 4-byte Folded Spill
	s_branch .LBB405_9
.LBB405_1292:
	s_or_b64 exec, exec, s[30:31]
	buffer_load_dword v19, off, s[0:3], s32 offset:876 ; 4-byte Folded Reload
	buffer_load_dword v11, off, s[0:3], s32 offset:948 ; 4-byte Folded Reload
	buffer_load_dword v10, off, s[0:3], s32 offset:940 ; 4-byte Folded Reload
	buffer_load_dword v26, off, s[0:3], s32 offset:944 ; 4-byte Folded Reload
	buffer_load_dword v27, off, s[0:3], s32 offset:924 ; 4-byte Folded Reload
	buffer_load_dword v20, off, s[0:3], s32 offset:936 ; 4-byte Folded Reload
	buffer_load_dword v24, off, s[0:3], s32 offset:920 ; 4-byte Folded Reload
	buffer_load_dword v12, off, s[0:3], s32 offset:928 ; 4-byte Folded Reload
	buffer_load_dword v13, off, s[0:3], s32 offset:932 ; 4-byte Folded Reload
	buffer_load_dword v15, off, s[0:3], s32 offset:280 ; 4-byte Folded Reload
.LBB405_1293:
	s_or_b64 exec, exec, s[28:29]
	s_waitcnt vmcnt(2)
	v_xor_b32_e32 v0, 32, v12
	s_waitcnt vmcnt(1)
	v_cmp_lt_i32_e32 vcc, v0, v13
	v_cndmask_b32_e32 v0, v12, v0, vcc
	v_lshlrev_b32_e32 v2, 2, v0
	s_waitcnt vmcnt(0)
	ds_bpermute_b32 v0, v2, v15
	v_xor_b32_e32 v3, 16, v12
	v_max_f32_e32 v1, v15, v15
	v_cmp_lt_i32_e32 vcc, v3, v13
	s_waitcnt lgkmcnt(0)
	v_xor_b32_e32 v4, 8, v12
	v_max_f32_e32 v0, v0, v0
	v_max_f32_e32 v0, v1, v0
	v_cndmask_b32_e32 v1, v12, v3, vcc
	v_lshlrev_b32_e32 v3, 2, v1
	ds_bpermute_b32 v1, v3, v0
	v_cmp_lt_i32_e32 vcc, v4, v13
	v_xor_b32_e32 v5, 4, v12
	v_xor_b32_e32 v6, 2, v12
	v_and_b32_e32 v37, 63, v19
	s_waitcnt lgkmcnt(0)
	v_max_f32_e32 v1, v1, v1
	v_max_f32_e32 v0, v0, v1
	v_cndmask_b32_e32 v1, v12, v4, vcc
	v_lshlrev_b32_e32 v4, 2, v1
	ds_bpermute_b32 v1, v4, v0
	v_cmp_lt_i32_e32 vcc, v5, v13
	s_lshr_b32 s27, s27, 16
	s_waitcnt lgkmcnt(0)
	v_max_f32_e32 v1, v1, v1
	v_max_f32_e32 v0, v0, v1
	v_cndmask_b32_e32 v1, v12, v5, vcc
	v_lshlrev_b32_e32 v5, 2, v1
	ds_bpermute_b32 v1, v5, v0
	v_cmp_lt_i32_e32 vcc, v6, v13
	s_waitcnt lgkmcnt(0)
	v_max_f32_e32 v1, v1, v1
	v_max_f32_e32 v0, v0, v1
	v_cndmask_b32_e32 v1, v12, v6, vcc
	buffer_load_dword v6, off, s[0:3], s32 offset:864 ; 4-byte Folded Reload
	v_lshlrev_b32_e32 v22, 2, v1
	ds_bpermute_b32 v1, v22, v0
	v_cmp_eq_u32_e32 vcc, 0, v37
	s_waitcnt vmcnt(0)
	v_lshlrev_b32_e32 v6, 2, v6
	s_and_saveexec_b64 s[8:9], vcc
	s_cbranch_execz .LBB405_1295
; %bb.1294:
	s_waitcnt lgkmcnt(0)
	v_max_f32_e32 v1, v1, v1
	v_max_f32_e32 v0, v0, v0
	;; [unrolled: 1-line block ×3, first 2 shown]
	ds_write_b32 v6, v0 offset:512
.LBB405_1295:
	s_or_b64 exec, exec, s[8:9]
	v_cmp_gt_u32_e64 s[8:9], 2, v37
	v_mov_b32_e32 v0, 0xff7fffff
	v_lshlrev_b32_e32 v7, 2, v37
	s_waitcnt lgkmcnt(0)
	s_barrier
	s_and_saveexec_b64 s[10:11], s[8:9]
	s_cbranch_execz .LBB405_1297
; %bb.1296:
	ds_read_b32 v0, v7 offset:512
.LBB405_1297:
	s_or_b64 exec, exec, s[10:11]
	buffer_load_dword v8, off, s[0:3], s32 offset:196 ; 4-byte Folded Reload
	v_xor_b32_e32 v1, 1, v12
	v_cmp_lt_i32_e64 s[10:11], v1, v13
	v_cndmask_b32_e64 v1, v12, v1, s[10:11]
	v_lshlrev_b32_e32 v23, 2, v1
	s_waitcnt lgkmcnt(0)
	ds_bpermute_b32 v1, v23, v0
	v_max_f32_e32 v0, v0, v0
	v_mov_b32_e32 v16, 0
	s_waitcnt lgkmcnt(0)
	v_max_f32_e32 v1, v1, v1
	v_max_f32_e32 v0, v0, v1
	v_lshlrev_b32_e32 v1, 2, v12
	s_waitcnt vmcnt(0)
	v_subrev_u32_e32 v8, s15, v8
	v_lshl_add_u32 v9, v8, 5, s40
	v_and_b32_e32 v8, 0xffffff00, v1
	ds_bpermute_b32 v0, v8, v0
	v_min_i32_e32 v9, v9, v49
	v_subrev_u32_e32 v1, s40, v9
	v_cmp_lt_i32_e64 s[10:11], v19, v1
	s_and_saveexec_b64 s[28:29], s[10:11]
	s_cbranch_execz .LBB405_1301
; %bb.1298:
	s_ashr_i32 s25, s24, 31
	s_lshl_b64 s[16:17], s[24:25], 2
	s_getpc_b64 s[30:31]
	s_add_u32 s30, s30, llvm.amdgcn.dynlds.offset.table@rel32@lo+4
	s_addc_u32 s31, s31, llvm.amdgcn.dynlds.offset.table@rel32@hi+12
	s_add_u32 s16, s16, s30
	s_addc_u32 s17, s17, s31
	s_load_dword s15, s[16:17], 0x0
	s_mov_b64 s[30:31], 0
	v_mov_b32_e32 v16, 0
	v_mov_b32_e32 v12, v19
	s_waitcnt lgkmcnt(0)
	v_lshl_add_u32 v14, v19, 2, s15
.LBB405_1299:                           ; =>This Inner Loop Header: Depth=1
	ds_read_b32 v13, v14
	v_add_u32_e32 v12, 0x80, v12
	v_cmp_ge_i32_e64 s[16:17], v12, v1
	s_or_b64 s[30:31], s[16:17], s[30:31]
	s_waitcnt lgkmcnt(0)
	v_sub_f32_e32 v13, v13, v0
	v_mul_f32_e32 v13, 0x3fb8aa3b, v13
	v_exp_f32_e32 v13, v13
	ds_write_b32 v14, v13
	v_add_f32_e32 v16, v16, v13
	v_add_u32_e32 v14, 0x200, v14
	s_andn2_b64 exec, exec, s[30:31]
	s_cbranch_execnz .LBB405_1299
; %bb.1300:
	s_or_b64 exec, exec, s[30:31]
.LBB405_1301:
	s_or_b64 exec, exec, s[28:29]
	ds_bpermute_b32 v2, v2, v16
	s_waitcnt lgkmcnt(0)
	v_add_f32_e32 v2, v16, v2
	ds_bpermute_b32 v3, v3, v2
	s_waitcnt lgkmcnt(0)
	v_add_f32_e32 v2, v2, v3
	;; [unrolled: 3-line block ×6, first 2 shown]
	s_and_saveexec_b64 s[16:17], vcc
	s_cbranch_execz .LBB405_1303
; %bb.1302:
	ds_write_b32 v6, v2 offset:520
.LBB405_1303:
	s_or_b64 exec, exec, s[16:17]
	s_waitcnt lgkmcnt(0)
	s_barrier
	s_and_saveexec_b64 s[16:17], s[8:9]
	s_cbranch_execz .LBB405_1305
; %bb.1304:
	ds_read_b32 v2, v7 offset:520
.LBB405_1305:
	s_or_b64 exec, exec, s[16:17]
	s_waitcnt lgkmcnt(0)
	ds_bpermute_b32 v3, v23, v2
	s_waitcnt lgkmcnt(0)
	v_add_f32_e32 v2, v2, v3
	ds_bpermute_b32 v2, v8, v2
	s_and_saveexec_b64 s[8:9], s[10:11]
	s_cbranch_execz .LBB405_1318
; %bb.1306:
	s_waitcnt lgkmcnt(0)
	v_add_f32_e32 v3, 0x358637bd, v2
	v_div_scale_f32 v4, s[10:11], v3, v3, 1.0
	v_rcp_f32_e32 v5, v4
	v_div_scale_f32 v6, vcc, 1.0, v3, 1.0
	s_movk_i32 s10, 0x7f
	v_fma_f32 v7, -v4, v5, 1.0
	v_fmac_f32_e32 v5, v7, v5
	v_mul_f32_e32 v7, v6, v5
	v_fma_f32 v8, -v4, v7, v6
	v_fmac_f32_e32 v7, v8, v5
	v_fma_f32 v4, -v4, v7, v6
	v_div_fmas_f32 v4, v4, v5, v7
	v_div_fixup_f32 v8, v4, v3, 1.0
	v_xad_u32 v3, v19, -1, v9
	v_subrev_u32_e32 v4, s40, v3
	v_cmp_lt_u32_e32 vcc, s10, v4
	s_mov_b64 s[16:17], -1
	v_mov_b32_e32 v3, v19
	s_and_saveexec_b64 s[10:11], vcc
	s_cbranch_execz .LBB405_1315
; %bb.1307:
	v_lshrrev_b32_e32 v3, 7, v4
	v_add_u32_e32 v5, -1, v3
	v_lshrrev_b32_e32 v4, 1, v5
	v_mov_b32_e32 v9, v8
	v_add_u32_e32 v4, 1, v4
	v_cmp_lt_u32_e32 vcc, 13, v5
	v_mov_b32_e32 v7, 0
	s_and_saveexec_b64 s[16:17], vcc
	s_cbranch_execz .LBB405_1311
; %bb.1308:
	s_ashr_i32 s25, s24, 31
	s_lshl_b64 s[28:29], s[24:25], 2
	s_getpc_b64 vcc
	s_add_u32 vcc_lo, vcc_lo, llvm.amdgcn.dynlds.offset.table@rel32@lo+4
	s_addc_u32 vcc_hi, vcc_hi, llvm.amdgcn.dynlds.offset.table@rel32@hi+12
	s_add_u32 s28, s28, vcc_lo
	s_addc_u32 s29, s29, vcc_hi
	s_load_dword s25, s[28:29], 0x0
	v_mov_b32_e32 v18, v24
	v_mov_b32_e32 v14, v20
	v_and_b32_e32 v5, -8, v4
	s_mov_b32 s15, 0
	s_waitcnt lgkmcnt(0)
	v_lshl_add_u32 v6, v19, 2, s25
	s_mov_b64 s[28:29], 0
.LBB405_1309:                           ; =>This Inner Loop Header: Depth=1
	ds_read2st64_b32 v[24:25], v6 offset1:2
	ds_read2st64_b32 v[12:13], v6 offset0:4 offset1:6
	ds_read2st64_b32 v[20:21], v6 offset0:8 offset1:10
	;; [unrolled: 1-line block ×3, first 2 shown]
	v_add_u32_e32 v5, -8, v5
	s_waitcnt lgkmcnt(3)
	v_pk_mul_f32 v[24:25], v[8:9], v[24:25]
	s_waitcnt lgkmcnt(2)
	v_pk_mul_f32 v[12:13], v[8:9], v[12:13]
	ds_write2st64_b32 v6, v24, v25 offset1:2
	ds_write2st64_b32 v6, v12, v13 offset0:4 offset1:6
	ds_read2st64_b32 v[12:13], v6 offset0:16 offset1:18
	s_waitcnt lgkmcnt(4)
	v_pk_mul_f32 v[20:21], v[8:9], v[20:21]
	s_waitcnt lgkmcnt(3)
	v_pk_mul_f32 v[16:17], v[8:9], v[16:17]
	ds_write2st64_b32 v6, v20, v21 offset0:8 offset1:10
	ds_write2st64_b32 v6, v16, v17 offset0:12 offset1:14
	s_waitcnt lgkmcnt(2)
	v_pk_mul_f32 v[12:13], v[8:9], v[12:13]
	ds_read2st64_b32 v[20:21], v6 offset0:20 offset1:22
	ds_read2st64_b32 v[16:17], v6 offset0:24 offset1:26
	ds_write2st64_b32 v6, v12, v13 offset0:16 offset1:18
	ds_read2st64_b32 v[12:13], v6 offset0:28 offset1:30
	s_add_i32 s15, s15, 16
	s_waitcnt lgkmcnt(3)
	v_pk_mul_f32 v[20:21], v[8:9], v[20:21]
	s_waitcnt lgkmcnt(2)
	v_pk_mul_f32 v[16:17], v[8:9], v[16:17]
	v_cmp_eq_u32_e32 vcc, 0, v5
	s_waitcnt lgkmcnt(0)
	v_pk_mul_f32 v[12:13], v[8:9], v[12:13]
	ds_write2st64_b32 v6, v20, v21 offset0:20 offset1:22
	ds_write2st64_b32 v6, v16, v17 offset0:24 offset1:26
	;; [unrolled: 1-line block ×3, first 2 shown]
	v_add_u32_e32 v6, 0x2000, v6
	s_or_b64 s[28:29], vcc, s[28:29]
	v_mov_b32_e32 v7, s15
	s_andn2_b64 exec, exec, s[28:29]
	s_cbranch_execnz .LBB405_1309
; %bb.1310:
	s_or_b64 exec, exec, s[28:29]
	v_mov_b32_e32 v20, v14
	v_mov_b32_e32 v24, v18
.LBB405_1311:
	s_or_b64 exec, exec, s[16:17]
	v_and_b32_e32 v4, 7, v4
	v_cmp_ne_u32_e32 vcc, 0, v4
	s_and_saveexec_b64 s[16:17], vcc
	s_cbranch_execz .LBB405_1314
; %bb.1312:
	s_ashr_i32 s25, s24, 31
	s_lshl_b64 s[28:29], s[24:25], 2
	s_getpc_b64 vcc
	s_add_u32 vcc_lo, vcc_lo, llvm.amdgcn.dynlds.offset.table@rel32@lo+4
	s_addc_u32 vcc_hi, vcc_hi, llvm.amdgcn.dynlds.offset.table@rel32@hi+12
	s_add_u32 s28, s28, vcc_lo
	s_addc_u32 s29, s29, vcc_hi
	s_load_dword s15, s[28:29], 0x0
	v_lshlrev_b32_e32 v5, 9, v7
	v_lshlrev_b32_e32 v6, 2, v19
	s_mov_b64 s[28:29], 0
	s_waitcnt lgkmcnt(0)
	v_add3_u32 v5, v5, v6, s15
.LBB405_1313:                           ; =>This Inner Loop Header: Depth=1
	ds_read2st64_b32 v[6:7], v5 offset1:2
	v_add_u32_e32 v4, -1, v4
	v_cmp_eq_u32_e32 vcc, 0, v4
	s_or_b64 s[28:29], vcc, s[28:29]
	s_waitcnt lgkmcnt(0)
	v_pk_mul_f32 v[6:7], v[8:9], v[6:7]
	ds_write2st64_b32 v5, v6, v7 offset1:2
	v_add_u32_e32 v5, 0x400, v5
	s_andn2_b64 exec, exec, s[28:29]
	s_cbranch_execnz .LBB405_1313
.LBB405_1314:
	s_or_b64 exec, exec, s[16:17]
	v_add_u32_e32 v4, 1, v3
	v_and_b32_e32 v5, 0x3fffffe, v4
	v_cmp_ne_u32_e32 vcc, v4, v5
	v_lshl_add_u32 v3, v5, 7, v19
	s_orn2_b64 s[16:17], vcc, exec
.LBB405_1315:
	s_or_b64 exec, exec, s[10:11]
	s_and_b64 exec, exec, s[16:17]
	s_cbranch_execz .LBB405_1318
; %bb.1316:
	s_ashr_i32 s25, s24, 31
	s_lshl_b64 s[10:11], s[24:25], 2
	s_getpc_b64 s[16:17]
	s_add_u32 s16, s16, llvm.amdgcn.dynlds.offset.table@rel32@lo+4
	s_addc_u32 s17, s17, llvm.amdgcn.dynlds.offset.table@rel32@hi+12
	s_add_u32 s10, s10, s16
	s_addc_u32 s11, s11, s17
	s_load_dword s10, s[10:11], 0x0
	s_waitcnt lgkmcnt(0)
	v_lshl_add_u32 v4, v3, 2, s10
	s_mov_b64 s[10:11], 0
.LBB405_1317:                           ; =>This Inner Loop Header: Depth=1
	ds_read_b32 v5, v4
	v_add_u32_e32 v3, 0x80, v3
	v_cmp_ge_i32_e32 vcc, v3, v1
	s_or_b64 s[10:11], vcc, s[10:11]
	s_waitcnt lgkmcnt(0)
	v_mul_f32_e32 v5, v8, v5
	ds_write_b32 v4, v5
	v_add_u32_e32 v4, 0x200, v4
	s_andn2_b64 exec, exec, s[10:11]
	s_cbranch_execnz .LBB405_1317
.LBB405_1318:
	s_or_b64 exec, exec, s[8:9]
	v_cmp_ne_u16_e64 s[8:9], s27, 0
	s_cmp_lg_u64 s[8:9], 0
	s_addc_u32 s27, s13, 0
	v_cmp_eq_u32_e32 vcc, 0, v19
	s_waitcnt lgkmcnt(0)
	s_barrier
	s_and_saveexec_b64 s[8:9], vcc
	s_cbranch_execz .LBB405_1320
; %bb.1319:
	s_mul_i32 s10, s27, s22
	s_mul_i32 s10, s10, s23
	;; [unrolled: 1-line block ×3, first 2 shown]
	s_ashr_i32 s11, s10, 31
	s_ashr_i32 s13, s12, 31
	;; [unrolled: 1-line block ×3, first 2 shown]
	s_lshl_b64 s[10:11], s[10:11], 2
	s_lshl_b64 s[12:13], s[12:13], 2
	;; [unrolled: 1-line block ×3, first 2 shown]
	s_add_u32 s12, s16, s12
	s_addc_u32 s13, s17, s13
	s_add_u32 s10, s12, s10
	s_addc_u32 s11, s13, s11
	v_mov_b32_e32 v1, s11
	v_add_co_u32_e32 v4, vcc, s10, v24
	v_addc_co_u32_e32 v5, vcc, v1, v20, vcc
	flat_store_dword v[4:5], v0
	v_add_co_u32_e32 v0, vcc, s10, v27
	v_addc_co_u32_e32 v1, vcc, v1, v26, vcc
	flat_store_dword v[0:1], v2
.LBB405_1320:
	s_or_b64 exec, exec, s[8:9]
	v_mov_b32_e32 v34, 0
	v_and_b32_e32 v36, 3, v19
	v_mov_b32_e32 v35, 0
	v_mov_b32_e32 v32, 0
	v_mov_b32_e32 v33, 0
	v_mov_b32_e32 v30, 0
	v_mov_b32_e32 v31, 0
	v_mov_b32_e32 v28, 0
	v_mov_b32_e32 v29, 0
	v_mov_b32_e32 v24, 0
	v_mov_b32_e32 v25, 0
	v_mov_b32_e32 v20, 0
	v_mov_b32_e32 v21, 0
	v_mov_b32_e32 v18, 0
	v_mov_b32_e32 v19, 0
	v_mov_b32_e32 v12, 0
	v_mov_b32_e32 v13, 0
	s_and_saveexec_b64 s[10:11], s[18:19]
	s_cbranch_execz .LBB405_3180
; %bb.1321:
	buffer_store_dword v23, off, s[0:3], s32 offset:488 ; 4-byte Folded Spill
	buffer_store_dword v22, off, s[0:3], s32 offset:484 ; 4-byte Folded Spill
	;; [unrolled: 1-line block ×3, first 2 shown]
	buffer_load_dword v0, off, s[0:3], s32 offset:880 ; 4-byte Folded Reload
	buffer_load_dword v1, off, s[0:3], s32 offset:884 ; 4-byte Folded Reload
	;; [unrolled: 1-line block ×3, first 2 shown]
	s_ashr_i32 s25, s24, 31
	s_lshl_b64 s[8:9], s[24:25], 2
	s_getpc_b64 s[12:13]
	s_add_u32 s12, s12, llvm.amdgcn.dynlds.offset.table@rel32@lo+4
	s_addc_u32 s13, s13, llvm.amdgcn.dynlds.offset.table@rel32@hi+12
	s_add_u32 s8, s8, s12
	s_addc_u32 s9, s9, s13
	s_load_dword s8, s[8:9], 0x0
	s_mov_b32 s12, -1
	s_mov_b32 s13, 0xffffff
	v_mov_b32_e32 v37, 0
	s_mov_b64 s[16:17], 0
	s_mov_b32 s15, 0x7f800000
	s_movk_i32 s25, 0x7fff
	s_movk_i32 s34, 0x80
	;; [unrolled: 1-line block ×3, first 2 shown]
	v_bfrev_b32_e32 v40, 60
	v_mov_b32_e32 v13, 0
	v_mov_b32_e32 v12, 0
	;; [unrolled: 1-line block ×16, first 2 shown]
	s_waitcnt vmcnt(0)
	flat_load_dword v23, v[0:1]
	s_nop 0
	buffer_load_dword v0, off, s[0:3], s32 offset:908 ; 4-byte Folded Reload
	buffer_load_dword v1, off, s[0:3], s32 offset:904 ; 4-byte Folded Reload
	v_and_b32_e32 v2, 24, v3
	s_waitcnt vmcnt(0)
	v_add_co_u32_e32 v0, vcc, v10, v0
	v_addc_co_u32_e32 v1, vcc, v11, v1, vcc
	buffer_store_dword v0, off, s[0:3], s32 offset:400 ; 4-byte Folded Spill
	s_nop 0
	buffer_store_dword v1, off, s[0:3], s32 offset:404 ; 4-byte Folded Spill
	buffer_load_dword v0, off, s[0:3], s32 offset:912 ; 4-byte Folded Reload
	s_waitcnt vmcnt(0)
	v_add_u32_e32 v44, -1, v0
	v_and_b32_e32 v0, 0x1f8, v3
	v_or_b32_e32 v4, 0x1000, v0
	buffer_store_dword v4, off, s[0:3], s32 offset:408 ; 4-byte Folded Spill
	s_nop 0
	buffer_store_dword v5, off, s[0:3], s32 offset:412 ; 4-byte Folded Spill
	v_or_b32_e32 v4, 0x1200, v0
	buffer_store_dword v4, off, s[0:3], s32 offset:416 ; 4-byte Folded Spill
	s_nop 0
	buffer_store_dword v5, off, s[0:3], s32 offset:420 ; 4-byte Folded Spill
	;; [unrolled: 4-line block ×6, first 2 shown]
	v_mov_b32_e32 v4, v0
	v_or_b32_e32 v0, 0x1c00, v0
	buffer_store_dword v4, off, s[0:3], s32 offset:456 ; 4-byte Folded Spill
	s_nop 0
	buffer_store_dword v5, off, s[0:3], s32 offset:460 ; 4-byte Folded Spill
	buffer_store_dword v0, off, s[0:3], s32 offset:464 ; 4-byte Folded Spill
	s_nop 0
	buffer_store_dword v1, off, s[0:3], s32 offset:468 ; 4-byte Folded Spill
	v_or_b32_e32 v0, 0x1e00, v3
	buffer_store_dword v0, off, s[0:3], s32 offset:472 ; 4-byte Folded Spill
	s_nop 0
	buffer_store_dword v1, off, s[0:3], s32 offset:476 ; 4-byte Folded Spill
	buffer_load_dword v0, off, s[0:3], s32 offset:188 ; 4-byte Folded Reload
	s_nop 0
	buffer_load_dword v1, off, s[0:3], s32 offset:192 ; 4-byte Folded Reload
	buffer_load_dword v4, off, s[0:3], s32 offset:896 ; 4-byte Folded Reload
	;; [unrolled: 1-line block ×4, first 2 shown]
	s_waitcnt vmcnt(0)
	v_lshlrev_b64 v[0:1], 2, v[0:1]
	v_add_co_u32_e32 v0, vcc, v4, v0
	v_addc_co_u32_e32 v1, vcc, v5, v1, vcc
	v_add_co_u32_e32 v14, vcc, v3, v0
	buffer_load_dword v0, off, s[0:3], s32 offset:868 ; 4-byte Folded Reload
	s_waitcnt vmcnt(0)
	v_addc_co_u32_e32 v15, vcc, v0, v1, vcc
	buffer_load_dword v1, off, s[0:3], s32 offset:864 ; 4-byte Folded Reload
	s_waitcnt vmcnt(0)
	v_lshl_add_u32 v0, v1, 5, s40
	v_add3_u32 v17, v0, v2, 7
	v_lshlrev_b32_e32 v0, 5, v36
	v_lshl_or_b32 v0, v1, 7, v0
	s_waitcnt lgkmcnt(0)
	v_add_u32_e32 v41, s8, v0
	buffer_store_dword v36, off, s[0:3], s32 offset:496 ; 4-byte Folded Spill
	buffer_store_dword v44, off, s[0:3], s32 offset:480 ; 4-byte Folded Spill
	s_branch .LBB405_1323
.LBB405_1322:                           ;   in Loop: Header=BB405_1323 Depth=1
	s_or_b64 exec, exec, s[8:9]
	v_and_b32_e32 v6, 0xffff0000, v6
	v_and_b32_e32 v3, 0xffff0000, v3
	v_add_f32_e32 v3, v3, v6
	v_and_b32_e32 v6, 0xffff0000, v61
	v_and_b32_e32 v50, 0xffff0000, v60
	v_add_f32_e32 v6, v50, v6
	v_add_f32_e32 v3, v3, v6
	v_and_b32_e32 v6, 0xffff0000, v62
	v_and_b32_e32 v16, 0xffff0000, v16
	v_add_f32_e32 v6, v16, v6
	v_add_f32_e32 v3, v3, v6
	v_and_b32_e32 v6, 0xffff0000, v53
	v_and_b32_e32 v16, 0xffff0000, v39
	v_add_f32_e32 v6, v6, v16
	v_add_f32_e32 v3, v3, v6
	v_add_f32_e32 v12, v12, v3
	v_and_b32_e32 v3, 0xffff0000, v47
	v_and_b32_e32 v6, 0xffff0000, v22
	v_add_f32_e32 v3, v6, v3
	v_and_b32_e32 v6, 0xffff0000, v7
	v_and_b32_e32 v7, 0xffff0000, v56
	v_add_f32_e32 v6, v7, v6
	v_add_f32_e32 v3, v3, v6
	v_and_b32_e32 v6, 0xffff0000, v57
	v_and_b32_e32 v7, 0xffff0000, v8
	v_add_f32_e32 v6, v7, v6
	v_add_f32_e32 v3, v3, v6
	v_and_b32_e32 v6, 0xffff0000, v58
	v_and_b32_e32 v7, 0xffff0000, v59
	v_add_f32_e32 v6, v6, v7
	v_add_f32_e32 v3, v3, v6
	v_add_f32_e32 v19, v19, v3
	;; [unrolled: 16-line block ×3, first 2 shown]
	v_accvgpr_read_b32 v3, a22
	v_accvgpr_read_b32 v6, a20
	v_and_b32_e32 v3, 0xffff0000, v3
	v_and_b32_e32 v6, 0xffff0000, v6
	v_add_f32_e32 v3, v6, v3
	v_accvgpr_read_b32 v6, a26
	v_accvgpr_read_b32 v7, a24
	v_and_b32_e32 v6, 0xffff0000, v6
	v_and_b32_e32 v7, 0xffff0000, v7
	v_add_f32_e32 v6, v7, v6
	v_add_f32_e32 v3, v3, v6
	v_accvgpr_read_b32 v6, a28
	v_accvgpr_read_b32 v7, a14
	v_and_b32_e32 v6, 0xffff0000, v6
	v_and_b32_e32 v7, 0xffff0000, v7
	v_add_f32_e32 v6, v7, v6
	v_add_f32_e32 v3, v3, v6
	v_accvgpr_read_b32 v6, a30
	v_accvgpr_read_b32 v7, a4
	v_and_b32_e32 v6, 0xffff0000, v6
	v_and_b32_e32 v7, 0xffff0000, v7
	v_add_f32_e32 v6, v6, v7
	v_add_f32_e32 v3, v3, v6
	v_add_f32_e32 v21, v21, v3
	v_accvgpr_read_b32 v3, a1
	v_accvgpr_read_b32 v6, a6
	v_and_b32_e32 v3, 0xffff0000, v3
	v_and_b32_e32 v6, 0xffff0000, v6
	v_add_f32_e32 v3, v6, v3
	v_accvgpr_read_b32 v6, a7
	v_accvgpr_read_b32 v7, a3
	v_and_b32_e32 v6, 0xffff0000, v6
	v_and_b32_e32 v7, 0xffff0000, v7
	v_add_f32_e32 v6, v7, v6
	v_add_f32_e32 v3, v3, v6
	v_accvgpr_read_b32 v6, a13
	v_accvgpr_read_b32 v7, a12
	v_and_b32_e32 v6, 0xffff0000, v6
	v_and_b32_e32 v7, 0xffff0000, v7
	v_add_f32_e32 v6, v7, v6
	v_add_f32_e32 v3, v3, v6
	v_accvgpr_read_b32 v6, a16
	v_accvgpr_read_b32 v7, a18
	v_and_b32_e32 v6, 0xffff0000, v6
	v_and_b32_e32 v7, 0xffff0000, v7
	v_add_f32_e32 v6, v6, v7
	v_add_f32_e32 v3, v3, v6
	v_add_f32_e32 v20, v20, v3
	;; [unrolled: 24-line block ×6, first 2 shown]
	buffer_load_dword v3, off, s[0:3], s32 offset:372 ; 4-byte Folded Reload
	buffer_load_dword v7, off, s[0:3], s32 offset:376 ; 4-byte Folded Reload
	;; [unrolled: 1-line block ×3, first 2 shown]
	v_and_b32_e32 v0, 0xffff0000, v0
	v_add_co_u32_e32 v14, vcc, 8, v14
	v_addc_co_u32_e32 v15, vcc, 0, v15, vcc
	v_add_u32_e32 v17, 64, v17
	v_add_u32_e32 v41, 0x100, v41
	buffer_load_dword v8, off, s[0:3], s32 offset:328 ; 4-byte Folded Reload
	buffer_load_dword v9, off, s[0:3], s32 offset:332 ; 4-byte Folded Reload
	;; [unrolled: 1-line block ×5, first 2 shown]
	s_waitcnt vmcnt(7)
	v_and_b32_e32 v3, 0xffff0000, v3
	s_waitcnt vmcnt(6)
	v_and_b32_e32 v7, 0xffff0000, v7
	;; [unrolled: 2-line block ×3, first 2 shown]
	v_add_f32_e32 v3, v6, v3
	buffer_load_dword v6, off, s[0:3], s32 offset:380 ; 4-byte Folded Reload
	s_waitcnt vmcnt(5)
	v_and_b32_e32 v8, 0xffff0000, v8
	s_waitcnt vmcnt(4)
	v_and_b32_e32 v9, 0xffff0000, v9
	;; [unrolled: 2-line block ×6, first 2 shown]
	v_add_f32_e32 v6, v7, v6
	v_add_f32_e32 v3, v3, v6
	buffer_load_dword v6, off, s[0:3], s32 offset:388 ; 4-byte Folded Reload
	buffer_load_dword v7, off, s[0:3], s32 offset:384 ; 4-byte Folded Reload
	s_waitcnt vmcnt(1)
	v_and_b32_e32 v6, 0xffff0000, v6
	s_waitcnt vmcnt(0)
	v_and_b32_e32 v7, 0xffff0000, v7
	v_add_f32_e32 v6, v7, v6
	v_add_f32_e32 v3, v3, v6
	buffer_load_dword v6, off, s[0:3], s32 offset:392 ; 4-byte Folded Reload
	buffer_load_dword v7, off, s[0:3], s32 offset:396 ; 4-byte Folded Reload
	s_waitcnt vmcnt(1)
	v_and_b32_e32 v6, 0xffff0000, v6
	s_waitcnt vmcnt(0)
	v_and_b32_e32 v7, 0xffff0000, v7
	v_add_f32_e32 v6, v6, v7
	v_add_f32_e32 v3, v3, v6
	v_add_f32_e32 v31, v31, v3
	buffer_load_dword v3, off, s[0:3], s32 offset:340 ; 4-byte Folded Reload
	buffer_load_dword v7, off, s[0:3], s32 offset:344 ; 4-byte Folded Reload
	;; [unrolled: 1-line block ×3, first 2 shown]
	s_waitcnt vmcnt(2)
	v_and_b32_e32 v3, 0xffff0000, v3
	s_waitcnt vmcnt(1)
	v_and_b32_e32 v7, 0xffff0000, v7
	;; [unrolled: 2-line block ×3, first 2 shown]
	v_add_f32_e32 v3, v6, v3
	buffer_load_dword v6, off, s[0:3], s32 offset:348 ; 4-byte Folded Reload
	s_waitcnt vmcnt(0)
	v_and_b32_e32 v6, 0xffff0000, v6
	v_add_f32_e32 v6, v7, v6
	v_add_f32_e32 v3, v3, v6
	buffer_load_dword v6, off, s[0:3], s32 offset:356 ; 4-byte Folded Reload
	buffer_load_dword v7, off, s[0:3], s32 offset:352 ; 4-byte Folded Reload
	s_waitcnt vmcnt(1)
	v_and_b32_e32 v6, 0xffff0000, v6
	s_waitcnt vmcnt(0)
	v_and_b32_e32 v7, 0xffff0000, v7
	v_add_f32_e32 v6, v7, v6
	v_add_f32_e32 v3, v3, v6
	buffer_load_dword v6, off, s[0:3], s32 offset:360 ; 4-byte Folded Reload
	buffer_load_dword v7, off, s[0:3], s32 offset:364 ; 4-byte Folded Reload
	s_waitcnt vmcnt(1)
	v_and_b32_e32 v6, 0xffff0000, v6
	s_waitcnt vmcnt(0)
	v_and_b32_e32 v7, 0xffff0000, v7
	v_add_f32_e32 v6, v6, v7
	v_add_f32_e32 v3, v3, v6
	;; [unrolled: 1-line block ×3, first 2 shown]
	buffer_load_dword v3, off, s[0:3], s32 offset:308 ; 4-byte Folded Reload
	buffer_load_dword v7, off, s[0:3], s32 offset:312 ; 4-byte Folded Reload
	;; [unrolled: 1-line block ×3, first 2 shown]
	s_waitcnt vmcnt(2)
	v_and_b32_e32 v3, 0xffff0000, v3
	s_waitcnt vmcnt(1)
	v_and_b32_e32 v7, 0xffff0000, v7
	;; [unrolled: 2-line block ×3, first 2 shown]
	v_add_f32_e32 v3, v6, v3
	buffer_load_dword v6, off, s[0:3], s32 offset:316 ; 4-byte Folded Reload
	s_waitcnt vmcnt(0)
	v_and_b32_e32 v6, 0xffff0000, v6
	v_add_f32_e32 v6, v7, v6
	v_add_f32_e32 v3, v3, v6
	buffer_load_dword v6, off, s[0:3], s32 offset:324 ; 4-byte Folded Reload
	buffer_load_dword v7, off, s[0:3], s32 offset:320 ; 4-byte Folded Reload
	s_waitcnt vmcnt(1)
	v_and_b32_e32 v6, 0xffff0000, v6
	s_waitcnt vmcnt(0)
	v_and_b32_e32 v7, 0xffff0000, v7
	v_add_f32_e32 v6, v7, v6
	v_add_f32_e32 v3, v3, v6
	;; [unrolled: 1-line block ×5, first 2 shown]
	buffer_load_dword v3, off, s[0:3], s32 offset:292 ; 4-byte Folded Reload
	buffer_load_dword v6, off, s[0:3], s32 offset:288 ; 4-byte Folded Reload
	;; [unrolled: 1-line block ×5, first 2 shown]
	s_waitcnt vmcnt(4)
	v_and_b32_e32 v3, 0xffff0000, v3
	s_waitcnt vmcnt(3)
	v_and_b32_e32 v6, 0xffff0000, v6
	;; [unrolled: 2-line block ×5, first 2 shown]
	v_add_f32_e32 v9, v10, v9
	v_add_f32_e32 v7, v8, v7
	;; [unrolled: 1-line block ×8, first 2 shown]
	buffer_load_dword v3, off, s[0:3], s32 offset:256 ; 4-byte Folded Reload
	buffer_load_dword v11, off, s[0:3], s32 offset:260 ; 4-byte Folded Reload
	;; [unrolled: 1-line block ×8, first 2 shown]
	s_waitcnt vmcnt(7)
	v_and_b32_e32 v3, 0xffff0000, v3
	s_waitcnt vmcnt(6)
	v_and_b32_e32 v11, 0xffff0000, v11
	;; [unrolled: 2-line block ×8, first 2 shown]
	v_add_f32_e32 v9, v10, v9
	v_add_f32_e32 v7, v8, v7
	;; [unrolled: 1-line block ×8, first 2 shown]
	buffer_load_dword v3, off, s[0:3], s32 offset:224 ; 4-byte Folded Reload
	buffer_load_dword v11, off, s[0:3], s32 offset:228 ; 4-byte Folded Reload
	;; [unrolled: 1-line block ×7, first 2 shown]
	v_and_b32_e32 v10, 0xffff0000, v54
	s_waitcnt vmcnt(6)
	v_and_b32_e32 v3, 0xffff0000, v3
	s_waitcnt vmcnt(5)
	;; [unrolled: 2-line block ×7, first 2 shown]
	v_and_b32_e32 v9, 0xffff0000, v9
	v_add_f32_e32 v9, v10, v9
	v_add_f32_e32 v7, v8, v7
	v_add_f32_e32 v7, v9, v7
	v_add_f32_e32 v3, v6, v3
	v_add_f32_e32 v3, v7, v3
	v_add_f32_e32 v6, v11, v16
	v_and_b32_e32 v8, 0xffff0000, v5
	v_and_b32_e32 v5, 0xffff0000, v4
	;; [unrolled: 1-line block ×4, first 2 shown]
	v_add_f32_e32 v3, v3, v6
	v_and_b32_e32 v7, 0xffff0000, v48
	v_and_b32_e32 v6, 0xffff0000, v36
	;; [unrolled: 1-line block ×3, first 2 shown]
	v_pk_add_f32 v[0:1], v[0:1], v[4:5]
	v_add_f32_e32 v34, v34, v3
	v_pk_add_f32 v[2:3], v[8:9], v[6:7]
	v_add_f32_e32 v0, v0, v1
	v_add_f32_e32 v0, v0, v2
	;; [unrolled: 1-line block ×3, first 2 shown]
	buffer_load_dword v2, off, s[0:3], s32 offset:188 ; 4-byte Folded Reload
	buffer_load_dword v3, off, s[0:3], s32 offset:192 ; 4-byte Folded Reload
	v_add_f32_e32 v13, v13, v0
	s_waitcnt vmcnt(1)
	v_add_u32_e32 v2, 2, v2
	v_mov_b32_e32 v0, v2
	buffer_store_dword v0, off, s[0:3], s32 offset:188 ; 4-byte Folded Spill
	s_nop 0
	buffer_store_dword v1, off, s[0:3], s32 offset:192 ; 4-byte Folded Spill
	buffer_load_dword v0, off, s[0:3], s32 offset:196 ; 4-byte Folded Reload
	s_waitcnt vmcnt(0)
	v_cmp_ge_i32_e32 vcc, v2, v0
	s_or_b64 s[16:17], vcc, s[16:17]
	s_andn2_b64 exec, exec, s[16:17]
	s_cbranch_execz .LBB405_3179
.LBB405_1323:                           ; =>This Inner Loop Header: Depth=1
	flat_load_dword v27, v[14:15]
	ds_read2_b64 v[6:9], v41 offset1:1
	ds_read2_b64 v[0:3], v41 offset0:2 offset1:3
                                        ; implicit-def: $vgpr26
	s_waitcnt lgkmcnt(0)
	v_and_b32_e32 v4, 0x7f800000, v6
	v_cmp_ne_u32_e32 vcc, s15, v4
	s_and_saveexec_b64 s[8:9], vcc
	s_xor_b64 s[8:9], exec, s[8:9]
; %bb.1324:                             ;   in Loop: Header=BB405_1323 Depth=1
	v_bfe_u32 v4, v6, 16, 1
	v_add3_u32 v26, v6, v4, s25
; %bb.1325:                             ;   in Loop: Header=BB405_1323 Depth=1
	s_andn2_saveexec_b64 s[8:9], s[8:9]
; %bb.1326:                             ;   in Loop: Header=BB405_1323 Depth=1
	v_or_b32_e32 v4, 0x10000, v6
	v_cmp_eq_u32_sdwa vcc, v6, v37 src0_sel:WORD_0 src1_sel:DWORD
	v_cndmask_b32_e32 v26, v4, v6, vcc
; %bb.1327:                             ;   in Loop: Header=BB405_1323 Depth=1
	s_or_b64 exec, exec, s[8:9]
	v_and_b32_e32 v4, 0x7f800000, v7
	v_cmp_ne_u32_e32 vcc, s15, v4
                                        ; implicit-def: $vgpr22
	s_and_saveexec_b64 s[8:9], vcc
	s_xor_b64 s[8:9], exec, s[8:9]
; %bb.1328:                             ;   in Loop: Header=BB405_1323 Depth=1
	v_bfe_u32 v4, v7, 16, 1
	v_add3_u32 v22, v7, v4, s25
; %bb.1329:                             ;   in Loop: Header=BB405_1323 Depth=1
	s_andn2_saveexec_b64 s[8:9], s[8:9]
; %bb.1330:                             ;   in Loop: Header=BB405_1323 Depth=1
	v_or_b32_e32 v4, 0x10000, v7
	v_cmp_eq_u32_sdwa vcc, v7, v37 src0_sel:WORD_0 src1_sel:DWORD
	v_cndmask_b32_e32 v22, v4, v7, vcc
; %bb.1331:                             ;   in Loop: Header=BB405_1323 Depth=1
	s_or_b64 exec, exec, s[8:9]
	v_and_b32_e32 v4, 0x7f800000, v8
	v_cmp_ne_u32_e32 vcc, s15, v4
                                        ; implicit-def: $vgpr16
	s_and_saveexec_b64 s[8:9], vcc
	s_xor_b64 s[8:9], exec, s[8:9]
; %bb.1332:                             ;   in Loop: Header=BB405_1323 Depth=1
	v_bfe_u32 v4, v8, 16, 1
	v_add3_u32 v16, v8, v4, s25
; %bb.1333:                             ;   in Loop: Header=BB405_1323 Depth=1
	s_andn2_saveexec_b64 s[8:9], s[8:9]
; %bb.1334:                             ;   in Loop: Header=BB405_1323 Depth=1
	v_or_b32_e32 v4, 0x10000, v8
	v_cmp_eq_u32_sdwa vcc, v8, v37 src0_sel:WORD_0 src1_sel:DWORD
	v_cndmask_b32_e32 v16, v4, v8, vcc
; %bb.1335:                             ;   in Loop: Header=BB405_1323 Depth=1
	s_or_b64 exec, exec, s[8:9]
	v_and_b32_e32 v4, 0x7f800000, v9
	v_cmp_ne_u32_e32 vcc, s15, v4
                                        ; implicit-def: $vgpr11
	s_and_saveexec_b64 s[8:9], vcc
	s_xor_b64 s[8:9], exec, s[8:9]
; %bb.1336:                             ;   in Loop: Header=BB405_1323 Depth=1
	v_bfe_u32 v4, v9, 16, 1
	v_add3_u32 v11, v9, v4, s25
                                        ; implicit-def: $vgpr6_vgpr7_vgpr8_vgpr9
; %bb.1337:                             ;   in Loop: Header=BB405_1323 Depth=1
	s_andn2_saveexec_b64 s[8:9], s[8:9]
; %bb.1338:                             ;   in Loop: Header=BB405_1323 Depth=1
	v_or_b32_e32 v4, 0x10000, v9
	v_cmp_eq_u32_sdwa vcc, v9, v37 src0_sel:WORD_0 src1_sel:DWORD
	v_cndmask_b32_e32 v11, v4, v9, vcc
; %bb.1339:                             ;   in Loop: Header=BB405_1323 Depth=1
	s_or_b64 exec, exec, s[8:9]
	v_and_b32_e32 v4, 0x7f800000, v0
	v_cmp_ne_u32_e32 vcc, s15, v4
                                        ; implicit-def: $vgpr10
	s_and_saveexec_b64 s[8:9], vcc
	s_xor_b64 s[8:9], exec, s[8:9]
; %bb.1340:                             ;   in Loop: Header=BB405_1323 Depth=1
	v_bfe_u32 v4, v0, 16, 1
	v_add3_u32 v10, v0, v4, s25
; %bb.1341:                             ;   in Loop: Header=BB405_1323 Depth=1
	s_andn2_saveexec_b64 s[8:9], s[8:9]
; %bb.1342:                             ;   in Loop: Header=BB405_1323 Depth=1
	v_or_b32_e32 v4, 0x10000, v0
	v_cmp_eq_u32_sdwa vcc, v0, v37 src0_sel:WORD_0 src1_sel:DWORD
	v_cndmask_b32_e32 v10, v4, v0, vcc
; %bb.1343:                             ;   in Loop: Header=BB405_1323 Depth=1
	s_or_b64 exec, exec, s[8:9]
	v_and_b32_e32 v0, 0x7f800000, v1
	v_cmp_ne_u32_e32 vcc, s15, v0
                                        ; implicit-def: $vgpr9
	s_and_saveexec_b64 s[8:9], vcc
	s_xor_b64 s[8:9], exec, s[8:9]
; %bb.1344:                             ;   in Loop: Header=BB405_1323 Depth=1
	v_bfe_u32 v0, v1, 16, 1
	v_add3_u32 v9, v1, v0, s25
; %bb.1345:                             ;   in Loop: Header=BB405_1323 Depth=1
	s_andn2_saveexec_b64 s[8:9], s[8:9]
; %bb.1346:                             ;   in Loop: Header=BB405_1323 Depth=1
	v_or_b32_e32 v0, 0x10000, v1
	v_cmp_eq_u32_sdwa vcc, v1, v37 src0_sel:WORD_0 src1_sel:DWORD
	v_cndmask_b32_e32 v9, v0, v1, vcc
; %bb.1347:                             ;   in Loop: Header=BB405_1323 Depth=1
	s_or_b64 exec, exec, s[8:9]
	v_and_b32_e32 v0, 0x7f800000, v2
	v_cmp_ne_u32_e32 vcc, s15, v0
                                        ; implicit-def: $vgpr5
	s_and_saveexec_b64 s[8:9], vcc
	s_xor_b64 s[8:9], exec, s[8:9]
; %bb.1348:                             ;   in Loop: Header=BB405_1323 Depth=1
	v_bfe_u32 v0, v2, 16, 1
	v_add3_u32 v5, v2, v0, s25
; %bb.1349:                             ;   in Loop: Header=BB405_1323 Depth=1
	s_andn2_saveexec_b64 s[8:9], s[8:9]
; %bb.1350:                             ;   in Loop: Header=BB405_1323 Depth=1
	v_or_b32_e32 v0, 0x10000, v2
	v_cmp_eq_u32_sdwa vcc, v2, v37 src0_sel:WORD_0 src1_sel:DWORD
	v_cndmask_b32_e32 v5, v0, v2, vcc
; %bb.1351:                             ;   in Loop: Header=BB405_1323 Depth=1
	s_or_b64 exec, exec, s[8:9]
	v_and_b32_e32 v0, 0x7f800000, v3
	v_cmp_ne_u32_e32 vcc, s15, v0
                                        ; implicit-def: $vgpr4
	s_and_saveexec_b64 s[8:9], vcc
	s_xor_b64 s[8:9], exec, s[8:9]
; %bb.1352:                             ;   in Loop: Header=BB405_1323 Depth=1
	v_bfe_u32 v0, v3, 16, 1
	v_add3_u32 v4, v3, v0, s25
                                        ; implicit-def: $vgpr0_vgpr1_vgpr2_vgpr3
; %bb.1353:                             ;   in Loop: Header=BB405_1323 Depth=1
	s_andn2_saveexec_b64 s[8:9], s[8:9]
; %bb.1354:                             ;   in Loop: Header=BB405_1323 Depth=1
	v_or_b32_e32 v0, 0x10000, v3
	v_cmp_eq_u32_sdwa vcc, v3, v37 src0_sel:WORD_0 src1_sel:DWORD
	v_cndmask_b32_e32 v4, v0, v3, vcc
; %bb.1355:                             ;   in Loop: Header=BB405_1323 Depth=1
	s_or_b64 exec, exec, s[8:9]
	buffer_load_dword v2, off, s[0:3], s32 offset:400 ; 4-byte Folded Reload
	buffer_load_dword v3, off, s[0:3], s32 offset:404 ; 4-byte Folded Reload
	;; [unrolled: 1-line block ×4, first 2 shown]
	v_mov_b32_e32 v8, 0
	s_waitcnt vmcnt(0)
	v_mad_i64_i32 v[0:1], s[8:9], v27, v0, v[2:3]
	buffer_load_dword v2, off, s[0:3], s32 offset:456 ; 4-byte Folded Reload
	buffer_load_dword v3, off, s[0:3], s32 offset:460 ; 4-byte Folded Reload
	s_waitcnt vmcnt(1)
	v_add_co_u32_e32 v2, vcc, v0, v2
	s_waitcnt vmcnt(0)
	v_addc_co_u32_e32 v3, vcc, 0, v1, vcc
	flat_load_dwordx2 v[6:7], v[2:3]
	s_waitcnt vmcnt(0) lgkmcnt(0)
	v_cmp_ne_u16_sdwa s[18:19], v6, v37 src0_sel:BYTE_0 src1_sel:DWORD
	s_and_saveexec_b64 s[8:9], s[18:19]
	s_cbranch_execz .LBB405_1361
; %bb.1356:                             ;   in Loop: Header=BB405_1323 Depth=1
	v_cmp_ne_u16_sdwa s[28:29], v6, s34 src0_sel:BYTE_0 src1_sel:DWORD
	v_bfrev_b32_e32 v8, 1
	s_and_saveexec_b64 s[18:19], s[28:29]
	s_cbranch_execz .LBB405_1360
; %bb.1357:                             ;   in Loop: Header=BB405_1323 Depth=1
	v_and_b32_e32 v27, 0x7f, v6
	v_cmp_ne_u32_e32 vcc, s35, v27
	v_mov_b32_e32 v8, 0x7f800001
	s_and_saveexec_b64 s[28:29], vcc
	s_cbranch_execz .LBB405_1359
; %bb.1358:                             ;   in Loop: Header=BB405_1323 Depth=1
	v_and_b32_e32 v8, 7, v6
	v_ffbh_u32_e32 v8, v8
	v_min_u32_e32 v8, 32, v8
	v_subrev_u32_e32 v38, 28, v8
	v_cmp_gt_u32_e32 vcc, 8, v27
	v_lshrrev_b32_e32 v36, 3, v27
	v_cndmask_b32_e32 v27, 0, v38, vcc
	v_sub_u32_e32 v8, 29, v8
	v_lshlrev_b64 v[38:39], v27, v[6:7]
	v_cndmask_b32_e32 v8, v36, v8, vcc
	v_lshlrev_b32_e32 v27, 20, v38
	v_lshlrev_b32_e32 v36, 24, v6
	v_and_b32_e32 v27, 0x700000, v27
	v_and_b32_e32 v36, 0x80000000, v36
	v_lshl_add_u32 v8, v8, 23, v40
	v_or3_b32 v8, v36, v8, v27
.LBB405_1359:                           ;   in Loop: Header=BB405_1323 Depth=1
	s_or_b64 exec, exec, s[28:29]
.LBB405_1360:                           ;   in Loop: Header=BB405_1323 Depth=1
	s_or_b64 exec, exec, s[18:19]
.LBB405_1361:                           ;   in Loop: Header=BB405_1323 Depth=1
	s_or_b64 exec, exec, s[8:9]
	v_mul_f32_e32 v8, v23, v8
	v_and_b32_e32 v27, 0x7f800000, v8
	v_cmp_ne_u32_e32 vcc, s15, v27
                                        ; implicit-def: $vgpr27
	s_and_saveexec_b64 s[8:9], vcc
	s_xor_b64 s[8:9], exec, s[8:9]
; %bb.1362:                             ;   in Loop: Header=BB405_1323 Depth=1
	v_bfe_u32 v27, v8, 16, 1
	v_add3_u32 v27, v8, v27, s25
                                        ; implicit-def: $vgpr8
; %bb.1363:                             ;   in Loop: Header=BB405_1323 Depth=1
	s_andn2_saveexec_b64 s[8:9], s[8:9]
; %bb.1364:                             ;   in Loop: Header=BB405_1323 Depth=1
	v_or_b32_e32 v27, 0x10000, v8
	v_cmp_eq_u32_sdwa vcc, v8, v37 src0_sel:WORD_0 src1_sel:DWORD
	v_cndmask_b32_e32 v27, v27, v8, vcc
; %bb.1365:                             ;   in Loop: Header=BB405_1323 Depth=1
	s_or_b64 exec, exec, s[8:9]
	v_lshrrev_b16_e32 v8, 8, v6
	v_cmp_ne_u16_e32 vcc, 0, v8
	v_mov_b32_e32 v36, 0
	s_and_saveexec_b64 s[8:9], vcc
	s_cbranch_execz .LBB405_1371
; %bb.1366:                             ;   in Loop: Header=BB405_1323 Depth=1
	v_cmp_ne_u16_e32 vcc, s34, v8
	v_bfrev_b32_e32 v36, 1
	s_and_saveexec_b64 s[18:19], vcc
	s_cbranch_execz .LBB405_1370
; %bb.1367:                             ;   in Loop: Header=BB405_1323 Depth=1
	v_and_b32_e32 v38, 0x7f, v8
	v_cmp_ne_u32_e32 vcc, s35, v38
	v_mov_b32_e32 v36, 0x7f800001
	s_and_saveexec_b64 s[28:29], vcc
	s_cbranch_execz .LBB405_1369
; %bb.1368:                             ;   in Loop: Header=BB405_1323 Depth=1
	v_and_b32_e32 v36, 7, v8
	v_ffbh_u32_e32 v48, v36
	v_min_u32_e32 v48, 32, v48
	v_subrev_u32_e32 v50, 28, v48
	v_lshlrev_b64 v[50:51], v50, v[8:9]
	v_lshrrev_b32_e32 v39, 3, v38
	v_sub_u32_e32 v8, 29, v48
	v_and_b32_e32 v48, 7, v50
	v_cmp_gt_u32_e32 vcc, 8, v38
	v_cndmask_b32_e32 v8, v39, v8, vcc
	v_cndmask_b32_e32 v36, v36, v48, vcc
	v_lshlrev_b32_e32 v38, 16, v6
	v_lshlrev_b32_e32 v36, 20, v36
	v_and_b32_e32 v38, 0x80000000, v38
	v_lshl_add_u32 v8, v8, 23, v40
	v_or3_b32 v36, v38, v8, v36
.LBB405_1369:                           ;   in Loop: Header=BB405_1323 Depth=1
	s_or_b64 exec, exec, s[28:29]
.LBB405_1370:                           ;   in Loop: Header=BB405_1323 Depth=1
	s_or_b64 exec, exec, s[18:19]
.LBB405_1371:                           ;   in Loop: Header=BB405_1323 Depth=1
	s_or_b64 exec, exec, s[8:9]
	v_mul_f32_e32 v8, v23, v36
	v_and_b32_e32 v36, 0x7f800000, v8
	v_cmp_ne_u32_e32 vcc, s15, v36
                                        ; implicit-def: $vgpr38
	s_and_saveexec_b64 s[8:9], vcc
	s_xor_b64 s[8:9], exec, s[8:9]
; %bb.1372:                             ;   in Loop: Header=BB405_1323 Depth=1
	v_bfe_u32 v36, v8, 16, 1
	v_add3_u32 v38, v8, v36, s25
                                        ; implicit-def: $vgpr8
; %bb.1373:                             ;   in Loop: Header=BB405_1323 Depth=1
	s_andn2_saveexec_b64 s[8:9], s[8:9]
; %bb.1374:                             ;   in Loop: Header=BB405_1323 Depth=1
	v_or_b32_e32 v36, 0x10000, v8
	v_cmp_eq_u32_sdwa vcc, v8, v37 src0_sel:WORD_0 src1_sel:DWORD
	v_cndmask_b32_e32 v38, v36, v8, vcc
; %bb.1375:                             ;   in Loop: Header=BB405_1323 Depth=1
	s_or_b64 exec, exec, s[8:9]
	v_lshrrev_b32_e32 v8, 16, v6
	v_cmp_ne_u16_sdwa s[18:19], v8, v37 src0_sel:BYTE_0 src1_sel:DWORD
	v_mov_b32_e32 v36, 0
	s_and_saveexec_b64 s[8:9], s[18:19]
	s_cbranch_execz .LBB405_1381
; %bb.1376:                             ;   in Loop: Header=BB405_1323 Depth=1
	v_cmp_ne_u16_sdwa s[28:29], v8, s34 src0_sel:BYTE_0 src1_sel:DWORD
	v_bfrev_b32_e32 v36, 1
	s_and_saveexec_b64 s[18:19], s[28:29]
	s_cbranch_execz .LBB405_1380
; %bb.1377:                             ;   in Loop: Header=BB405_1323 Depth=1
	v_bfe_u32 v39, v6, 16, 7
	v_cmp_ne_u32_e32 vcc, s35, v39
	v_mov_b32_e32 v36, 0x7f800001
	s_and_saveexec_b64 s[28:29], vcc
	s_cbranch_execz .LBB405_1379
; %bb.1378:                             ;   in Loop: Header=BB405_1323 Depth=1
	v_and_b32_e32 v36, 7, v8
	v_ffbh_u32_e32 v50, v36
	v_min_u32_e32 v52, 32, v50
	v_subrev_u32_e32 v50, 28, v52
	v_lshlrev_b64 v[50:51], v50, v[8:9]
	v_lshrrev_b32_e32 v48, 3, v39
	v_sub_u32_e32 v51, 29, v52
	v_and_b32_e32 v50, 7, v50
	v_cmp_gt_u32_e32 vcc, 8, v39
	v_cndmask_b32_e32 v39, v48, v51, vcc
	v_cndmask_b32_e32 v36, v36, v50, vcc
	v_lshlrev_b32_e32 v8, 24, v8
	v_lshlrev_b32_e32 v36, 20, v36
	v_and_b32_e32 v8, 0x80000000, v8
	v_lshl_add_u32 v39, v39, 23, v40
	v_or3_b32 v36, v8, v39, v36
.LBB405_1379:                           ;   in Loop: Header=BB405_1323 Depth=1
	s_or_b64 exec, exec, s[28:29]
.LBB405_1380:                           ;   in Loop: Header=BB405_1323 Depth=1
	s_or_b64 exec, exec, s[18:19]
.LBB405_1381:                           ;   in Loop: Header=BB405_1323 Depth=1
	s_or_b64 exec, exec, s[8:9]
	v_mul_f32_e32 v8, v23, v36
	v_and_b32_e32 v36, 0x7f800000, v8
	v_cmp_ne_u32_e32 vcc, s15, v36
                                        ; implicit-def: $vgpr39
	s_and_saveexec_b64 s[8:9], vcc
	s_xor_b64 s[8:9], exec, s[8:9]
; %bb.1382:                             ;   in Loop: Header=BB405_1323 Depth=1
	v_bfe_u32 v36, v8, 16, 1
	v_add3_u32 v39, v8, v36, s25
                                        ; implicit-def: $vgpr8
; %bb.1383:                             ;   in Loop: Header=BB405_1323 Depth=1
	s_andn2_saveexec_b64 s[8:9], s[8:9]
; %bb.1384:                             ;   in Loop: Header=BB405_1323 Depth=1
	v_or_b32_e32 v36, 0x10000, v8
	v_cmp_eq_u32_sdwa vcc, v8, v37 src0_sel:WORD_0 src1_sel:DWORD
	v_cndmask_b32_e32 v39, v36, v8, vcc
; %bb.1385:                             ;   in Loop: Header=BB405_1323 Depth=1
	s_or_b64 exec, exec, s[8:9]
	v_cmp_lt_u32_e32 vcc, s13, v6
	v_mov_b32_e32 v36, 0
	s_and_saveexec_b64 s[8:9], vcc
	s_cbranch_execz .LBB405_1391
; %bb.1386:                             ;   in Loop: Header=BB405_1323 Depth=1
	v_lshrrev_b32_e32 v8, 24, v6
	v_cmp_ne_u32_e32 vcc, s34, v8
	v_bfrev_b32_e32 v36, 1
	s_and_saveexec_b64 s[18:19], vcc
	s_cbranch_execz .LBB405_1390
; %bb.1387:                             ;   in Loop: Header=BB405_1323 Depth=1
	v_bfe_u32 v48, v6, 24, 7
	v_cmp_ne_u32_e32 vcc, s35, v48
	v_mov_b32_e32 v36, 0x7f800001
	s_and_saveexec_b64 s[28:29], vcc
	s_cbranch_execz .LBB405_1389
; %bb.1388:                             ;   in Loop: Header=BB405_1323 Depth=1
	v_and_b32_e32 v36, 7, v8
	v_ffbh_u32_e32 v50, v36
	v_min_u32_e32 v53, 32, v50
	v_subrev_u32_e32 v50, 28, v53
	v_lshlrev_b64 v[50:51], v50, v[8:9]
	v_lshrrev_b32_e32 v52, 3, v48
	v_sub_u32_e32 v51, 29, v53
	v_and_b32_e32 v50, 7, v50
	v_cmp_gt_u32_e32 vcc, 8, v48
	v_cndmask_b32_e32 v48, v52, v51, vcc
	v_cndmask_b32_e32 v36, v36, v50, vcc
	v_lshlrev_b32_e32 v8, 24, v8
	v_lshlrev_b32_e32 v36, 20, v36
	v_and_b32_e32 v8, 0x80000000, v8
	v_lshl_add_u32 v48, v48, 23, v40
	v_or3_b32 v36, v8, v48, v36
.LBB405_1389:                           ;   in Loop: Header=BB405_1323 Depth=1
	s_or_b64 exec, exec, s[28:29]
.LBB405_1390:                           ;   in Loop: Header=BB405_1323 Depth=1
	s_or_b64 exec, exec, s[18:19]
.LBB405_1391:                           ;   in Loop: Header=BB405_1323 Depth=1
	s_or_b64 exec, exec, s[8:9]
	v_mul_f32_e32 v8, v23, v36
	v_and_b32_e32 v36, 0x7f800000, v8
	v_cmp_ne_u32_e32 vcc, s15, v36
                                        ; implicit-def: $vgpr48
	s_and_saveexec_b64 s[8:9], vcc
	s_xor_b64 s[8:9], exec, s[8:9]
; %bb.1392:                             ;   in Loop: Header=BB405_1323 Depth=1
	v_bfe_u32 v36, v8, 16, 1
	v_add3_u32 v48, v8, v36, s25
                                        ; implicit-def: $vgpr8
; %bb.1393:                             ;   in Loop: Header=BB405_1323 Depth=1
	s_andn2_saveexec_b64 s[8:9], s[8:9]
; %bb.1394:                             ;   in Loop: Header=BB405_1323 Depth=1
	v_or_b32_e32 v36, 0x10000, v8
	v_cmp_eq_u32_sdwa vcc, v8, v37 src0_sel:WORD_0 src1_sel:DWORD
	v_cndmask_b32_e32 v48, v36, v8, vcc
; %bb.1395:                             ;   in Loop: Header=BB405_1323 Depth=1
	s_or_b64 exec, exec, s[8:9]
	v_mov_b32_e32 v36, v7
	v_cmp_ne_u16_sdwa s[18:19], v7, v37 src0_sel:BYTE_0 src1_sel:DWORD
	v_mov_b32_e32 v8, 0
	s_and_saveexec_b64 s[8:9], s[18:19]
	s_cbranch_execz .LBB405_1401
; %bb.1396:                             ;   in Loop: Header=BB405_1323 Depth=1
	v_cmp_ne_u16_sdwa s[28:29], v7, s34 src0_sel:BYTE_0 src1_sel:DWORD
	v_bfrev_b32_e32 v8, 1
	s_and_saveexec_b64 s[18:19], s[28:29]
	s_cbranch_execz .LBB405_1400
; %bb.1397:                             ;   in Loop: Header=BB405_1323 Depth=1
	v_and_b32_e32 v50, 0x7f, v7
	v_cmp_ne_u32_e32 vcc, s35, v50
	v_mov_b32_e32 v8, 0x7f800001
	s_and_saveexec_b64 s[28:29], vcc
	s_cbranch_execz .LBB405_1399
; %bb.1398:                             ;   in Loop: Header=BB405_1323 Depth=1
	v_and_b32_e32 v8, 7, v7
	v_ffbh_u32_e32 v8, v8
	v_min_u32_e32 v8, 32, v8
	v_subrev_u32_e32 v52, 28, v8
	v_cmp_gt_u32_e32 vcc, 8, v50
	v_lshrrev_b32_e32 v51, 3, v50
	v_sub_u32_e32 v8, 29, v8
	v_cndmask_b32_e32 v50, 0, v52, vcc
	v_cndmask_b32_e32 v8, v51, v8, vcc
	v_lshlrev_b64 v[50:51], v50, v[36:37]
	v_lshlrev_b32_e32 v50, 20, v50
	v_lshlrev_b32_e32 v51, 24, v36
	v_and_b32_e32 v50, 0x700000, v50
	v_and_b32_e32 v51, 0x80000000, v51
	v_lshl_add_u32 v8, v8, 23, v40
	v_or3_b32 v8, v51, v8, v50
.LBB405_1399:                           ;   in Loop: Header=BB405_1323 Depth=1
	s_or_b64 exec, exec, s[28:29]
.LBB405_1400:                           ;   in Loop: Header=BB405_1323 Depth=1
	s_or_b64 exec, exec, s[18:19]
.LBB405_1401:                           ;   in Loop: Header=BB405_1323 Depth=1
	s_or_b64 exec, exec, s[8:9]
	v_mul_f32_e32 v8, v23, v8
	v_and_b32_e32 v50, 0x7f800000, v8
	v_cmp_ne_u32_e32 vcc, s15, v50
                                        ; implicit-def: $vgpr50
	s_and_saveexec_b64 s[8:9], vcc
	s_xor_b64 s[8:9], exec, s[8:9]
; %bb.1402:                             ;   in Loop: Header=BB405_1323 Depth=1
	v_bfe_u32 v50, v8, 16, 1
	v_add3_u32 v50, v8, v50, s25
                                        ; implicit-def: $vgpr8
; %bb.1403:                             ;   in Loop: Header=BB405_1323 Depth=1
	s_andn2_saveexec_b64 s[8:9], s[8:9]
; %bb.1404:                             ;   in Loop: Header=BB405_1323 Depth=1
	v_or_b32_e32 v50, 0x10000, v8
	v_cmp_eq_u32_sdwa vcc, v8, v37 src0_sel:WORD_0 src1_sel:DWORD
	v_cndmask_b32_e32 v50, v50, v8, vcc
; %bb.1405:                             ;   in Loop: Header=BB405_1323 Depth=1
	s_or_b64 exec, exec, s[8:9]
	v_lshrrev_b16_e32 v8, 8, v36
	v_cmp_ne_u16_e32 vcc, 0, v8
	v_mov_b32_e32 v51, 0
	s_and_saveexec_b64 s[8:9], vcc
	s_cbranch_execz .LBB405_1411
; %bb.1406:                             ;   in Loop: Header=BB405_1323 Depth=1
	v_cmp_ne_u16_e32 vcc, s34, v8
	v_bfrev_b32_e32 v51, 1
	s_and_saveexec_b64 s[18:19], vcc
	s_cbranch_execz .LBB405_1410
; %bb.1407:                             ;   in Loop: Header=BB405_1323 Depth=1
	v_and_b32_e32 v52, 0x7f, v8
	v_cmp_ne_u32_e32 vcc, s35, v52
	v_mov_b32_e32 v51, 0x7f800001
	s_and_saveexec_b64 s[28:29], vcc
	s_cbranch_execz .LBB405_1409
; %bb.1408:                             ;   in Loop: Header=BB405_1323 Depth=1
	v_and_b32_e32 v51, 7, v8
	v_ffbh_u32_e32 v54, v51
	v_min_u32_e32 v40, 32, v54
	v_subrev_u32_e32 v54, 28, v40
	v_lshlrev_b64 v[54:55], v54, v[8:9]
	v_lshrrev_b32_e32 v53, 3, v52
	v_sub_u32_e32 v8, 29, v40
	v_and_b32_e32 v54, 7, v54
	v_cmp_gt_u32_e32 vcc, 8, v52
	v_bfrev_b32_e32 v40, 60
	v_cndmask_b32_e32 v8, v53, v8, vcc
	v_cndmask_b32_e32 v51, v51, v54, vcc
	v_lshlrev_b32_e32 v36, 16, v36
	v_lshlrev_b32_e32 v51, 20, v51
	v_and_b32_e32 v36, 0x80000000, v36
	v_lshl_add_u32 v8, v8, 23, v40
	v_or3_b32 v51, v36, v8, v51
.LBB405_1409:                           ;   in Loop: Header=BB405_1323 Depth=1
	s_or_b64 exec, exec, s[28:29]
.LBB405_1410:                           ;   in Loop: Header=BB405_1323 Depth=1
	s_or_b64 exec, exec, s[18:19]
.LBB405_1411:                           ;   in Loop: Header=BB405_1323 Depth=1
	s_or_b64 exec, exec, s[8:9]
	v_mul_f32_e32 v8, v23, v51
	v_and_b32_e32 v36, 0x7f800000, v8
	v_cmp_ne_u32_e32 vcc, s15, v36
                                        ; implicit-def: $vgpr36
	s_and_saveexec_b64 s[8:9], vcc
	s_xor_b64 s[8:9], exec, s[8:9]
; %bb.1412:                             ;   in Loop: Header=BB405_1323 Depth=1
	v_bfe_u32 v36, v8, 16, 1
	v_add3_u32 v36, v8, v36, s25
                                        ; implicit-def: $vgpr8
; %bb.1413:                             ;   in Loop: Header=BB405_1323 Depth=1
	s_andn2_saveexec_b64 s[8:9], s[8:9]
; %bb.1414:                             ;   in Loop: Header=BB405_1323 Depth=1
	v_or_b32_e32 v36, 0x10000, v8
	v_cmp_eq_u32_sdwa vcc, v8, v37 src0_sel:WORD_0 src1_sel:DWORD
	v_cndmask_b32_e32 v36, v36, v8, vcc
; %bb.1415:                             ;   in Loop: Header=BB405_1323 Depth=1
	s_or_b64 exec, exec, s[8:9]
	v_lshrrev_b32_e32 v8, 16, v7
	v_cmp_ne_u16_sdwa s[18:19], v8, v37 src0_sel:BYTE_0 src1_sel:DWORD
	v_mov_b32_e32 v51, 0
	s_and_saveexec_b64 s[8:9], s[18:19]
	s_cbranch_execz .LBB405_1421
; %bb.1416:                             ;   in Loop: Header=BB405_1323 Depth=1
	v_cmp_ne_u16_sdwa s[28:29], v8, s34 src0_sel:BYTE_0 src1_sel:DWORD
	v_bfrev_b32_e32 v51, 1
	s_and_saveexec_b64 s[18:19], s[28:29]
	s_cbranch_execz .LBB405_1420
; %bb.1417:                             ;   in Loop: Header=BB405_1323 Depth=1
	v_bfe_u32 v52, v7, 16, 7
	v_cmp_ne_u32_e32 vcc, s35, v52
	v_mov_b32_e32 v51, 0x7f800001
	s_and_saveexec_b64 s[28:29], vcc
	s_cbranch_execz .LBB405_1419
; %bb.1418:                             ;   in Loop: Header=BB405_1323 Depth=1
	v_and_b32_e32 v51, 7, v8
	v_ffbh_u32_e32 v54, v51
	v_min_u32_e32 v40, 32, v54
	v_subrev_u32_e32 v54, 28, v40
	v_lshlrev_b64 v[54:55], v54, v[8:9]
	v_lshrrev_b32_e32 v53, 3, v52
	v_sub_u32_e32 v55, 29, v40
	v_and_b32_e32 v54, 7, v54
	v_cmp_gt_u32_e32 vcc, 8, v52
	v_bfrev_b32_e32 v40, 60
	v_cndmask_b32_e32 v52, v53, v55, vcc
	v_cndmask_b32_e32 v51, v51, v54, vcc
	v_lshlrev_b32_e32 v8, 24, v8
	v_lshlrev_b32_e32 v51, 20, v51
	v_and_b32_e32 v8, 0x80000000, v8
	v_lshl_add_u32 v52, v52, 23, v40
	v_or3_b32 v51, v8, v52, v51
.LBB405_1419:                           ;   in Loop: Header=BB405_1323 Depth=1
	s_or_b64 exec, exec, s[28:29]
.LBB405_1420:                           ;   in Loop: Header=BB405_1323 Depth=1
	s_or_b64 exec, exec, s[18:19]
.LBB405_1421:                           ;   in Loop: Header=BB405_1323 Depth=1
	s_or_b64 exec, exec, s[8:9]
	v_mul_f32_e32 v8, v23, v51
	v_and_b32_e32 v51, 0x7f800000, v8
	v_cmp_ne_u32_e32 vcc, s15, v51
                                        ; implicit-def: $vgpr52
	s_and_saveexec_b64 s[8:9], vcc
	s_xor_b64 s[8:9], exec, s[8:9]
; %bb.1422:                             ;   in Loop: Header=BB405_1323 Depth=1
	v_bfe_u32 v51, v8, 16, 1
	v_add3_u32 v52, v8, v51, s25
                                        ; implicit-def: $vgpr8
; %bb.1423:                             ;   in Loop: Header=BB405_1323 Depth=1
	s_andn2_saveexec_b64 s[8:9], s[8:9]
; %bb.1424:                             ;   in Loop: Header=BB405_1323 Depth=1
	v_or_b32_e32 v51, 0x10000, v8
	v_cmp_eq_u32_sdwa vcc, v8, v37 src0_sel:WORD_0 src1_sel:DWORD
	v_cndmask_b32_e32 v52, v51, v8, vcc
; %bb.1425:                             ;   in Loop: Header=BB405_1323 Depth=1
	s_or_b64 exec, exec, s[8:9]
	v_cmp_lt_u64_e32 vcc, s[12:13], v[6:7]
	v_mov_b32_e32 v8, 0
	s_and_saveexec_b64 s[8:9], vcc
	s_cbranch_execz .LBB405_1431
; %bb.1426:                             ;   in Loop: Header=BB405_1323 Depth=1
	v_lshrrev_b32_e32 v6, 24, v7
	v_cmp_ne_u32_e32 vcc, s34, v6
	v_bfrev_b32_e32 v8, 1
	s_and_saveexec_b64 s[18:19], vcc
	s_cbranch_execz .LBB405_1430
; %bb.1427:                             ;   in Loop: Header=BB405_1323 Depth=1
	v_bfe_u32 v7, v7, 24, 7
	v_cmp_ne_u32_e32 vcc, s35, v7
	v_mov_b32_e32 v8, 0x7f800001
	s_and_saveexec_b64 s[28:29], vcc
	s_cbranch_execz .LBB405_1429
; %bb.1428:                             ;   in Loop: Header=BB405_1323 Depth=1
	v_and_b32_e32 v8, 7, v6
	v_ffbh_u32_e32 v53, v8
	v_min_u32_e32 v53, 32, v53
	v_subrev_u32_e32 v54, 28, v53
	v_lshlrev_b64 v[54:55], v54, v[6:7]
	v_lshrrev_b32_e32 v51, 3, v7
	v_sub_u32_e32 v53, 29, v53
	v_and_b32_e32 v54, 7, v54
	v_cmp_gt_u32_e32 vcc, 8, v7
	v_cndmask_b32_e32 v7, v51, v53, vcc
	v_cndmask_b32_e32 v8, v8, v54, vcc
	v_lshlrev_b32_e32 v6, 24, v6
	v_lshlrev_b32_e32 v8, 20, v8
	v_and_b32_e32 v6, 0x80000000, v6
	v_lshl_add_u32 v7, v7, 23, v40
	v_or3_b32 v8, v6, v7, v8
.LBB405_1429:                           ;   in Loop: Header=BB405_1323 Depth=1
	s_or_b64 exec, exec, s[28:29]
.LBB405_1430:                           ;   in Loop: Header=BB405_1323 Depth=1
	s_or_b64 exec, exec, s[18:19]
.LBB405_1431:                           ;   in Loop: Header=BB405_1323 Depth=1
	s_or_b64 exec, exec, s[8:9]
	v_mul_f32_e32 v7, v23, v8
	v_and_b32_e32 v6, 0x7f800000, v7
	v_cmp_ne_u32_e32 vcc, s15, v6
                                        ; implicit-def: $vgpr6
	s_and_saveexec_b64 s[8:9], vcc
	s_xor_b64 s[8:9], exec, s[8:9]
; %bb.1432:                             ;   in Loop: Header=BB405_1323 Depth=1
	v_bfe_u32 v6, v7, 16, 1
	v_add3_u32 v6, v7, v6, s25
                                        ; implicit-def: $vgpr7
; %bb.1433:                             ;   in Loop: Header=BB405_1323 Depth=1
	s_andn2_saveexec_b64 s[8:9], s[8:9]
; %bb.1434:                             ;   in Loop: Header=BB405_1323 Depth=1
	v_or_b32_e32 v6, 0x10000, v7
	v_cmp_eq_u32_sdwa vcc, v7, v37 src0_sel:WORD_0 src1_sel:DWORD
	v_cndmask_b32_e32 v6, v6, v7, vcc
; %bb.1435:                             ;   in Loop: Header=BB405_1323 Depth=1
	s_or_b64 exec, exec, s[8:9]
	buffer_load_dword v54, off, s[0:3], s32 offset:188 ; 4-byte Folded Reload
	buffer_load_dword v55, off, s[0:3], s32 offset:192 ; 4-byte Folded Reload
	v_lshrrev_b32_e32 v51, 16, v48
	v_add_u32_e32 v48, -6, v17
	v_accvgpr_write_b32 a37, v48
	v_add_u32_e32 v48, -5, v17
	v_accvgpr_write_b32 a36, v48
	;; [unrolled: 2-line block ×4, first 2 shown]
	v_add_u32_e32 v48, -2, v17
	v_add_u32_e32 v7, -7, v17
	v_accvgpr_write_b32 a33, v48
	v_add_u32_e32 v48, -1, v17
	v_accvgpr_write_b32 a31, v7
	v_lshrrev_b32_e32 v8, 16, v36
	v_lshrrev_b32_e32 v36, 16, v50
	;; [unrolled: 1-line block ×7, first 2 shown]
	v_accvgpr_write_b32 a32, v48
	s_waitcnt vmcnt(1)
	v_cmp_eq_u32_e32 vcc, v44, v54
	s_and_saveexec_b64 s[18:19], vcc
	s_cbranch_execz .LBB405_1437
; %bb.1436:                             ;   in Loop: Header=BB405_1323 Depth=1
	v_accvgpr_read_b32 v48, a31
	v_cmp_lt_i32_e64 s[8:9], v48, v49
	v_accvgpr_read_b32 v48, a37
	v_cndmask_b32_e64 v27, 0, v27, s[8:9]
	v_cmp_lt_i32_e64 s[8:9], v48, v49
	v_accvgpr_read_b32 v48, a36
	v_cndmask_b32_e64 v38, 0, v38, s[8:9]
	;; [unrolled: 3-line block ×6, first 2 shown]
	v_cmp_lt_i32_e64 s[8:9], v48, v49
	v_cndmask_b32_e64 v7, 0, v7, s[8:9]
	v_cmp_lt_i32_e64 s[8:9], v17, v49
	v_cndmask_b32_e64 v6, 0, v6, s[8:9]
.LBB405_1437:                           ;   in Loop: Header=BB405_1323 Depth=1
	s_or_b64 exec, exec, s[18:19]
	v_and_b32_e32 v48, 0xffff0000, v26
	v_lshlrev_b32_e32 v26, 16, v27
	v_mul_f32_e32 v26, v48, v26
	v_and_b32_e32 v27, 0x7f800000, v26
	v_accvgpr_write_b32 a38, v48
	v_cmp_ne_u32_e64 s[8:9], s15, v27
                                        ; implicit-def: $vgpr54
	s_and_saveexec_b64 s[18:19], s[8:9]
	s_xor_b64 s[8:9], exec, s[18:19]
; %bb.1438:                             ;   in Loop: Header=BB405_1323 Depth=1
	v_bfe_u32 v27, v26, 16, 1
	v_add3_u32 v54, v26, v27, s25
                                        ; implicit-def: $vgpr26
; %bb.1439:                             ;   in Loop: Header=BB405_1323 Depth=1
	s_andn2_saveexec_b64 s[18:19], s[8:9]
; %bb.1440:                             ;   in Loop: Header=BB405_1323 Depth=1
	v_or_b32_e32 v27, 0x10000, v26
	v_cmp_eq_u32_sdwa s[8:9], v26, v37 src0_sel:WORD_0 src1_sel:DWORD
	v_cndmask_b32_e64 v54, v27, v26, s[8:9]
; %bb.1441:                             ;   in Loop: Header=BB405_1323 Depth=1
	s_or_b64 exec, exec, s[18:19]
	v_and_b32_e32 v53, 0xffff0000, v22
	v_lshlrev_b32_e32 v22, 16, v38
	v_mul_f32_e32 v22, v53, v22
	v_and_b32_e32 v26, 0x7f800000, v22
	v_cmp_ne_u32_e64 s[8:9], s15, v26
                                        ; implicit-def: $vgpr26
                                        ; kill: killed $vgpr26
	s_and_saveexec_b64 s[18:19], s[8:9]
	s_xor_b64 s[8:9], exec, s[18:19]
	s_cbranch_execz .LBB405_1443
; %bb.1442:                             ;   in Loop: Header=BB405_1323 Depth=1
	v_bfe_u32 v26, v22, 16, 1
	v_add3_u32 v22, v22, v26, s25
	buffer_store_dword v22, off, s[0:3], s32 offset:208 ; 4-byte Folded Spill
                                        ; implicit-def: $vgpr22
.LBB405_1443:                           ;   in Loop: Header=BB405_1323 Depth=1
	s_andn2_saveexec_b64 s[18:19], s[8:9]
	s_cbranch_execz .LBB405_1445
; %bb.1444:                             ;   in Loop: Header=BB405_1323 Depth=1
	v_or_b32_e32 v26, 0x10000, v22
	v_cmp_eq_u32_sdwa s[8:9], v22, v37 src0_sel:WORD_0 src1_sel:DWORD
	v_cndmask_b32_e64 v22, v26, v22, s[8:9]
	buffer_store_dword v22, off, s[0:3], s32 offset:208 ; 4-byte Folded Spill
.LBB405_1445:                           ;   in Loop: Header=BB405_1323 Depth=1
	s_or_b64 exec, exec, s[18:19]
	v_and_b32_e32 v45, 0xffff0000, v16
	v_lshlrev_b32_e32 v16, 16, v39
	v_mul_f32_e32 v16, v45, v16
	v_and_b32_e32 v22, 0x7f800000, v16
	v_cmp_ne_u32_e64 s[8:9], s15, v22
                                        ; implicit-def: $vgpr22
                                        ; kill: killed $vgpr22
	s_and_saveexec_b64 s[18:19], s[8:9]
	s_xor_b64 s[8:9], exec, s[18:19]
	s_cbranch_execz .LBB405_1447
; %bb.1446:                             ;   in Loop: Header=BB405_1323 Depth=1
	v_bfe_u32 v22, v16, 16, 1
	v_add3_u32 v16, v16, v22, s25
	buffer_store_dword v16, off, s[0:3], s32 offset:212 ; 4-byte Folded Spill
                                        ; implicit-def: $vgpr16
.LBB405_1447:                           ;   in Loop: Header=BB405_1323 Depth=1
	s_andn2_saveexec_b64 s[18:19], s[8:9]
	s_cbranch_execz .LBB405_1449
; %bb.1448:                             ;   in Loop: Header=BB405_1323 Depth=1
	v_or_b32_e32 v22, 0x10000, v16
	v_cmp_eq_u32_sdwa s[8:9], v16, v37 src0_sel:WORD_0 src1_sel:DWORD
	v_cndmask_b32_e64 v16, v22, v16, s[8:9]
	buffer_store_dword v16, off, s[0:3], s32 offset:212 ; 4-byte Folded Spill
.LBB405_1449:                           ;   in Loop: Header=BB405_1323 Depth=1
	s_or_b64 exec, exec, s[18:19]
	v_and_b32_e32 v46, 0xffff0000, v11
	v_lshlrev_b32_e32 v11, 16, v51
	v_mul_f32_e32 v11, v46, v11
	v_and_b32_e32 v16, 0x7f800000, v11
	v_cmp_ne_u32_e64 s[8:9], s15, v16
                                        ; implicit-def: $vgpr16
                                        ; kill: killed $vgpr16
	s_and_saveexec_b64 s[18:19], s[8:9]
	s_xor_b64 s[8:9], exec, s[18:19]
	s_cbranch_execz .LBB405_1451
; %bb.1450:                             ;   in Loop: Header=BB405_1323 Depth=1
	v_bfe_u32 v16, v11, 16, 1
	v_add3_u32 v11, v11, v16, s25
	buffer_store_dword v11, off, s[0:3], s32 offset:216 ; 4-byte Folded Spill
                                        ; implicit-def: $vgpr11
.LBB405_1451:                           ;   in Loop: Header=BB405_1323 Depth=1
	s_andn2_saveexec_b64 s[18:19], s[8:9]
	s_cbranch_execz .LBB405_1453
; %bb.1452:                             ;   in Loop: Header=BB405_1323 Depth=1
	v_or_b32_e32 v16, 0x10000, v11
	v_cmp_eq_u32_sdwa s[8:9], v11, v37 src0_sel:WORD_0 src1_sel:DWORD
	v_cndmask_b32_e64 v11, v16, v11, s[8:9]
	buffer_store_dword v11, off, s[0:3], s32 offset:216 ; 4-byte Folded Spill
.LBB405_1453:                           ;   in Loop: Header=BB405_1323 Depth=1
	s_or_b64 exec, exec, s[18:19]
	v_and_b32_e32 v48, 0xffff0000, v10
	v_lshlrev_b32_e32 v10, 16, v36
	v_mul_f32_e32 v10, v48, v10
	v_and_b32_e32 v11, 0x7f800000, v10
	v_cmp_ne_u32_e64 s[8:9], s15, v11
                                        ; implicit-def: $vgpr11
                                        ; kill: killed $vgpr11
	s_and_saveexec_b64 s[18:19], s[8:9]
	s_xor_b64 s[8:9], exec, s[18:19]
	s_cbranch_execz .LBB405_1455
; %bb.1454:                             ;   in Loop: Header=BB405_1323 Depth=1
	v_bfe_u32 v11, v10, 16, 1
	v_add3_u32 v10, v10, v11, s25
	buffer_store_dword v10, off, s[0:3], s32 offset:220 ; 4-byte Folded Spill
                                        ; implicit-def: $vgpr10
.LBB405_1455:                           ;   in Loop: Header=BB405_1323 Depth=1
	s_andn2_saveexec_b64 s[18:19], s[8:9]
	s_cbranch_execz .LBB405_1457
; %bb.1456:                             ;   in Loop: Header=BB405_1323 Depth=1
	v_or_b32_e32 v11, 0x10000, v10
	v_cmp_eq_u32_sdwa s[8:9], v10, v37 src0_sel:WORD_0 src1_sel:DWORD
	v_cndmask_b32_e64 v10, v11, v10, s[8:9]
	buffer_store_dword v10, off, s[0:3], s32 offset:220 ; 4-byte Folded Spill
.LBB405_1457:                           ;   in Loop: Header=BB405_1323 Depth=1
	s_or_b64 exec, exec, s[18:19]
	v_and_b32_e32 v62, 0xffff0000, v9
	v_lshlrev_b32_e32 v8, 16, v8
	v_mul_f32_e32 v8, v62, v8
	v_and_b32_e32 v9, 0x7f800000, v8
	v_cmp_ne_u32_e64 s[8:9], s15, v9
                                        ; implicit-def: $vgpr9
                                        ; kill: killed $vgpr9
	s_and_saveexec_b64 s[18:19], s[8:9]
	s_xor_b64 s[8:9], exec, s[18:19]
	s_cbranch_execz .LBB405_1459
; %bb.1458:                             ;   in Loop: Header=BB405_1323 Depth=1
	v_bfe_u32 v9, v8, 16, 1
	v_add3_u32 v8, v8, v9, s25
	buffer_store_dword v8, off, s[0:3], s32 offset:224 ; 4-byte Folded Spill
                                        ; implicit-def: $vgpr8
.LBB405_1459:                           ;   in Loop: Header=BB405_1323 Depth=1
	s_andn2_saveexec_b64 s[18:19], s[8:9]
	s_cbranch_execz .LBB405_1461
; %bb.1460:                             ;   in Loop: Header=BB405_1323 Depth=1
	v_or_b32_e32 v9, 0x10000, v8
	v_cmp_eq_u32_sdwa s[8:9], v8, v37 src0_sel:WORD_0 src1_sel:DWORD
	v_cndmask_b32_e64 v8, v9, v8, s[8:9]
	buffer_store_dword v8, off, s[0:3], s32 offset:224 ; 4-byte Folded Spill
.LBB405_1461:                           ;   in Loop: Header=BB405_1323 Depth=1
	s_or_b64 exec, exec, s[18:19]
	s_waitcnt vmcnt(0)
	v_and_b32_e32 v55, 0xffff0000, v5
	v_lshlrev_b32_e32 v5, 16, v7
	v_mul_f32_e32 v5, v55, v5
	v_and_b32_e32 v7, 0x7f800000, v5
	v_cmp_ne_u32_e64 s[8:9], s15, v7
                                        ; implicit-def: $vgpr7
                                        ; kill: killed $vgpr7
	s_and_saveexec_b64 s[18:19], s[8:9]
	s_xor_b64 s[8:9], exec, s[18:19]
	s_cbranch_execz .LBB405_1463
; %bb.1462:                             ;   in Loop: Header=BB405_1323 Depth=1
	v_bfe_u32 v7, v5, 16, 1
	v_add3_u32 v5, v5, v7, s25
	buffer_store_dword v5, off, s[0:3], s32 offset:228 ; 4-byte Folded Spill
                                        ; implicit-def: $vgpr5
.LBB405_1463:                           ;   in Loop: Header=BB405_1323 Depth=1
	s_andn2_saveexec_b64 s[18:19], s[8:9]
	s_cbranch_execz .LBB405_1465
; %bb.1464:                             ;   in Loop: Header=BB405_1323 Depth=1
	v_or_b32_e32 v7, 0x10000, v5
	v_cmp_eq_u32_sdwa s[8:9], v5, v37 src0_sel:WORD_0 src1_sel:DWORD
	v_cndmask_b32_e64 v5, v7, v5, s[8:9]
	buffer_store_dword v5, off, s[0:3], s32 offset:228 ; 4-byte Folded Spill
.LBB405_1465:                           ;   in Loop: Header=BB405_1323 Depth=1
	s_or_b64 exec, exec, s[18:19]
	v_and_b32_e32 v52, 0xffff0000, v4
	v_lshlrev_b32_e32 v4, 16, v6
	v_mul_f32_e32 v4, v52, v4
	v_and_b32_e32 v5, 0x7f800000, v4
	v_cmp_ne_u32_e64 s[8:9], s15, v5
                                        ; implicit-def: $vgpr5
                                        ; kill: killed $vgpr5
	s_and_saveexec_b64 s[18:19], s[8:9]
	s_xor_b64 s[8:9], exec, s[18:19]
	s_cbranch_execz .LBB405_1467
; %bb.1466:                             ;   in Loop: Header=BB405_1323 Depth=1
	v_bfe_u32 v5, v4, 16, 1
	v_add3_u32 v4, v4, v5, s25
	buffer_store_dword v4, off, s[0:3], s32 offset:232 ; 4-byte Folded Spill
                                        ; implicit-def: $vgpr4
.LBB405_1467:                           ;   in Loop: Header=BB405_1323 Depth=1
	s_andn2_saveexec_b64 s[18:19], s[8:9]
	s_cbranch_execz .LBB405_1469
; %bb.1468:                             ;   in Loop: Header=BB405_1323 Depth=1
	v_or_b32_e32 v5, 0x10000, v4
	v_cmp_eq_u32_sdwa s[8:9], v4, v37 src0_sel:WORD_0 src1_sel:DWORD
	v_cndmask_b32_e64 v4, v5, v4, s[8:9]
	buffer_store_dword v4, off, s[0:3], s32 offset:232 ; 4-byte Folded Spill
.LBB405_1469:                           ;   in Loop: Header=BB405_1323 Depth=1
	s_or_b64 exec, exec, s[18:19]
	flat_load_dwordx2 v[6:7], v[2:3] offset:512
	v_mov_b32_e32 v4, 0
	s_waitcnt vmcnt(0) lgkmcnt(0)
	v_cmp_ne_u16_sdwa s[8:9], v6, v37 src0_sel:BYTE_0 src1_sel:DWORD
	s_and_saveexec_b64 s[18:19], s[8:9]
	s_cbranch_execz .LBB405_1475
; %bb.1470:                             ;   in Loop: Header=BB405_1323 Depth=1
	v_cmp_ne_u16_sdwa s[8:9], v6, s34 src0_sel:BYTE_0 src1_sel:DWORD
	v_bfrev_b32_e32 v4, 1
	s_and_saveexec_b64 s[28:29], s[8:9]
	s_cbranch_execz .LBB405_1474
; %bb.1471:                             ;   in Loop: Header=BB405_1323 Depth=1
	v_and_b32_e32 v5, 0x7f, v6
	v_cmp_ne_u32_e64 s[8:9], s35, v5
	v_mov_b32_e32 v4, 0x7f800001
	s_and_saveexec_b64 s[30:31], s[8:9]
	s_cbranch_execz .LBB405_1473
; %bb.1472:                             ;   in Loop: Header=BB405_1323 Depth=1
	v_and_b32_e32 v4, 7, v6
	v_ffbh_u32_e32 v4, v4
	v_min_u32_e32 v4, 32, v4
	v_lshrrev_b32_e32 v8, 3, v5
	v_subrev_u32_e32 v9, 28, v4
	v_sub_u32_e32 v4, 29, v4
	v_cmp_gt_u32_e64 s[8:9], 8, v5
	v_cndmask_b32_e64 v8, v8, v4, s[8:9]
	v_cndmask_b32_e64 v4, 0, v9, s[8:9]
	v_lshlrev_b64 v[4:5], v4, v[6:7]
	v_lshlrev_b32_e32 v4, 20, v4
	v_lshlrev_b32_e32 v5, 24, v6
	v_and_b32_e32 v4, 0x700000, v4
	v_and_b32_e32 v5, 0x80000000, v5
	v_lshl_add_u32 v8, v8, 23, v40
	v_or3_b32 v4, v5, v8, v4
.LBB405_1473:                           ;   in Loop: Header=BB405_1323 Depth=1
	s_or_b64 exec, exec, s[30:31]
.LBB405_1474:                           ;   in Loop: Header=BB405_1323 Depth=1
	s_or_b64 exec, exec, s[28:29]
.LBB405_1475:                           ;   in Loop: Header=BB405_1323 Depth=1
	s_or_b64 exec, exec, s[18:19]
	v_mul_f32_e32 v5, v23, v4
	v_and_b32_e32 v4, 0x7f800000, v5
	v_cmp_ne_u32_e64 s[8:9], s15, v4
                                        ; implicit-def: $vgpr4
	s_and_saveexec_b64 s[18:19], s[8:9]
	s_xor_b64 s[8:9], exec, s[18:19]
; %bb.1476:                             ;   in Loop: Header=BB405_1323 Depth=1
	v_bfe_u32 v4, v5, 16, 1
	v_add3_u32 v4, v5, v4, s25
                                        ; implicit-def: $vgpr5
; %bb.1477:                             ;   in Loop: Header=BB405_1323 Depth=1
	s_andn2_saveexec_b64 s[18:19], s[8:9]
; %bb.1478:                             ;   in Loop: Header=BB405_1323 Depth=1
	v_or_b32_e32 v4, 0x10000, v5
	v_cmp_eq_u32_sdwa s[8:9], v5, v37 src0_sel:WORD_0 src1_sel:DWORD
	v_cndmask_b32_e64 v4, v4, v5, s[8:9]
; %bb.1479:                             ;   in Loop: Header=BB405_1323 Depth=1
	s_or_b64 exec, exec, s[18:19]
	v_lshrrev_b16_e32 v8, 8, v6
	v_cmp_ne_u16_e64 s[8:9], 0, v8
	v_mov_b32_e32 v5, 0
	s_and_saveexec_b64 s[18:19], s[8:9]
	s_cbranch_execz .LBB405_1485
; %bb.1480:                             ;   in Loop: Header=BB405_1323 Depth=1
	v_cmp_ne_u16_e64 s[8:9], s34, v8
	v_bfrev_b32_e32 v5, 1
	s_and_saveexec_b64 s[28:29], s[8:9]
	s_cbranch_execz .LBB405_1484
; %bb.1481:                             ;   in Loop: Header=BB405_1323 Depth=1
	v_and_b32_e32 v9, 0x7f, v8
	v_cmp_ne_u32_e64 s[8:9], s35, v9
	v_mov_b32_e32 v5, 0x7f800001
	s_and_saveexec_b64 s[30:31], s[8:9]
	s_cbranch_execz .LBB405_1483
; %bb.1482:                             ;   in Loop: Header=BB405_1323 Depth=1
	v_and_b32_e32 v5, 7, v8
	v_ffbh_u32_e32 v10, v5
	v_min_u32_e32 v22, 32, v10
	v_subrev_u32_e32 v10, 28, v22
	v_lshlrev_b64 v[10:11], v10, v[8:9]
	v_lshrrev_b32_e32 v16, 3, v9
	v_sub_u32_e32 v8, 29, v22
	v_and_b32_e32 v10, 7, v10
	v_cmp_gt_u32_e64 s[8:9], 8, v9
	v_cndmask_b32_e64 v8, v16, v8, s[8:9]
	v_cndmask_b32_e64 v5, v5, v10, s[8:9]
	v_lshlrev_b32_e32 v9, 16, v6
	v_lshlrev_b32_e32 v5, 20, v5
	v_and_b32_e32 v9, 0x80000000, v9
	v_lshl_add_u32 v8, v8, 23, v40
	v_or3_b32 v5, v9, v8, v5
.LBB405_1483:                           ;   in Loop: Header=BB405_1323 Depth=1
	s_or_b64 exec, exec, s[30:31]
.LBB405_1484:                           ;   in Loop: Header=BB405_1323 Depth=1
	s_or_b64 exec, exec, s[28:29]
.LBB405_1485:                           ;   in Loop: Header=BB405_1323 Depth=1
	s_or_b64 exec, exec, s[18:19]
	v_mul_f32_e32 v8, v23, v5
	v_and_b32_e32 v5, 0x7f800000, v8
	v_cmp_ne_u32_e64 s[8:9], s15, v5
                                        ; implicit-def: $vgpr5
	s_and_saveexec_b64 s[18:19], s[8:9]
	s_xor_b64 s[8:9], exec, s[18:19]
; %bb.1486:                             ;   in Loop: Header=BB405_1323 Depth=1
	v_bfe_u32 v5, v8, 16, 1
	v_add3_u32 v5, v8, v5, s25
                                        ; implicit-def: $vgpr8
; %bb.1487:                             ;   in Loop: Header=BB405_1323 Depth=1
	s_andn2_saveexec_b64 s[18:19], s[8:9]
; %bb.1488:                             ;   in Loop: Header=BB405_1323 Depth=1
	v_or_b32_e32 v5, 0x10000, v8
	v_cmp_eq_u32_sdwa s[8:9], v8, v37 src0_sel:WORD_0 src1_sel:DWORD
	v_cndmask_b32_e64 v5, v5, v8, s[8:9]
; %bb.1489:                             ;   in Loop: Header=BB405_1323 Depth=1
	s_or_b64 exec, exec, s[18:19]
	v_lshrrev_b32_e32 v8, 16, v6
	v_cmp_ne_u16_sdwa s[8:9], v8, v37 src0_sel:BYTE_0 src1_sel:DWORD
	v_mov_b32_e32 v9, 0
	s_and_saveexec_b64 s[18:19], s[8:9]
	s_cbranch_execz .LBB405_1495
; %bb.1490:                             ;   in Loop: Header=BB405_1323 Depth=1
	v_cmp_ne_u16_sdwa s[8:9], v8, s34 src0_sel:BYTE_0 src1_sel:DWORD
	v_bfrev_b32_e32 v9, 1
	s_and_saveexec_b64 s[28:29], s[8:9]
	s_cbranch_execz .LBB405_1494
; %bb.1491:                             ;   in Loop: Header=BB405_1323 Depth=1
	v_bfe_u32 v10, v6, 16, 7
	v_cmp_ne_u32_e64 s[8:9], s35, v10
	v_mov_b32_e32 v9, 0x7f800001
	s_and_saveexec_b64 s[30:31], s[8:9]
	s_cbranch_execz .LBB405_1493
; %bb.1492:                             ;   in Loop: Header=BB405_1323 Depth=1
	v_and_b32_e32 v9, 7, v8
	v_ffbh_u32_e32 v16, v9
	v_min_u32_e32 v16, 32, v16
	v_subrev_u32_e32 v22, 28, v16
	v_lshlrev_b64 v[26:27], v22, v[8:9]
	v_lshrrev_b32_e32 v11, 3, v10
	v_sub_u32_e32 v16, 29, v16
	v_and_b32_e32 v22, 7, v26
	v_cmp_gt_u32_e64 s[8:9], 8, v10
	v_cndmask_b32_e64 v10, v11, v16, s[8:9]
	v_cndmask_b32_e64 v9, v9, v22, s[8:9]
	v_lshlrev_b32_e32 v8, 24, v8
	v_lshlrev_b32_e32 v9, 20, v9
	v_and_b32_e32 v8, 0x80000000, v8
	v_lshl_add_u32 v10, v10, 23, v40
	v_or3_b32 v9, v8, v10, v9
.LBB405_1493:                           ;   in Loop: Header=BB405_1323 Depth=1
	s_or_b64 exec, exec, s[30:31]
.LBB405_1494:                           ;   in Loop: Header=BB405_1323 Depth=1
	s_or_b64 exec, exec, s[28:29]
.LBB405_1495:                           ;   in Loop: Header=BB405_1323 Depth=1
	s_or_b64 exec, exec, s[18:19]
	v_mul_f32_e32 v8, v23, v9
	v_and_b32_e32 v9, 0x7f800000, v8
	v_cmp_ne_u32_e64 s[8:9], s15, v9
                                        ; implicit-def: $vgpr9
	s_and_saveexec_b64 s[18:19], s[8:9]
	s_xor_b64 s[8:9], exec, s[18:19]
; %bb.1496:                             ;   in Loop: Header=BB405_1323 Depth=1
	v_bfe_u32 v9, v8, 16, 1
	v_add3_u32 v9, v8, v9, s25
                                        ; implicit-def: $vgpr8
; %bb.1497:                             ;   in Loop: Header=BB405_1323 Depth=1
	s_andn2_saveexec_b64 s[18:19], s[8:9]
; %bb.1498:                             ;   in Loop: Header=BB405_1323 Depth=1
	v_or_b32_e32 v9, 0x10000, v8
	v_cmp_eq_u32_sdwa s[8:9], v8, v37 src0_sel:WORD_0 src1_sel:DWORD
	v_cndmask_b32_e64 v9, v9, v8, s[8:9]
; %bb.1499:                             ;   in Loop: Header=BB405_1323 Depth=1
	s_or_b64 exec, exec, s[18:19]
	v_cmp_lt_u32_e64 s[8:9], s13, v6
	v_mov_b32_e32 v10, 0
	s_and_saveexec_b64 s[18:19], s[8:9]
	s_cbranch_execz .LBB405_1505
; %bb.1500:                             ;   in Loop: Header=BB405_1323 Depth=1
	v_lshrrev_b32_e32 v8, 24, v6
	v_cmp_ne_u32_e64 s[8:9], s34, v8
	v_bfrev_b32_e32 v10, 1
	s_and_saveexec_b64 s[28:29], s[8:9]
	s_cbranch_execz .LBB405_1504
; %bb.1501:                             ;   in Loop: Header=BB405_1323 Depth=1
	v_bfe_u32 v11, v6, 24, 7
	v_cmp_ne_u32_e64 s[8:9], s35, v11
	v_mov_b32_e32 v10, 0x7f800001
	s_and_saveexec_b64 s[30:31], s[8:9]
	s_cbranch_execz .LBB405_1503
; %bb.1502:                             ;   in Loop: Header=BB405_1323 Depth=1
	v_and_b32_e32 v10, 7, v8
	v_ffbh_u32_e32 v22, v10
	v_min_u32_e32 v22, 32, v22
	v_subrev_u32_e32 v26, 28, v22
	v_lshlrev_b64 v[26:27], v26, v[8:9]
	v_lshrrev_b32_e32 v16, 3, v11
	v_sub_u32_e32 v22, 29, v22
	v_and_b32_e32 v26, 7, v26
	v_cmp_gt_u32_e64 s[8:9], 8, v11
	v_cndmask_b32_e64 v11, v16, v22, s[8:9]
	v_cndmask_b32_e64 v10, v10, v26, s[8:9]
	v_lshlrev_b32_e32 v8, 24, v8
	v_lshlrev_b32_e32 v10, 20, v10
	v_and_b32_e32 v8, 0x80000000, v8
	v_lshl_add_u32 v11, v11, 23, v40
	v_or3_b32 v10, v8, v11, v10
.LBB405_1503:                           ;   in Loop: Header=BB405_1323 Depth=1
	s_or_b64 exec, exec, s[30:31]
.LBB405_1504:                           ;   in Loop: Header=BB405_1323 Depth=1
	s_or_b64 exec, exec, s[28:29]
.LBB405_1505:                           ;   in Loop: Header=BB405_1323 Depth=1
	s_or_b64 exec, exec, s[18:19]
	v_mul_f32_e32 v8, v23, v10
	v_and_b32_e32 v10, 0x7f800000, v8
	v_cmp_ne_u32_e64 s[8:9], s15, v10
                                        ; implicit-def: $vgpr10
	s_and_saveexec_b64 s[18:19], s[8:9]
	s_xor_b64 s[8:9], exec, s[18:19]
; %bb.1506:                             ;   in Loop: Header=BB405_1323 Depth=1
	v_bfe_u32 v10, v8, 16, 1
	v_add3_u32 v10, v8, v10, s25
                                        ; implicit-def: $vgpr8
; %bb.1507:                             ;   in Loop: Header=BB405_1323 Depth=1
	s_andn2_saveexec_b64 s[18:19], s[8:9]
; %bb.1508:                             ;   in Loop: Header=BB405_1323 Depth=1
	v_or_b32_e32 v10, 0x10000, v8
	v_cmp_eq_u32_sdwa s[8:9], v8, v37 src0_sel:WORD_0 src1_sel:DWORD
	v_cndmask_b32_e64 v10, v10, v8, s[8:9]
; %bb.1509:                             ;   in Loop: Header=BB405_1323 Depth=1
	s_or_b64 exec, exec, s[18:19]
	v_mov_b32_e32 v36, v7
	v_cmp_ne_u16_sdwa s[8:9], v7, v37 src0_sel:BYTE_0 src1_sel:DWORD
	v_mov_b32_e32 v8, 0
	s_and_saveexec_b64 s[18:19], s[8:9]
	s_cbranch_execz .LBB405_1515
; %bb.1510:                             ;   in Loop: Header=BB405_1323 Depth=1
	v_cmp_ne_u16_sdwa s[8:9], v7, s34 src0_sel:BYTE_0 src1_sel:DWORD
	v_bfrev_b32_e32 v8, 1
	s_and_saveexec_b64 s[28:29], s[8:9]
	s_cbranch_execz .LBB405_1514
; %bb.1511:                             ;   in Loop: Header=BB405_1323 Depth=1
	v_and_b32_e32 v11, 0x7f, v7
	v_cmp_ne_u32_e64 s[8:9], s35, v11
	v_mov_b32_e32 v8, 0x7f800001
	s_and_saveexec_b64 s[30:31], s[8:9]
	s_cbranch_execz .LBB405_1513
; %bb.1512:                             ;   in Loop: Header=BB405_1323 Depth=1
	v_and_b32_e32 v8, 7, v7
	v_ffbh_u32_e32 v8, v8
	v_min_u32_e32 v8, 32, v8
	v_subrev_u32_e32 v22, 28, v8
	v_cmp_gt_u32_e64 s[8:9], 8, v11
	v_lshrrev_b32_e32 v16, 3, v11
	v_cndmask_b32_e64 v11, 0, v22, s[8:9]
	v_sub_u32_e32 v8, 29, v8
	v_lshlrev_b64 v[26:27], v11, v[36:37]
	v_cndmask_b32_e64 v8, v16, v8, s[8:9]
	v_lshlrev_b32_e32 v11, 20, v26
	v_lshlrev_b32_e32 v16, 24, v36
	v_and_b32_e32 v11, 0x700000, v11
	v_and_b32_e32 v16, 0x80000000, v16
	v_lshl_add_u32 v8, v8, 23, v40
	v_or3_b32 v8, v16, v8, v11
.LBB405_1513:                           ;   in Loop: Header=BB405_1323 Depth=1
	s_or_b64 exec, exec, s[30:31]
.LBB405_1514:                           ;   in Loop: Header=BB405_1323 Depth=1
	s_or_b64 exec, exec, s[28:29]
.LBB405_1515:                           ;   in Loop: Header=BB405_1323 Depth=1
	s_or_b64 exec, exec, s[18:19]
	v_mul_f32_e32 v8, v23, v8
	v_and_b32_e32 v11, 0x7f800000, v8
	v_cmp_ne_u32_e64 s[8:9], s15, v11
                                        ; implicit-def: $vgpr11
	s_and_saveexec_b64 s[18:19], s[8:9]
	s_xor_b64 s[8:9], exec, s[18:19]
; %bb.1516:                             ;   in Loop: Header=BB405_1323 Depth=1
	v_bfe_u32 v11, v8, 16, 1
	v_add3_u32 v11, v8, v11, s25
                                        ; implicit-def: $vgpr8
; %bb.1517:                             ;   in Loop: Header=BB405_1323 Depth=1
	s_andn2_saveexec_b64 s[18:19], s[8:9]
; %bb.1518:                             ;   in Loop: Header=BB405_1323 Depth=1
	v_or_b32_e32 v11, 0x10000, v8
	v_cmp_eq_u32_sdwa s[8:9], v8, v37 src0_sel:WORD_0 src1_sel:DWORD
	v_cndmask_b32_e64 v11, v11, v8, s[8:9]
; %bb.1519:                             ;   in Loop: Header=BB405_1323 Depth=1
	s_or_b64 exec, exec, s[18:19]
	v_lshrrev_b16_e32 v8, 8, v36
	v_cmp_ne_u16_e64 s[8:9], 0, v8
	v_mov_b32_e32 v16, 0
	s_and_saveexec_b64 s[18:19], s[8:9]
	s_cbranch_execz .LBB405_1525
; %bb.1520:                             ;   in Loop: Header=BB405_1323 Depth=1
	v_cmp_ne_u16_e64 s[8:9], s34, v8
	v_bfrev_b32_e32 v16, 1
	s_and_saveexec_b64 s[28:29], s[8:9]
	s_cbranch_execz .LBB405_1524
; %bb.1521:                             ;   in Loop: Header=BB405_1323 Depth=1
	v_and_b32_e32 v22, 0x7f, v8
	v_cmp_ne_u32_e64 s[8:9], s35, v22
	v_mov_b32_e32 v16, 0x7f800001
	s_and_saveexec_b64 s[30:31], s[8:9]
	s_cbranch_execz .LBB405_1523
; %bb.1522:                             ;   in Loop: Header=BB405_1323 Depth=1
	v_and_b32_e32 v16, 7, v8
	v_ffbh_u32_e32 v26, v16
	v_min_u32_e32 v39, 32, v26
	v_subrev_u32_e32 v26, 28, v39
	v_lshlrev_b64 v[26:27], v26, v[8:9]
	v_lshrrev_b32_e32 v38, 3, v22
	v_sub_u32_e32 v8, 29, v39
	v_and_b32_e32 v26, 7, v26
	v_cmp_gt_u32_e64 s[8:9], 8, v22
	v_cndmask_b32_e64 v8, v38, v8, s[8:9]
	v_cndmask_b32_e64 v16, v16, v26, s[8:9]
	v_lshlrev_b32_e32 v22, 16, v36
	v_lshlrev_b32_e32 v16, 20, v16
	v_and_b32_e32 v22, 0x80000000, v22
	v_lshl_add_u32 v8, v8, 23, v40
	v_or3_b32 v16, v22, v8, v16
.LBB405_1523:                           ;   in Loop: Header=BB405_1323 Depth=1
	s_or_b64 exec, exec, s[30:31]
.LBB405_1524:                           ;   in Loop: Header=BB405_1323 Depth=1
	s_or_b64 exec, exec, s[28:29]
.LBB405_1525:                           ;   in Loop: Header=BB405_1323 Depth=1
	s_or_b64 exec, exec, s[18:19]
	v_mul_f32_e32 v8, v23, v16
	v_and_b32_e32 v16, 0x7f800000, v8
	v_cmp_ne_u32_e64 s[8:9], s15, v16
                                        ; implicit-def: $vgpr16
	s_and_saveexec_b64 s[18:19], s[8:9]
	s_xor_b64 s[8:9], exec, s[18:19]
; %bb.1526:                             ;   in Loop: Header=BB405_1323 Depth=1
	v_bfe_u32 v16, v8, 16, 1
	v_add3_u32 v16, v8, v16, s25
                                        ; implicit-def: $vgpr8
; %bb.1527:                             ;   in Loop: Header=BB405_1323 Depth=1
	s_andn2_saveexec_b64 s[18:19], s[8:9]
; %bb.1528:                             ;   in Loop: Header=BB405_1323 Depth=1
	v_or_b32_e32 v16, 0x10000, v8
	v_cmp_eq_u32_sdwa s[8:9], v8, v37 src0_sel:WORD_0 src1_sel:DWORD
	v_cndmask_b32_e64 v16, v16, v8, s[8:9]
; %bb.1529:                             ;   in Loop: Header=BB405_1323 Depth=1
	s_or_b64 exec, exec, s[18:19]
	v_lshrrev_b32_e32 v8, 16, v7
	v_cmp_ne_u16_sdwa s[8:9], v8, v37 src0_sel:BYTE_0 src1_sel:DWORD
	v_mov_b32_e32 v22, 0
	s_and_saveexec_b64 s[18:19], s[8:9]
	s_cbranch_execz .LBB405_1535
; %bb.1530:                             ;   in Loop: Header=BB405_1323 Depth=1
	v_cmp_ne_u16_sdwa s[8:9], v8, s34 src0_sel:BYTE_0 src1_sel:DWORD
	v_bfrev_b32_e32 v22, 1
	s_and_saveexec_b64 s[28:29], s[8:9]
	s_cbranch_execz .LBB405_1534
; %bb.1531:                             ;   in Loop: Header=BB405_1323 Depth=1
	v_bfe_u32 v26, v7, 16, 7
	v_cmp_ne_u32_e64 s[8:9], s35, v26
	v_mov_b32_e32 v22, 0x7f800001
	s_and_saveexec_b64 s[30:31], s[8:9]
	s_cbranch_execz .LBB405_1533
; %bb.1532:                             ;   in Loop: Header=BB405_1323 Depth=1
	v_and_b32_e32 v22, 7, v8
	v_ffbh_u32_e32 v36, v22
	v_min_u32_e32 v36, 32, v36
	v_subrev_u32_e32 v38, 28, v36
	v_lshlrev_b64 v[38:39], v38, v[8:9]
	v_lshrrev_b32_e32 v27, 3, v26
	v_sub_u32_e32 v36, 29, v36
	v_and_b32_e32 v38, 7, v38
	v_cmp_gt_u32_e64 s[8:9], 8, v26
	v_cndmask_b32_e64 v26, v27, v36, s[8:9]
	v_cndmask_b32_e64 v22, v22, v38, s[8:9]
	v_lshlrev_b32_e32 v8, 24, v8
	v_lshlrev_b32_e32 v22, 20, v22
	v_and_b32_e32 v8, 0x80000000, v8
	v_lshl_add_u32 v26, v26, 23, v40
	v_or3_b32 v22, v8, v26, v22
.LBB405_1533:                           ;   in Loop: Header=BB405_1323 Depth=1
	s_or_b64 exec, exec, s[30:31]
.LBB405_1534:                           ;   in Loop: Header=BB405_1323 Depth=1
	s_or_b64 exec, exec, s[28:29]
.LBB405_1535:                           ;   in Loop: Header=BB405_1323 Depth=1
	s_or_b64 exec, exec, s[18:19]
	v_mul_f32_e32 v8, v23, v22
	v_and_b32_e32 v22, 0x7f800000, v8
	v_cmp_ne_u32_e64 s[8:9], s15, v22
                                        ; implicit-def: $vgpr22
	s_and_saveexec_b64 s[18:19], s[8:9]
	s_xor_b64 s[8:9], exec, s[18:19]
; %bb.1536:                             ;   in Loop: Header=BB405_1323 Depth=1
	v_bfe_u32 v22, v8, 16, 1
	v_add3_u32 v22, v8, v22, s25
                                        ; implicit-def: $vgpr8
; %bb.1537:                             ;   in Loop: Header=BB405_1323 Depth=1
	s_andn2_saveexec_b64 s[18:19], s[8:9]
; %bb.1538:                             ;   in Loop: Header=BB405_1323 Depth=1
	v_or_b32_e32 v22, 0x10000, v8
	v_cmp_eq_u32_sdwa s[8:9], v8, v37 src0_sel:WORD_0 src1_sel:DWORD
	v_cndmask_b32_e64 v22, v22, v8, s[8:9]
; %bb.1539:                             ;   in Loop: Header=BB405_1323 Depth=1
	s_or_b64 exec, exec, s[18:19]
	v_cmp_lt_u64_e64 s[8:9], s[12:13], v[6:7]
	v_mov_b32_e32 v8, 0
	s_and_saveexec_b64 s[18:19], s[8:9]
	s_cbranch_execz .LBB405_1545
; %bb.1540:                             ;   in Loop: Header=BB405_1323 Depth=1
	v_lshrrev_b32_e32 v6, 24, v7
	v_cmp_ne_u32_e64 s[8:9], s34, v6
	v_bfrev_b32_e32 v8, 1
	s_and_saveexec_b64 s[28:29], s[8:9]
	s_cbranch_execz .LBB405_1544
; %bb.1541:                             ;   in Loop: Header=BB405_1323 Depth=1
	v_bfe_u32 v7, v7, 24, 7
	v_cmp_ne_u32_e64 s[8:9], s35, v7
	v_mov_b32_e32 v8, 0x7f800001
	s_and_saveexec_b64 s[30:31], s[8:9]
	s_cbranch_execz .LBB405_1543
; %bb.1542:                             ;   in Loop: Header=BB405_1323 Depth=1
	v_and_b32_e32 v8, 7, v6
	v_ffbh_u32_e32 v26, v8
	v_min_u32_e32 v38, 32, v26
	v_subrev_u32_e32 v26, 28, v38
	v_lshlrev_b64 v[26:27], v26, v[6:7]
	v_lshrrev_b32_e32 v36, 3, v7
	v_sub_u32_e32 v27, 29, v38
	v_and_b32_e32 v26, 7, v26
	v_cmp_gt_u32_e64 s[8:9], 8, v7
	v_cndmask_b32_e64 v7, v36, v27, s[8:9]
	v_cndmask_b32_e64 v8, v8, v26, s[8:9]
	v_lshlrev_b32_e32 v6, 24, v6
	v_lshlrev_b32_e32 v8, 20, v8
	v_and_b32_e32 v6, 0x80000000, v6
	v_lshl_add_u32 v7, v7, 23, v40
	v_or3_b32 v8, v6, v7, v8
.LBB405_1543:                           ;   in Loop: Header=BB405_1323 Depth=1
	s_or_b64 exec, exec, s[30:31]
.LBB405_1544:                           ;   in Loop: Header=BB405_1323 Depth=1
	s_or_b64 exec, exec, s[28:29]
.LBB405_1545:                           ;   in Loop: Header=BB405_1323 Depth=1
	s_or_b64 exec, exec, s[18:19]
	v_mul_f32_e32 v6, v23, v8
	v_and_b32_e32 v7, 0x7f800000, v6
	v_cmp_ne_u32_e64 s[8:9], s15, v7
                                        ; implicit-def: $vgpr26
	s_and_saveexec_b64 s[18:19], s[8:9]
	s_xor_b64 s[8:9], exec, s[18:19]
; %bb.1546:                             ;   in Loop: Header=BB405_1323 Depth=1
	v_bfe_u32 v7, v6, 16, 1
	v_add3_u32 v26, v6, v7, s25
                                        ; implicit-def: $vgpr6
; %bb.1547:                             ;   in Loop: Header=BB405_1323 Depth=1
	s_andn2_saveexec_b64 s[18:19], s[8:9]
; %bb.1548:                             ;   in Loop: Header=BB405_1323 Depth=1
	v_or_b32_e32 v7, 0x10000, v6
	v_cmp_eq_u32_sdwa s[8:9], v6, v37 src0_sel:WORD_0 src1_sel:DWORD
	v_cndmask_b32_e64 v26, v7, v6, s[8:9]
; %bb.1549:                             ;   in Loop: Header=BB405_1323 Depth=1
	s_or_b64 exec, exec, s[18:19]
	v_lshrrev_b32_e32 v6, 16, v16
	v_lshrrev_b32_e32 v7, 16, v11
	;; [unrolled: 1-line block ×8, first 2 shown]
	s_and_saveexec_b64 s[18:19], vcc
	s_cbranch_execz .LBB405_1551
; %bb.1550:                             ;   in Loop: Header=BB405_1323 Depth=1
	v_accvgpr_read_b32 v16, a31
	v_cmp_lt_i32_e64 s[8:9], v16, v49
	v_accvgpr_read_b32 v16, a37
	v_cndmask_b32_e64 v11, 0, v11, s[8:9]
	v_cmp_lt_i32_e64 s[8:9], v16, v49
	v_accvgpr_read_b32 v16, a36
	v_cndmask_b32_e64 v10, 0, v10, s[8:9]
	;; [unrolled: 3-line block ×6, first 2 shown]
	v_cmp_lt_i32_e64 s[8:9], v16, v49
	v_cndmask_b32_e64 v5, 0, v5, s[8:9]
	v_cmp_lt_i32_e64 s[8:9], v17, v49
	v_cndmask_b32_e64 v4, 0, v4, s[8:9]
.LBB405_1551:                           ;   in Loop: Header=BB405_1323 Depth=1
	s_or_b64 exec, exec, s[18:19]
	v_lshlrev_b32_e32 v11, 16, v11
	v_accvgpr_read_b32 v16, a38
	v_mul_f32_e32 v11, v16, v11
	v_and_b32_e32 v16, 0x7f800000, v11
	v_cmp_ne_u32_e64 s[8:9], s15, v16
                                        ; implicit-def: $vgpr16
                                        ; kill: killed $vgpr16
	s_and_saveexec_b64 s[18:19], s[8:9]
	s_xor_b64 s[8:9], exec, s[18:19]
	s_cbranch_execz .LBB405_1553
; %bb.1552:                             ;   in Loop: Header=BB405_1323 Depth=1
	v_bfe_u32 v16, v11, 16, 1
	v_add3_u32 v11, v11, v16, s25
	buffer_store_dword v11, off, s[0:3], s32 offset:236 ; 4-byte Folded Spill
                                        ; implicit-def: $vgpr11
.LBB405_1553:                           ;   in Loop: Header=BB405_1323 Depth=1
	s_andn2_saveexec_b64 s[18:19], s[8:9]
	s_cbranch_execz .LBB405_1555
; %bb.1554:                             ;   in Loop: Header=BB405_1323 Depth=1
	v_or_b32_e32 v16, 0x10000, v11
	v_cmp_eq_u32_sdwa s[8:9], v11, v37 src0_sel:WORD_0 src1_sel:DWORD
	v_cndmask_b32_e64 v11, v16, v11, s[8:9]
	buffer_store_dword v11, off, s[0:3], s32 offset:236 ; 4-byte Folded Spill
.LBB405_1555:                           ;   in Loop: Header=BB405_1323 Depth=1
	s_or_b64 exec, exec, s[18:19]
	v_lshlrev_b32_e32 v10, 16, v10
	v_mul_f32_e32 v10, v53, v10
	v_and_b32_e32 v11, 0x7f800000, v10
	v_cmp_ne_u32_e64 s[8:9], s15, v11
                                        ; implicit-def: $vgpr11
                                        ; kill: killed $vgpr11
	s_and_saveexec_b64 s[18:19], s[8:9]
	s_xor_b64 s[8:9], exec, s[18:19]
	s_cbranch_execz .LBB405_1557
; %bb.1556:                             ;   in Loop: Header=BB405_1323 Depth=1
	v_bfe_u32 v11, v10, 16, 1
	v_add3_u32 v10, v10, v11, s25
	buffer_store_dword v10, off, s[0:3], s32 offset:240 ; 4-byte Folded Spill
                                        ; implicit-def: $vgpr10
.LBB405_1557:                           ;   in Loop: Header=BB405_1323 Depth=1
	s_andn2_saveexec_b64 s[18:19], s[8:9]
	s_cbranch_execz .LBB405_1559
; %bb.1558:                             ;   in Loop: Header=BB405_1323 Depth=1
	v_or_b32_e32 v11, 0x10000, v10
	v_cmp_eq_u32_sdwa s[8:9], v10, v37 src0_sel:WORD_0 src1_sel:DWORD
	v_cndmask_b32_e64 v10, v11, v10, s[8:9]
	buffer_store_dword v10, off, s[0:3], s32 offset:240 ; 4-byte Folded Spill
.LBB405_1559:                           ;   in Loop: Header=BB405_1323 Depth=1
	s_or_b64 exec, exec, s[18:19]
	v_lshlrev_b32_e32 v9, 16, v9
	v_mul_f32_e32 v9, v45, v9
	v_and_b32_e32 v10, 0x7f800000, v9
	v_cmp_ne_u32_e64 s[8:9], s15, v10
                                        ; implicit-def: $vgpr10
                                        ; kill: killed $vgpr10
	s_and_saveexec_b64 s[18:19], s[8:9]
	s_xor_b64 s[8:9], exec, s[18:19]
	s_cbranch_execz .LBB405_1561
; %bb.1560:                             ;   in Loop: Header=BB405_1323 Depth=1
	v_bfe_u32 v10, v9, 16, 1
	v_add3_u32 v9, v9, v10, s25
	buffer_store_dword v9, off, s[0:3], s32 offset:244 ; 4-byte Folded Spill
                                        ; implicit-def: $vgpr9
.LBB405_1561:                           ;   in Loop: Header=BB405_1323 Depth=1
	s_andn2_saveexec_b64 s[18:19], s[8:9]
	s_cbranch_execz .LBB405_1563
; %bb.1562:                             ;   in Loop: Header=BB405_1323 Depth=1
	v_or_b32_e32 v10, 0x10000, v9
	v_cmp_eq_u32_sdwa s[8:9], v9, v37 src0_sel:WORD_0 src1_sel:DWORD
	v_cndmask_b32_e64 v9, v10, v9, s[8:9]
	buffer_store_dword v9, off, s[0:3], s32 offset:244 ; 4-byte Folded Spill
.LBB405_1563:                           ;   in Loop: Header=BB405_1323 Depth=1
	s_or_b64 exec, exec, s[18:19]
	v_lshlrev_b32_e32 v8, 16, v8
	v_mul_f32_e32 v8, v46, v8
	v_and_b32_e32 v9, 0x7f800000, v8
	v_cmp_ne_u32_e64 s[8:9], s15, v9
                                        ; implicit-def: $vgpr9
                                        ; kill: killed $vgpr9
	s_and_saveexec_b64 s[18:19], s[8:9]
	s_xor_b64 s[8:9], exec, s[18:19]
	s_cbranch_execz .LBB405_1565
; %bb.1564:                             ;   in Loop: Header=BB405_1323 Depth=1
	v_bfe_u32 v9, v8, 16, 1
	v_add3_u32 v8, v8, v9, s25
	buffer_store_dword v8, off, s[0:3], s32 offset:248 ; 4-byte Folded Spill
                                        ; implicit-def: $vgpr8
.LBB405_1565:                           ;   in Loop: Header=BB405_1323 Depth=1
	s_andn2_saveexec_b64 s[18:19], s[8:9]
	s_cbranch_execz .LBB405_1567
; %bb.1566:                             ;   in Loop: Header=BB405_1323 Depth=1
	v_or_b32_e32 v9, 0x10000, v8
	v_cmp_eq_u32_sdwa s[8:9], v8, v37 src0_sel:WORD_0 src1_sel:DWORD
	v_cndmask_b32_e64 v8, v9, v8, s[8:9]
	buffer_store_dword v8, off, s[0:3], s32 offset:248 ; 4-byte Folded Spill
.LBB405_1567:                           ;   in Loop: Header=BB405_1323 Depth=1
	s_or_b64 exec, exec, s[18:19]
	v_lshlrev_b32_e32 v7, 16, v7
	v_mul_f32_e32 v7, v48, v7
	v_and_b32_e32 v8, 0x7f800000, v7
	v_cmp_ne_u32_e64 s[8:9], s15, v8
                                        ; implicit-def: $vgpr8
                                        ; kill: killed $vgpr8
	s_and_saveexec_b64 s[18:19], s[8:9]
	s_xor_b64 s[8:9], exec, s[18:19]
	s_cbranch_execz .LBB405_1569
; %bb.1568:                             ;   in Loop: Header=BB405_1323 Depth=1
	v_bfe_u32 v8, v7, 16, 1
	v_add3_u32 v7, v7, v8, s25
	buffer_store_dword v7, off, s[0:3], s32 offset:252 ; 4-byte Folded Spill
                                        ; implicit-def: $vgpr7
.LBB405_1569:                           ;   in Loop: Header=BB405_1323 Depth=1
	s_andn2_saveexec_b64 s[18:19], s[8:9]
	s_cbranch_execz .LBB405_1571
; %bb.1570:                             ;   in Loop: Header=BB405_1323 Depth=1
	v_or_b32_e32 v8, 0x10000, v7
	v_cmp_eq_u32_sdwa s[8:9], v7, v37 src0_sel:WORD_0 src1_sel:DWORD
	v_cndmask_b32_e64 v7, v8, v7, s[8:9]
	buffer_store_dword v7, off, s[0:3], s32 offset:252 ; 4-byte Folded Spill
.LBB405_1571:                           ;   in Loop: Header=BB405_1323 Depth=1
	s_or_b64 exec, exec, s[18:19]
	v_lshlrev_b32_e32 v6, 16, v6
	v_mul_f32_e32 v6, v62, v6
	v_and_b32_e32 v7, 0x7f800000, v6
	v_cmp_ne_u32_e64 s[8:9], s15, v7
                                        ; implicit-def: $vgpr7
                                        ; kill: killed $vgpr7
	s_and_saveexec_b64 s[18:19], s[8:9]
	s_xor_b64 s[8:9], exec, s[18:19]
	s_cbranch_execz .LBB405_1573
; %bb.1572:                             ;   in Loop: Header=BB405_1323 Depth=1
	v_bfe_u32 v7, v6, 16, 1
	v_add3_u32 v6, v6, v7, s25
	buffer_store_dword v6, off, s[0:3], s32 offset:256 ; 4-byte Folded Spill
                                        ; implicit-def: $vgpr6
.LBB405_1573:                           ;   in Loop: Header=BB405_1323 Depth=1
	s_andn2_saveexec_b64 s[18:19], s[8:9]
	s_cbranch_execz .LBB405_1575
; %bb.1574:                             ;   in Loop: Header=BB405_1323 Depth=1
	v_or_b32_e32 v7, 0x10000, v6
	v_cmp_eq_u32_sdwa s[8:9], v6, v37 src0_sel:WORD_0 src1_sel:DWORD
	v_cndmask_b32_e64 v6, v7, v6, s[8:9]
	buffer_store_dword v6, off, s[0:3], s32 offset:256 ; 4-byte Folded Spill
.LBB405_1575:                           ;   in Loop: Header=BB405_1323 Depth=1
	s_or_b64 exec, exec, s[18:19]
	v_lshlrev_b32_e32 v5, 16, v5
	v_mul_f32_e32 v5, v55, v5
	v_and_b32_e32 v6, 0x7f800000, v5
	v_cmp_ne_u32_e64 s[8:9], s15, v6
                                        ; implicit-def: $vgpr6
                                        ; kill: killed $vgpr6
	s_and_saveexec_b64 s[18:19], s[8:9]
	s_xor_b64 s[8:9], exec, s[18:19]
	s_cbranch_execz .LBB405_1577
; %bb.1576:                             ;   in Loop: Header=BB405_1323 Depth=1
	v_bfe_u32 v6, v5, 16, 1
	v_add3_u32 v5, v5, v6, s25
	buffer_store_dword v5, off, s[0:3], s32 offset:260 ; 4-byte Folded Spill
                                        ; implicit-def: $vgpr5
.LBB405_1577:                           ;   in Loop: Header=BB405_1323 Depth=1
	s_andn2_saveexec_b64 s[18:19], s[8:9]
	s_cbranch_execz .LBB405_1579
; %bb.1578:                             ;   in Loop: Header=BB405_1323 Depth=1
	v_or_b32_e32 v6, 0x10000, v5
	v_cmp_eq_u32_sdwa s[8:9], v5, v37 src0_sel:WORD_0 src1_sel:DWORD
	v_cndmask_b32_e64 v5, v6, v5, s[8:9]
	buffer_store_dword v5, off, s[0:3], s32 offset:260 ; 4-byte Folded Spill
.LBB405_1579:                           ;   in Loop: Header=BB405_1323 Depth=1
	s_or_b64 exec, exec, s[18:19]
	v_lshlrev_b32_e32 v4, 16, v4
	v_mul_f32_e32 v4, v52, v4
	v_and_b32_e32 v5, 0x7f800000, v4
	v_cmp_ne_u32_e64 s[8:9], s15, v5
                                        ; implicit-def: $vgpr5
                                        ; kill: killed $vgpr5
	s_and_saveexec_b64 s[18:19], s[8:9]
	s_xor_b64 s[8:9], exec, s[18:19]
	s_cbranch_execz .LBB405_1581
; %bb.1580:                             ;   in Loop: Header=BB405_1323 Depth=1
	v_bfe_u32 v5, v4, 16, 1
	v_add3_u32 v4, v4, v5, s25
	buffer_store_dword v4, off, s[0:3], s32 offset:264 ; 4-byte Folded Spill
                                        ; implicit-def: $vgpr4
.LBB405_1581:                           ;   in Loop: Header=BB405_1323 Depth=1
	s_andn2_saveexec_b64 s[18:19], s[8:9]
	s_cbranch_execz .LBB405_1583
; %bb.1582:                             ;   in Loop: Header=BB405_1323 Depth=1
	v_or_b32_e32 v5, 0x10000, v4
	v_cmp_eq_u32_sdwa s[8:9], v4, v37 src0_sel:WORD_0 src1_sel:DWORD
	v_cndmask_b32_e64 v4, v5, v4, s[8:9]
	buffer_store_dword v4, off, s[0:3], s32 offset:264 ; 4-byte Folded Spill
.LBB405_1583:                           ;   in Loop: Header=BB405_1323 Depth=1
	s_or_b64 exec, exec, s[18:19]
	flat_load_dwordx2 v[6:7], v[2:3] offset:1024
	v_mov_b32_e32 v4, 0
	s_waitcnt vmcnt(0) lgkmcnt(0)
	v_cmp_ne_u16_sdwa s[8:9], v6, v37 src0_sel:BYTE_0 src1_sel:DWORD
	s_and_saveexec_b64 s[18:19], s[8:9]
	s_cbranch_execz .LBB405_1589
; %bb.1584:                             ;   in Loop: Header=BB405_1323 Depth=1
	v_cmp_ne_u16_sdwa s[8:9], v6, s34 src0_sel:BYTE_0 src1_sel:DWORD
	v_bfrev_b32_e32 v4, 1
	s_and_saveexec_b64 s[28:29], s[8:9]
	s_cbranch_execz .LBB405_1588
; %bb.1585:                             ;   in Loop: Header=BB405_1323 Depth=1
	v_and_b32_e32 v5, 0x7f, v6
	v_cmp_ne_u32_e64 s[8:9], s35, v5
	v_mov_b32_e32 v4, 0x7f800001
	s_and_saveexec_b64 s[30:31], s[8:9]
	s_cbranch_execz .LBB405_1587
; %bb.1586:                             ;   in Loop: Header=BB405_1323 Depth=1
	v_and_b32_e32 v4, 7, v6
	v_ffbh_u32_e32 v4, v4
	v_min_u32_e32 v4, 32, v4
	v_lshrrev_b32_e32 v8, 3, v5
	v_subrev_u32_e32 v9, 28, v4
	v_sub_u32_e32 v4, 29, v4
	v_cmp_gt_u32_e64 s[8:9], 8, v5
	v_cndmask_b32_e64 v8, v8, v4, s[8:9]
	v_cndmask_b32_e64 v4, 0, v9, s[8:9]
	v_lshlrev_b64 v[4:5], v4, v[6:7]
	v_lshlrev_b32_e32 v4, 20, v4
	v_lshlrev_b32_e32 v5, 24, v6
	v_and_b32_e32 v4, 0x700000, v4
	v_and_b32_e32 v5, 0x80000000, v5
	v_lshl_add_u32 v8, v8, 23, v40
	v_or3_b32 v4, v5, v8, v4
.LBB405_1587:                           ;   in Loop: Header=BB405_1323 Depth=1
	s_or_b64 exec, exec, s[30:31]
.LBB405_1588:                           ;   in Loop: Header=BB405_1323 Depth=1
	s_or_b64 exec, exec, s[28:29]
.LBB405_1589:                           ;   in Loop: Header=BB405_1323 Depth=1
	s_or_b64 exec, exec, s[18:19]
	v_mul_f32_e32 v5, v23, v4
	v_and_b32_e32 v4, 0x7f800000, v5
	v_cmp_ne_u32_e64 s[8:9], s15, v4
                                        ; implicit-def: $vgpr4
	s_and_saveexec_b64 s[18:19], s[8:9]
	s_xor_b64 s[8:9], exec, s[18:19]
; %bb.1590:                             ;   in Loop: Header=BB405_1323 Depth=1
	v_bfe_u32 v4, v5, 16, 1
	v_add3_u32 v4, v5, v4, s25
                                        ; implicit-def: $vgpr5
; %bb.1591:                             ;   in Loop: Header=BB405_1323 Depth=1
	s_andn2_saveexec_b64 s[18:19], s[8:9]
; %bb.1592:                             ;   in Loop: Header=BB405_1323 Depth=1
	v_or_b32_e32 v4, 0x10000, v5
	v_cmp_eq_u32_sdwa s[8:9], v5, v37 src0_sel:WORD_0 src1_sel:DWORD
	v_cndmask_b32_e64 v4, v4, v5, s[8:9]
; %bb.1593:                             ;   in Loop: Header=BB405_1323 Depth=1
	s_or_b64 exec, exec, s[18:19]
	v_lshrrev_b16_e32 v8, 8, v6
	v_cmp_ne_u16_e64 s[8:9], 0, v8
	v_mov_b32_e32 v5, 0
	s_and_saveexec_b64 s[18:19], s[8:9]
	s_cbranch_execz .LBB405_1599
; %bb.1594:                             ;   in Loop: Header=BB405_1323 Depth=1
	v_cmp_ne_u16_e64 s[8:9], s34, v8
	v_bfrev_b32_e32 v5, 1
	s_and_saveexec_b64 s[28:29], s[8:9]
	s_cbranch_execz .LBB405_1598
; %bb.1595:                             ;   in Loop: Header=BB405_1323 Depth=1
	v_and_b32_e32 v9, 0x7f, v8
	v_cmp_ne_u32_e64 s[8:9], s35, v9
	v_mov_b32_e32 v5, 0x7f800001
	s_and_saveexec_b64 s[30:31], s[8:9]
	s_cbranch_execz .LBB405_1597
; %bb.1596:                             ;   in Loop: Header=BB405_1323 Depth=1
	v_and_b32_e32 v5, 7, v8
	v_ffbh_u32_e32 v10, v5
	v_min_u32_e32 v22, 32, v10
	v_subrev_u32_e32 v10, 28, v22
	v_lshlrev_b64 v[10:11], v10, v[8:9]
	v_lshrrev_b32_e32 v16, 3, v9
	v_sub_u32_e32 v8, 29, v22
	v_and_b32_e32 v10, 7, v10
	v_cmp_gt_u32_e64 s[8:9], 8, v9
	v_cndmask_b32_e64 v8, v16, v8, s[8:9]
	v_cndmask_b32_e64 v5, v5, v10, s[8:9]
	v_lshlrev_b32_e32 v9, 16, v6
	v_lshlrev_b32_e32 v5, 20, v5
	v_and_b32_e32 v9, 0x80000000, v9
	v_lshl_add_u32 v8, v8, 23, v40
	v_or3_b32 v5, v9, v8, v5
.LBB405_1597:                           ;   in Loop: Header=BB405_1323 Depth=1
	s_or_b64 exec, exec, s[30:31]
.LBB405_1598:                           ;   in Loop: Header=BB405_1323 Depth=1
	s_or_b64 exec, exec, s[28:29]
.LBB405_1599:                           ;   in Loop: Header=BB405_1323 Depth=1
	s_or_b64 exec, exec, s[18:19]
	v_mul_f32_e32 v8, v23, v5
	v_and_b32_e32 v5, 0x7f800000, v8
	v_cmp_ne_u32_e64 s[8:9], s15, v5
                                        ; implicit-def: $vgpr5
	s_and_saveexec_b64 s[18:19], s[8:9]
	s_xor_b64 s[8:9], exec, s[18:19]
; %bb.1600:                             ;   in Loop: Header=BB405_1323 Depth=1
	v_bfe_u32 v5, v8, 16, 1
	v_add3_u32 v5, v8, v5, s25
                                        ; implicit-def: $vgpr8
; %bb.1601:                             ;   in Loop: Header=BB405_1323 Depth=1
	s_andn2_saveexec_b64 s[18:19], s[8:9]
; %bb.1602:                             ;   in Loop: Header=BB405_1323 Depth=1
	v_or_b32_e32 v5, 0x10000, v8
	v_cmp_eq_u32_sdwa s[8:9], v8, v37 src0_sel:WORD_0 src1_sel:DWORD
	v_cndmask_b32_e64 v5, v5, v8, s[8:9]
; %bb.1603:                             ;   in Loop: Header=BB405_1323 Depth=1
	s_or_b64 exec, exec, s[18:19]
	v_lshrrev_b32_e32 v8, 16, v6
	v_cmp_ne_u16_sdwa s[8:9], v8, v37 src0_sel:BYTE_0 src1_sel:DWORD
	v_mov_b32_e32 v9, 0
	s_and_saveexec_b64 s[18:19], s[8:9]
	s_cbranch_execz .LBB405_1609
; %bb.1604:                             ;   in Loop: Header=BB405_1323 Depth=1
	v_cmp_ne_u16_sdwa s[8:9], v8, s34 src0_sel:BYTE_0 src1_sel:DWORD
	v_bfrev_b32_e32 v9, 1
	s_and_saveexec_b64 s[28:29], s[8:9]
	s_cbranch_execz .LBB405_1608
; %bb.1605:                             ;   in Loop: Header=BB405_1323 Depth=1
	v_bfe_u32 v10, v6, 16, 7
	v_cmp_ne_u32_e64 s[8:9], s35, v10
	v_mov_b32_e32 v9, 0x7f800001
	s_and_saveexec_b64 s[30:31], s[8:9]
	s_cbranch_execz .LBB405_1607
; %bb.1606:                             ;   in Loop: Header=BB405_1323 Depth=1
	v_and_b32_e32 v9, 7, v8
	v_ffbh_u32_e32 v16, v9
	v_min_u32_e32 v16, 32, v16
	v_subrev_u32_e32 v22, 28, v16
	v_lshlrev_b64 v[26:27], v22, v[8:9]
	v_lshrrev_b32_e32 v11, 3, v10
	v_sub_u32_e32 v16, 29, v16
	v_and_b32_e32 v22, 7, v26
	v_cmp_gt_u32_e64 s[8:9], 8, v10
	v_cndmask_b32_e64 v10, v11, v16, s[8:9]
	v_cndmask_b32_e64 v9, v9, v22, s[8:9]
	v_lshlrev_b32_e32 v8, 24, v8
	v_lshlrev_b32_e32 v9, 20, v9
	v_and_b32_e32 v8, 0x80000000, v8
	v_lshl_add_u32 v10, v10, 23, v40
	v_or3_b32 v9, v8, v10, v9
.LBB405_1607:                           ;   in Loop: Header=BB405_1323 Depth=1
	s_or_b64 exec, exec, s[30:31]
.LBB405_1608:                           ;   in Loop: Header=BB405_1323 Depth=1
	s_or_b64 exec, exec, s[28:29]
.LBB405_1609:                           ;   in Loop: Header=BB405_1323 Depth=1
	s_or_b64 exec, exec, s[18:19]
	v_mul_f32_e32 v8, v23, v9
	v_and_b32_e32 v9, 0x7f800000, v8
	v_cmp_ne_u32_e64 s[8:9], s15, v9
                                        ; implicit-def: $vgpr9
	s_and_saveexec_b64 s[18:19], s[8:9]
	s_xor_b64 s[8:9], exec, s[18:19]
; %bb.1610:                             ;   in Loop: Header=BB405_1323 Depth=1
	v_bfe_u32 v9, v8, 16, 1
	v_add3_u32 v9, v8, v9, s25
                                        ; implicit-def: $vgpr8
; %bb.1611:                             ;   in Loop: Header=BB405_1323 Depth=1
	s_andn2_saveexec_b64 s[18:19], s[8:9]
; %bb.1612:                             ;   in Loop: Header=BB405_1323 Depth=1
	v_or_b32_e32 v9, 0x10000, v8
	v_cmp_eq_u32_sdwa s[8:9], v8, v37 src0_sel:WORD_0 src1_sel:DWORD
	v_cndmask_b32_e64 v9, v9, v8, s[8:9]
; %bb.1613:                             ;   in Loop: Header=BB405_1323 Depth=1
	s_or_b64 exec, exec, s[18:19]
	v_cmp_lt_u32_e64 s[8:9], s13, v6
	v_mov_b32_e32 v10, 0
	s_and_saveexec_b64 s[18:19], s[8:9]
	s_cbranch_execz .LBB405_1619
; %bb.1614:                             ;   in Loop: Header=BB405_1323 Depth=1
	v_lshrrev_b32_e32 v8, 24, v6
	v_cmp_ne_u32_e64 s[8:9], s34, v8
	v_bfrev_b32_e32 v10, 1
	s_and_saveexec_b64 s[28:29], s[8:9]
	s_cbranch_execz .LBB405_1618
; %bb.1615:                             ;   in Loop: Header=BB405_1323 Depth=1
	v_bfe_u32 v11, v6, 24, 7
	v_cmp_ne_u32_e64 s[8:9], s35, v11
	v_mov_b32_e32 v10, 0x7f800001
	s_and_saveexec_b64 s[30:31], s[8:9]
	s_cbranch_execz .LBB405_1617
; %bb.1616:                             ;   in Loop: Header=BB405_1323 Depth=1
	v_and_b32_e32 v10, 7, v8
	v_ffbh_u32_e32 v22, v10
	v_min_u32_e32 v22, 32, v22
	v_subrev_u32_e32 v26, 28, v22
	v_lshlrev_b64 v[26:27], v26, v[8:9]
	v_lshrrev_b32_e32 v16, 3, v11
	v_sub_u32_e32 v22, 29, v22
	v_and_b32_e32 v26, 7, v26
	v_cmp_gt_u32_e64 s[8:9], 8, v11
	v_cndmask_b32_e64 v11, v16, v22, s[8:9]
	v_cndmask_b32_e64 v10, v10, v26, s[8:9]
	v_lshlrev_b32_e32 v8, 24, v8
	v_lshlrev_b32_e32 v10, 20, v10
	v_and_b32_e32 v8, 0x80000000, v8
	v_lshl_add_u32 v11, v11, 23, v40
	v_or3_b32 v10, v8, v11, v10
.LBB405_1617:                           ;   in Loop: Header=BB405_1323 Depth=1
	s_or_b64 exec, exec, s[30:31]
.LBB405_1618:                           ;   in Loop: Header=BB405_1323 Depth=1
	s_or_b64 exec, exec, s[28:29]
.LBB405_1619:                           ;   in Loop: Header=BB405_1323 Depth=1
	s_or_b64 exec, exec, s[18:19]
	v_mul_f32_e32 v8, v23, v10
	v_and_b32_e32 v10, 0x7f800000, v8
	v_cmp_ne_u32_e64 s[8:9], s15, v10
                                        ; implicit-def: $vgpr10
	s_and_saveexec_b64 s[18:19], s[8:9]
	s_xor_b64 s[8:9], exec, s[18:19]
; %bb.1620:                             ;   in Loop: Header=BB405_1323 Depth=1
	v_bfe_u32 v10, v8, 16, 1
	v_add3_u32 v10, v8, v10, s25
                                        ; implicit-def: $vgpr8
; %bb.1621:                             ;   in Loop: Header=BB405_1323 Depth=1
	s_andn2_saveexec_b64 s[18:19], s[8:9]
; %bb.1622:                             ;   in Loop: Header=BB405_1323 Depth=1
	v_or_b32_e32 v10, 0x10000, v8
	v_cmp_eq_u32_sdwa s[8:9], v8, v37 src0_sel:WORD_0 src1_sel:DWORD
	v_cndmask_b32_e64 v10, v10, v8, s[8:9]
; %bb.1623:                             ;   in Loop: Header=BB405_1323 Depth=1
	s_or_b64 exec, exec, s[18:19]
	v_mov_b32_e32 v36, v7
	v_cmp_ne_u16_sdwa s[8:9], v7, v37 src0_sel:BYTE_0 src1_sel:DWORD
	v_mov_b32_e32 v8, 0
	s_and_saveexec_b64 s[18:19], s[8:9]
	s_cbranch_execz .LBB405_1629
; %bb.1624:                             ;   in Loop: Header=BB405_1323 Depth=1
	v_cmp_ne_u16_sdwa s[8:9], v7, s34 src0_sel:BYTE_0 src1_sel:DWORD
	v_bfrev_b32_e32 v8, 1
	s_and_saveexec_b64 s[28:29], s[8:9]
	s_cbranch_execz .LBB405_1628
; %bb.1625:                             ;   in Loop: Header=BB405_1323 Depth=1
	v_and_b32_e32 v11, 0x7f, v7
	v_cmp_ne_u32_e64 s[8:9], s35, v11
	v_mov_b32_e32 v8, 0x7f800001
	s_and_saveexec_b64 s[30:31], s[8:9]
	s_cbranch_execz .LBB405_1627
; %bb.1626:                             ;   in Loop: Header=BB405_1323 Depth=1
	v_and_b32_e32 v8, 7, v7
	v_ffbh_u32_e32 v8, v8
	v_min_u32_e32 v8, 32, v8
	v_subrev_u32_e32 v22, 28, v8
	v_cmp_gt_u32_e64 s[8:9], 8, v11
	v_lshrrev_b32_e32 v16, 3, v11
	v_cndmask_b32_e64 v11, 0, v22, s[8:9]
	v_sub_u32_e32 v8, 29, v8
	v_lshlrev_b64 v[26:27], v11, v[36:37]
	v_cndmask_b32_e64 v8, v16, v8, s[8:9]
	v_lshlrev_b32_e32 v11, 20, v26
	v_lshlrev_b32_e32 v16, 24, v36
	v_and_b32_e32 v11, 0x700000, v11
	v_and_b32_e32 v16, 0x80000000, v16
	v_lshl_add_u32 v8, v8, 23, v40
	v_or3_b32 v8, v16, v8, v11
.LBB405_1627:                           ;   in Loop: Header=BB405_1323 Depth=1
	s_or_b64 exec, exec, s[30:31]
.LBB405_1628:                           ;   in Loop: Header=BB405_1323 Depth=1
	s_or_b64 exec, exec, s[28:29]
.LBB405_1629:                           ;   in Loop: Header=BB405_1323 Depth=1
	s_or_b64 exec, exec, s[18:19]
	v_mul_f32_e32 v8, v23, v8
	v_and_b32_e32 v11, 0x7f800000, v8
	v_cmp_ne_u32_e64 s[8:9], s15, v11
                                        ; implicit-def: $vgpr11
	s_and_saveexec_b64 s[18:19], s[8:9]
	s_xor_b64 s[8:9], exec, s[18:19]
; %bb.1630:                             ;   in Loop: Header=BB405_1323 Depth=1
	v_bfe_u32 v11, v8, 16, 1
	v_add3_u32 v11, v8, v11, s25
                                        ; implicit-def: $vgpr8
; %bb.1631:                             ;   in Loop: Header=BB405_1323 Depth=1
	s_andn2_saveexec_b64 s[18:19], s[8:9]
; %bb.1632:                             ;   in Loop: Header=BB405_1323 Depth=1
	v_or_b32_e32 v11, 0x10000, v8
	v_cmp_eq_u32_sdwa s[8:9], v8, v37 src0_sel:WORD_0 src1_sel:DWORD
	v_cndmask_b32_e64 v11, v11, v8, s[8:9]
; %bb.1633:                             ;   in Loop: Header=BB405_1323 Depth=1
	s_or_b64 exec, exec, s[18:19]
	v_lshrrev_b16_e32 v8, 8, v36
	v_cmp_ne_u16_e64 s[8:9], 0, v8
	v_mov_b32_e32 v16, 0
	s_and_saveexec_b64 s[18:19], s[8:9]
	s_cbranch_execz .LBB405_1639
; %bb.1634:                             ;   in Loop: Header=BB405_1323 Depth=1
	v_cmp_ne_u16_e64 s[8:9], s34, v8
	v_bfrev_b32_e32 v16, 1
	s_and_saveexec_b64 s[28:29], s[8:9]
	s_cbranch_execz .LBB405_1638
; %bb.1635:                             ;   in Loop: Header=BB405_1323 Depth=1
	v_and_b32_e32 v22, 0x7f, v8
	v_cmp_ne_u32_e64 s[8:9], s35, v22
	v_mov_b32_e32 v16, 0x7f800001
	s_and_saveexec_b64 s[30:31], s[8:9]
	s_cbranch_execz .LBB405_1637
; %bb.1636:                             ;   in Loop: Header=BB405_1323 Depth=1
	v_and_b32_e32 v16, 7, v8
	v_ffbh_u32_e32 v26, v16
	v_min_u32_e32 v39, 32, v26
	v_subrev_u32_e32 v26, 28, v39
	v_lshlrev_b64 v[26:27], v26, v[8:9]
	v_lshrrev_b32_e32 v38, 3, v22
	v_sub_u32_e32 v8, 29, v39
	v_and_b32_e32 v26, 7, v26
	v_cmp_gt_u32_e64 s[8:9], 8, v22
	v_cndmask_b32_e64 v8, v38, v8, s[8:9]
	v_cndmask_b32_e64 v16, v16, v26, s[8:9]
	v_lshlrev_b32_e32 v22, 16, v36
	v_lshlrev_b32_e32 v16, 20, v16
	v_and_b32_e32 v22, 0x80000000, v22
	v_lshl_add_u32 v8, v8, 23, v40
	v_or3_b32 v16, v22, v8, v16
.LBB405_1637:                           ;   in Loop: Header=BB405_1323 Depth=1
	s_or_b64 exec, exec, s[30:31]
.LBB405_1638:                           ;   in Loop: Header=BB405_1323 Depth=1
	s_or_b64 exec, exec, s[28:29]
.LBB405_1639:                           ;   in Loop: Header=BB405_1323 Depth=1
	s_or_b64 exec, exec, s[18:19]
	v_mul_f32_e32 v8, v23, v16
	v_and_b32_e32 v16, 0x7f800000, v8
	v_cmp_ne_u32_e64 s[8:9], s15, v16
                                        ; implicit-def: $vgpr16
	s_and_saveexec_b64 s[18:19], s[8:9]
	s_xor_b64 s[8:9], exec, s[18:19]
; %bb.1640:                             ;   in Loop: Header=BB405_1323 Depth=1
	v_bfe_u32 v16, v8, 16, 1
	v_add3_u32 v16, v8, v16, s25
                                        ; implicit-def: $vgpr8
; %bb.1641:                             ;   in Loop: Header=BB405_1323 Depth=1
	s_andn2_saveexec_b64 s[18:19], s[8:9]
; %bb.1642:                             ;   in Loop: Header=BB405_1323 Depth=1
	v_or_b32_e32 v16, 0x10000, v8
	v_cmp_eq_u32_sdwa s[8:9], v8, v37 src0_sel:WORD_0 src1_sel:DWORD
	v_cndmask_b32_e64 v16, v16, v8, s[8:9]
; %bb.1643:                             ;   in Loop: Header=BB405_1323 Depth=1
	s_or_b64 exec, exec, s[18:19]
	v_lshrrev_b32_e32 v8, 16, v7
	v_cmp_ne_u16_sdwa s[8:9], v8, v37 src0_sel:BYTE_0 src1_sel:DWORD
	v_mov_b32_e32 v22, 0
	s_and_saveexec_b64 s[18:19], s[8:9]
	s_cbranch_execz .LBB405_1649
; %bb.1644:                             ;   in Loop: Header=BB405_1323 Depth=1
	v_cmp_ne_u16_sdwa s[8:9], v8, s34 src0_sel:BYTE_0 src1_sel:DWORD
	v_bfrev_b32_e32 v22, 1
	s_and_saveexec_b64 s[28:29], s[8:9]
	s_cbranch_execz .LBB405_1648
; %bb.1645:                             ;   in Loop: Header=BB405_1323 Depth=1
	v_bfe_u32 v26, v7, 16, 7
	v_cmp_ne_u32_e64 s[8:9], s35, v26
	v_mov_b32_e32 v22, 0x7f800001
	s_and_saveexec_b64 s[30:31], s[8:9]
	s_cbranch_execz .LBB405_1647
; %bb.1646:                             ;   in Loop: Header=BB405_1323 Depth=1
	v_and_b32_e32 v22, 7, v8
	v_ffbh_u32_e32 v36, v22
	v_min_u32_e32 v36, 32, v36
	v_subrev_u32_e32 v38, 28, v36
	v_lshlrev_b64 v[38:39], v38, v[8:9]
	v_lshrrev_b32_e32 v27, 3, v26
	v_sub_u32_e32 v36, 29, v36
	v_and_b32_e32 v38, 7, v38
	v_cmp_gt_u32_e64 s[8:9], 8, v26
	v_cndmask_b32_e64 v26, v27, v36, s[8:9]
	v_cndmask_b32_e64 v22, v22, v38, s[8:9]
	v_lshlrev_b32_e32 v8, 24, v8
	v_lshlrev_b32_e32 v22, 20, v22
	v_and_b32_e32 v8, 0x80000000, v8
	v_lshl_add_u32 v26, v26, 23, v40
	v_or3_b32 v22, v8, v26, v22
.LBB405_1647:                           ;   in Loop: Header=BB405_1323 Depth=1
	s_or_b64 exec, exec, s[30:31]
.LBB405_1648:                           ;   in Loop: Header=BB405_1323 Depth=1
	s_or_b64 exec, exec, s[28:29]
.LBB405_1649:                           ;   in Loop: Header=BB405_1323 Depth=1
	s_or_b64 exec, exec, s[18:19]
	v_mul_f32_e32 v8, v23, v22
	v_and_b32_e32 v22, 0x7f800000, v8
	v_cmp_ne_u32_e64 s[8:9], s15, v22
                                        ; implicit-def: $vgpr22
	s_and_saveexec_b64 s[18:19], s[8:9]
	s_xor_b64 s[8:9], exec, s[18:19]
; %bb.1650:                             ;   in Loop: Header=BB405_1323 Depth=1
	v_bfe_u32 v22, v8, 16, 1
	v_add3_u32 v22, v8, v22, s25
                                        ; implicit-def: $vgpr8
; %bb.1651:                             ;   in Loop: Header=BB405_1323 Depth=1
	s_andn2_saveexec_b64 s[18:19], s[8:9]
; %bb.1652:                             ;   in Loop: Header=BB405_1323 Depth=1
	v_or_b32_e32 v22, 0x10000, v8
	v_cmp_eq_u32_sdwa s[8:9], v8, v37 src0_sel:WORD_0 src1_sel:DWORD
	v_cndmask_b32_e64 v22, v22, v8, s[8:9]
; %bb.1653:                             ;   in Loop: Header=BB405_1323 Depth=1
	s_or_b64 exec, exec, s[18:19]
	v_cmp_lt_u64_e64 s[8:9], s[12:13], v[6:7]
	v_mov_b32_e32 v8, 0
	s_and_saveexec_b64 s[18:19], s[8:9]
	s_cbranch_execz .LBB405_1659
; %bb.1654:                             ;   in Loop: Header=BB405_1323 Depth=1
	v_lshrrev_b32_e32 v6, 24, v7
	v_cmp_ne_u32_e64 s[8:9], s34, v6
	v_bfrev_b32_e32 v8, 1
	s_and_saveexec_b64 s[28:29], s[8:9]
	s_cbranch_execz .LBB405_1658
; %bb.1655:                             ;   in Loop: Header=BB405_1323 Depth=1
	v_bfe_u32 v7, v7, 24, 7
	v_cmp_ne_u32_e64 s[8:9], s35, v7
	v_mov_b32_e32 v8, 0x7f800001
	s_and_saveexec_b64 s[30:31], s[8:9]
	s_cbranch_execz .LBB405_1657
; %bb.1656:                             ;   in Loop: Header=BB405_1323 Depth=1
	v_and_b32_e32 v8, 7, v6
	v_ffbh_u32_e32 v26, v8
	v_min_u32_e32 v38, 32, v26
	v_subrev_u32_e32 v26, 28, v38
	v_lshlrev_b64 v[26:27], v26, v[6:7]
	v_lshrrev_b32_e32 v36, 3, v7
	v_sub_u32_e32 v27, 29, v38
	v_and_b32_e32 v26, 7, v26
	v_cmp_gt_u32_e64 s[8:9], 8, v7
	v_cndmask_b32_e64 v7, v36, v27, s[8:9]
	v_cndmask_b32_e64 v8, v8, v26, s[8:9]
	v_lshlrev_b32_e32 v6, 24, v6
	v_lshlrev_b32_e32 v8, 20, v8
	v_and_b32_e32 v6, 0x80000000, v6
	v_lshl_add_u32 v7, v7, 23, v40
	v_or3_b32 v8, v6, v7, v8
.LBB405_1657:                           ;   in Loop: Header=BB405_1323 Depth=1
	s_or_b64 exec, exec, s[30:31]
.LBB405_1658:                           ;   in Loop: Header=BB405_1323 Depth=1
	s_or_b64 exec, exec, s[28:29]
.LBB405_1659:                           ;   in Loop: Header=BB405_1323 Depth=1
	s_or_b64 exec, exec, s[18:19]
	v_mul_f32_e32 v6, v23, v8
	v_and_b32_e32 v7, 0x7f800000, v6
	v_cmp_ne_u32_e64 s[8:9], s15, v7
                                        ; implicit-def: $vgpr26
	s_and_saveexec_b64 s[18:19], s[8:9]
	s_xor_b64 s[8:9], exec, s[18:19]
; %bb.1660:                             ;   in Loop: Header=BB405_1323 Depth=1
	v_bfe_u32 v7, v6, 16, 1
	v_add3_u32 v26, v6, v7, s25
                                        ; implicit-def: $vgpr6
; %bb.1661:                             ;   in Loop: Header=BB405_1323 Depth=1
	s_andn2_saveexec_b64 s[18:19], s[8:9]
; %bb.1662:                             ;   in Loop: Header=BB405_1323 Depth=1
	v_or_b32_e32 v7, 0x10000, v6
	v_cmp_eq_u32_sdwa s[8:9], v6, v37 src0_sel:WORD_0 src1_sel:DWORD
	v_cndmask_b32_e64 v26, v7, v6, s[8:9]
; %bb.1663:                             ;   in Loop: Header=BB405_1323 Depth=1
	s_or_b64 exec, exec, s[18:19]
	v_lshrrev_b32_e32 v6, 16, v16
	v_lshrrev_b32_e32 v7, 16, v11
	v_lshrrev_b32_e32 v8, 16, v10
	v_lshrrev_b32_e32 v9, 16, v9
	v_lshrrev_b32_e32 v10, 16, v5
	v_lshrrev_b32_e32 v11, 16, v4
	v_lshrrev_b32_e32 v5, 16, v22
	v_lshrrev_b32_e32 v4, 16, v26
	s_and_saveexec_b64 s[18:19], vcc
	s_cbranch_execz .LBB405_1665
; %bb.1664:                             ;   in Loop: Header=BB405_1323 Depth=1
	v_accvgpr_read_b32 v16, a31
	v_cmp_lt_i32_e64 s[8:9], v16, v49
	v_accvgpr_read_b32 v16, a37
	v_cndmask_b32_e64 v11, 0, v11, s[8:9]
	v_cmp_lt_i32_e64 s[8:9], v16, v49
	v_accvgpr_read_b32 v16, a36
	v_cndmask_b32_e64 v10, 0, v10, s[8:9]
	;; [unrolled: 3-line block ×6, first 2 shown]
	v_cmp_lt_i32_e64 s[8:9], v16, v49
	v_cndmask_b32_e64 v5, 0, v5, s[8:9]
	v_cmp_lt_i32_e64 s[8:9], v17, v49
	v_cndmask_b32_e64 v4, 0, v4, s[8:9]
.LBB405_1665:                           ;   in Loop: Header=BB405_1323 Depth=1
	s_or_b64 exec, exec, s[18:19]
	v_lshlrev_b32_e32 v11, 16, v11
	v_accvgpr_read_b32 v16, a38
	v_mul_f32_e32 v11, v16, v11
	v_and_b32_e32 v16, 0x7f800000, v11
	v_cmp_ne_u32_e64 s[8:9], s15, v16
                                        ; implicit-def: $vgpr16
                                        ; kill: killed $vgpr16
	s_and_saveexec_b64 s[18:19], s[8:9]
	s_xor_b64 s[8:9], exec, s[18:19]
	s_cbranch_execz .LBB405_1667
; %bb.1666:                             ;   in Loop: Header=BB405_1323 Depth=1
	v_bfe_u32 v16, v11, 16, 1
	v_add3_u32 v11, v11, v16, s25
	buffer_store_dword v11, off, s[0:3], s32 offset:268 ; 4-byte Folded Spill
                                        ; implicit-def: $vgpr11
.LBB405_1667:                           ;   in Loop: Header=BB405_1323 Depth=1
	s_andn2_saveexec_b64 s[18:19], s[8:9]
	s_cbranch_execz .LBB405_1669
; %bb.1668:                             ;   in Loop: Header=BB405_1323 Depth=1
	v_or_b32_e32 v16, 0x10000, v11
	v_cmp_eq_u32_sdwa s[8:9], v11, v37 src0_sel:WORD_0 src1_sel:DWORD
	v_cndmask_b32_e64 v11, v16, v11, s[8:9]
	buffer_store_dword v11, off, s[0:3], s32 offset:268 ; 4-byte Folded Spill
.LBB405_1669:                           ;   in Loop: Header=BB405_1323 Depth=1
	s_or_b64 exec, exec, s[18:19]
	v_lshlrev_b32_e32 v10, 16, v10
	v_mul_f32_e32 v10, v53, v10
	v_and_b32_e32 v11, 0x7f800000, v10
	v_cmp_ne_u32_e64 s[8:9], s15, v11
                                        ; implicit-def: $vgpr11
                                        ; kill: killed $vgpr11
	s_and_saveexec_b64 s[18:19], s[8:9]
	s_xor_b64 s[8:9], exec, s[18:19]
	s_cbranch_execz .LBB405_1671
; %bb.1670:                             ;   in Loop: Header=BB405_1323 Depth=1
	v_bfe_u32 v11, v10, 16, 1
	v_add3_u32 v10, v10, v11, s25
	buffer_store_dword v10, off, s[0:3], s32 offset:272 ; 4-byte Folded Spill
                                        ; implicit-def: $vgpr10
.LBB405_1671:                           ;   in Loop: Header=BB405_1323 Depth=1
	s_andn2_saveexec_b64 s[18:19], s[8:9]
	s_cbranch_execz .LBB405_1673
; %bb.1672:                             ;   in Loop: Header=BB405_1323 Depth=1
	v_or_b32_e32 v11, 0x10000, v10
	v_cmp_eq_u32_sdwa s[8:9], v10, v37 src0_sel:WORD_0 src1_sel:DWORD
	v_cndmask_b32_e64 v10, v11, v10, s[8:9]
	buffer_store_dword v10, off, s[0:3], s32 offset:272 ; 4-byte Folded Spill
.LBB405_1673:                           ;   in Loop: Header=BB405_1323 Depth=1
	s_or_b64 exec, exec, s[18:19]
	v_lshlrev_b32_e32 v9, 16, v9
	v_mul_f32_e32 v9, v45, v9
	v_and_b32_e32 v10, 0x7f800000, v9
	v_cmp_ne_u32_e64 s[8:9], s15, v10
                                        ; implicit-def: $vgpr10
                                        ; kill: killed $vgpr10
	s_and_saveexec_b64 s[18:19], s[8:9]
	s_xor_b64 s[8:9], exec, s[18:19]
	s_cbranch_execz .LBB405_1675
; %bb.1674:                             ;   in Loop: Header=BB405_1323 Depth=1
	v_bfe_u32 v10, v9, 16, 1
	v_add3_u32 v9, v9, v10, s25
	buffer_store_dword v9, off, s[0:3], s32 offset:280 ; 4-byte Folded Spill
                                        ; implicit-def: $vgpr9
.LBB405_1675:                           ;   in Loop: Header=BB405_1323 Depth=1
	s_andn2_saveexec_b64 s[18:19], s[8:9]
	s_cbranch_execz .LBB405_1677
; %bb.1676:                             ;   in Loop: Header=BB405_1323 Depth=1
	v_or_b32_e32 v10, 0x10000, v9
	v_cmp_eq_u32_sdwa s[8:9], v9, v37 src0_sel:WORD_0 src1_sel:DWORD
	v_cndmask_b32_e64 v9, v10, v9, s[8:9]
	buffer_store_dword v9, off, s[0:3], s32 offset:280 ; 4-byte Folded Spill
.LBB405_1677:                           ;   in Loop: Header=BB405_1323 Depth=1
	s_or_b64 exec, exec, s[18:19]
	v_lshlrev_b32_e32 v8, 16, v8
	v_mul_f32_e32 v8, v46, v8
	v_and_b32_e32 v9, 0x7f800000, v8
	v_cmp_ne_u32_e64 s[8:9], s15, v9
                                        ; implicit-def: $vgpr9
                                        ; kill: killed $vgpr9
	s_and_saveexec_b64 s[18:19], s[8:9]
	s_xor_b64 s[8:9], exec, s[18:19]
	s_cbranch_execz .LBB405_1679
; %bb.1678:                             ;   in Loop: Header=BB405_1323 Depth=1
	v_bfe_u32 v9, v8, 16, 1
	v_add3_u32 v8, v8, v9, s25
	buffer_store_dword v8, off, s[0:3], s32 offset:284 ; 4-byte Folded Spill
                                        ; implicit-def: $vgpr8
.LBB405_1679:                           ;   in Loop: Header=BB405_1323 Depth=1
	s_andn2_saveexec_b64 s[18:19], s[8:9]
	s_cbranch_execz .LBB405_1681
; %bb.1680:                             ;   in Loop: Header=BB405_1323 Depth=1
	v_or_b32_e32 v9, 0x10000, v8
	v_cmp_eq_u32_sdwa s[8:9], v8, v37 src0_sel:WORD_0 src1_sel:DWORD
	v_cndmask_b32_e64 v8, v9, v8, s[8:9]
	buffer_store_dword v8, off, s[0:3], s32 offset:284 ; 4-byte Folded Spill
.LBB405_1681:                           ;   in Loop: Header=BB405_1323 Depth=1
	s_or_b64 exec, exec, s[18:19]
	v_lshlrev_b32_e32 v7, 16, v7
	v_mul_f32_e32 v7, v48, v7
	v_and_b32_e32 v8, 0x7f800000, v7
	v_cmp_ne_u32_e64 s[8:9], s15, v8
                                        ; implicit-def: $vgpr8
                                        ; kill: killed $vgpr8
	s_and_saveexec_b64 s[18:19], s[8:9]
	s_xor_b64 s[8:9], exec, s[18:19]
	s_cbranch_execz .LBB405_1683
; %bb.1682:                             ;   in Loop: Header=BB405_1323 Depth=1
	v_bfe_u32 v8, v7, 16, 1
	v_add3_u32 v7, v7, v8, s25
	buffer_store_dword v7, off, s[0:3], s32 offset:288 ; 4-byte Folded Spill
                                        ; implicit-def: $vgpr7
.LBB405_1683:                           ;   in Loop: Header=BB405_1323 Depth=1
	s_andn2_saveexec_b64 s[18:19], s[8:9]
	s_cbranch_execz .LBB405_1685
; %bb.1684:                             ;   in Loop: Header=BB405_1323 Depth=1
	v_or_b32_e32 v8, 0x10000, v7
	v_cmp_eq_u32_sdwa s[8:9], v7, v37 src0_sel:WORD_0 src1_sel:DWORD
	v_cndmask_b32_e64 v7, v8, v7, s[8:9]
	buffer_store_dword v7, off, s[0:3], s32 offset:288 ; 4-byte Folded Spill
.LBB405_1685:                           ;   in Loop: Header=BB405_1323 Depth=1
	s_or_b64 exec, exec, s[18:19]
	v_lshlrev_b32_e32 v6, 16, v6
	v_mul_f32_e32 v6, v62, v6
	v_and_b32_e32 v7, 0x7f800000, v6
	v_cmp_ne_u32_e64 s[8:9], s15, v7
                                        ; implicit-def: $vgpr7
                                        ; kill: killed $vgpr7
	s_and_saveexec_b64 s[18:19], s[8:9]
	s_xor_b64 s[8:9], exec, s[18:19]
	s_cbranch_execz .LBB405_1687
; %bb.1686:                             ;   in Loop: Header=BB405_1323 Depth=1
	v_bfe_u32 v7, v6, 16, 1
	v_add3_u32 v6, v6, v7, s25
	buffer_store_dword v6, off, s[0:3], s32 offset:292 ; 4-byte Folded Spill
                                        ; implicit-def: $vgpr6
.LBB405_1687:                           ;   in Loop: Header=BB405_1323 Depth=1
	s_andn2_saveexec_b64 s[18:19], s[8:9]
	s_cbranch_execz .LBB405_1689
; %bb.1688:                             ;   in Loop: Header=BB405_1323 Depth=1
	v_or_b32_e32 v7, 0x10000, v6
	v_cmp_eq_u32_sdwa s[8:9], v6, v37 src0_sel:WORD_0 src1_sel:DWORD
	v_cndmask_b32_e64 v6, v7, v6, s[8:9]
	buffer_store_dword v6, off, s[0:3], s32 offset:292 ; 4-byte Folded Spill
.LBB405_1689:                           ;   in Loop: Header=BB405_1323 Depth=1
	s_or_b64 exec, exec, s[18:19]
	v_lshlrev_b32_e32 v5, 16, v5
	v_mul_f32_e32 v5, v55, v5
	v_and_b32_e32 v6, 0x7f800000, v5
	v_cmp_ne_u32_e64 s[8:9], s15, v6
                                        ; implicit-def: $vgpr6
                                        ; kill: killed $vgpr6
	s_and_saveexec_b64 s[18:19], s[8:9]
	s_xor_b64 s[8:9], exec, s[18:19]
	s_cbranch_execz .LBB405_1691
; %bb.1690:                             ;   in Loop: Header=BB405_1323 Depth=1
	v_bfe_u32 v6, v5, 16, 1
	v_add3_u32 v5, v5, v6, s25
	buffer_store_dword v5, off, s[0:3], s32 offset:296 ; 4-byte Folded Spill
                                        ; implicit-def: $vgpr5
.LBB405_1691:                           ;   in Loop: Header=BB405_1323 Depth=1
	s_andn2_saveexec_b64 s[18:19], s[8:9]
	s_cbranch_execz .LBB405_1693
; %bb.1692:                             ;   in Loop: Header=BB405_1323 Depth=1
	v_or_b32_e32 v6, 0x10000, v5
	v_cmp_eq_u32_sdwa s[8:9], v5, v37 src0_sel:WORD_0 src1_sel:DWORD
	v_cndmask_b32_e64 v5, v6, v5, s[8:9]
	buffer_store_dword v5, off, s[0:3], s32 offset:296 ; 4-byte Folded Spill
.LBB405_1693:                           ;   in Loop: Header=BB405_1323 Depth=1
	s_or_b64 exec, exec, s[18:19]
	v_lshlrev_b32_e32 v4, 16, v4
	v_mul_f32_e32 v4, v52, v4
	v_and_b32_e32 v5, 0x7f800000, v4
	v_cmp_ne_u32_e64 s[8:9], s15, v5
                                        ; implicit-def: $vgpr5
                                        ; kill: killed $vgpr5
	s_and_saveexec_b64 s[18:19], s[8:9]
	s_xor_b64 s[8:9], exec, s[18:19]
	s_cbranch_execz .LBB405_1695
; %bb.1694:                             ;   in Loop: Header=BB405_1323 Depth=1
	v_bfe_u32 v5, v4, 16, 1
	v_add3_u32 v4, v4, v5, s25
	buffer_store_dword v4, off, s[0:3], s32 offset:300 ; 4-byte Folded Spill
                                        ; implicit-def: $vgpr4
.LBB405_1695:                           ;   in Loop: Header=BB405_1323 Depth=1
	s_andn2_saveexec_b64 s[18:19], s[8:9]
	s_cbranch_execz .LBB405_1697
; %bb.1696:                             ;   in Loop: Header=BB405_1323 Depth=1
	v_or_b32_e32 v5, 0x10000, v4
	v_cmp_eq_u32_sdwa s[8:9], v4, v37 src0_sel:WORD_0 src1_sel:DWORD
	v_cndmask_b32_e64 v4, v5, v4, s[8:9]
	buffer_store_dword v4, off, s[0:3], s32 offset:300 ; 4-byte Folded Spill
.LBB405_1697:                           ;   in Loop: Header=BB405_1323 Depth=1
	s_or_b64 exec, exec, s[18:19]
	flat_load_dwordx2 v[6:7], v[2:3] offset:1536
	v_mov_b32_e32 v4, 0
	s_waitcnt vmcnt(0) lgkmcnt(0)
	v_cmp_ne_u16_sdwa s[8:9], v6, v37 src0_sel:BYTE_0 src1_sel:DWORD
	s_and_saveexec_b64 s[18:19], s[8:9]
	s_cbranch_execz .LBB405_1703
; %bb.1698:                             ;   in Loop: Header=BB405_1323 Depth=1
	v_cmp_ne_u16_sdwa s[8:9], v6, s34 src0_sel:BYTE_0 src1_sel:DWORD
	v_bfrev_b32_e32 v4, 1
	s_and_saveexec_b64 s[28:29], s[8:9]
	s_cbranch_execz .LBB405_1702
; %bb.1699:                             ;   in Loop: Header=BB405_1323 Depth=1
	v_and_b32_e32 v5, 0x7f, v6
	v_cmp_ne_u32_e64 s[8:9], s35, v5
	v_mov_b32_e32 v4, 0x7f800001
	s_and_saveexec_b64 s[30:31], s[8:9]
	s_cbranch_execz .LBB405_1701
; %bb.1700:                             ;   in Loop: Header=BB405_1323 Depth=1
	v_and_b32_e32 v4, 7, v6
	v_ffbh_u32_e32 v4, v4
	v_min_u32_e32 v4, 32, v4
	v_lshrrev_b32_e32 v8, 3, v5
	v_subrev_u32_e32 v9, 28, v4
	v_sub_u32_e32 v4, 29, v4
	v_cmp_gt_u32_e64 s[8:9], 8, v5
	v_cndmask_b32_e64 v8, v8, v4, s[8:9]
	v_cndmask_b32_e64 v4, 0, v9, s[8:9]
	v_lshlrev_b64 v[4:5], v4, v[6:7]
	v_lshlrev_b32_e32 v4, 20, v4
	v_lshlrev_b32_e32 v5, 24, v6
	v_and_b32_e32 v4, 0x700000, v4
	v_and_b32_e32 v5, 0x80000000, v5
	v_lshl_add_u32 v8, v8, 23, v40
	v_or3_b32 v4, v5, v8, v4
.LBB405_1701:                           ;   in Loop: Header=BB405_1323 Depth=1
	s_or_b64 exec, exec, s[30:31]
.LBB405_1702:                           ;   in Loop: Header=BB405_1323 Depth=1
	s_or_b64 exec, exec, s[28:29]
.LBB405_1703:                           ;   in Loop: Header=BB405_1323 Depth=1
	s_or_b64 exec, exec, s[18:19]
	v_mul_f32_e32 v5, v23, v4
	v_and_b32_e32 v4, 0x7f800000, v5
	v_cmp_ne_u32_e64 s[8:9], s15, v4
                                        ; implicit-def: $vgpr4
	s_and_saveexec_b64 s[18:19], s[8:9]
	s_xor_b64 s[8:9], exec, s[18:19]
; %bb.1704:                             ;   in Loop: Header=BB405_1323 Depth=1
	v_bfe_u32 v4, v5, 16, 1
	v_add3_u32 v4, v5, v4, s25
                                        ; implicit-def: $vgpr5
; %bb.1705:                             ;   in Loop: Header=BB405_1323 Depth=1
	s_andn2_saveexec_b64 s[18:19], s[8:9]
; %bb.1706:                             ;   in Loop: Header=BB405_1323 Depth=1
	v_or_b32_e32 v4, 0x10000, v5
	v_cmp_eq_u32_sdwa s[8:9], v5, v37 src0_sel:WORD_0 src1_sel:DWORD
	v_cndmask_b32_e64 v4, v4, v5, s[8:9]
; %bb.1707:                             ;   in Loop: Header=BB405_1323 Depth=1
	s_or_b64 exec, exec, s[18:19]
	v_lshrrev_b16_e32 v8, 8, v6
	v_cmp_ne_u16_e64 s[8:9], 0, v8
	v_mov_b32_e32 v5, 0
	s_and_saveexec_b64 s[18:19], s[8:9]
	s_cbranch_execz .LBB405_1713
; %bb.1708:                             ;   in Loop: Header=BB405_1323 Depth=1
	v_cmp_ne_u16_e64 s[8:9], s34, v8
	v_bfrev_b32_e32 v5, 1
	s_and_saveexec_b64 s[28:29], s[8:9]
	s_cbranch_execz .LBB405_1712
; %bb.1709:                             ;   in Loop: Header=BB405_1323 Depth=1
	v_and_b32_e32 v9, 0x7f, v8
	v_cmp_ne_u32_e64 s[8:9], s35, v9
	v_mov_b32_e32 v5, 0x7f800001
	s_and_saveexec_b64 s[30:31], s[8:9]
	s_cbranch_execz .LBB405_1711
; %bb.1710:                             ;   in Loop: Header=BB405_1323 Depth=1
	v_and_b32_e32 v5, 7, v8
	v_ffbh_u32_e32 v10, v5
	v_min_u32_e32 v22, 32, v10
	v_subrev_u32_e32 v10, 28, v22
	v_lshlrev_b64 v[10:11], v10, v[8:9]
	v_lshrrev_b32_e32 v16, 3, v9
	v_sub_u32_e32 v8, 29, v22
	v_and_b32_e32 v10, 7, v10
	v_cmp_gt_u32_e64 s[8:9], 8, v9
	v_cndmask_b32_e64 v8, v16, v8, s[8:9]
	v_cndmask_b32_e64 v5, v5, v10, s[8:9]
	v_lshlrev_b32_e32 v9, 16, v6
	v_lshlrev_b32_e32 v5, 20, v5
	v_and_b32_e32 v9, 0x80000000, v9
	v_lshl_add_u32 v8, v8, 23, v40
	v_or3_b32 v5, v9, v8, v5
.LBB405_1711:                           ;   in Loop: Header=BB405_1323 Depth=1
	s_or_b64 exec, exec, s[30:31]
.LBB405_1712:                           ;   in Loop: Header=BB405_1323 Depth=1
	s_or_b64 exec, exec, s[28:29]
.LBB405_1713:                           ;   in Loop: Header=BB405_1323 Depth=1
	s_or_b64 exec, exec, s[18:19]
	v_mul_f32_e32 v8, v23, v5
	v_and_b32_e32 v5, 0x7f800000, v8
	v_cmp_ne_u32_e64 s[8:9], s15, v5
                                        ; implicit-def: $vgpr5
	s_and_saveexec_b64 s[18:19], s[8:9]
	s_xor_b64 s[8:9], exec, s[18:19]
; %bb.1714:                             ;   in Loop: Header=BB405_1323 Depth=1
	v_bfe_u32 v5, v8, 16, 1
	v_add3_u32 v5, v8, v5, s25
                                        ; implicit-def: $vgpr8
; %bb.1715:                             ;   in Loop: Header=BB405_1323 Depth=1
	s_andn2_saveexec_b64 s[18:19], s[8:9]
; %bb.1716:                             ;   in Loop: Header=BB405_1323 Depth=1
	v_or_b32_e32 v5, 0x10000, v8
	v_cmp_eq_u32_sdwa s[8:9], v8, v37 src0_sel:WORD_0 src1_sel:DWORD
	v_cndmask_b32_e64 v5, v5, v8, s[8:9]
; %bb.1717:                             ;   in Loop: Header=BB405_1323 Depth=1
	s_or_b64 exec, exec, s[18:19]
	v_lshrrev_b32_e32 v8, 16, v6
	v_cmp_ne_u16_sdwa s[8:9], v8, v37 src0_sel:BYTE_0 src1_sel:DWORD
	v_mov_b32_e32 v9, 0
	s_and_saveexec_b64 s[18:19], s[8:9]
	s_cbranch_execz .LBB405_1723
; %bb.1718:                             ;   in Loop: Header=BB405_1323 Depth=1
	v_cmp_ne_u16_sdwa s[8:9], v8, s34 src0_sel:BYTE_0 src1_sel:DWORD
	v_bfrev_b32_e32 v9, 1
	s_and_saveexec_b64 s[28:29], s[8:9]
	s_cbranch_execz .LBB405_1722
; %bb.1719:                             ;   in Loop: Header=BB405_1323 Depth=1
	v_bfe_u32 v10, v6, 16, 7
	v_cmp_ne_u32_e64 s[8:9], s35, v10
	v_mov_b32_e32 v9, 0x7f800001
	s_and_saveexec_b64 s[30:31], s[8:9]
	s_cbranch_execz .LBB405_1721
; %bb.1720:                             ;   in Loop: Header=BB405_1323 Depth=1
	v_and_b32_e32 v9, 7, v8
	v_ffbh_u32_e32 v16, v9
	v_min_u32_e32 v16, 32, v16
	v_subrev_u32_e32 v22, 28, v16
	v_lshlrev_b64 v[26:27], v22, v[8:9]
	v_lshrrev_b32_e32 v11, 3, v10
	v_sub_u32_e32 v16, 29, v16
	v_and_b32_e32 v22, 7, v26
	v_cmp_gt_u32_e64 s[8:9], 8, v10
	v_cndmask_b32_e64 v10, v11, v16, s[8:9]
	v_cndmask_b32_e64 v9, v9, v22, s[8:9]
	v_lshlrev_b32_e32 v8, 24, v8
	v_lshlrev_b32_e32 v9, 20, v9
	v_and_b32_e32 v8, 0x80000000, v8
	v_lshl_add_u32 v10, v10, 23, v40
	v_or3_b32 v9, v8, v10, v9
.LBB405_1721:                           ;   in Loop: Header=BB405_1323 Depth=1
	s_or_b64 exec, exec, s[30:31]
.LBB405_1722:                           ;   in Loop: Header=BB405_1323 Depth=1
	s_or_b64 exec, exec, s[28:29]
.LBB405_1723:                           ;   in Loop: Header=BB405_1323 Depth=1
	s_or_b64 exec, exec, s[18:19]
	v_mul_f32_e32 v8, v23, v9
	v_and_b32_e32 v9, 0x7f800000, v8
	v_cmp_ne_u32_e64 s[8:9], s15, v9
                                        ; implicit-def: $vgpr9
	s_and_saveexec_b64 s[18:19], s[8:9]
	s_xor_b64 s[8:9], exec, s[18:19]
; %bb.1724:                             ;   in Loop: Header=BB405_1323 Depth=1
	v_bfe_u32 v9, v8, 16, 1
	v_add3_u32 v9, v8, v9, s25
                                        ; implicit-def: $vgpr8
; %bb.1725:                             ;   in Loop: Header=BB405_1323 Depth=1
	s_andn2_saveexec_b64 s[18:19], s[8:9]
; %bb.1726:                             ;   in Loop: Header=BB405_1323 Depth=1
	v_or_b32_e32 v9, 0x10000, v8
	v_cmp_eq_u32_sdwa s[8:9], v8, v37 src0_sel:WORD_0 src1_sel:DWORD
	v_cndmask_b32_e64 v9, v9, v8, s[8:9]
; %bb.1727:                             ;   in Loop: Header=BB405_1323 Depth=1
	s_or_b64 exec, exec, s[18:19]
	v_cmp_lt_u32_e64 s[8:9], s13, v6
	v_mov_b32_e32 v10, 0
	s_and_saveexec_b64 s[18:19], s[8:9]
	s_cbranch_execz .LBB405_1733
; %bb.1728:                             ;   in Loop: Header=BB405_1323 Depth=1
	v_lshrrev_b32_e32 v8, 24, v6
	v_cmp_ne_u32_e64 s[8:9], s34, v8
	v_bfrev_b32_e32 v10, 1
	s_and_saveexec_b64 s[28:29], s[8:9]
	s_cbranch_execz .LBB405_1732
; %bb.1729:                             ;   in Loop: Header=BB405_1323 Depth=1
	v_bfe_u32 v11, v6, 24, 7
	v_cmp_ne_u32_e64 s[8:9], s35, v11
	v_mov_b32_e32 v10, 0x7f800001
	s_and_saveexec_b64 s[30:31], s[8:9]
	s_cbranch_execz .LBB405_1731
; %bb.1730:                             ;   in Loop: Header=BB405_1323 Depth=1
	v_and_b32_e32 v10, 7, v8
	v_ffbh_u32_e32 v22, v10
	v_min_u32_e32 v22, 32, v22
	v_subrev_u32_e32 v26, 28, v22
	v_lshlrev_b64 v[26:27], v26, v[8:9]
	v_lshrrev_b32_e32 v16, 3, v11
	v_sub_u32_e32 v22, 29, v22
	v_and_b32_e32 v26, 7, v26
	v_cmp_gt_u32_e64 s[8:9], 8, v11
	v_cndmask_b32_e64 v11, v16, v22, s[8:9]
	v_cndmask_b32_e64 v10, v10, v26, s[8:9]
	v_lshlrev_b32_e32 v8, 24, v8
	v_lshlrev_b32_e32 v10, 20, v10
	v_and_b32_e32 v8, 0x80000000, v8
	v_lshl_add_u32 v11, v11, 23, v40
	v_or3_b32 v10, v8, v11, v10
.LBB405_1731:                           ;   in Loop: Header=BB405_1323 Depth=1
	s_or_b64 exec, exec, s[30:31]
.LBB405_1732:                           ;   in Loop: Header=BB405_1323 Depth=1
	s_or_b64 exec, exec, s[28:29]
.LBB405_1733:                           ;   in Loop: Header=BB405_1323 Depth=1
	s_or_b64 exec, exec, s[18:19]
	v_mul_f32_e32 v8, v23, v10
	v_and_b32_e32 v10, 0x7f800000, v8
	v_cmp_ne_u32_e64 s[8:9], s15, v10
                                        ; implicit-def: $vgpr10
	s_and_saveexec_b64 s[18:19], s[8:9]
	s_xor_b64 s[8:9], exec, s[18:19]
; %bb.1734:                             ;   in Loop: Header=BB405_1323 Depth=1
	v_bfe_u32 v10, v8, 16, 1
	v_add3_u32 v10, v8, v10, s25
                                        ; implicit-def: $vgpr8
; %bb.1735:                             ;   in Loop: Header=BB405_1323 Depth=1
	s_andn2_saveexec_b64 s[18:19], s[8:9]
; %bb.1736:                             ;   in Loop: Header=BB405_1323 Depth=1
	v_or_b32_e32 v10, 0x10000, v8
	v_cmp_eq_u32_sdwa s[8:9], v8, v37 src0_sel:WORD_0 src1_sel:DWORD
	v_cndmask_b32_e64 v10, v10, v8, s[8:9]
; %bb.1737:                             ;   in Loop: Header=BB405_1323 Depth=1
	s_or_b64 exec, exec, s[18:19]
	v_mov_b32_e32 v36, v7
	v_cmp_ne_u16_sdwa s[8:9], v7, v37 src0_sel:BYTE_0 src1_sel:DWORD
	v_mov_b32_e32 v8, 0
	s_and_saveexec_b64 s[18:19], s[8:9]
	s_cbranch_execz .LBB405_1743
; %bb.1738:                             ;   in Loop: Header=BB405_1323 Depth=1
	v_cmp_ne_u16_sdwa s[8:9], v7, s34 src0_sel:BYTE_0 src1_sel:DWORD
	v_bfrev_b32_e32 v8, 1
	s_and_saveexec_b64 s[28:29], s[8:9]
	s_cbranch_execz .LBB405_1742
; %bb.1739:                             ;   in Loop: Header=BB405_1323 Depth=1
	v_and_b32_e32 v11, 0x7f, v7
	v_cmp_ne_u32_e64 s[8:9], s35, v11
	v_mov_b32_e32 v8, 0x7f800001
	s_and_saveexec_b64 s[30:31], s[8:9]
	s_cbranch_execz .LBB405_1741
; %bb.1740:                             ;   in Loop: Header=BB405_1323 Depth=1
	v_and_b32_e32 v8, 7, v7
	v_ffbh_u32_e32 v8, v8
	v_min_u32_e32 v8, 32, v8
	v_subrev_u32_e32 v22, 28, v8
	v_cmp_gt_u32_e64 s[8:9], 8, v11
	v_lshrrev_b32_e32 v16, 3, v11
	v_cndmask_b32_e64 v11, 0, v22, s[8:9]
	v_sub_u32_e32 v8, 29, v8
	v_lshlrev_b64 v[26:27], v11, v[36:37]
	v_cndmask_b32_e64 v8, v16, v8, s[8:9]
	v_lshlrev_b32_e32 v11, 20, v26
	v_lshlrev_b32_e32 v16, 24, v36
	v_and_b32_e32 v11, 0x700000, v11
	v_and_b32_e32 v16, 0x80000000, v16
	v_lshl_add_u32 v8, v8, 23, v40
	v_or3_b32 v8, v16, v8, v11
.LBB405_1741:                           ;   in Loop: Header=BB405_1323 Depth=1
	s_or_b64 exec, exec, s[30:31]
.LBB405_1742:                           ;   in Loop: Header=BB405_1323 Depth=1
	s_or_b64 exec, exec, s[28:29]
.LBB405_1743:                           ;   in Loop: Header=BB405_1323 Depth=1
	s_or_b64 exec, exec, s[18:19]
	v_mul_f32_e32 v8, v23, v8
	v_and_b32_e32 v11, 0x7f800000, v8
	v_cmp_ne_u32_e64 s[8:9], s15, v11
                                        ; implicit-def: $vgpr11
	s_and_saveexec_b64 s[18:19], s[8:9]
	s_xor_b64 s[8:9], exec, s[18:19]
; %bb.1744:                             ;   in Loop: Header=BB405_1323 Depth=1
	v_bfe_u32 v11, v8, 16, 1
	v_add3_u32 v11, v8, v11, s25
                                        ; implicit-def: $vgpr8
; %bb.1745:                             ;   in Loop: Header=BB405_1323 Depth=1
	s_andn2_saveexec_b64 s[18:19], s[8:9]
; %bb.1746:                             ;   in Loop: Header=BB405_1323 Depth=1
	v_or_b32_e32 v11, 0x10000, v8
	v_cmp_eq_u32_sdwa s[8:9], v8, v37 src0_sel:WORD_0 src1_sel:DWORD
	v_cndmask_b32_e64 v11, v11, v8, s[8:9]
; %bb.1747:                             ;   in Loop: Header=BB405_1323 Depth=1
	s_or_b64 exec, exec, s[18:19]
	v_lshrrev_b16_e32 v8, 8, v36
	v_cmp_ne_u16_e64 s[8:9], 0, v8
	v_mov_b32_e32 v16, 0
	s_and_saveexec_b64 s[18:19], s[8:9]
	s_cbranch_execz .LBB405_1753
; %bb.1748:                             ;   in Loop: Header=BB405_1323 Depth=1
	v_cmp_ne_u16_e64 s[8:9], s34, v8
	v_bfrev_b32_e32 v16, 1
	s_and_saveexec_b64 s[28:29], s[8:9]
	s_cbranch_execz .LBB405_1752
; %bb.1749:                             ;   in Loop: Header=BB405_1323 Depth=1
	v_and_b32_e32 v22, 0x7f, v8
	v_cmp_ne_u32_e64 s[8:9], s35, v22
	v_mov_b32_e32 v16, 0x7f800001
	s_and_saveexec_b64 s[30:31], s[8:9]
	s_cbranch_execz .LBB405_1751
; %bb.1750:                             ;   in Loop: Header=BB405_1323 Depth=1
	v_and_b32_e32 v16, 7, v8
	v_ffbh_u32_e32 v26, v16
	v_min_u32_e32 v39, 32, v26
	v_subrev_u32_e32 v26, 28, v39
	v_lshlrev_b64 v[26:27], v26, v[8:9]
	v_lshrrev_b32_e32 v38, 3, v22
	v_sub_u32_e32 v8, 29, v39
	v_and_b32_e32 v26, 7, v26
	v_cmp_gt_u32_e64 s[8:9], 8, v22
	v_cndmask_b32_e64 v8, v38, v8, s[8:9]
	v_cndmask_b32_e64 v16, v16, v26, s[8:9]
	v_lshlrev_b32_e32 v22, 16, v36
	v_lshlrev_b32_e32 v16, 20, v16
	v_and_b32_e32 v22, 0x80000000, v22
	v_lshl_add_u32 v8, v8, 23, v40
	v_or3_b32 v16, v22, v8, v16
.LBB405_1751:                           ;   in Loop: Header=BB405_1323 Depth=1
	s_or_b64 exec, exec, s[30:31]
.LBB405_1752:                           ;   in Loop: Header=BB405_1323 Depth=1
	s_or_b64 exec, exec, s[28:29]
.LBB405_1753:                           ;   in Loop: Header=BB405_1323 Depth=1
	s_or_b64 exec, exec, s[18:19]
	v_mul_f32_e32 v8, v23, v16
	v_and_b32_e32 v16, 0x7f800000, v8
	v_cmp_ne_u32_e64 s[8:9], s15, v16
                                        ; implicit-def: $vgpr16
	s_and_saveexec_b64 s[18:19], s[8:9]
	s_xor_b64 s[8:9], exec, s[18:19]
; %bb.1754:                             ;   in Loop: Header=BB405_1323 Depth=1
	v_bfe_u32 v16, v8, 16, 1
	v_add3_u32 v16, v8, v16, s25
                                        ; implicit-def: $vgpr8
; %bb.1755:                             ;   in Loop: Header=BB405_1323 Depth=1
	s_andn2_saveexec_b64 s[18:19], s[8:9]
; %bb.1756:                             ;   in Loop: Header=BB405_1323 Depth=1
	v_or_b32_e32 v16, 0x10000, v8
	v_cmp_eq_u32_sdwa s[8:9], v8, v37 src0_sel:WORD_0 src1_sel:DWORD
	v_cndmask_b32_e64 v16, v16, v8, s[8:9]
; %bb.1757:                             ;   in Loop: Header=BB405_1323 Depth=1
	s_or_b64 exec, exec, s[18:19]
	v_lshrrev_b32_e32 v8, 16, v7
	v_cmp_ne_u16_sdwa s[8:9], v8, v37 src0_sel:BYTE_0 src1_sel:DWORD
	v_mov_b32_e32 v22, 0
	s_and_saveexec_b64 s[18:19], s[8:9]
	s_cbranch_execz .LBB405_1763
; %bb.1758:                             ;   in Loop: Header=BB405_1323 Depth=1
	v_cmp_ne_u16_sdwa s[8:9], v8, s34 src0_sel:BYTE_0 src1_sel:DWORD
	v_bfrev_b32_e32 v22, 1
	s_and_saveexec_b64 s[28:29], s[8:9]
	s_cbranch_execz .LBB405_1762
; %bb.1759:                             ;   in Loop: Header=BB405_1323 Depth=1
	v_bfe_u32 v26, v7, 16, 7
	v_cmp_ne_u32_e64 s[8:9], s35, v26
	v_mov_b32_e32 v22, 0x7f800001
	s_and_saveexec_b64 s[30:31], s[8:9]
	s_cbranch_execz .LBB405_1761
; %bb.1760:                             ;   in Loop: Header=BB405_1323 Depth=1
	v_and_b32_e32 v22, 7, v8
	v_ffbh_u32_e32 v36, v22
	v_min_u32_e32 v36, 32, v36
	v_subrev_u32_e32 v38, 28, v36
	v_lshlrev_b64 v[38:39], v38, v[8:9]
	v_lshrrev_b32_e32 v27, 3, v26
	v_sub_u32_e32 v36, 29, v36
	v_and_b32_e32 v38, 7, v38
	v_cmp_gt_u32_e64 s[8:9], 8, v26
	v_cndmask_b32_e64 v26, v27, v36, s[8:9]
	v_cndmask_b32_e64 v22, v22, v38, s[8:9]
	v_lshlrev_b32_e32 v8, 24, v8
	v_lshlrev_b32_e32 v22, 20, v22
	v_and_b32_e32 v8, 0x80000000, v8
	v_lshl_add_u32 v26, v26, 23, v40
	v_or3_b32 v22, v8, v26, v22
.LBB405_1761:                           ;   in Loop: Header=BB405_1323 Depth=1
	s_or_b64 exec, exec, s[30:31]
.LBB405_1762:                           ;   in Loop: Header=BB405_1323 Depth=1
	s_or_b64 exec, exec, s[28:29]
.LBB405_1763:                           ;   in Loop: Header=BB405_1323 Depth=1
	s_or_b64 exec, exec, s[18:19]
	v_mul_f32_e32 v8, v23, v22
	v_and_b32_e32 v22, 0x7f800000, v8
	v_cmp_ne_u32_e64 s[8:9], s15, v22
                                        ; implicit-def: $vgpr22
	s_and_saveexec_b64 s[18:19], s[8:9]
	s_xor_b64 s[8:9], exec, s[18:19]
; %bb.1764:                             ;   in Loop: Header=BB405_1323 Depth=1
	v_bfe_u32 v22, v8, 16, 1
	v_add3_u32 v22, v8, v22, s25
                                        ; implicit-def: $vgpr8
; %bb.1765:                             ;   in Loop: Header=BB405_1323 Depth=1
	s_andn2_saveexec_b64 s[18:19], s[8:9]
; %bb.1766:                             ;   in Loop: Header=BB405_1323 Depth=1
	v_or_b32_e32 v22, 0x10000, v8
	v_cmp_eq_u32_sdwa s[8:9], v8, v37 src0_sel:WORD_0 src1_sel:DWORD
	v_cndmask_b32_e64 v22, v22, v8, s[8:9]
; %bb.1767:                             ;   in Loop: Header=BB405_1323 Depth=1
	s_or_b64 exec, exec, s[18:19]
	v_cmp_lt_u64_e64 s[8:9], s[12:13], v[6:7]
	v_mov_b32_e32 v8, 0
	s_and_saveexec_b64 s[18:19], s[8:9]
	s_cbranch_execz .LBB405_1773
; %bb.1768:                             ;   in Loop: Header=BB405_1323 Depth=1
	v_lshrrev_b32_e32 v6, 24, v7
	v_cmp_ne_u32_e64 s[8:9], s34, v6
	v_bfrev_b32_e32 v8, 1
	s_and_saveexec_b64 s[28:29], s[8:9]
	s_cbranch_execz .LBB405_1772
; %bb.1769:                             ;   in Loop: Header=BB405_1323 Depth=1
	v_bfe_u32 v7, v7, 24, 7
	v_cmp_ne_u32_e64 s[8:9], s35, v7
	v_mov_b32_e32 v8, 0x7f800001
	s_and_saveexec_b64 s[30:31], s[8:9]
	s_cbranch_execz .LBB405_1771
; %bb.1770:                             ;   in Loop: Header=BB405_1323 Depth=1
	v_and_b32_e32 v8, 7, v6
	v_ffbh_u32_e32 v26, v8
	v_min_u32_e32 v38, 32, v26
	v_subrev_u32_e32 v26, 28, v38
	v_lshlrev_b64 v[26:27], v26, v[6:7]
	v_lshrrev_b32_e32 v36, 3, v7
	v_sub_u32_e32 v27, 29, v38
	v_and_b32_e32 v26, 7, v26
	v_cmp_gt_u32_e64 s[8:9], 8, v7
	v_cndmask_b32_e64 v7, v36, v27, s[8:9]
	v_cndmask_b32_e64 v8, v8, v26, s[8:9]
	v_lshlrev_b32_e32 v6, 24, v6
	v_lshlrev_b32_e32 v8, 20, v8
	v_and_b32_e32 v6, 0x80000000, v6
	v_lshl_add_u32 v7, v7, 23, v40
	v_or3_b32 v8, v6, v7, v8
.LBB405_1771:                           ;   in Loop: Header=BB405_1323 Depth=1
	s_or_b64 exec, exec, s[30:31]
.LBB405_1772:                           ;   in Loop: Header=BB405_1323 Depth=1
	s_or_b64 exec, exec, s[28:29]
.LBB405_1773:                           ;   in Loop: Header=BB405_1323 Depth=1
	s_or_b64 exec, exec, s[18:19]
	v_mul_f32_e32 v6, v23, v8
	v_and_b32_e32 v7, 0x7f800000, v6
	v_cmp_ne_u32_e64 s[8:9], s15, v7
                                        ; implicit-def: $vgpr26
	s_and_saveexec_b64 s[18:19], s[8:9]
	s_xor_b64 s[8:9], exec, s[18:19]
; %bb.1774:                             ;   in Loop: Header=BB405_1323 Depth=1
	v_bfe_u32 v7, v6, 16, 1
	v_add3_u32 v26, v6, v7, s25
                                        ; implicit-def: $vgpr6
; %bb.1775:                             ;   in Loop: Header=BB405_1323 Depth=1
	s_andn2_saveexec_b64 s[18:19], s[8:9]
; %bb.1776:                             ;   in Loop: Header=BB405_1323 Depth=1
	v_or_b32_e32 v7, 0x10000, v6
	v_cmp_eq_u32_sdwa s[8:9], v6, v37 src0_sel:WORD_0 src1_sel:DWORD
	v_cndmask_b32_e64 v26, v7, v6, s[8:9]
; %bb.1777:                             ;   in Loop: Header=BB405_1323 Depth=1
	s_or_b64 exec, exec, s[18:19]
	v_lshrrev_b32_e32 v6, 16, v16
	v_lshrrev_b32_e32 v7, 16, v11
	;; [unrolled: 1-line block ×8, first 2 shown]
	s_and_saveexec_b64 s[18:19], vcc
	s_cbranch_execz .LBB405_1779
; %bb.1778:                             ;   in Loop: Header=BB405_1323 Depth=1
	v_accvgpr_read_b32 v16, a31
	v_cmp_lt_i32_e64 s[8:9], v16, v49
	v_accvgpr_read_b32 v16, a37
	v_cndmask_b32_e64 v11, 0, v11, s[8:9]
	v_cmp_lt_i32_e64 s[8:9], v16, v49
	v_accvgpr_read_b32 v16, a36
	v_cndmask_b32_e64 v10, 0, v10, s[8:9]
	;; [unrolled: 3-line block ×6, first 2 shown]
	v_cmp_lt_i32_e64 s[8:9], v16, v49
	v_cndmask_b32_e64 v5, 0, v5, s[8:9]
	v_cmp_lt_i32_e64 s[8:9], v17, v49
	v_cndmask_b32_e64 v4, 0, v4, s[8:9]
.LBB405_1779:                           ;   in Loop: Header=BB405_1323 Depth=1
	s_or_b64 exec, exec, s[18:19]
	v_lshlrev_b32_e32 v11, 16, v11
	v_accvgpr_read_b32 v16, a38
	v_mul_f32_e32 v11, v16, v11
	v_and_b32_e32 v16, 0x7f800000, v11
	v_cmp_ne_u32_e64 s[8:9], s15, v16
                                        ; implicit-def: $vgpr16
                                        ; kill: killed $vgpr16
	s_and_saveexec_b64 s[18:19], s[8:9]
	s_xor_b64 s[8:9], exec, s[18:19]
	s_cbranch_execz .LBB405_1781
; %bb.1780:                             ;   in Loop: Header=BB405_1323 Depth=1
	v_bfe_u32 v16, v11, 16, 1
	v_add3_u32 v11, v11, v16, s25
	buffer_store_dword v11, off, s[0:3], s32 offset:304 ; 4-byte Folded Spill
                                        ; implicit-def: $vgpr11
.LBB405_1781:                           ;   in Loop: Header=BB405_1323 Depth=1
	s_andn2_saveexec_b64 s[18:19], s[8:9]
	s_cbranch_execz .LBB405_1783
; %bb.1782:                             ;   in Loop: Header=BB405_1323 Depth=1
	v_or_b32_e32 v16, 0x10000, v11
	v_cmp_eq_u32_sdwa s[8:9], v11, v37 src0_sel:WORD_0 src1_sel:DWORD
	v_cndmask_b32_e64 v11, v16, v11, s[8:9]
	buffer_store_dword v11, off, s[0:3], s32 offset:304 ; 4-byte Folded Spill
.LBB405_1783:                           ;   in Loop: Header=BB405_1323 Depth=1
	s_or_b64 exec, exec, s[18:19]
	v_lshlrev_b32_e32 v10, 16, v10
	v_mul_f32_e32 v10, v53, v10
	v_and_b32_e32 v11, 0x7f800000, v10
	v_cmp_ne_u32_e64 s[8:9], s15, v11
                                        ; implicit-def: $vgpr11
                                        ; kill: killed $vgpr11
	s_and_saveexec_b64 s[18:19], s[8:9]
	s_xor_b64 s[8:9], exec, s[18:19]
	s_cbranch_execz .LBB405_1785
; %bb.1784:                             ;   in Loop: Header=BB405_1323 Depth=1
	v_bfe_u32 v11, v10, 16, 1
	v_add3_u32 v10, v10, v11, s25
	buffer_store_dword v10, off, s[0:3], s32 offset:308 ; 4-byte Folded Spill
                                        ; implicit-def: $vgpr10
.LBB405_1785:                           ;   in Loop: Header=BB405_1323 Depth=1
	s_andn2_saveexec_b64 s[18:19], s[8:9]
	s_cbranch_execz .LBB405_1787
; %bb.1786:                             ;   in Loop: Header=BB405_1323 Depth=1
	v_or_b32_e32 v11, 0x10000, v10
	v_cmp_eq_u32_sdwa s[8:9], v10, v37 src0_sel:WORD_0 src1_sel:DWORD
	v_cndmask_b32_e64 v10, v11, v10, s[8:9]
	buffer_store_dword v10, off, s[0:3], s32 offset:308 ; 4-byte Folded Spill
.LBB405_1787:                           ;   in Loop: Header=BB405_1323 Depth=1
	s_or_b64 exec, exec, s[18:19]
	v_lshlrev_b32_e32 v9, 16, v9
	v_mul_f32_e32 v9, v45, v9
	v_and_b32_e32 v10, 0x7f800000, v9
	v_cmp_ne_u32_e64 s[8:9], s15, v10
                                        ; implicit-def: $vgpr10
                                        ; kill: killed $vgpr10
	s_and_saveexec_b64 s[18:19], s[8:9]
	s_xor_b64 s[8:9], exec, s[18:19]
	s_cbranch_execz .LBB405_1789
; %bb.1788:                             ;   in Loop: Header=BB405_1323 Depth=1
	v_bfe_u32 v10, v9, 16, 1
	v_add3_u32 v9, v9, v10, s25
	buffer_store_dword v9, off, s[0:3], s32 offset:312 ; 4-byte Folded Spill
                                        ; implicit-def: $vgpr9
.LBB405_1789:                           ;   in Loop: Header=BB405_1323 Depth=1
	s_andn2_saveexec_b64 s[18:19], s[8:9]
	s_cbranch_execz .LBB405_1791
; %bb.1790:                             ;   in Loop: Header=BB405_1323 Depth=1
	v_or_b32_e32 v10, 0x10000, v9
	v_cmp_eq_u32_sdwa s[8:9], v9, v37 src0_sel:WORD_0 src1_sel:DWORD
	v_cndmask_b32_e64 v9, v10, v9, s[8:9]
	buffer_store_dword v9, off, s[0:3], s32 offset:312 ; 4-byte Folded Spill
.LBB405_1791:                           ;   in Loop: Header=BB405_1323 Depth=1
	s_or_b64 exec, exec, s[18:19]
	v_lshlrev_b32_e32 v8, 16, v8
	v_mul_f32_e32 v8, v46, v8
	v_and_b32_e32 v9, 0x7f800000, v8
	v_cmp_ne_u32_e64 s[8:9], s15, v9
                                        ; implicit-def: $vgpr9
                                        ; kill: killed $vgpr9
	s_and_saveexec_b64 s[18:19], s[8:9]
	s_xor_b64 s[8:9], exec, s[18:19]
	s_cbranch_execz .LBB405_1793
; %bb.1792:                             ;   in Loop: Header=BB405_1323 Depth=1
	v_bfe_u32 v9, v8, 16, 1
	v_add3_u32 v8, v8, v9, s25
	buffer_store_dword v8, off, s[0:3], s32 offset:316 ; 4-byte Folded Spill
                                        ; implicit-def: $vgpr8
.LBB405_1793:                           ;   in Loop: Header=BB405_1323 Depth=1
	s_andn2_saveexec_b64 s[18:19], s[8:9]
	s_cbranch_execz .LBB405_1795
; %bb.1794:                             ;   in Loop: Header=BB405_1323 Depth=1
	v_or_b32_e32 v9, 0x10000, v8
	v_cmp_eq_u32_sdwa s[8:9], v8, v37 src0_sel:WORD_0 src1_sel:DWORD
	v_cndmask_b32_e64 v8, v9, v8, s[8:9]
	buffer_store_dword v8, off, s[0:3], s32 offset:316 ; 4-byte Folded Spill
.LBB405_1795:                           ;   in Loop: Header=BB405_1323 Depth=1
	s_or_b64 exec, exec, s[18:19]
	v_lshlrev_b32_e32 v7, 16, v7
	v_mul_f32_e32 v7, v48, v7
	v_and_b32_e32 v8, 0x7f800000, v7
	v_cmp_ne_u32_e64 s[8:9], s15, v8
                                        ; implicit-def: $vgpr8
                                        ; kill: killed $vgpr8
	s_and_saveexec_b64 s[18:19], s[8:9]
	s_xor_b64 s[8:9], exec, s[18:19]
	s_cbranch_execz .LBB405_1797
; %bb.1796:                             ;   in Loop: Header=BB405_1323 Depth=1
	v_bfe_u32 v8, v7, 16, 1
	v_add3_u32 v7, v7, v8, s25
	buffer_store_dword v7, off, s[0:3], s32 offset:320 ; 4-byte Folded Spill
                                        ; implicit-def: $vgpr7
.LBB405_1797:                           ;   in Loop: Header=BB405_1323 Depth=1
	s_andn2_saveexec_b64 s[18:19], s[8:9]
	s_cbranch_execz .LBB405_1799
; %bb.1798:                             ;   in Loop: Header=BB405_1323 Depth=1
	v_or_b32_e32 v8, 0x10000, v7
	v_cmp_eq_u32_sdwa s[8:9], v7, v37 src0_sel:WORD_0 src1_sel:DWORD
	v_cndmask_b32_e64 v7, v8, v7, s[8:9]
	buffer_store_dword v7, off, s[0:3], s32 offset:320 ; 4-byte Folded Spill
.LBB405_1799:                           ;   in Loop: Header=BB405_1323 Depth=1
	s_or_b64 exec, exec, s[18:19]
	v_lshlrev_b32_e32 v6, 16, v6
	v_mul_f32_e32 v6, v62, v6
	v_and_b32_e32 v7, 0x7f800000, v6
	v_cmp_ne_u32_e64 s[8:9], s15, v7
                                        ; implicit-def: $vgpr7
                                        ; kill: killed $vgpr7
	s_and_saveexec_b64 s[18:19], s[8:9]
	s_xor_b64 s[8:9], exec, s[18:19]
	s_cbranch_execz .LBB405_1801
; %bb.1800:                             ;   in Loop: Header=BB405_1323 Depth=1
	v_bfe_u32 v7, v6, 16, 1
	v_add3_u32 v6, v6, v7, s25
	buffer_store_dword v6, off, s[0:3], s32 offset:324 ; 4-byte Folded Spill
                                        ; implicit-def: $vgpr6
.LBB405_1801:                           ;   in Loop: Header=BB405_1323 Depth=1
	s_andn2_saveexec_b64 s[18:19], s[8:9]
	s_cbranch_execz .LBB405_1803
; %bb.1802:                             ;   in Loop: Header=BB405_1323 Depth=1
	v_or_b32_e32 v7, 0x10000, v6
	v_cmp_eq_u32_sdwa s[8:9], v6, v37 src0_sel:WORD_0 src1_sel:DWORD
	v_cndmask_b32_e64 v6, v7, v6, s[8:9]
	buffer_store_dword v6, off, s[0:3], s32 offset:324 ; 4-byte Folded Spill
.LBB405_1803:                           ;   in Loop: Header=BB405_1323 Depth=1
	s_or_b64 exec, exec, s[18:19]
	v_lshlrev_b32_e32 v5, 16, v5
	v_mul_f32_e32 v5, v55, v5
	v_and_b32_e32 v6, 0x7f800000, v5
	v_cmp_ne_u32_e64 s[8:9], s15, v6
                                        ; implicit-def: $vgpr6
                                        ; kill: killed $vgpr6
	s_and_saveexec_b64 s[18:19], s[8:9]
	s_xor_b64 s[8:9], exec, s[18:19]
	s_cbranch_execz .LBB405_1805
; %bb.1804:                             ;   in Loop: Header=BB405_1323 Depth=1
	v_bfe_u32 v6, v5, 16, 1
	v_add3_u32 v5, v5, v6, s25
	buffer_store_dword v5, off, s[0:3], s32 offset:328 ; 4-byte Folded Spill
                                        ; implicit-def: $vgpr5
.LBB405_1805:                           ;   in Loop: Header=BB405_1323 Depth=1
	s_andn2_saveexec_b64 s[18:19], s[8:9]
	s_cbranch_execz .LBB405_1807
; %bb.1806:                             ;   in Loop: Header=BB405_1323 Depth=1
	v_or_b32_e32 v6, 0x10000, v5
	v_cmp_eq_u32_sdwa s[8:9], v5, v37 src0_sel:WORD_0 src1_sel:DWORD
	v_cndmask_b32_e64 v5, v6, v5, s[8:9]
	buffer_store_dword v5, off, s[0:3], s32 offset:328 ; 4-byte Folded Spill
.LBB405_1807:                           ;   in Loop: Header=BB405_1323 Depth=1
	s_or_b64 exec, exec, s[18:19]
	v_lshlrev_b32_e32 v4, 16, v4
	v_mul_f32_e32 v4, v52, v4
	v_and_b32_e32 v5, 0x7f800000, v4
	v_cmp_ne_u32_e64 s[8:9], s15, v5
                                        ; implicit-def: $vgpr5
                                        ; kill: killed $vgpr5
	s_and_saveexec_b64 s[18:19], s[8:9]
	s_xor_b64 s[8:9], exec, s[18:19]
	s_cbranch_execz .LBB405_1809
; %bb.1808:                             ;   in Loop: Header=BB405_1323 Depth=1
	v_bfe_u32 v5, v4, 16, 1
	v_add3_u32 v4, v4, v5, s25
	buffer_store_dword v4, off, s[0:3], s32 offset:332 ; 4-byte Folded Spill
                                        ; implicit-def: $vgpr4
.LBB405_1809:                           ;   in Loop: Header=BB405_1323 Depth=1
	s_andn2_saveexec_b64 s[18:19], s[8:9]
	s_cbranch_execz .LBB405_1811
; %bb.1810:                             ;   in Loop: Header=BB405_1323 Depth=1
	v_or_b32_e32 v5, 0x10000, v4
	v_cmp_eq_u32_sdwa s[8:9], v4, v37 src0_sel:WORD_0 src1_sel:DWORD
	v_cndmask_b32_e64 v4, v5, v4, s[8:9]
	buffer_store_dword v4, off, s[0:3], s32 offset:332 ; 4-byte Folded Spill
.LBB405_1811:                           ;   in Loop: Header=BB405_1323 Depth=1
	s_or_b64 exec, exec, s[18:19]
	flat_load_dwordx2 v[6:7], v[2:3] offset:2048
	v_mov_b32_e32 v4, 0
	s_waitcnt vmcnt(0) lgkmcnt(0)
	v_cmp_ne_u16_sdwa s[8:9], v6, v37 src0_sel:BYTE_0 src1_sel:DWORD
	s_and_saveexec_b64 s[18:19], s[8:9]
	s_cbranch_execz .LBB405_1817
; %bb.1812:                             ;   in Loop: Header=BB405_1323 Depth=1
	v_cmp_ne_u16_sdwa s[8:9], v6, s34 src0_sel:BYTE_0 src1_sel:DWORD
	v_bfrev_b32_e32 v4, 1
	s_and_saveexec_b64 s[28:29], s[8:9]
	s_cbranch_execz .LBB405_1816
; %bb.1813:                             ;   in Loop: Header=BB405_1323 Depth=1
	v_and_b32_e32 v5, 0x7f, v6
	v_cmp_ne_u32_e64 s[8:9], s35, v5
	v_mov_b32_e32 v4, 0x7f800001
	s_and_saveexec_b64 s[30:31], s[8:9]
	s_cbranch_execz .LBB405_1815
; %bb.1814:                             ;   in Loop: Header=BB405_1323 Depth=1
	v_and_b32_e32 v4, 7, v6
	v_ffbh_u32_e32 v4, v4
	v_min_u32_e32 v4, 32, v4
	v_lshrrev_b32_e32 v8, 3, v5
	v_subrev_u32_e32 v9, 28, v4
	v_sub_u32_e32 v4, 29, v4
	v_cmp_gt_u32_e64 s[8:9], 8, v5
	v_cndmask_b32_e64 v8, v8, v4, s[8:9]
	v_cndmask_b32_e64 v4, 0, v9, s[8:9]
	v_lshlrev_b64 v[4:5], v4, v[6:7]
	v_lshlrev_b32_e32 v4, 20, v4
	v_lshlrev_b32_e32 v5, 24, v6
	v_and_b32_e32 v4, 0x700000, v4
	v_and_b32_e32 v5, 0x80000000, v5
	v_lshl_add_u32 v8, v8, 23, v40
	v_or3_b32 v4, v5, v8, v4
.LBB405_1815:                           ;   in Loop: Header=BB405_1323 Depth=1
	s_or_b64 exec, exec, s[30:31]
.LBB405_1816:                           ;   in Loop: Header=BB405_1323 Depth=1
	s_or_b64 exec, exec, s[28:29]
.LBB405_1817:                           ;   in Loop: Header=BB405_1323 Depth=1
	s_or_b64 exec, exec, s[18:19]
	v_mul_f32_e32 v5, v23, v4
	v_and_b32_e32 v4, 0x7f800000, v5
	v_cmp_ne_u32_e64 s[8:9], s15, v4
                                        ; implicit-def: $vgpr4
	s_and_saveexec_b64 s[18:19], s[8:9]
	s_xor_b64 s[8:9], exec, s[18:19]
; %bb.1818:                             ;   in Loop: Header=BB405_1323 Depth=1
	v_bfe_u32 v4, v5, 16, 1
	v_add3_u32 v4, v5, v4, s25
                                        ; implicit-def: $vgpr5
; %bb.1819:                             ;   in Loop: Header=BB405_1323 Depth=1
	s_andn2_saveexec_b64 s[18:19], s[8:9]
; %bb.1820:                             ;   in Loop: Header=BB405_1323 Depth=1
	v_or_b32_e32 v4, 0x10000, v5
	v_cmp_eq_u32_sdwa s[8:9], v5, v37 src0_sel:WORD_0 src1_sel:DWORD
	v_cndmask_b32_e64 v4, v4, v5, s[8:9]
; %bb.1821:                             ;   in Loop: Header=BB405_1323 Depth=1
	s_or_b64 exec, exec, s[18:19]
	v_lshrrev_b16_e32 v8, 8, v6
	v_cmp_ne_u16_e64 s[8:9], 0, v8
	v_mov_b32_e32 v5, 0
	s_and_saveexec_b64 s[18:19], s[8:9]
	s_cbranch_execz .LBB405_1827
; %bb.1822:                             ;   in Loop: Header=BB405_1323 Depth=1
	v_cmp_ne_u16_e64 s[8:9], s34, v8
	v_bfrev_b32_e32 v5, 1
	s_and_saveexec_b64 s[28:29], s[8:9]
	s_cbranch_execz .LBB405_1826
; %bb.1823:                             ;   in Loop: Header=BB405_1323 Depth=1
	v_and_b32_e32 v9, 0x7f, v8
	v_cmp_ne_u32_e64 s[8:9], s35, v9
	v_mov_b32_e32 v5, 0x7f800001
	s_and_saveexec_b64 s[30:31], s[8:9]
	s_cbranch_execz .LBB405_1825
; %bb.1824:                             ;   in Loop: Header=BB405_1323 Depth=1
	v_and_b32_e32 v5, 7, v8
	v_ffbh_u32_e32 v10, v5
	v_min_u32_e32 v22, 32, v10
	v_subrev_u32_e32 v10, 28, v22
	v_lshlrev_b64 v[10:11], v10, v[8:9]
	v_lshrrev_b32_e32 v16, 3, v9
	v_sub_u32_e32 v8, 29, v22
	v_and_b32_e32 v10, 7, v10
	v_cmp_gt_u32_e64 s[8:9], 8, v9
	v_cndmask_b32_e64 v8, v16, v8, s[8:9]
	v_cndmask_b32_e64 v5, v5, v10, s[8:9]
	v_lshlrev_b32_e32 v9, 16, v6
	v_lshlrev_b32_e32 v5, 20, v5
	v_and_b32_e32 v9, 0x80000000, v9
	v_lshl_add_u32 v8, v8, 23, v40
	v_or3_b32 v5, v9, v8, v5
.LBB405_1825:                           ;   in Loop: Header=BB405_1323 Depth=1
	s_or_b64 exec, exec, s[30:31]
.LBB405_1826:                           ;   in Loop: Header=BB405_1323 Depth=1
	s_or_b64 exec, exec, s[28:29]
.LBB405_1827:                           ;   in Loop: Header=BB405_1323 Depth=1
	s_or_b64 exec, exec, s[18:19]
	v_mul_f32_e32 v8, v23, v5
	v_and_b32_e32 v5, 0x7f800000, v8
	v_cmp_ne_u32_e64 s[8:9], s15, v5
                                        ; implicit-def: $vgpr5
	s_and_saveexec_b64 s[18:19], s[8:9]
	s_xor_b64 s[8:9], exec, s[18:19]
; %bb.1828:                             ;   in Loop: Header=BB405_1323 Depth=1
	v_bfe_u32 v5, v8, 16, 1
	v_add3_u32 v5, v8, v5, s25
                                        ; implicit-def: $vgpr8
; %bb.1829:                             ;   in Loop: Header=BB405_1323 Depth=1
	s_andn2_saveexec_b64 s[18:19], s[8:9]
; %bb.1830:                             ;   in Loop: Header=BB405_1323 Depth=1
	v_or_b32_e32 v5, 0x10000, v8
	v_cmp_eq_u32_sdwa s[8:9], v8, v37 src0_sel:WORD_0 src1_sel:DWORD
	v_cndmask_b32_e64 v5, v5, v8, s[8:9]
; %bb.1831:                             ;   in Loop: Header=BB405_1323 Depth=1
	s_or_b64 exec, exec, s[18:19]
	v_lshrrev_b32_e32 v8, 16, v6
	v_cmp_ne_u16_sdwa s[8:9], v8, v37 src0_sel:BYTE_0 src1_sel:DWORD
	v_mov_b32_e32 v9, 0
	s_and_saveexec_b64 s[18:19], s[8:9]
	s_cbranch_execz .LBB405_1837
; %bb.1832:                             ;   in Loop: Header=BB405_1323 Depth=1
	v_cmp_ne_u16_sdwa s[8:9], v8, s34 src0_sel:BYTE_0 src1_sel:DWORD
	v_bfrev_b32_e32 v9, 1
	s_and_saveexec_b64 s[28:29], s[8:9]
	s_cbranch_execz .LBB405_1836
; %bb.1833:                             ;   in Loop: Header=BB405_1323 Depth=1
	v_bfe_u32 v10, v6, 16, 7
	v_cmp_ne_u32_e64 s[8:9], s35, v10
	v_mov_b32_e32 v9, 0x7f800001
	s_and_saveexec_b64 s[30:31], s[8:9]
	s_cbranch_execz .LBB405_1835
; %bb.1834:                             ;   in Loop: Header=BB405_1323 Depth=1
	v_and_b32_e32 v9, 7, v8
	v_ffbh_u32_e32 v16, v9
	v_min_u32_e32 v16, 32, v16
	v_subrev_u32_e32 v22, 28, v16
	v_lshlrev_b64 v[26:27], v22, v[8:9]
	v_lshrrev_b32_e32 v11, 3, v10
	v_sub_u32_e32 v16, 29, v16
	v_and_b32_e32 v22, 7, v26
	v_cmp_gt_u32_e64 s[8:9], 8, v10
	v_cndmask_b32_e64 v10, v11, v16, s[8:9]
	v_cndmask_b32_e64 v9, v9, v22, s[8:9]
	v_lshlrev_b32_e32 v8, 24, v8
	v_lshlrev_b32_e32 v9, 20, v9
	v_and_b32_e32 v8, 0x80000000, v8
	v_lshl_add_u32 v10, v10, 23, v40
	v_or3_b32 v9, v8, v10, v9
.LBB405_1835:                           ;   in Loop: Header=BB405_1323 Depth=1
	s_or_b64 exec, exec, s[30:31]
.LBB405_1836:                           ;   in Loop: Header=BB405_1323 Depth=1
	s_or_b64 exec, exec, s[28:29]
.LBB405_1837:                           ;   in Loop: Header=BB405_1323 Depth=1
	s_or_b64 exec, exec, s[18:19]
	v_mul_f32_e32 v8, v23, v9
	v_and_b32_e32 v9, 0x7f800000, v8
	v_cmp_ne_u32_e64 s[8:9], s15, v9
                                        ; implicit-def: $vgpr9
	s_and_saveexec_b64 s[18:19], s[8:9]
	s_xor_b64 s[8:9], exec, s[18:19]
; %bb.1838:                             ;   in Loop: Header=BB405_1323 Depth=1
	v_bfe_u32 v9, v8, 16, 1
	v_add3_u32 v9, v8, v9, s25
                                        ; implicit-def: $vgpr8
; %bb.1839:                             ;   in Loop: Header=BB405_1323 Depth=1
	s_andn2_saveexec_b64 s[18:19], s[8:9]
; %bb.1840:                             ;   in Loop: Header=BB405_1323 Depth=1
	v_or_b32_e32 v9, 0x10000, v8
	v_cmp_eq_u32_sdwa s[8:9], v8, v37 src0_sel:WORD_0 src1_sel:DWORD
	v_cndmask_b32_e64 v9, v9, v8, s[8:9]
; %bb.1841:                             ;   in Loop: Header=BB405_1323 Depth=1
	s_or_b64 exec, exec, s[18:19]
	v_cmp_lt_u32_e64 s[8:9], s13, v6
	v_mov_b32_e32 v10, 0
	s_and_saveexec_b64 s[18:19], s[8:9]
	s_cbranch_execz .LBB405_1847
; %bb.1842:                             ;   in Loop: Header=BB405_1323 Depth=1
	v_lshrrev_b32_e32 v8, 24, v6
	v_cmp_ne_u32_e64 s[8:9], s34, v8
	v_bfrev_b32_e32 v10, 1
	s_and_saveexec_b64 s[28:29], s[8:9]
	s_cbranch_execz .LBB405_1846
; %bb.1843:                             ;   in Loop: Header=BB405_1323 Depth=1
	v_bfe_u32 v11, v6, 24, 7
	v_cmp_ne_u32_e64 s[8:9], s35, v11
	v_mov_b32_e32 v10, 0x7f800001
	s_and_saveexec_b64 s[30:31], s[8:9]
	s_cbranch_execz .LBB405_1845
; %bb.1844:                             ;   in Loop: Header=BB405_1323 Depth=1
	v_and_b32_e32 v10, 7, v8
	v_ffbh_u32_e32 v22, v10
	v_min_u32_e32 v22, 32, v22
	v_subrev_u32_e32 v26, 28, v22
	v_lshlrev_b64 v[26:27], v26, v[8:9]
	v_lshrrev_b32_e32 v16, 3, v11
	v_sub_u32_e32 v22, 29, v22
	v_and_b32_e32 v26, 7, v26
	v_cmp_gt_u32_e64 s[8:9], 8, v11
	v_cndmask_b32_e64 v11, v16, v22, s[8:9]
	v_cndmask_b32_e64 v10, v10, v26, s[8:9]
	v_lshlrev_b32_e32 v8, 24, v8
	v_lshlrev_b32_e32 v10, 20, v10
	v_and_b32_e32 v8, 0x80000000, v8
	v_lshl_add_u32 v11, v11, 23, v40
	v_or3_b32 v10, v8, v11, v10
.LBB405_1845:                           ;   in Loop: Header=BB405_1323 Depth=1
	s_or_b64 exec, exec, s[30:31]
.LBB405_1846:                           ;   in Loop: Header=BB405_1323 Depth=1
	s_or_b64 exec, exec, s[28:29]
.LBB405_1847:                           ;   in Loop: Header=BB405_1323 Depth=1
	s_or_b64 exec, exec, s[18:19]
	v_mul_f32_e32 v8, v23, v10
	v_and_b32_e32 v10, 0x7f800000, v8
	v_cmp_ne_u32_e64 s[8:9], s15, v10
                                        ; implicit-def: $vgpr10
	s_and_saveexec_b64 s[18:19], s[8:9]
	s_xor_b64 s[8:9], exec, s[18:19]
; %bb.1848:                             ;   in Loop: Header=BB405_1323 Depth=1
	v_bfe_u32 v10, v8, 16, 1
	v_add3_u32 v10, v8, v10, s25
                                        ; implicit-def: $vgpr8
; %bb.1849:                             ;   in Loop: Header=BB405_1323 Depth=1
	s_andn2_saveexec_b64 s[18:19], s[8:9]
; %bb.1850:                             ;   in Loop: Header=BB405_1323 Depth=1
	v_or_b32_e32 v10, 0x10000, v8
	v_cmp_eq_u32_sdwa s[8:9], v8, v37 src0_sel:WORD_0 src1_sel:DWORD
	v_cndmask_b32_e64 v10, v10, v8, s[8:9]
; %bb.1851:                             ;   in Loop: Header=BB405_1323 Depth=1
	s_or_b64 exec, exec, s[18:19]
	v_mov_b32_e32 v36, v7
	v_cmp_ne_u16_sdwa s[8:9], v7, v37 src0_sel:BYTE_0 src1_sel:DWORD
	v_mov_b32_e32 v8, 0
	s_and_saveexec_b64 s[18:19], s[8:9]
	s_cbranch_execz .LBB405_1857
; %bb.1852:                             ;   in Loop: Header=BB405_1323 Depth=1
	v_cmp_ne_u16_sdwa s[8:9], v7, s34 src0_sel:BYTE_0 src1_sel:DWORD
	v_bfrev_b32_e32 v8, 1
	s_and_saveexec_b64 s[28:29], s[8:9]
	s_cbranch_execz .LBB405_1856
; %bb.1853:                             ;   in Loop: Header=BB405_1323 Depth=1
	v_and_b32_e32 v11, 0x7f, v7
	v_cmp_ne_u32_e64 s[8:9], s35, v11
	v_mov_b32_e32 v8, 0x7f800001
	s_and_saveexec_b64 s[30:31], s[8:9]
	s_cbranch_execz .LBB405_1855
; %bb.1854:                             ;   in Loop: Header=BB405_1323 Depth=1
	v_and_b32_e32 v8, 7, v7
	v_ffbh_u32_e32 v8, v8
	v_min_u32_e32 v8, 32, v8
	v_subrev_u32_e32 v22, 28, v8
	v_cmp_gt_u32_e64 s[8:9], 8, v11
	v_lshrrev_b32_e32 v16, 3, v11
	v_cndmask_b32_e64 v11, 0, v22, s[8:9]
	v_sub_u32_e32 v8, 29, v8
	v_lshlrev_b64 v[26:27], v11, v[36:37]
	v_cndmask_b32_e64 v8, v16, v8, s[8:9]
	v_lshlrev_b32_e32 v11, 20, v26
	v_lshlrev_b32_e32 v16, 24, v36
	v_and_b32_e32 v11, 0x700000, v11
	v_and_b32_e32 v16, 0x80000000, v16
	v_lshl_add_u32 v8, v8, 23, v40
	v_or3_b32 v8, v16, v8, v11
.LBB405_1855:                           ;   in Loop: Header=BB405_1323 Depth=1
	s_or_b64 exec, exec, s[30:31]
.LBB405_1856:                           ;   in Loop: Header=BB405_1323 Depth=1
	s_or_b64 exec, exec, s[28:29]
.LBB405_1857:                           ;   in Loop: Header=BB405_1323 Depth=1
	s_or_b64 exec, exec, s[18:19]
	v_mul_f32_e32 v8, v23, v8
	v_and_b32_e32 v11, 0x7f800000, v8
	v_cmp_ne_u32_e64 s[8:9], s15, v11
                                        ; implicit-def: $vgpr11
	s_and_saveexec_b64 s[18:19], s[8:9]
	s_xor_b64 s[8:9], exec, s[18:19]
; %bb.1858:                             ;   in Loop: Header=BB405_1323 Depth=1
	v_bfe_u32 v11, v8, 16, 1
	v_add3_u32 v11, v8, v11, s25
                                        ; implicit-def: $vgpr8
; %bb.1859:                             ;   in Loop: Header=BB405_1323 Depth=1
	s_andn2_saveexec_b64 s[18:19], s[8:9]
; %bb.1860:                             ;   in Loop: Header=BB405_1323 Depth=1
	v_or_b32_e32 v11, 0x10000, v8
	v_cmp_eq_u32_sdwa s[8:9], v8, v37 src0_sel:WORD_0 src1_sel:DWORD
	v_cndmask_b32_e64 v11, v11, v8, s[8:9]
; %bb.1861:                             ;   in Loop: Header=BB405_1323 Depth=1
	s_or_b64 exec, exec, s[18:19]
	v_lshrrev_b16_e32 v8, 8, v36
	v_cmp_ne_u16_e64 s[8:9], 0, v8
	v_mov_b32_e32 v16, 0
	s_and_saveexec_b64 s[18:19], s[8:9]
	s_cbranch_execz .LBB405_1867
; %bb.1862:                             ;   in Loop: Header=BB405_1323 Depth=1
	v_cmp_ne_u16_e64 s[8:9], s34, v8
	v_bfrev_b32_e32 v16, 1
	s_and_saveexec_b64 s[28:29], s[8:9]
	s_cbranch_execz .LBB405_1866
; %bb.1863:                             ;   in Loop: Header=BB405_1323 Depth=1
	v_and_b32_e32 v22, 0x7f, v8
	v_cmp_ne_u32_e64 s[8:9], s35, v22
	v_mov_b32_e32 v16, 0x7f800001
	s_and_saveexec_b64 s[30:31], s[8:9]
	s_cbranch_execz .LBB405_1865
; %bb.1864:                             ;   in Loop: Header=BB405_1323 Depth=1
	v_and_b32_e32 v16, 7, v8
	v_ffbh_u32_e32 v26, v16
	v_min_u32_e32 v39, 32, v26
	v_subrev_u32_e32 v26, 28, v39
	v_lshlrev_b64 v[26:27], v26, v[8:9]
	v_lshrrev_b32_e32 v38, 3, v22
	v_sub_u32_e32 v8, 29, v39
	v_and_b32_e32 v26, 7, v26
	v_cmp_gt_u32_e64 s[8:9], 8, v22
	v_cndmask_b32_e64 v8, v38, v8, s[8:9]
	v_cndmask_b32_e64 v16, v16, v26, s[8:9]
	v_lshlrev_b32_e32 v22, 16, v36
	v_lshlrev_b32_e32 v16, 20, v16
	v_and_b32_e32 v22, 0x80000000, v22
	v_lshl_add_u32 v8, v8, 23, v40
	v_or3_b32 v16, v22, v8, v16
.LBB405_1865:                           ;   in Loop: Header=BB405_1323 Depth=1
	s_or_b64 exec, exec, s[30:31]
.LBB405_1866:                           ;   in Loop: Header=BB405_1323 Depth=1
	s_or_b64 exec, exec, s[28:29]
.LBB405_1867:                           ;   in Loop: Header=BB405_1323 Depth=1
	s_or_b64 exec, exec, s[18:19]
	v_mul_f32_e32 v8, v23, v16
	v_and_b32_e32 v16, 0x7f800000, v8
	v_cmp_ne_u32_e64 s[8:9], s15, v16
                                        ; implicit-def: $vgpr16
	s_and_saveexec_b64 s[18:19], s[8:9]
	s_xor_b64 s[8:9], exec, s[18:19]
; %bb.1868:                             ;   in Loop: Header=BB405_1323 Depth=1
	v_bfe_u32 v16, v8, 16, 1
	v_add3_u32 v16, v8, v16, s25
                                        ; implicit-def: $vgpr8
; %bb.1869:                             ;   in Loop: Header=BB405_1323 Depth=1
	s_andn2_saveexec_b64 s[18:19], s[8:9]
; %bb.1870:                             ;   in Loop: Header=BB405_1323 Depth=1
	v_or_b32_e32 v16, 0x10000, v8
	v_cmp_eq_u32_sdwa s[8:9], v8, v37 src0_sel:WORD_0 src1_sel:DWORD
	v_cndmask_b32_e64 v16, v16, v8, s[8:9]
; %bb.1871:                             ;   in Loop: Header=BB405_1323 Depth=1
	s_or_b64 exec, exec, s[18:19]
	v_lshrrev_b32_e32 v8, 16, v7
	v_cmp_ne_u16_sdwa s[8:9], v8, v37 src0_sel:BYTE_0 src1_sel:DWORD
	v_mov_b32_e32 v22, 0
	s_and_saveexec_b64 s[18:19], s[8:9]
	s_cbranch_execz .LBB405_1877
; %bb.1872:                             ;   in Loop: Header=BB405_1323 Depth=1
	v_cmp_ne_u16_sdwa s[8:9], v8, s34 src0_sel:BYTE_0 src1_sel:DWORD
	v_bfrev_b32_e32 v22, 1
	s_and_saveexec_b64 s[28:29], s[8:9]
	s_cbranch_execz .LBB405_1876
; %bb.1873:                             ;   in Loop: Header=BB405_1323 Depth=1
	v_bfe_u32 v26, v7, 16, 7
	v_cmp_ne_u32_e64 s[8:9], s35, v26
	v_mov_b32_e32 v22, 0x7f800001
	s_and_saveexec_b64 s[30:31], s[8:9]
	s_cbranch_execz .LBB405_1875
; %bb.1874:                             ;   in Loop: Header=BB405_1323 Depth=1
	v_and_b32_e32 v22, 7, v8
	v_ffbh_u32_e32 v36, v22
	v_min_u32_e32 v36, 32, v36
	v_subrev_u32_e32 v38, 28, v36
	v_lshlrev_b64 v[38:39], v38, v[8:9]
	v_lshrrev_b32_e32 v27, 3, v26
	v_sub_u32_e32 v36, 29, v36
	v_and_b32_e32 v38, 7, v38
	v_cmp_gt_u32_e64 s[8:9], 8, v26
	v_cndmask_b32_e64 v26, v27, v36, s[8:9]
	v_cndmask_b32_e64 v22, v22, v38, s[8:9]
	v_lshlrev_b32_e32 v8, 24, v8
	v_lshlrev_b32_e32 v22, 20, v22
	v_and_b32_e32 v8, 0x80000000, v8
	v_lshl_add_u32 v26, v26, 23, v40
	v_or3_b32 v22, v8, v26, v22
.LBB405_1875:                           ;   in Loop: Header=BB405_1323 Depth=1
	s_or_b64 exec, exec, s[30:31]
.LBB405_1876:                           ;   in Loop: Header=BB405_1323 Depth=1
	s_or_b64 exec, exec, s[28:29]
.LBB405_1877:                           ;   in Loop: Header=BB405_1323 Depth=1
	s_or_b64 exec, exec, s[18:19]
	v_mul_f32_e32 v8, v23, v22
	v_and_b32_e32 v22, 0x7f800000, v8
	v_cmp_ne_u32_e64 s[8:9], s15, v22
                                        ; implicit-def: $vgpr22
	s_and_saveexec_b64 s[18:19], s[8:9]
	s_xor_b64 s[8:9], exec, s[18:19]
; %bb.1878:                             ;   in Loop: Header=BB405_1323 Depth=1
	v_bfe_u32 v22, v8, 16, 1
	v_add3_u32 v22, v8, v22, s25
                                        ; implicit-def: $vgpr8
; %bb.1879:                             ;   in Loop: Header=BB405_1323 Depth=1
	s_andn2_saveexec_b64 s[18:19], s[8:9]
; %bb.1880:                             ;   in Loop: Header=BB405_1323 Depth=1
	v_or_b32_e32 v22, 0x10000, v8
	v_cmp_eq_u32_sdwa s[8:9], v8, v37 src0_sel:WORD_0 src1_sel:DWORD
	v_cndmask_b32_e64 v22, v22, v8, s[8:9]
; %bb.1881:                             ;   in Loop: Header=BB405_1323 Depth=1
	s_or_b64 exec, exec, s[18:19]
	v_cmp_lt_u64_e64 s[8:9], s[12:13], v[6:7]
	v_mov_b32_e32 v8, 0
	s_and_saveexec_b64 s[18:19], s[8:9]
	s_cbranch_execz .LBB405_1887
; %bb.1882:                             ;   in Loop: Header=BB405_1323 Depth=1
	v_lshrrev_b32_e32 v6, 24, v7
	v_cmp_ne_u32_e64 s[8:9], s34, v6
	v_bfrev_b32_e32 v8, 1
	s_and_saveexec_b64 s[28:29], s[8:9]
	s_cbranch_execz .LBB405_1886
; %bb.1883:                             ;   in Loop: Header=BB405_1323 Depth=1
	v_bfe_u32 v7, v7, 24, 7
	v_cmp_ne_u32_e64 s[8:9], s35, v7
	v_mov_b32_e32 v8, 0x7f800001
	s_and_saveexec_b64 s[30:31], s[8:9]
	s_cbranch_execz .LBB405_1885
; %bb.1884:                             ;   in Loop: Header=BB405_1323 Depth=1
	v_and_b32_e32 v8, 7, v6
	v_ffbh_u32_e32 v26, v8
	v_min_u32_e32 v38, 32, v26
	v_subrev_u32_e32 v26, 28, v38
	v_lshlrev_b64 v[26:27], v26, v[6:7]
	v_lshrrev_b32_e32 v36, 3, v7
	v_sub_u32_e32 v27, 29, v38
	v_and_b32_e32 v26, 7, v26
	v_cmp_gt_u32_e64 s[8:9], 8, v7
	v_cndmask_b32_e64 v7, v36, v27, s[8:9]
	v_cndmask_b32_e64 v8, v8, v26, s[8:9]
	v_lshlrev_b32_e32 v6, 24, v6
	v_lshlrev_b32_e32 v8, 20, v8
	v_and_b32_e32 v6, 0x80000000, v6
	v_lshl_add_u32 v7, v7, 23, v40
	v_or3_b32 v8, v6, v7, v8
.LBB405_1885:                           ;   in Loop: Header=BB405_1323 Depth=1
	s_or_b64 exec, exec, s[30:31]
.LBB405_1886:                           ;   in Loop: Header=BB405_1323 Depth=1
	s_or_b64 exec, exec, s[28:29]
.LBB405_1887:                           ;   in Loop: Header=BB405_1323 Depth=1
	s_or_b64 exec, exec, s[18:19]
	v_mul_f32_e32 v6, v23, v8
	v_and_b32_e32 v7, 0x7f800000, v6
	v_cmp_ne_u32_e64 s[8:9], s15, v7
                                        ; implicit-def: $vgpr26
	s_and_saveexec_b64 s[18:19], s[8:9]
	s_xor_b64 s[8:9], exec, s[18:19]
; %bb.1888:                             ;   in Loop: Header=BB405_1323 Depth=1
	v_bfe_u32 v7, v6, 16, 1
	v_add3_u32 v26, v6, v7, s25
                                        ; implicit-def: $vgpr6
; %bb.1889:                             ;   in Loop: Header=BB405_1323 Depth=1
	s_andn2_saveexec_b64 s[18:19], s[8:9]
; %bb.1890:                             ;   in Loop: Header=BB405_1323 Depth=1
	v_or_b32_e32 v7, 0x10000, v6
	v_cmp_eq_u32_sdwa s[8:9], v6, v37 src0_sel:WORD_0 src1_sel:DWORD
	v_cndmask_b32_e64 v26, v7, v6, s[8:9]
; %bb.1891:                             ;   in Loop: Header=BB405_1323 Depth=1
	s_or_b64 exec, exec, s[18:19]
	v_lshrrev_b32_e32 v6, 16, v16
	v_lshrrev_b32_e32 v7, 16, v11
	;; [unrolled: 1-line block ×8, first 2 shown]
	s_and_saveexec_b64 s[18:19], vcc
	s_cbranch_execz .LBB405_1893
; %bb.1892:                             ;   in Loop: Header=BB405_1323 Depth=1
	v_accvgpr_read_b32 v16, a31
	v_cmp_lt_i32_e64 s[8:9], v16, v49
	v_accvgpr_read_b32 v16, a37
	v_cndmask_b32_e64 v11, 0, v11, s[8:9]
	v_cmp_lt_i32_e64 s[8:9], v16, v49
	v_accvgpr_read_b32 v16, a36
	v_cndmask_b32_e64 v10, 0, v10, s[8:9]
	;; [unrolled: 3-line block ×6, first 2 shown]
	v_cmp_lt_i32_e64 s[8:9], v16, v49
	v_cndmask_b32_e64 v5, 0, v5, s[8:9]
	v_cmp_lt_i32_e64 s[8:9], v17, v49
	v_cndmask_b32_e64 v4, 0, v4, s[8:9]
.LBB405_1893:                           ;   in Loop: Header=BB405_1323 Depth=1
	s_or_b64 exec, exec, s[18:19]
	v_lshlrev_b32_e32 v11, 16, v11
	v_accvgpr_read_b32 v16, a38
	v_mul_f32_e32 v11, v16, v11
	v_and_b32_e32 v16, 0x7f800000, v11
	v_cmp_ne_u32_e64 s[8:9], s15, v16
                                        ; implicit-def: $vgpr16
                                        ; kill: killed $vgpr16
	s_and_saveexec_b64 s[18:19], s[8:9]
	s_xor_b64 s[8:9], exec, s[18:19]
	s_cbranch_execz .LBB405_1895
; %bb.1894:                             ;   in Loop: Header=BB405_1323 Depth=1
	v_bfe_u32 v16, v11, 16, 1
	v_add3_u32 v11, v11, v16, s25
	buffer_store_dword v11, off, s[0:3], s32 offset:336 ; 4-byte Folded Spill
                                        ; implicit-def: $vgpr11
.LBB405_1895:                           ;   in Loop: Header=BB405_1323 Depth=1
	s_andn2_saveexec_b64 s[18:19], s[8:9]
	s_cbranch_execz .LBB405_1897
; %bb.1896:                             ;   in Loop: Header=BB405_1323 Depth=1
	v_or_b32_e32 v16, 0x10000, v11
	v_cmp_eq_u32_sdwa s[8:9], v11, v37 src0_sel:WORD_0 src1_sel:DWORD
	v_cndmask_b32_e64 v11, v16, v11, s[8:9]
	buffer_store_dword v11, off, s[0:3], s32 offset:336 ; 4-byte Folded Spill
.LBB405_1897:                           ;   in Loop: Header=BB405_1323 Depth=1
	s_or_b64 exec, exec, s[18:19]
	v_lshlrev_b32_e32 v10, 16, v10
	v_mul_f32_e32 v10, v53, v10
	v_and_b32_e32 v11, 0x7f800000, v10
	v_cmp_ne_u32_e64 s[8:9], s15, v11
                                        ; implicit-def: $vgpr11
                                        ; kill: killed $vgpr11
	s_and_saveexec_b64 s[18:19], s[8:9]
	s_xor_b64 s[8:9], exec, s[18:19]
	s_cbranch_execz .LBB405_1899
; %bb.1898:                             ;   in Loop: Header=BB405_1323 Depth=1
	v_bfe_u32 v11, v10, 16, 1
	v_add3_u32 v10, v10, v11, s25
	buffer_store_dword v10, off, s[0:3], s32 offset:340 ; 4-byte Folded Spill
                                        ; implicit-def: $vgpr10
.LBB405_1899:                           ;   in Loop: Header=BB405_1323 Depth=1
	s_andn2_saveexec_b64 s[18:19], s[8:9]
	s_cbranch_execz .LBB405_1901
; %bb.1900:                             ;   in Loop: Header=BB405_1323 Depth=1
	v_or_b32_e32 v11, 0x10000, v10
	v_cmp_eq_u32_sdwa s[8:9], v10, v37 src0_sel:WORD_0 src1_sel:DWORD
	v_cndmask_b32_e64 v10, v11, v10, s[8:9]
	buffer_store_dword v10, off, s[0:3], s32 offset:340 ; 4-byte Folded Spill
.LBB405_1901:                           ;   in Loop: Header=BB405_1323 Depth=1
	s_or_b64 exec, exec, s[18:19]
	v_lshlrev_b32_e32 v9, 16, v9
	v_mul_f32_e32 v9, v45, v9
	v_and_b32_e32 v10, 0x7f800000, v9
	v_cmp_ne_u32_e64 s[8:9], s15, v10
                                        ; implicit-def: $vgpr10
                                        ; kill: killed $vgpr10
	s_and_saveexec_b64 s[18:19], s[8:9]
	s_xor_b64 s[8:9], exec, s[18:19]
	s_cbranch_execz .LBB405_1903
; %bb.1902:                             ;   in Loop: Header=BB405_1323 Depth=1
	v_bfe_u32 v10, v9, 16, 1
	v_add3_u32 v9, v9, v10, s25
	buffer_store_dword v9, off, s[0:3], s32 offset:344 ; 4-byte Folded Spill
                                        ; implicit-def: $vgpr9
.LBB405_1903:                           ;   in Loop: Header=BB405_1323 Depth=1
	s_andn2_saveexec_b64 s[18:19], s[8:9]
	s_cbranch_execz .LBB405_1905
; %bb.1904:                             ;   in Loop: Header=BB405_1323 Depth=1
	v_or_b32_e32 v10, 0x10000, v9
	v_cmp_eq_u32_sdwa s[8:9], v9, v37 src0_sel:WORD_0 src1_sel:DWORD
	v_cndmask_b32_e64 v9, v10, v9, s[8:9]
	buffer_store_dword v9, off, s[0:3], s32 offset:344 ; 4-byte Folded Spill
.LBB405_1905:                           ;   in Loop: Header=BB405_1323 Depth=1
	s_or_b64 exec, exec, s[18:19]
	v_lshlrev_b32_e32 v8, 16, v8
	v_mul_f32_e32 v8, v46, v8
	v_and_b32_e32 v9, 0x7f800000, v8
	v_cmp_ne_u32_e64 s[8:9], s15, v9
                                        ; implicit-def: $vgpr9
                                        ; kill: killed $vgpr9
	s_and_saveexec_b64 s[18:19], s[8:9]
	s_xor_b64 s[8:9], exec, s[18:19]
	s_cbranch_execz .LBB405_1907
; %bb.1906:                             ;   in Loop: Header=BB405_1323 Depth=1
	v_bfe_u32 v9, v8, 16, 1
	v_add3_u32 v8, v8, v9, s25
	buffer_store_dword v8, off, s[0:3], s32 offset:348 ; 4-byte Folded Spill
                                        ; implicit-def: $vgpr8
.LBB405_1907:                           ;   in Loop: Header=BB405_1323 Depth=1
	s_andn2_saveexec_b64 s[18:19], s[8:9]
	s_cbranch_execz .LBB405_1909
; %bb.1908:                             ;   in Loop: Header=BB405_1323 Depth=1
	v_or_b32_e32 v9, 0x10000, v8
	v_cmp_eq_u32_sdwa s[8:9], v8, v37 src0_sel:WORD_0 src1_sel:DWORD
	v_cndmask_b32_e64 v8, v9, v8, s[8:9]
	buffer_store_dword v8, off, s[0:3], s32 offset:348 ; 4-byte Folded Spill
.LBB405_1909:                           ;   in Loop: Header=BB405_1323 Depth=1
	s_or_b64 exec, exec, s[18:19]
	v_lshlrev_b32_e32 v7, 16, v7
	v_mul_f32_e32 v7, v48, v7
	v_and_b32_e32 v8, 0x7f800000, v7
	v_cmp_ne_u32_e64 s[8:9], s15, v8
                                        ; implicit-def: $vgpr8
                                        ; kill: killed $vgpr8
	s_and_saveexec_b64 s[18:19], s[8:9]
	s_xor_b64 s[8:9], exec, s[18:19]
	s_cbranch_execz .LBB405_1911
; %bb.1910:                             ;   in Loop: Header=BB405_1323 Depth=1
	v_bfe_u32 v8, v7, 16, 1
	v_add3_u32 v7, v7, v8, s25
	buffer_store_dword v7, off, s[0:3], s32 offset:352 ; 4-byte Folded Spill
                                        ; implicit-def: $vgpr7
.LBB405_1911:                           ;   in Loop: Header=BB405_1323 Depth=1
	s_andn2_saveexec_b64 s[18:19], s[8:9]
	s_cbranch_execz .LBB405_1913
; %bb.1912:                             ;   in Loop: Header=BB405_1323 Depth=1
	v_or_b32_e32 v8, 0x10000, v7
	v_cmp_eq_u32_sdwa s[8:9], v7, v37 src0_sel:WORD_0 src1_sel:DWORD
	v_cndmask_b32_e64 v7, v8, v7, s[8:9]
	buffer_store_dword v7, off, s[0:3], s32 offset:352 ; 4-byte Folded Spill
.LBB405_1913:                           ;   in Loop: Header=BB405_1323 Depth=1
	s_or_b64 exec, exec, s[18:19]
	v_lshlrev_b32_e32 v6, 16, v6
	v_mul_f32_e32 v6, v62, v6
	v_and_b32_e32 v7, 0x7f800000, v6
	v_cmp_ne_u32_e64 s[8:9], s15, v7
                                        ; implicit-def: $vgpr7
                                        ; kill: killed $vgpr7
	s_and_saveexec_b64 s[18:19], s[8:9]
	s_xor_b64 s[8:9], exec, s[18:19]
	s_cbranch_execz .LBB405_1915
; %bb.1914:                             ;   in Loop: Header=BB405_1323 Depth=1
	v_bfe_u32 v7, v6, 16, 1
	v_add3_u32 v6, v6, v7, s25
	buffer_store_dword v6, off, s[0:3], s32 offset:356 ; 4-byte Folded Spill
                                        ; implicit-def: $vgpr6
.LBB405_1915:                           ;   in Loop: Header=BB405_1323 Depth=1
	s_andn2_saveexec_b64 s[18:19], s[8:9]
	s_cbranch_execz .LBB405_1917
; %bb.1916:                             ;   in Loop: Header=BB405_1323 Depth=1
	v_or_b32_e32 v7, 0x10000, v6
	v_cmp_eq_u32_sdwa s[8:9], v6, v37 src0_sel:WORD_0 src1_sel:DWORD
	v_cndmask_b32_e64 v6, v7, v6, s[8:9]
	buffer_store_dword v6, off, s[0:3], s32 offset:356 ; 4-byte Folded Spill
.LBB405_1917:                           ;   in Loop: Header=BB405_1323 Depth=1
	s_or_b64 exec, exec, s[18:19]
	v_lshlrev_b32_e32 v5, 16, v5
	v_mul_f32_e32 v5, v55, v5
	v_and_b32_e32 v6, 0x7f800000, v5
	v_cmp_ne_u32_e64 s[8:9], s15, v6
                                        ; implicit-def: $vgpr6
                                        ; kill: killed $vgpr6
	s_and_saveexec_b64 s[18:19], s[8:9]
	s_xor_b64 s[8:9], exec, s[18:19]
	s_cbranch_execz .LBB405_1919
; %bb.1918:                             ;   in Loop: Header=BB405_1323 Depth=1
	v_bfe_u32 v6, v5, 16, 1
	v_add3_u32 v5, v5, v6, s25
	buffer_store_dword v5, off, s[0:3], s32 offset:360 ; 4-byte Folded Spill
                                        ; implicit-def: $vgpr5
.LBB405_1919:                           ;   in Loop: Header=BB405_1323 Depth=1
	s_andn2_saveexec_b64 s[18:19], s[8:9]
	s_cbranch_execz .LBB405_1921
; %bb.1920:                             ;   in Loop: Header=BB405_1323 Depth=1
	v_or_b32_e32 v6, 0x10000, v5
	v_cmp_eq_u32_sdwa s[8:9], v5, v37 src0_sel:WORD_0 src1_sel:DWORD
	v_cndmask_b32_e64 v5, v6, v5, s[8:9]
	buffer_store_dword v5, off, s[0:3], s32 offset:360 ; 4-byte Folded Spill
.LBB405_1921:                           ;   in Loop: Header=BB405_1323 Depth=1
	s_or_b64 exec, exec, s[18:19]
	v_lshlrev_b32_e32 v4, 16, v4
	v_mul_f32_e32 v4, v52, v4
	v_and_b32_e32 v5, 0x7f800000, v4
	v_cmp_ne_u32_e64 s[8:9], s15, v5
                                        ; implicit-def: $vgpr5
                                        ; kill: killed $vgpr5
	s_and_saveexec_b64 s[18:19], s[8:9]
	s_xor_b64 s[8:9], exec, s[18:19]
	s_cbranch_execz .LBB405_1923
; %bb.1922:                             ;   in Loop: Header=BB405_1323 Depth=1
	v_bfe_u32 v5, v4, 16, 1
	v_add3_u32 v4, v4, v5, s25
	buffer_store_dword v4, off, s[0:3], s32 offset:364 ; 4-byte Folded Spill
                                        ; implicit-def: $vgpr4
.LBB405_1923:                           ;   in Loop: Header=BB405_1323 Depth=1
	s_andn2_saveexec_b64 s[18:19], s[8:9]
	s_cbranch_execz .LBB405_1925
; %bb.1924:                             ;   in Loop: Header=BB405_1323 Depth=1
	v_or_b32_e32 v5, 0x10000, v4
	v_cmp_eq_u32_sdwa s[8:9], v4, v37 src0_sel:WORD_0 src1_sel:DWORD
	v_cndmask_b32_e64 v4, v5, v4, s[8:9]
	buffer_store_dword v4, off, s[0:3], s32 offset:364 ; 4-byte Folded Spill
.LBB405_1925:                           ;   in Loop: Header=BB405_1323 Depth=1
	s_or_b64 exec, exec, s[18:19]
	flat_load_dwordx2 v[6:7], v[2:3] offset:2560
	v_mov_b32_e32 v4, 0
	s_waitcnt vmcnt(0) lgkmcnt(0)
	v_cmp_ne_u16_sdwa s[8:9], v6, v37 src0_sel:BYTE_0 src1_sel:DWORD
	s_and_saveexec_b64 s[18:19], s[8:9]
	s_cbranch_execz .LBB405_1931
; %bb.1926:                             ;   in Loop: Header=BB405_1323 Depth=1
	v_cmp_ne_u16_sdwa s[8:9], v6, s34 src0_sel:BYTE_0 src1_sel:DWORD
	v_bfrev_b32_e32 v4, 1
	s_and_saveexec_b64 s[28:29], s[8:9]
	s_cbranch_execz .LBB405_1930
; %bb.1927:                             ;   in Loop: Header=BB405_1323 Depth=1
	v_and_b32_e32 v5, 0x7f, v6
	v_cmp_ne_u32_e64 s[8:9], s35, v5
	v_mov_b32_e32 v4, 0x7f800001
	s_and_saveexec_b64 s[30:31], s[8:9]
	s_cbranch_execz .LBB405_1929
; %bb.1928:                             ;   in Loop: Header=BB405_1323 Depth=1
	v_and_b32_e32 v4, 7, v6
	v_ffbh_u32_e32 v4, v4
	v_min_u32_e32 v4, 32, v4
	v_lshrrev_b32_e32 v8, 3, v5
	v_subrev_u32_e32 v9, 28, v4
	v_sub_u32_e32 v4, 29, v4
	v_cmp_gt_u32_e64 s[8:9], 8, v5
	v_cndmask_b32_e64 v8, v8, v4, s[8:9]
	v_cndmask_b32_e64 v4, 0, v9, s[8:9]
	v_lshlrev_b64 v[4:5], v4, v[6:7]
	v_lshlrev_b32_e32 v4, 20, v4
	v_lshlrev_b32_e32 v5, 24, v6
	v_and_b32_e32 v4, 0x700000, v4
	v_and_b32_e32 v5, 0x80000000, v5
	v_lshl_add_u32 v8, v8, 23, v40
	v_or3_b32 v4, v5, v8, v4
.LBB405_1929:                           ;   in Loop: Header=BB405_1323 Depth=1
	s_or_b64 exec, exec, s[30:31]
.LBB405_1930:                           ;   in Loop: Header=BB405_1323 Depth=1
	s_or_b64 exec, exec, s[28:29]
.LBB405_1931:                           ;   in Loop: Header=BB405_1323 Depth=1
	s_or_b64 exec, exec, s[18:19]
	v_mul_f32_e32 v5, v23, v4
	v_and_b32_e32 v4, 0x7f800000, v5
	v_cmp_ne_u32_e64 s[8:9], s15, v4
                                        ; implicit-def: $vgpr4
	s_and_saveexec_b64 s[18:19], s[8:9]
	s_xor_b64 s[8:9], exec, s[18:19]
; %bb.1932:                             ;   in Loop: Header=BB405_1323 Depth=1
	v_bfe_u32 v4, v5, 16, 1
	v_add3_u32 v4, v5, v4, s25
                                        ; implicit-def: $vgpr5
; %bb.1933:                             ;   in Loop: Header=BB405_1323 Depth=1
	s_andn2_saveexec_b64 s[18:19], s[8:9]
; %bb.1934:                             ;   in Loop: Header=BB405_1323 Depth=1
	v_or_b32_e32 v4, 0x10000, v5
	v_cmp_eq_u32_sdwa s[8:9], v5, v37 src0_sel:WORD_0 src1_sel:DWORD
	v_cndmask_b32_e64 v4, v4, v5, s[8:9]
; %bb.1935:                             ;   in Loop: Header=BB405_1323 Depth=1
	s_or_b64 exec, exec, s[18:19]
	v_lshrrev_b16_e32 v8, 8, v6
	v_cmp_ne_u16_e64 s[8:9], 0, v8
	v_mov_b32_e32 v5, 0
	s_and_saveexec_b64 s[18:19], s[8:9]
	s_cbranch_execz .LBB405_1941
; %bb.1936:                             ;   in Loop: Header=BB405_1323 Depth=1
	v_cmp_ne_u16_e64 s[8:9], s34, v8
	v_bfrev_b32_e32 v5, 1
	s_and_saveexec_b64 s[28:29], s[8:9]
	s_cbranch_execz .LBB405_1940
; %bb.1937:                             ;   in Loop: Header=BB405_1323 Depth=1
	v_and_b32_e32 v9, 0x7f, v8
	v_cmp_ne_u32_e64 s[8:9], s35, v9
	v_mov_b32_e32 v5, 0x7f800001
	s_and_saveexec_b64 s[30:31], s[8:9]
	s_cbranch_execz .LBB405_1939
; %bb.1938:                             ;   in Loop: Header=BB405_1323 Depth=1
	v_and_b32_e32 v5, 7, v8
	v_ffbh_u32_e32 v10, v5
	v_min_u32_e32 v22, 32, v10
	v_subrev_u32_e32 v10, 28, v22
	v_lshlrev_b64 v[10:11], v10, v[8:9]
	v_lshrrev_b32_e32 v16, 3, v9
	v_sub_u32_e32 v8, 29, v22
	v_and_b32_e32 v10, 7, v10
	v_cmp_gt_u32_e64 s[8:9], 8, v9
	v_cndmask_b32_e64 v8, v16, v8, s[8:9]
	v_cndmask_b32_e64 v5, v5, v10, s[8:9]
	v_lshlrev_b32_e32 v9, 16, v6
	v_lshlrev_b32_e32 v5, 20, v5
	v_and_b32_e32 v9, 0x80000000, v9
	v_lshl_add_u32 v8, v8, 23, v40
	v_or3_b32 v5, v9, v8, v5
.LBB405_1939:                           ;   in Loop: Header=BB405_1323 Depth=1
	s_or_b64 exec, exec, s[30:31]
.LBB405_1940:                           ;   in Loop: Header=BB405_1323 Depth=1
	s_or_b64 exec, exec, s[28:29]
.LBB405_1941:                           ;   in Loop: Header=BB405_1323 Depth=1
	s_or_b64 exec, exec, s[18:19]
	v_mul_f32_e32 v8, v23, v5
	v_and_b32_e32 v5, 0x7f800000, v8
	v_cmp_ne_u32_e64 s[8:9], s15, v5
                                        ; implicit-def: $vgpr5
	s_and_saveexec_b64 s[18:19], s[8:9]
	s_xor_b64 s[8:9], exec, s[18:19]
; %bb.1942:                             ;   in Loop: Header=BB405_1323 Depth=1
	v_bfe_u32 v5, v8, 16, 1
	v_add3_u32 v5, v8, v5, s25
                                        ; implicit-def: $vgpr8
; %bb.1943:                             ;   in Loop: Header=BB405_1323 Depth=1
	s_andn2_saveexec_b64 s[18:19], s[8:9]
; %bb.1944:                             ;   in Loop: Header=BB405_1323 Depth=1
	v_or_b32_e32 v5, 0x10000, v8
	v_cmp_eq_u32_sdwa s[8:9], v8, v37 src0_sel:WORD_0 src1_sel:DWORD
	v_cndmask_b32_e64 v5, v5, v8, s[8:9]
; %bb.1945:                             ;   in Loop: Header=BB405_1323 Depth=1
	s_or_b64 exec, exec, s[18:19]
	v_lshrrev_b32_e32 v8, 16, v6
	v_cmp_ne_u16_sdwa s[8:9], v8, v37 src0_sel:BYTE_0 src1_sel:DWORD
	v_mov_b32_e32 v9, 0
	s_and_saveexec_b64 s[18:19], s[8:9]
	s_cbranch_execz .LBB405_1951
; %bb.1946:                             ;   in Loop: Header=BB405_1323 Depth=1
	v_cmp_ne_u16_sdwa s[8:9], v8, s34 src0_sel:BYTE_0 src1_sel:DWORD
	v_bfrev_b32_e32 v9, 1
	s_and_saveexec_b64 s[28:29], s[8:9]
	s_cbranch_execz .LBB405_1950
; %bb.1947:                             ;   in Loop: Header=BB405_1323 Depth=1
	v_bfe_u32 v10, v6, 16, 7
	v_cmp_ne_u32_e64 s[8:9], s35, v10
	v_mov_b32_e32 v9, 0x7f800001
	s_and_saveexec_b64 s[30:31], s[8:9]
	s_cbranch_execz .LBB405_1949
; %bb.1948:                             ;   in Loop: Header=BB405_1323 Depth=1
	v_and_b32_e32 v9, 7, v8
	v_ffbh_u32_e32 v16, v9
	v_min_u32_e32 v16, 32, v16
	v_subrev_u32_e32 v22, 28, v16
	v_lshlrev_b64 v[26:27], v22, v[8:9]
	v_lshrrev_b32_e32 v11, 3, v10
	v_sub_u32_e32 v16, 29, v16
	v_and_b32_e32 v22, 7, v26
	v_cmp_gt_u32_e64 s[8:9], 8, v10
	v_cndmask_b32_e64 v10, v11, v16, s[8:9]
	v_cndmask_b32_e64 v9, v9, v22, s[8:9]
	v_lshlrev_b32_e32 v8, 24, v8
	v_lshlrev_b32_e32 v9, 20, v9
	v_and_b32_e32 v8, 0x80000000, v8
	v_lshl_add_u32 v10, v10, 23, v40
	v_or3_b32 v9, v8, v10, v9
.LBB405_1949:                           ;   in Loop: Header=BB405_1323 Depth=1
	s_or_b64 exec, exec, s[30:31]
.LBB405_1950:                           ;   in Loop: Header=BB405_1323 Depth=1
	s_or_b64 exec, exec, s[28:29]
.LBB405_1951:                           ;   in Loop: Header=BB405_1323 Depth=1
	s_or_b64 exec, exec, s[18:19]
	v_mul_f32_e32 v8, v23, v9
	v_and_b32_e32 v9, 0x7f800000, v8
	v_cmp_ne_u32_e64 s[8:9], s15, v9
                                        ; implicit-def: $vgpr9
	s_and_saveexec_b64 s[18:19], s[8:9]
	s_xor_b64 s[8:9], exec, s[18:19]
; %bb.1952:                             ;   in Loop: Header=BB405_1323 Depth=1
	v_bfe_u32 v9, v8, 16, 1
	v_add3_u32 v9, v8, v9, s25
                                        ; implicit-def: $vgpr8
; %bb.1953:                             ;   in Loop: Header=BB405_1323 Depth=1
	s_andn2_saveexec_b64 s[18:19], s[8:9]
; %bb.1954:                             ;   in Loop: Header=BB405_1323 Depth=1
	v_or_b32_e32 v9, 0x10000, v8
	v_cmp_eq_u32_sdwa s[8:9], v8, v37 src0_sel:WORD_0 src1_sel:DWORD
	v_cndmask_b32_e64 v9, v9, v8, s[8:9]
; %bb.1955:                             ;   in Loop: Header=BB405_1323 Depth=1
	s_or_b64 exec, exec, s[18:19]
	v_cmp_lt_u32_e64 s[8:9], s13, v6
	v_mov_b32_e32 v10, 0
	s_and_saveexec_b64 s[18:19], s[8:9]
	s_cbranch_execz .LBB405_1961
; %bb.1956:                             ;   in Loop: Header=BB405_1323 Depth=1
	v_lshrrev_b32_e32 v8, 24, v6
	v_cmp_ne_u32_e64 s[8:9], s34, v8
	v_bfrev_b32_e32 v10, 1
	s_and_saveexec_b64 s[28:29], s[8:9]
	s_cbranch_execz .LBB405_1960
; %bb.1957:                             ;   in Loop: Header=BB405_1323 Depth=1
	v_bfe_u32 v11, v6, 24, 7
	v_cmp_ne_u32_e64 s[8:9], s35, v11
	v_mov_b32_e32 v10, 0x7f800001
	s_and_saveexec_b64 s[30:31], s[8:9]
	s_cbranch_execz .LBB405_1959
; %bb.1958:                             ;   in Loop: Header=BB405_1323 Depth=1
	v_and_b32_e32 v10, 7, v8
	v_ffbh_u32_e32 v22, v10
	v_min_u32_e32 v22, 32, v22
	v_subrev_u32_e32 v26, 28, v22
	v_lshlrev_b64 v[26:27], v26, v[8:9]
	v_lshrrev_b32_e32 v16, 3, v11
	v_sub_u32_e32 v22, 29, v22
	v_and_b32_e32 v26, 7, v26
	v_cmp_gt_u32_e64 s[8:9], 8, v11
	v_cndmask_b32_e64 v11, v16, v22, s[8:9]
	v_cndmask_b32_e64 v10, v10, v26, s[8:9]
	v_lshlrev_b32_e32 v8, 24, v8
	v_lshlrev_b32_e32 v10, 20, v10
	v_and_b32_e32 v8, 0x80000000, v8
	v_lshl_add_u32 v11, v11, 23, v40
	v_or3_b32 v10, v8, v11, v10
.LBB405_1959:                           ;   in Loop: Header=BB405_1323 Depth=1
	s_or_b64 exec, exec, s[30:31]
.LBB405_1960:                           ;   in Loop: Header=BB405_1323 Depth=1
	s_or_b64 exec, exec, s[28:29]
.LBB405_1961:                           ;   in Loop: Header=BB405_1323 Depth=1
	s_or_b64 exec, exec, s[18:19]
	v_mul_f32_e32 v8, v23, v10
	v_and_b32_e32 v10, 0x7f800000, v8
	v_cmp_ne_u32_e64 s[8:9], s15, v10
                                        ; implicit-def: $vgpr10
	s_and_saveexec_b64 s[18:19], s[8:9]
	s_xor_b64 s[8:9], exec, s[18:19]
; %bb.1962:                             ;   in Loop: Header=BB405_1323 Depth=1
	v_bfe_u32 v10, v8, 16, 1
	v_add3_u32 v10, v8, v10, s25
                                        ; implicit-def: $vgpr8
; %bb.1963:                             ;   in Loop: Header=BB405_1323 Depth=1
	s_andn2_saveexec_b64 s[18:19], s[8:9]
; %bb.1964:                             ;   in Loop: Header=BB405_1323 Depth=1
	v_or_b32_e32 v10, 0x10000, v8
	v_cmp_eq_u32_sdwa s[8:9], v8, v37 src0_sel:WORD_0 src1_sel:DWORD
	v_cndmask_b32_e64 v10, v10, v8, s[8:9]
; %bb.1965:                             ;   in Loop: Header=BB405_1323 Depth=1
	s_or_b64 exec, exec, s[18:19]
	v_mov_b32_e32 v36, v7
	v_cmp_ne_u16_sdwa s[8:9], v7, v37 src0_sel:BYTE_0 src1_sel:DWORD
	v_mov_b32_e32 v8, 0
	s_and_saveexec_b64 s[18:19], s[8:9]
	s_cbranch_execz .LBB405_1971
; %bb.1966:                             ;   in Loop: Header=BB405_1323 Depth=1
	v_cmp_ne_u16_sdwa s[8:9], v7, s34 src0_sel:BYTE_0 src1_sel:DWORD
	v_bfrev_b32_e32 v8, 1
	s_and_saveexec_b64 s[28:29], s[8:9]
	s_cbranch_execz .LBB405_1970
; %bb.1967:                             ;   in Loop: Header=BB405_1323 Depth=1
	v_and_b32_e32 v11, 0x7f, v7
	v_cmp_ne_u32_e64 s[8:9], s35, v11
	v_mov_b32_e32 v8, 0x7f800001
	s_and_saveexec_b64 s[30:31], s[8:9]
	s_cbranch_execz .LBB405_1969
; %bb.1968:                             ;   in Loop: Header=BB405_1323 Depth=1
	v_and_b32_e32 v8, 7, v7
	v_ffbh_u32_e32 v8, v8
	v_min_u32_e32 v8, 32, v8
	v_subrev_u32_e32 v22, 28, v8
	v_cmp_gt_u32_e64 s[8:9], 8, v11
	v_lshrrev_b32_e32 v16, 3, v11
	v_cndmask_b32_e64 v11, 0, v22, s[8:9]
	v_sub_u32_e32 v8, 29, v8
	v_lshlrev_b64 v[26:27], v11, v[36:37]
	v_cndmask_b32_e64 v8, v16, v8, s[8:9]
	v_lshlrev_b32_e32 v11, 20, v26
	v_lshlrev_b32_e32 v16, 24, v36
	v_and_b32_e32 v11, 0x700000, v11
	v_and_b32_e32 v16, 0x80000000, v16
	v_lshl_add_u32 v8, v8, 23, v40
	v_or3_b32 v8, v16, v8, v11
.LBB405_1969:                           ;   in Loop: Header=BB405_1323 Depth=1
	s_or_b64 exec, exec, s[30:31]
.LBB405_1970:                           ;   in Loop: Header=BB405_1323 Depth=1
	s_or_b64 exec, exec, s[28:29]
.LBB405_1971:                           ;   in Loop: Header=BB405_1323 Depth=1
	s_or_b64 exec, exec, s[18:19]
	v_mul_f32_e32 v8, v23, v8
	v_and_b32_e32 v11, 0x7f800000, v8
	v_cmp_ne_u32_e64 s[8:9], s15, v11
                                        ; implicit-def: $vgpr11
	s_and_saveexec_b64 s[18:19], s[8:9]
	s_xor_b64 s[8:9], exec, s[18:19]
; %bb.1972:                             ;   in Loop: Header=BB405_1323 Depth=1
	v_bfe_u32 v11, v8, 16, 1
	v_add3_u32 v11, v8, v11, s25
                                        ; implicit-def: $vgpr8
; %bb.1973:                             ;   in Loop: Header=BB405_1323 Depth=1
	s_andn2_saveexec_b64 s[18:19], s[8:9]
; %bb.1974:                             ;   in Loop: Header=BB405_1323 Depth=1
	v_or_b32_e32 v11, 0x10000, v8
	v_cmp_eq_u32_sdwa s[8:9], v8, v37 src0_sel:WORD_0 src1_sel:DWORD
	v_cndmask_b32_e64 v11, v11, v8, s[8:9]
; %bb.1975:                             ;   in Loop: Header=BB405_1323 Depth=1
	s_or_b64 exec, exec, s[18:19]
	v_lshrrev_b16_e32 v8, 8, v36
	v_cmp_ne_u16_e64 s[8:9], 0, v8
	v_mov_b32_e32 v16, 0
	s_and_saveexec_b64 s[18:19], s[8:9]
	s_cbranch_execz .LBB405_1981
; %bb.1976:                             ;   in Loop: Header=BB405_1323 Depth=1
	v_cmp_ne_u16_e64 s[8:9], s34, v8
	v_bfrev_b32_e32 v16, 1
	s_and_saveexec_b64 s[28:29], s[8:9]
	s_cbranch_execz .LBB405_1980
; %bb.1977:                             ;   in Loop: Header=BB405_1323 Depth=1
	v_and_b32_e32 v22, 0x7f, v8
	v_cmp_ne_u32_e64 s[8:9], s35, v22
	v_mov_b32_e32 v16, 0x7f800001
	s_and_saveexec_b64 s[30:31], s[8:9]
	s_cbranch_execz .LBB405_1979
; %bb.1978:                             ;   in Loop: Header=BB405_1323 Depth=1
	v_and_b32_e32 v16, 7, v8
	v_ffbh_u32_e32 v26, v16
	v_min_u32_e32 v39, 32, v26
	v_subrev_u32_e32 v26, 28, v39
	v_lshlrev_b64 v[26:27], v26, v[8:9]
	v_lshrrev_b32_e32 v38, 3, v22
	v_sub_u32_e32 v8, 29, v39
	v_and_b32_e32 v26, 7, v26
	v_cmp_gt_u32_e64 s[8:9], 8, v22
	v_cndmask_b32_e64 v8, v38, v8, s[8:9]
	v_cndmask_b32_e64 v16, v16, v26, s[8:9]
	v_lshlrev_b32_e32 v22, 16, v36
	v_lshlrev_b32_e32 v16, 20, v16
	v_and_b32_e32 v22, 0x80000000, v22
	v_lshl_add_u32 v8, v8, 23, v40
	v_or3_b32 v16, v22, v8, v16
.LBB405_1979:                           ;   in Loop: Header=BB405_1323 Depth=1
	s_or_b64 exec, exec, s[30:31]
.LBB405_1980:                           ;   in Loop: Header=BB405_1323 Depth=1
	s_or_b64 exec, exec, s[28:29]
.LBB405_1981:                           ;   in Loop: Header=BB405_1323 Depth=1
	s_or_b64 exec, exec, s[18:19]
	v_mul_f32_e32 v8, v23, v16
	v_and_b32_e32 v16, 0x7f800000, v8
	v_cmp_ne_u32_e64 s[8:9], s15, v16
                                        ; implicit-def: $vgpr16
	s_and_saveexec_b64 s[18:19], s[8:9]
	s_xor_b64 s[8:9], exec, s[18:19]
; %bb.1982:                             ;   in Loop: Header=BB405_1323 Depth=1
	v_bfe_u32 v16, v8, 16, 1
	v_add3_u32 v16, v8, v16, s25
                                        ; implicit-def: $vgpr8
; %bb.1983:                             ;   in Loop: Header=BB405_1323 Depth=1
	s_andn2_saveexec_b64 s[18:19], s[8:9]
; %bb.1984:                             ;   in Loop: Header=BB405_1323 Depth=1
	v_or_b32_e32 v16, 0x10000, v8
	v_cmp_eq_u32_sdwa s[8:9], v8, v37 src0_sel:WORD_0 src1_sel:DWORD
	v_cndmask_b32_e64 v16, v16, v8, s[8:9]
; %bb.1985:                             ;   in Loop: Header=BB405_1323 Depth=1
	s_or_b64 exec, exec, s[18:19]
	v_lshrrev_b32_e32 v8, 16, v7
	v_cmp_ne_u16_sdwa s[8:9], v8, v37 src0_sel:BYTE_0 src1_sel:DWORD
	v_mov_b32_e32 v22, 0
	s_and_saveexec_b64 s[18:19], s[8:9]
	s_cbranch_execz .LBB405_1991
; %bb.1986:                             ;   in Loop: Header=BB405_1323 Depth=1
	v_cmp_ne_u16_sdwa s[8:9], v8, s34 src0_sel:BYTE_0 src1_sel:DWORD
	v_bfrev_b32_e32 v22, 1
	s_and_saveexec_b64 s[28:29], s[8:9]
	s_cbranch_execz .LBB405_1990
; %bb.1987:                             ;   in Loop: Header=BB405_1323 Depth=1
	v_bfe_u32 v26, v7, 16, 7
	v_cmp_ne_u32_e64 s[8:9], s35, v26
	v_mov_b32_e32 v22, 0x7f800001
	s_and_saveexec_b64 s[30:31], s[8:9]
	s_cbranch_execz .LBB405_1989
; %bb.1988:                             ;   in Loop: Header=BB405_1323 Depth=1
	v_and_b32_e32 v22, 7, v8
	v_ffbh_u32_e32 v36, v22
	v_min_u32_e32 v36, 32, v36
	v_subrev_u32_e32 v38, 28, v36
	v_lshlrev_b64 v[38:39], v38, v[8:9]
	v_lshrrev_b32_e32 v27, 3, v26
	v_sub_u32_e32 v36, 29, v36
	v_and_b32_e32 v38, 7, v38
	v_cmp_gt_u32_e64 s[8:9], 8, v26
	v_cndmask_b32_e64 v26, v27, v36, s[8:9]
	v_cndmask_b32_e64 v22, v22, v38, s[8:9]
	v_lshlrev_b32_e32 v8, 24, v8
	v_lshlrev_b32_e32 v22, 20, v22
	v_and_b32_e32 v8, 0x80000000, v8
	v_lshl_add_u32 v26, v26, 23, v40
	v_or3_b32 v22, v8, v26, v22
.LBB405_1989:                           ;   in Loop: Header=BB405_1323 Depth=1
	s_or_b64 exec, exec, s[30:31]
.LBB405_1990:                           ;   in Loop: Header=BB405_1323 Depth=1
	s_or_b64 exec, exec, s[28:29]
.LBB405_1991:                           ;   in Loop: Header=BB405_1323 Depth=1
	s_or_b64 exec, exec, s[18:19]
	v_mul_f32_e32 v8, v23, v22
	v_and_b32_e32 v22, 0x7f800000, v8
	v_cmp_ne_u32_e64 s[8:9], s15, v22
                                        ; implicit-def: $vgpr22
	s_and_saveexec_b64 s[18:19], s[8:9]
	s_xor_b64 s[8:9], exec, s[18:19]
; %bb.1992:                             ;   in Loop: Header=BB405_1323 Depth=1
	v_bfe_u32 v22, v8, 16, 1
	v_add3_u32 v22, v8, v22, s25
                                        ; implicit-def: $vgpr8
; %bb.1993:                             ;   in Loop: Header=BB405_1323 Depth=1
	s_andn2_saveexec_b64 s[18:19], s[8:9]
; %bb.1994:                             ;   in Loop: Header=BB405_1323 Depth=1
	v_or_b32_e32 v22, 0x10000, v8
	v_cmp_eq_u32_sdwa s[8:9], v8, v37 src0_sel:WORD_0 src1_sel:DWORD
	v_cndmask_b32_e64 v22, v22, v8, s[8:9]
; %bb.1995:                             ;   in Loop: Header=BB405_1323 Depth=1
	s_or_b64 exec, exec, s[18:19]
	v_cmp_lt_u64_e64 s[8:9], s[12:13], v[6:7]
	v_mov_b32_e32 v8, 0
	s_and_saveexec_b64 s[18:19], s[8:9]
	s_cbranch_execz .LBB405_2001
; %bb.1996:                             ;   in Loop: Header=BB405_1323 Depth=1
	v_lshrrev_b32_e32 v6, 24, v7
	v_cmp_ne_u32_e64 s[8:9], s34, v6
	v_bfrev_b32_e32 v8, 1
	s_and_saveexec_b64 s[28:29], s[8:9]
	s_cbranch_execz .LBB405_2000
; %bb.1997:                             ;   in Loop: Header=BB405_1323 Depth=1
	v_bfe_u32 v7, v7, 24, 7
	v_cmp_ne_u32_e64 s[8:9], s35, v7
	v_mov_b32_e32 v8, 0x7f800001
	s_and_saveexec_b64 s[30:31], s[8:9]
	s_cbranch_execz .LBB405_1999
; %bb.1998:                             ;   in Loop: Header=BB405_1323 Depth=1
	v_and_b32_e32 v8, 7, v6
	v_ffbh_u32_e32 v26, v8
	v_min_u32_e32 v38, 32, v26
	v_subrev_u32_e32 v26, 28, v38
	v_lshlrev_b64 v[26:27], v26, v[6:7]
	v_lshrrev_b32_e32 v36, 3, v7
	v_sub_u32_e32 v27, 29, v38
	v_and_b32_e32 v26, 7, v26
	v_cmp_gt_u32_e64 s[8:9], 8, v7
	v_cndmask_b32_e64 v7, v36, v27, s[8:9]
	v_cndmask_b32_e64 v8, v8, v26, s[8:9]
	v_lshlrev_b32_e32 v6, 24, v6
	v_lshlrev_b32_e32 v8, 20, v8
	v_and_b32_e32 v6, 0x80000000, v6
	v_lshl_add_u32 v7, v7, 23, v40
	v_or3_b32 v8, v6, v7, v8
.LBB405_1999:                           ;   in Loop: Header=BB405_1323 Depth=1
	s_or_b64 exec, exec, s[30:31]
.LBB405_2000:                           ;   in Loop: Header=BB405_1323 Depth=1
	s_or_b64 exec, exec, s[28:29]
.LBB405_2001:                           ;   in Loop: Header=BB405_1323 Depth=1
	s_or_b64 exec, exec, s[18:19]
	v_mul_f32_e32 v6, v23, v8
	v_and_b32_e32 v7, 0x7f800000, v6
	v_cmp_ne_u32_e64 s[8:9], s15, v7
                                        ; implicit-def: $vgpr26
	s_and_saveexec_b64 s[18:19], s[8:9]
	s_xor_b64 s[8:9], exec, s[18:19]
; %bb.2002:                             ;   in Loop: Header=BB405_1323 Depth=1
	v_bfe_u32 v7, v6, 16, 1
	v_add3_u32 v26, v6, v7, s25
                                        ; implicit-def: $vgpr6
; %bb.2003:                             ;   in Loop: Header=BB405_1323 Depth=1
	s_andn2_saveexec_b64 s[18:19], s[8:9]
; %bb.2004:                             ;   in Loop: Header=BB405_1323 Depth=1
	v_or_b32_e32 v7, 0x10000, v6
	v_cmp_eq_u32_sdwa s[8:9], v6, v37 src0_sel:WORD_0 src1_sel:DWORD
	v_cndmask_b32_e64 v26, v7, v6, s[8:9]
; %bb.2005:                             ;   in Loop: Header=BB405_1323 Depth=1
	s_or_b64 exec, exec, s[18:19]
	v_lshrrev_b32_e32 v6, 16, v16
	v_lshrrev_b32_e32 v7, 16, v11
	;; [unrolled: 1-line block ×8, first 2 shown]
	s_and_saveexec_b64 s[18:19], vcc
	s_cbranch_execz .LBB405_2007
; %bb.2006:                             ;   in Loop: Header=BB405_1323 Depth=1
	v_accvgpr_read_b32 v16, a31
	v_cmp_lt_i32_e64 s[8:9], v16, v49
	v_accvgpr_read_b32 v16, a37
	v_cndmask_b32_e64 v11, 0, v11, s[8:9]
	v_cmp_lt_i32_e64 s[8:9], v16, v49
	v_accvgpr_read_b32 v16, a36
	v_cndmask_b32_e64 v10, 0, v10, s[8:9]
	;; [unrolled: 3-line block ×6, first 2 shown]
	v_cmp_lt_i32_e64 s[8:9], v16, v49
	v_cndmask_b32_e64 v5, 0, v5, s[8:9]
	v_cmp_lt_i32_e64 s[8:9], v17, v49
	v_cndmask_b32_e64 v4, 0, v4, s[8:9]
.LBB405_2007:                           ;   in Loop: Header=BB405_1323 Depth=1
	s_or_b64 exec, exec, s[18:19]
	v_lshlrev_b32_e32 v11, 16, v11
	v_accvgpr_read_b32 v16, a38
	v_mul_f32_e32 v11, v16, v11
	v_and_b32_e32 v16, 0x7f800000, v11
	v_cmp_ne_u32_e64 s[8:9], s15, v16
                                        ; implicit-def: $vgpr16
                                        ; kill: killed $vgpr16
	s_and_saveexec_b64 s[18:19], s[8:9]
	s_xor_b64 s[8:9], exec, s[18:19]
	s_cbranch_execz .LBB405_2009
; %bb.2008:                             ;   in Loop: Header=BB405_1323 Depth=1
	v_bfe_u32 v16, v11, 16, 1
	v_add3_u32 v11, v11, v16, s25
	buffer_store_dword v11, off, s[0:3], s32 offset:368 ; 4-byte Folded Spill
                                        ; implicit-def: $vgpr11
.LBB405_2009:                           ;   in Loop: Header=BB405_1323 Depth=1
	s_andn2_saveexec_b64 s[18:19], s[8:9]
	s_cbranch_execz .LBB405_2011
; %bb.2010:                             ;   in Loop: Header=BB405_1323 Depth=1
	v_or_b32_e32 v16, 0x10000, v11
	v_cmp_eq_u32_sdwa s[8:9], v11, v37 src0_sel:WORD_0 src1_sel:DWORD
	v_cndmask_b32_e64 v11, v16, v11, s[8:9]
	buffer_store_dword v11, off, s[0:3], s32 offset:368 ; 4-byte Folded Spill
.LBB405_2011:                           ;   in Loop: Header=BB405_1323 Depth=1
	s_or_b64 exec, exec, s[18:19]
	v_lshlrev_b32_e32 v10, 16, v10
	v_mul_f32_e32 v10, v53, v10
	v_and_b32_e32 v11, 0x7f800000, v10
	v_cmp_ne_u32_e64 s[8:9], s15, v11
                                        ; implicit-def: $vgpr11
                                        ; kill: killed $vgpr11
	s_and_saveexec_b64 s[18:19], s[8:9]
	s_xor_b64 s[8:9], exec, s[18:19]
	s_cbranch_execz .LBB405_2013
; %bb.2012:                             ;   in Loop: Header=BB405_1323 Depth=1
	v_bfe_u32 v11, v10, 16, 1
	v_add3_u32 v10, v10, v11, s25
	buffer_store_dword v10, off, s[0:3], s32 offset:372 ; 4-byte Folded Spill
                                        ; implicit-def: $vgpr10
.LBB405_2013:                           ;   in Loop: Header=BB405_1323 Depth=1
	s_andn2_saveexec_b64 s[18:19], s[8:9]
	s_cbranch_execz .LBB405_2015
; %bb.2014:                             ;   in Loop: Header=BB405_1323 Depth=1
	v_or_b32_e32 v11, 0x10000, v10
	v_cmp_eq_u32_sdwa s[8:9], v10, v37 src0_sel:WORD_0 src1_sel:DWORD
	v_cndmask_b32_e64 v10, v11, v10, s[8:9]
	buffer_store_dword v10, off, s[0:3], s32 offset:372 ; 4-byte Folded Spill
.LBB405_2015:                           ;   in Loop: Header=BB405_1323 Depth=1
	s_or_b64 exec, exec, s[18:19]
	v_lshlrev_b32_e32 v9, 16, v9
	v_mul_f32_e32 v9, v45, v9
	v_and_b32_e32 v10, 0x7f800000, v9
	v_cmp_ne_u32_e64 s[8:9], s15, v10
                                        ; implicit-def: $vgpr10
                                        ; kill: killed $vgpr10
	s_and_saveexec_b64 s[18:19], s[8:9]
	s_xor_b64 s[8:9], exec, s[18:19]
	s_cbranch_execz .LBB405_2017
; %bb.2016:                             ;   in Loop: Header=BB405_1323 Depth=1
	v_bfe_u32 v10, v9, 16, 1
	v_add3_u32 v9, v9, v10, s25
	buffer_store_dword v9, off, s[0:3], s32 offset:376 ; 4-byte Folded Spill
                                        ; implicit-def: $vgpr9
.LBB405_2017:                           ;   in Loop: Header=BB405_1323 Depth=1
	s_andn2_saveexec_b64 s[18:19], s[8:9]
	s_cbranch_execz .LBB405_2019
; %bb.2018:                             ;   in Loop: Header=BB405_1323 Depth=1
	v_or_b32_e32 v10, 0x10000, v9
	v_cmp_eq_u32_sdwa s[8:9], v9, v37 src0_sel:WORD_0 src1_sel:DWORD
	v_cndmask_b32_e64 v9, v10, v9, s[8:9]
	buffer_store_dword v9, off, s[0:3], s32 offset:376 ; 4-byte Folded Spill
.LBB405_2019:                           ;   in Loop: Header=BB405_1323 Depth=1
	s_or_b64 exec, exec, s[18:19]
	v_lshlrev_b32_e32 v8, 16, v8
	v_mul_f32_e32 v8, v46, v8
	v_and_b32_e32 v9, 0x7f800000, v8
	v_cmp_ne_u32_e64 s[8:9], s15, v9
                                        ; implicit-def: $vgpr9
                                        ; kill: killed $vgpr9
	s_and_saveexec_b64 s[18:19], s[8:9]
	s_xor_b64 s[8:9], exec, s[18:19]
	s_cbranch_execz .LBB405_2021
; %bb.2020:                             ;   in Loop: Header=BB405_1323 Depth=1
	v_bfe_u32 v9, v8, 16, 1
	v_add3_u32 v8, v8, v9, s25
	buffer_store_dword v8, off, s[0:3], s32 offset:380 ; 4-byte Folded Spill
                                        ; implicit-def: $vgpr8
.LBB405_2021:                           ;   in Loop: Header=BB405_1323 Depth=1
	s_andn2_saveexec_b64 s[18:19], s[8:9]
	s_cbranch_execz .LBB405_2023
; %bb.2022:                             ;   in Loop: Header=BB405_1323 Depth=1
	v_or_b32_e32 v9, 0x10000, v8
	v_cmp_eq_u32_sdwa s[8:9], v8, v37 src0_sel:WORD_0 src1_sel:DWORD
	v_cndmask_b32_e64 v8, v9, v8, s[8:9]
	buffer_store_dword v8, off, s[0:3], s32 offset:380 ; 4-byte Folded Spill
.LBB405_2023:                           ;   in Loop: Header=BB405_1323 Depth=1
	s_or_b64 exec, exec, s[18:19]
	v_lshlrev_b32_e32 v7, 16, v7
	v_mul_f32_e32 v7, v48, v7
	v_and_b32_e32 v8, 0x7f800000, v7
	v_cmp_ne_u32_e64 s[8:9], s15, v8
                                        ; implicit-def: $vgpr8
                                        ; kill: killed $vgpr8
	s_and_saveexec_b64 s[18:19], s[8:9]
	s_xor_b64 s[8:9], exec, s[18:19]
	s_cbranch_execz .LBB405_2025
; %bb.2024:                             ;   in Loop: Header=BB405_1323 Depth=1
	v_bfe_u32 v8, v7, 16, 1
	v_add3_u32 v7, v7, v8, s25
	buffer_store_dword v7, off, s[0:3], s32 offset:384 ; 4-byte Folded Spill
                                        ; implicit-def: $vgpr7
.LBB405_2025:                           ;   in Loop: Header=BB405_1323 Depth=1
	s_andn2_saveexec_b64 s[18:19], s[8:9]
	s_cbranch_execz .LBB405_2027
; %bb.2026:                             ;   in Loop: Header=BB405_1323 Depth=1
	v_or_b32_e32 v8, 0x10000, v7
	v_cmp_eq_u32_sdwa s[8:9], v7, v37 src0_sel:WORD_0 src1_sel:DWORD
	v_cndmask_b32_e64 v7, v8, v7, s[8:9]
	buffer_store_dword v7, off, s[0:3], s32 offset:384 ; 4-byte Folded Spill
.LBB405_2027:                           ;   in Loop: Header=BB405_1323 Depth=1
	s_or_b64 exec, exec, s[18:19]
	v_lshlrev_b32_e32 v6, 16, v6
	v_mul_f32_e32 v6, v62, v6
	v_and_b32_e32 v7, 0x7f800000, v6
	v_cmp_ne_u32_e64 s[8:9], s15, v7
                                        ; implicit-def: $vgpr7
                                        ; kill: killed $vgpr7
	s_and_saveexec_b64 s[18:19], s[8:9]
	s_xor_b64 s[8:9], exec, s[18:19]
	s_cbranch_execz .LBB405_2029
; %bb.2028:                             ;   in Loop: Header=BB405_1323 Depth=1
	v_bfe_u32 v7, v6, 16, 1
	v_add3_u32 v6, v6, v7, s25
	buffer_store_dword v6, off, s[0:3], s32 offset:388 ; 4-byte Folded Spill
                                        ; implicit-def: $vgpr6
.LBB405_2029:                           ;   in Loop: Header=BB405_1323 Depth=1
	s_andn2_saveexec_b64 s[18:19], s[8:9]
	s_cbranch_execz .LBB405_2031
; %bb.2030:                             ;   in Loop: Header=BB405_1323 Depth=1
	v_or_b32_e32 v7, 0x10000, v6
	v_cmp_eq_u32_sdwa s[8:9], v6, v37 src0_sel:WORD_0 src1_sel:DWORD
	v_cndmask_b32_e64 v6, v7, v6, s[8:9]
	buffer_store_dword v6, off, s[0:3], s32 offset:388 ; 4-byte Folded Spill
.LBB405_2031:                           ;   in Loop: Header=BB405_1323 Depth=1
	s_or_b64 exec, exec, s[18:19]
	v_lshlrev_b32_e32 v5, 16, v5
	v_mul_f32_e32 v5, v55, v5
	v_and_b32_e32 v6, 0x7f800000, v5
	v_cmp_ne_u32_e64 s[8:9], s15, v6
                                        ; implicit-def: $vgpr6
                                        ; kill: killed $vgpr6
	s_and_saveexec_b64 s[18:19], s[8:9]
	s_xor_b64 s[8:9], exec, s[18:19]
	s_cbranch_execz .LBB405_2033
; %bb.2032:                             ;   in Loop: Header=BB405_1323 Depth=1
	v_bfe_u32 v6, v5, 16, 1
	v_add3_u32 v5, v5, v6, s25
	buffer_store_dword v5, off, s[0:3], s32 offset:392 ; 4-byte Folded Spill
                                        ; implicit-def: $vgpr5
.LBB405_2033:                           ;   in Loop: Header=BB405_1323 Depth=1
	s_andn2_saveexec_b64 s[18:19], s[8:9]
	s_cbranch_execz .LBB405_2035
; %bb.2034:                             ;   in Loop: Header=BB405_1323 Depth=1
	v_or_b32_e32 v6, 0x10000, v5
	v_cmp_eq_u32_sdwa s[8:9], v5, v37 src0_sel:WORD_0 src1_sel:DWORD
	v_cndmask_b32_e64 v5, v6, v5, s[8:9]
	buffer_store_dword v5, off, s[0:3], s32 offset:392 ; 4-byte Folded Spill
.LBB405_2035:                           ;   in Loop: Header=BB405_1323 Depth=1
	s_or_b64 exec, exec, s[18:19]
	v_lshlrev_b32_e32 v4, 16, v4
	v_mul_f32_e32 v4, v52, v4
	v_and_b32_e32 v5, 0x7f800000, v4
	v_cmp_ne_u32_e64 s[8:9], s15, v5
                                        ; implicit-def: $vgpr5
                                        ; kill: killed $vgpr5
	s_and_saveexec_b64 s[18:19], s[8:9]
	s_xor_b64 s[8:9], exec, s[18:19]
	s_cbranch_execz .LBB405_2037
; %bb.2036:                             ;   in Loop: Header=BB405_1323 Depth=1
	v_bfe_u32 v5, v4, 16, 1
	v_add3_u32 v4, v4, v5, s25
	buffer_store_dword v4, off, s[0:3], s32 offset:396 ; 4-byte Folded Spill
                                        ; implicit-def: $vgpr4
.LBB405_2037:                           ;   in Loop: Header=BB405_1323 Depth=1
	s_andn2_saveexec_b64 s[18:19], s[8:9]
	s_cbranch_execz .LBB405_2039
; %bb.2038:                             ;   in Loop: Header=BB405_1323 Depth=1
	v_or_b32_e32 v5, 0x10000, v4
	v_cmp_eq_u32_sdwa s[8:9], v4, v37 src0_sel:WORD_0 src1_sel:DWORD
	v_cndmask_b32_e64 v4, v5, v4, s[8:9]
	buffer_store_dword v4, off, s[0:3], s32 offset:396 ; 4-byte Folded Spill
.LBB405_2039:                           ;   in Loop: Header=BB405_1323 Depth=1
	s_or_b64 exec, exec, s[18:19]
	flat_load_dwordx2 v[6:7], v[2:3] offset:3072
	v_mov_b32_e32 v4, 0
	s_waitcnt vmcnt(0) lgkmcnt(0)
	v_cmp_ne_u16_sdwa s[8:9], v6, v37 src0_sel:BYTE_0 src1_sel:DWORD
	s_and_saveexec_b64 s[18:19], s[8:9]
	s_cbranch_execz .LBB405_2045
; %bb.2040:                             ;   in Loop: Header=BB405_1323 Depth=1
	v_cmp_ne_u16_sdwa s[8:9], v6, s34 src0_sel:BYTE_0 src1_sel:DWORD
	v_bfrev_b32_e32 v4, 1
	s_and_saveexec_b64 s[28:29], s[8:9]
	s_cbranch_execz .LBB405_2044
; %bb.2041:                             ;   in Loop: Header=BB405_1323 Depth=1
	v_and_b32_e32 v5, 0x7f, v6
	v_cmp_ne_u32_e64 s[8:9], s35, v5
	v_mov_b32_e32 v4, 0x7f800001
	s_and_saveexec_b64 s[30:31], s[8:9]
	s_cbranch_execz .LBB405_2043
; %bb.2042:                             ;   in Loop: Header=BB405_1323 Depth=1
	v_and_b32_e32 v4, 7, v6
	v_ffbh_u32_e32 v4, v4
	v_min_u32_e32 v4, 32, v4
	v_lshrrev_b32_e32 v8, 3, v5
	v_subrev_u32_e32 v9, 28, v4
	v_sub_u32_e32 v4, 29, v4
	v_cmp_gt_u32_e64 s[8:9], 8, v5
	v_cndmask_b32_e64 v8, v8, v4, s[8:9]
	v_cndmask_b32_e64 v4, 0, v9, s[8:9]
	v_lshlrev_b64 v[4:5], v4, v[6:7]
	v_lshlrev_b32_e32 v4, 20, v4
	v_lshlrev_b32_e32 v5, 24, v6
	v_and_b32_e32 v4, 0x700000, v4
	v_and_b32_e32 v5, 0x80000000, v5
	v_lshl_add_u32 v8, v8, 23, v40
	v_or3_b32 v4, v5, v8, v4
.LBB405_2043:                           ;   in Loop: Header=BB405_1323 Depth=1
	s_or_b64 exec, exec, s[30:31]
.LBB405_2044:                           ;   in Loop: Header=BB405_1323 Depth=1
	s_or_b64 exec, exec, s[28:29]
.LBB405_2045:                           ;   in Loop: Header=BB405_1323 Depth=1
	s_or_b64 exec, exec, s[18:19]
	v_mul_f32_e32 v5, v23, v4
	v_and_b32_e32 v4, 0x7f800000, v5
	v_cmp_ne_u32_e64 s[8:9], s15, v4
                                        ; implicit-def: $vgpr4
	s_and_saveexec_b64 s[18:19], s[8:9]
	s_xor_b64 s[8:9], exec, s[18:19]
; %bb.2046:                             ;   in Loop: Header=BB405_1323 Depth=1
	v_bfe_u32 v4, v5, 16, 1
	v_add3_u32 v4, v5, v4, s25
                                        ; implicit-def: $vgpr5
; %bb.2047:                             ;   in Loop: Header=BB405_1323 Depth=1
	s_andn2_saveexec_b64 s[18:19], s[8:9]
; %bb.2048:                             ;   in Loop: Header=BB405_1323 Depth=1
	v_or_b32_e32 v4, 0x10000, v5
	v_cmp_eq_u32_sdwa s[8:9], v5, v37 src0_sel:WORD_0 src1_sel:DWORD
	v_cndmask_b32_e64 v4, v4, v5, s[8:9]
; %bb.2049:                             ;   in Loop: Header=BB405_1323 Depth=1
	s_or_b64 exec, exec, s[18:19]
	v_lshrrev_b16_e32 v8, 8, v6
	v_cmp_ne_u16_e64 s[8:9], 0, v8
	v_mov_b32_e32 v5, 0
	s_and_saveexec_b64 s[18:19], s[8:9]
	s_cbranch_execz .LBB405_2055
; %bb.2050:                             ;   in Loop: Header=BB405_1323 Depth=1
	v_cmp_ne_u16_e64 s[8:9], s34, v8
	v_bfrev_b32_e32 v5, 1
	s_and_saveexec_b64 s[28:29], s[8:9]
	s_cbranch_execz .LBB405_2054
; %bb.2051:                             ;   in Loop: Header=BB405_1323 Depth=1
	v_and_b32_e32 v9, 0x7f, v8
	v_cmp_ne_u32_e64 s[8:9], s35, v9
	v_mov_b32_e32 v5, 0x7f800001
	s_and_saveexec_b64 s[30:31], s[8:9]
	s_cbranch_execz .LBB405_2053
; %bb.2052:                             ;   in Loop: Header=BB405_1323 Depth=1
	v_and_b32_e32 v5, 7, v8
	v_ffbh_u32_e32 v10, v5
	v_min_u32_e32 v22, 32, v10
	v_subrev_u32_e32 v10, 28, v22
	v_lshlrev_b64 v[10:11], v10, v[8:9]
	v_lshrrev_b32_e32 v16, 3, v9
	v_sub_u32_e32 v8, 29, v22
	v_and_b32_e32 v10, 7, v10
	v_cmp_gt_u32_e64 s[8:9], 8, v9
	v_cndmask_b32_e64 v8, v16, v8, s[8:9]
	v_cndmask_b32_e64 v5, v5, v10, s[8:9]
	v_lshlrev_b32_e32 v9, 16, v6
	v_lshlrev_b32_e32 v5, 20, v5
	v_and_b32_e32 v9, 0x80000000, v9
	v_lshl_add_u32 v8, v8, 23, v40
	v_or3_b32 v5, v9, v8, v5
.LBB405_2053:                           ;   in Loop: Header=BB405_1323 Depth=1
	s_or_b64 exec, exec, s[30:31]
.LBB405_2054:                           ;   in Loop: Header=BB405_1323 Depth=1
	s_or_b64 exec, exec, s[28:29]
.LBB405_2055:                           ;   in Loop: Header=BB405_1323 Depth=1
	s_or_b64 exec, exec, s[18:19]
	v_mul_f32_e32 v8, v23, v5
	v_and_b32_e32 v5, 0x7f800000, v8
	v_cmp_ne_u32_e64 s[8:9], s15, v5
                                        ; implicit-def: $vgpr5
	s_and_saveexec_b64 s[18:19], s[8:9]
	s_xor_b64 s[8:9], exec, s[18:19]
; %bb.2056:                             ;   in Loop: Header=BB405_1323 Depth=1
	v_bfe_u32 v5, v8, 16, 1
	v_add3_u32 v5, v8, v5, s25
                                        ; implicit-def: $vgpr8
; %bb.2057:                             ;   in Loop: Header=BB405_1323 Depth=1
	s_andn2_saveexec_b64 s[18:19], s[8:9]
; %bb.2058:                             ;   in Loop: Header=BB405_1323 Depth=1
	v_or_b32_e32 v5, 0x10000, v8
	v_cmp_eq_u32_sdwa s[8:9], v8, v37 src0_sel:WORD_0 src1_sel:DWORD
	v_cndmask_b32_e64 v5, v5, v8, s[8:9]
; %bb.2059:                             ;   in Loop: Header=BB405_1323 Depth=1
	s_or_b64 exec, exec, s[18:19]
	v_lshrrev_b32_e32 v8, 16, v6
	v_cmp_ne_u16_sdwa s[8:9], v8, v37 src0_sel:BYTE_0 src1_sel:DWORD
	v_mov_b32_e32 v9, 0
	s_and_saveexec_b64 s[18:19], s[8:9]
	s_cbranch_execz .LBB405_2065
; %bb.2060:                             ;   in Loop: Header=BB405_1323 Depth=1
	v_cmp_ne_u16_sdwa s[8:9], v8, s34 src0_sel:BYTE_0 src1_sel:DWORD
	v_bfrev_b32_e32 v9, 1
	s_and_saveexec_b64 s[28:29], s[8:9]
	s_cbranch_execz .LBB405_2064
; %bb.2061:                             ;   in Loop: Header=BB405_1323 Depth=1
	v_bfe_u32 v10, v6, 16, 7
	v_cmp_ne_u32_e64 s[8:9], s35, v10
	v_mov_b32_e32 v9, 0x7f800001
	s_and_saveexec_b64 s[30:31], s[8:9]
	s_cbranch_execz .LBB405_2063
; %bb.2062:                             ;   in Loop: Header=BB405_1323 Depth=1
	v_and_b32_e32 v9, 7, v8
	v_ffbh_u32_e32 v16, v9
	v_min_u32_e32 v16, 32, v16
	v_subrev_u32_e32 v22, 28, v16
	v_lshlrev_b64 v[26:27], v22, v[8:9]
	v_lshrrev_b32_e32 v11, 3, v10
	v_sub_u32_e32 v16, 29, v16
	v_and_b32_e32 v22, 7, v26
	v_cmp_gt_u32_e64 s[8:9], 8, v10
	v_cndmask_b32_e64 v10, v11, v16, s[8:9]
	v_cndmask_b32_e64 v9, v9, v22, s[8:9]
	v_lshlrev_b32_e32 v8, 24, v8
	v_lshlrev_b32_e32 v9, 20, v9
	v_and_b32_e32 v8, 0x80000000, v8
	v_lshl_add_u32 v10, v10, 23, v40
	v_or3_b32 v9, v8, v10, v9
.LBB405_2063:                           ;   in Loop: Header=BB405_1323 Depth=1
	s_or_b64 exec, exec, s[30:31]
.LBB405_2064:                           ;   in Loop: Header=BB405_1323 Depth=1
	s_or_b64 exec, exec, s[28:29]
.LBB405_2065:                           ;   in Loop: Header=BB405_1323 Depth=1
	s_or_b64 exec, exec, s[18:19]
	v_mul_f32_e32 v8, v23, v9
	v_and_b32_e32 v9, 0x7f800000, v8
	v_cmp_ne_u32_e64 s[8:9], s15, v9
                                        ; implicit-def: $vgpr9
	s_and_saveexec_b64 s[18:19], s[8:9]
	s_xor_b64 s[8:9], exec, s[18:19]
; %bb.2066:                             ;   in Loop: Header=BB405_1323 Depth=1
	v_bfe_u32 v9, v8, 16, 1
	v_add3_u32 v9, v8, v9, s25
                                        ; implicit-def: $vgpr8
; %bb.2067:                             ;   in Loop: Header=BB405_1323 Depth=1
	s_andn2_saveexec_b64 s[18:19], s[8:9]
; %bb.2068:                             ;   in Loop: Header=BB405_1323 Depth=1
	v_or_b32_e32 v9, 0x10000, v8
	v_cmp_eq_u32_sdwa s[8:9], v8, v37 src0_sel:WORD_0 src1_sel:DWORD
	v_cndmask_b32_e64 v9, v9, v8, s[8:9]
; %bb.2069:                             ;   in Loop: Header=BB405_1323 Depth=1
	s_or_b64 exec, exec, s[18:19]
	v_cmp_lt_u32_e64 s[8:9], s13, v6
	v_mov_b32_e32 v10, 0
	s_and_saveexec_b64 s[18:19], s[8:9]
	s_cbranch_execz .LBB405_2075
; %bb.2070:                             ;   in Loop: Header=BB405_1323 Depth=1
	v_lshrrev_b32_e32 v8, 24, v6
	v_cmp_ne_u32_e64 s[8:9], s34, v8
	v_bfrev_b32_e32 v10, 1
	s_and_saveexec_b64 s[28:29], s[8:9]
	s_cbranch_execz .LBB405_2074
; %bb.2071:                             ;   in Loop: Header=BB405_1323 Depth=1
	v_bfe_u32 v11, v6, 24, 7
	v_cmp_ne_u32_e64 s[8:9], s35, v11
	v_mov_b32_e32 v10, 0x7f800001
	s_and_saveexec_b64 s[30:31], s[8:9]
	s_cbranch_execz .LBB405_2073
; %bb.2072:                             ;   in Loop: Header=BB405_1323 Depth=1
	v_and_b32_e32 v10, 7, v8
	v_ffbh_u32_e32 v22, v10
	v_min_u32_e32 v22, 32, v22
	v_subrev_u32_e32 v26, 28, v22
	v_lshlrev_b64 v[26:27], v26, v[8:9]
	v_lshrrev_b32_e32 v16, 3, v11
	v_sub_u32_e32 v22, 29, v22
	v_and_b32_e32 v26, 7, v26
	v_cmp_gt_u32_e64 s[8:9], 8, v11
	v_cndmask_b32_e64 v11, v16, v22, s[8:9]
	v_cndmask_b32_e64 v10, v10, v26, s[8:9]
	v_lshlrev_b32_e32 v8, 24, v8
	v_lshlrev_b32_e32 v10, 20, v10
	v_and_b32_e32 v8, 0x80000000, v8
	v_lshl_add_u32 v11, v11, 23, v40
	v_or3_b32 v10, v8, v11, v10
.LBB405_2073:                           ;   in Loop: Header=BB405_1323 Depth=1
	s_or_b64 exec, exec, s[30:31]
.LBB405_2074:                           ;   in Loop: Header=BB405_1323 Depth=1
	s_or_b64 exec, exec, s[28:29]
.LBB405_2075:                           ;   in Loop: Header=BB405_1323 Depth=1
	s_or_b64 exec, exec, s[18:19]
	v_mul_f32_e32 v8, v23, v10
	v_and_b32_e32 v10, 0x7f800000, v8
	v_cmp_ne_u32_e64 s[8:9], s15, v10
                                        ; implicit-def: $vgpr10
	s_and_saveexec_b64 s[18:19], s[8:9]
	s_xor_b64 s[8:9], exec, s[18:19]
; %bb.2076:                             ;   in Loop: Header=BB405_1323 Depth=1
	v_bfe_u32 v10, v8, 16, 1
	v_add3_u32 v10, v8, v10, s25
                                        ; implicit-def: $vgpr8
; %bb.2077:                             ;   in Loop: Header=BB405_1323 Depth=1
	s_andn2_saveexec_b64 s[18:19], s[8:9]
; %bb.2078:                             ;   in Loop: Header=BB405_1323 Depth=1
	v_or_b32_e32 v10, 0x10000, v8
	v_cmp_eq_u32_sdwa s[8:9], v8, v37 src0_sel:WORD_0 src1_sel:DWORD
	v_cndmask_b32_e64 v10, v10, v8, s[8:9]
; %bb.2079:                             ;   in Loop: Header=BB405_1323 Depth=1
	s_or_b64 exec, exec, s[18:19]
	v_mov_b32_e32 v36, v7
	v_cmp_ne_u16_sdwa s[8:9], v7, v37 src0_sel:BYTE_0 src1_sel:DWORD
	v_mov_b32_e32 v8, 0
	s_and_saveexec_b64 s[18:19], s[8:9]
	s_cbranch_execz .LBB405_2085
; %bb.2080:                             ;   in Loop: Header=BB405_1323 Depth=1
	v_cmp_ne_u16_sdwa s[8:9], v7, s34 src0_sel:BYTE_0 src1_sel:DWORD
	v_bfrev_b32_e32 v8, 1
	s_and_saveexec_b64 s[28:29], s[8:9]
	s_cbranch_execz .LBB405_2084
; %bb.2081:                             ;   in Loop: Header=BB405_1323 Depth=1
	v_and_b32_e32 v11, 0x7f, v7
	v_cmp_ne_u32_e64 s[8:9], s35, v11
	v_mov_b32_e32 v8, 0x7f800001
	s_and_saveexec_b64 s[30:31], s[8:9]
	s_cbranch_execz .LBB405_2083
; %bb.2082:                             ;   in Loop: Header=BB405_1323 Depth=1
	v_and_b32_e32 v8, 7, v7
	v_ffbh_u32_e32 v8, v8
	v_min_u32_e32 v8, 32, v8
	v_subrev_u32_e32 v22, 28, v8
	v_cmp_gt_u32_e64 s[8:9], 8, v11
	v_lshrrev_b32_e32 v16, 3, v11
	v_cndmask_b32_e64 v11, 0, v22, s[8:9]
	v_sub_u32_e32 v8, 29, v8
	v_lshlrev_b64 v[26:27], v11, v[36:37]
	v_cndmask_b32_e64 v8, v16, v8, s[8:9]
	v_lshlrev_b32_e32 v11, 20, v26
	v_lshlrev_b32_e32 v16, 24, v36
	v_and_b32_e32 v11, 0x700000, v11
	v_and_b32_e32 v16, 0x80000000, v16
	v_lshl_add_u32 v8, v8, 23, v40
	v_or3_b32 v8, v16, v8, v11
.LBB405_2083:                           ;   in Loop: Header=BB405_1323 Depth=1
	s_or_b64 exec, exec, s[30:31]
.LBB405_2084:                           ;   in Loop: Header=BB405_1323 Depth=1
	s_or_b64 exec, exec, s[28:29]
.LBB405_2085:                           ;   in Loop: Header=BB405_1323 Depth=1
	s_or_b64 exec, exec, s[18:19]
	v_mul_f32_e32 v8, v23, v8
	v_and_b32_e32 v11, 0x7f800000, v8
	v_cmp_ne_u32_e64 s[8:9], s15, v11
                                        ; implicit-def: $vgpr11
	s_and_saveexec_b64 s[18:19], s[8:9]
	s_xor_b64 s[8:9], exec, s[18:19]
; %bb.2086:                             ;   in Loop: Header=BB405_1323 Depth=1
	v_bfe_u32 v11, v8, 16, 1
	v_add3_u32 v11, v8, v11, s25
                                        ; implicit-def: $vgpr8
; %bb.2087:                             ;   in Loop: Header=BB405_1323 Depth=1
	s_andn2_saveexec_b64 s[18:19], s[8:9]
; %bb.2088:                             ;   in Loop: Header=BB405_1323 Depth=1
	v_or_b32_e32 v11, 0x10000, v8
	v_cmp_eq_u32_sdwa s[8:9], v8, v37 src0_sel:WORD_0 src1_sel:DWORD
	v_cndmask_b32_e64 v11, v11, v8, s[8:9]
; %bb.2089:                             ;   in Loop: Header=BB405_1323 Depth=1
	s_or_b64 exec, exec, s[18:19]
	v_lshrrev_b16_e32 v8, 8, v36
	v_cmp_ne_u16_e64 s[8:9], 0, v8
	v_mov_b32_e32 v16, 0
	s_and_saveexec_b64 s[18:19], s[8:9]
	s_cbranch_execz .LBB405_2095
; %bb.2090:                             ;   in Loop: Header=BB405_1323 Depth=1
	v_cmp_ne_u16_e64 s[8:9], s34, v8
	v_bfrev_b32_e32 v16, 1
	s_and_saveexec_b64 s[28:29], s[8:9]
	s_cbranch_execz .LBB405_2094
; %bb.2091:                             ;   in Loop: Header=BB405_1323 Depth=1
	v_and_b32_e32 v22, 0x7f, v8
	v_cmp_ne_u32_e64 s[8:9], s35, v22
	v_mov_b32_e32 v16, 0x7f800001
	s_and_saveexec_b64 s[30:31], s[8:9]
	s_cbranch_execz .LBB405_2093
; %bb.2092:                             ;   in Loop: Header=BB405_1323 Depth=1
	v_and_b32_e32 v16, 7, v8
	v_lshrrev_b32_e32 v38, 3, v22
	v_cmp_gt_u32_e64 s[8:9], 8, v22
	v_ffbh_u32_e32 v22, v16
	v_min_u32_e32 v22, 32, v22
	v_subrev_u32_e32 v26, 28, v22
	v_lshlrev_b64 v[26:27], v26, v[8:9]
	v_sub_u32_e32 v8, 29, v22
	v_and_b32_e32 v22, 7, v26
	v_cndmask_b32_e64 v8, v38, v8, s[8:9]
	v_cndmask_b32_e64 v16, v16, v22, s[8:9]
	v_lshlrev_b32_e32 v22, 16, v36
	v_lshlrev_b32_e32 v16, 20, v16
	v_and_b32_e32 v22, 0x80000000, v22
	v_lshl_add_u32 v8, v8, 23, v40
	v_or3_b32 v16, v22, v8, v16
.LBB405_2093:                           ;   in Loop: Header=BB405_1323 Depth=1
	s_or_b64 exec, exec, s[30:31]
.LBB405_2094:                           ;   in Loop: Header=BB405_1323 Depth=1
	s_or_b64 exec, exec, s[28:29]
.LBB405_2095:                           ;   in Loop: Header=BB405_1323 Depth=1
	s_or_b64 exec, exec, s[18:19]
	v_mul_f32_e32 v8, v23, v16
	v_and_b32_e32 v16, 0x7f800000, v8
	v_cmp_ne_u32_e64 s[8:9], s15, v16
                                        ; implicit-def: $vgpr16
	s_and_saveexec_b64 s[18:19], s[8:9]
	s_xor_b64 s[8:9], exec, s[18:19]
; %bb.2096:                             ;   in Loop: Header=BB405_1323 Depth=1
	v_bfe_u32 v16, v8, 16, 1
	v_add3_u32 v16, v8, v16, s25
                                        ; implicit-def: $vgpr8
; %bb.2097:                             ;   in Loop: Header=BB405_1323 Depth=1
	s_andn2_saveexec_b64 s[18:19], s[8:9]
; %bb.2098:                             ;   in Loop: Header=BB405_1323 Depth=1
	v_or_b32_e32 v16, 0x10000, v8
	v_cmp_eq_u32_sdwa s[8:9], v8, v37 src0_sel:WORD_0 src1_sel:DWORD
	v_cndmask_b32_e64 v16, v16, v8, s[8:9]
; %bb.2099:                             ;   in Loop: Header=BB405_1323 Depth=1
	s_or_b64 exec, exec, s[18:19]
	v_lshrrev_b32_e32 v8, 16, v7
	v_cmp_ne_u16_sdwa s[8:9], v8, v37 src0_sel:BYTE_0 src1_sel:DWORD
	v_mov_b32_e32 v22, 0
	s_and_saveexec_b64 s[18:19], s[8:9]
	s_cbranch_execz .LBB405_2105
; %bb.2100:                             ;   in Loop: Header=BB405_1323 Depth=1
	v_cmp_ne_u16_sdwa s[8:9], v8, s34 src0_sel:BYTE_0 src1_sel:DWORD
	v_bfrev_b32_e32 v22, 1
	s_and_saveexec_b64 s[28:29], s[8:9]
	s_cbranch_execz .LBB405_2104
; %bb.2101:                             ;   in Loop: Header=BB405_1323 Depth=1
	v_bfe_u32 v26, v7, 16, 7
	v_cmp_ne_u32_e64 s[8:9], s35, v26
	v_mov_b32_e32 v22, 0x7f800001
	s_and_saveexec_b64 s[30:31], s[8:9]
	s_cbranch_execz .LBB405_2103
; %bb.2102:                             ;   in Loop: Header=BB405_1323 Depth=1
	v_and_b32_e32 v22, 7, v8
	v_lshrrev_b32_e32 v36, 3, v26
	v_cmp_gt_u32_e64 s[8:9], 8, v26
	v_ffbh_u32_e32 v26, v22
	v_min_u32_e32 v38, 32, v26
	v_subrev_u32_e32 v26, 28, v38
	v_lshlrev_b64 v[26:27], v26, v[8:9]
	v_sub_u32_e32 v27, 29, v38
	v_and_b32_e32 v26, 7, v26
	v_cndmask_b32_e64 v27, v36, v27, s[8:9]
	v_cndmask_b32_e64 v22, v22, v26, s[8:9]
	v_lshlrev_b32_e32 v8, 24, v8
	v_lshlrev_b32_e32 v22, 20, v22
	v_and_b32_e32 v8, 0x80000000, v8
	v_lshl_add_u32 v26, v27, 23, v40
	v_or3_b32 v22, v8, v26, v22
.LBB405_2103:                           ;   in Loop: Header=BB405_1323 Depth=1
	s_or_b64 exec, exec, s[30:31]
.LBB405_2104:                           ;   in Loop: Header=BB405_1323 Depth=1
	s_or_b64 exec, exec, s[28:29]
.LBB405_2105:                           ;   in Loop: Header=BB405_1323 Depth=1
	s_or_b64 exec, exec, s[18:19]
	v_mul_f32_e32 v8, v23, v22
	v_and_b32_e32 v22, 0x7f800000, v8
	v_cmp_ne_u32_e64 s[8:9], s15, v22
                                        ; implicit-def: $vgpr22
	s_and_saveexec_b64 s[18:19], s[8:9]
	s_xor_b64 s[8:9], exec, s[18:19]
; %bb.2106:                             ;   in Loop: Header=BB405_1323 Depth=1
	v_bfe_u32 v22, v8, 16, 1
	v_add3_u32 v22, v8, v22, s25
                                        ; implicit-def: $vgpr8
; %bb.2107:                             ;   in Loop: Header=BB405_1323 Depth=1
	s_andn2_saveexec_b64 s[18:19], s[8:9]
; %bb.2108:                             ;   in Loop: Header=BB405_1323 Depth=1
	v_or_b32_e32 v22, 0x10000, v8
	v_cmp_eq_u32_sdwa s[8:9], v8, v37 src0_sel:WORD_0 src1_sel:DWORD
	v_cndmask_b32_e64 v22, v22, v8, s[8:9]
; %bb.2109:                             ;   in Loop: Header=BB405_1323 Depth=1
	s_or_b64 exec, exec, s[18:19]
	v_cmp_lt_u64_e64 s[8:9], s[12:13], v[6:7]
	v_mov_b32_e32 v8, 0
	s_and_saveexec_b64 s[18:19], s[8:9]
	s_cbranch_execz .LBB405_2115
; %bb.2110:                             ;   in Loop: Header=BB405_1323 Depth=1
	v_lshrrev_b32_e32 v6, 24, v7
	v_cmp_ne_u32_e64 s[8:9], s34, v6
	v_bfrev_b32_e32 v8, 1
	s_and_saveexec_b64 s[28:29], s[8:9]
	s_cbranch_execz .LBB405_2114
; %bb.2111:                             ;   in Loop: Header=BB405_1323 Depth=1
	v_bfe_u32 v7, v7, 24, 7
	v_cmp_ne_u32_e64 s[8:9], s35, v7
	v_mov_b32_e32 v8, 0x7f800001
	s_and_saveexec_b64 s[30:31], s[8:9]
	s_cbranch_execz .LBB405_2113
; %bb.2112:                             ;   in Loop: Header=BB405_1323 Depth=1
	v_and_b32_e32 v8, 7, v6
	v_ffbh_u32_e32 v26, v8
	v_min_u32_e32 v38, 32, v26
	v_subrev_u32_e32 v26, 28, v38
	v_lshlrev_b64 v[26:27], v26, v[6:7]
	v_lshrrev_b32_e32 v36, 3, v7
	v_sub_u32_e32 v27, 29, v38
	v_and_b32_e32 v26, 7, v26
	v_cmp_gt_u32_e64 s[8:9], 8, v7
	v_cndmask_b32_e64 v7, v36, v27, s[8:9]
	v_cndmask_b32_e64 v8, v8, v26, s[8:9]
	v_lshlrev_b32_e32 v6, 24, v6
	v_lshlrev_b32_e32 v8, 20, v8
	v_and_b32_e32 v6, 0x80000000, v6
	v_lshl_add_u32 v7, v7, 23, v40
	v_or3_b32 v8, v6, v7, v8
.LBB405_2113:                           ;   in Loop: Header=BB405_1323 Depth=1
	s_or_b64 exec, exec, s[30:31]
.LBB405_2114:                           ;   in Loop: Header=BB405_1323 Depth=1
	s_or_b64 exec, exec, s[28:29]
.LBB405_2115:                           ;   in Loop: Header=BB405_1323 Depth=1
	s_or_b64 exec, exec, s[18:19]
	v_mul_f32_e32 v6, v23, v8
	v_and_b32_e32 v7, 0x7f800000, v6
	v_cmp_ne_u32_e64 s[8:9], s15, v7
                                        ; implicit-def: $vgpr26
	s_and_saveexec_b64 s[18:19], s[8:9]
	s_xor_b64 s[8:9], exec, s[18:19]
; %bb.2116:                             ;   in Loop: Header=BB405_1323 Depth=1
	v_bfe_u32 v7, v6, 16, 1
	v_add3_u32 v26, v6, v7, s25
                                        ; implicit-def: $vgpr6
; %bb.2117:                             ;   in Loop: Header=BB405_1323 Depth=1
	s_andn2_saveexec_b64 s[18:19], s[8:9]
; %bb.2118:                             ;   in Loop: Header=BB405_1323 Depth=1
	v_or_b32_e32 v7, 0x10000, v6
	v_cmp_eq_u32_sdwa s[8:9], v6, v37 src0_sel:WORD_0 src1_sel:DWORD
	v_cndmask_b32_e64 v26, v7, v6, s[8:9]
; %bb.2119:                             ;   in Loop: Header=BB405_1323 Depth=1
	s_or_b64 exec, exec, s[18:19]
	v_lshrrev_b32_e32 v6, 16, v16
	v_lshrrev_b32_e32 v7, 16, v11
	;; [unrolled: 1-line block ×8, first 2 shown]
	s_and_saveexec_b64 s[18:19], vcc
	s_cbranch_execz .LBB405_2121
; %bb.2120:                             ;   in Loop: Header=BB405_1323 Depth=1
	v_accvgpr_read_b32 v16, a31
	v_cmp_lt_i32_e64 s[8:9], v16, v49
	v_accvgpr_read_b32 v16, a37
	v_cndmask_b32_e64 v11, 0, v11, s[8:9]
	v_cmp_lt_i32_e64 s[8:9], v16, v49
	v_accvgpr_read_b32 v16, a36
	v_cndmask_b32_e64 v10, 0, v10, s[8:9]
	;; [unrolled: 3-line block ×6, first 2 shown]
	v_cmp_lt_i32_e64 s[8:9], v16, v49
	v_cndmask_b32_e64 v5, 0, v5, s[8:9]
	v_cmp_lt_i32_e64 s[8:9], v17, v49
	v_cndmask_b32_e64 v4, 0, v4, s[8:9]
.LBB405_2121:                           ;   in Loop: Header=BB405_1323 Depth=1
	s_or_b64 exec, exec, s[18:19]
	v_lshlrev_b32_e32 v11, 16, v11
	v_accvgpr_read_b32 v16, a38
	v_mul_f32_e32 v11, v16, v11
	v_and_b32_e32 v16, 0x7f800000, v11
	v_cmp_ne_u32_e64 s[8:9], s15, v16
                                        ; implicit-def: $agpr17
	s_and_saveexec_b64 s[18:19], s[8:9]
	s_xor_b64 s[8:9], exec, s[18:19]
; %bb.2122:                             ;   in Loop: Header=BB405_1323 Depth=1
	v_bfe_u32 v16, v11, 16, 1
	v_add3_u32 v11, v11, v16, s25
	v_accvgpr_write_b32 a17, v11
                                        ; implicit-def: $vgpr11
; %bb.2123:                             ;   in Loop: Header=BB405_1323 Depth=1
	s_andn2_saveexec_b64 s[18:19], s[8:9]
; %bb.2124:                             ;   in Loop: Header=BB405_1323 Depth=1
	v_or_b32_e32 v16, 0x10000, v11
	v_cmp_eq_u32_sdwa s[8:9], v11, v37 src0_sel:WORD_0 src1_sel:DWORD
	v_cndmask_b32_e64 v11, v16, v11, s[8:9]
	v_accvgpr_write_b32 a17, v11
; %bb.2125:                             ;   in Loop: Header=BB405_1323 Depth=1
	s_or_b64 exec, exec, s[18:19]
	v_lshlrev_b32_e32 v10, 16, v10
	v_mul_f32_e32 v10, v53, v10
	v_and_b32_e32 v11, 0x7f800000, v10
	v_cmp_ne_u32_e64 s[8:9], s15, v11
                                        ; implicit-def: $agpr19
	s_and_saveexec_b64 s[18:19], s[8:9]
	s_xor_b64 s[8:9], exec, s[18:19]
; %bb.2126:                             ;   in Loop: Header=BB405_1323 Depth=1
	v_bfe_u32 v11, v10, 16, 1
	v_add3_u32 v10, v10, v11, s25
	v_accvgpr_write_b32 a19, v10
                                        ; implicit-def: $vgpr10
; %bb.2127:                             ;   in Loop: Header=BB405_1323 Depth=1
	s_andn2_saveexec_b64 s[18:19], s[8:9]
; %bb.2128:                             ;   in Loop: Header=BB405_1323 Depth=1
	v_or_b32_e32 v11, 0x10000, v10
	v_cmp_eq_u32_sdwa s[8:9], v10, v37 src0_sel:WORD_0 src1_sel:DWORD
	v_cndmask_b32_e64 v10, v11, v10, s[8:9]
	v_accvgpr_write_b32 a19, v10
; %bb.2129:                             ;   in Loop: Header=BB405_1323 Depth=1
	s_or_b64 exec, exec, s[18:19]
	v_lshlrev_b32_e32 v9, 16, v9
	v_mul_f32_e32 v9, v45, v9
	v_and_b32_e32 v10, 0x7f800000, v9
	v_cmp_ne_u32_e64 s[8:9], s15, v10
                                        ; implicit-def: $agpr21
	s_and_saveexec_b64 s[18:19], s[8:9]
	s_xor_b64 s[8:9], exec, s[18:19]
; %bb.2130:                             ;   in Loop: Header=BB405_1323 Depth=1
	v_bfe_u32 v10, v9, 16, 1
	v_add3_u32 v9, v9, v10, s25
	v_accvgpr_write_b32 a21, v9
                                        ; implicit-def: $vgpr9
; %bb.2131:                             ;   in Loop: Header=BB405_1323 Depth=1
	s_andn2_saveexec_b64 s[18:19], s[8:9]
; %bb.2132:                             ;   in Loop: Header=BB405_1323 Depth=1
	v_or_b32_e32 v10, 0x10000, v9
	v_cmp_eq_u32_sdwa s[8:9], v9, v37 src0_sel:WORD_0 src1_sel:DWORD
	v_cndmask_b32_e64 v9, v10, v9, s[8:9]
	v_accvgpr_write_b32 a21, v9
; %bb.2133:                             ;   in Loop: Header=BB405_1323 Depth=1
	s_or_b64 exec, exec, s[18:19]
	v_lshlrev_b32_e32 v8, 16, v8
	v_mul_f32_e32 v8, v46, v8
	v_and_b32_e32 v9, 0x7f800000, v8
	v_cmp_ne_u32_e64 s[8:9], s15, v9
                                        ; implicit-def: $agpr23
	s_and_saveexec_b64 s[18:19], s[8:9]
	s_xor_b64 s[8:9], exec, s[18:19]
; %bb.2134:                             ;   in Loop: Header=BB405_1323 Depth=1
	v_bfe_u32 v9, v8, 16, 1
	v_add3_u32 v8, v8, v9, s25
	v_accvgpr_write_b32 a23, v8
                                        ; implicit-def: $vgpr8
; %bb.2135:                             ;   in Loop: Header=BB405_1323 Depth=1
	s_andn2_saveexec_b64 s[18:19], s[8:9]
; %bb.2136:                             ;   in Loop: Header=BB405_1323 Depth=1
	v_or_b32_e32 v9, 0x10000, v8
	v_cmp_eq_u32_sdwa s[8:9], v8, v37 src0_sel:WORD_0 src1_sel:DWORD
	v_cndmask_b32_e64 v8, v9, v8, s[8:9]
	v_accvgpr_write_b32 a23, v8
; %bb.2137:                             ;   in Loop: Header=BB405_1323 Depth=1
	s_or_b64 exec, exec, s[18:19]
	v_lshlrev_b32_e32 v7, 16, v7
	v_mul_f32_e32 v7, v48, v7
	v_and_b32_e32 v8, 0x7f800000, v7
	v_cmp_ne_u32_e64 s[8:9], s15, v8
                                        ; implicit-def: $agpr25
	s_and_saveexec_b64 s[18:19], s[8:9]
	s_xor_b64 s[8:9], exec, s[18:19]
; %bb.2138:                             ;   in Loop: Header=BB405_1323 Depth=1
	v_bfe_u32 v8, v7, 16, 1
	v_add3_u32 v7, v7, v8, s25
	v_accvgpr_write_b32 a25, v7
                                        ; implicit-def: $vgpr7
; %bb.2139:                             ;   in Loop: Header=BB405_1323 Depth=1
	s_andn2_saveexec_b64 s[18:19], s[8:9]
; %bb.2140:                             ;   in Loop: Header=BB405_1323 Depth=1
	v_or_b32_e32 v8, 0x10000, v7
	v_cmp_eq_u32_sdwa s[8:9], v7, v37 src0_sel:WORD_0 src1_sel:DWORD
	v_cndmask_b32_e64 v7, v8, v7, s[8:9]
	v_accvgpr_write_b32 a25, v7
; %bb.2141:                             ;   in Loop: Header=BB405_1323 Depth=1
	s_or_b64 exec, exec, s[18:19]
	v_lshlrev_b32_e32 v6, 16, v6
	v_mul_f32_e32 v6, v62, v6
	v_and_b32_e32 v7, 0x7f800000, v6
	v_cmp_ne_u32_e64 s[8:9], s15, v7
                                        ; implicit-def: $agpr27
	s_and_saveexec_b64 s[18:19], s[8:9]
	s_xor_b64 s[8:9], exec, s[18:19]
; %bb.2142:                             ;   in Loop: Header=BB405_1323 Depth=1
	v_bfe_u32 v7, v6, 16, 1
	v_add3_u32 v6, v6, v7, s25
	v_accvgpr_write_b32 a27, v6
                                        ; implicit-def: $vgpr6
; %bb.2143:                             ;   in Loop: Header=BB405_1323 Depth=1
	s_andn2_saveexec_b64 s[18:19], s[8:9]
; %bb.2144:                             ;   in Loop: Header=BB405_1323 Depth=1
	v_or_b32_e32 v7, 0x10000, v6
	v_cmp_eq_u32_sdwa s[8:9], v6, v37 src0_sel:WORD_0 src1_sel:DWORD
	v_cndmask_b32_e64 v6, v7, v6, s[8:9]
	v_accvgpr_write_b32 a27, v6
; %bb.2145:                             ;   in Loop: Header=BB405_1323 Depth=1
	s_or_b64 exec, exec, s[18:19]
	v_lshlrev_b32_e32 v5, 16, v5
	v_mul_f32_e32 v5, v55, v5
	v_and_b32_e32 v6, 0x7f800000, v5
	v_cmp_ne_u32_e64 s[8:9], s15, v6
                                        ; implicit-def: $agpr29
	s_and_saveexec_b64 s[18:19], s[8:9]
	s_xor_b64 s[8:9], exec, s[18:19]
; %bb.2146:                             ;   in Loop: Header=BB405_1323 Depth=1
	v_bfe_u32 v6, v5, 16, 1
	v_add3_u32 v5, v5, v6, s25
	v_accvgpr_write_b32 a29, v5
                                        ; implicit-def: $vgpr5
; %bb.2147:                             ;   in Loop: Header=BB405_1323 Depth=1
	s_andn2_saveexec_b64 s[18:19], s[8:9]
; %bb.2148:                             ;   in Loop: Header=BB405_1323 Depth=1
	v_or_b32_e32 v6, 0x10000, v5
	v_cmp_eq_u32_sdwa s[8:9], v5, v37 src0_sel:WORD_0 src1_sel:DWORD
	v_cndmask_b32_e64 v5, v6, v5, s[8:9]
	v_accvgpr_write_b32 a29, v5
; %bb.2149:                             ;   in Loop: Header=BB405_1323 Depth=1
	s_or_b64 exec, exec, s[18:19]
	v_lshlrev_b32_e32 v4, 16, v4
	v_mul_f32_e32 v4, v52, v4
	v_and_b32_e32 v5, 0x7f800000, v4
	v_cmp_ne_u32_e64 s[8:9], s15, v5
                                        ; implicit-def: $agpr45
	s_and_saveexec_b64 s[18:19], s[8:9]
	s_xor_b64 s[8:9], exec, s[18:19]
; %bb.2150:                             ;   in Loop: Header=BB405_1323 Depth=1
	v_bfe_u32 v5, v4, 16, 1
	v_add3_u32 v4, v4, v5, s25
	v_accvgpr_write_b32 a45, v4
                                        ; implicit-def: $vgpr4
; %bb.2151:                             ;   in Loop: Header=BB405_1323 Depth=1
	s_andn2_saveexec_b64 s[18:19], s[8:9]
; %bb.2152:                             ;   in Loop: Header=BB405_1323 Depth=1
	v_or_b32_e32 v5, 0x10000, v4
	v_cmp_eq_u32_sdwa s[8:9], v4, v37 src0_sel:WORD_0 src1_sel:DWORD
	v_cndmask_b32_e64 v4, v5, v4, s[8:9]
	v_accvgpr_write_b32 a45, v4
; %bb.2153:                             ;   in Loop: Header=BB405_1323 Depth=1
	s_or_b64 exec, exec, s[18:19]
	flat_load_dwordx2 v[2:3], v[2:3] offset:3584
	v_mov_b32_e32 v4, 0
	s_waitcnt vmcnt(0) lgkmcnt(0)
	v_cmp_ne_u16_sdwa s[8:9], v2, v37 src0_sel:BYTE_0 src1_sel:DWORD
	s_and_saveexec_b64 s[18:19], s[8:9]
	s_cbranch_execz .LBB405_2159
; %bb.2154:                             ;   in Loop: Header=BB405_1323 Depth=1
	v_cmp_ne_u16_sdwa s[8:9], v2, s34 src0_sel:BYTE_0 src1_sel:DWORD
	v_bfrev_b32_e32 v4, 1
	s_and_saveexec_b64 s[28:29], s[8:9]
	s_cbranch_execz .LBB405_2158
; %bb.2155:                             ;   in Loop: Header=BB405_1323 Depth=1
	v_and_b32_e32 v5, 0x7f, v2
	v_cmp_ne_u32_e64 s[8:9], s35, v5
	v_mov_b32_e32 v4, 0x7f800001
	s_and_saveexec_b64 s[30:31], s[8:9]
	s_cbranch_execz .LBB405_2157
; %bb.2156:                             ;   in Loop: Header=BB405_1323 Depth=1
	v_and_b32_e32 v4, 7, v2
	v_ffbh_u32_e32 v4, v4
	v_min_u32_e32 v4, 32, v4
	v_lshrrev_b32_e32 v6, 3, v5
	v_subrev_u32_e32 v7, 28, v4
	v_sub_u32_e32 v4, 29, v4
	v_cmp_gt_u32_e64 s[8:9], 8, v5
	v_cndmask_b32_e64 v6, v6, v4, s[8:9]
	v_cndmask_b32_e64 v4, 0, v7, s[8:9]
	v_lshlrev_b64 v[4:5], v4, v[2:3]
	v_lshlrev_b32_e32 v4, 20, v4
	v_lshlrev_b32_e32 v5, 24, v2
	v_and_b32_e32 v4, 0x700000, v4
	v_and_b32_e32 v5, 0x80000000, v5
	v_lshl_add_u32 v6, v6, 23, v40
	v_or3_b32 v4, v5, v6, v4
.LBB405_2157:                           ;   in Loop: Header=BB405_1323 Depth=1
	s_or_b64 exec, exec, s[30:31]
.LBB405_2158:                           ;   in Loop: Header=BB405_1323 Depth=1
	s_or_b64 exec, exec, s[28:29]
.LBB405_2159:                           ;   in Loop: Header=BB405_1323 Depth=1
	s_or_b64 exec, exec, s[18:19]
	v_mul_f32_e32 v5, v23, v4
	v_and_b32_e32 v4, 0x7f800000, v5
	v_cmp_ne_u32_e64 s[8:9], s15, v4
                                        ; implicit-def: $vgpr4
	s_and_saveexec_b64 s[18:19], s[8:9]
	s_xor_b64 s[8:9], exec, s[18:19]
; %bb.2160:                             ;   in Loop: Header=BB405_1323 Depth=1
	v_bfe_u32 v4, v5, 16, 1
	v_add3_u32 v4, v5, v4, s25
                                        ; implicit-def: $vgpr5
; %bb.2161:                             ;   in Loop: Header=BB405_1323 Depth=1
	s_andn2_saveexec_b64 s[18:19], s[8:9]
; %bb.2162:                             ;   in Loop: Header=BB405_1323 Depth=1
	v_or_b32_e32 v4, 0x10000, v5
	v_cmp_eq_u32_sdwa s[8:9], v5, v37 src0_sel:WORD_0 src1_sel:DWORD
	v_cndmask_b32_e64 v4, v4, v5, s[8:9]
; %bb.2163:                             ;   in Loop: Header=BB405_1323 Depth=1
	s_or_b64 exec, exec, s[18:19]
	v_lshrrev_b16_e32 v6, 8, v2
	v_cmp_ne_u16_e64 s[8:9], 0, v6
	v_mov_b32_e32 v5, 0
	s_and_saveexec_b64 s[18:19], s[8:9]
	s_cbranch_execz .LBB405_2169
; %bb.2164:                             ;   in Loop: Header=BB405_1323 Depth=1
	v_cmp_ne_u16_e64 s[8:9], s34, v6
	v_bfrev_b32_e32 v5, 1
	s_and_saveexec_b64 s[28:29], s[8:9]
	s_cbranch_execz .LBB405_2168
; %bb.2165:                             ;   in Loop: Header=BB405_1323 Depth=1
	v_and_b32_e32 v7, 0x7f, v6
	v_cmp_ne_u32_e64 s[8:9], s35, v7
	v_mov_b32_e32 v5, 0x7f800001
	s_and_saveexec_b64 s[30:31], s[8:9]
	s_cbranch_execz .LBB405_2167
; %bb.2166:                             ;   in Loop: Header=BB405_1323 Depth=1
	v_and_b32_e32 v5, 7, v6
	v_lshrrev_b32_e32 v8, 3, v7
	v_cmp_gt_u32_e64 s[8:9], 8, v7
	v_ffbh_u32_e32 v7, v5
	v_min_u32_e32 v9, 32, v7
	v_subrev_u32_e32 v7, 28, v9
	v_lshlrev_b64 v[6:7], v7, v[6:7]
	v_sub_u32_e32 v7, 29, v9
	v_and_b32_e32 v6, 7, v6
	v_cndmask_b32_e64 v7, v8, v7, s[8:9]
	v_cndmask_b32_e64 v5, v5, v6, s[8:9]
	v_lshlrev_b32_e32 v6, 16, v2
	v_lshlrev_b32_e32 v5, 20, v5
	v_and_b32_e32 v6, 0x80000000, v6
	v_lshl_add_u32 v7, v7, 23, v40
	v_or3_b32 v5, v6, v7, v5
.LBB405_2167:                           ;   in Loop: Header=BB405_1323 Depth=1
	s_or_b64 exec, exec, s[30:31]
.LBB405_2168:                           ;   in Loop: Header=BB405_1323 Depth=1
	s_or_b64 exec, exec, s[28:29]
.LBB405_2169:                           ;   in Loop: Header=BB405_1323 Depth=1
	s_or_b64 exec, exec, s[18:19]
	v_mul_f32_e32 v6, v23, v5
	v_and_b32_e32 v5, 0x7f800000, v6
	v_cmp_ne_u32_e64 s[8:9], s15, v5
                                        ; implicit-def: $vgpr5
	s_and_saveexec_b64 s[18:19], s[8:9]
	s_xor_b64 s[8:9], exec, s[18:19]
; %bb.2170:                             ;   in Loop: Header=BB405_1323 Depth=1
	v_bfe_u32 v5, v6, 16, 1
	v_add3_u32 v5, v6, v5, s25
                                        ; implicit-def: $vgpr6
; %bb.2171:                             ;   in Loop: Header=BB405_1323 Depth=1
	s_andn2_saveexec_b64 s[18:19], s[8:9]
; %bb.2172:                             ;   in Loop: Header=BB405_1323 Depth=1
	v_or_b32_e32 v5, 0x10000, v6
	v_cmp_eq_u32_sdwa s[8:9], v6, v37 src0_sel:WORD_0 src1_sel:DWORD
	v_cndmask_b32_e64 v5, v5, v6, s[8:9]
; %bb.2173:                             ;   in Loop: Header=BB405_1323 Depth=1
	s_or_b64 exec, exec, s[18:19]
	v_lshrrev_b32_e32 v6, 16, v2
	v_cmp_ne_u16_sdwa s[8:9], v6, v37 src0_sel:BYTE_0 src1_sel:DWORD
	v_mov_b32_e32 v7, 0
	s_and_saveexec_b64 s[18:19], s[8:9]
	s_cbranch_execz .LBB405_2179
; %bb.2174:                             ;   in Loop: Header=BB405_1323 Depth=1
	v_cmp_ne_u16_sdwa s[8:9], v6, s34 src0_sel:BYTE_0 src1_sel:DWORD
	v_bfrev_b32_e32 v7, 1
	s_and_saveexec_b64 s[28:29], s[8:9]
	s_cbranch_execz .LBB405_2178
; %bb.2175:                             ;   in Loop: Header=BB405_1323 Depth=1
	v_bfe_u32 v8, v2, 16, 7
	v_cmp_ne_u32_e64 s[8:9], s35, v8
	v_mov_b32_e32 v7, 0x7f800001
	s_and_saveexec_b64 s[30:31], s[8:9]
	s_cbranch_execz .LBB405_2177
; %bb.2176:                             ;   in Loop: Header=BB405_1323 Depth=1
	v_and_b32_e32 v7, 7, v6
	v_lshrrev_b32_e32 v10, 3, v8
	v_cmp_gt_u32_e64 s[8:9], 8, v8
	v_ffbh_u32_e32 v8, v7
	v_min_u32_e32 v11, 32, v8
	v_subrev_u32_e32 v8, 28, v11
	v_lshlrev_b64 v[8:9], v8, v[6:7]
	v_sub_u32_e32 v9, 29, v11
	v_and_b32_e32 v8, 7, v8
	v_cndmask_b32_e64 v9, v10, v9, s[8:9]
	v_cndmask_b32_e64 v7, v7, v8, s[8:9]
	v_lshlrev_b32_e32 v6, 24, v6
	v_lshlrev_b32_e32 v7, 20, v7
	v_and_b32_e32 v6, 0x80000000, v6
	v_lshl_add_u32 v8, v9, 23, v40
	v_or3_b32 v7, v6, v8, v7
.LBB405_2177:                           ;   in Loop: Header=BB405_1323 Depth=1
	s_or_b64 exec, exec, s[30:31]
.LBB405_2178:                           ;   in Loop: Header=BB405_1323 Depth=1
	s_or_b64 exec, exec, s[28:29]
.LBB405_2179:                           ;   in Loop: Header=BB405_1323 Depth=1
	s_or_b64 exec, exec, s[18:19]
	v_mul_f32_e32 v6, v23, v7
	v_and_b32_e32 v7, 0x7f800000, v6
	v_cmp_ne_u32_e64 s[8:9], s15, v7
                                        ; implicit-def: $vgpr7
	s_and_saveexec_b64 s[18:19], s[8:9]
	s_xor_b64 s[8:9], exec, s[18:19]
; %bb.2180:                             ;   in Loop: Header=BB405_1323 Depth=1
	v_bfe_u32 v7, v6, 16, 1
	v_add3_u32 v7, v6, v7, s25
                                        ; implicit-def: $vgpr6
; %bb.2181:                             ;   in Loop: Header=BB405_1323 Depth=1
	s_andn2_saveexec_b64 s[18:19], s[8:9]
; %bb.2182:                             ;   in Loop: Header=BB405_1323 Depth=1
	v_or_b32_e32 v7, 0x10000, v6
	v_cmp_eq_u32_sdwa s[8:9], v6, v37 src0_sel:WORD_0 src1_sel:DWORD
	v_cndmask_b32_e64 v7, v7, v6, s[8:9]
; %bb.2183:                             ;   in Loop: Header=BB405_1323 Depth=1
	s_or_b64 exec, exec, s[18:19]
	v_cmp_lt_u32_e64 s[8:9], s13, v2
	v_mov_b32_e32 v8, 0
	s_and_saveexec_b64 s[18:19], s[8:9]
	s_cbranch_execz .LBB405_2189
; %bb.2184:                             ;   in Loop: Header=BB405_1323 Depth=1
	v_lshrrev_b32_e32 v6, 24, v2
	v_cmp_ne_u32_e64 s[8:9], s34, v6
	v_bfrev_b32_e32 v8, 1
	s_and_saveexec_b64 s[28:29], s[8:9]
	s_cbranch_execz .LBB405_2188
; %bb.2185:                             ;   in Loop: Header=BB405_1323 Depth=1
	v_bfe_u32 v9, v2, 24, 7
	v_cmp_ne_u32_e64 s[8:9], s35, v9
	v_mov_b32_e32 v8, 0x7f800001
	s_and_saveexec_b64 s[30:31], s[8:9]
	s_cbranch_execz .LBB405_2187
; %bb.2186:                             ;   in Loop: Header=BB405_1323 Depth=1
	v_and_b32_e32 v10, 7, v6
	v_ffbh_u32_e32 v8, v10
	v_min_u32_e32 v16, 32, v8
	v_subrev_u32_e32 v8, 28, v16
	v_lshrrev_b32_e32 v11, 3, v9
	v_cmp_gt_u32_e64 s[8:9], 8, v9
	v_lshlrev_b64 v[8:9], v8, v[6:7]
	v_sub_u32_e32 v9, 29, v16
	v_and_b32_e32 v8, 7, v8
	v_cndmask_b32_e64 v9, v11, v9, s[8:9]
	v_cndmask_b32_e64 v8, v10, v8, s[8:9]
	v_lshlrev_b32_e32 v6, 24, v6
	v_lshlrev_b32_e32 v8, 20, v8
	v_and_b32_e32 v6, 0x80000000, v6
	v_lshl_add_u32 v9, v9, 23, v40
	v_or3_b32 v8, v6, v9, v8
.LBB405_2187:                           ;   in Loop: Header=BB405_1323 Depth=1
	s_or_b64 exec, exec, s[30:31]
.LBB405_2188:                           ;   in Loop: Header=BB405_1323 Depth=1
	s_or_b64 exec, exec, s[28:29]
.LBB405_2189:                           ;   in Loop: Header=BB405_1323 Depth=1
	s_or_b64 exec, exec, s[18:19]
	v_mul_f32_e32 v6, v23, v8
	v_and_b32_e32 v8, 0x7f800000, v6
	v_cmp_ne_u32_e64 s[8:9], s15, v8
                                        ; implicit-def: $vgpr8
	s_and_saveexec_b64 s[18:19], s[8:9]
	s_xor_b64 s[8:9], exec, s[18:19]
; %bb.2190:                             ;   in Loop: Header=BB405_1323 Depth=1
	v_bfe_u32 v8, v6, 16, 1
	v_add3_u32 v8, v6, v8, s25
                                        ; implicit-def: $vgpr6
; %bb.2191:                             ;   in Loop: Header=BB405_1323 Depth=1
	s_andn2_saveexec_b64 s[18:19], s[8:9]
; %bb.2192:                             ;   in Loop: Header=BB405_1323 Depth=1
	v_or_b32_e32 v8, 0x10000, v6
	v_cmp_eq_u32_sdwa s[8:9], v6, v37 src0_sel:WORD_0 src1_sel:DWORD
	v_cndmask_b32_e64 v8, v8, v6, s[8:9]
; %bb.2193:                             ;   in Loop: Header=BB405_1323 Depth=1
	s_or_b64 exec, exec, s[18:19]
	v_mov_b32_e32 v36, v3
	v_cmp_ne_u16_sdwa s[8:9], v3, v37 src0_sel:BYTE_0 src1_sel:DWORD
	v_mov_b32_e32 v6, 0
	s_and_saveexec_b64 s[18:19], s[8:9]
	s_cbranch_execz .LBB405_2199
; %bb.2194:                             ;   in Loop: Header=BB405_1323 Depth=1
	v_cmp_ne_u16_sdwa s[8:9], v3, s34 src0_sel:BYTE_0 src1_sel:DWORD
	v_bfrev_b32_e32 v6, 1
	s_and_saveexec_b64 s[28:29], s[8:9]
	s_cbranch_execz .LBB405_2198
; %bb.2195:                             ;   in Loop: Header=BB405_1323 Depth=1
	v_and_b32_e32 v9, 0x7f, v3
	v_cmp_ne_u32_e64 s[8:9], s35, v9
	v_mov_b32_e32 v6, 0x7f800001
	s_and_saveexec_b64 s[30:31], s[8:9]
	s_cbranch_execz .LBB405_2197
; %bb.2196:                             ;   in Loop: Header=BB405_1323 Depth=1
	v_and_b32_e32 v6, 7, v3
	v_ffbh_u32_e32 v6, v6
	v_min_u32_e32 v6, 32, v6
	v_lshrrev_b32_e32 v10, 3, v9
	v_cmp_gt_u32_e64 s[8:9], 8, v9
	v_subrev_u32_e32 v9, 28, v6
	v_sub_u32_e32 v6, 29, v6
	v_cndmask_b32_e64 v9, 0, v9, s[8:9]
	v_cndmask_b32_e64 v6, v10, v6, s[8:9]
	v_lshlrev_b64 v[10:11], v9, v[36:37]
	v_lshlrev_b32_e32 v9, 20, v10
	v_lshlrev_b32_e32 v10, 24, v36
	v_and_b32_e32 v9, 0x700000, v9
	v_and_b32_e32 v10, 0x80000000, v10
	v_lshl_add_u32 v6, v6, 23, v40
	v_or3_b32 v6, v10, v6, v9
.LBB405_2197:                           ;   in Loop: Header=BB405_1323 Depth=1
	s_or_b64 exec, exec, s[30:31]
.LBB405_2198:                           ;   in Loop: Header=BB405_1323 Depth=1
	s_or_b64 exec, exec, s[28:29]
.LBB405_2199:                           ;   in Loop: Header=BB405_1323 Depth=1
	s_or_b64 exec, exec, s[18:19]
	v_mul_f32_e32 v6, v23, v6
	v_and_b32_e32 v9, 0x7f800000, v6
	v_cmp_ne_u32_e64 s[8:9], s15, v9
                                        ; implicit-def: $vgpr9
	s_and_saveexec_b64 s[18:19], s[8:9]
	s_xor_b64 s[8:9], exec, s[18:19]
; %bb.2200:                             ;   in Loop: Header=BB405_1323 Depth=1
	v_bfe_u32 v9, v6, 16, 1
	v_add3_u32 v9, v6, v9, s25
                                        ; implicit-def: $vgpr6
; %bb.2201:                             ;   in Loop: Header=BB405_1323 Depth=1
	s_andn2_saveexec_b64 s[18:19], s[8:9]
; %bb.2202:                             ;   in Loop: Header=BB405_1323 Depth=1
	v_or_b32_e32 v9, 0x10000, v6
	v_cmp_eq_u32_sdwa s[8:9], v6, v37 src0_sel:WORD_0 src1_sel:DWORD
	v_cndmask_b32_e64 v9, v9, v6, s[8:9]
; %bb.2203:                             ;   in Loop: Header=BB405_1323 Depth=1
	s_or_b64 exec, exec, s[18:19]
	v_lshrrev_b16_e32 v6, 8, v36
	v_cmp_ne_u16_e64 s[8:9], 0, v6
	v_mov_b32_e32 v10, 0
	s_and_saveexec_b64 s[18:19], s[8:9]
	s_cbranch_execz .LBB405_2209
; %bb.2204:                             ;   in Loop: Header=BB405_1323 Depth=1
	v_cmp_ne_u16_e64 s[8:9], s34, v6
	v_bfrev_b32_e32 v10, 1
	s_and_saveexec_b64 s[28:29], s[8:9]
	s_cbranch_execz .LBB405_2208
; %bb.2205:                             ;   in Loop: Header=BB405_1323 Depth=1
	v_and_b32_e32 v11, 0x7f, v6
	v_cmp_ne_u32_e64 s[8:9], s35, v11
	v_mov_b32_e32 v10, 0x7f800001
	s_and_saveexec_b64 s[30:31], s[8:9]
	s_cbranch_execz .LBB405_2207
; %bb.2206:                             ;   in Loop: Header=BB405_1323 Depth=1
	v_and_b32_e32 v16, 7, v6
	v_ffbh_u32_e32 v10, v16
	v_min_u32_e32 v26, 32, v10
	v_subrev_u32_e32 v10, 28, v26
	v_lshrrev_b32_e32 v22, 3, v11
	v_cmp_gt_u32_e64 s[8:9], 8, v11
	v_lshlrev_b64 v[10:11], v10, v[6:7]
	v_sub_u32_e32 v6, 29, v26
	v_and_b32_e32 v10, 7, v10
	v_cndmask_b32_e64 v6, v22, v6, s[8:9]
	v_cndmask_b32_e64 v10, v16, v10, s[8:9]
	v_lshlrev_b32_e32 v11, 16, v36
	v_lshlrev_b32_e32 v10, 20, v10
	v_and_b32_e32 v11, 0x80000000, v11
	v_lshl_add_u32 v6, v6, 23, v40
	v_or3_b32 v10, v11, v6, v10
.LBB405_2207:                           ;   in Loop: Header=BB405_1323 Depth=1
	s_or_b64 exec, exec, s[30:31]
.LBB405_2208:                           ;   in Loop: Header=BB405_1323 Depth=1
	s_or_b64 exec, exec, s[28:29]
.LBB405_2209:                           ;   in Loop: Header=BB405_1323 Depth=1
	s_or_b64 exec, exec, s[18:19]
	v_mul_f32_e32 v6, v23, v10
	v_and_b32_e32 v10, 0x7f800000, v6
	v_cmp_ne_u32_e64 s[8:9], s15, v10
                                        ; implicit-def: $vgpr10
	s_and_saveexec_b64 s[18:19], s[8:9]
	s_xor_b64 s[8:9], exec, s[18:19]
; %bb.2210:                             ;   in Loop: Header=BB405_1323 Depth=1
	v_bfe_u32 v10, v6, 16, 1
	v_add3_u32 v10, v6, v10, s25
                                        ; implicit-def: $vgpr6
; %bb.2211:                             ;   in Loop: Header=BB405_1323 Depth=1
	s_andn2_saveexec_b64 s[18:19], s[8:9]
; %bb.2212:                             ;   in Loop: Header=BB405_1323 Depth=1
	v_or_b32_e32 v10, 0x10000, v6
	v_cmp_eq_u32_sdwa s[8:9], v6, v37 src0_sel:WORD_0 src1_sel:DWORD
	v_cndmask_b32_e64 v10, v10, v6, s[8:9]
; %bb.2213:                             ;   in Loop: Header=BB405_1323 Depth=1
	s_or_b64 exec, exec, s[18:19]
	v_lshrrev_b32_e32 v6, 16, v3
	v_cmp_ne_u16_sdwa s[8:9], v6, v37 src0_sel:BYTE_0 src1_sel:DWORD
	v_mov_b32_e32 v11, 0
	s_and_saveexec_b64 s[18:19], s[8:9]
	s_cbranch_execz .LBB405_2219
; %bb.2214:                             ;   in Loop: Header=BB405_1323 Depth=1
	v_cmp_ne_u16_sdwa s[8:9], v6, s34 src0_sel:BYTE_0 src1_sel:DWORD
	v_bfrev_b32_e32 v11, 1
	s_and_saveexec_b64 s[28:29], s[8:9]
	s_cbranch_execz .LBB405_2218
; %bb.2215:                             ;   in Loop: Header=BB405_1323 Depth=1
	v_bfe_u32 v16, v3, 16, 7
	v_cmp_ne_u32_e64 s[8:9], s35, v16
	v_mov_b32_e32 v11, 0x7f800001
	s_and_saveexec_b64 s[30:31], s[8:9]
	s_cbranch_execz .LBB405_2217
; %bb.2216:                             ;   in Loop: Header=BB405_1323 Depth=1
	v_and_b32_e32 v11, 7, v6
	v_lshrrev_b32_e32 v22, 3, v16
	v_cmp_gt_u32_e64 s[8:9], 8, v16
	v_ffbh_u32_e32 v16, v11
	v_min_u32_e32 v16, 32, v16
	v_subrev_u32_e32 v26, 28, v16
	v_lshlrev_b64 v[26:27], v26, v[6:7]
	v_sub_u32_e32 v16, 29, v16
	v_and_b32_e32 v26, 7, v26
	v_cndmask_b32_e64 v16, v22, v16, s[8:9]
	v_cndmask_b32_e64 v11, v11, v26, s[8:9]
	v_lshlrev_b32_e32 v6, 24, v6
	v_lshlrev_b32_e32 v11, 20, v11
	v_and_b32_e32 v6, 0x80000000, v6
	v_lshl_add_u32 v16, v16, 23, v40
	v_or3_b32 v11, v6, v16, v11
.LBB405_2217:                           ;   in Loop: Header=BB405_1323 Depth=1
	s_or_b64 exec, exec, s[30:31]
.LBB405_2218:                           ;   in Loop: Header=BB405_1323 Depth=1
	s_or_b64 exec, exec, s[28:29]
.LBB405_2219:                           ;   in Loop: Header=BB405_1323 Depth=1
	s_or_b64 exec, exec, s[18:19]
	v_mul_f32_e32 v6, v23, v11
	v_and_b32_e32 v11, 0x7f800000, v6
	v_cmp_ne_u32_e64 s[8:9], s15, v11
                                        ; implicit-def: $vgpr11
	s_and_saveexec_b64 s[18:19], s[8:9]
	s_xor_b64 s[8:9], exec, s[18:19]
; %bb.2220:                             ;   in Loop: Header=BB405_1323 Depth=1
	v_bfe_u32 v11, v6, 16, 1
	v_add3_u32 v11, v6, v11, s25
                                        ; implicit-def: $vgpr6
; %bb.2221:                             ;   in Loop: Header=BB405_1323 Depth=1
	s_andn2_saveexec_b64 s[18:19], s[8:9]
; %bb.2222:                             ;   in Loop: Header=BB405_1323 Depth=1
	v_or_b32_e32 v11, 0x10000, v6
	v_cmp_eq_u32_sdwa s[8:9], v6, v37 src0_sel:WORD_0 src1_sel:DWORD
	v_cndmask_b32_e64 v11, v11, v6, s[8:9]
; %bb.2223:                             ;   in Loop: Header=BB405_1323 Depth=1
	s_or_b64 exec, exec, s[18:19]
	v_cmp_lt_u64_e64 s[8:9], s[12:13], v[2:3]
	v_mov_b32_e32 v6, 0
	s_and_saveexec_b64 s[18:19], s[8:9]
	s_cbranch_execz .LBB405_2229
; %bb.2224:                             ;   in Loop: Header=BB405_1323 Depth=1
	v_lshrrev_b32_e32 v2, 24, v3
	v_cmp_ne_u32_e64 s[8:9], s34, v2
	v_bfrev_b32_e32 v6, 1
	s_and_saveexec_b64 s[28:29], s[8:9]
	s_cbranch_execz .LBB405_2228
; %bb.2225:                             ;   in Loop: Header=BB405_1323 Depth=1
	v_bfe_u32 v3, v3, 24, 7
	v_cmp_ne_u32_e64 s[8:9], s35, v3
	v_mov_b32_e32 v6, 0x7f800001
	s_and_saveexec_b64 s[30:31], s[8:9]
	s_cbranch_execz .LBB405_2227
; %bb.2226:                             ;   in Loop: Header=BB405_1323 Depth=1
	v_and_b32_e32 v6, 7, v2
	v_lshrrev_b32_e32 v16, 3, v3
	v_cmp_gt_u32_e64 s[8:9], 8, v3
	v_ffbh_u32_e32 v3, v6
	v_min_u32_e32 v3, 32, v3
	v_subrev_u32_e32 v22, 28, v3
	v_lshlrev_b64 v[26:27], v22, v[2:3]
	v_sub_u32_e32 v3, 29, v3
	v_and_b32_e32 v22, 7, v26
	v_cndmask_b32_e64 v3, v16, v3, s[8:9]
	v_cndmask_b32_e64 v6, v6, v22, s[8:9]
	v_lshlrev_b32_e32 v2, 24, v2
	v_lshlrev_b32_e32 v6, 20, v6
	v_and_b32_e32 v2, 0x80000000, v2
	v_lshl_add_u32 v3, v3, 23, v40
	v_or3_b32 v6, v2, v3, v6
.LBB405_2227:                           ;   in Loop: Header=BB405_1323 Depth=1
	s_or_b64 exec, exec, s[30:31]
.LBB405_2228:                           ;   in Loop: Header=BB405_1323 Depth=1
	s_or_b64 exec, exec, s[28:29]
.LBB405_2229:                           ;   in Loop: Header=BB405_1323 Depth=1
	s_or_b64 exec, exec, s[18:19]
	v_mul_f32_e32 v3, v23, v6
	v_and_b32_e32 v2, 0x7f800000, v3
	v_cmp_ne_u32_e64 s[8:9], s15, v2
                                        ; implicit-def: $vgpr2
	s_and_saveexec_b64 s[18:19], s[8:9]
	s_xor_b64 s[8:9], exec, s[18:19]
; %bb.2230:                             ;   in Loop: Header=BB405_1323 Depth=1
	v_bfe_u32 v2, v3, 16, 1
	v_add3_u32 v2, v3, v2, s25
                                        ; implicit-def: $vgpr3
; %bb.2231:                             ;   in Loop: Header=BB405_1323 Depth=1
	s_andn2_saveexec_b64 s[18:19], s[8:9]
; %bb.2232:                             ;   in Loop: Header=BB405_1323 Depth=1
	v_or_b32_e32 v2, 0x10000, v3
	v_cmp_eq_u32_sdwa s[8:9], v3, v37 src0_sel:WORD_0 src1_sel:DWORD
	v_cndmask_b32_e64 v2, v2, v3, s[8:9]
; %bb.2233:                             ;   in Loop: Header=BB405_1323 Depth=1
	s_or_b64 exec, exec, s[18:19]
	v_lshrrev_b32_e32 v6, 16, v10
	v_lshrrev_b32_e32 v9, 16, v9
	;; [unrolled: 1-line block ×8, first 2 shown]
	s_and_saveexec_b64 s[18:19], vcc
	s_cbranch_execz .LBB405_2235
; %bb.2234:                             ;   in Loop: Header=BB405_1323 Depth=1
	v_accvgpr_read_b32 v10, a31
	v_cmp_lt_i32_e64 s[8:9], v10, v49
	v_accvgpr_read_b32 v10, a37
	v_cndmask_b32_e64 v4, 0, v4, s[8:9]
	v_cmp_lt_i32_e64 s[8:9], v10, v49
	v_accvgpr_read_b32 v10, a36
	v_cndmask_b32_e64 v5, 0, v5, s[8:9]
	v_cmp_lt_i32_e64 s[8:9], v10, v49
	v_accvgpr_read_b32 v10, a35
	v_cndmask_b32_e64 v7, 0, v7, s[8:9]
	v_cmp_lt_i32_e64 s[8:9], v10, v49
	v_accvgpr_read_b32 v10, a34
	v_cndmask_b32_e64 v8, 0, v8, s[8:9]
	v_cmp_lt_i32_e64 s[8:9], v10, v49
	v_accvgpr_read_b32 v10, a33
	v_cndmask_b32_e64 v9, 0, v9, s[8:9]
	v_cmp_lt_i32_e64 s[8:9], v10, v49
	v_accvgpr_read_b32 v10, a32
	v_cndmask_b32_e64 v6, 0, v6, s[8:9]
	v_cmp_lt_i32_e64 s[8:9], v10, v49
	v_cndmask_b32_e64 v3, 0, v3, s[8:9]
	v_cmp_lt_i32_e64 s[8:9], v17, v49
	v_cndmask_b32_e64 v2, 0, v2, s[8:9]
.LBB405_2235:                           ;   in Loop: Header=BB405_1323 Depth=1
	s_or_b64 exec, exec, s[18:19]
	v_lshlrev_b32_e32 v4, 16, v4
	v_accvgpr_read_b32 v10, a38
	v_mul_f32_e32 v4, v10, v4
	v_and_b32_e32 v10, 0x7f800000, v4
	v_cmp_ne_u32_e64 s[8:9], s15, v10
                                        ; implicit-def: $agpr46
	s_and_saveexec_b64 s[18:19], s[8:9]
	s_xor_b64 s[8:9], exec, s[18:19]
; %bb.2236:                             ;   in Loop: Header=BB405_1323 Depth=1
	v_bfe_u32 v10, v4, 16, 1
	v_add3_u32 v4, v4, v10, s25
	v_accvgpr_write_b32 a46, v4
                                        ; implicit-def: $vgpr4
; %bb.2237:                             ;   in Loop: Header=BB405_1323 Depth=1
	s_andn2_saveexec_b64 s[18:19], s[8:9]
; %bb.2238:                             ;   in Loop: Header=BB405_1323 Depth=1
	v_or_b32_e32 v10, 0x10000, v4
	v_cmp_eq_u32_sdwa s[8:9], v4, v37 src0_sel:WORD_0 src1_sel:DWORD
	v_cndmask_b32_e64 v4, v10, v4, s[8:9]
	v_accvgpr_write_b32 a46, v4
; %bb.2239:                             ;   in Loop: Header=BB405_1323 Depth=1
	s_or_b64 exec, exec, s[18:19]
	v_lshlrev_b32_e32 v4, 16, v5
	v_mul_f32_e32 v4, v53, v4
	v_and_b32_e32 v5, 0x7f800000, v4
	v_cmp_ne_u32_e64 s[8:9], s15, v5
                                        ; implicit-def: $agpr47
	s_and_saveexec_b64 s[18:19], s[8:9]
	s_xor_b64 s[8:9], exec, s[18:19]
; %bb.2240:                             ;   in Loop: Header=BB405_1323 Depth=1
	v_bfe_u32 v5, v4, 16, 1
	v_add3_u32 v4, v4, v5, s25
	v_accvgpr_write_b32 a47, v4
                                        ; implicit-def: $vgpr4
; %bb.2241:                             ;   in Loop: Header=BB405_1323 Depth=1
	s_andn2_saveexec_b64 s[18:19], s[8:9]
; %bb.2242:                             ;   in Loop: Header=BB405_1323 Depth=1
	v_or_b32_e32 v5, 0x10000, v4
	v_cmp_eq_u32_sdwa s[8:9], v4, v37 src0_sel:WORD_0 src1_sel:DWORD
	v_cndmask_b32_e64 v4, v5, v4, s[8:9]
	v_accvgpr_write_b32 a47, v4
; %bb.2243:                             ;   in Loop: Header=BB405_1323 Depth=1
	s_or_b64 exec, exec, s[18:19]
	v_lshlrev_b32_e32 v4, 16, v7
	v_mul_f32_e32 v4, v45, v4
	v_and_b32_e32 v5, 0x7f800000, v4
	v_cmp_ne_u32_e64 s[8:9], s15, v5
                                        ; implicit-def: $agpr48
	s_and_saveexec_b64 s[18:19], s[8:9]
	s_xor_b64 s[8:9], exec, s[18:19]
; %bb.2244:                             ;   in Loop: Header=BB405_1323 Depth=1
	v_bfe_u32 v5, v4, 16, 1
	v_add3_u32 v4, v4, v5, s25
	v_accvgpr_write_b32 a48, v4
                                        ; implicit-def: $vgpr4
; %bb.2245:                             ;   in Loop: Header=BB405_1323 Depth=1
	s_andn2_saveexec_b64 s[18:19], s[8:9]
; %bb.2246:                             ;   in Loop: Header=BB405_1323 Depth=1
	v_or_b32_e32 v5, 0x10000, v4
	v_cmp_eq_u32_sdwa s[8:9], v4, v37 src0_sel:WORD_0 src1_sel:DWORD
	v_cndmask_b32_e64 v4, v5, v4, s[8:9]
	v_accvgpr_write_b32 a48, v4
; %bb.2247:                             ;   in Loop: Header=BB405_1323 Depth=1
	s_or_b64 exec, exec, s[18:19]
	v_lshlrev_b32_e32 v4, 16, v8
	v_mul_f32_e32 v4, v46, v4
	v_and_b32_e32 v5, 0x7f800000, v4
	v_cmp_ne_u32_e64 s[8:9], s15, v5
                                        ; implicit-def: $agpr49
	s_and_saveexec_b64 s[18:19], s[8:9]
	s_xor_b64 s[8:9], exec, s[18:19]
; %bb.2248:                             ;   in Loop: Header=BB405_1323 Depth=1
	v_bfe_u32 v5, v4, 16, 1
	v_add3_u32 v4, v4, v5, s25
	v_accvgpr_write_b32 a49, v4
                                        ; implicit-def: $vgpr4
; %bb.2249:                             ;   in Loop: Header=BB405_1323 Depth=1
	s_andn2_saveexec_b64 s[18:19], s[8:9]
; %bb.2250:                             ;   in Loop: Header=BB405_1323 Depth=1
	v_or_b32_e32 v5, 0x10000, v4
	v_cmp_eq_u32_sdwa s[8:9], v4, v37 src0_sel:WORD_0 src1_sel:DWORD
	v_cndmask_b32_e64 v4, v5, v4, s[8:9]
	v_accvgpr_write_b32 a49, v4
; %bb.2251:                             ;   in Loop: Header=BB405_1323 Depth=1
	s_or_b64 exec, exec, s[18:19]
	v_lshlrev_b32_e32 v4, 16, v9
	v_mul_f32_e32 v4, v48, v4
	v_and_b32_e32 v5, 0x7f800000, v4
	v_cmp_ne_u32_e64 s[8:9], s15, v5
                                        ; implicit-def: $agpr50
	s_and_saveexec_b64 s[18:19], s[8:9]
	s_xor_b64 s[8:9], exec, s[18:19]
; %bb.2252:                             ;   in Loop: Header=BB405_1323 Depth=1
	v_bfe_u32 v5, v4, 16, 1
	v_add3_u32 v4, v4, v5, s25
	v_accvgpr_write_b32 a50, v4
                                        ; implicit-def: $vgpr4
; %bb.2253:                             ;   in Loop: Header=BB405_1323 Depth=1
	s_andn2_saveexec_b64 s[18:19], s[8:9]
; %bb.2254:                             ;   in Loop: Header=BB405_1323 Depth=1
	v_or_b32_e32 v5, 0x10000, v4
	v_cmp_eq_u32_sdwa s[8:9], v4, v37 src0_sel:WORD_0 src1_sel:DWORD
	v_cndmask_b32_e64 v4, v5, v4, s[8:9]
	v_accvgpr_write_b32 a50, v4
; %bb.2255:                             ;   in Loop: Header=BB405_1323 Depth=1
	s_or_b64 exec, exec, s[18:19]
	v_lshlrev_b32_e32 v4, 16, v6
	v_mul_f32_e32 v4, v62, v4
	v_and_b32_e32 v5, 0x7f800000, v4
	v_cmp_ne_u32_e64 s[8:9], s15, v5
                                        ; implicit-def: $agpr51
	s_and_saveexec_b64 s[18:19], s[8:9]
	s_xor_b64 s[8:9], exec, s[18:19]
; %bb.2256:                             ;   in Loop: Header=BB405_1323 Depth=1
	v_bfe_u32 v5, v4, 16, 1
	v_add3_u32 v4, v4, v5, s25
	v_accvgpr_write_b32 a51, v4
                                        ; implicit-def: $vgpr4
; %bb.2257:                             ;   in Loop: Header=BB405_1323 Depth=1
	s_andn2_saveexec_b64 s[18:19], s[8:9]
; %bb.2258:                             ;   in Loop: Header=BB405_1323 Depth=1
	v_or_b32_e32 v5, 0x10000, v4
	v_cmp_eq_u32_sdwa s[8:9], v4, v37 src0_sel:WORD_0 src1_sel:DWORD
	v_cndmask_b32_e64 v4, v5, v4, s[8:9]
	v_accvgpr_write_b32 a51, v4
; %bb.2259:                             ;   in Loop: Header=BB405_1323 Depth=1
	s_or_b64 exec, exec, s[18:19]
	v_lshlrev_b32_e32 v3, 16, v3
	v_mul_f32_e32 v3, v55, v3
	v_and_b32_e32 v4, 0x7f800000, v3
	v_cmp_ne_u32_e64 s[8:9], s15, v4
                                        ; implicit-def: $agpr52
	s_and_saveexec_b64 s[18:19], s[8:9]
	s_xor_b64 s[8:9], exec, s[18:19]
; %bb.2260:                             ;   in Loop: Header=BB405_1323 Depth=1
	v_bfe_u32 v4, v3, 16, 1
	v_add3_u32 v3, v3, v4, s25
	v_accvgpr_write_b32 a52, v3
                                        ; implicit-def: $vgpr3
; %bb.2261:                             ;   in Loop: Header=BB405_1323 Depth=1
	s_andn2_saveexec_b64 s[18:19], s[8:9]
; %bb.2262:                             ;   in Loop: Header=BB405_1323 Depth=1
	v_or_b32_e32 v4, 0x10000, v3
	v_cmp_eq_u32_sdwa s[8:9], v3, v37 src0_sel:WORD_0 src1_sel:DWORD
	v_cndmask_b32_e64 v3, v4, v3, s[8:9]
	v_accvgpr_write_b32 a52, v3
; %bb.2263:                             ;   in Loop: Header=BB405_1323 Depth=1
	s_or_b64 exec, exec, s[18:19]
	v_lshlrev_b32_e32 v2, 16, v2
	v_mul_f32_e32 v2, v52, v2
	v_and_b32_e32 v3, 0x7f800000, v2
	v_cmp_ne_u32_e64 s[8:9], s15, v3
                                        ; implicit-def: $agpr53
	s_and_saveexec_b64 s[18:19], s[8:9]
	s_xor_b64 s[8:9], exec, s[18:19]
; %bb.2264:                             ;   in Loop: Header=BB405_1323 Depth=1
	v_bfe_u32 v3, v2, 16, 1
	v_add3_u32 v2, v2, v3, s25
	v_accvgpr_write_b32 a53, v2
                                        ; implicit-def: $vgpr2
; %bb.2265:                             ;   in Loop: Header=BB405_1323 Depth=1
	s_andn2_saveexec_b64 s[18:19], s[8:9]
; %bb.2266:                             ;   in Loop: Header=BB405_1323 Depth=1
	v_or_b32_e32 v3, 0x10000, v2
	v_cmp_eq_u32_sdwa s[8:9], v2, v37 src0_sel:WORD_0 src1_sel:DWORD
	v_cndmask_b32_e64 v2, v3, v2, s[8:9]
	v_accvgpr_write_b32 a53, v2
; %bb.2267:                             ;   in Loop: Header=BB405_1323 Depth=1
	s_or_b64 exec, exec, s[18:19]
	buffer_load_dword v2, off, s[0:3], s32 offset:408 ; 4-byte Folded Reload
	buffer_load_dword v3, off, s[0:3], s32 offset:412 ; 4-byte Folded Reload
	v_mov_b32_e32 v4, 0
	s_waitcnt vmcnt(1)
	v_add_co_u32_e64 v2, s[8:9], v0, v2
	s_waitcnt vmcnt(0)
	v_addc_co_u32_e64 v3, s[8:9], 0, v1, s[8:9]
	flat_load_dwordx2 v[2:3], v[2:3]
	s_waitcnt vmcnt(0) lgkmcnt(0)
	v_cmp_ne_u16_sdwa s[8:9], v2, v37 src0_sel:BYTE_0 src1_sel:DWORD
	s_and_saveexec_b64 s[18:19], s[8:9]
	s_cbranch_execz .LBB405_2273
; %bb.2268:                             ;   in Loop: Header=BB405_1323 Depth=1
	v_cmp_ne_u16_sdwa s[8:9], v2, s34 src0_sel:BYTE_0 src1_sel:DWORD
	v_bfrev_b32_e32 v4, 1
	s_and_saveexec_b64 s[28:29], s[8:9]
	s_cbranch_execz .LBB405_2272
; %bb.2269:                             ;   in Loop: Header=BB405_1323 Depth=1
	v_and_b32_e32 v5, 0x7f, v2
	v_cmp_ne_u32_e64 s[8:9], s35, v5
	v_mov_b32_e32 v4, 0x7f800001
	s_and_saveexec_b64 s[30:31], s[8:9]
	s_cbranch_execz .LBB405_2271
; %bb.2270:                             ;   in Loop: Header=BB405_1323 Depth=1
	v_and_b32_e32 v4, 7, v2
	v_ffbh_u32_e32 v4, v4
	v_min_u32_e32 v4, 32, v4
	v_lshrrev_b32_e32 v6, 3, v5
	v_cmp_gt_u32_e64 s[8:9], 8, v5
	v_subrev_u32_e32 v5, 28, v4
	v_sub_u32_e32 v4, 29, v4
	v_cndmask_b32_e64 v6, v6, v4, s[8:9]
	v_cndmask_b32_e64 v4, 0, v5, s[8:9]
	v_lshlrev_b64 v[4:5], v4, v[2:3]
	v_lshlrev_b32_e32 v4, 20, v4
	v_lshlrev_b32_e32 v5, 24, v2
	v_and_b32_e32 v4, 0x700000, v4
	v_and_b32_e32 v5, 0x80000000, v5
	v_lshl_add_u32 v6, v6, 23, v40
	v_or3_b32 v4, v5, v6, v4
.LBB405_2271:                           ;   in Loop: Header=BB405_1323 Depth=1
	s_or_b64 exec, exec, s[30:31]
.LBB405_2272:                           ;   in Loop: Header=BB405_1323 Depth=1
	s_or_b64 exec, exec, s[28:29]
.LBB405_2273:                           ;   in Loop: Header=BB405_1323 Depth=1
	s_or_b64 exec, exec, s[18:19]
	v_mul_f32_e32 v5, v23, v4
	v_and_b32_e32 v4, 0x7f800000, v5
	v_cmp_ne_u32_e64 s[8:9], s15, v4
                                        ; implicit-def: $vgpr4
	s_and_saveexec_b64 s[18:19], s[8:9]
	s_xor_b64 s[8:9], exec, s[18:19]
; %bb.2274:                             ;   in Loop: Header=BB405_1323 Depth=1
	v_bfe_u32 v4, v5, 16, 1
	v_add3_u32 v4, v5, v4, s25
                                        ; implicit-def: $vgpr5
; %bb.2275:                             ;   in Loop: Header=BB405_1323 Depth=1
	s_andn2_saveexec_b64 s[18:19], s[8:9]
; %bb.2276:                             ;   in Loop: Header=BB405_1323 Depth=1
	v_or_b32_e32 v4, 0x10000, v5
	v_cmp_eq_u32_sdwa s[8:9], v5, v37 src0_sel:WORD_0 src1_sel:DWORD
	v_cndmask_b32_e64 v4, v4, v5, s[8:9]
; %bb.2277:                             ;   in Loop: Header=BB405_1323 Depth=1
	s_or_b64 exec, exec, s[18:19]
	v_lshrrev_b16_e32 v6, 8, v2
	v_cmp_ne_u16_e64 s[8:9], 0, v6
	v_mov_b32_e32 v5, 0
	s_and_saveexec_b64 s[18:19], s[8:9]
	s_cbranch_execz .LBB405_2283
; %bb.2278:                             ;   in Loop: Header=BB405_1323 Depth=1
	v_cmp_ne_u16_e64 s[8:9], s34, v6
	v_bfrev_b32_e32 v5, 1
	s_and_saveexec_b64 s[28:29], s[8:9]
	s_cbranch_execz .LBB405_2282
; %bb.2279:                             ;   in Loop: Header=BB405_1323 Depth=1
	v_and_b32_e32 v7, 0x7f, v6
	v_cmp_ne_u32_e64 s[8:9], s35, v7
	v_mov_b32_e32 v5, 0x7f800001
	s_and_saveexec_b64 s[30:31], s[8:9]
	s_cbranch_execz .LBB405_2281
; %bb.2280:                             ;   in Loop: Header=BB405_1323 Depth=1
	v_and_b32_e32 v5, 7, v6
	v_lshrrev_b32_e32 v8, 3, v7
	v_cmp_gt_u32_e64 s[8:9], 8, v7
	v_ffbh_u32_e32 v7, v5
	v_min_u32_e32 v9, 32, v7
	v_subrev_u32_e32 v7, 28, v9
	v_lshlrev_b64 v[6:7], v7, v[6:7]
	v_sub_u32_e32 v7, 29, v9
	v_and_b32_e32 v6, 7, v6
	v_cndmask_b32_e64 v7, v8, v7, s[8:9]
	v_cndmask_b32_e64 v5, v5, v6, s[8:9]
	v_lshlrev_b32_e32 v6, 16, v2
	v_lshlrev_b32_e32 v5, 20, v5
	v_and_b32_e32 v6, 0x80000000, v6
	v_lshl_add_u32 v7, v7, 23, v40
	v_or3_b32 v5, v6, v7, v5
.LBB405_2281:                           ;   in Loop: Header=BB405_1323 Depth=1
	s_or_b64 exec, exec, s[30:31]
.LBB405_2282:                           ;   in Loop: Header=BB405_1323 Depth=1
	s_or_b64 exec, exec, s[28:29]
.LBB405_2283:                           ;   in Loop: Header=BB405_1323 Depth=1
	s_or_b64 exec, exec, s[18:19]
	v_mul_f32_e32 v6, v23, v5
	v_and_b32_e32 v5, 0x7f800000, v6
	v_cmp_ne_u32_e64 s[8:9], s15, v5
                                        ; implicit-def: $vgpr5
	s_and_saveexec_b64 s[18:19], s[8:9]
	s_xor_b64 s[8:9], exec, s[18:19]
; %bb.2284:                             ;   in Loop: Header=BB405_1323 Depth=1
	v_bfe_u32 v5, v6, 16, 1
	v_add3_u32 v5, v6, v5, s25
                                        ; implicit-def: $vgpr6
; %bb.2285:                             ;   in Loop: Header=BB405_1323 Depth=1
	s_andn2_saveexec_b64 s[18:19], s[8:9]
; %bb.2286:                             ;   in Loop: Header=BB405_1323 Depth=1
	v_or_b32_e32 v5, 0x10000, v6
	v_cmp_eq_u32_sdwa s[8:9], v6, v37 src0_sel:WORD_0 src1_sel:DWORD
	v_cndmask_b32_e64 v5, v5, v6, s[8:9]
; %bb.2287:                             ;   in Loop: Header=BB405_1323 Depth=1
	s_or_b64 exec, exec, s[18:19]
	v_lshrrev_b32_e32 v6, 16, v2
	v_cmp_ne_u16_sdwa s[8:9], v6, v37 src0_sel:BYTE_0 src1_sel:DWORD
	v_mov_b32_e32 v7, 0
	s_and_saveexec_b64 s[18:19], s[8:9]
	s_cbranch_execz .LBB405_2293
; %bb.2288:                             ;   in Loop: Header=BB405_1323 Depth=1
	v_cmp_ne_u16_sdwa s[8:9], v6, s34 src0_sel:BYTE_0 src1_sel:DWORD
	v_bfrev_b32_e32 v7, 1
	s_and_saveexec_b64 s[28:29], s[8:9]
	s_cbranch_execz .LBB405_2292
; %bb.2289:                             ;   in Loop: Header=BB405_1323 Depth=1
	v_bfe_u32 v8, v2, 16, 7
	v_cmp_ne_u32_e64 s[8:9], s35, v8
	v_mov_b32_e32 v7, 0x7f800001
	s_and_saveexec_b64 s[30:31], s[8:9]
	s_cbranch_execz .LBB405_2291
; %bb.2290:                             ;   in Loop: Header=BB405_1323 Depth=1
	v_and_b32_e32 v7, 7, v6
	v_lshrrev_b32_e32 v10, 3, v8
	v_cmp_gt_u32_e64 s[8:9], 8, v8
	v_ffbh_u32_e32 v8, v7
	v_min_u32_e32 v11, 32, v8
	v_subrev_u32_e32 v8, 28, v11
	v_lshlrev_b64 v[8:9], v8, v[6:7]
	v_sub_u32_e32 v9, 29, v11
	v_and_b32_e32 v8, 7, v8
	v_cndmask_b32_e64 v9, v10, v9, s[8:9]
	v_cndmask_b32_e64 v7, v7, v8, s[8:9]
	v_lshlrev_b32_e32 v6, 24, v6
	v_lshlrev_b32_e32 v7, 20, v7
	v_and_b32_e32 v6, 0x80000000, v6
	v_lshl_add_u32 v8, v9, 23, v40
	v_or3_b32 v7, v6, v8, v7
.LBB405_2291:                           ;   in Loop: Header=BB405_1323 Depth=1
	s_or_b64 exec, exec, s[30:31]
.LBB405_2292:                           ;   in Loop: Header=BB405_1323 Depth=1
	s_or_b64 exec, exec, s[28:29]
.LBB405_2293:                           ;   in Loop: Header=BB405_1323 Depth=1
	s_or_b64 exec, exec, s[18:19]
	v_mul_f32_e32 v6, v23, v7
	v_and_b32_e32 v7, 0x7f800000, v6
	v_cmp_ne_u32_e64 s[8:9], s15, v7
                                        ; implicit-def: $vgpr7
	s_and_saveexec_b64 s[18:19], s[8:9]
	s_xor_b64 s[8:9], exec, s[18:19]
; %bb.2294:                             ;   in Loop: Header=BB405_1323 Depth=1
	v_bfe_u32 v7, v6, 16, 1
	v_add3_u32 v7, v6, v7, s25
                                        ; implicit-def: $vgpr6
; %bb.2295:                             ;   in Loop: Header=BB405_1323 Depth=1
	s_andn2_saveexec_b64 s[18:19], s[8:9]
; %bb.2296:                             ;   in Loop: Header=BB405_1323 Depth=1
	v_or_b32_e32 v7, 0x10000, v6
	v_cmp_eq_u32_sdwa s[8:9], v6, v37 src0_sel:WORD_0 src1_sel:DWORD
	v_cndmask_b32_e64 v7, v7, v6, s[8:9]
; %bb.2297:                             ;   in Loop: Header=BB405_1323 Depth=1
	s_or_b64 exec, exec, s[18:19]
	v_cmp_lt_u32_e64 s[8:9], s13, v2
	v_mov_b32_e32 v8, 0
	s_and_saveexec_b64 s[18:19], s[8:9]
	s_cbranch_execz .LBB405_2303
; %bb.2298:                             ;   in Loop: Header=BB405_1323 Depth=1
	v_lshrrev_b32_e32 v6, 24, v2
	v_cmp_ne_u32_e64 s[8:9], s34, v6
	v_bfrev_b32_e32 v8, 1
	s_and_saveexec_b64 s[28:29], s[8:9]
	s_cbranch_execz .LBB405_2302
; %bb.2299:                             ;   in Loop: Header=BB405_1323 Depth=1
	v_bfe_u32 v9, v2, 24, 7
	v_cmp_ne_u32_e64 s[8:9], s35, v9
	v_mov_b32_e32 v8, 0x7f800001
	s_and_saveexec_b64 s[30:31], s[8:9]
	s_cbranch_execz .LBB405_2301
; %bb.2300:                             ;   in Loop: Header=BB405_1323 Depth=1
	v_and_b32_e32 v10, 7, v6
	v_ffbh_u32_e32 v8, v10
	v_min_u32_e32 v16, 32, v8
	v_subrev_u32_e32 v8, 28, v16
	v_lshrrev_b32_e32 v11, 3, v9
	v_cmp_gt_u32_e64 s[8:9], 8, v9
	v_lshlrev_b64 v[8:9], v8, v[6:7]
	v_sub_u32_e32 v9, 29, v16
	v_and_b32_e32 v8, 7, v8
	v_cndmask_b32_e64 v9, v11, v9, s[8:9]
	v_cndmask_b32_e64 v8, v10, v8, s[8:9]
	v_lshlrev_b32_e32 v6, 24, v6
	v_lshlrev_b32_e32 v8, 20, v8
	v_and_b32_e32 v6, 0x80000000, v6
	v_lshl_add_u32 v9, v9, 23, v40
	v_or3_b32 v8, v6, v9, v8
.LBB405_2301:                           ;   in Loop: Header=BB405_1323 Depth=1
	s_or_b64 exec, exec, s[30:31]
.LBB405_2302:                           ;   in Loop: Header=BB405_1323 Depth=1
	s_or_b64 exec, exec, s[28:29]
.LBB405_2303:                           ;   in Loop: Header=BB405_1323 Depth=1
	s_or_b64 exec, exec, s[18:19]
	v_mul_f32_e32 v6, v23, v8
	v_and_b32_e32 v8, 0x7f800000, v6
	v_cmp_ne_u32_e64 s[8:9], s15, v8
                                        ; implicit-def: $vgpr8
	s_and_saveexec_b64 s[18:19], s[8:9]
	s_xor_b64 s[8:9], exec, s[18:19]
; %bb.2304:                             ;   in Loop: Header=BB405_1323 Depth=1
	v_bfe_u32 v8, v6, 16, 1
	v_add3_u32 v8, v6, v8, s25
                                        ; implicit-def: $vgpr6
; %bb.2305:                             ;   in Loop: Header=BB405_1323 Depth=1
	s_andn2_saveexec_b64 s[18:19], s[8:9]
; %bb.2306:                             ;   in Loop: Header=BB405_1323 Depth=1
	v_or_b32_e32 v8, 0x10000, v6
	v_cmp_eq_u32_sdwa s[8:9], v6, v37 src0_sel:WORD_0 src1_sel:DWORD
	v_cndmask_b32_e64 v8, v8, v6, s[8:9]
; %bb.2307:                             ;   in Loop: Header=BB405_1323 Depth=1
	s_or_b64 exec, exec, s[18:19]
	v_mov_b32_e32 v36, v3
	v_cmp_ne_u16_sdwa s[8:9], v3, v37 src0_sel:BYTE_0 src1_sel:DWORD
	v_mov_b32_e32 v6, 0
	s_and_saveexec_b64 s[18:19], s[8:9]
	s_cbranch_execz .LBB405_2313
; %bb.2308:                             ;   in Loop: Header=BB405_1323 Depth=1
	v_cmp_ne_u16_sdwa s[8:9], v3, s34 src0_sel:BYTE_0 src1_sel:DWORD
	v_bfrev_b32_e32 v6, 1
	s_and_saveexec_b64 s[28:29], s[8:9]
	s_cbranch_execz .LBB405_2312
; %bb.2309:                             ;   in Loop: Header=BB405_1323 Depth=1
	v_and_b32_e32 v9, 0x7f, v3
	v_cmp_ne_u32_e64 s[8:9], s35, v9
	v_mov_b32_e32 v6, 0x7f800001
	s_and_saveexec_b64 s[30:31], s[8:9]
	s_cbranch_execz .LBB405_2311
; %bb.2310:                             ;   in Loop: Header=BB405_1323 Depth=1
	v_and_b32_e32 v6, 7, v3
	v_ffbh_u32_e32 v6, v6
	v_min_u32_e32 v6, 32, v6
	v_lshrrev_b32_e32 v10, 3, v9
	v_cmp_gt_u32_e64 s[8:9], 8, v9
	v_subrev_u32_e32 v9, 28, v6
	v_sub_u32_e32 v6, 29, v6
	v_cndmask_b32_e64 v9, 0, v9, s[8:9]
	v_cndmask_b32_e64 v6, v10, v6, s[8:9]
	v_lshlrev_b64 v[10:11], v9, v[36:37]
	v_lshlrev_b32_e32 v9, 20, v10
	v_lshlrev_b32_e32 v10, 24, v36
	v_and_b32_e32 v9, 0x700000, v9
	v_and_b32_e32 v10, 0x80000000, v10
	v_lshl_add_u32 v6, v6, 23, v40
	v_or3_b32 v6, v10, v6, v9
.LBB405_2311:                           ;   in Loop: Header=BB405_1323 Depth=1
	s_or_b64 exec, exec, s[30:31]
.LBB405_2312:                           ;   in Loop: Header=BB405_1323 Depth=1
	s_or_b64 exec, exec, s[28:29]
.LBB405_2313:                           ;   in Loop: Header=BB405_1323 Depth=1
	s_or_b64 exec, exec, s[18:19]
	v_mul_f32_e32 v6, v23, v6
	v_and_b32_e32 v9, 0x7f800000, v6
	v_cmp_ne_u32_e64 s[8:9], s15, v9
                                        ; implicit-def: $vgpr9
	s_and_saveexec_b64 s[18:19], s[8:9]
	s_xor_b64 s[8:9], exec, s[18:19]
; %bb.2314:                             ;   in Loop: Header=BB405_1323 Depth=1
	v_bfe_u32 v9, v6, 16, 1
	v_add3_u32 v9, v6, v9, s25
                                        ; implicit-def: $vgpr6
; %bb.2315:                             ;   in Loop: Header=BB405_1323 Depth=1
	s_andn2_saveexec_b64 s[18:19], s[8:9]
; %bb.2316:                             ;   in Loop: Header=BB405_1323 Depth=1
	v_or_b32_e32 v9, 0x10000, v6
	v_cmp_eq_u32_sdwa s[8:9], v6, v37 src0_sel:WORD_0 src1_sel:DWORD
	v_cndmask_b32_e64 v9, v9, v6, s[8:9]
; %bb.2317:                             ;   in Loop: Header=BB405_1323 Depth=1
	s_or_b64 exec, exec, s[18:19]
	v_lshrrev_b16_e32 v6, 8, v36
	v_cmp_ne_u16_e64 s[8:9], 0, v6
	v_mov_b32_e32 v10, 0
	s_and_saveexec_b64 s[18:19], s[8:9]
	s_cbranch_execz .LBB405_2323
; %bb.2318:                             ;   in Loop: Header=BB405_1323 Depth=1
	v_cmp_ne_u16_e64 s[8:9], s34, v6
	v_bfrev_b32_e32 v10, 1
	s_and_saveexec_b64 s[28:29], s[8:9]
	s_cbranch_execz .LBB405_2322
; %bb.2319:                             ;   in Loop: Header=BB405_1323 Depth=1
	v_and_b32_e32 v11, 0x7f, v6
	v_cmp_ne_u32_e64 s[8:9], s35, v11
	v_mov_b32_e32 v10, 0x7f800001
	s_and_saveexec_b64 s[30:31], s[8:9]
	s_cbranch_execz .LBB405_2321
; %bb.2320:                             ;   in Loop: Header=BB405_1323 Depth=1
	v_and_b32_e32 v16, 7, v6
	v_ffbh_u32_e32 v10, v16
	v_min_u32_e32 v26, 32, v10
	v_subrev_u32_e32 v10, 28, v26
	v_lshrrev_b32_e32 v22, 3, v11
	v_cmp_gt_u32_e64 s[8:9], 8, v11
	v_lshlrev_b64 v[10:11], v10, v[6:7]
	v_sub_u32_e32 v6, 29, v26
	v_and_b32_e32 v10, 7, v10
	v_cndmask_b32_e64 v6, v22, v6, s[8:9]
	v_cndmask_b32_e64 v10, v16, v10, s[8:9]
	v_lshlrev_b32_e32 v11, 16, v36
	v_lshlrev_b32_e32 v10, 20, v10
	v_and_b32_e32 v11, 0x80000000, v11
	v_lshl_add_u32 v6, v6, 23, v40
	v_or3_b32 v10, v11, v6, v10
.LBB405_2321:                           ;   in Loop: Header=BB405_1323 Depth=1
	s_or_b64 exec, exec, s[30:31]
.LBB405_2322:                           ;   in Loop: Header=BB405_1323 Depth=1
	s_or_b64 exec, exec, s[28:29]
.LBB405_2323:                           ;   in Loop: Header=BB405_1323 Depth=1
	s_or_b64 exec, exec, s[18:19]
	v_mul_f32_e32 v6, v23, v10
	v_and_b32_e32 v10, 0x7f800000, v6
	v_cmp_ne_u32_e64 s[8:9], s15, v10
                                        ; implicit-def: $vgpr10
	s_and_saveexec_b64 s[18:19], s[8:9]
	s_xor_b64 s[8:9], exec, s[18:19]
; %bb.2324:                             ;   in Loop: Header=BB405_1323 Depth=1
	v_bfe_u32 v10, v6, 16, 1
	v_add3_u32 v10, v6, v10, s25
                                        ; implicit-def: $vgpr6
; %bb.2325:                             ;   in Loop: Header=BB405_1323 Depth=1
	s_andn2_saveexec_b64 s[18:19], s[8:9]
; %bb.2326:                             ;   in Loop: Header=BB405_1323 Depth=1
	v_or_b32_e32 v10, 0x10000, v6
	v_cmp_eq_u32_sdwa s[8:9], v6, v37 src0_sel:WORD_0 src1_sel:DWORD
	v_cndmask_b32_e64 v10, v10, v6, s[8:9]
; %bb.2327:                             ;   in Loop: Header=BB405_1323 Depth=1
	s_or_b64 exec, exec, s[18:19]
	v_lshrrev_b32_e32 v6, 16, v3
	v_cmp_ne_u16_sdwa s[8:9], v6, v37 src0_sel:BYTE_0 src1_sel:DWORD
	v_mov_b32_e32 v11, 0
	s_and_saveexec_b64 s[18:19], s[8:9]
	s_cbranch_execz .LBB405_2333
; %bb.2328:                             ;   in Loop: Header=BB405_1323 Depth=1
	v_cmp_ne_u16_sdwa s[8:9], v6, s34 src0_sel:BYTE_0 src1_sel:DWORD
	v_bfrev_b32_e32 v11, 1
	s_and_saveexec_b64 s[28:29], s[8:9]
	s_cbranch_execz .LBB405_2332
; %bb.2329:                             ;   in Loop: Header=BB405_1323 Depth=1
	v_bfe_u32 v16, v3, 16, 7
	v_cmp_ne_u32_e64 s[8:9], s35, v16
	v_mov_b32_e32 v11, 0x7f800001
	s_and_saveexec_b64 s[30:31], s[8:9]
	s_cbranch_execz .LBB405_2331
; %bb.2330:                             ;   in Loop: Header=BB405_1323 Depth=1
	v_and_b32_e32 v11, 7, v6
	v_lshrrev_b32_e32 v22, 3, v16
	v_cmp_gt_u32_e64 s[8:9], 8, v16
	v_ffbh_u32_e32 v16, v11
	v_min_u32_e32 v16, 32, v16
	v_subrev_u32_e32 v26, 28, v16
	v_lshlrev_b64 v[26:27], v26, v[6:7]
	v_sub_u32_e32 v16, 29, v16
	v_and_b32_e32 v26, 7, v26
	v_cndmask_b32_e64 v16, v22, v16, s[8:9]
	v_cndmask_b32_e64 v11, v11, v26, s[8:9]
	v_lshlrev_b32_e32 v6, 24, v6
	v_lshlrev_b32_e32 v11, 20, v11
	v_and_b32_e32 v6, 0x80000000, v6
	v_lshl_add_u32 v16, v16, 23, v40
	v_or3_b32 v11, v6, v16, v11
.LBB405_2331:                           ;   in Loop: Header=BB405_1323 Depth=1
	s_or_b64 exec, exec, s[30:31]
.LBB405_2332:                           ;   in Loop: Header=BB405_1323 Depth=1
	s_or_b64 exec, exec, s[28:29]
.LBB405_2333:                           ;   in Loop: Header=BB405_1323 Depth=1
	s_or_b64 exec, exec, s[18:19]
	v_mul_f32_e32 v6, v23, v11
	v_and_b32_e32 v11, 0x7f800000, v6
	v_cmp_ne_u32_e64 s[8:9], s15, v11
                                        ; implicit-def: $vgpr11
	s_and_saveexec_b64 s[18:19], s[8:9]
	s_xor_b64 s[8:9], exec, s[18:19]
; %bb.2334:                             ;   in Loop: Header=BB405_1323 Depth=1
	v_bfe_u32 v11, v6, 16, 1
	v_add3_u32 v11, v6, v11, s25
                                        ; implicit-def: $vgpr6
; %bb.2335:                             ;   in Loop: Header=BB405_1323 Depth=1
	s_andn2_saveexec_b64 s[18:19], s[8:9]
; %bb.2336:                             ;   in Loop: Header=BB405_1323 Depth=1
	v_or_b32_e32 v11, 0x10000, v6
	v_cmp_eq_u32_sdwa s[8:9], v6, v37 src0_sel:WORD_0 src1_sel:DWORD
	v_cndmask_b32_e64 v11, v11, v6, s[8:9]
; %bb.2337:                             ;   in Loop: Header=BB405_1323 Depth=1
	s_or_b64 exec, exec, s[18:19]
	v_cmp_lt_u64_e64 s[8:9], s[12:13], v[2:3]
	v_mov_b32_e32 v6, 0
	s_and_saveexec_b64 s[18:19], s[8:9]
	s_cbranch_execz .LBB405_2343
; %bb.2338:                             ;   in Loop: Header=BB405_1323 Depth=1
	v_lshrrev_b32_e32 v2, 24, v3
	v_cmp_ne_u32_e64 s[8:9], s34, v2
	v_bfrev_b32_e32 v6, 1
	s_and_saveexec_b64 s[28:29], s[8:9]
	s_cbranch_execz .LBB405_2342
; %bb.2339:                             ;   in Loop: Header=BB405_1323 Depth=1
	v_bfe_u32 v3, v3, 24, 7
	v_cmp_ne_u32_e64 s[8:9], s35, v3
	v_mov_b32_e32 v6, 0x7f800001
	s_and_saveexec_b64 s[30:31], s[8:9]
	s_cbranch_execz .LBB405_2341
; %bb.2340:                             ;   in Loop: Header=BB405_1323 Depth=1
	v_and_b32_e32 v6, 7, v2
	v_lshrrev_b32_e32 v16, 3, v3
	v_cmp_gt_u32_e64 s[8:9], 8, v3
	v_ffbh_u32_e32 v3, v6
	v_min_u32_e32 v3, 32, v3
	v_subrev_u32_e32 v22, 28, v3
	v_lshlrev_b64 v[26:27], v22, v[2:3]
	v_sub_u32_e32 v3, 29, v3
	v_and_b32_e32 v22, 7, v26
	v_cndmask_b32_e64 v3, v16, v3, s[8:9]
	v_cndmask_b32_e64 v6, v6, v22, s[8:9]
	v_lshlrev_b32_e32 v2, 24, v2
	v_lshlrev_b32_e32 v6, 20, v6
	v_and_b32_e32 v2, 0x80000000, v2
	v_lshl_add_u32 v3, v3, 23, v40
	v_or3_b32 v6, v2, v3, v6
.LBB405_2341:                           ;   in Loop: Header=BB405_1323 Depth=1
	s_or_b64 exec, exec, s[30:31]
.LBB405_2342:                           ;   in Loop: Header=BB405_1323 Depth=1
	s_or_b64 exec, exec, s[28:29]
.LBB405_2343:                           ;   in Loop: Header=BB405_1323 Depth=1
	s_or_b64 exec, exec, s[18:19]
	v_mul_f32_e32 v3, v23, v6
	v_and_b32_e32 v2, 0x7f800000, v3
	v_cmp_ne_u32_e64 s[8:9], s15, v2
                                        ; implicit-def: $vgpr2
	s_and_saveexec_b64 s[18:19], s[8:9]
	s_xor_b64 s[8:9], exec, s[18:19]
; %bb.2344:                             ;   in Loop: Header=BB405_1323 Depth=1
	v_bfe_u32 v2, v3, 16, 1
	v_add3_u32 v2, v3, v2, s25
                                        ; implicit-def: $vgpr3
; %bb.2345:                             ;   in Loop: Header=BB405_1323 Depth=1
	s_andn2_saveexec_b64 s[18:19], s[8:9]
; %bb.2346:                             ;   in Loop: Header=BB405_1323 Depth=1
	v_or_b32_e32 v2, 0x10000, v3
	v_cmp_eq_u32_sdwa s[8:9], v3, v37 src0_sel:WORD_0 src1_sel:DWORD
	v_cndmask_b32_e64 v2, v2, v3, s[8:9]
; %bb.2347:                             ;   in Loop: Header=BB405_1323 Depth=1
	s_or_b64 exec, exec, s[18:19]
	v_lshrrev_b32_e32 v6, 16, v10
	v_lshrrev_b32_e32 v9, 16, v9
	;; [unrolled: 1-line block ×8, first 2 shown]
	s_and_saveexec_b64 s[18:19], vcc
	s_cbranch_execz .LBB405_2349
; %bb.2348:                             ;   in Loop: Header=BB405_1323 Depth=1
	v_accvgpr_read_b32 v10, a31
	v_cmp_lt_i32_e64 s[8:9], v10, v49
	v_accvgpr_read_b32 v10, a37
	v_cndmask_b32_e64 v4, 0, v4, s[8:9]
	v_cmp_lt_i32_e64 s[8:9], v10, v49
	v_accvgpr_read_b32 v10, a36
	v_cndmask_b32_e64 v5, 0, v5, s[8:9]
	;; [unrolled: 3-line block ×6, first 2 shown]
	v_cmp_lt_i32_e64 s[8:9], v10, v49
	v_cndmask_b32_e64 v3, 0, v3, s[8:9]
	v_cmp_lt_i32_e64 s[8:9], v17, v49
	v_cndmask_b32_e64 v2, 0, v2, s[8:9]
.LBB405_2349:                           ;   in Loop: Header=BB405_1323 Depth=1
	s_or_b64 exec, exec, s[18:19]
	v_lshlrev_b32_e32 v4, 16, v4
	v_accvgpr_read_b32 v10, a38
	v_mul_f32_e32 v4, v10, v4
	v_and_b32_e32 v10, 0x7f800000, v4
	v_cmp_ne_u32_e64 s[8:9], s15, v10
                                        ; implicit-def: $agpr54
	s_and_saveexec_b64 s[18:19], s[8:9]
	s_xor_b64 s[8:9], exec, s[18:19]
; %bb.2350:                             ;   in Loop: Header=BB405_1323 Depth=1
	v_bfe_u32 v10, v4, 16, 1
	v_add3_u32 v4, v4, v10, s25
	v_accvgpr_write_b32 a54, v4
                                        ; implicit-def: $vgpr4
; %bb.2351:                             ;   in Loop: Header=BB405_1323 Depth=1
	s_andn2_saveexec_b64 s[18:19], s[8:9]
; %bb.2352:                             ;   in Loop: Header=BB405_1323 Depth=1
	v_or_b32_e32 v10, 0x10000, v4
	v_cmp_eq_u32_sdwa s[8:9], v4, v37 src0_sel:WORD_0 src1_sel:DWORD
	v_cndmask_b32_e64 v4, v10, v4, s[8:9]
	v_accvgpr_write_b32 a54, v4
; %bb.2353:                             ;   in Loop: Header=BB405_1323 Depth=1
	s_or_b64 exec, exec, s[18:19]
	v_lshlrev_b32_e32 v4, 16, v5
	v_mul_f32_e32 v4, v53, v4
	v_and_b32_e32 v5, 0x7f800000, v4
	v_cmp_ne_u32_e64 s[8:9], s15, v5
                                        ; implicit-def: $agpr55
	s_and_saveexec_b64 s[18:19], s[8:9]
	s_xor_b64 s[8:9], exec, s[18:19]
; %bb.2354:                             ;   in Loop: Header=BB405_1323 Depth=1
	v_bfe_u32 v5, v4, 16, 1
	v_add3_u32 v4, v4, v5, s25
	v_accvgpr_write_b32 a55, v4
                                        ; implicit-def: $vgpr4
; %bb.2355:                             ;   in Loop: Header=BB405_1323 Depth=1
	s_andn2_saveexec_b64 s[18:19], s[8:9]
; %bb.2356:                             ;   in Loop: Header=BB405_1323 Depth=1
	v_or_b32_e32 v5, 0x10000, v4
	v_cmp_eq_u32_sdwa s[8:9], v4, v37 src0_sel:WORD_0 src1_sel:DWORD
	v_cndmask_b32_e64 v4, v5, v4, s[8:9]
	v_accvgpr_write_b32 a55, v4
; %bb.2357:                             ;   in Loop: Header=BB405_1323 Depth=1
	s_or_b64 exec, exec, s[18:19]
	v_lshlrev_b32_e32 v4, 16, v7
	v_mul_f32_e32 v4, v45, v4
	v_and_b32_e32 v5, 0x7f800000, v4
	v_cmp_ne_u32_e64 s[8:9], s15, v5
                                        ; implicit-def: $agpr56
	s_and_saveexec_b64 s[18:19], s[8:9]
	s_xor_b64 s[8:9], exec, s[18:19]
; %bb.2358:                             ;   in Loop: Header=BB405_1323 Depth=1
	v_bfe_u32 v5, v4, 16, 1
	v_add3_u32 v4, v4, v5, s25
	v_accvgpr_write_b32 a56, v4
                                        ; implicit-def: $vgpr4
; %bb.2359:                             ;   in Loop: Header=BB405_1323 Depth=1
	s_andn2_saveexec_b64 s[18:19], s[8:9]
; %bb.2360:                             ;   in Loop: Header=BB405_1323 Depth=1
	v_or_b32_e32 v5, 0x10000, v4
	v_cmp_eq_u32_sdwa s[8:9], v4, v37 src0_sel:WORD_0 src1_sel:DWORD
	v_cndmask_b32_e64 v4, v5, v4, s[8:9]
	v_accvgpr_write_b32 a56, v4
; %bb.2361:                             ;   in Loop: Header=BB405_1323 Depth=1
	s_or_b64 exec, exec, s[18:19]
	v_lshlrev_b32_e32 v4, 16, v8
	v_mul_f32_e32 v4, v46, v4
	v_and_b32_e32 v5, 0x7f800000, v4
	v_cmp_ne_u32_e64 s[8:9], s15, v5
                                        ; implicit-def: $agpr57
	s_and_saveexec_b64 s[18:19], s[8:9]
	s_xor_b64 s[8:9], exec, s[18:19]
; %bb.2362:                             ;   in Loop: Header=BB405_1323 Depth=1
	v_bfe_u32 v5, v4, 16, 1
	v_add3_u32 v4, v4, v5, s25
	v_accvgpr_write_b32 a57, v4
                                        ; implicit-def: $vgpr4
; %bb.2363:                             ;   in Loop: Header=BB405_1323 Depth=1
	s_andn2_saveexec_b64 s[18:19], s[8:9]
; %bb.2364:                             ;   in Loop: Header=BB405_1323 Depth=1
	v_or_b32_e32 v5, 0x10000, v4
	v_cmp_eq_u32_sdwa s[8:9], v4, v37 src0_sel:WORD_0 src1_sel:DWORD
	v_cndmask_b32_e64 v4, v5, v4, s[8:9]
	v_accvgpr_write_b32 a57, v4
; %bb.2365:                             ;   in Loop: Header=BB405_1323 Depth=1
	s_or_b64 exec, exec, s[18:19]
	v_lshlrev_b32_e32 v4, 16, v9
	v_mul_f32_e32 v4, v48, v4
	v_and_b32_e32 v5, 0x7f800000, v4
	v_cmp_ne_u32_e64 s[8:9], s15, v5
                                        ; implicit-def: $agpr58
	s_and_saveexec_b64 s[18:19], s[8:9]
	s_xor_b64 s[8:9], exec, s[18:19]
; %bb.2366:                             ;   in Loop: Header=BB405_1323 Depth=1
	v_bfe_u32 v5, v4, 16, 1
	v_add3_u32 v4, v4, v5, s25
	v_accvgpr_write_b32 a58, v4
                                        ; implicit-def: $vgpr4
; %bb.2367:                             ;   in Loop: Header=BB405_1323 Depth=1
	s_andn2_saveexec_b64 s[18:19], s[8:9]
; %bb.2368:                             ;   in Loop: Header=BB405_1323 Depth=1
	v_or_b32_e32 v5, 0x10000, v4
	v_cmp_eq_u32_sdwa s[8:9], v4, v37 src0_sel:WORD_0 src1_sel:DWORD
	v_cndmask_b32_e64 v4, v5, v4, s[8:9]
	v_accvgpr_write_b32 a58, v4
; %bb.2369:                             ;   in Loop: Header=BB405_1323 Depth=1
	s_or_b64 exec, exec, s[18:19]
	v_lshlrev_b32_e32 v4, 16, v6
	v_mul_f32_e32 v4, v62, v4
	v_and_b32_e32 v5, 0x7f800000, v4
	v_cmp_ne_u32_e64 s[8:9], s15, v5
                                        ; implicit-def: $agpr59
	s_and_saveexec_b64 s[18:19], s[8:9]
	s_xor_b64 s[8:9], exec, s[18:19]
; %bb.2370:                             ;   in Loop: Header=BB405_1323 Depth=1
	v_bfe_u32 v5, v4, 16, 1
	v_add3_u32 v4, v4, v5, s25
	v_accvgpr_write_b32 a59, v4
                                        ; implicit-def: $vgpr4
; %bb.2371:                             ;   in Loop: Header=BB405_1323 Depth=1
	s_andn2_saveexec_b64 s[18:19], s[8:9]
; %bb.2372:                             ;   in Loop: Header=BB405_1323 Depth=1
	v_or_b32_e32 v5, 0x10000, v4
	v_cmp_eq_u32_sdwa s[8:9], v4, v37 src0_sel:WORD_0 src1_sel:DWORD
	v_cndmask_b32_e64 v4, v5, v4, s[8:9]
	v_accvgpr_write_b32 a59, v4
; %bb.2373:                             ;   in Loop: Header=BB405_1323 Depth=1
	s_or_b64 exec, exec, s[18:19]
	v_lshlrev_b32_e32 v3, 16, v3
	v_mul_f32_e32 v3, v55, v3
	v_and_b32_e32 v4, 0x7f800000, v3
	v_cmp_ne_u32_e64 s[8:9], s15, v4
                                        ; implicit-def: $agpr60
	s_and_saveexec_b64 s[18:19], s[8:9]
	s_xor_b64 s[8:9], exec, s[18:19]
; %bb.2374:                             ;   in Loop: Header=BB405_1323 Depth=1
	v_bfe_u32 v4, v3, 16, 1
	v_add3_u32 v3, v3, v4, s25
	v_accvgpr_write_b32 a60, v3
                                        ; implicit-def: $vgpr3
; %bb.2375:                             ;   in Loop: Header=BB405_1323 Depth=1
	s_andn2_saveexec_b64 s[18:19], s[8:9]
; %bb.2376:                             ;   in Loop: Header=BB405_1323 Depth=1
	v_or_b32_e32 v4, 0x10000, v3
	v_cmp_eq_u32_sdwa s[8:9], v3, v37 src0_sel:WORD_0 src1_sel:DWORD
	v_cndmask_b32_e64 v3, v4, v3, s[8:9]
	v_accvgpr_write_b32 a60, v3
; %bb.2377:                             ;   in Loop: Header=BB405_1323 Depth=1
	s_or_b64 exec, exec, s[18:19]
	v_lshlrev_b32_e32 v2, 16, v2
	v_mul_f32_e32 v2, v52, v2
	v_and_b32_e32 v3, 0x7f800000, v2
	v_cmp_ne_u32_e64 s[8:9], s15, v3
                                        ; implicit-def: $agpr61
	s_and_saveexec_b64 s[18:19], s[8:9]
	s_xor_b64 s[8:9], exec, s[18:19]
; %bb.2378:                             ;   in Loop: Header=BB405_1323 Depth=1
	v_bfe_u32 v3, v2, 16, 1
	v_add3_u32 v2, v2, v3, s25
	v_accvgpr_write_b32 a61, v2
                                        ; implicit-def: $vgpr2
; %bb.2379:                             ;   in Loop: Header=BB405_1323 Depth=1
	s_andn2_saveexec_b64 s[18:19], s[8:9]
; %bb.2380:                             ;   in Loop: Header=BB405_1323 Depth=1
	v_or_b32_e32 v3, 0x10000, v2
	v_cmp_eq_u32_sdwa s[8:9], v2, v37 src0_sel:WORD_0 src1_sel:DWORD
	v_cndmask_b32_e64 v2, v3, v2, s[8:9]
	v_accvgpr_write_b32 a61, v2
; %bb.2381:                             ;   in Loop: Header=BB405_1323 Depth=1
	s_or_b64 exec, exec, s[18:19]
	buffer_load_dword v2, off, s[0:3], s32 offset:416 ; 4-byte Folded Reload
	buffer_load_dword v3, off, s[0:3], s32 offset:420 ; 4-byte Folded Reload
	v_mov_b32_e32 v4, 0
	s_waitcnt vmcnt(1)
	v_add_co_u32_e64 v2, s[8:9], v0, v2
	s_waitcnt vmcnt(0)
	v_addc_co_u32_e64 v3, s[8:9], 0, v1, s[8:9]
	flat_load_dwordx2 v[2:3], v[2:3]
	s_waitcnt vmcnt(0) lgkmcnt(0)
	v_cmp_ne_u16_sdwa s[8:9], v2, v37 src0_sel:BYTE_0 src1_sel:DWORD
	s_and_saveexec_b64 s[18:19], s[8:9]
	s_cbranch_execz .LBB405_2387
; %bb.2382:                             ;   in Loop: Header=BB405_1323 Depth=1
	v_cmp_ne_u16_sdwa s[8:9], v2, s34 src0_sel:BYTE_0 src1_sel:DWORD
	v_bfrev_b32_e32 v4, 1
	s_and_saveexec_b64 s[28:29], s[8:9]
	s_cbranch_execz .LBB405_2386
; %bb.2383:                             ;   in Loop: Header=BB405_1323 Depth=1
	v_and_b32_e32 v5, 0x7f, v2
	v_cmp_ne_u32_e64 s[8:9], s35, v5
	v_mov_b32_e32 v4, 0x7f800001
	s_and_saveexec_b64 s[30:31], s[8:9]
	s_cbranch_execz .LBB405_2385
; %bb.2384:                             ;   in Loop: Header=BB405_1323 Depth=1
	v_and_b32_e32 v4, 7, v2
	v_ffbh_u32_e32 v4, v4
	v_min_u32_e32 v4, 32, v4
	v_lshrrev_b32_e32 v6, 3, v5
	v_cmp_gt_u32_e64 s[8:9], 8, v5
	v_subrev_u32_e32 v5, 28, v4
	v_sub_u32_e32 v4, 29, v4
	v_cndmask_b32_e64 v6, v6, v4, s[8:9]
	v_cndmask_b32_e64 v4, 0, v5, s[8:9]
	v_lshlrev_b64 v[4:5], v4, v[2:3]
	v_lshlrev_b32_e32 v4, 20, v4
	v_lshlrev_b32_e32 v5, 24, v2
	v_and_b32_e32 v4, 0x700000, v4
	v_and_b32_e32 v5, 0x80000000, v5
	v_lshl_add_u32 v6, v6, 23, v40
	v_or3_b32 v4, v5, v6, v4
.LBB405_2385:                           ;   in Loop: Header=BB405_1323 Depth=1
	s_or_b64 exec, exec, s[30:31]
.LBB405_2386:                           ;   in Loop: Header=BB405_1323 Depth=1
	s_or_b64 exec, exec, s[28:29]
.LBB405_2387:                           ;   in Loop: Header=BB405_1323 Depth=1
	s_or_b64 exec, exec, s[18:19]
	v_mul_f32_e32 v5, v23, v4
	v_and_b32_e32 v4, 0x7f800000, v5
	v_cmp_ne_u32_e64 s[8:9], s15, v4
                                        ; implicit-def: $vgpr4
	s_and_saveexec_b64 s[18:19], s[8:9]
	s_xor_b64 s[8:9], exec, s[18:19]
; %bb.2388:                             ;   in Loop: Header=BB405_1323 Depth=1
	v_bfe_u32 v4, v5, 16, 1
	v_add3_u32 v4, v5, v4, s25
                                        ; implicit-def: $vgpr5
; %bb.2389:                             ;   in Loop: Header=BB405_1323 Depth=1
	s_andn2_saveexec_b64 s[18:19], s[8:9]
; %bb.2390:                             ;   in Loop: Header=BB405_1323 Depth=1
	v_or_b32_e32 v4, 0x10000, v5
	v_cmp_eq_u32_sdwa s[8:9], v5, v37 src0_sel:WORD_0 src1_sel:DWORD
	v_cndmask_b32_e64 v4, v4, v5, s[8:9]
; %bb.2391:                             ;   in Loop: Header=BB405_1323 Depth=1
	s_or_b64 exec, exec, s[18:19]
	v_lshrrev_b16_e32 v6, 8, v2
	v_cmp_ne_u16_e64 s[8:9], 0, v6
	v_mov_b32_e32 v5, 0
	s_and_saveexec_b64 s[18:19], s[8:9]
	s_cbranch_execz .LBB405_2397
; %bb.2392:                             ;   in Loop: Header=BB405_1323 Depth=1
	v_cmp_ne_u16_e64 s[8:9], s34, v6
	v_bfrev_b32_e32 v5, 1
	s_and_saveexec_b64 s[28:29], s[8:9]
	s_cbranch_execz .LBB405_2396
; %bb.2393:                             ;   in Loop: Header=BB405_1323 Depth=1
	v_and_b32_e32 v7, 0x7f, v6
	v_cmp_ne_u32_e64 s[8:9], s35, v7
	v_mov_b32_e32 v5, 0x7f800001
	s_and_saveexec_b64 s[30:31], s[8:9]
	s_cbranch_execz .LBB405_2395
; %bb.2394:                             ;   in Loop: Header=BB405_1323 Depth=1
	v_and_b32_e32 v5, 7, v6
	v_lshrrev_b32_e32 v8, 3, v7
	v_cmp_gt_u32_e64 s[8:9], 8, v7
	v_ffbh_u32_e32 v7, v5
	v_min_u32_e32 v9, 32, v7
	v_subrev_u32_e32 v7, 28, v9
	v_lshlrev_b64 v[6:7], v7, v[6:7]
	v_sub_u32_e32 v7, 29, v9
	v_and_b32_e32 v6, 7, v6
	v_cndmask_b32_e64 v7, v8, v7, s[8:9]
	v_cndmask_b32_e64 v5, v5, v6, s[8:9]
	v_lshlrev_b32_e32 v6, 16, v2
	v_lshlrev_b32_e32 v5, 20, v5
	v_and_b32_e32 v6, 0x80000000, v6
	v_lshl_add_u32 v7, v7, 23, v40
	v_or3_b32 v5, v6, v7, v5
.LBB405_2395:                           ;   in Loop: Header=BB405_1323 Depth=1
	s_or_b64 exec, exec, s[30:31]
.LBB405_2396:                           ;   in Loop: Header=BB405_1323 Depth=1
	s_or_b64 exec, exec, s[28:29]
.LBB405_2397:                           ;   in Loop: Header=BB405_1323 Depth=1
	s_or_b64 exec, exec, s[18:19]
	v_mul_f32_e32 v6, v23, v5
	v_and_b32_e32 v5, 0x7f800000, v6
	v_cmp_ne_u32_e64 s[8:9], s15, v5
                                        ; implicit-def: $vgpr5
	s_and_saveexec_b64 s[18:19], s[8:9]
	s_xor_b64 s[8:9], exec, s[18:19]
; %bb.2398:                             ;   in Loop: Header=BB405_1323 Depth=1
	v_bfe_u32 v5, v6, 16, 1
	v_add3_u32 v5, v6, v5, s25
                                        ; implicit-def: $vgpr6
; %bb.2399:                             ;   in Loop: Header=BB405_1323 Depth=1
	s_andn2_saveexec_b64 s[18:19], s[8:9]
; %bb.2400:                             ;   in Loop: Header=BB405_1323 Depth=1
	v_or_b32_e32 v5, 0x10000, v6
	v_cmp_eq_u32_sdwa s[8:9], v6, v37 src0_sel:WORD_0 src1_sel:DWORD
	v_cndmask_b32_e64 v5, v5, v6, s[8:9]
; %bb.2401:                             ;   in Loop: Header=BB405_1323 Depth=1
	s_or_b64 exec, exec, s[18:19]
	v_lshrrev_b32_e32 v6, 16, v2
	v_cmp_ne_u16_sdwa s[8:9], v6, v37 src0_sel:BYTE_0 src1_sel:DWORD
	v_mov_b32_e32 v7, 0
	s_and_saveexec_b64 s[18:19], s[8:9]
	s_cbranch_execz .LBB405_2407
; %bb.2402:                             ;   in Loop: Header=BB405_1323 Depth=1
	v_cmp_ne_u16_sdwa s[8:9], v6, s34 src0_sel:BYTE_0 src1_sel:DWORD
	v_bfrev_b32_e32 v7, 1
	s_and_saveexec_b64 s[28:29], s[8:9]
	s_cbranch_execz .LBB405_2406
; %bb.2403:                             ;   in Loop: Header=BB405_1323 Depth=1
	v_bfe_u32 v8, v2, 16, 7
	v_cmp_ne_u32_e64 s[8:9], s35, v8
	v_mov_b32_e32 v7, 0x7f800001
	s_and_saveexec_b64 s[30:31], s[8:9]
	s_cbranch_execz .LBB405_2405
; %bb.2404:                             ;   in Loop: Header=BB405_1323 Depth=1
	v_and_b32_e32 v7, 7, v6
	v_lshrrev_b32_e32 v10, 3, v8
	v_cmp_gt_u32_e64 s[8:9], 8, v8
	v_ffbh_u32_e32 v8, v7
	v_min_u32_e32 v11, 32, v8
	v_subrev_u32_e32 v8, 28, v11
	v_lshlrev_b64 v[8:9], v8, v[6:7]
	v_sub_u32_e32 v9, 29, v11
	v_and_b32_e32 v8, 7, v8
	v_cndmask_b32_e64 v9, v10, v9, s[8:9]
	v_cndmask_b32_e64 v7, v7, v8, s[8:9]
	v_lshlrev_b32_e32 v6, 24, v6
	v_lshlrev_b32_e32 v7, 20, v7
	v_and_b32_e32 v6, 0x80000000, v6
	v_lshl_add_u32 v8, v9, 23, v40
	v_or3_b32 v7, v6, v8, v7
.LBB405_2405:                           ;   in Loop: Header=BB405_1323 Depth=1
	s_or_b64 exec, exec, s[30:31]
.LBB405_2406:                           ;   in Loop: Header=BB405_1323 Depth=1
	s_or_b64 exec, exec, s[28:29]
.LBB405_2407:                           ;   in Loop: Header=BB405_1323 Depth=1
	s_or_b64 exec, exec, s[18:19]
	v_mul_f32_e32 v6, v23, v7
	v_and_b32_e32 v7, 0x7f800000, v6
	v_cmp_ne_u32_e64 s[8:9], s15, v7
                                        ; implicit-def: $vgpr7
	s_and_saveexec_b64 s[18:19], s[8:9]
	s_xor_b64 s[8:9], exec, s[18:19]
; %bb.2408:                             ;   in Loop: Header=BB405_1323 Depth=1
	v_bfe_u32 v7, v6, 16, 1
	v_add3_u32 v7, v6, v7, s25
                                        ; implicit-def: $vgpr6
; %bb.2409:                             ;   in Loop: Header=BB405_1323 Depth=1
	s_andn2_saveexec_b64 s[18:19], s[8:9]
; %bb.2410:                             ;   in Loop: Header=BB405_1323 Depth=1
	v_or_b32_e32 v7, 0x10000, v6
	v_cmp_eq_u32_sdwa s[8:9], v6, v37 src0_sel:WORD_0 src1_sel:DWORD
	v_cndmask_b32_e64 v7, v7, v6, s[8:9]
; %bb.2411:                             ;   in Loop: Header=BB405_1323 Depth=1
	s_or_b64 exec, exec, s[18:19]
	v_cmp_lt_u32_e64 s[8:9], s13, v2
	v_mov_b32_e32 v8, 0
	s_and_saveexec_b64 s[18:19], s[8:9]
	s_cbranch_execz .LBB405_2417
; %bb.2412:                             ;   in Loop: Header=BB405_1323 Depth=1
	v_lshrrev_b32_e32 v6, 24, v2
	v_cmp_ne_u32_e64 s[8:9], s34, v6
	v_bfrev_b32_e32 v8, 1
	s_and_saveexec_b64 s[28:29], s[8:9]
	s_cbranch_execz .LBB405_2416
; %bb.2413:                             ;   in Loop: Header=BB405_1323 Depth=1
	v_bfe_u32 v9, v2, 24, 7
	v_cmp_ne_u32_e64 s[8:9], s35, v9
	v_mov_b32_e32 v8, 0x7f800001
	s_and_saveexec_b64 s[30:31], s[8:9]
	s_cbranch_execz .LBB405_2415
; %bb.2414:                             ;   in Loop: Header=BB405_1323 Depth=1
	v_and_b32_e32 v10, 7, v6
	v_ffbh_u32_e32 v8, v10
	v_min_u32_e32 v16, 32, v8
	v_subrev_u32_e32 v8, 28, v16
	v_lshrrev_b32_e32 v11, 3, v9
	v_cmp_gt_u32_e64 s[8:9], 8, v9
	v_lshlrev_b64 v[8:9], v8, v[6:7]
	v_sub_u32_e32 v9, 29, v16
	v_and_b32_e32 v8, 7, v8
	v_cndmask_b32_e64 v9, v11, v9, s[8:9]
	v_cndmask_b32_e64 v8, v10, v8, s[8:9]
	v_lshlrev_b32_e32 v6, 24, v6
	v_lshlrev_b32_e32 v8, 20, v8
	v_and_b32_e32 v6, 0x80000000, v6
	v_lshl_add_u32 v9, v9, 23, v40
	v_or3_b32 v8, v6, v9, v8
.LBB405_2415:                           ;   in Loop: Header=BB405_1323 Depth=1
	s_or_b64 exec, exec, s[30:31]
.LBB405_2416:                           ;   in Loop: Header=BB405_1323 Depth=1
	s_or_b64 exec, exec, s[28:29]
.LBB405_2417:                           ;   in Loop: Header=BB405_1323 Depth=1
	s_or_b64 exec, exec, s[18:19]
	v_mul_f32_e32 v6, v23, v8
	v_and_b32_e32 v8, 0x7f800000, v6
	v_cmp_ne_u32_e64 s[8:9], s15, v8
                                        ; implicit-def: $vgpr8
	s_and_saveexec_b64 s[18:19], s[8:9]
	s_xor_b64 s[8:9], exec, s[18:19]
; %bb.2418:                             ;   in Loop: Header=BB405_1323 Depth=1
	v_bfe_u32 v8, v6, 16, 1
	v_add3_u32 v8, v6, v8, s25
                                        ; implicit-def: $vgpr6
; %bb.2419:                             ;   in Loop: Header=BB405_1323 Depth=1
	s_andn2_saveexec_b64 s[18:19], s[8:9]
; %bb.2420:                             ;   in Loop: Header=BB405_1323 Depth=1
	v_or_b32_e32 v8, 0x10000, v6
	v_cmp_eq_u32_sdwa s[8:9], v6, v37 src0_sel:WORD_0 src1_sel:DWORD
	v_cndmask_b32_e64 v8, v8, v6, s[8:9]
; %bb.2421:                             ;   in Loop: Header=BB405_1323 Depth=1
	s_or_b64 exec, exec, s[18:19]
	v_mov_b32_e32 v36, v3
	v_cmp_ne_u16_sdwa s[8:9], v3, v37 src0_sel:BYTE_0 src1_sel:DWORD
	v_mov_b32_e32 v6, 0
	s_and_saveexec_b64 s[18:19], s[8:9]
	s_cbranch_execz .LBB405_2427
; %bb.2422:                             ;   in Loop: Header=BB405_1323 Depth=1
	v_cmp_ne_u16_sdwa s[8:9], v3, s34 src0_sel:BYTE_0 src1_sel:DWORD
	v_bfrev_b32_e32 v6, 1
	s_and_saveexec_b64 s[28:29], s[8:9]
	s_cbranch_execz .LBB405_2426
; %bb.2423:                             ;   in Loop: Header=BB405_1323 Depth=1
	v_and_b32_e32 v9, 0x7f, v3
	v_cmp_ne_u32_e64 s[8:9], s35, v9
	v_mov_b32_e32 v6, 0x7f800001
	s_and_saveexec_b64 s[30:31], s[8:9]
	s_cbranch_execz .LBB405_2425
; %bb.2424:                             ;   in Loop: Header=BB405_1323 Depth=1
	v_and_b32_e32 v6, 7, v3
	v_ffbh_u32_e32 v6, v6
	v_min_u32_e32 v6, 32, v6
	v_lshrrev_b32_e32 v10, 3, v9
	v_cmp_gt_u32_e64 s[8:9], 8, v9
	v_subrev_u32_e32 v9, 28, v6
	v_sub_u32_e32 v6, 29, v6
	v_cndmask_b32_e64 v9, 0, v9, s[8:9]
	v_cndmask_b32_e64 v6, v10, v6, s[8:9]
	v_lshlrev_b64 v[10:11], v9, v[36:37]
	v_lshlrev_b32_e32 v9, 20, v10
	v_lshlrev_b32_e32 v10, 24, v36
	v_and_b32_e32 v9, 0x700000, v9
	v_and_b32_e32 v10, 0x80000000, v10
	v_lshl_add_u32 v6, v6, 23, v40
	v_or3_b32 v6, v10, v6, v9
.LBB405_2425:                           ;   in Loop: Header=BB405_1323 Depth=1
	s_or_b64 exec, exec, s[30:31]
.LBB405_2426:                           ;   in Loop: Header=BB405_1323 Depth=1
	s_or_b64 exec, exec, s[28:29]
.LBB405_2427:                           ;   in Loop: Header=BB405_1323 Depth=1
	s_or_b64 exec, exec, s[18:19]
	v_mul_f32_e32 v6, v23, v6
	v_and_b32_e32 v9, 0x7f800000, v6
	v_cmp_ne_u32_e64 s[8:9], s15, v9
                                        ; implicit-def: $vgpr9
	s_and_saveexec_b64 s[18:19], s[8:9]
	s_xor_b64 s[8:9], exec, s[18:19]
; %bb.2428:                             ;   in Loop: Header=BB405_1323 Depth=1
	v_bfe_u32 v9, v6, 16, 1
	v_add3_u32 v9, v6, v9, s25
                                        ; implicit-def: $vgpr6
; %bb.2429:                             ;   in Loop: Header=BB405_1323 Depth=1
	s_andn2_saveexec_b64 s[18:19], s[8:9]
; %bb.2430:                             ;   in Loop: Header=BB405_1323 Depth=1
	v_or_b32_e32 v9, 0x10000, v6
	v_cmp_eq_u32_sdwa s[8:9], v6, v37 src0_sel:WORD_0 src1_sel:DWORD
	v_cndmask_b32_e64 v9, v9, v6, s[8:9]
; %bb.2431:                             ;   in Loop: Header=BB405_1323 Depth=1
	s_or_b64 exec, exec, s[18:19]
	v_lshrrev_b16_e32 v6, 8, v36
	v_cmp_ne_u16_e64 s[8:9], 0, v6
	v_mov_b32_e32 v10, 0
	s_and_saveexec_b64 s[18:19], s[8:9]
	s_cbranch_execz .LBB405_2437
; %bb.2432:                             ;   in Loop: Header=BB405_1323 Depth=1
	v_cmp_ne_u16_e64 s[8:9], s34, v6
	v_bfrev_b32_e32 v10, 1
	s_and_saveexec_b64 s[28:29], s[8:9]
	s_cbranch_execz .LBB405_2436
; %bb.2433:                             ;   in Loop: Header=BB405_1323 Depth=1
	v_and_b32_e32 v11, 0x7f, v6
	v_cmp_ne_u32_e64 s[8:9], s35, v11
	v_mov_b32_e32 v10, 0x7f800001
	s_and_saveexec_b64 s[30:31], s[8:9]
	s_cbranch_execz .LBB405_2435
; %bb.2434:                             ;   in Loop: Header=BB405_1323 Depth=1
	v_and_b32_e32 v16, 7, v6
	v_ffbh_u32_e32 v10, v16
	v_min_u32_e32 v26, 32, v10
	v_subrev_u32_e32 v10, 28, v26
	v_lshrrev_b32_e32 v22, 3, v11
	v_cmp_gt_u32_e64 s[8:9], 8, v11
	v_lshlrev_b64 v[10:11], v10, v[6:7]
	v_sub_u32_e32 v6, 29, v26
	v_and_b32_e32 v10, 7, v10
	v_cndmask_b32_e64 v6, v22, v6, s[8:9]
	v_cndmask_b32_e64 v10, v16, v10, s[8:9]
	v_lshlrev_b32_e32 v11, 16, v36
	v_lshlrev_b32_e32 v10, 20, v10
	v_and_b32_e32 v11, 0x80000000, v11
	v_lshl_add_u32 v6, v6, 23, v40
	v_or3_b32 v10, v11, v6, v10
.LBB405_2435:                           ;   in Loop: Header=BB405_1323 Depth=1
	s_or_b64 exec, exec, s[30:31]
.LBB405_2436:                           ;   in Loop: Header=BB405_1323 Depth=1
	s_or_b64 exec, exec, s[28:29]
.LBB405_2437:                           ;   in Loop: Header=BB405_1323 Depth=1
	s_or_b64 exec, exec, s[18:19]
	v_mul_f32_e32 v6, v23, v10
	v_and_b32_e32 v10, 0x7f800000, v6
	v_cmp_ne_u32_e64 s[8:9], s15, v10
                                        ; implicit-def: $vgpr10
	s_and_saveexec_b64 s[18:19], s[8:9]
	s_xor_b64 s[8:9], exec, s[18:19]
; %bb.2438:                             ;   in Loop: Header=BB405_1323 Depth=1
	v_bfe_u32 v10, v6, 16, 1
	v_add3_u32 v10, v6, v10, s25
                                        ; implicit-def: $vgpr6
; %bb.2439:                             ;   in Loop: Header=BB405_1323 Depth=1
	s_andn2_saveexec_b64 s[18:19], s[8:9]
; %bb.2440:                             ;   in Loop: Header=BB405_1323 Depth=1
	v_or_b32_e32 v10, 0x10000, v6
	v_cmp_eq_u32_sdwa s[8:9], v6, v37 src0_sel:WORD_0 src1_sel:DWORD
	v_cndmask_b32_e64 v10, v10, v6, s[8:9]
; %bb.2441:                             ;   in Loop: Header=BB405_1323 Depth=1
	s_or_b64 exec, exec, s[18:19]
	v_lshrrev_b32_e32 v6, 16, v3
	v_cmp_ne_u16_sdwa s[8:9], v6, v37 src0_sel:BYTE_0 src1_sel:DWORD
	v_mov_b32_e32 v11, 0
	s_and_saveexec_b64 s[18:19], s[8:9]
	s_cbranch_execz .LBB405_2447
; %bb.2442:                             ;   in Loop: Header=BB405_1323 Depth=1
	v_cmp_ne_u16_sdwa s[8:9], v6, s34 src0_sel:BYTE_0 src1_sel:DWORD
	v_bfrev_b32_e32 v11, 1
	s_and_saveexec_b64 s[28:29], s[8:9]
	s_cbranch_execz .LBB405_2446
; %bb.2443:                             ;   in Loop: Header=BB405_1323 Depth=1
	v_bfe_u32 v16, v3, 16, 7
	v_cmp_ne_u32_e64 s[8:9], s35, v16
	v_mov_b32_e32 v11, 0x7f800001
	s_and_saveexec_b64 s[30:31], s[8:9]
	s_cbranch_execz .LBB405_2445
; %bb.2444:                             ;   in Loop: Header=BB405_1323 Depth=1
	v_and_b32_e32 v11, 7, v6
	v_lshrrev_b32_e32 v22, 3, v16
	v_cmp_gt_u32_e64 s[8:9], 8, v16
	v_ffbh_u32_e32 v16, v11
	v_min_u32_e32 v16, 32, v16
	v_subrev_u32_e32 v26, 28, v16
	v_lshlrev_b64 v[26:27], v26, v[6:7]
	v_sub_u32_e32 v16, 29, v16
	v_and_b32_e32 v26, 7, v26
	v_cndmask_b32_e64 v16, v22, v16, s[8:9]
	v_cndmask_b32_e64 v11, v11, v26, s[8:9]
	v_lshlrev_b32_e32 v6, 24, v6
	v_lshlrev_b32_e32 v11, 20, v11
	v_and_b32_e32 v6, 0x80000000, v6
	v_lshl_add_u32 v16, v16, 23, v40
	v_or3_b32 v11, v6, v16, v11
.LBB405_2445:                           ;   in Loop: Header=BB405_1323 Depth=1
	s_or_b64 exec, exec, s[30:31]
.LBB405_2446:                           ;   in Loop: Header=BB405_1323 Depth=1
	s_or_b64 exec, exec, s[28:29]
.LBB405_2447:                           ;   in Loop: Header=BB405_1323 Depth=1
	s_or_b64 exec, exec, s[18:19]
	v_mul_f32_e32 v6, v23, v11
	v_and_b32_e32 v11, 0x7f800000, v6
	v_cmp_ne_u32_e64 s[8:9], s15, v11
                                        ; implicit-def: $vgpr11
	s_and_saveexec_b64 s[18:19], s[8:9]
	s_xor_b64 s[8:9], exec, s[18:19]
; %bb.2448:                             ;   in Loop: Header=BB405_1323 Depth=1
	v_bfe_u32 v11, v6, 16, 1
	v_add3_u32 v11, v6, v11, s25
                                        ; implicit-def: $vgpr6
; %bb.2449:                             ;   in Loop: Header=BB405_1323 Depth=1
	s_andn2_saveexec_b64 s[18:19], s[8:9]
; %bb.2450:                             ;   in Loop: Header=BB405_1323 Depth=1
	v_or_b32_e32 v11, 0x10000, v6
	v_cmp_eq_u32_sdwa s[8:9], v6, v37 src0_sel:WORD_0 src1_sel:DWORD
	v_cndmask_b32_e64 v11, v11, v6, s[8:9]
; %bb.2451:                             ;   in Loop: Header=BB405_1323 Depth=1
	s_or_b64 exec, exec, s[18:19]
	v_cmp_lt_u64_e64 s[8:9], s[12:13], v[2:3]
	v_mov_b32_e32 v6, 0
	s_and_saveexec_b64 s[18:19], s[8:9]
	s_cbranch_execz .LBB405_2457
; %bb.2452:                             ;   in Loop: Header=BB405_1323 Depth=1
	v_lshrrev_b32_e32 v2, 24, v3
	v_cmp_ne_u32_e64 s[8:9], s34, v2
	v_bfrev_b32_e32 v6, 1
	s_and_saveexec_b64 s[28:29], s[8:9]
	s_cbranch_execz .LBB405_2456
; %bb.2453:                             ;   in Loop: Header=BB405_1323 Depth=1
	v_bfe_u32 v3, v3, 24, 7
	v_cmp_ne_u32_e64 s[8:9], s35, v3
	v_mov_b32_e32 v6, 0x7f800001
	s_and_saveexec_b64 s[30:31], s[8:9]
	s_cbranch_execz .LBB405_2455
; %bb.2454:                             ;   in Loop: Header=BB405_1323 Depth=1
	v_and_b32_e32 v6, 7, v2
	v_lshrrev_b32_e32 v16, 3, v3
	v_cmp_gt_u32_e64 s[8:9], 8, v3
	v_ffbh_u32_e32 v3, v6
	v_min_u32_e32 v3, 32, v3
	v_subrev_u32_e32 v22, 28, v3
	v_lshlrev_b64 v[26:27], v22, v[2:3]
	v_sub_u32_e32 v3, 29, v3
	v_and_b32_e32 v22, 7, v26
	v_cndmask_b32_e64 v3, v16, v3, s[8:9]
	v_cndmask_b32_e64 v6, v6, v22, s[8:9]
	v_lshlrev_b32_e32 v2, 24, v2
	v_lshlrev_b32_e32 v6, 20, v6
	v_and_b32_e32 v2, 0x80000000, v2
	v_lshl_add_u32 v3, v3, 23, v40
	v_or3_b32 v6, v2, v3, v6
.LBB405_2455:                           ;   in Loop: Header=BB405_1323 Depth=1
	s_or_b64 exec, exec, s[30:31]
.LBB405_2456:                           ;   in Loop: Header=BB405_1323 Depth=1
	s_or_b64 exec, exec, s[28:29]
.LBB405_2457:                           ;   in Loop: Header=BB405_1323 Depth=1
	s_or_b64 exec, exec, s[18:19]
	v_mul_f32_e32 v3, v23, v6
	v_and_b32_e32 v2, 0x7f800000, v3
	v_cmp_ne_u32_e64 s[8:9], s15, v2
                                        ; implicit-def: $vgpr2
	s_and_saveexec_b64 s[18:19], s[8:9]
	s_xor_b64 s[8:9], exec, s[18:19]
; %bb.2458:                             ;   in Loop: Header=BB405_1323 Depth=1
	v_bfe_u32 v2, v3, 16, 1
	v_add3_u32 v2, v3, v2, s25
                                        ; implicit-def: $vgpr3
; %bb.2459:                             ;   in Loop: Header=BB405_1323 Depth=1
	s_andn2_saveexec_b64 s[18:19], s[8:9]
; %bb.2460:                             ;   in Loop: Header=BB405_1323 Depth=1
	v_or_b32_e32 v2, 0x10000, v3
	v_cmp_eq_u32_sdwa s[8:9], v3, v37 src0_sel:WORD_0 src1_sel:DWORD
	v_cndmask_b32_e64 v2, v2, v3, s[8:9]
; %bb.2461:                             ;   in Loop: Header=BB405_1323 Depth=1
	s_or_b64 exec, exec, s[18:19]
	v_lshrrev_b32_e32 v6, 16, v10
	v_lshrrev_b32_e32 v9, 16, v9
	;; [unrolled: 1-line block ×8, first 2 shown]
	s_and_saveexec_b64 s[18:19], vcc
	s_cbranch_execz .LBB405_2463
; %bb.2462:                             ;   in Loop: Header=BB405_1323 Depth=1
	v_accvgpr_read_b32 v10, a31
	v_cmp_lt_i32_e64 s[8:9], v10, v49
	v_accvgpr_read_b32 v10, a37
	v_cndmask_b32_e64 v4, 0, v4, s[8:9]
	v_cmp_lt_i32_e64 s[8:9], v10, v49
	v_accvgpr_read_b32 v10, a36
	v_cndmask_b32_e64 v5, 0, v5, s[8:9]
	;; [unrolled: 3-line block ×6, first 2 shown]
	v_cmp_lt_i32_e64 s[8:9], v10, v49
	v_cndmask_b32_e64 v3, 0, v3, s[8:9]
	v_cmp_lt_i32_e64 s[8:9], v17, v49
	v_cndmask_b32_e64 v2, 0, v2, s[8:9]
.LBB405_2463:                           ;   in Loop: Header=BB405_1323 Depth=1
	s_or_b64 exec, exec, s[18:19]
	v_lshlrev_b32_e32 v4, 16, v4
	v_accvgpr_read_b32 v10, a38
	v_mul_f32_e32 v4, v10, v4
	v_and_b32_e32 v10, 0x7f800000, v4
	v_cmp_ne_u32_e64 s[8:9], s15, v10
                                        ; implicit-def: $agpr62
	s_and_saveexec_b64 s[18:19], s[8:9]
	s_xor_b64 s[8:9], exec, s[18:19]
; %bb.2464:                             ;   in Loop: Header=BB405_1323 Depth=1
	v_bfe_u32 v10, v4, 16, 1
	v_add3_u32 v4, v4, v10, s25
	v_accvgpr_write_b32 a62, v4
                                        ; implicit-def: $vgpr4
; %bb.2465:                             ;   in Loop: Header=BB405_1323 Depth=1
	s_andn2_saveexec_b64 s[18:19], s[8:9]
; %bb.2466:                             ;   in Loop: Header=BB405_1323 Depth=1
	v_or_b32_e32 v10, 0x10000, v4
	v_cmp_eq_u32_sdwa s[8:9], v4, v37 src0_sel:WORD_0 src1_sel:DWORD
	v_cndmask_b32_e64 v4, v10, v4, s[8:9]
	v_accvgpr_write_b32 a62, v4
; %bb.2467:                             ;   in Loop: Header=BB405_1323 Depth=1
	s_or_b64 exec, exec, s[18:19]
	v_lshlrev_b32_e32 v4, 16, v5
	v_mul_f32_e32 v4, v53, v4
	v_and_b32_e32 v5, 0x7f800000, v4
	v_cmp_ne_u32_e64 s[8:9], s15, v5
                                        ; implicit-def: $agpr63
	s_and_saveexec_b64 s[18:19], s[8:9]
	s_xor_b64 s[8:9], exec, s[18:19]
; %bb.2468:                             ;   in Loop: Header=BB405_1323 Depth=1
	v_bfe_u32 v5, v4, 16, 1
	v_add3_u32 v4, v4, v5, s25
	v_accvgpr_write_b32 a63, v4
                                        ; implicit-def: $vgpr4
; %bb.2469:                             ;   in Loop: Header=BB405_1323 Depth=1
	s_andn2_saveexec_b64 s[18:19], s[8:9]
; %bb.2470:                             ;   in Loop: Header=BB405_1323 Depth=1
	v_or_b32_e32 v5, 0x10000, v4
	v_cmp_eq_u32_sdwa s[8:9], v4, v37 src0_sel:WORD_0 src1_sel:DWORD
	v_cndmask_b32_e64 v4, v5, v4, s[8:9]
	v_accvgpr_write_b32 a63, v4
; %bb.2471:                             ;   in Loop: Header=BB405_1323 Depth=1
	s_or_b64 exec, exec, s[18:19]
	v_lshlrev_b32_e32 v4, 16, v7
	v_mul_f32_e32 v4, v45, v4
	v_and_b32_e32 v5, 0x7f800000, v4
	v_cmp_ne_u32_e64 s[8:9], s15, v5
                                        ; implicit-def: $agpr9
	s_and_saveexec_b64 s[18:19], s[8:9]
	s_xor_b64 s[8:9], exec, s[18:19]
; %bb.2472:                             ;   in Loop: Header=BB405_1323 Depth=1
	v_bfe_u32 v5, v4, 16, 1
	v_add3_u32 v4, v4, v5, s25
	v_accvgpr_write_b32 a9, v4
                                        ; implicit-def: $vgpr4
; %bb.2473:                             ;   in Loop: Header=BB405_1323 Depth=1
	s_andn2_saveexec_b64 s[18:19], s[8:9]
; %bb.2474:                             ;   in Loop: Header=BB405_1323 Depth=1
	v_or_b32_e32 v5, 0x10000, v4
	v_cmp_eq_u32_sdwa s[8:9], v4, v37 src0_sel:WORD_0 src1_sel:DWORD
	v_cndmask_b32_e64 v4, v5, v4, s[8:9]
	v_accvgpr_write_b32 a9, v4
; %bb.2475:                             ;   in Loop: Header=BB405_1323 Depth=1
	s_or_b64 exec, exec, s[18:19]
	v_lshlrev_b32_e32 v4, 16, v8
	v_mul_f32_e32 v4, v46, v4
	v_and_b32_e32 v5, 0x7f800000, v4
	v_cmp_ne_u32_e64 s[8:9], s15, v5
                                        ; implicit-def: $agpr10
	s_and_saveexec_b64 s[18:19], s[8:9]
	s_xor_b64 s[8:9], exec, s[18:19]
; %bb.2476:                             ;   in Loop: Header=BB405_1323 Depth=1
	v_bfe_u32 v5, v4, 16, 1
	v_add3_u32 v4, v4, v5, s25
	v_accvgpr_write_b32 a10, v4
                                        ; implicit-def: $vgpr4
; %bb.2477:                             ;   in Loop: Header=BB405_1323 Depth=1
	s_andn2_saveexec_b64 s[18:19], s[8:9]
; %bb.2478:                             ;   in Loop: Header=BB405_1323 Depth=1
	v_or_b32_e32 v5, 0x10000, v4
	v_cmp_eq_u32_sdwa s[8:9], v4, v37 src0_sel:WORD_0 src1_sel:DWORD
	v_cndmask_b32_e64 v4, v5, v4, s[8:9]
	v_accvgpr_write_b32 a10, v4
; %bb.2479:                             ;   in Loop: Header=BB405_1323 Depth=1
	s_or_b64 exec, exec, s[18:19]
	v_lshlrev_b32_e32 v4, 16, v9
	v_mul_f32_e32 v4, v48, v4
	v_and_b32_e32 v5, 0x7f800000, v4
	v_cmp_ne_u32_e64 s[8:9], s15, v5
                                        ; implicit-def: $agpr8
	s_and_saveexec_b64 s[18:19], s[8:9]
	s_xor_b64 s[8:9], exec, s[18:19]
; %bb.2480:                             ;   in Loop: Header=BB405_1323 Depth=1
	v_bfe_u32 v5, v4, 16, 1
	v_add3_u32 v4, v4, v5, s25
	v_accvgpr_write_b32 a8, v4
                                        ; implicit-def: $vgpr4
; %bb.2481:                             ;   in Loop: Header=BB405_1323 Depth=1
	s_andn2_saveexec_b64 s[18:19], s[8:9]
; %bb.2482:                             ;   in Loop: Header=BB405_1323 Depth=1
	v_or_b32_e32 v5, 0x10000, v4
	v_cmp_eq_u32_sdwa s[8:9], v4, v37 src0_sel:WORD_0 src1_sel:DWORD
	v_cndmask_b32_e64 v4, v5, v4, s[8:9]
	v_accvgpr_write_b32 a8, v4
; %bb.2483:                             ;   in Loop: Header=BB405_1323 Depth=1
	s_or_b64 exec, exec, s[18:19]
	v_lshlrev_b32_e32 v4, 16, v6
	v_mul_f32_e32 v4, v62, v4
	v_and_b32_e32 v5, 0x7f800000, v4
	v_cmp_ne_u32_e64 s[8:9], s15, v5
                                        ; implicit-def: $agpr5
	s_and_saveexec_b64 s[18:19], s[8:9]
	s_xor_b64 s[8:9], exec, s[18:19]
; %bb.2484:                             ;   in Loop: Header=BB405_1323 Depth=1
	v_bfe_u32 v5, v4, 16, 1
	v_add3_u32 v4, v4, v5, s25
	v_accvgpr_write_b32 a5, v4
                                        ; implicit-def: $vgpr4
; %bb.2485:                             ;   in Loop: Header=BB405_1323 Depth=1
	s_andn2_saveexec_b64 s[18:19], s[8:9]
; %bb.2486:                             ;   in Loop: Header=BB405_1323 Depth=1
	v_or_b32_e32 v5, 0x10000, v4
	v_cmp_eq_u32_sdwa s[8:9], v4, v37 src0_sel:WORD_0 src1_sel:DWORD
	v_cndmask_b32_e64 v4, v5, v4, s[8:9]
	v_accvgpr_write_b32 a5, v4
; %bb.2487:                             ;   in Loop: Header=BB405_1323 Depth=1
	s_or_b64 exec, exec, s[18:19]
	v_lshlrev_b32_e32 v3, 16, v3
	v_mul_f32_e32 v3, v55, v3
	v_and_b32_e32 v4, 0x7f800000, v3
	v_cmp_ne_u32_e64 s[8:9], s15, v4
                                        ; implicit-def: $agpr2
	s_and_saveexec_b64 s[18:19], s[8:9]
	s_xor_b64 s[8:9], exec, s[18:19]
; %bb.2488:                             ;   in Loop: Header=BB405_1323 Depth=1
	v_bfe_u32 v4, v3, 16, 1
	v_add3_u32 v3, v3, v4, s25
	v_accvgpr_write_b32 a2, v3
                                        ; implicit-def: $vgpr3
; %bb.2489:                             ;   in Loop: Header=BB405_1323 Depth=1
	s_andn2_saveexec_b64 s[18:19], s[8:9]
; %bb.2490:                             ;   in Loop: Header=BB405_1323 Depth=1
	v_or_b32_e32 v4, 0x10000, v3
	v_cmp_eq_u32_sdwa s[8:9], v3, v37 src0_sel:WORD_0 src1_sel:DWORD
	v_cndmask_b32_e64 v3, v4, v3, s[8:9]
	v_accvgpr_write_b32 a2, v3
; %bb.2491:                             ;   in Loop: Header=BB405_1323 Depth=1
	s_or_b64 exec, exec, s[18:19]
	v_lshlrev_b32_e32 v2, 16, v2
	v_mul_f32_e32 v2, v52, v2
	v_and_b32_e32 v3, 0x7f800000, v2
	v_cmp_ne_u32_e64 s[8:9], s15, v3
                                        ; implicit-def: $agpr0
	s_and_saveexec_b64 s[18:19], s[8:9]
	s_xor_b64 s[8:9], exec, s[18:19]
; %bb.2492:                             ;   in Loop: Header=BB405_1323 Depth=1
	v_bfe_u32 v3, v2, 16, 1
	v_add3_u32 v2, v2, v3, s25
	v_accvgpr_write_b32 a0, v2
                                        ; implicit-def: $vgpr2
; %bb.2493:                             ;   in Loop: Header=BB405_1323 Depth=1
	s_andn2_saveexec_b64 s[18:19], s[8:9]
; %bb.2494:                             ;   in Loop: Header=BB405_1323 Depth=1
	v_or_b32_e32 v3, 0x10000, v2
	v_cmp_eq_u32_sdwa s[8:9], v2, v37 src0_sel:WORD_0 src1_sel:DWORD
	v_cndmask_b32_e64 v2, v3, v2, s[8:9]
	v_accvgpr_write_b32 a0, v2
; %bb.2495:                             ;   in Loop: Header=BB405_1323 Depth=1
	s_or_b64 exec, exec, s[18:19]
	buffer_load_dword v2, off, s[0:3], s32 offset:424 ; 4-byte Folded Reload
	buffer_load_dword v3, off, s[0:3], s32 offset:428 ; 4-byte Folded Reload
	v_mov_b32_e32 v4, 0
	s_waitcnt vmcnt(1)
	v_add_co_u32_e64 v2, s[8:9], v0, v2
	s_waitcnt vmcnt(0)
	v_addc_co_u32_e64 v3, s[8:9], 0, v1, s[8:9]
	flat_load_dwordx2 v[2:3], v[2:3]
	s_waitcnt vmcnt(0) lgkmcnt(0)
	v_cmp_ne_u16_sdwa s[8:9], v2, v37 src0_sel:BYTE_0 src1_sel:DWORD
	s_and_saveexec_b64 s[18:19], s[8:9]
	s_cbranch_execz .LBB405_2501
; %bb.2496:                             ;   in Loop: Header=BB405_1323 Depth=1
	v_cmp_ne_u16_sdwa s[8:9], v2, s34 src0_sel:BYTE_0 src1_sel:DWORD
	v_bfrev_b32_e32 v4, 1
	s_and_saveexec_b64 s[28:29], s[8:9]
	s_cbranch_execz .LBB405_2500
; %bb.2497:                             ;   in Loop: Header=BB405_1323 Depth=1
	v_and_b32_e32 v5, 0x7f, v2
	v_cmp_ne_u32_e64 s[8:9], s35, v5
	v_mov_b32_e32 v4, 0x7f800001
	s_and_saveexec_b64 s[30:31], s[8:9]
	s_cbranch_execz .LBB405_2499
; %bb.2498:                             ;   in Loop: Header=BB405_1323 Depth=1
	v_and_b32_e32 v4, 7, v2
	v_ffbh_u32_e32 v4, v4
	v_min_u32_e32 v4, 32, v4
	v_lshrrev_b32_e32 v6, 3, v5
	v_cmp_gt_u32_e64 s[8:9], 8, v5
	v_subrev_u32_e32 v5, 28, v4
	v_sub_u32_e32 v4, 29, v4
	v_cndmask_b32_e64 v6, v6, v4, s[8:9]
	v_cndmask_b32_e64 v4, 0, v5, s[8:9]
	v_lshlrev_b64 v[4:5], v4, v[2:3]
	v_lshlrev_b32_e32 v4, 20, v4
	v_lshlrev_b32_e32 v5, 24, v2
	v_and_b32_e32 v4, 0x700000, v4
	v_and_b32_e32 v5, 0x80000000, v5
	v_lshl_add_u32 v6, v6, 23, v40
	v_or3_b32 v4, v5, v6, v4
.LBB405_2499:                           ;   in Loop: Header=BB405_1323 Depth=1
	s_or_b64 exec, exec, s[30:31]
.LBB405_2500:                           ;   in Loop: Header=BB405_1323 Depth=1
	s_or_b64 exec, exec, s[28:29]
.LBB405_2501:                           ;   in Loop: Header=BB405_1323 Depth=1
	s_or_b64 exec, exec, s[18:19]
	v_mul_f32_e32 v5, v23, v4
	v_and_b32_e32 v4, 0x7f800000, v5
	v_cmp_ne_u32_e64 s[8:9], s15, v4
                                        ; implicit-def: $vgpr4
	s_and_saveexec_b64 s[18:19], s[8:9]
	s_xor_b64 s[8:9], exec, s[18:19]
; %bb.2502:                             ;   in Loop: Header=BB405_1323 Depth=1
	v_bfe_u32 v4, v5, 16, 1
	v_add3_u32 v4, v5, v4, s25
                                        ; implicit-def: $vgpr5
; %bb.2503:                             ;   in Loop: Header=BB405_1323 Depth=1
	s_andn2_saveexec_b64 s[18:19], s[8:9]
; %bb.2504:                             ;   in Loop: Header=BB405_1323 Depth=1
	v_or_b32_e32 v4, 0x10000, v5
	v_cmp_eq_u32_sdwa s[8:9], v5, v37 src0_sel:WORD_0 src1_sel:DWORD
	v_cndmask_b32_e64 v4, v4, v5, s[8:9]
; %bb.2505:                             ;   in Loop: Header=BB405_1323 Depth=1
	s_or_b64 exec, exec, s[18:19]
	v_lshrrev_b16_e32 v6, 8, v2
	v_cmp_ne_u16_e64 s[8:9], 0, v6
	v_mov_b32_e32 v5, 0
	s_and_saveexec_b64 s[18:19], s[8:9]
	s_cbranch_execz .LBB405_2511
; %bb.2506:                             ;   in Loop: Header=BB405_1323 Depth=1
	v_cmp_ne_u16_e64 s[8:9], s34, v6
	v_bfrev_b32_e32 v5, 1
	s_and_saveexec_b64 s[28:29], s[8:9]
	s_cbranch_execz .LBB405_2510
; %bb.2507:                             ;   in Loop: Header=BB405_1323 Depth=1
	v_and_b32_e32 v7, 0x7f, v6
	v_cmp_ne_u32_e64 s[8:9], s35, v7
	v_mov_b32_e32 v5, 0x7f800001
	s_and_saveexec_b64 s[30:31], s[8:9]
	s_cbranch_execz .LBB405_2509
; %bb.2508:                             ;   in Loop: Header=BB405_1323 Depth=1
	v_and_b32_e32 v5, 7, v6
	v_lshrrev_b32_e32 v8, 3, v7
	v_cmp_gt_u32_e64 s[8:9], 8, v7
	v_ffbh_u32_e32 v7, v5
	v_min_u32_e32 v9, 32, v7
	v_subrev_u32_e32 v7, 28, v9
	v_lshlrev_b64 v[6:7], v7, v[6:7]
	v_sub_u32_e32 v7, 29, v9
	v_and_b32_e32 v6, 7, v6
	v_cndmask_b32_e64 v7, v8, v7, s[8:9]
	v_cndmask_b32_e64 v5, v5, v6, s[8:9]
	v_lshlrev_b32_e32 v6, 16, v2
	v_lshlrev_b32_e32 v5, 20, v5
	v_and_b32_e32 v6, 0x80000000, v6
	v_lshl_add_u32 v7, v7, 23, v40
	v_or3_b32 v5, v6, v7, v5
.LBB405_2509:                           ;   in Loop: Header=BB405_1323 Depth=1
	s_or_b64 exec, exec, s[30:31]
.LBB405_2510:                           ;   in Loop: Header=BB405_1323 Depth=1
	s_or_b64 exec, exec, s[28:29]
.LBB405_2511:                           ;   in Loop: Header=BB405_1323 Depth=1
	s_or_b64 exec, exec, s[18:19]
	v_mul_f32_e32 v6, v23, v5
	v_and_b32_e32 v5, 0x7f800000, v6
	v_cmp_ne_u32_e64 s[8:9], s15, v5
                                        ; implicit-def: $vgpr5
	s_and_saveexec_b64 s[18:19], s[8:9]
	s_xor_b64 s[8:9], exec, s[18:19]
; %bb.2512:                             ;   in Loop: Header=BB405_1323 Depth=1
	v_bfe_u32 v5, v6, 16, 1
	v_add3_u32 v5, v6, v5, s25
                                        ; implicit-def: $vgpr6
; %bb.2513:                             ;   in Loop: Header=BB405_1323 Depth=1
	s_andn2_saveexec_b64 s[18:19], s[8:9]
; %bb.2514:                             ;   in Loop: Header=BB405_1323 Depth=1
	v_or_b32_e32 v5, 0x10000, v6
	v_cmp_eq_u32_sdwa s[8:9], v6, v37 src0_sel:WORD_0 src1_sel:DWORD
	v_cndmask_b32_e64 v5, v5, v6, s[8:9]
; %bb.2515:                             ;   in Loop: Header=BB405_1323 Depth=1
	s_or_b64 exec, exec, s[18:19]
	v_lshrrev_b32_e32 v6, 16, v2
	v_cmp_ne_u16_sdwa s[8:9], v6, v37 src0_sel:BYTE_0 src1_sel:DWORD
	v_mov_b32_e32 v7, 0
	s_and_saveexec_b64 s[18:19], s[8:9]
	s_cbranch_execz .LBB405_2521
; %bb.2516:                             ;   in Loop: Header=BB405_1323 Depth=1
	v_cmp_ne_u16_sdwa s[8:9], v6, s34 src0_sel:BYTE_0 src1_sel:DWORD
	v_bfrev_b32_e32 v7, 1
	s_and_saveexec_b64 s[28:29], s[8:9]
	s_cbranch_execz .LBB405_2520
; %bb.2517:                             ;   in Loop: Header=BB405_1323 Depth=1
	v_bfe_u32 v8, v2, 16, 7
	v_cmp_ne_u32_e64 s[8:9], s35, v8
	v_mov_b32_e32 v7, 0x7f800001
	s_and_saveexec_b64 s[30:31], s[8:9]
	s_cbranch_execz .LBB405_2519
; %bb.2518:                             ;   in Loop: Header=BB405_1323 Depth=1
	v_and_b32_e32 v7, 7, v6
	v_lshrrev_b32_e32 v10, 3, v8
	v_cmp_gt_u32_e64 s[8:9], 8, v8
	v_ffbh_u32_e32 v8, v7
	v_min_u32_e32 v11, 32, v8
	v_subrev_u32_e32 v8, 28, v11
	v_lshlrev_b64 v[8:9], v8, v[6:7]
	v_sub_u32_e32 v9, 29, v11
	v_and_b32_e32 v8, 7, v8
	v_cndmask_b32_e64 v9, v10, v9, s[8:9]
	v_cndmask_b32_e64 v7, v7, v8, s[8:9]
	v_lshlrev_b32_e32 v6, 24, v6
	v_lshlrev_b32_e32 v7, 20, v7
	v_and_b32_e32 v6, 0x80000000, v6
	v_lshl_add_u32 v8, v9, 23, v40
	v_or3_b32 v7, v6, v8, v7
.LBB405_2519:                           ;   in Loop: Header=BB405_1323 Depth=1
	s_or_b64 exec, exec, s[30:31]
.LBB405_2520:                           ;   in Loop: Header=BB405_1323 Depth=1
	s_or_b64 exec, exec, s[28:29]
.LBB405_2521:                           ;   in Loop: Header=BB405_1323 Depth=1
	s_or_b64 exec, exec, s[18:19]
	v_mul_f32_e32 v6, v23, v7
	v_and_b32_e32 v7, 0x7f800000, v6
	v_cmp_ne_u32_e64 s[8:9], s15, v7
                                        ; implicit-def: $vgpr7
	s_and_saveexec_b64 s[18:19], s[8:9]
	s_xor_b64 s[8:9], exec, s[18:19]
; %bb.2522:                             ;   in Loop: Header=BB405_1323 Depth=1
	v_bfe_u32 v7, v6, 16, 1
	v_add3_u32 v7, v6, v7, s25
                                        ; implicit-def: $vgpr6
; %bb.2523:                             ;   in Loop: Header=BB405_1323 Depth=1
	s_andn2_saveexec_b64 s[18:19], s[8:9]
; %bb.2524:                             ;   in Loop: Header=BB405_1323 Depth=1
	v_or_b32_e32 v7, 0x10000, v6
	v_cmp_eq_u32_sdwa s[8:9], v6, v37 src0_sel:WORD_0 src1_sel:DWORD
	v_cndmask_b32_e64 v7, v7, v6, s[8:9]
; %bb.2525:                             ;   in Loop: Header=BB405_1323 Depth=1
	s_or_b64 exec, exec, s[18:19]
	v_cmp_lt_u32_e64 s[8:9], s13, v2
	v_mov_b32_e32 v8, 0
	s_and_saveexec_b64 s[18:19], s[8:9]
	s_cbranch_execz .LBB405_2531
; %bb.2526:                             ;   in Loop: Header=BB405_1323 Depth=1
	v_lshrrev_b32_e32 v6, 24, v2
	v_cmp_ne_u32_e64 s[8:9], s34, v6
	v_bfrev_b32_e32 v8, 1
	s_and_saveexec_b64 s[28:29], s[8:9]
	s_cbranch_execz .LBB405_2530
; %bb.2527:                             ;   in Loop: Header=BB405_1323 Depth=1
	v_bfe_u32 v9, v2, 24, 7
	v_cmp_ne_u32_e64 s[8:9], s35, v9
	v_mov_b32_e32 v8, 0x7f800001
	s_and_saveexec_b64 s[30:31], s[8:9]
	s_cbranch_execz .LBB405_2529
; %bb.2528:                             ;   in Loop: Header=BB405_1323 Depth=1
	v_and_b32_e32 v10, 7, v6
	v_ffbh_u32_e32 v8, v10
	v_min_u32_e32 v16, 32, v8
	v_subrev_u32_e32 v8, 28, v16
	v_lshrrev_b32_e32 v11, 3, v9
	v_cmp_gt_u32_e64 s[8:9], 8, v9
	v_lshlrev_b64 v[8:9], v8, v[6:7]
	v_sub_u32_e32 v9, 29, v16
	v_and_b32_e32 v8, 7, v8
	v_cndmask_b32_e64 v9, v11, v9, s[8:9]
	v_cndmask_b32_e64 v8, v10, v8, s[8:9]
	v_lshlrev_b32_e32 v6, 24, v6
	v_lshlrev_b32_e32 v8, 20, v8
	v_and_b32_e32 v6, 0x80000000, v6
	v_lshl_add_u32 v9, v9, 23, v40
	v_or3_b32 v8, v6, v9, v8
.LBB405_2529:                           ;   in Loop: Header=BB405_1323 Depth=1
	s_or_b64 exec, exec, s[30:31]
.LBB405_2530:                           ;   in Loop: Header=BB405_1323 Depth=1
	s_or_b64 exec, exec, s[28:29]
.LBB405_2531:                           ;   in Loop: Header=BB405_1323 Depth=1
	s_or_b64 exec, exec, s[18:19]
	v_mul_f32_e32 v6, v23, v8
	v_and_b32_e32 v8, 0x7f800000, v6
	v_cmp_ne_u32_e64 s[8:9], s15, v8
                                        ; implicit-def: $vgpr8
	s_and_saveexec_b64 s[18:19], s[8:9]
	s_xor_b64 s[8:9], exec, s[18:19]
; %bb.2532:                             ;   in Loop: Header=BB405_1323 Depth=1
	v_bfe_u32 v8, v6, 16, 1
	v_add3_u32 v8, v6, v8, s25
                                        ; implicit-def: $vgpr6
; %bb.2533:                             ;   in Loop: Header=BB405_1323 Depth=1
	s_andn2_saveexec_b64 s[18:19], s[8:9]
; %bb.2534:                             ;   in Loop: Header=BB405_1323 Depth=1
	v_or_b32_e32 v8, 0x10000, v6
	v_cmp_eq_u32_sdwa s[8:9], v6, v37 src0_sel:WORD_0 src1_sel:DWORD
	v_cndmask_b32_e64 v8, v8, v6, s[8:9]
; %bb.2535:                             ;   in Loop: Header=BB405_1323 Depth=1
	s_or_b64 exec, exec, s[18:19]
	v_mov_b32_e32 v36, v3
	v_cmp_ne_u16_sdwa s[8:9], v3, v37 src0_sel:BYTE_0 src1_sel:DWORD
	v_mov_b32_e32 v6, 0
	s_and_saveexec_b64 s[18:19], s[8:9]
	s_cbranch_execz .LBB405_2541
; %bb.2536:                             ;   in Loop: Header=BB405_1323 Depth=1
	v_cmp_ne_u16_sdwa s[8:9], v3, s34 src0_sel:BYTE_0 src1_sel:DWORD
	v_bfrev_b32_e32 v6, 1
	s_and_saveexec_b64 s[28:29], s[8:9]
	s_cbranch_execz .LBB405_2540
; %bb.2537:                             ;   in Loop: Header=BB405_1323 Depth=1
	v_and_b32_e32 v9, 0x7f, v3
	v_cmp_ne_u32_e64 s[8:9], s35, v9
	v_mov_b32_e32 v6, 0x7f800001
	s_and_saveexec_b64 s[30:31], s[8:9]
	s_cbranch_execz .LBB405_2539
; %bb.2538:                             ;   in Loop: Header=BB405_1323 Depth=1
	v_and_b32_e32 v6, 7, v3
	v_ffbh_u32_e32 v6, v6
	v_min_u32_e32 v6, 32, v6
	v_lshrrev_b32_e32 v10, 3, v9
	v_cmp_gt_u32_e64 s[8:9], 8, v9
	v_subrev_u32_e32 v9, 28, v6
	v_sub_u32_e32 v6, 29, v6
	v_cndmask_b32_e64 v9, 0, v9, s[8:9]
	v_cndmask_b32_e64 v6, v10, v6, s[8:9]
	v_lshlrev_b64 v[10:11], v9, v[36:37]
	v_lshlrev_b32_e32 v9, 20, v10
	v_lshlrev_b32_e32 v10, 24, v36
	v_and_b32_e32 v9, 0x700000, v9
	v_and_b32_e32 v10, 0x80000000, v10
	v_lshl_add_u32 v6, v6, 23, v40
	v_or3_b32 v6, v10, v6, v9
.LBB405_2539:                           ;   in Loop: Header=BB405_1323 Depth=1
	s_or_b64 exec, exec, s[30:31]
.LBB405_2540:                           ;   in Loop: Header=BB405_1323 Depth=1
	s_or_b64 exec, exec, s[28:29]
.LBB405_2541:                           ;   in Loop: Header=BB405_1323 Depth=1
	s_or_b64 exec, exec, s[18:19]
	v_mul_f32_e32 v6, v23, v6
	v_and_b32_e32 v9, 0x7f800000, v6
	v_cmp_ne_u32_e64 s[8:9], s15, v9
                                        ; implicit-def: $vgpr9
	s_and_saveexec_b64 s[18:19], s[8:9]
	s_xor_b64 s[8:9], exec, s[18:19]
; %bb.2542:                             ;   in Loop: Header=BB405_1323 Depth=1
	v_bfe_u32 v9, v6, 16, 1
	v_add3_u32 v9, v6, v9, s25
                                        ; implicit-def: $vgpr6
; %bb.2543:                             ;   in Loop: Header=BB405_1323 Depth=1
	s_andn2_saveexec_b64 s[18:19], s[8:9]
; %bb.2544:                             ;   in Loop: Header=BB405_1323 Depth=1
	v_or_b32_e32 v9, 0x10000, v6
	v_cmp_eq_u32_sdwa s[8:9], v6, v37 src0_sel:WORD_0 src1_sel:DWORD
	v_cndmask_b32_e64 v9, v9, v6, s[8:9]
; %bb.2545:                             ;   in Loop: Header=BB405_1323 Depth=1
	s_or_b64 exec, exec, s[18:19]
	v_lshrrev_b16_e32 v6, 8, v36
	v_cmp_ne_u16_e64 s[8:9], 0, v6
	v_mov_b32_e32 v10, 0
	s_and_saveexec_b64 s[18:19], s[8:9]
	s_cbranch_execz .LBB405_2551
; %bb.2546:                             ;   in Loop: Header=BB405_1323 Depth=1
	v_cmp_ne_u16_e64 s[8:9], s34, v6
	v_bfrev_b32_e32 v10, 1
	s_and_saveexec_b64 s[28:29], s[8:9]
	s_cbranch_execz .LBB405_2550
; %bb.2547:                             ;   in Loop: Header=BB405_1323 Depth=1
	v_and_b32_e32 v11, 0x7f, v6
	v_cmp_ne_u32_e64 s[8:9], s35, v11
	v_mov_b32_e32 v10, 0x7f800001
	s_and_saveexec_b64 s[30:31], s[8:9]
	s_cbranch_execz .LBB405_2549
; %bb.2548:                             ;   in Loop: Header=BB405_1323 Depth=1
	v_and_b32_e32 v16, 7, v6
	v_ffbh_u32_e32 v10, v16
	v_min_u32_e32 v26, 32, v10
	v_subrev_u32_e32 v10, 28, v26
	v_lshrrev_b32_e32 v22, 3, v11
	v_cmp_gt_u32_e64 s[8:9], 8, v11
	v_lshlrev_b64 v[10:11], v10, v[6:7]
	v_sub_u32_e32 v6, 29, v26
	v_and_b32_e32 v10, 7, v10
	v_cndmask_b32_e64 v6, v22, v6, s[8:9]
	v_cndmask_b32_e64 v10, v16, v10, s[8:9]
	v_lshlrev_b32_e32 v11, 16, v36
	v_lshlrev_b32_e32 v10, 20, v10
	v_and_b32_e32 v11, 0x80000000, v11
	v_lshl_add_u32 v6, v6, 23, v40
	v_or3_b32 v10, v11, v6, v10
.LBB405_2549:                           ;   in Loop: Header=BB405_1323 Depth=1
	s_or_b64 exec, exec, s[30:31]
.LBB405_2550:                           ;   in Loop: Header=BB405_1323 Depth=1
	s_or_b64 exec, exec, s[28:29]
.LBB405_2551:                           ;   in Loop: Header=BB405_1323 Depth=1
	s_or_b64 exec, exec, s[18:19]
	v_mul_f32_e32 v6, v23, v10
	v_and_b32_e32 v10, 0x7f800000, v6
	v_cmp_ne_u32_e64 s[8:9], s15, v10
                                        ; implicit-def: $vgpr10
	s_and_saveexec_b64 s[18:19], s[8:9]
	s_xor_b64 s[8:9], exec, s[18:19]
; %bb.2552:                             ;   in Loop: Header=BB405_1323 Depth=1
	v_bfe_u32 v10, v6, 16, 1
	v_add3_u32 v10, v6, v10, s25
                                        ; implicit-def: $vgpr6
; %bb.2553:                             ;   in Loop: Header=BB405_1323 Depth=1
	s_andn2_saveexec_b64 s[18:19], s[8:9]
; %bb.2554:                             ;   in Loop: Header=BB405_1323 Depth=1
	v_or_b32_e32 v10, 0x10000, v6
	v_cmp_eq_u32_sdwa s[8:9], v6, v37 src0_sel:WORD_0 src1_sel:DWORD
	v_cndmask_b32_e64 v10, v10, v6, s[8:9]
; %bb.2555:                             ;   in Loop: Header=BB405_1323 Depth=1
	s_or_b64 exec, exec, s[18:19]
	v_lshrrev_b32_e32 v6, 16, v3
	v_cmp_ne_u16_sdwa s[8:9], v6, v37 src0_sel:BYTE_0 src1_sel:DWORD
	v_mov_b32_e32 v11, 0
	s_and_saveexec_b64 s[18:19], s[8:9]
	s_cbranch_execz .LBB405_2561
; %bb.2556:                             ;   in Loop: Header=BB405_1323 Depth=1
	v_cmp_ne_u16_sdwa s[8:9], v6, s34 src0_sel:BYTE_0 src1_sel:DWORD
	v_bfrev_b32_e32 v11, 1
	s_and_saveexec_b64 s[28:29], s[8:9]
	s_cbranch_execz .LBB405_2560
; %bb.2557:                             ;   in Loop: Header=BB405_1323 Depth=1
	v_bfe_u32 v16, v3, 16, 7
	v_cmp_ne_u32_e64 s[8:9], s35, v16
	v_mov_b32_e32 v11, 0x7f800001
	s_and_saveexec_b64 s[30:31], s[8:9]
	s_cbranch_execz .LBB405_2559
; %bb.2558:                             ;   in Loop: Header=BB405_1323 Depth=1
	v_and_b32_e32 v11, 7, v6
	v_lshrrev_b32_e32 v22, 3, v16
	v_cmp_gt_u32_e64 s[8:9], 8, v16
	v_ffbh_u32_e32 v16, v11
	v_min_u32_e32 v16, 32, v16
	v_subrev_u32_e32 v26, 28, v16
	v_lshlrev_b64 v[26:27], v26, v[6:7]
	v_sub_u32_e32 v16, 29, v16
	v_and_b32_e32 v26, 7, v26
	v_cndmask_b32_e64 v16, v22, v16, s[8:9]
	v_cndmask_b32_e64 v11, v11, v26, s[8:9]
	v_lshlrev_b32_e32 v6, 24, v6
	v_lshlrev_b32_e32 v11, 20, v11
	v_and_b32_e32 v6, 0x80000000, v6
	v_lshl_add_u32 v16, v16, 23, v40
	v_or3_b32 v11, v6, v16, v11
.LBB405_2559:                           ;   in Loop: Header=BB405_1323 Depth=1
	s_or_b64 exec, exec, s[30:31]
.LBB405_2560:                           ;   in Loop: Header=BB405_1323 Depth=1
	s_or_b64 exec, exec, s[28:29]
.LBB405_2561:                           ;   in Loop: Header=BB405_1323 Depth=1
	s_or_b64 exec, exec, s[18:19]
	v_mul_f32_e32 v6, v23, v11
	v_and_b32_e32 v11, 0x7f800000, v6
	v_cmp_ne_u32_e64 s[8:9], s15, v11
                                        ; implicit-def: $vgpr11
	s_and_saveexec_b64 s[18:19], s[8:9]
	s_xor_b64 s[8:9], exec, s[18:19]
; %bb.2562:                             ;   in Loop: Header=BB405_1323 Depth=1
	v_bfe_u32 v11, v6, 16, 1
	v_add3_u32 v11, v6, v11, s25
                                        ; implicit-def: $vgpr6
; %bb.2563:                             ;   in Loop: Header=BB405_1323 Depth=1
	s_andn2_saveexec_b64 s[18:19], s[8:9]
; %bb.2564:                             ;   in Loop: Header=BB405_1323 Depth=1
	v_or_b32_e32 v11, 0x10000, v6
	v_cmp_eq_u32_sdwa s[8:9], v6, v37 src0_sel:WORD_0 src1_sel:DWORD
	v_cndmask_b32_e64 v11, v11, v6, s[8:9]
; %bb.2565:                             ;   in Loop: Header=BB405_1323 Depth=1
	s_or_b64 exec, exec, s[18:19]
	v_cmp_lt_u64_e64 s[8:9], s[12:13], v[2:3]
	v_mov_b32_e32 v6, 0
	s_and_saveexec_b64 s[18:19], s[8:9]
	s_cbranch_execz .LBB405_2571
; %bb.2566:                             ;   in Loop: Header=BB405_1323 Depth=1
	v_lshrrev_b32_e32 v2, 24, v3
	v_cmp_ne_u32_e64 s[8:9], s34, v2
	v_bfrev_b32_e32 v6, 1
	s_and_saveexec_b64 s[28:29], s[8:9]
	s_cbranch_execz .LBB405_2570
; %bb.2567:                             ;   in Loop: Header=BB405_1323 Depth=1
	v_bfe_u32 v3, v3, 24, 7
	v_cmp_ne_u32_e64 s[8:9], s35, v3
	v_mov_b32_e32 v6, 0x7f800001
	s_and_saveexec_b64 s[30:31], s[8:9]
	s_cbranch_execz .LBB405_2569
; %bb.2568:                             ;   in Loop: Header=BB405_1323 Depth=1
	v_and_b32_e32 v6, 7, v2
	v_lshrrev_b32_e32 v16, 3, v3
	v_cmp_gt_u32_e64 s[8:9], 8, v3
	v_ffbh_u32_e32 v3, v6
	v_min_u32_e32 v3, 32, v3
	v_subrev_u32_e32 v22, 28, v3
	v_lshlrev_b64 v[26:27], v22, v[2:3]
	v_sub_u32_e32 v3, 29, v3
	v_and_b32_e32 v22, 7, v26
	v_cndmask_b32_e64 v3, v16, v3, s[8:9]
	v_cndmask_b32_e64 v6, v6, v22, s[8:9]
	v_lshlrev_b32_e32 v2, 24, v2
	v_lshlrev_b32_e32 v6, 20, v6
	v_and_b32_e32 v2, 0x80000000, v2
	v_lshl_add_u32 v3, v3, 23, v40
	v_or3_b32 v6, v2, v3, v6
.LBB405_2569:                           ;   in Loop: Header=BB405_1323 Depth=1
	s_or_b64 exec, exec, s[30:31]
.LBB405_2570:                           ;   in Loop: Header=BB405_1323 Depth=1
	s_or_b64 exec, exec, s[28:29]
.LBB405_2571:                           ;   in Loop: Header=BB405_1323 Depth=1
	s_or_b64 exec, exec, s[18:19]
	v_mul_f32_e32 v3, v23, v6
	v_and_b32_e32 v2, 0x7f800000, v3
	v_cmp_ne_u32_e64 s[8:9], s15, v2
                                        ; implicit-def: $vgpr2
	s_and_saveexec_b64 s[18:19], s[8:9]
	s_xor_b64 s[8:9], exec, s[18:19]
; %bb.2572:                             ;   in Loop: Header=BB405_1323 Depth=1
	v_bfe_u32 v2, v3, 16, 1
	v_add3_u32 v2, v3, v2, s25
                                        ; implicit-def: $vgpr3
; %bb.2573:                             ;   in Loop: Header=BB405_1323 Depth=1
	s_andn2_saveexec_b64 s[18:19], s[8:9]
; %bb.2574:                             ;   in Loop: Header=BB405_1323 Depth=1
	v_or_b32_e32 v2, 0x10000, v3
	v_cmp_eq_u32_sdwa s[8:9], v3, v37 src0_sel:WORD_0 src1_sel:DWORD
	v_cndmask_b32_e64 v2, v2, v3, s[8:9]
; %bb.2575:                             ;   in Loop: Header=BB405_1323 Depth=1
	s_or_b64 exec, exec, s[18:19]
	v_lshrrev_b32_e32 v6, 16, v10
	v_lshrrev_b32_e32 v9, 16, v9
	;; [unrolled: 1-line block ×8, first 2 shown]
	s_and_saveexec_b64 s[18:19], vcc
	s_cbranch_execz .LBB405_2577
; %bb.2576:                             ;   in Loop: Header=BB405_1323 Depth=1
	v_accvgpr_read_b32 v10, a31
	v_cmp_lt_i32_e64 s[8:9], v10, v49
	v_accvgpr_read_b32 v10, a37
	v_cndmask_b32_e64 v4, 0, v4, s[8:9]
	v_cmp_lt_i32_e64 s[8:9], v10, v49
	v_accvgpr_read_b32 v10, a36
	v_cndmask_b32_e64 v5, 0, v5, s[8:9]
	v_cmp_lt_i32_e64 s[8:9], v10, v49
	v_accvgpr_read_b32 v10, a35
	v_cndmask_b32_e64 v7, 0, v7, s[8:9]
	v_cmp_lt_i32_e64 s[8:9], v10, v49
	v_accvgpr_read_b32 v10, a34
	v_cndmask_b32_e64 v8, 0, v8, s[8:9]
	v_cmp_lt_i32_e64 s[8:9], v10, v49
	v_accvgpr_read_b32 v10, a33
	v_cndmask_b32_e64 v9, 0, v9, s[8:9]
	v_cmp_lt_i32_e64 s[8:9], v10, v49
	v_accvgpr_read_b32 v10, a32
	v_cndmask_b32_e64 v6, 0, v6, s[8:9]
	v_cmp_lt_i32_e64 s[8:9], v10, v49
	v_cndmask_b32_e64 v3, 0, v3, s[8:9]
	v_cmp_lt_i32_e64 s[8:9], v17, v49
	v_cndmask_b32_e64 v2, 0, v2, s[8:9]
.LBB405_2577:                           ;   in Loop: Header=BB405_1323 Depth=1
	s_or_b64 exec, exec, s[18:19]
	v_lshlrev_b32_e32 v4, 16, v4
	v_accvgpr_read_b32 v10, a38
	v_mul_f32_e32 v4, v10, v4
	v_and_b32_e32 v10, 0x7f800000, v4
	v_cmp_ne_u32_e64 s[8:9], s15, v10
                                        ; implicit-def: $agpr6
	s_and_saveexec_b64 s[18:19], s[8:9]
	s_xor_b64 s[8:9], exec, s[18:19]
; %bb.2578:                             ;   in Loop: Header=BB405_1323 Depth=1
	v_bfe_u32 v10, v4, 16, 1
	v_add3_u32 v4, v4, v10, s25
	v_accvgpr_write_b32 a6, v4
                                        ; implicit-def: $vgpr4
; %bb.2579:                             ;   in Loop: Header=BB405_1323 Depth=1
	s_andn2_saveexec_b64 s[18:19], s[8:9]
; %bb.2580:                             ;   in Loop: Header=BB405_1323 Depth=1
	v_or_b32_e32 v10, 0x10000, v4
	v_cmp_eq_u32_sdwa s[8:9], v4, v37 src0_sel:WORD_0 src1_sel:DWORD
	v_cndmask_b32_e64 v4, v10, v4, s[8:9]
	v_accvgpr_write_b32 a6, v4
; %bb.2581:                             ;   in Loop: Header=BB405_1323 Depth=1
	s_or_b64 exec, exec, s[18:19]
	v_lshlrev_b32_e32 v4, 16, v5
	v_mul_f32_e32 v4, v53, v4
	v_and_b32_e32 v5, 0x7f800000, v4
	v_cmp_ne_u32_e64 s[8:9], s15, v5
                                        ; implicit-def: $agpr1
	s_and_saveexec_b64 s[18:19], s[8:9]
	s_xor_b64 s[8:9], exec, s[18:19]
; %bb.2582:                             ;   in Loop: Header=BB405_1323 Depth=1
	v_bfe_u32 v5, v4, 16, 1
	v_add3_u32 v4, v4, v5, s25
	v_accvgpr_write_b32 a1, v4
                                        ; implicit-def: $vgpr4
; %bb.2583:                             ;   in Loop: Header=BB405_1323 Depth=1
	s_andn2_saveexec_b64 s[18:19], s[8:9]
; %bb.2584:                             ;   in Loop: Header=BB405_1323 Depth=1
	v_or_b32_e32 v5, 0x10000, v4
	v_cmp_eq_u32_sdwa s[8:9], v4, v37 src0_sel:WORD_0 src1_sel:DWORD
	v_cndmask_b32_e64 v4, v5, v4, s[8:9]
	v_accvgpr_write_b32 a1, v4
; %bb.2585:                             ;   in Loop: Header=BB405_1323 Depth=1
	s_or_b64 exec, exec, s[18:19]
	v_lshlrev_b32_e32 v4, 16, v7
	v_mul_f32_e32 v4, v45, v4
	v_and_b32_e32 v5, 0x7f800000, v4
	v_cmp_ne_u32_e64 s[8:9], s15, v5
                                        ; implicit-def: $agpr3
	s_and_saveexec_b64 s[18:19], s[8:9]
	s_xor_b64 s[8:9], exec, s[18:19]
; %bb.2586:                             ;   in Loop: Header=BB405_1323 Depth=1
	v_bfe_u32 v5, v4, 16, 1
	v_add3_u32 v4, v4, v5, s25
	v_accvgpr_write_b32 a3, v4
                                        ; implicit-def: $vgpr4
; %bb.2587:                             ;   in Loop: Header=BB405_1323 Depth=1
	s_andn2_saveexec_b64 s[18:19], s[8:9]
; %bb.2588:                             ;   in Loop: Header=BB405_1323 Depth=1
	v_or_b32_e32 v5, 0x10000, v4
	v_cmp_eq_u32_sdwa s[8:9], v4, v37 src0_sel:WORD_0 src1_sel:DWORD
	v_cndmask_b32_e64 v4, v5, v4, s[8:9]
	v_accvgpr_write_b32 a3, v4
; %bb.2589:                             ;   in Loop: Header=BB405_1323 Depth=1
	s_or_b64 exec, exec, s[18:19]
	v_lshlrev_b32_e32 v4, 16, v8
	v_mul_f32_e32 v4, v46, v4
	v_and_b32_e32 v5, 0x7f800000, v4
	v_cmp_ne_u32_e64 s[8:9], s15, v5
                                        ; implicit-def: $agpr7
	s_and_saveexec_b64 s[18:19], s[8:9]
	s_xor_b64 s[8:9], exec, s[18:19]
; %bb.2590:                             ;   in Loop: Header=BB405_1323 Depth=1
	v_bfe_u32 v5, v4, 16, 1
	v_add3_u32 v4, v4, v5, s25
	v_accvgpr_write_b32 a7, v4
                                        ; implicit-def: $vgpr4
; %bb.2591:                             ;   in Loop: Header=BB405_1323 Depth=1
	s_andn2_saveexec_b64 s[18:19], s[8:9]
; %bb.2592:                             ;   in Loop: Header=BB405_1323 Depth=1
	v_or_b32_e32 v5, 0x10000, v4
	v_cmp_eq_u32_sdwa s[8:9], v4, v37 src0_sel:WORD_0 src1_sel:DWORD
	v_cndmask_b32_e64 v4, v5, v4, s[8:9]
	v_accvgpr_write_b32 a7, v4
; %bb.2593:                             ;   in Loop: Header=BB405_1323 Depth=1
	s_or_b64 exec, exec, s[18:19]
	v_lshlrev_b32_e32 v4, 16, v9
	v_mul_f32_e32 v4, v48, v4
	v_and_b32_e32 v5, 0x7f800000, v4
	v_cmp_ne_u32_e64 s[8:9], s15, v5
                                        ; implicit-def: $agpr12
	s_and_saveexec_b64 s[18:19], s[8:9]
	s_xor_b64 s[8:9], exec, s[18:19]
; %bb.2594:                             ;   in Loop: Header=BB405_1323 Depth=1
	v_bfe_u32 v5, v4, 16, 1
	v_add3_u32 v4, v4, v5, s25
	v_accvgpr_write_b32 a12, v4
                                        ; implicit-def: $vgpr4
; %bb.2595:                             ;   in Loop: Header=BB405_1323 Depth=1
	s_andn2_saveexec_b64 s[18:19], s[8:9]
; %bb.2596:                             ;   in Loop: Header=BB405_1323 Depth=1
	v_or_b32_e32 v5, 0x10000, v4
	v_cmp_eq_u32_sdwa s[8:9], v4, v37 src0_sel:WORD_0 src1_sel:DWORD
	v_cndmask_b32_e64 v4, v5, v4, s[8:9]
	v_accvgpr_write_b32 a12, v4
; %bb.2597:                             ;   in Loop: Header=BB405_1323 Depth=1
	s_or_b64 exec, exec, s[18:19]
	v_lshlrev_b32_e32 v4, 16, v6
	v_mul_f32_e32 v4, v62, v4
	v_and_b32_e32 v5, 0x7f800000, v4
	v_cmp_ne_u32_e64 s[8:9], s15, v5
                                        ; implicit-def: $agpr13
	s_and_saveexec_b64 s[18:19], s[8:9]
	s_xor_b64 s[8:9], exec, s[18:19]
; %bb.2598:                             ;   in Loop: Header=BB405_1323 Depth=1
	v_bfe_u32 v5, v4, 16, 1
	v_add3_u32 v4, v4, v5, s25
	v_accvgpr_write_b32 a13, v4
                                        ; implicit-def: $vgpr4
; %bb.2599:                             ;   in Loop: Header=BB405_1323 Depth=1
	s_andn2_saveexec_b64 s[18:19], s[8:9]
; %bb.2600:                             ;   in Loop: Header=BB405_1323 Depth=1
	v_or_b32_e32 v5, 0x10000, v4
	v_cmp_eq_u32_sdwa s[8:9], v4, v37 src0_sel:WORD_0 src1_sel:DWORD
	v_cndmask_b32_e64 v4, v5, v4, s[8:9]
	v_accvgpr_write_b32 a13, v4
; %bb.2601:                             ;   in Loop: Header=BB405_1323 Depth=1
	s_or_b64 exec, exec, s[18:19]
	v_lshlrev_b32_e32 v3, 16, v3
	v_mul_f32_e32 v3, v55, v3
	v_and_b32_e32 v4, 0x7f800000, v3
	v_cmp_ne_u32_e64 s[8:9], s15, v4
                                        ; implicit-def: $agpr16
	s_and_saveexec_b64 s[18:19], s[8:9]
	s_xor_b64 s[8:9], exec, s[18:19]
; %bb.2602:                             ;   in Loop: Header=BB405_1323 Depth=1
	v_bfe_u32 v4, v3, 16, 1
	v_add3_u32 v3, v3, v4, s25
	v_accvgpr_write_b32 a16, v3
                                        ; implicit-def: $vgpr3
; %bb.2603:                             ;   in Loop: Header=BB405_1323 Depth=1
	s_andn2_saveexec_b64 s[18:19], s[8:9]
; %bb.2604:                             ;   in Loop: Header=BB405_1323 Depth=1
	v_or_b32_e32 v4, 0x10000, v3
	v_cmp_eq_u32_sdwa s[8:9], v3, v37 src0_sel:WORD_0 src1_sel:DWORD
	v_cndmask_b32_e64 v3, v4, v3, s[8:9]
	v_accvgpr_write_b32 a16, v3
; %bb.2605:                             ;   in Loop: Header=BB405_1323 Depth=1
	s_or_b64 exec, exec, s[18:19]
	v_lshlrev_b32_e32 v2, 16, v2
	v_mul_f32_e32 v2, v52, v2
	v_and_b32_e32 v3, 0x7f800000, v2
	v_cmp_ne_u32_e64 s[8:9], s15, v3
                                        ; implicit-def: $agpr18
	s_and_saveexec_b64 s[18:19], s[8:9]
	s_xor_b64 s[8:9], exec, s[18:19]
; %bb.2606:                             ;   in Loop: Header=BB405_1323 Depth=1
	v_bfe_u32 v3, v2, 16, 1
	v_add3_u32 v2, v2, v3, s25
	v_accvgpr_write_b32 a18, v2
                                        ; implicit-def: $vgpr2
; %bb.2607:                             ;   in Loop: Header=BB405_1323 Depth=1
	s_andn2_saveexec_b64 s[18:19], s[8:9]
; %bb.2608:                             ;   in Loop: Header=BB405_1323 Depth=1
	v_or_b32_e32 v3, 0x10000, v2
	v_cmp_eq_u32_sdwa s[8:9], v2, v37 src0_sel:WORD_0 src1_sel:DWORD
	v_cndmask_b32_e64 v2, v3, v2, s[8:9]
	v_accvgpr_write_b32 a18, v2
; %bb.2609:                             ;   in Loop: Header=BB405_1323 Depth=1
	s_or_b64 exec, exec, s[18:19]
	buffer_load_dword v2, off, s[0:3], s32 offset:432 ; 4-byte Folded Reload
	buffer_load_dword v3, off, s[0:3], s32 offset:436 ; 4-byte Folded Reload
	v_mov_b32_e32 v4, 0
	s_waitcnt vmcnt(1)
	v_add_co_u32_e64 v2, s[8:9], v0, v2
	s_waitcnt vmcnt(0)
	v_addc_co_u32_e64 v3, s[8:9], 0, v1, s[8:9]
	flat_load_dwordx2 v[2:3], v[2:3]
	s_waitcnt vmcnt(0) lgkmcnt(0)
	v_cmp_ne_u16_sdwa s[8:9], v2, v37 src0_sel:BYTE_0 src1_sel:DWORD
	s_and_saveexec_b64 s[18:19], s[8:9]
	s_cbranch_execz .LBB405_2615
; %bb.2610:                             ;   in Loop: Header=BB405_1323 Depth=1
	v_cmp_ne_u16_sdwa s[8:9], v2, s34 src0_sel:BYTE_0 src1_sel:DWORD
	v_bfrev_b32_e32 v4, 1
	s_and_saveexec_b64 s[28:29], s[8:9]
	s_cbranch_execz .LBB405_2614
; %bb.2611:                             ;   in Loop: Header=BB405_1323 Depth=1
	v_and_b32_e32 v5, 0x7f, v2
	v_cmp_ne_u32_e64 s[8:9], s35, v5
	v_mov_b32_e32 v4, 0x7f800001
	s_and_saveexec_b64 s[30:31], s[8:9]
	s_cbranch_execz .LBB405_2613
; %bb.2612:                             ;   in Loop: Header=BB405_1323 Depth=1
	v_and_b32_e32 v4, 7, v2
	v_ffbh_u32_e32 v4, v4
	v_min_u32_e32 v4, 32, v4
	v_lshrrev_b32_e32 v6, 3, v5
	v_cmp_gt_u32_e64 s[8:9], 8, v5
	v_subrev_u32_e32 v5, 28, v4
	v_sub_u32_e32 v4, 29, v4
	v_cndmask_b32_e64 v6, v6, v4, s[8:9]
	v_cndmask_b32_e64 v4, 0, v5, s[8:9]
	v_lshlrev_b64 v[4:5], v4, v[2:3]
	v_lshlrev_b32_e32 v4, 20, v4
	v_lshlrev_b32_e32 v5, 24, v2
	v_and_b32_e32 v4, 0x700000, v4
	v_and_b32_e32 v5, 0x80000000, v5
	v_lshl_add_u32 v6, v6, 23, v40
	v_or3_b32 v4, v5, v6, v4
.LBB405_2613:                           ;   in Loop: Header=BB405_1323 Depth=1
	s_or_b64 exec, exec, s[30:31]
.LBB405_2614:                           ;   in Loop: Header=BB405_1323 Depth=1
	s_or_b64 exec, exec, s[28:29]
.LBB405_2615:                           ;   in Loop: Header=BB405_1323 Depth=1
	s_or_b64 exec, exec, s[18:19]
	v_mul_f32_e32 v5, v23, v4
	v_and_b32_e32 v4, 0x7f800000, v5
	v_cmp_ne_u32_e64 s[8:9], s15, v4
                                        ; implicit-def: $vgpr4
	s_and_saveexec_b64 s[18:19], s[8:9]
	s_xor_b64 s[8:9], exec, s[18:19]
; %bb.2616:                             ;   in Loop: Header=BB405_1323 Depth=1
	v_bfe_u32 v4, v5, 16, 1
	v_add3_u32 v4, v5, v4, s25
                                        ; implicit-def: $vgpr5
; %bb.2617:                             ;   in Loop: Header=BB405_1323 Depth=1
	s_andn2_saveexec_b64 s[18:19], s[8:9]
; %bb.2618:                             ;   in Loop: Header=BB405_1323 Depth=1
	v_or_b32_e32 v4, 0x10000, v5
	v_cmp_eq_u32_sdwa s[8:9], v5, v37 src0_sel:WORD_0 src1_sel:DWORD
	v_cndmask_b32_e64 v4, v4, v5, s[8:9]
; %bb.2619:                             ;   in Loop: Header=BB405_1323 Depth=1
	s_or_b64 exec, exec, s[18:19]
	v_lshrrev_b16_e32 v6, 8, v2
	v_cmp_ne_u16_e64 s[8:9], 0, v6
	v_mov_b32_e32 v5, 0
	s_and_saveexec_b64 s[18:19], s[8:9]
	s_cbranch_execz .LBB405_2625
; %bb.2620:                             ;   in Loop: Header=BB405_1323 Depth=1
	v_cmp_ne_u16_e64 s[8:9], s34, v6
	v_bfrev_b32_e32 v5, 1
	s_and_saveexec_b64 s[28:29], s[8:9]
	s_cbranch_execz .LBB405_2624
; %bb.2621:                             ;   in Loop: Header=BB405_1323 Depth=1
	v_and_b32_e32 v7, 0x7f, v6
	v_cmp_ne_u32_e64 s[8:9], s35, v7
	v_mov_b32_e32 v5, 0x7f800001
	s_and_saveexec_b64 s[30:31], s[8:9]
	s_cbranch_execz .LBB405_2623
; %bb.2622:                             ;   in Loop: Header=BB405_1323 Depth=1
	v_and_b32_e32 v5, 7, v6
	v_lshrrev_b32_e32 v8, 3, v7
	v_cmp_gt_u32_e64 s[8:9], 8, v7
	v_ffbh_u32_e32 v7, v5
	v_min_u32_e32 v9, 32, v7
	v_subrev_u32_e32 v7, 28, v9
	v_lshlrev_b64 v[6:7], v7, v[6:7]
	v_sub_u32_e32 v7, 29, v9
	v_and_b32_e32 v6, 7, v6
	v_cndmask_b32_e64 v7, v8, v7, s[8:9]
	v_cndmask_b32_e64 v5, v5, v6, s[8:9]
	v_lshlrev_b32_e32 v6, 16, v2
	v_lshlrev_b32_e32 v5, 20, v5
	v_and_b32_e32 v6, 0x80000000, v6
	v_lshl_add_u32 v7, v7, 23, v40
	v_or3_b32 v5, v6, v7, v5
.LBB405_2623:                           ;   in Loop: Header=BB405_1323 Depth=1
	s_or_b64 exec, exec, s[30:31]
.LBB405_2624:                           ;   in Loop: Header=BB405_1323 Depth=1
	s_or_b64 exec, exec, s[28:29]
.LBB405_2625:                           ;   in Loop: Header=BB405_1323 Depth=1
	s_or_b64 exec, exec, s[18:19]
	v_mul_f32_e32 v6, v23, v5
	v_and_b32_e32 v5, 0x7f800000, v6
	v_cmp_ne_u32_e64 s[8:9], s15, v5
                                        ; implicit-def: $vgpr5
	s_and_saveexec_b64 s[18:19], s[8:9]
	s_xor_b64 s[8:9], exec, s[18:19]
; %bb.2626:                             ;   in Loop: Header=BB405_1323 Depth=1
	v_bfe_u32 v5, v6, 16, 1
	v_add3_u32 v5, v6, v5, s25
                                        ; implicit-def: $vgpr6
; %bb.2627:                             ;   in Loop: Header=BB405_1323 Depth=1
	s_andn2_saveexec_b64 s[18:19], s[8:9]
; %bb.2628:                             ;   in Loop: Header=BB405_1323 Depth=1
	v_or_b32_e32 v5, 0x10000, v6
	v_cmp_eq_u32_sdwa s[8:9], v6, v37 src0_sel:WORD_0 src1_sel:DWORD
	v_cndmask_b32_e64 v5, v5, v6, s[8:9]
; %bb.2629:                             ;   in Loop: Header=BB405_1323 Depth=1
	s_or_b64 exec, exec, s[18:19]
	v_lshrrev_b32_e32 v6, 16, v2
	v_cmp_ne_u16_sdwa s[8:9], v6, v37 src0_sel:BYTE_0 src1_sel:DWORD
	v_mov_b32_e32 v7, 0
	s_and_saveexec_b64 s[18:19], s[8:9]
	s_cbranch_execz .LBB405_2635
; %bb.2630:                             ;   in Loop: Header=BB405_1323 Depth=1
	v_cmp_ne_u16_sdwa s[8:9], v6, s34 src0_sel:BYTE_0 src1_sel:DWORD
	v_bfrev_b32_e32 v7, 1
	s_and_saveexec_b64 s[28:29], s[8:9]
	s_cbranch_execz .LBB405_2634
; %bb.2631:                             ;   in Loop: Header=BB405_1323 Depth=1
	v_bfe_u32 v8, v2, 16, 7
	v_cmp_ne_u32_e64 s[8:9], s35, v8
	v_mov_b32_e32 v7, 0x7f800001
	s_and_saveexec_b64 s[30:31], s[8:9]
	s_cbranch_execz .LBB405_2633
; %bb.2632:                             ;   in Loop: Header=BB405_1323 Depth=1
	v_and_b32_e32 v7, 7, v6
	v_lshrrev_b32_e32 v10, 3, v8
	v_cmp_gt_u32_e64 s[8:9], 8, v8
	v_ffbh_u32_e32 v8, v7
	v_min_u32_e32 v11, 32, v8
	v_subrev_u32_e32 v8, 28, v11
	v_lshlrev_b64 v[8:9], v8, v[6:7]
	v_sub_u32_e32 v9, 29, v11
	v_and_b32_e32 v8, 7, v8
	v_cndmask_b32_e64 v9, v10, v9, s[8:9]
	v_cndmask_b32_e64 v7, v7, v8, s[8:9]
	v_lshlrev_b32_e32 v6, 24, v6
	v_lshlrev_b32_e32 v7, 20, v7
	v_and_b32_e32 v6, 0x80000000, v6
	v_lshl_add_u32 v8, v9, 23, v40
	v_or3_b32 v7, v6, v8, v7
.LBB405_2633:                           ;   in Loop: Header=BB405_1323 Depth=1
	s_or_b64 exec, exec, s[30:31]
.LBB405_2634:                           ;   in Loop: Header=BB405_1323 Depth=1
	s_or_b64 exec, exec, s[28:29]
.LBB405_2635:                           ;   in Loop: Header=BB405_1323 Depth=1
	s_or_b64 exec, exec, s[18:19]
	v_mul_f32_e32 v6, v23, v7
	v_and_b32_e32 v7, 0x7f800000, v6
	v_cmp_ne_u32_e64 s[8:9], s15, v7
                                        ; implicit-def: $vgpr7
	s_and_saveexec_b64 s[18:19], s[8:9]
	s_xor_b64 s[8:9], exec, s[18:19]
; %bb.2636:                             ;   in Loop: Header=BB405_1323 Depth=1
	v_bfe_u32 v7, v6, 16, 1
	v_add3_u32 v7, v6, v7, s25
                                        ; implicit-def: $vgpr6
; %bb.2637:                             ;   in Loop: Header=BB405_1323 Depth=1
	s_andn2_saveexec_b64 s[18:19], s[8:9]
; %bb.2638:                             ;   in Loop: Header=BB405_1323 Depth=1
	v_or_b32_e32 v7, 0x10000, v6
	v_cmp_eq_u32_sdwa s[8:9], v6, v37 src0_sel:WORD_0 src1_sel:DWORD
	v_cndmask_b32_e64 v7, v7, v6, s[8:9]
; %bb.2639:                             ;   in Loop: Header=BB405_1323 Depth=1
	s_or_b64 exec, exec, s[18:19]
	v_cmp_lt_u32_e64 s[8:9], s13, v2
	v_mov_b32_e32 v8, 0
	s_and_saveexec_b64 s[18:19], s[8:9]
	s_cbranch_execz .LBB405_2645
; %bb.2640:                             ;   in Loop: Header=BB405_1323 Depth=1
	v_lshrrev_b32_e32 v6, 24, v2
	v_cmp_ne_u32_e64 s[8:9], s34, v6
	v_bfrev_b32_e32 v8, 1
	s_and_saveexec_b64 s[28:29], s[8:9]
	s_cbranch_execz .LBB405_2644
; %bb.2641:                             ;   in Loop: Header=BB405_1323 Depth=1
	v_bfe_u32 v9, v2, 24, 7
	v_cmp_ne_u32_e64 s[8:9], s35, v9
	v_mov_b32_e32 v8, 0x7f800001
	s_and_saveexec_b64 s[30:31], s[8:9]
	s_cbranch_execz .LBB405_2643
; %bb.2642:                             ;   in Loop: Header=BB405_1323 Depth=1
	v_and_b32_e32 v10, 7, v6
	v_ffbh_u32_e32 v8, v10
	v_min_u32_e32 v16, 32, v8
	v_subrev_u32_e32 v8, 28, v16
	v_lshrrev_b32_e32 v11, 3, v9
	v_cmp_gt_u32_e64 s[8:9], 8, v9
	v_lshlrev_b64 v[8:9], v8, v[6:7]
	v_sub_u32_e32 v9, 29, v16
	v_and_b32_e32 v8, 7, v8
	v_cndmask_b32_e64 v9, v11, v9, s[8:9]
	v_cndmask_b32_e64 v8, v10, v8, s[8:9]
	v_lshlrev_b32_e32 v6, 24, v6
	v_lshlrev_b32_e32 v8, 20, v8
	v_and_b32_e32 v6, 0x80000000, v6
	v_lshl_add_u32 v9, v9, 23, v40
	v_or3_b32 v8, v6, v9, v8
.LBB405_2643:                           ;   in Loop: Header=BB405_1323 Depth=1
	s_or_b64 exec, exec, s[30:31]
.LBB405_2644:                           ;   in Loop: Header=BB405_1323 Depth=1
	s_or_b64 exec, exec, s[28:29]
.LBB405_2645:                           ;   in Loop: Header=BB405_1323 Depth=1
	s_or_b64 exec, exec, s[18:19]
	v_mul_f32_e32 v6, v23, v8
	v_and_b32_e32 v8, 0x7f800000, v6
	v_cmp_ne_u32_e64 s[8:9], s15, v8
                                        ; implicit-def: $vgpr8
	s_and_saveexec_b64 s[18:19], s[8:9]
	s_xor_b64 s[8:9], exec, s[18:19]
; %bb.2646:                             ;   in Loop: Header=BB405_1323 Depth=1
	v_bfe_u32 v8, v6, 16, 1
	v_add3_u32 v8, v6, v8, s25
                                        ; implicit-def: $vgpr6
; %bb.2647:                             ;   in Loop: Header=BB405_1323 Depth=1
	s_andn2_saveexec_b64 s[18:19], s[8:9]
; %bb.2648:                             ;   in Loop: Header=BB405_1323 Depth=1
	v_or_b32_e32 v8, 0x10000, v6
	v_cmp_eq_u32_sdwa s[8:9], v6, v37 src0_sel:WORD_0 src1_sel:DWORD
	v_cndmask_b32_e64 v8, v8, v6, s[8:9]
; %bb.2649:                             ;   in Loop: Header=BB405_1323 Depth=1
	s_or_b64 exec, exec, s[18:19]
	v_mov_b32_e32 v36, v3
	v_cmp_ne_u16_sdwa s[8:9], v3, v37 src0_sel:BYTE_0 src1_sel:DWORD
	v_mov_b32_e32 v6, 0
	s_and_saveexec_b64 s[18:19], s[8:9]
	s_cbranch_execz .LBB405_2655
; %bb.2650:                             ;   in Loop: Header=BB405_1323 Depth=1
	v_cmp_ne_u16_sdwa s[8:9], v3, s34 src0_sel:BYTE_0 src1_sel:DWORD
	v_bfrev_b32_e32 v6, 1
	s_and_saveexec_b64 s[28:29], s[8:9]
	s_cbranch_execz .LBB405_2654
; %bb.2651:                             ;   in Loop: Header=BB405_1323 Depth=1
	v_and_b32_e32 v9, 0x7f, v3
	v_cmp_ne_u32_e64 s[8:9], s35, v9
	v_mov_b32_e32 v6, 0x7f800001
	s_and_saveexec_b64 s[30:31], s[8:9]
	s_cbranch_execz .LBB405_2653
; %bb.2652:                             ;   in Loop: Header=BB405_1323 Depth=1
	v_and_b32_e32 v6, 7, v3
	v_ffbh_u32_e32 v6, v6
	v_min_u32_e32 v6, 32, v6
	v_lshrrev_b32_e32 v10, 3, v9
	v_cmp_gt_u32_e64 s[8:9], 8, v9
	v_subrev_u32_e32 v9, 28, v6
	v_sub_u32_e32 v6, 29, v6
	v_cndmask_b32_e64 v9, 0, v9, s[8:9]
	v_cndmask_b32_e64 v6, v10, v6, s[8:9]
	v_lshlrev_b64 v[10:11], v9, v[36:37]
	v_lshlrev_b32_e32 v9, 20, v10
	v_lshlrev_b32_e32 v10, 24, v36
	v_and_b32_e32 v9, 0x700000, v9
	v_and_b32_e32 v10, 0x80000000, v10
	v_lshl_add_u32 v6, v6, 23, v40
	v_or3_b32 v6, v10, v6, v9
.LBB405_2653:                           ;   in Loop: Header=BB405_1323 Depth=1
	s_or_b64 exec, exec, s[30:31]
.LBB405_2654:                           ;   in Loop: Header=BB405_1323 Depth=1
	s_or_b64 exec, exec, s[28:29]
.LBB405_2655:                           ;   in Loop: Header=BB405_1323 Depth=1
	s_or_b64 exec, exec, s[18:19]
	v_mul_f32_e32 v6, v23, v6
	v_and_b32_e32 v9, 0x7f800000, v6
	v_cmp_ne_u32_e64 s[8:9], s15, v9
                                        ; implicit-def: $vgpr9
	s_and_saveexec_b64 s[18:19], s[8:9]
	s_xor_b64 s[8:9], exec, s[18:19]
; %bb.2656:                             ;   in Loop: Header=BB405_1323 Depth=1
	v_bfe_u32 v9, v6, 16, 1
	v_add3_u32 v9, v6, v9, s25
                                        ; implicit-def: $vgpr6
; %bb.2657:                             ;   in Loop: Header=BB405_1323 Depth=1
	s_andn2_saveexec_b64 s[18:19], s[8:9]
; %bb.2658:                             ;   in Loop: Header=BB405_1323 Depth=1
	v_or_b32_e32 v9, 0x10000, v6
	v_cmp_eq_u32_sdwa s[8:9], v6, v37 src0_sel:WORD_0 src1_sel:DWORD
	v_cndmask_b32_e64 v9, v9, v6, s[8:9]
; %bb.2659:                             ;   in Loop: Header=BB405_1323 Depth=1
	s_or_b64 exec, exec, s[18:19]
	v_lshrrev_b16_e32 v6, 8, v36
	v_cmp_ne_u16_e64 s[8:9], 0, v6
	v_mov_b32_e32 v10, 0
	s_and_saveexec_b64 s[18:19], s[8:9]
	s_cbranch_execz .LBB405_2665
; %bb.2660:                             ;   in Loop: Header=BB405_1323 Depth=1
	v_cmp_ne_u16_e64 s[8:9], s34, v6
	v_bfrev_b32_e32 v10, 1
	s_and_saveexec_b64 s[28:29], s[8:9]
	s_cbranch_execz .LBB405_2664
; %bb.2661:                             ;   in Loop: Header=BB405_1323 Depth=1
	v_and_b32_e32 v11, 0x7f, v6
	v_cmp_ne_u32_e64 s[8:9], s35, v11
	v_mov_b32_e32 v10, 0x7f800001
	s_and_saveexec_b64 s[30:31], s[8:9]
	s_cbranch_execz .LBB405_2663
; %bb.2662:                             ;   in Loop: Header=BB405_1323 Depth=1
	v_and_b32_e32 v16, 7, v6
	v_ffbh_u32_e32 v10, v16
	v_min_u32_e32 v26, 32, v10
	v_subrev_u32_e32 v10, 28, v26
	v_lshrrev_b32_e32 v22, 3, v11
	v_cmp_gt_u32_e64 s[8:9], 8, v11
	v_lshlrev_b64 v[10:11], v10, v[6:7]
	v_sub_u32_e32 v6, 29, v26
	v_and_b32_e32 v10, 7, v10
	v_cndmask_b32_e64 v6, v22, v6, s[8:9]
	v_cndmask_b32_e64 v10, v16, v10, s[8:9]
	v_lshlrev_b32_e32 v11, 16, v36
	v_lshlrev_b32_e32 v10, 20, v10
	v_and_b32_e32 v11, 0x80000000, v11
	v_lshl_add_u32 v6, v6, 23, v40
	v_or3_b32 v10, v11, v6, v10
.LBB405_2663:                           ;   in Loop: Header=BB405_1323 Depth=1
	s_or_b64 exec, exec, s[30:31]
.LBB405_2664:                           ;   in Loop: Header=BB405_1323 Depth=1
	s_or_b64 exec, exec, s[28:29]
.LBB405_2665:                           ;   in Loop: Header=BB405_1323 Depth=1
	s_or_b64 exec, exec, s[18:19]
	v_mul_f32_e32 v6, v23, v10
	v_and_b32_e32 v10, 0x7f800000, v6
	v_cmp_ne_u32_e64 s[8:9], s15, v10
                                        ; implicit-def: $vgpr10
	s_and_saveexec_b64 s[18:19], s[8:9]
	s_xor_b64 s[8:9], exec, s[18:19]
; %bb.2666:                             ;   in Loop: Header=BB405_1323 Depth=1
	v_bfe_u32 v10, v6, 16, 1
	v_add3_u32 v10, v6, v10, s25
                                        ; implicit-def: $vgpr6
; %bb.2667:                             ;   in Loop: Header=BB405_1323 Depth=1
	s_andn2_saveexec_b64 s[18:19], s[8:9]
; %bb.2668:                             ;   in Loop: Header=BB405_1323 Depth=1
	v_or_b32_e32 v10, 0x10000, v6
	v_cmp_eq_u32_sdwa s[8:9], v6, v37 src0_sel:WORD_0 src1_sel:DWORD
	v_cndmask_b32_e64 v10, v10, v6, s[8:9]
; %bb.2669:                             ;   in Loop: Header=BB405_1323 Depth=1
	s_or_b64 exec, exec, s[18:19]
	v_lshrrev_b32_e32 v6, 16, v3
	v_cmp_ne_u16_sdwa s[8:9], v6, v37 src0_sel:BYTE_0 src1_sel:DWORD
	v_mov_b32_e32 v11, 0
	s_and_saveexec_b64 s[18:19], s[8:9]
	s_cbranch_execz .LBB405_2675
; %bb.2670:                             ;   in Loop: Header=BB405_1323 Depth=1
	v_cmp_ne_u16_sdwa s[8:9], v6, s34 src0_sel:BYTE_0 src1_sel:DWORD
	v_bfrev_b32_e32 v11, 1
	s_and_saveexec_b64 s[28:29], s[8:9]
	s_cbranch_execz .LBB405_2674
; %bb.2671:                             ;   in Loop: Header=BB405_1323 Depth=1
	v_bfe_u32 v16, v3, 16, 7
	v_cmp_ne_u32_e64 s[8:9], s35, v16
	v_mov_b32_e32 v11, 0x7f800001
	s_and_saveexec_b64 s[30:31], s[8:9]
	s_cbranch_execz .LBB405_2673
; %bb.2672:                             ;   in Loop: Header=BB405_1323 Depth=1
	v_and_b32_e32 v11, 7, v6
	v_lshrrev_b32_e32 v22, 3, v16
	v_cmp_gt_u32_e64 s[8:9], 8, v16
	v_ffbh_u32_e32 v16, v11
	v_min_u32_e32 v16, 32, v16
	v_subrev_u32_e32 v26, 28, v16
	v_lshlrev_b64 v[26:27], v26, v[6:7]
	v_sub_u32_e32 v16, 29, v16
	v_and_b32_e32 v26, 7, v26
	v_cndmask_b32_e64 v16, v22, v16, s[8:9]
	v_cndmask_b32_e64 v11, v11, v26, s[8:9]
	v_lshlrev_b32_e32 v6, 24, v6
	v_lshlrev_b32_e32 v11, 20, v11
	v_and_b32_e32 v6, 0x80000000, v6
	v_lshl_add_u32 v16, v16, 23, v40
	v_or3_b32 v11, v6, v16, v11
.LBB405_2673:                           ;   in Loop: Header=BB405_1323 Depth=1
	s_or_b64 exec, exec, s[30:31]
.LBB405_2674:                           ;   in Loop: Header=BB405_1323 Depth=1
	s_or_b64 exec, exec, s[28:29]
.LBB405_2675:                           ;   in Loop: Header=BB405_1323 Depth=1
	s_or_b64 exec, exec, s[18:19]
	v_mul_f32_e32 v6, v23, v11
	v_and_b32_e32 v11, 0x7f800000, v6
	v_cmp_ne_u32_e64 s[8:9], s15, v11
                                        ; implicit-def: $vgpr11
	s_and_saveexec_b64 s[18:19], s[8:9]
	s_xor_b64 s[8:9], exec, s[18:19]
; %bb.2676:                             ;   in Loop: Header=BB405_1323 Depth=1
	v_bfe_u32 v11, v6, 16, 1
	v_add3_u32 v11, v6, v11, s25
                                        ; implicit-def: $vgpr6
; %bb.2677:                             ;   in Loop: Header=BB405_1323 Depth=1
	s_andn2_saveexec_b64 s[18:19], s[8:9]
; %bb.2678:                             ;   in Loop: Header=BB405_1323 Depth=1
	v_or_b32_e32 v11, 0x10000, v6
	v_cmp_eq_u32_sdwa s[8:9], v6, v37 src0_sel:WORD_0 src1_sel:DWORD
	v_cndmask_b32_e64 v11, v11, v6, s[8:9]
; %bb.2679:                             ;   in Loop: Header=BB405_1323 Depth=1
	s_or_b64 exec, exec, s[18:19]
	v_cmp_lt_u64_e64 s[8:9], s[12:13], v[2:3]
	v_mov_b32_e32 v6, 0
	s_and_saveexec_b64 s[18:19], s[8:9]
	s_cbranch_execz .LBB405_2685
; %bb.2680:                             ;   in Loop: Header=BB405_1323 Depth=1
	v_lshrrev_b32_e32 v2, 24, v3
	v_cmp_ne_u32_e64 s[8:9], s34, v2
	v_bfrev_b32_e32 v6, 1
	s_and_saveexec_b64 s[28:29], s[8:9]
	s_cbranch_execz .LBB405_2684
; %bb.2681:                             ;   in Loop: Header=BB405_1323 Depth=1
	v_bfe_u32 v3, v3, 24, 7
	v_cmp_ne_u32_e64 s[8:9], s35, v3
	v_mov_b32_e32 v6, 0x7f800001
	s_and_saveexec_b64 s[30:31], s[8:9]
	s_cbranch_execz .LBB405_2683
; %bb.2682:                             ;   in Loop: Header=BB405_1323 Depth=1
	v_and_b32_e32 v6, 7, v2
	v_lshrrev_b32_e32 v16, 3, v3
	v_cmp_gt_u32_e64 s[8:9], 8, v3
	v_ffbh_u32_e32 v3, v6
	v_min_u32_e32 v3, 32, v3
	v_subrev_u32_e32 v22, 28, v3
	v_lshlrev_b64 v[26:27], v22, v[2:3]
	v_sub_u32_e32 v3, 29, v3
	v_and_b32_e32 v22, 7, v26
	v_cndmask_b32_e64 v3, v16, v3, s[8:9]
	v_cndmask_b32_e64 v6, v6, v22, s[8:9]
	v_lshlrev_b32_e32 v2, 24, v2
	v_lshlrev_b32_e32 v6, 20, v6
	v_and_b32_e32 v2, 0x80000000, v2
	v_lshl_add_u32 v3, v3, 23, v40
	v_or3_b32 v6, v2, v3, v6
.LBB405_2683:                           ;   in Loop: Header=BB405_1323 Depth=1
	s_or_b64 exec, exec, s[30:31]
.LBB405_2684:                           ;   in Loop: Header=BB405_1323 Depth=1
	s_or_b64 exec, exec, s[28:29]
.LBB405_2685:                           ;   in Loop: Header=BB405_1323 Depth=1
	s_or_b64 exec, exec, s[18:19]
	v_mul_f32_e32 v3, v23, v6
	v_and_b32_e32 v2, 0x7f800000, v3
	v_cmp_ne_u32_e64 s[8:9], s15, v2
                                        ; implicit-def: $vgpr2
	s_and_saveexec_b64 s[18:19], s[8:9]
	s_xor_b64 s[8:9], exec, s[18:19]
; %bb.2686:                             ;   in Loop: Header=BB405_1323 Depth=1
	v_bfe_u32 v2, v3, 16, 1
	v_add3_u32 v2, v3, v2, s25
                                        ; implicit-def: $vgpr3
; %bb.2687:                             ;   in Loop: Header=BB405_1323 Depth=1
	s_andn2_saveexec_b64 s[18:19], s[8:9]
; %bb.2688:                             ;   in Loop: Header=BB405_1323 Depth=1
	v_or_b32_e32 v2, 0x10000, v3
	v_cmp_eq_u32_sdwa s[8:9], v3, v37 src0_sel:WORD_0 src1_sel:DWORD
	v_cndmask_b32_e64 v2, v2, v3, s[8:9]
; %bb.2689:                             ;   in Loop: Header=BB405_1323 Depth=1
	s_or_b64 exec, exec, s[18:19]
	v_lshrrev_b32_e32 v6, 16, v10
	v_lshrrev_b32_e32 v9, 16, v9
	;; [unrolled: 1-line block ×8, first 2 shown]
	s_and_saveexec_b64 s[18:19], vcc
	s_cbranch_execz .LBB405_2691
; %bb.2690:                             ;   in Loop: Header=BB405_1323 Depth=1
	v_accvgpr_read_b32 v10, a31
	v_cmp_lt_i32_e64 s[8:9], v10, v49
	v_accvgpr_read_b32 v10, a37
	v_cndmask_b32_e64 v4, 0, v4, s[8:9]
	v_cmp_lt_i32_e64 s[8:9], v10, v49
	v_accvgpr_read_b32 v10, a36
	v_cndmask_b32_e64 v5, 0, v5, s[8:9]
	v_cmp_lt_i32_e64 s[8:9], v10, v49
	v_accvgpr_read_b32 v10, a35
	v_cndmask_b32_e64 v7, 0, v7, s[8:9]
	v_cmp_lt_i32_e64 s[8:9], v10, v49
	v_accvgpr_read_b32 v10, a34
	v_cndmask_b32_e64 v8, 0, v8, s[8:9]
	v_cmp_lt_i32_e64 s[8:9], v10, v49
	v_accvgpr_read_b32 v10, a33
	v_cndmask_b32_e64 v9, 0, v9, s[8:9]
	v_cmp_lt_i32_e64 s[8:9], v10, v49
	v_accvgpr_read_b32 v10, a32
	v_cndmask_b32_e64 v6, 0, v6, s[8:9]
	v_cmp_lt_i32_e64 s[8:9], v10, v49
	v_cndmask_b32_e64 v3, 0, v3, s[8:9]
	v_cmp_lt_i32_e64 s[8:9], v17, v49
	v_cndmask_b32_e64 v2, 0, v2, s[8:9]
.LBB405_2691:                           ;   in Loop: Header=BB405_1323 Depth=1
	s_or_b64 exec, exec, s[18:19]
	v_lshlrev_b32_e32 v4, 16, v4
	v_accvgpr_read_b32 v10, a38
	v_mul_f32_e32 v4, v10, v4
	v_and_b32_e32 v10, 0x7f800000, v4
	v_cmp_ne_u32_e64 s[8:9], s15, v10
                                        ; implicit-def: $agpr20
	s_and_saveexec_b64 s[18:19], s[8:9]
	s_xor_b64 s[8:9], exec, s[18:19]
; %bb.2692:                             ;   in Loop: Header=BB405_1323 Depth=1
	v_bfe_u32 v10, v4, 16, 1
	v_add3_u32 v4, v4, v10, s25
	v_accvgpr_write_b32 a20, v4
                                        ; implicit-def: $vgpr4
; %bb.2693:                             ;   in Loop: Header=BB405_1323 Depth=1
	s_andn2_saveexec_b64 s[18:19], s[8:9]
; %bb.2694:                             ;   in Loop: Header=BB405_1323 Depth=1
	v_or_b32_e32 v10, 0x10000, v4
	v_cmp_eq_u32_sdwa s[8:9], v4, v37 src0_sel:WORD_0 src1_sel:DWORD
	v_cndmask_b32_e64 v4, v10, v4, s[8:9]
	v_accvgpr_write_b32 a20, v4
; %bb.2695:                             ;   in Loop: Header=BB405_1323 Depth=1
	s_or_b64 exec, exec, s[18:19]
	v_lshlrev_b32_e32 v4, 16, v5
	v_mul_f32_e32 v4, v53, v4
	v_and_b32_e32 v5, 0x7f800000, v4
	v_cmp_ne_u32_e64 s[8:9], s15, v5
                                        ; implicit-def: $agpr22
	s_and_saveexec_b64 s[18:19], s[8:9]
	s_xor_b64 s[8:9], exec, s[18:19]
; %bb.2696:                             ;   in Loop: Header=BB405_1323 Depth=1
	v_bfe_u32 v5, v4, 16, 1
	v_add3_u32 v4, v4, v5, s25
	v_accvgpr_write_b32 a22, v4
                                        ; implicit-def: $vgpr4
; %bb.2697:                             ;   in Loop: Header=BB405_1323 Depth=1
	s_andn2_saveexec_b64 s[18:19], s[8:9]
; %bb.2698:                             ;   in Loop: Header=BB405_1323 Depth=1
	v_or_b32_e32 v5, 0x10000, v4
	v_cmp_eq_u32_sdwa s[8:9], v4, v37 src0_sel:WORD_0 src1_sel:DWORD
	v_cndmask_b32_e64 v4, v5, v4, s[8:9]
	v_accvgpr_write_b32 a22, v4
; %bb.2699:                             ;   in Loop: Header=BB405_1323 Depth=1
	s_or_b64 exec, exec, s[18:19]
	v_lshlrev_b32_e32 v4, 16, v7
	v_mul_f32_e32 v4, v45, v4
	v_and_b32_e32 v5, 0x7f800000, v4
	v_cmp_ne_u32_e64 s[8:9], s15, v5
                                        ; implicit-def: $agpr24
	s_and_saveexec_b64 s[18:19], s[8:9]
	s_xor_b64 s[8:9], exec, s[18:19]
; %bb.2700:                             ;   in Loop: Header=BB405_1323 Depth=1
	v_bfe_u32 v5, v4, 16, 1
	v_add3_u32 v4, v4, v5, s25
	v_accvgpr_write_b32 a24, v4
                                        ; implicit-def: $vgpr4
; %bb.2701:                             ;   in Loop: Header=BB405_1323 Depth=1
	s_andn2_saveexec_b64 s[18:19], s[8:9]
; %bb.2702:                             ;   in Loop: Header=BB405_1323 Depth=1
	v_or_b32_e32 v5, 0x10000, v4
	v_cmp_eq_u32_sdwa s[8:9], v4, v37 src0_sel:WORD_0 src1_sel:DWORD
	v_cndmask_b32_e64 v4, v5, v4, s[8:9]
	v_accvgpr_write_b32 a24, v4
; %bb.2703:                             ;   in Loop: Header=BB405_1323 Depth=1
	s_or_b64 exec, exec, s[18:19]
	v_lshlrev_b32_e32 v4, 16, v8
	v_mul_f32_e32 v4, v46, v4
	v_and_b32_e32 v5, 0x7f800000, v4
	v_cmp_ne_u32_e64 s[8:9], s15, v5
                                        ; implicit-def: $agpr26
	s_and_saveexec_b64 s[18:19], s[8:9]
	s_xor_b64 s[8:9], exec, s[18:19]
; %bb.2704:                             ;   in Loop: Header=BB405_1323 Depth=1
	v_bfe_u32 v5, v4, 16, 1
	v_add3_u32 v4, v4, v5, s25
	v_accvgpr_write_b32 a26, v4
                                        ; implicit-def: $vgpr4
; %bb.2705:                             ;   in Loop: Header=BB405_1323 Depth=1
	s_andn2_saveexec_b64 s[18:19], s[8:9]
; %bb.2706:                             ;   in Loop: Header=BB405_1323 Depth=1
	v_or_b32_e32 v5, 0x10000, v4
	v_cmp_eq_u32_sdwa s[8:9], v4, v37 src0_sel:WORD_0 src1_sel:DWORD
	v_cndmask_b32_e64 v4, v5, v4, s[8:9]
	v_accvgpr_write_b32 a26, v4
; %bb.2707:                             ;   in Loop: Header=BB405_1323 Depth=1
	s_or_b64 exec, exec, s[18:19]
	v_lshlrev_b32_e32 v4, 16, v9
	v_mul_f32_e32 v4, v48, v4
	v_and_b32_e32 v5, 0x7f800000, v4
	v_cmp_ne_u32_e64 s[8:9], s15, v5
                                        ; implicit-def: $agpr14
	s_and_saveexec_b64 s[18:19], s[8:9]
	s_xor_b64 s[8:9], exec, s[18:19]
; %bb.2708:                             ;   in Loop: Header=BB405_1323 Depth=1
	v_bfe_u32 v5, v4, 16, 1
	v_add3_u32 v4, v4, v5, s25
	v_accvgpr_write_b32 a14, v4
                                        ; implicit-def: $vgpr4
; %bb.2709:                             ;   in Loop: Header=BB405_1323 Depth=1
	s_andn2_saveexec_b64 s[18:19], s[8:9]
; %bb.2710:                             ;   in Loop: Header=BB405_1323 Depth=1
	v_or_b32_e32 v5, 0x10000, v4
	v_cmp_eq_u32_sdwa s[8:9], v4, v37 src0_sel:WORD_0 src1_sel:DWORD
	v_cndmask_b32_e64 v4, v5, v4, s[8:9]
	v_accvgpr_write_b32 a14, v4
; %bb.2711:                             ;   in Loop: Header=BB405_1323 Depth=1
	s_or_b64 exec, exec, s[18:19]
	v_lshlrev_b32_e32 v4, 16, v6
	v_mul_f32_e32 v4, v62, v4
	v_and_b32_e32 v5, 0x7f800000, v4
	v_cmp_ne_u32_e64 s[8:9], s15, v5
                                        ; implicit-def: $agpr28
	s_and_saveexec_b64 s[18:19], s[8:9]
	s_xor_b64 s[8:9], exec, s[18:19]
; %bb.2712:                             ;   in Loop: Header=BB405_1323 Depth=1
	v_bfe_u32 v5, v4, 16, 1
	v_add3_u32 v4, v4, v5, s25
	v_accvgpr_write_b32 a28, v4
                                        ; implicit-def: $vgpr4
; %bb.2713:                             ;   in Loop: Header=BB405_1323 Depth=1
	s_andn2_saveexec_b64 s[18:19], s[8:9]
; %bb.2714:                             ;   in Loop: Header=BB405_1323 Depth=1
	v_or_b32_e32 v5, 0x10000, v4
	v_cmp_eq_u32_sdwa s[8:9], v4, v37 src0_sel:WORD_0 src1_sel:DWORD
	v_cndmask_b32_e64 v4, v5, v4, s[8:9]
	v_accvgpr_write_b32 a28, v4
; %bb.2715:                             ;   in Loop: Header=BB405_1323 Depth=1
	s_or_b64 exec, exec, s[18:19]
	v_lshlrev_b32_e32 v3, 16, v3
	v_mul_f32_e32 v3, v55, v3
	v_and_b32_e32 v4, 0x7f800000, v3
	v_cmp_ne_u32_e64 s[8:9], s15, v4
                                        ; implicit-def: $agpr30
	s_and_saveexec_b64 s[18:19], s[8:9]
	s_xor_b64 s[8:9], exec, s[18:19]
; %bb.2716:                             ;   in Loop: Header=BB405_1323 Depth=1
	v_bfe_u32 v4, v3, 16, 1
	v_add3_u32 v3, v3, v4, s25
	v_accvgpr_write_b32 a30, v3
                                        ; implicit-def: $vgpr3
; %bb.2717:                             ;   in Loop: Header=BB405_1323 Depth=1
	s_andn2_saveexec_b64 s[18:19], s[8:9]
; %bb.2718:                             ;   in Loop: Header=BB405_1323 Depth=1
	v_or_b32_e32 v4, 0x10000, v3
	v_cmp_eq_u32_sdwa s[8:9], v3, v37 src0_sel:WORD_0 src1_sel:DWORD
	v_cndmask_b32_e64 v3, v4, v3, s[8:9]
	v_accvgpr_write_b32 a30, v3
; %bb.2719:                             ;   in Loop: Header=BB405_1323 Depth=1
	s_or_b64 exec, exec, s[18:19]
	v_lshlrev_b32_e32 v2, 16, v2
	v_mul_f32_e32 v2, v52, v2
	v_and_b32_e32 v3, 0x7f800000, v2
	v_cmp_ne_u32_e64 s[8:9], s15, v3
                                        ; implicit-def: $agpr4
	s_and_saveexec_b64 s[18:19], s[8:9]
	s_xor_b64 s[8:9], exec, s[18:19]
; %bb.2720:                             ;   in Loop: Header=BB405_1323 Depth=1
	v_bfe_u32 v3, v2, 16, 1
	v_add3_u32 v2, v2, v3, s25
	v_accvgpr_write_b32 a4, v2
                                        ; implicit-def: $vgpr2
; %bb.2721:                             ;   in Loop: Header=BB405_1323 Depth=1
	s_andn2_saveexec_b64 s[18:19], s[8:9]
; %bb.2722:                             ;   in Loop: Header=BB405_1323 Depth=1
	v_or_b32_e32 v3, 0x10000, v2
	v_cmp_eq_u32_sdwa s[8:9], v2, v37 src0_sel:WORD_0 src1_sel:DWORD
	v_cndmask_b32_e64 v2, v3, v2, s[8:9]
	v_accvgpr_write_b32 a4, v2
; %bb.2723:                             ;   in Loop: Header=BB405_1323 Depth=1
	s_or_b64 exec, exec, s[18:19]
	buffer_load_dword v2, off, s[0:3], s32 offset:440 ; 4-byte Folded Reload
	buffer_load_dword v3, off, s[0:3], s32 offset:444 ; 4-byte Folded Reload
	v_mov_b32_e32 v4, 0
	s_waitcnt vmcnt(1)
	v_add_co_u32_e64 v2, s[8:9], v0, v2
	s_waitcnt vmcnt(0)
	v_addc_co_u32_e64 v3, s[8:9], 0, v1, s[8:9]
	flat_load_dwordx2 v[2:3], v[2:3]
	s_waitcnt vmcnt(0) lgkmcnt(0)
	v_cmp_ne_u16_sdwa s[8:9], v2, v37 src0_sel:BYTE_0 src1_sel:DWORD
	s_and_saveexec_b64 s[18:19], s[8:9]
	s_cbranch_execz .LBB405_2729
; %bb.2724:                             ;   in Loop: Header=BB405_1323 Depth=1
	v_cmp_ne_u16_sdwa s[8:9], v2, s34 src0_sel:BYTE_0 src1_sel:DWORD
	v_bfrev_b32_e32 v4, 1
	s_and_saveexec_b64 s[28:29], s[8:9]
	s_cbranch_execz .LBB405_2728
; %bb.2725:                             ;   in Loop: Header=BB405_1323 Depth=1
	v_and_b32_e32 v5, 0x7f, v2
	v_cmp_ne_u32_e64 s[8:9], s35, v5
	v_mov_b32_e32 v4, 0x7f800001
	s_and_saveexec_b64 s[30:31], s[8:9]
	s_cbranch_execz .LBB405_2727
; %bb.2726:                             ;   in Loop: Header=BB405_1323 Depth=1
	v_and_b32_e32 v4, 7, v2
	v_ffbh_u32_e32 v4, v4
	v_min_u32_e32 v4, 32, v4
	v_lshrrev_b32_e32 v6, 3, v5
	v_cmp_gt_u32_e64 s[8:9], 8, v5
	v_subrev_u32_e32 v5, 28, v4
	v_sub_u32_e32 v4, 29, v4
	v_cndmask_b32_e64 v6, v6, v4, s[8:9]
	v_cndmask_b32_e64 v4, 0, v5, s[8:9]
	v_lshlrev_b64 v[4:5], v4, v[2:3]
	v_lshlrev_b32_e32 v4, 20, v4
	v_lshlrev_b32_e32 v5, 24, v2
	v_and_b32_e32 v4, 0x700000, v4
	v_and_b32_e32 v5, 0x80000000, v5
	v_lshl_add_u32 v6, v6, 23, v40
	v_or3_b32 v4, v5, v6, v4
.LBB405_2727:                           ;   in Loop: Header=BB405_1323 Depth=1
	s_or_b64 exec, exec, s[30:31]
.LBB405_2728:                           ;   in Loop: Header=BB405_1323 Depth=1
	s_or_b64 exec, exec, s[28:29]
.LBB405_2729:                           ;   in Loop: Header=BB405_1323 Depth=1
	s_or_b64 exec, exec, s[18:19]
	v_mul_f32_e32 v4, v23, v4
	v_and_b32_e32 v5, 0x7f800000, v4
	v_cmp_ne_u32_e64 s[8:9], s15, v5
                                        ; implicit-def: $vgpr7
	s_and_saveexec_b64 s[18:19], s[8:9]
	s_xor_b64 s[8:9], exec, s[18:19]
; %bb.2730:                             ;   in Loop: Header=BB405_1323 Depth=1
	v_bfe_u32 v5, v4, 16, 1
	v_add3_u32 v7, v4, v5, s25
                                        ; implicit-def: $vgpr4
; %bb.2731:                             ;   in Loop: Header=BB405_1323 Depth=1
	s_andn2_saveexec_b64 s[18:19], s[8:9]
; %bb.2732:                             ;   in Loop: Header=BB405_1323 Depth=1
	v_or_b32_e32 v5, 0x10000, v4
	v_cmp_eq_u32_sdwa s[8:9], v4, v37 src0_sel:WORD_0 src1_sel:DWORD
	v_cndmask_b32_e64 v7, v5, v4, s[8:9]
; %bb.2733:                             ;   in Loop: Header=BB405_1323 Depth=1
	s_or_b64 exec, exec, s[18:19]
	v_lshrrev_b16_e32 v6, 8, v2
	v_cmp_ne_u16_e64 s[8:9], 0, v6
	v_mov_b32_e32 v4, 0
	s_and_saveexec_b64 s[18:19], s[8:9]
	s_cbranch_execz .LBB405_2739
; %bb.2734:                             ;   in Loop: Header=BB405_1323 Depth=1
	v_cmp_ne_u16_e64 s[8:9], s34, v6
	v_bfrev_b32_e32 v4, 1
	s_and_saveexec_b64 s[28:29], s[8:9]
	s_cbranch_execz .LBB405_2738
; %bb.2735:                             ;   in Loop: Header=BB405_1323 Depth=1
	v_and_b32_e32 v5, 0x7f, v6
	v_cmp_ne_u32_e64 s[8:9], s35, v5
	v_mov_b32_e32 v4, 0x7f800001
	s_and_saveexec_b64 s[30:31], s[8:9]
	s_cbranch_execz .LBB405_2737
; %bb.2736:                             ;   in Loop: Header=BB405_1323 Depth=1
	v_and_b32_e32 v8, 7, v6
	v_ffbh_u32_e32 v4, v8
	v_min_u32_e32 v10, 32, v4
	v_subrev_u32_e32 v4, 28, v10
	v_lshrrev_b32_e32 v9, 3, v5
	v_cmp_gt_u32_e64 s[8:9], 8, v5
	v_lshlrev_b64 v[4:5], v4, v[6:7]
	v_sub_u32_e32 v5, 29, v10
	v_and_b32_e32 v4, 7, v4
	v_cndmask_b32_e64 v5, v9, v5, s[8:9]
	v_cndmask_b32_e64 v4, v8, v4, s[8:9]
	v_lshlrev_b32_e32 v6, 16, v2
	v_lshlrev_b32_e32 v4, 20, v4
	v_and_b32_e32 v6, 0x80000000, v6
	v_lshl_add_u32 v5, v5, 23, v40
	v_or3_b32 v4, v6, v5, v4
.LBB405_2737:                           ;   in Loop: Header=BB405_1323 Depth=1
	s_or_b64 exec, exec, s[30:31]
.LBB405_2738:                           ;   in Loop: Header=BB405_1323 Depth=1
	s_or_b64 exec, exec, s[28:29]
.LBB405_2739:                           ;   in Loop: Header=BB405_1323 Depth=1
	s_or_b64 exec, exec, s[18:19]
	v_mul_f32_e32 v4, v23, v4
	v_and_b32_e32 v5, 0x7f800000, v4
	v_cmp_ne_u32_e64 s[8:9], s15, v5
                                        ; implicit-def: $vgpr5
	s_and_saveexec_b64 s[18:19], s[8:9]
	s_xor_b64 s[8:9], exec, s[18:19]
; %bb.2740:                             ;   in Loop: Header=BB405_1323 Depth=1
	v_bfe_u32 v5, v4, 16, 1
	v_add3_u32 v5, v4, v5, s25
                                        ; implicit-def: $vgpr4
; %bb.2741:                             ;   in Loop: Header=BB405_1323 Depth=1
	s_andn2_saveexec_b64 s[18:19], s[8:9]
; %bb.2742:                             ;   in Loop: Header=BB405_1323 Depth=1
	v_or_b32_e32 v5, 0x10000, v4
	v_cmp_eq_u32_sdwa s[8:9], v4, v37 src0_sel:WORD_0 src1_sel:DWORD
	v_cndmask_b32_e64 v5, v5, v4, s[8:9]
; %bb.2743:                             ;   in Loop: Header=BB405_1323 Depth=1
	s_or_b64 exec, exec, s[18:19]
	v_lshrrev_b32_e32 v6, 16, v2
	v_cmp_ne_u16_sdwa s[8:9], v6, v37 src0_sel:BYTE_0 src1_sel:DWORD
	v_mov_b32_e32 v4, 0
	s_and_saveexec_b64 s[18:19], s[8:9]
	s_cbranch_execz .LBB405_2749
; %bb.2744:                             ;   in Loop: Header=BB405_1323 Depth=1
	v_cmp_ne_u16_sdwa s[8:9], v6, s34 src0_sel:BYTE_0 src1_sel:DWORD
	v_bfrev_b32_e32 v4, 1
	s_and_saveexec_b64 s[28:29], s[8:9]
	s_cbranch_execz .LBB405_2748
; %bb.2745:                             ;   in Loop: Header=BB405_1323 Depth=1
	v_bfe_u32 v8, v2, 16, 7
	v_cmp_ne_u32_e64 s[8:9], s35, v8
	v_mov_b32_e32 v4, 0x7f800001
	s_and_saveexec_b64 s[30:31], s[8:9]
	s_cbranch_execz .LBB405_2747
; %bb.2746:                             ;   in Loop: Header=BB405_1323 Depth=1
	v_and_b32_e32 v4, 7, v6
	v_lshrrev_b32_e32 v10, 3, v8
	v_cmp_gt_u32_e64 s[8:9], 8, v8
	v_ffbh_u32_e32 v8, v4
	v_min_u32_e32 v11, 32, v8
	v_subrev_u32_e32 v8, 28, v11
	v_lshlrev_b64 v[8:9], v8, v[6:7]
	v_sub_u32_e32 v9, 29, v11
	v_and_b32_e32 v8, 7, v8
	v_cndmask_b32_e64 v9, v10, v9, s[8:9]
	v_cndmask_b32_e64 v4, v4, v8, s[8:9]
	v_lshlrev_b32_e32 v6, 24, v6
	v_lshlrev_b32_e32 v4, 20, v4
	v_and_b32_e32 v6, 0x80000000, v6
	v_lshl_add_u32 v8, v9, 23, v40
	v_or3_b32 v4, v6, v8, v4
.LBB405_2747:                           ;   in Loop: Header=BB405_1323 Depth=1
	s_or_b64 exec, exec, s[30:31]
.LBB405_2748:                           ;   in Loop: Header=BB405_1323 Depth=1
	s_or_b64 exec, exec, s[28:29]
.LBB405_2749:                           ;   in Loop: Header=BB405_1323 Depth=1
	s_or_b64 exec, exec, s[18:19]
	v_mul_f32_e32 v6, v23, v4
	v_and_b32_e32 v4, 0x7f800000, v6
	v_cmp_ne_u32_e64 s[8:9], s15, v4
                                        ; implicit-def: $vgpr4
	s_and_saveexec_b64 s[18:19], s[8:9]
	s_xor_b64 s[8:9], exec, s[18:19]
; %bb.2750:                             ;   in Loop: Header=BB405_1323 Depth=1
	v_bfe_u32 v4, v6, 16, 1
	v_add3_u32 v4, v6, v4, s25
                                        ; implicit-def: $vgpr6
; %bb.2751:                             ;   in Loop: Header=BB405_1323 Depth=1
	s_andn2_saveexec_b64 s[18:19], s[8:9]
; %bb.2752:                             ;   in Loop: Header=BB405_1323 Depth=1
	v_or_b32_e32 v4, 0x10000, v6
	v_cmp_eq_u32_sdwa s[8:9], v6, v37 src0_sel:WORD_0 src1_sel:DWORD
	v_cndmask_b32_e64 v4, v4, v6, s[8:9]
; %bb.2753:                             ;   in Loop: Header=BB405_1323 Depth=1
	s_or_b64 exec, exec, s[18:19]
	v_cmp_lt_u32_e64 s[8:9], s13, v2
	v_mov_b32_e32 v8, 0
	s_and_saveexec_b64 s[18:19], s[8:9]
	s_cbranch_execz .LBB405_2759
; %bb.2754:                             ;   in Loop: Header=BB405_1323 Depth=1
	v_lshrrev_b32_e32 v6, 24, v2
	v_cmp_ne_u32_e64 s[8:9], s34, v6
	v_bfrev_b32_e32 v8, 1
	s_and_saveexec_b64 s[28:29], s[8:9]
	s_cbranch_execz .LBB405_2758
; %bb.2755:                             ;   in Loop: Header=BB405_1323 Depth=1
	v_bfe_u32 v9, v2, 24, 7
	v_cmp_ne_u32_e64 s[8:9], s35, v9
	v_mov_b32_e32 v8, 0x7f800001
	s_and_saveexec_b64 s[30:31], s[8:9]
	s_cbranch_execz .LBB405_2757
; %bb.2756:                             ;   in Loop: Header=BB405_1323 Depth=1
	v_and_b32_e32 v10, 7, v6
	v_ffbh_u32_e32 v8, v10
	v_min_u32_e32 v16, 32, v8
	v_subrev_u32_e32 v8, 28, v16
	v_lshrrev_b32_e32 v11, 3, v9
	v_cmp_gt_u32_e64 s[8:9], 8, v9
	v_lshlrev_b64 v[8:9], v8, v[6:7]
	v_sub_u32_e32 v9, 29, v16
	v_and_b32_e32 v8, 7, v8
	v_cndmask_b32_e64 v9, v11, v9, s[8:9]
	v_cndmask_b32_e64 v8, v10, v8, s[8:9]
	v_lshlrev_b32_e32 v6, 24, v6
	v_lshlrev_b32_e32 v8, 20, v8
	v_and_b32_e32 v6, 0x80000000, v6
	v_lshl_add_u32 v9, v9, 23, v40
	v_or3_b32 v8, v6, v9, v8
.LBB405_2757:                           ;   in Loop: Header=BB405_1323 Depth=1
	s_or_b64 exec, exec, s[30:31]
.LBB405_2758:                           ;   in Loop: Header=BB405_1323 Depth=1
	s_or_b64 exec, exec, s[28:29]
.LBB405_2759:                           ;   in Loop: Header=BB405_1323 Depth=1
	s_or_b64 exec, exec, s[18:19]
	v_mul_f32_e32 v6, v23, v8
	v_and_b32_e32 v8, 0x7f800000, v6
	v_cmp_ne_u32_e64 s[8:9], s15, v8
                                        ; implicit-def: $vgpr8
	s_and_saveexec_b64 s[18:19], s[8:9]
	s_xor_b64 s[8:9], exec, s[18:19]
; %bb.2760:                             ;   in Loop: Header=BB405_1323 Depth=1
	v_bfe_u32 v8, v6, 16, 1
	v_add3_u32 v8, v6, v8, s25
                                        ; implicit-def: $vgpr6
; %bb.2761:                             ;   in Loop: Header=BB405_1323 Depth=1
	s_andn2_saveexec_b64 s[18:19], s[8:9]
; %bb.2762:                             ;   in Loop: Header=BB405_1323 Depth=1
	v_or_b32_e32 v8, 0x10000, v6
	v_cmp_eq_u32_sdwa s[8:9], v6, v37 src0_sel:WORD_0 src1_sel:DWORD
	v_cndmask_b32_e64 v8, v8, v6, s[8:9]
; %bb.2763:                             ;   in Loop: Header=BB405_1323 Depth=1
	s_or_b64 exec, exec, s[18:19]
	v_mov_b32_e32 v36, v3
	v_cmp_ne_u16_sdwa s[8:9], v3, v37 src0_sel:BYTE_0 src1_sel:DWORD
	v_mov_b32_e32 v6, 0
	s_and_saveexec_b64 s[18:19], s[8:9]
	s_cbranch_execz .LBB405_2769
; %bb.2764:                             ;   in Loop: Header=BB405_1323 Depth=1
	v_cmp_ne_u16_sdwa s[8:9], v3, s34 src0_sel:BYTE_0 src1_sel:DWORD
	v_bfrev_b32_e32 v6, 1
	s_and_saveexec_b64 s[28:29], s[8:9]
	s_cbranch_execz .LBB405_2768
; %bb.2765:                             ;   in Loop: Header=BB405_1323 Depth=1
	v_and_b32_e32 v9, 0x7f, v3
	v_cmp_ne_u32_e64 s[8:9], s35, v9
	v_mov_b32_e32 v6, 0x7f800001
	s_and_saveexec_b64 s[30:31], s[8:9]
	s_cbranch_execz .LBB405_2767
; %bb.2766:                             ;   in Loop: Header=BB405_1323 Depth=1
	v_and_b32_e32 v6, 7, v3
	v_ffbh_u32_e32 v6, v6
	v_min_u32_e32 v6, 32, v6
	v_lshrrev_b32_e32 v10, 3, v9
	v_cmp_gt_u32_e64 s[8:9], 8, v9
	v_subrev_u32_e32 v9, 28, v6
	v_sub_u32_e32 v6, 29, v6
	v_cndmask_b32_e64 v9, 0, v9, s[8:9]
	v_cndmask_b32_e64 v6, v10, v6, s[8:9]
	v_lshlrev_b64 v[10:11], v9, v[36:37]
	v_lshlrev_b32_e32 v9, 20, v10
	v_lshlrev_b32_e32 v10, 24, v36
	v_and_b32_e32 v9, 0x700000, v9
	v_and_b32_e32 v10, 0x80000000, v10
	v_lshl_add_u32 v6, v6, 23, v40
	v_or3_b32 v6, v10, v6, v9
.LBB405_2767:                           ;   in Loop: Header=BB405_1323 Depth=1
	s_or_b64 exec, exec, s[30:31]
.LBB405_2768:                           ;   in Loop: Header=BB405_1323 Depth=1
	s_or_b64 exec, exec, s[28:29]
.LBB405_2769:                           ;   in Loop: Header=BB405_1323 Depth=1
	s_or_b64 exec, exec, s[18:19]
	v_mul_f32_e32 v6, v23, v6
	v_and_b32_e32 v9, 0x7f800000, v6
	v_cmp_ne_u32_e64 s[8:9], s15, v9
                                        ; implicit-def: $vgpr9
	s_and_saveexec_b64 s[18:19], s[8:9]
	s_xor_b64 s[8:9], exec, s[18:19]
; %bb.2770:                             ;   in Loop: Header=BB405_1323 Depth=1
	v_bfe_u32 v9, v6, 16, 1
	v_add3_u32 v9, v6, v9, s25
                                        ; implicit-def: $vgpr6
; %bb.2771:                             ;   in Loop: Header=BB405_1323 Depth=1
	s_andn2_saveexec_b64 s[18:19], s[8:9]
; %bb.2772:                             ;   in Loop: Header=BB405_1323 Depth=1
	v_or_b32_e32 v9, 0x10000, v6
	v_cmp_eq_u32_sdwa s[8:9], v6, v37 src0_sel:WORD_0 src1_sel:DWORD
	v_cndmask_b32_e64 v9, v9, v6, s[8:9]
; %bb.2773:                             ;   in Loop: Header=BB405_1323 Depth=1
	s_or_b64 exec, exec, s[18:19]
	v_lshrrev_b16_e32 v6, 8, v36
	v_cmp_ne_u16_e64 s[8:9], 0, v6
	v_mov_b32_e32 v10, 0
	s_and_saveexec_b64 s[18:19], s[8:9]
	s_cbranch_execz .LBB405_2779
; %bb.2774:                             ;   in Loop: Header=BB405_1323 Depth=1
	v_cmp_ne_u16_e64 s[8:9], s34, v6
	v_bfrev_b32_e32 v10, 1
	s_and_saveexec_b64 s[28:29], s[8:9]
	s_cbranch_execz .LBB405_2778
; %bb.2775:                             ;   in Loop: Header=BB405_1323 Depth=1
	v_and_b32_e32 v11, 0x7f, v6
	v_cmp_ne_u32_e64 s[8:9], s35, v11
	v_mov_b32_e32 v10, 0x7f800001
	s_and_saveexec_b64 s[30:31], s[8:9]
	s_cbranch_execz .LBB405_2777
; %bb.2776:                             ;   in Loop: Header=BB405_1323 Depth=1
	v_and_b32_e32 v16, 7, v6
	v_ffbh_u32_e32 v10, v16
	v_min_u32_e32 v26, 32, v10
	v_subrev_u32_e32 v10, 28, v26
	v_lshrrev_b32_e32 v22, 3, v11
	v_cmp_gt_u32_e64 s[8:9], 8, v11
	v_lshlrev_b64 v[10:11], v10, v[6:7]
	v_sub_u32_e32 v6, 29, v26
	v_and_b32_e32 v10, 7, v10
	v_cndmask_b32_e64 v6, v22, v6, s[8:9]
	v_cndmask_b32_e64 v10, v16, v10, s[8:9]
	v_lshlrev_b32_e32 v11, 16, v36
	v_lshlrev_b32_e32 v10, 20, v10
	v_and_b32_e32 v11, 0x80000000, v11
	v_lshl_add_u32 v6, v6, 23, v40
	v_or3_b32 v10, v11, v6, v10
.LBB405_2777:                           ;   in Loop: Header=BB405_1323 Depth=1
	s_or_b64 exec, exec, s[30:31]
.LBB405_2778:                           ;   in Loop: Header=BB405_1323 Depth=1
	s_or_b64 exec, exec, s[28:29]
.LBB405_2779:                           ;   in Loop: Header=BB405_1323 Depth=1
	s_or_b64 exec, exec, s[18:19]
	v_mul_f32_e32 v6, v23, v10
	v_and_b32_e32 v10, 0x7f800000, v6
	v_cmp_ne_u32_e64 s[8:9], s15, v10
                                        ; implicit-def: $vgpr10
	s_and_saveexec_b64 s[18:19], s[8:9]
	s_xor_b64 s[8:9], exec, s[18:19]
; %bb.2780:                             ;   in Loop: Header=BB405_1323 Depth=1
	v_bfe_u32 v10, v6, 16, 1
	v_add3_u32 v10, v6, v10, s25
                                        ; implicit-def: $vgpr6
; %bb.2781:                             ;   in Loop: Header=BB405_1323 Depth=1
	s_andn2_saveexec_b64 s[18:19], s[8:9]
; %bb.2782:                             ;   in Loop: Header=BB405_1323 Depth=1
	v_or_b32_e32 v10, 0x10000, v6
	v_cmp_eq_u32_sdwa s[8:9], v6, v37 src0_sel:WORD_0 src1_sel:DWORD
	v_cndmask_b32_e64 v10, v10, v6, s[8:9]
; %bb.2783:                             ;   in Loop: Header=BB405_1323 Depth=1
	s_or_b64 exec, exec, s[18:19]
	v_lshrrev_b32_e32 v6, 16, v3
	v_cmp_ne_u16_sdwa s[8:9], v6, v37 src0_sel:BYTE_0 src1_sel:DWORD
	v_mov_b32_e32 v11, 0
	s_and_saveexec_b64 s[18:19], s[8:9]
	s_cbranch_execz .LBB405_2789
; %bb.2784:                             ;   in Loop: Header=BB405_1323 Depth=1
	v_cmp_ne_u16_sdwa s[8:9], v6, s34 src0_sel:BYTE_0 src1_sel:DWORD
	v_bfrev_b32_e32 v11, 1
	s_and_saveexec_b64 s[28:29], s[8:9]
	s_cbranch_execz .LBB405_2788
; %bb.2785:                             ;   in Loop: Header=BB405_1323 Depth=1
	v_bfe_u32 v16, v3, 16, 7
	v_cmp_ne_u32_e64 s[8:9], s35, v16
	v_mov_b32_e32 v11, 0x7f800001
	s_and_saveexec_b64 s[30:31], s[8:9]
	s_cbranch_execz .LBB405_2787
; %bb.2786:                             ;   in Loop: Header=BB405_1323 Depth=1
	v_and_b32_e32 v11, 7, v6
	v_lshrrev_b32_e32 v22, 3, v16
	v_cmp_gt_u32_e64 s[8:9], 8, v16
	v_ffbh_u32_e32 v16, v11
	v_min_u32_e32 v16, 32, v16
	v_subrev_u32_e32 v26, 28, v16
	v_lshlrev_b64 v[26:27], v26, v[6:7]
	v_sub_u32_e32 v16, 29, v16
	v_and_b32_e32 v26, 7, v26
	v_cndmask_b32_e64 v16, v22, v16, s[8:9]
	v_cndmask_b32_e64 v11, v11, v26, s[8:9]
	v_lshlrev_b32_e32 v6, 24, v6
	v_lshlrev_b32_e32 v11, 20, v11
	v_and_b32_e32 v6, 0x80000000, v6
	v_lshl_add_u32 v16, v16, 23, v40
	v_or3_b32 v11, v6, v16, v11
.LBB405_2787:                           ;   in Loop: Header=BB405_1323 Depth=1
	s_or_b64 exec, exec, s[30:31]
.LBB405_2788:                           ;   in Loop: Header=BB405_1323 Depth=1
	s_or_b64 exec, exec, s[28:29]
.LBB405_2789:                           ;   in Loop: Header=BB405_1323 Depth=1
	s_or_b64 exec, exec, s[18:19]
	v_mul_f32_e32 v6, v23, v11
	v_and_b32_e32 v11, 0x7f800000, v6
	v_cmp_ne_u32_e64 s[8:9], s15, v11
                                        ; implicit-def: $vgpr11
	s_and_saveexec_b64 s[18:19], s[8:9]
	s_xor_b64 s[8:9], exec, s[18:19]
; %bb.2790:                             ;   in Loop: Header=BB405_1323 Depth=1
	v_bfe_u32 v11, v6, 16, 1
	v_add3_u32 v11, v6, v11, s25
                                        ; implicit-def: $vgpr6
; %bb.2791:                             ;   in Loop: Header=BB405_1323 Depth=1
	s_andn2_saveexec_b64 s[18:19], s[8:9]
; %bb.2792:                             ;   in Loop: Header=BB405_1323 Depth=1
	v_or_b32_e32 v11, 0x10000, v6
	v_cmp_eq_u32_sdwa s[8:9], v6, v37 src0_sel:WORD_0 src1_sel:DWORD
	v_cndmask_b32_e64 v11, v11, v6, s[8:9]
; %bb.2793:                             ;   in Loop: Header=BB405_1323 Depth=1
	s_or_b64 exec, exec, s[18:19]
	v_cmp_lt_u64_e64 s[8:9], s[12:13], v[2:3]
	v_mov_b32_e32 v6, 0
	s_and_saveexec_b64 s[18:19], s[8:9]
	s_cbranch_execz .LBB405_2799
; %bb.2794:                             ;   in Loop: Header=BB405_1323 Depth=1
	v_lshrrev_b32_e32 v2, 24, v3
	v_cmp_ne_u32_e64 s[8:9], s34, v2
	v_bfrev_b32_e32 v6, 1
	s_and_saveexec_b64 s[28:29], s[8:9]
	s_cbranch_execz .LBB405_2798
; %bb.2795:                             ;   in Loop: Header=BB405_1323 Depth=1
	v_bfe_u32 v3, v3, 24, 7
	v_cmp_ne_u32_e64 s[8:9], s35, v3
	v_mov_b32_e32 v6, 0x7f800001
	s_and_saveexec_b64 s[30:31], s[8:9]
	s_cbranch_execz .LBB405_2797
; %bb.2796:                             ;   in Loop: Header=BB405_1323 Depth=1
	v_and_b32_e32 v6, 7, v2
	v_lshrrev_b32_e32 v16, 3, v3
	v_cmp_gt_u32_e64 s[8:9], 8, v3
	v_ffbh_u32_e32 v3, v6
	v_min_u32_e32 v3, 32, v3
	v_subrev_u32_e32 v22, 28, v3
	v_lshlrev_b64 v[26:27], v22, v[2:3]
	v_sub_u32_e32 v3, 29, v3
	v_and_b32_e32 v22, 7, v26
	v_cndmask_b32_e64 v3, v16, v3, s[8:9]
	v_cndmask_b32_e64 v6, v6, v22, s[8:9]
	v_lshlrev_b32_e32 v2, 24, v2
	v_lshlrev_b32_e32 v6, 20, v6
	v_and_b32_e32 v2, 0x80000000, v2
	v_lshl_add_u32 v3, v3, 23, v40
	v_or3_b32 v6, v2, v3, v6
.LBB405_2797:                           ;   in Loop: Header=BB405_1323 Depth=1
	s_or_b64 exec, exec, s[30:31]
.LBB405_2798:                           ;   in Loop: Header=BB405_1323 Depth=1
	s_or_b64 exec, exec, s[28:29]
.LBB405_2799:                           ;   in Loop: Header=BB405_1323 Depth=1
	s_or_b64 exec, exec, s[18:19]
	v_mul_f32_e32 v3, v23, v6
	v_and_b32_e32 v2, 0x7f800000, v3
	v_cmp_ne_u32_e64 s[8:9], s15, v2
                                        ; implicit-def: $vgpr2
	s_and_saveexec_b64 s[18:19], s[8:9]
	s_xor_b64 s[8:9], exec, s[18:19]
; %bb.2800:                             ;   in Loop: Header=BB405_1323 Depth=1
	v_bfe_u32 v2, v3, 16, 1
	v_add3_u32 v2, v3, v2, s25
                                        ; implicit-def: $vgpr3
; %bb.2801:                             ;   in Loop: Header=BB405_1323 Depth=1
	s_andn2_saveexec_b64 s[18:19], s[8:9]
; %bb.2802:                             ;   in Loop: Header=BB405_1323 Depth=1
	v_or_b32_e32 v2, 0x10000, v3
	v_cmp_eq_u32_sdwa s[8:9], v3, v37 src0_sel:WORD_0 src1_sel:DWORD
	v_cndmask_b32_e64 v2, v2, v3, s[8:9]
; %bb.2803:                             ;   in Loop: Header=BB405_1323 Depth=1
	s_or_b64 exec, exec, s[18:19]
	v_lshrrev_b32_e32 v6, 16, v10
	v_lshrrev_b32_e32 v9, 16, v9
	;; [unrolled: 1-line block ×8, first 2 shown]
	s_and_saveexec_b64 s[18:19], vcc
	s_cbranch_execz .LBB405_2805
; %bb.2804:                             ;   in Loop: Header=BB405_1323 Depth=1
	v_accvgpr_read_b32 v10, a31
	v_cmp_lt_i32_e64 s[8:9], v10, v49
	v_accvgpr_read_b32 v10, a37
	v_cndmask_b32_e64 v7, 0, v7, s[8:9]
	v_cmp_lt_i32_e64 s[8:9], v10, v49
	v_accvgpr_read_b32 v10, a36
	v_cndmask_b32_e64 v5, 0, v5, s[8:9]
	;; [unrolled: 3-line block ×6, first 2 shown]
	v_cmp_lt_i32_e64 s[8:9], v10, v49
	v_cndmask_b32_e64 v3, 0, v3, s[8:9]
	v_cmp_lt_i32_e64 s[8:9], v17, v49
	v_cndmask_b32_e64 v2, 0, v2, s[8:9]
.LBB405_2805:                           ;   in Loop: Header=BB405_1323 Depth=1
	s_or_b64 exec, exec, s[18:19]
	v_lshlrev_b32_e32 v7, 16, v7
	v_accvgpr_read_b32 v10, a38
	v_mul_f32_e32 v7, v10, v7
	v_and_b32_e32 v10, 0x7f800000, v7
	v_cmp_ne_u32_e64 s[8:9], s15, v10
                                        ; implicit-def: $vgpr27
	s_and_saveexec_b64 s[18:19], s[8:9]
	s_xor_b64 s[8:9], exec, s[18:19]
; %bb.2806:                             ;   in Loop: Header=BB405_1323 Depth=1
	v_bfe_u32 v10, v7, 16, 1
	v_add3_u32 v27, v7, v10, s25
                                        ; implicit-def: $vgpr7
; %bb.2807:                             ;   in Loop: Header=BB405_1323 Depth=1
	s_andn2_saveexec_b64 s[18:19], s[8:9]
; %bb.2808:                             ;   in Loop: Header=BB405_1323 Depth=1
	v_or_b32_e32 v10, 0x10000, v7
	v_cmp_eq_u32_sdwa s[8:9], v7, v37 src0_sel:WORD_0 src1_sel:DWORD
	v_cndmask_b32_e64 v27, v10, v7, s[8:9]
; %bb.2809:                             ;   in Loop: Header=BB405_1323 Depth=1
	s_or_b64 exec, exec, s[18:19]
	v_lshlrev_b32_e32 v5, 16, v5
	v_mul_f32_e32 v5, v53, v5
	v_and_b32_e32 v7, 0x7f800000, v5
	v_cmp_ne_u32_e64 s[8:9], s15, v7
                                        ; implicit-def: $vgpr42
	s_and_saveexec_b64 s[18:19], s[8:9]
	s_xor_b64 s[8:9], exec, s[18:19]
; %bb.2810:                             ;   in Loop: Header=BB405_1323 Depth=1
	v_bfe_u32 v7, v5, 16, 1
	v_add3_u32 v42, v5, v7, s25
                                        ; implicit-def: $vgpr5
; %bb.2811:                             ;   in Loop: Header=BB405_1323 Depth=1
	s_andn2_saveexec_b64 s[18:19], s[8:9]
; %bb.2812:                             ;   in Loop: Header=BB405_1323 Depth=1
	v_or_b32_e32 v7, 0x10000, v5
	v_cmp_eq_u32_sdwa s[8:9], v5, v37 src0_sel:WORD_0 src1_sel:DWORD
	v_cndmask_b32_e64 v42, v7, v5, s[8:9]
; %bb.2813:                             ;   in Loop: Header=BB405_1323 Depth=1
	s_or_b64 exec, exec, s[18:19]
	v_lshlrev_b32_e32 v4, 16, v4
	v_mul_f32_e32 v4, v45, v4
	v_and_b32_e32 v5, 0x7f800000, v4
	v_cmp_ne_u32_e64 s[8:9], s15, v5
                                        ; implicit-def: $vgpr43
	s_and_saveexec_b64 s[18:19], s[8:9]
	s_xor_b64 s[8:9], exec, s[18:19]
; %bb.2814:                             ;   in Loop: Header=BB405_1323 Depth=1
	v_bfe_u32 v5, v4, 16, 1
	v_add3_u32 v43, v4, v5, s25
                                        ; implicit-def: $vgpr4
; %bb.2815:                             ;   in Loop: Header=BB405_1323 Depth=1
	s_andn2_saveexec_b64 s[18:19], s[8:9]
; %bb.2816:                             ;   in Loop: Header=BB405_1323 Depth=1
	v_or_b32_e32 v5, 0x10000, v4
	v_cmp_eq_u32_sdwa s[8:9], v4, v37 src0_sel:WORD_0 src1_sel:DWORD
	v_cndmask_b32_e64 v43, v5, v4, s[8:9]
; %bb.2817:                             ;   in Loop: Header=BB405_1323 Depth=1
	s_or_b64 exec, exec, s[18:19]
	v_lshlrev_b32_e32 v4, 16, v8
	v_mul_f32_e32 v4, v46, v4
	v_and_b32_e32 v5, 0x7f800000, v4
	v_cmp_ne_u32_e64 s[8:9], s15, v5
                                        ; implicit-def: $vgpr26
	s_and_saveexec_b64 s[18:19], s[8:9]
	s_xor_b64 s[8:9], exec, s[18:19]
; %bb.2818:                             ;   in Loop: Header=BB405_1323 Depth=1
	v_bfe_u32 v5, v4, 16, 1
	v_add3_u32 v26, v4, v5, s25
                                        ; implicit-def: $vgpr4
; %bb.2819:                             ;   in Loop: Header=BB405_1323 Depth=1
	s_andn2_saveexec_b64 s[18:19], s[8:9]
; %bb.2820:                             ;   in Loop: Header=BB405_1323 Depth=1
	v_or_b32_e32 v5, 0x10000, v4
	v_cmp_eq_u32_sdwa s[8:9], v4, v37 src0_sel:WORD_0 src1_sel:DWORD
	v_cndmask_b32_e64 v26, v5, v4, s[8:9]
; %bb.2821:                             ;   in Loop: Header=BB405_1323 Depth=1
	s_or_b64 exec, exec, s[18:19]
	v_lshlrev_b32_e32 v4, 16, v9
	v_mul_f32_e32 v4, v48, v4
	v_and_b32_e32 v5, 0x7f800000, v4
	v_accvgpr_write_b32 a42, v48
	v_cmp_ne_u32_e64 s[8:9], s15, v5
                                        ; implicit-def: $vgpr51
	s_and_saveexec_b64 s[18:19], s[8:9]
	s_xor_b64 s[8:9], exec, s[18:19]
; %bb.2822:                             ;   in Loop: Header=BB405_1323 Depth=1
	v_bfe_u32 v5, v4, 16, 1
	v_add3_u32 v51, v4, v5, s25
                                        ; implicit-def: $vgpr4
; %bb.2823:                             ;   in Loop: Header=BB405_1323 Depth=1
	s_andn2_saveexec_b64 s[18:19], s[8:9]
; %bb.2824:                             ;   in Loop: Header=BB405_1323 Depth=1
	v_or_b32_e32 v5, 0x10000, v4
	v_cmp_eq_u32_sdwa s[8:9], v4, v37 src0_sel:WORD_0 src1_sel:DWORD
	v_cndmask_b32_e64 v51, v5, v4, s[8:9]
; %bb.2825:                             ;   in Loop: Header=BB405_1323 Depth=1
	s_or_b64 exec, exec, s[18:19]
	v_lshlrev_b32_e32 v4, 16, v6
	v_mul_f32_e32 v4, v62, v4
	v_and_b32_e32 v5, 0x7f800000, v4
	v_cmp_ne_u32_e64 s[8:9], s15, v5
                                        ; implicit-def: $vgpr10
	s_and_saveexec_b64 s[18:19], s[8:9]
	s_xor_b64 s[8:9], exec, s[18:19]
; %bb.2826:                             ;   in Loop: Header=BB405_1323 Depth=1
	v_bfe_u32 v5, v4, 16, 1
	v_add3_u32 v10, v4, v5, s25
                                        ; implicit-def: $vgpr4
; %bb.2827:                             ;   in Loop: Header=BB405_1323 Depth=1
	s_andn2_saveexec_b64 s[18:19], s[8:9]
; %bb.2828:                             ;   in Loop: Header=BB405_1323 Depth=1
	v_or_b32_e32 v5, 0x10000, v4
	v_cmp_eq_u32_sdwa s[8:9], v4, v37 src0_sel:WORD_0 src1_sel:DWORD
	v_cndmask_b32_e64 v10, v5, v4, s[8:9]
; %bb.2829:                             ;   in Loop: Header=BB405_1323 Depth=1
	s_or_b64 exec, exec, s[18:19]
	v_lshlrev_b32_e32 v3, 16, v3
	v_mul_f32_e32 v3, v55, v3
	v_and_b32_e32 v4, 0x7f800000, v3
	v_cmp_ne_u32_e64 s[8:9], s15, v4
                                        ; implicit-def: $vgpr11
	s_and_saveexec_b64 s[18:19], s[8:9]
	s_xor_b64 s[8:9], exec, s[18:19]
; %bb.2830:                             ;   in Loop: Header=BB405_1323 Depth=1
	v_bfe_u32 v4, v3, 16, 1
	v_add3_u32 v11, v3, v4, s25
                                        ; implicit-def: $vgpr3
; %bb.2831:                             ;   in Loop: Header=BB405_1323 Depth=1
	s_andn2_saveexec_b64 s[18:19], s[8:9]
; %bb.2832:                             ;   in Loop: Header=BB405_1323 Depth=1
	v_or_b32_e32 v4, 0x10000, v3
	v_cmp_eq_u32_sdwa s[8:9], v3, v37 src0_sel:WORD_0 src1_sel:DWORD
	v_cndmask_b32_e64 v11, v4, v3, s[8:9]
; %bb.2833:                             ;   in Loop: Header=BB405_1323 Depth=1
	s_or_b64 exec, exec, s[18:19]
	v_lshlrev_b32_e32 v2, 16, v2
	v_mul_f32_e32 v2, v52, v2
	v_and_b32_e32 v3, 0x7f800000, v2
	v_cmp_ne_u32_e64 s[8:9], s15, v3
                                        ; implicit-def: $vgpr9
	s_and_saveexec_b64 s[18:19], s[8:9]
	s_xor_b64 s[8:9], exec, s[18:19]
; %bb.2834:                             ;   in Loop: Header=BB405_1323 Depth=1
	v_bfe_u32 v3, v2, 16, 1
	v_add3_u32 v9, v2, v3, s25
                                        ; implicit-def: $vgpr2
; %bb.2835:                             ;   in Loop: Header=BB405_1323 Depth=1
	s_andn2_saveexec_b64 s[18:19], s[8:9]
; %bb.2836:                             ;   in Loop: Header=BB405_1323 Depth=1
	v_or_b32_e32 v3, 0x10000, v2
	v_cmp_eq_u32_sdwa s[8:9], v2, v37 src0_sel:WORD_0 src1_sel:DWORD
	v_cndmask_b32_e64 v9, v3, v2, s[8:9]
; %bb.2837:                             ;   in Loop: Header=BB405_1323 Depth=1
	s_or_b64 exec, exec, s[18:19]
	buffer_load_dword v2, off, s[0:3], s32 offset:448 ; 4-byte Folded Reload
	buffer_load_dword v3, off, s[0:3], s32 offset:452 ; 4-byte Folded Reload
	v_mov_b32_e32 v4, 0
	s_waitcnt vmcnt(1)
	v_add_co_u32_e64 v2, s[8:9], v0, v2
	s_waitcnt vmcnt(0)
	v_addc_co_u32_e64 v3, s[8:9], 0, v1, s[8:9]
	flat_load_dwordx2 v[2:3], v[2:3]
	s_waitcnt vmcnt(0) lgkmcnt(0)
	v_cmp_ne_u16_sdwa s[8:9], v2, v37 src0_sel:BYTE_0 src1_sel:DWORD
	s_and_saveexec_b64 s[18:19], s[8:9]
	s_cbranch_execz .LBB405_2843
; %bb.2838:                             ;   in Loop: Header=BB405_1323 Depth=1
	v_cmp_ne_u16_sdwa s[8:9], v2, s34 src0_sel:BYTE_0 src1_sel:DWORD
	v_bfrev_b32_e32 v4, 1
	s_and_saveexec_b64 s[28:29], s[8:9]
	s_cbranch_execz .LBB405_2842
; %bb.2839:                             ;   in Loop: Header=BB405_1323 Depth=1
	v_and_b32_e32 v5, 0x7f, v2
	v_cmp_ne_u32_e64 s[8:9], s35, v5
	v_mov_b32_e32 v4, 0x7f800001
	s_and_saveexec_b64 s[30:31], s[8:9]
	s_cbranch_execz .LBB405_2841
; %bb.2840:                             ;   in Loop: Header=BB405_1323 Depth=1
	v_and_b32_e32 v4, 7, v2
	v_ffbh_u32_e32 v4, v4
	v_min_u32_e32 v4, 32, v4
	v_lshrrev_b32_e32 v6, 3, v5
	v_cmp_gt_u32_e64 s[8:9], 8, v5
	v_subrev_u32_e32 v5, 28, v4
	v_sub_u32_e32 v4, 29, v4
	v_cndmask_b32_e64 v6, v6, v4, s[8:9]
	v_cndmask_b32_e64 v4, 0, v5, s[8:9]
	v_lshlrev_b64 v[4:5], v4, v[2:3]
	v_lshlrev_b32_e32 v4, 20, v4
	v_lshlrev_b32_e32 v5, 24, v2
	v_and_b32_e32 v4, 0x700000, v4
	v_and_b32_e32 v5, 0x80000000, v5
	v_lshl_add_u32 v6, v6, 23, v40
	v_or3_b32 v4, v5, v6, v4
.LBB405_2841:                           ;   in Loop: Header=BB405_1323 Depth=1
	s_or_b64 exec, exec, s[30:31]
.LBB405_2842:                           ;   in Loop: Header=BB405_1323 Depth=1
	s_or_b64 exec, exec, s[28:29]
.LBB405_2843:                           ;   in Loop: Header=BB405_1323 Depth=1
	s_or_b64 exec, exec, s[18:19]
	v_mul_f32_e32 v4, v23, v4
	v_and_b32_e32 v5, 0x7f800000, v4
	v_cmp_ne_u32_e64 s[8:9], s15, v5
                                        ; implicit-def: $vgpr7
	s_and_saveexec_b64 s[18:19], s[8:9]
	s_xor_b64 s[8:9], exec, s[18:19]
; %bb.2844:                             ;   in Loop: Header=BB405_1323 Depth=1
	v_bfe_u32 v5, v4, 16, 1
	v_add3_u32 v7, v4, v5, s25
                                        ; implicit-def: $vgpr4
; %bb.2845:                             ;   in Loop: Header=BB405_1323 Depth=1
	s_andn2_saveexec_b64 s[18:19], s[8:9]
; %bb.2846:                             ;   in Loop: Header=BB405_1323 Depth=1
	v_or_b32_e32 v5, 0x10000, v4
	v_cmp_eq_u32_sdwa s[8:9], v4, v37 src0_sel:WORD_0 src1_sel:DWORD
	v_cndmask_b32_e64 v7, v5, v4, s[8:9]
; %bb.2847:                             ;   in Loop: Header=BB405_1323 Depth=1
	s_or_b64 exec, exec, s[18:19]
	v_lshrrev_b16_e32 v6, 8, v2
	v_cmp_ne_u16_e64 s[8:9], 0, v6
	v_mov_b32_e32 v4, 0
	s_and_saveexec_b64 s[18:19], s[8:9]
	s_cbranch_execz .LBB405_2853
; %bb.2848:                             ;   in Loop: Header=BB405_1323 Depth=1
	v_cmp_ne_u16_e64 s[8:9], s34, v6
	v_bfrev_b32_e32 v4, 1
	s_and_saveexec_b64 s[28:29], s[8:9]
	s_cbranch_execz .LBB405_2852
; %bb.2849:                             ;   in Loop: Header=BB405_1323 Depth=1
	v_and_b32_e32 v5, 0x7f, v6
	v_cmp_ne_u32_e64 s[8:9], s35, v5
	v_mov_b32_e32 v4, 0x7f800001
	s_and_saveexec_b64 s[30:31], s[8:9]
	s_cbranch_execz .LBB405_2851
; %bb.2850:                             ;   in Loop: Header=BB405_1323 Depth=1
	v_and_b32_e32 v8, 7, v6
	v_ffbh_u32_e32 v4, v8
	v_min_u32_e32 v22, 32, v4
	v_subrev_u32_e32 v4, 28, v22
	v_lshrrev_b32_e32 v16, 3, v5
	v_cmp_gt_u32_e64 s[8:9], 8, v5
	v_lshlrev_b64 v[4:5], v4, v[6:7]
	v_sub_u32_e32 v5, 29, v22
	v_and_b32_e32 v4, 7, v4
	v_cndmask_b32_e64 v5, v16, v5, s[8:9]
	v_cndmask_b32_e64 v4, v8, v4, s[8:9]
	v_lshlrev_b32_e32 v6, 16, v2
	v_lshlrev_b32_e32 v4, 20, v4
	v_and_b32_e32 v6, 0x80000000, v6
	v_lshl_add_u32 v5, v5, 23, v40
	v_or3_b32 v4, v6, v5, v4
.LBB405_2851:                           ;   in Loop: Header=BB405_1323 Depth=1
	s_or_b64 exec, exec, s[30:31]
.LBB405_2852:                           ;   in Loop: Header=BB405_1323 Depth=1
	s_or_b64 exec, exec, s[28:29]
.LBB405_2853:                           ;   in Loop: Header=BB405_1323 Depth=1
	s_or_b64 exec, exec, s[18:19]
	v_mul_f32_e32 v4, v23, v4
	v_and_b32_e32 v5, 0x7f800000, v4
	v_cmp_ne_u32_e64 s[8:9], s15, v5
                                        ; implicit-def: $vgpr5
	s_and_saveexec_b64 s[18:19], s[8:9]
	s_xor_b64 s[8:9], exec, s[18:19]
; %bb.2854:                             ;   in Loop: Header=BB405_1323 Depth=1
	v_bfe_u32 v5, v4, 16, 1
	v_add3_u32 v5, v4, v5, s25
                                        ; implicit-def: $vgpr4
; %bb.2855:                             ;   in Loop: Header=BB405_1323 Depth=1
	s_andn2_saveexec_b64 s[18:19], s[8:9]
; %bb.2856:                             ;   in Loop: Header=BB405_1323 Depth=1
	v_or_b32_e32 v5, 0x10000, v4
	v_cmp_eq_u32_sdwa s[8:9], v4, v37 src0_sel:WORD_0 src1_sel:DWORD
	v_cndmask_b32_e64 v5, v5, v4, s[8:9]
; %bb.2857:                             ;   in Loop: Header=BB405_1323 Depth=1
	s_or_b64 exec, exec, s[18:19]
	v_lshrrev_b32_e32 v6, 16, v2
	v_cmp_ne_u16_sdwa s[8:9], v6, v37 src0_sel:BYTE_0 src1_sel:DWORD
	v_mov_b32_e32 v4, 0
	s_and_saveexec_b64 s[18:19], s[8:9]
	s_cbranch_execz .LBB405_2863
; %bb.2858:                             ;   in Loop: Header=BB405_1323 Depth=1
	v_cmp_ne_u16_sdwa s[8:9], v6, s34 src0_sel:BYTE_0 src1_sel:DWORD
	v_bfrev_b32_e32 v4, 1
	s_and_saveexec_b64 s[28:29], s[8:9]
	s_cbranch_execz .LBB405_2862
; %bb.2859:                             ;   in Loop: Header=BB405_1323 Depth=1
	v_bfe_u32 v8, v2, 16, 7
	v_cmp_ne_u32_e64 s[8:9], s35, v8
	v_mov_b32_e32 v4, 0x7f800001
	s_and_saveexec_b64 s[30:31], s[8:9]
	s_cbranch_execz .LBB405_2861
; %bb.2860:                             ;   in Loop: Header=BB405_1323 Depth=1
	v_and_b32_e32 v4, 7, v6
	v_lshrrev_b32_e32 v16, 3, v8
	v_cmp_gt_u32_e64 s[8:9], 8, v8
	v_ffbh_u32_e32 v8, v4
	v_min_u32_e32 v8, 32, v8
	v_subrev_u32_e32 v22, 28, v8
	v_lshlrev_b64 v[38:39], v22, v[6:7]
	v_sub_u32_e32 v8, 29, v8
	v_and_b32_e32 v22, 7, v38
	v_cndmask_b32_e64 v8, v16, v8, s[8:9]
	v_cndmask_b32_e64 v4, v4, v22, s[8:9]
	v_lshlrev_b32_e32 v6, 24, v6
	v_lshlrev_b32_e32 v4, 20, v4
	v_and_b32_e32 v6, 0x80000000, v6
	v_lshl_add_u32 v8, v8, 23, v40
	v_or3_b32 v4, v6, v8, v4
.LBB405_2861:                           ;   in Loop: Header=BB405_1323 Depth=1
	s_or_b64 exec, exec, s[30:31]
.LBB405_2862:                           ;   in Loop: Header=BB405_1323 Depth=1
	s_or_b64 exec, exec, s[28:29]
.LBB405_2863:                           ;   in Loop: Header=BB405_1323 Depth=1
	s_or_b64 exec, exec, s[18:19]
	v_mul_f32_e32 v6, v23, v4
	v_and_b32_e32 v4, 0x7f800000, v6
	v_cmp_ne_u32_e64 s[8:9], s15, v4
                                        ; implicit-def: $vgpr4
	s_and_saveexec_b64 s[18:19], s[8:9]
	s_xor_b64 s[8:9], exec, s[18:19]
; %bb.2864:                             ;   in Loop: Header=BB405_1323 Depth=1
	v_bfe_u32 v4, v6, 16, 1
	v_add3_u32 v4, v6, v4, s25
                                        ; implicit-def: $vgpr6
; %bb.2865:                             ;   in Loop: Header=BB405_1323 Depth=1
	s_andn2_saveexec_b64 s[18:19], s[8:9]
; %bb.2866:                             ;   in Loop: Header=BB405_1323 Depth=1
	v_or_b32_e32 v4, 0x10000, v6
	v_cmp_eq_u32_sdwa s[8:9], v6, v37 src0_sel:WORD_0 src1_sel:DWORD
	v_cndmask_b32_e64 v4, v4, v6, s[8:9]
; %bb.2867:                             ;   in Loop: Header=BB405_1323 Depth=1
	s_or_b64 exec, exec, s[18:19]
	v_cmp_lt_u32_e64 s[8:9], s13, v2
	v_mov_b32_e32 v8, 0
	s_and_saveexec_b64 s[18:19], s[8:9]
	s_cbranch_execz .LBB405_2873
; %bb.2868:                             ;   in Loop: Header=BB405_1323 Depth=1
	v_lshrrev_b32_e32 v6, 24, v2
	v_cmp_ne_u32_e64 s[8:9], s34, v6
	v_bfrev_b32_e32 v8, 1
	s_and_saveexec_b64 s[28:29], s[8:9]
	s_cbranch_execz .LBB405_2872
; %bb.2869:                             ;   in Loop: Header=BB405_1323 Depth=1
	v_bfe_u32 v16, v2, 24, 7
	v_cmp_ne_u32_e64 s[8:9], s35, v16
	v_mov_b32_e32 v8, 0x7f800001
	s_and_saveexec_b64 s[30:31], s[8:9]
	s_cbranch_execz .LBB405_2871
; %bb.2870:                             ;   in Loop: Header=BB405_1323 Depth=1
	v_and_b32_e32 v8, 7, v6
	v_lshrrev_b32_e32 v22, 3, v16
	v_cmp_gt_u32_e64 s[8:9], 8, v16
	v_ffbh_u32_e32 v16, v8
	v_min_u32_e32 v16, 32, v16
	v_subrev_u32_e32 v36, 28, v16
	v_lshlrev_b64 v[38:39], v36, v[6:7]
	v_sub_u32_e32 v16, 29, v16
	v_and_b32_e32 v36, 7, v38
	v_cndmask_b32_e64 v16, v22, v16, s[8:9]
	v_cndmask_b32_e64 v8, v8, v36, s[8:9]
	v_lshlrev_b32_e32 v6, 24, v6
	v_lshlrev_b32_e32 v8, 20, v8
	v_and_b32_e32 v6, 0x80000000, v6
	v_lshl_add_u32 v16, v16, 23, v40
	v_or3_b32 v8, v6, v16, v8
.LBB405_2871:                           ;   in Loop: Header=BB405_1323 Depth=1
	s_or_b64 exec, exec, s[30:31]
.LBB405_2872:                           ;   in Loop: Header=BB405_1323 Depth=1
	s_or_b64 exec, exec, s[28:29]
.LBB405_2873:                           ;   in Loop: Header=BB405_1323 Depth=1
	s_or_b64 exec, exec, s[18:19]
	v_mul_f32_e32 v6, v23, v8
	v_and_b32_e32 v8, 0x7f800000, v6
	v_cmp_ne_u32_e64 s[8:9], s15, v8
                                        ; implicit-def: $vgpr8
	s_and_saveexec_b64 s[18:19], s[8:9]
	s_xor_b64 s[8:9], exec, s[18:19]
; %bb.2874:                             ;   in Loop: Header=BB405_1323 Depth=1
	v_bfe_u32 v8, v6, 16, 1
	v_add3_u32 v8, v6, v8, s25
                                        ; implicit-def: $vgpr6
; %bb.2875:                             ;   in Loop: Header=BB405_1323 Depth=1
	s_andn2_saveexec_b64 s[18:19], s[8:9]
; %bb.2876:                             ;   in Loop: Header=BB405_1323 Depth=1
	v_or_b32_e32 v8, 0x10000, v6
	v_cmp_eq_u32_sdwa s[8:9], v6, v37 src0_sel:WORD_0 src1_sel:DWORD
	v_cndmask_b32_e64 v8, v8, v6, s[8:9]
; %bb.2877:                             ;   in Loop: Header=BB405_1323 Depth=1
	s_or_b64 exec, exec, s[18:19]
	v_mov_b32_e32 v36, v3
	v_cmp_ne_u16_sdwa s[8:9], v3, v37 src0_sel:BYTE_0 src1_sel:DWORD
	v_mov_b32_e32 v6, 0
	s_and_saveexec_b64 s[18:19], s[8:9]
	s_cbranch_execz .LBB405_2883
; %bb.2878:                             ;   in Loop: Header=BB405_1323 Depth=1
	v_cmp_ne_u16_sdwa s[8:9], v3, s34 src0_sel:BYTE_0 src1_sel:DWORD
	v_bfrev_b32_e32 v6, 1
	s_and_saveexec_b64 s[28:29], s[8:9]
	s_cbranch_execz .LBB405_2882
; %bb.2879:                             ;   in Loop: Header=BB405_1323 Depth=1
	v_and_b32_e32 v16, 0x7f, v3
	v_cmp_ne_u32_e64 s[8:9], s35, v16
	v_mov_b32_e32 v6, 0x7f800001
	s_and_saveexec_b64 s[30:31], s[8:9]
	s_cbranch_execz .LBB405_2881
; %bb.2880:                             ;   in Loop: Header=BB405_1323 Depth=1
	v_and_b32_e32 v6, 7, v3
	v_ffbh_u32_e32 v6, v6
	v_min_u32_e32 v6, 32, v6
	v_lshrrev_b32_e32 v22, 3, v16
	v_cmp_gt_u32_e64 s[8:9], 8, v16
	v_subrev_u32_e32 v16, 28, v6
	v_cndmask_b32_e64 v16, 0, v16, s[8:9]
	v_sub_u32_e32 v6, 29, v6
	v_lshlrev_b64 v[38:39], v16, v[36:37]
	v_cndmask_b32_e64 v6, v22, v6, s[8:9]
	v_lshlrev_b32_e32 v16, 20, v38
	v_lshlrev_b32_e32 v22, 24, v36
	v_and_b32_e32 v16, 0x700000, v16
	v_and_b32_e32 v22, 0x80000000, v22
	v_lshl_add_u32 v6, v6, 23, v40
	v_or3_b32 v6, v22, v6, v16
.LBB405_2881:                           ;   in Loop: Header=BB405_1323 Depth=1
	s_or_b64 exec, exec, s[30:31]
.LBB405_2882:                           ;   in Loop: Header=BB405_1323 Depth=1
	s_or_b64 exec, exec, s[28:29]
.LBB405_2883:                           ;   in Loop: Header=BB405_1323 Depth=1
	s_or_b64 exec, exec, s[18:19]
	v_mul_f32_e32 v6, v23, v6
	v_and_b32_e32 v16, 0x7f800000, v6
	v_cmp_ne_u32_e64 s[8:9], s15, v16
                                        ; implicit-def: $vgpr16
	s_and_saveexec_b64 s[18:19], s[8:9]
	s_xor_b64 s[8:9], exec, s[18:19]
; %bb.2884:                             ;   in Loop: Header=BB405_1323 Depth=1
	v_bfe_u32 v16, v6, 16, 1
	v_add3_u32 v16, v6, v16, s25
                                        ; implicit-def: $vgpr6
; %bb.2885:                             ;   in Loop: Header=BB405_1323 Depth=1
	s_andn2_saveexec_b64 s[18:19], s[8:9]
; %bb.2886:                             ;   in Loop: Header=BB405_1323 Depth=1
	v_or_b32_e32 v16, 0x10000, v6
	v_cmp_eq_u32_sdwa s[8:9], v6, v37 src0_sel:WORD_0 src1_sel:DWORD
	v_cndmask_b32_e64 v16, v16, v6, s[8:9]
; %bb.2887:                             ;   in Loop: Header=BB405_1323 Depth=1
	s_or_b64 exec, exec, s[18:19]
	v_lshrrev_b16_e32 v6, 8, v36
	v_cmp_ne_u16_e64 s[8:9], 0, v6
	v_mov_b32_e32 v22, 0
	s_and_saveexec_b64 s[18:19], s[8:9]
	s_cbranch_execz .LBB405_2893
; %bb.2888:                             ;   in Loop: Header=BB405_1323 Depth=1
	v_cmp_ne_u16_e64 s[8:9], s34, v6
	v_bfrev_b32_e32 v22, 1
	s_and_saveexec_b64 s[28:29], s[8:9]
	s_cbranch_execz .LBB405_2892
; %bb.2889:                             ;   in Loop: Header=BB405_1323 Depth=1
	v_and_b32_e32 v38, 0x7f, v6
	v_cmp_ne_u32_e64 s[8:9], s35, v38
	v_mov_b32_e32 v22, 0x7f800001
	s_and_saveexec_b64 s[30:31], s[8:9]
	s_cbranch_execz .LBB405_2891
; %bb.2890:                             ;   in Loop: Header=BB405_1323 Depth=1
	v_and_b32_e32 v22, 7, v6
	v_lshrrev_b32_e32 v48, 3, v38
	v_cmp_gt_u32_e64 s[8:9], 8, v38
	v_ffbh_u32_e32 v38, v22
	v_min_u32_e32 v50, 32, v38
	v_subrev_u32_e32 v38, 28, v50
	v_lshlrev_b64 v[38:39], v38, v[6:7]
	v_sub_u32_e32 v6, 29, v50
	v_and_b32_e32 v38, 7, v38
	v_cndmask_b32_e64 v6, v48, v6, s[8:9]
	v_cndmask_b32_e64 v22, v22, v38, s[8:9]
	v_lshlrev_b32_e32 v36, 16, v36
	v_lshlrev_b32_e32 v22, 20, v22
	v_and_b32_e32 v36, 0x80000000, v36
	v_lshl_add_u32 v6, v6, 23, v40
	v_or3_b32 v22, v36, v6, v22
.LBB405_2891:                           ;   in Loop: Header=BB405_1323 Depth=1
	s_or_b64 exec, exec, s[30:31]
.LBB405_2892:                           ;   in Loop: Header=BB405_1323 Depth=1
	s_or_b64 exec, exec, s[28:29]
.LBB405_2893:                           ;   in Loop: Header=BB405_1323 Depth=1
	s_or_b64 exec, exec, s[18:19]
	v_mul_f32_e32 v6, v23, v22
	v_and_b32_e32 v22, 0x7f800000, v6
	v_cmp_ne_u32_e64 s[8:9], s15, v22
                                        ; implicit-def: $vgpr22
	s_and_saveexec_b64 s[18:19], s[8:9]
	s_xor_b64 s[8:9], exec, s[18:19]
; %bb.2894:                             ;   in Loop: Header=BB405_1323 Depth=1
	v_bfe_u32 v22, v6, 16, 1
	v_add3_u32 v22, v6, v22, s25
                                        ; implicit-def: $vgpr6
; %bb.2895:                             ;   in Loop: Header=BB405_1323 Depth=1
	s_andn2_saveexec_b64 s[18:19], s[8:9]
; %bb.2896:                             ;   in Loop: Header=BB405_1323 Depth=1
	v_or_b32_e32 v22, 0x10000, v6
	v_cmp_eq_u32_sdwa s[8:9], v6, v37 src0_sel:WORD_0 src1_sel:DWORD
	v_cndmask_b32_e64 v22, v22, v6, s[8:9]
; %bb.2897:                             ;   in Loop: Header=BB405_1323 Depth=1
	s_or_b64 exec, exec, s[18:19]
	v_lshrrev_b32_e32 v6, 16, v3
	v_cmp_ne_u16_sdwa s[8:9], v6, v37 src0_sel:BYTE_0 src1_sel:DWORD
	v_mov_b32_e32 v36, 0
	s_and_saveexec_b64 s[18:19], s[8:9]
	s_cbranch_execz .LBB405_2903
; %bb.2898:                             ;   in Loop: Header=BB405_1323 Depth=1
	v_cmp_ne_u16_sdwa s[8:9], v6, s34 src0_sel:BYTE_0 src1_sel:DWORD
	v_bfrev_b32_e32 v36, 1
	s_and_saveexec_b64 s[28:29], s[8:9]
	s_cbranch_execz .LBB405_2902
; %bb.2899:                             ;   in Loop: Header=BB405_1323 Depth=1
	v_bfe_u32 v38, v3, 16, 7
	v_cmp_ne_u32_e64 s[8:9], s35, v38
	v_mov_b32_e32 v36, 0x7f800001
	s_and_saveexec_b64 s[30:31], s[8:9]
	s_cbranch_execz .LBB405_2901
; %bb.2900:                             ;   in Loop: Header=BB405_1323 Depth=1
	v_and_b32_e32 v36, 7, v6
	v_lshrrev_b32_e32 v48, 3, v38
	v_cmp_gt_u32_e64 s[8:9], 8, v38
	v_ffbh_u32_e32 v38, v36
	v_min_u32_e32 v50, 32, v38
	v_subrev_u32_e32 v38, 28, v50
	v_lshlrev_b64 v[38:39], v38, v[6:7]
	v_sub_u32_e32 v39, 29, v50
	v_and_b32_e32 v38, 7, v38
	v_cndmask_b32_e64 v39, v48, v39, s[8:9]
	v_cndmask_b32_e64 v36, v36, v38, s[8:9]
	v_lshlrev_b32_e32 v6, 24, v6
	v_lshlrev_b32_e32 v36, 20, v36
	v_and_b32_e32 v6, 0x80000000, v6
	v_lshl_add_u32 v38, v39, 23, v40
	v_or3_b32 v36, v6, v38, v36
.LBB405_2901:                           ;   in Loop: Header=BB405_1323 Depth=1
	s_or_b64 exec, exec, s[30:31]
.LBB405_2902:                           ;   in Loop: Header=BB405_1323 Depth=1
	s_or_b64 exec, exec, s[28:29]
.LBB405_2903:                           ;   in Loop: Header=BB405_1323 Depth=1
	s_or_b64 exec, exec, s[18:19]
	v_mul_f32_e32 v6, v23, v36
	v_and_b32_e32 v36, 0x7f800000, v6
	v_cmp_ne_u32_e64 s[8:9], s15, v36
                                        ; implicit-def: $vgpr36
	s_and_saveexec_b64 s[18:19], s[8:9]
	s_xor_b64 s[8:9], exec, s[18:19]
; %bb.2904:                             ;   in Loop: Header=BB405_1323 Depth=1
	v_bfe_u32 v36, v6, 16, 1
	v_add3_u32 v36, v6, v36, s25
                                        ; implicit-def: $vgpr6
; %bb.2905:                             ;   in Loop: Header=BB405_1323 Depth=1
	s_andn2_saveexec_b64 s[18:19], s[8:9]
; %bb.2906:                             ;   in Loop: Header=BB405_1323 Depth=1
	v_or_b32_e32 v36, 0x10000, v6
	v_cmp_eq_u32_sdwa s[8:9], v6, v37 src0_sel:WORD_0 src1_sel:DWORD
	v_cndmask_b32_e64 v36, v36, v6, s[8:9]
; %bb.2907:                             ;   in Loop: Header=BB405_1323 Depth=1
	s_or_b64 exec, exec, s[18:19]
	v_cmp_lt_u64_e64 s[8:9], s[12:13], v[2:3]
	v_mov_b32_e32 v6, 0
	s_and_saveexec_b64 s[18:19], s[8:9]
	s_cbranch_execz .LBB405_2913
; %bb.2908:                             ;   in Loop: Header=BB405_1323 Depth=1
	v_lshrrev_b32_e32 v2, 24, v3
	v_cmp_ne_u32_e64 s[8:9], s34, v2
	v_bfrev_b32_e32 v6, 1
	s_and_saveexec_b64 s[28:29], s[8:9]
	s_cbranch_execz .LBB405_2912
; %bb.2909:                             ;   in Loop: Header=BB405_1323 Depth=1
	v_bfe_u32 v3, v3, 24, 7
	v_cmp_ne_u32_e64 s[8:9], s35, v3
	v_mov_b32_e32 v6, 0x7f800001
	s_and_saveexec_b64 s[30:31], s[8:9]
	s_cbranch_execz .LBB405_2911
; %bb.2910:                             ;   in Loop: Header=BB405_1323 Depth=1
	v_and_b32_e32 v6, 7, v2
	v_lshrrev_b32_e32 v48, 3, v3
	v_cmp_gt_u32_e64 s[8:9], 8, v3
	v_ffbh_u32_e32 v3, v6
	v_min_u32_e32 v3, 32, v3
	v_subrev_u32_e32 v38, 28, v3
	v_lshlrev_b64 v[38:39], v38, v[2:3]
	v_sub_u32_e32 v3, 29, v3
	v_and_b32_e32 v38, 7, v38
	v_cndmask_b32_e64 v3, v48, v3, s[8:9]
	v_cndmask_b32_e64 v6, v6, v38, s[8:9]
	v_lshlrev_b32_e32 v2, 24, v2
	v_lshlrev_b32_e32 v6, 20, v6
	v_and_b32_e32 v2, 0x80000000, v2
	v_lshl_add_u32 v3, v3, 23, v40
	v_or3_b32 v6, v2, v3, v6
.LBB405_2911:                           ;   in Loop: Header=BB405_1323 Depth=1
	s_or_b64 exec, exec, s[30:31]
.LBB405_2912:                           ;   in Loop: Header=BB405_1323 Depth=1
	s_or_b64 exec, exec, s[28:29]
.LBB405_2913:                           ;   in Loop: Header=BB405_1323 Depth=1
	s_or_b64 exec, exec, s[18:19]
	v_mul_f32_e32 v3, v23, v6
	v_and_b32_e32 v2, 0x7f800000, v3
	v_cmp_ne_u32_e64 s[8:9], s15, v2
                                        ; implicit-def: $vgpr2
	s_and_saveexec_b64 s[18:19], s[8:9]
	s_xor_b64 s[8:9], exec, s[18:19]
; %bb.2914:                             ;   in Loop: Header=BB405_1323 Depth=1
	v_bfe_u32 v2, v3, 16, 1
	v_add3_u32 v2, v3, v2, s25
                                        ; implicit-def: $vgpr3
; %bb.2915:                             ;   in Loop: Header=BB405_1323 Depth=1
	s_andn2_saveexec_b64 s[18:19], s[8:9]
; %bb.2916:                             ;   in Loop: Header=BB405_1323 Depth=1
	v_or_b32_e32 v2, 0x10000, v3
	v_cmp_eq_u32_sdwa s[8:9], v3, v37 src0_sel:WORD_0 src1_sel:DWORD
	v_cndmask_b32_e64 v2, v2, v3, s[8:9]
; %bb.2917:                             ;   in Loop: Header=BB405_1323 Depth=1
	s_or_b64 exec, exec, s[18:19]
	v_lshrrev_b32_e32 v6, 16, v22
	v_lshrrev_b32_e32 v16, 16, v16
	;; [unrolled: 1-line block ×8, first 2 shown]
	s_and_saveexec_b64 s[18:19], vcc
	s_cbranch_execz .LBB405_2919
; %bb.2918:                             ;   in Loop: Header=BB405_1323 Depth=1
	v_accvgpr_read_b32 v22, a31
	v_cmp_lt_i32_e64 s[8:9], v22, v49
	v_accvgpr_read_b32 v22, a37
	v_cndmask_b32_e64 v7, 0, v7, s[8:9]
	v_cmp_lt_i32_e64 s[8:9], v22, v49
	v_accvgpr_read_b32 v22, a36
	v_cndmask_b32_e64 v5, 0, v5, s[8:9]
	;; [unrolled: 3-line block ×6, first 2 shown]
	v_cmp_lt_i32_e64 s[8:9], v22, v49
	v_cndmask_b32_e64 v3, 0, v3, s[8:9]
	v_cmp_lt_i32_e64 s[8:9], v17, v49
	v_cndmask_b32_e64 v2, 0, v2, s[8:9]
.LBB405_2919:                           ;   in Loop: Header=BB405_1323 Depth=1
	s_or_b64 exec, exec, s[18:19]
	v_lshlrev_b32_e32 v7, 16, v7
	v_accvgpr_read_b32 v22, a38
	v_mul_f32_e32 v7, v22, v7
	v_and_b32_e32 v22, 0x7f800000, v7
	v_cmp_ne_u32_e64 s[8:9], s15, v22
                                        ; implicit-def: $vgpr22
	s_and_saveexec_b64 s[18:19], s[8:9]
	s_xor_b64 s[8:9], exec, s[18:19]
; %bb.2920:                             ;   in Loop: Header=BB405_1323 Depth=1
	v_bfe_u32 v22, v7, 16, 1
	v_add3_u32 v22, v7, v22, s25
                                        ; implicit-def: $vgpr7
; %bb.2921:                             ;   in Loop: Header=BB405_1323 Depth=1
	s_andn2_saveexec_b64 s[18:19], s[8:9]
; %bb.2922:                             ;   in Loop: Header=BB405_1323 Depth=1
	v_or_b32_e32 v22, 0x10000, v7
	v_cmp_eq_u32_sdwa s[8:9], v7, v37 src0_sel:WORD_0 src1_sel:DWORD
	v_cndmask_b32_e64 v22, v22, v7, s[8:9]
; %bb.2923:                             ;   in Loop: Header=BB405_1323 Depth=1
	s_or_b64 exec, exec, s[18:19]
	v_lshlrev_b32_e32 v5, 16, v5
	v_mul_f32_e32 v5, v53, v5
	v_and_b32_e32 v7, 0x7f800000, v5
	v_accvgpr_write_b32 a39, v53
	v_cmp_ne_u32_e64 s[8:9], s15, v7
                                        ; implicit-def: $vgpr47
	s_and_saveexec_b64 s[18:19], s[8:9]
	s_xor_b64 s[8:9], exec, s[18:19]
; %bb.2924:                             ;   in Loop: Header=BB405_1323 Depth=1
	v_bfe_u32 v7, v5, 16, 1
	v_add3_u32 v47, v5, v7, s25
                                        ; implicit-def: $vgpr5
; %bb.2925:                             ;   in Loop: Header=BB405_1323 Depth=1
	s_andn2_saveexec_b64 s[18:19], s[8:9]
; %bb.2926:                             ;   in Loop: Header=BB405_1323 Depth=1
	v_or_b32_e32 v7, 0x10000, v5
	v_cmp_eq_u32_sdwa s[8:9], v5, v37 src0_sel:WORD_0 src1_sel:DWORD
	v_cndmask_b32_e64 v47, v7, v5, s[8:9]
; %bb.2927:                             ;   in Loop: Header=BB405_1323 Depth=1
	s_or_b64 exec, exec, s[18:19]
	v_lshlrev_b32_e32 v4, 16, v4
	v_mul_f32_e32 v4, v45, v4
	v_and_b32_e32 v5, 0x7f800000, v4
	v_cmp_ne_u32_e64 s[8:9], s15, v5
                                        ; implicit-def: $vgpr56
	s_and_saveexec_b64 s[18:19], s[8:9]
	s_xor_b64 s[8:9], exec, s[18:19]
; %bb.2928:                             ;   in Loop: Header=BB405_1323 Depth=1
	v_bfe_u32 v5, v4, 16, 1
	v_add3_u32 v56, v4, v5, s25
                                        ; implicit-def: $vgpr4
; %bb.2929:                             ;   in Loop: Header=BB405_1323 Depth=1
	s_andn2_saveexec_b64 s[18:19], s[8:9]
; %bb.2930:                             ;   in Loop: Header=BB405_1323 Depth=1
	v_or_b32_e32 v5, 0x10000, v4
	v_cmp_eq_u32_sdwa s[8:9], v4, v37 src0_sel:WORD_0 src1_sel:DWORD
	v_cndmask_b32_e64 v56, v5, v4, s[8:9]
; %bb.2931:                             ;   in Loop: Header=BB405_1323 Depth=1
	s_or_b64 exec, exec, s[18:19]
	v_lshlrev_b32_e32 v4, 16, v8
	v_mul_f32_e32 v4, v46, v4
	v_and_b32_e32 v5, 0x7f800000, v4
	v_cmp_ne_u32_e64 s[8:9], s15, v5
                                        ; implicit-def: $vgpr7
	s_and_saveexec_b64 s[18:19], s[8:9]
	s_xor_b64 s[8:9], exec, s[18:19]
; %bb.2932:                             ;   in Loop: Header=BB405_1323 Depth=1
	v_bfe_u32 v5, v4, 16, 1
	v_add3_u32 v7, v4, v5, s25
                                        ; implicit-def: $vgpr4
; %bb.2933:                             ;   in Loop: Header=BB405_1323 Depth=1
	s_andn2_saveexec_b64 s[18:19], s[8:9]
; %bb.2934:                             ;   in Loop: Header=BB405_1323 Depth=1
	v_or_b32_e32 v5, 0x10000, v4
	v_cmp_eq_u32_sdwa s[8:9], v4, v37 src0_sel:WORD_0 src1_sel:DWORD
	v_cndmask_b32_e64 v7, v5, v4, s[8:9]
; %bb.2935:                             ;   in Loop: Header=BB405_1323 Depth=1
	s_or_b64 exec, exec, s[18:19]
	v_lshlrev_b32_e32 v4, 16, v16
	v_accvgpr_read_b32 v5, a42
	v_mul_f32_e32 v4, v5, v4
	v_and_b32_e32 v5, 0x7f800000, v4
	v_cmp_ne_u32_e64 s[8:9], s15, v5
                                        ; implicit-def: $vgpr8
	s_and_saveexec_b64 s[18:19], s[8:9]
	s_xor_b64 s[8:9], exec, s[18:19]
; %bb.2936:                             ;   in Loop: Header=BB405_1323 Depth=1
	v_bfe_u32 v5, v4, 16, 1
	v_add3_u32 v8, v4, v5, s25
                                        ; implicit-def: $vgpr4
; %bb.2937:                             ;   in Loop: Header=BB405_1323 Depth=1
	s_andn2_saveexec_b64 s[18:19], s[8:9]
; %bb.2938:                             ;   in Loop: Header=BB405_1323 Depth=1
	v_or_b32_e32 v5, 0x10000, v4
	v_cmp_eq_u32_sdwa s[8:9], v4, v37 src0_sel:WORD_0 src1_sel:DWORD
	v_cndmask_b32_e64 v8, v5, v4, s[8:9]
; %bb.2939:                             ;   in Loop: Header=BB405_1323 Depth=1
	s_or_b64 exec, exec, s[18:19]
	v_lshlrev_b32_e32 v4, 16, v6
	v_mul_f32_e32 v4, v62, v4
	v_and_b32_e32 v5, 0x7f800000, v4
	v_cmp_ne_u32_e64 s[8:9], s15, v5
                                        ; implicit-def: $vgpr57
	s_and_saveexec_b64 s[18:19], s[8:9]
	s_xor_b64 s[8:9], exec, s[18:19]
; %bb.2940:                             ;   in Loop: Header=BB405_1323 Depth=1
	v_bfe_u32 v5, v4, 16, 1
	v_add3_u32 v57, v4, v5, s25
                                        ; implicit-def: $vgpr4
; %bb.2941:                             ;   in Loop: Header=BB405_1323 Depth=1
	s_andn2_saveexec_b64 s[18:19], s[8:9]
; %bb.2942:                             ;   in Loop: Header=BB405_1323 Depth=1
	v_or_b32_e32 v5, 0x10000, v4
	v_cmp_eq_u32_sdwa s[8:9], v4, v37 src0_sel:WORD_0 src1_sel:DWORD
	v_cndmask_b32_e64 v57, v5, v4, s[8:9]
; %bb.2943:                             ;   in Loop: Header=BB405_1323 Depth=1
	s_or_b64 exec, exec, s[18:19]
	v_lshlrev_b32_e32 v3, 16, v3
	v_mul_f32_e32 v3, v55, v3
	v_and_b32_e32 v4, 0x7f800000, v3
	v_accvgpr_write_b32 a44, v55
	v_cmp_ne_u32_e64 s[8:9], s15, v4
                                        ; implicit-def: $vgpr58
	s_and_saveexec_b64 s[18:19], s[8:9]
	s_xor_b64 s[8:9], exec, s[18:19]
; %bb.2944:                             ;   in Loop: Header=BB405_1323 Depth=1
	v_bfe_u32 v4, v3, 16, 1
	v_add3_u32 v58, v3, v4, s25
                                        ; implicit-def: $vgpr3
; %bb.2945:                             ;   in Loop: Header=BB405_1323 Depth=1
	s_andn2_saveexec_b64 s[18:19], s[8:9]
; %bb.2946:                             ;   in Loop: Header=BB405_1323 Depth=1
	v_or_b32_e32 v4, 0x10000, v3
	v_cmp_eq_u32_sdwa s[8:9], v3, v37 src0_sel:WORD_0 src1_sel:DWORD
	v_cndmask_b32_e64 v58, v4, v3, s[8:9]
; %bb.2947:                             ;   in Loop: Header=BB405_1323 Depth=1
	s_or_b64 exec, exec, s[18:19]
	v_lshlrev_b32_e32 v2, 16, v2
	v_mul_f32_e32 v2, v52, v2
	v_and_b32_e32 v3, 0x7f800000, v2
	v_cmp_ne_u32_e64 s[8:9], s15, v3
                                        ; implicit-def: $vgpr59
	s_and_saveexec_b64 s[18:19], s[8:9]
	s_xor_b64 s[8:9], exec, s[18:19]
; %bb.2948:                             ;   in Loop: Header=BB405_1323 Depth=1
	v_bfe_u32 v3, v2, 16, 1
	v_add3_u32 v59, v2, v3, s25
                                        ; implicit-def: $vgpr2
; %bb.2949:                             ;   in Loop: Header=BB405_1323 Depth=1
	s_andn2_saveexec_b64 s[18:19], s[8:9]
; %bb.2950:                             ;   in Loop: Header=BB405_1323 Depth=1
	v_or_b32_e32 v3, 0x10000, v2
	v_cmp_eq_u32_sdwa s[8:9], v2, v37 src0_sel:WORD_0 src1_sel:DWORD
	v_cndmask_b32_e64 v59, v3, v2, s[8:9]
; %bb.2951:                             ;   in Loop: Header=BB405_1323 Depth=1
	s_or_b64 exec, exec, s[18:19]
	buffer_load_dword v2, off, s[0:3], s32 offset:464 ; 4-byte Folded Reload
	buffer_load_dword v3, off, s[0:3], s32 offset:468 ; 4-byte Folded Reload
	v_mov_b32_e32 v4, 0
	s_waitcnt vmcnt(1)
	v_add_co_u32_e64 v2, s[8:9], v0, v2
	s_waitcnt vmcnt(0)
	v_addc_co_u32_e64 v3, s[8:9], 0, v1, s[8:9]
	flat_load_dwordx2 v[2:3], v[2:3]
	s_waitcnt vmcnt(0) lgkmcnt(0)
	v_cmp_ne_u16_sdwa s[8:9], v2, v37 src0_sel:BYTE_0 src1_sel:DWORD
	s_and_saveexec_b64 s[18:19], s[8:9]
	s_cbranch_execz .LBB405_2957
; %bb.2952:                             ;   in Loop: Header=BB405_1323 Depth=1
	v_cmp_ne_u16_sdwa s[8:9], v2, s34 src0_sel:BYTE_0 src1_sel:DWORD
	v_bfrev_b32_e32 v4, 1
	s_and_saveexec_b64 s[28:29], s[8:9]
	s_cbranch_execz .LBB405_2956
; %bb.2953:                             ;   in Loop: Header=BB405_1323 Depth=1
	v_and_b32_e32 v5, 0x7f, v2
	v_cmp_ne_u32_e64 s[8:9], s35, v5
	v_mov_b32_e32 v4, 0x7f800001
	s_and_saveexec_b64 s[30:31], s[8:9]
	s_cbranch_execz .LBB405_2955
; %bb.2954:                             ;   in Loop: Header=BB405_1323 Depth=1
	v_and_b32_e32 v4, 7, v2
	v_ffbh_u32_e32 v4, v4
	v_min_u32_e32 v4, 32, v4
	v_lshrrev_b32_e32 v6, 3, v5
	v_cmp_gt_u32_e64 s[8:9], 8, v5
	v_subrev_u32_e32 v5, 28, v4
	v_sub_u32_e32 v4, 29, v4
	v_cndmask_b32_e64 v6, v6, v4, s[8:9]
	v_cndmask_b32_e64 v4, 0, v5, s[8:9]
	v_lshlrev_b64 v[4:5], v4, v[2:3]
	v_lshlrev_b32_e32 v4, 20, v4
	v_lshlrev_b32_e32 v5, 24, v2
	v_and_b32_e32 v4, 0x700000, v4
	v_and_b32_e32 v5, 0x80000000, v5
	v_lshl_add_u32 v6, v6, 23, v40
	v_or3_b32 v4, v5, v6, v4
.LBB405_2955:                           ;   in Loop: Header=BB405_1323 Depth=1
	s_or_b64 exec, exec, s[30:31]
.LBB405_2956:                           ;   in Loop: Header=BB405_1323 Depth=1
	s_or_b64 exec, exec, s[28:29]
.LBB405_2957:                           ;   in Loop: Header=BB405_1323 Depth=1
	s_or_b64 exec, exec, s[18:19]
	v_mul_f32_e32 v4, v23, v4
	v_and_b32_e32 v5, 0x7f800000, v4
	v_cmp_ne_u32_e64 s[8:9], s15, v5
                                        ; implicit-def: $vgpr16
	s_and_saveexec_b64 s[18:19], s[8:9]
	s_xor_b64 s[8:9], exec, s[18:19]
; %bb.2958:                             ;   in Loop: Header=BB405_1323 Depth=1
	v_bfe_u32 v5, v4, 16, 1
	v_add3_u32 v16, v4, v5, s25
                                        ; implicit-def: $vgpr4
; %bb.2959:                             ;   in Loop: Header=BB405_1323 Depth=1
	s_andn2_saveexec_b64 s[18:19], s[8:9]
; %bb.2960:                             ;   in Loop: Header=BB405_1323 Depth=1
	v_or_b32_e32 v5, 0x10000, v4
	v_cmp_eq_u32_sdwa s[8:9], v4, v37 src0_sel:WORD_0 src1_sel:DWORD
	v_cndmask_b32_e64 v16, v5, v4, s[8:9]
; %bb.2961:                             ;   in Loop: Header=BB405_1323 Depth=1
	s_or_b64 exec, exec, s[18:19]
	v_lshrrev_b16_e32 v6, 8, v2
	v_cmp_ne_u16_e64 s[8:9], 0, v6
	v_mov_b32_e32 v4, 0
	s_and_saveexec_b64 s[18:19], s[8:9]
	s_cbranch_execz .LBB405_2967
; %bb.2962:                             ;   in Loop: Header=BB405_1323 Depth=1
	v_cmp_ne_u16_e64 s[8:9], s34, v6
	v_bfrev_b32_e32 v4, 1
	s_and_saveexec_b64 s[28:29], s[8:9]
	s_cbranch_execz .LBB405_2966
; %bb.2963:                             ;   in Loop: Header=BB405_1323 Depth=1
	v_and_b32_e32 v5, 0x7f, v6
	v_cmp_ne_u32_e64 s[8:9], s35, v5
	v_mov_b32_e32 v4, 0x7f800001
	s_and_saveexec_b64 s[30:31], s[8:9]
	s_cbranch_execz .LBB405_2965
; %bb.2964:                             ;   in Loop: Header=BB405_1323 Depth=1
	v_and_b32_e32 v36, 7, v6
	v_ffbh_u32_e32 v4, v36
	v_min_u32_e32 v39, 32, v4
	v_subrev_u32_e32 v4, 28, v39
	v_lshrrev_b32_e32 v38, 3, v5
	v_cmp_gt_u32_e64 s[8:9], 8, v5
	v_lshlrev_b64 v[4:5], v4, v[6:7]
	v_sub_u32_e32 v5, 29, v39
	v_and_b32_e32 v4, 7, v4
	v_cndmask_b32_e64 v5, v38, v5, s[8:9]
	v_cndmask_b32_e64 v4, v36, v4, s[8:9]
	v_lshlrev_b32_e32 v6, 16, v2
	v_lshlrev_b32_e32 v4, 20, v4
	v_and_b32_e32 v6, 0x80000000, v6
	v_lshl_add_u32 v5, v5, 23, v40
	v_or3_b32 v4, v6, v5, v4
.LBB405_2965:                           ;   in Loop: Header=BB405_1323 Depth=1
	s_or_b64 exec, exec, s[30:31]
.LBB405_2966:                           ;   in Loop: Header=BB405_1323 Depth=1
	s_or_b64 exec, exec, s[28:29]
.LBB405_2967:                           ;   in Loop: Header=BB405_1323 Depth=1
	s_or_b64 exec, exec, s[18:19]
	v_mul_f32_e32 v4, v23, v4
	v_and_b32_e32 v5, 0x7f800000, v4
	v_cmp_ne_u32_e64 s[8:9], s15, v5
                                        ; implicit-def: $vgpr5
	s_and_saveexec_b64 s[18:19], s[8:9]
	s_xor_b64 s[8:9], exec, s[18:19]
; %bb.2968:                             ;   in Loop: Header=BB405_1323 Depth=1
	v_bfe_u32 v5, v4, 16, 1
	v_add3_u32 v5, v4, v5, s25
                                        ; implicit-def: $vgpr4
; %bb.2969:                             ;   in Loop: Header=BB405_1323 Depth=1
	s_andn2_saveexec_b64 s[18:19], s[8:9]
; %bb.2970:                             ;   in Loop: Header=BB405_1323 Depth=1
	v_or_b32_e32 v5, 0x10000, v4
	v_cmp_eq_u32_sdwa s[8:9], v4, v37 src0_sel:WORD_0 src1_sel:DWORD
	v_cndmask_b32_e64 v5, v5, v4, s[8:9]
; %bb.2971:                             ;   in Loop: Header=BB405_1323 Depth=1
	s_or_b64 exec, exec, s[18:19]
	v_lshrrev_b32_e32 v6, 16, v2
	v_cmp_ne_u16_sdwa s[8:9], v6, v37 src0_sel:BYTE_0 src1_sel:DWORD
	v_mov_b32_e32 v4, 0
	s_and_saveexec_b64 s[18:19], s[8:9]
	s_cbranch_execz .LBB405_2977
; %bb.2972:                             ;   in Loop: Header=BB405_1323 Depth=1
	v_cmp_ne_u16_sdwa s[8:9], v6, s34 src0_sel:BYTE_0 src1_sel:DWORD
	v_bfrev_b32_e32 v4, 1
	s_and_saveexec_b64 s[28:29], s[8:9]
	s_cbranch_execz .LBB405_2976
; %bb.2973:                             ;   in Loop: Header=BB405_1323 Depth=1
	v_bfe_u32 v36, v2, 16, 7
	v_cmp_ne_u32_e64 s[8:9], s35, v36
	v_mov_b32_e32 v4, 0x7f800001
	s_and_saveexec_b64 s[30:31], s[8:9]
	s_cbranch_execz .LBB405_2975
; %bb.2974:                             ;   in Loop: Header=BB405_1323 Depth=1
	v_and_b32_e32 v4, 7, v6
	v_lshrrev_b32_e32 v48, 3, v36
	v_cmp_gt_u32_e64 s[8:9], 8, v36
	v_ffbh_u32_e32 v36, v4
	v_min_u32_e32 v36, 32, v36
	v_subrev_u32_e32 v38, 28, v36
	v_lshlrev_b64 v[38:39], v38, v[6:7]
	v_sub_u32_e32 v36, 29, v36
	v_and_b32_e32 v38, 7, v38
	v_cndmask_b32_e64 v36, v48, v36, s[8:9]
	v_cndmask_b32_e64 v4, v4, v38, s[8:9]
	v_lshlrev_b32_e32 v6, 24, v6
	v_lshlrev_b32_e32 v4, 20, v4
	v_and_b32_e32 v6, 0x80000000, v6
	v_lshl_add_u32 v36, v36, 23, v40
	v_or3_b32 v4, v6, v36, v4
.LBB405_2975:                           ;   in Loop: Header=BB405_1323 Depth=1
	s_or_b64 exec, exec, s[30:31]
.LBB405_2976:                           ;   in Loop: Header=BB405_1323 Depth=1
	s_or_b64 exec, exec, s[28:29]
.LBB405_2977:                           ;   in Loop: Header=BB405_1323 Depth=1
	s_or_b64 exec, exec, s[18:19]
	v_mul_f32_e32 v6, v23, v4
	v_and_b32_e32 v4, 0x7f800000, v6
	v_cmp_ne_u32_e64 s[8:9], s15, v4
                                        ; implicit-def: $vgpr4
	s_and_saveexec_b64 s[18:19], s[8:9]
	s_xor_b64 s[8:9], exec, s[18:19]
; %bb.2978:                             ;   in Loop: Header=BB405_1323 Depth=1
	v_bfe_u32 v4, v6, 16, 1
	v_add3_u32 v4, v6, v4, s25
                                        ; implicit-def: $vgpr6
; %bb.2979:                             ;   in Loop: Header=BB405_1323 Depth=1
	s_andn2_saveexec_b64 s[18:19], s[8:9]
; %bb.2980:                             ;   in Loop: Header=BB405_1323 Depth=1
	v_or_b32_e32 v4, 0x10000, v6
	v_cmp_eq_u32_sdwa s[8:9], v6, v37 src0_sel:WORD_0 src1_sel:DWORD
	v_cndmask_b32_e64 v4, v4, v6, s[8:9]
; %bb.2981:                             ;   in Loop: Header=BB405_1323 Depth=1
	s_or_b64 exec, exec, s[18:19]
	v_cmp_lt_u32_e64 s[8:9], s13, v2
	v_mov_b32_e32 v36, 0
	s_and_saveexec_b64 s[18:19], s[8:9]
	s_cbranch_execz .LBB405_2987
; %bb.2982:                             ;   in Loop: Header=BB405_1323 Depth=1
	v_lshrrev_b32_e32 v6, 24, v2
	v_cmp_ne_u32_e64 s[8:9], s34, v6
	v_bfrev_b32_e32 v36, 1
	s_and_saveexec_b64 s[28:29], s[8:9]
	s_cbranch_execz .LBB405_2986
; %bb.2983:                             ;   in Loop: Header=BB405_1323 Depth=1
	v_bfe_u32 v38, v2, 24, 7
	v_cmp_ne_u32_e64 s[8:9], s35, v38
	v_mov_b32_e32 v36, 0x7f800001
	s_and_saveexec_b64 s[30:31], s[8:9]
	s_cbranch_execz .LBB405_2985
; %bb.2984:                             ;   in Loop: Header=BB405_1323 Depth=1
	v_and_b32_e32 v36, 7, v6
	v_lshrrev_b32_e32 v48, 3, v38
	v_cmp_gt_u32_e64 s[8:9], 8, v38
	v_ffbh_u32_e32 v38, v36
	v_min_u32_e32 v50, 32, v38
	v_subrev_u32_e32 v38, 28, v50
	v_lshlrev_b64 v[38:39], v38, v[6:7]
	v_sub_u32_e32 v39, 29, v50
	v_and_b32_e32 v38, 7, v38
	v_cndmask_b32_e64 v39, v48, v39, s[8:9]
	v_cndmask_b32_e64 v36, v36, v38, s[8:9]
	v_lshlrev_b32_e32 v6, 24, v6
	v_lshlrev_b32_e32 v36, 20, v36
	v_and_b32_e32 v6, 0x80000000, v6
	v_lshl_add_u32 v38, v39, 23, v40
	v_or3_b32 v36, v6, v38, v36
.LBB405_2985:                           ;   in Loop: Header=BB405_1323 Depth=1
	s_or_b64 exec, exec, s[30:31]
.LBB405_2986:                           ;   in Loop: Header=BB405_1323 Depth=1
	s_or_b64 exec, exec, s[28:29]
.LBB405_2987:                           ;   in Loop: Header=BB405_1323 Depth=1
	s_or_b64 exec, exec, s[18:19]
	v_mul_f32_e32 v6, v23, v36
	v_and_b32_e32 v36, 0x7f800000, v6
	v_cmp_ne_u32_e64 s[8:9], s15, v36
                                        ; implicit-def: $vgpr39
	s_and_saveexec_b64 s[18:19], s[8:9]
	s_xor_b64 s[8:9], exec, s[18:19]
; %bb.2988:                             ;   in Loop: Header=BB405_1323 Depth=1
	v_bfe_u32 v36, v6, 16, 1
	v_add3_u32 v39, v6, v36, s25
                                        ; implicit-def: $vgpr6
; %bb.2989:                             ;   in Loop: Header=BB405_1323 Depth=1
	s_andn2_saveexec_b64 s[18:19], s[8:9]
; %bb.2990:                             ;   in Loop: Header=BB405_1323 Depth=1
	v_or_b32_e32 v36, 0x10000, v6
	v_cmp_eq_u32_sdwa s[8:9], v6, v37 src0_sel:WORD_0 src1_sel:DWORD
	v_cndmask_b32_e64 v39, v36, v6, s[8:9]
; %bb.2991:                             ;   in Loop: Header=BB405_1323 Depth=1
	s_or_b64 exec, exec, s[18:19]
	v_mov_b32_e32 v36, v3
	v_cmp_ne_u16_sdwa s[8:9], v3, v37 src0_sel:BYTE_0 src1_sel:DWORD
	v_mov_b32_e32 v6, 0
	s_and_saveexec_b64 s[18:19], s[8:9]
	s_cbranch_execz .LBB405_2997
; %bb.2992:                             ;   in Loop: Header=BB405_1323 Depth=1
	v_cmp_ne_u16_sdwa s[8:9], v3, s34 src0_sel:BYTE_0 src1_sel:DWORD
	v_bfrev_b32_e32 v6, 1
	s_and_saveexec_b64 s[28:29], s[8:9]
	s_cbranch_execz .LBB405_2996
; %bb.2993:                             ;   in Loop: Header=BB405_1323 Depth=1
	v_and_b32_e32 v38, 0x7f, v3
	v_cmp_ne_u32_e64 s[8:9], s35, v38
	v_mov_b32_e32 v6, 0x7f800001
	s_and_saveexec_b64 s[30:31], s[8:9]
	s_cbranch_execz .LBB405_2995
; %bb.2994:                             ;   in Loop: Header=BB405_1323 Depth=1
	v_and_b32_e32 v6, 7, v3
	v_ffbh_u32_e32 v6, v6
	v_min_u32_e32 v6, 32, v6
	v_lshrrev_b32_e32 v48, 3, v38
	v_cmp_gt_u32_e64 s[8:9], 8, v38
	v_subrev_u32_e32 v38, 28, v6
	v_cndmask_b32_e64 v38, 0, v38, s[8:9]
	v_sub_u32_e32 v6, 29, v6
	v_lshlrev_b64 v[60:61], v38, v[36:37]
	v_cndmask_b32_e64 v6, v48, v6, s[8:9]
	v_lshlrev_b32_e32 v38, 20, v60
	v_lshlrev_b32_e32 v48, 24, v36
	v_and_b32_e32 v38, 0x700000, v38
	v_and_b32_e32 v48, 0x80000000, v48
	v_lshl_add_u32 v6, v6, 23, v40
	v_or3_b32 v6, v48, v6, v38
.LBB405_2995:                           ;   in Loop: Header=BB405_1323 Depth=1
	s_or_b64 exec, exec, s[30:31]
.LBB405_2996:                           ;   in Loop: Header=BB405_1323 Depth=1
	s_or_b64 exec, exec, s[28:29]
.LBB405_2997:                           ;   in Loop: Header=BB405_1323 Depth=1
	s_or_b64 exec, exec, s[18:19]
	v_mul_f32_e32 v6, v23, v6
	v_and_b32_e32 v38, 0x7f800000, v6
	v_cmp_ne_u32_e64 s[8:9], s15, v38
                                        ; implicit-def: $vgpr53
	s_and_saveexec_b64 s[18:19], s[8:9]
	s_xor_b64 s[8:9], exec, s[18:19]
; %bb.2998:                             ;   in Loop: Header=BB405_1323 Depth=1
	v_bfe_u32 v38, v6, 16, 1
	v_add3_u32 v53, v6, v38, s25
                                        ; implicit-def: $vgpr6
; %bb.2999:                             ;   in Loop: Header=BB405_1323 Depth=1
	s_andn2_saveexec_b64 s[18:19], s[8:9]
; %bb.3000:                             ;   in Loop: Header=BB405_1323 Depth=1
	v_or_b32_e32 v38, 0x10000, v6
	v_cmp_eq_u32_sdwa s[8:9], v6, v37 src0_sel:WORD_0 src1_sel:DWORD
	v_cndmask_b32_e64 v53, v38, v6, s[8:9]
; %bb.3001:                             ;   in Loop: Header=BB405_1323 Depth=1
	s_or_b64 exec, exec, s[18:19]
	v_lshrrev_b16_e32 v6, 8, v36
	v_cmp_ne_u16_e64 s[8:9], 0, v6
	v_mov_b32_e32 v38, 0
	s_and_saveexec_b64 s[18:19], s[8:9]
	s_cbranch_execz .LBB405_3007
; %bb.3002:                             ;   in Loop: Header=BB405_1323 Depth=1
	v_cmp_ne_u16_e64 s[8:9], s34, v6
	v_bfrev_b32_e32 v38, 1
	s_and_saveexec_b64 s[28:29], s[8:9]
	s_cbranch_execz .LBB405_3006
; %bb.3003:                             ;   in Loop: Header=BB405_1323 Depth=1
	v_and_b32_e32 v48, 0x7f, v6
	v_cmp_ne_u32_e64 s[8:9], s35, v48
	v_mov_b32_e32 v38, 0x7f800001
	s_and_saveexec_b64 s[30:31], s[8:9]
	s_cbranch_execz .LBB405_3005
; %bb.3004:                             ;   in Loop: Header=BB405_1323 Depth=1
	v_and_b32_e32 v38, 7, v6
	v_lshrrev_b32_e32 v50, 3, v48
	v_cmp_gt_u32_e64 s[8:9], 8, v48
	v_ffbh_u32_e32 v48, v38
	v_min_u32_e32 v48, 32, v48
	v_mov_b32_e32 v55, v54
	v_subrev_u32_e32 v54, 28, v48
	v_lshlrev_b64 v[60:61], v54, v[6:7]
	v_sub_u32_e32 v6, 29, v48
	v_and_b32_e32 v48, 7, v60
	v_cndmask_b32_e64 v6, v50, v6, s[8:9]
	v_cndmask_b32_e64 v38, v38, v48, s[8:9]
	v_lshlrev_b32_e32 v36, 16, v36
	v_lshlrev_b32_e32 v38, 20, v38
	v_and_b32_e32 v36, 0x80000000, v36
	v_lshl_add_u32 v6, v6, 23, v40
	v_mov_b32_e32 v54, v55
	v_or3_b32 v38, v36, v6, v38
.LBB405_3005:                           ;   in Loop: Header=BB405_1323 Depth=1
	s_or_b64 exec, exec, s[30:31]
.LBB405_3006:                           ;   in Loop: Header=BB405_1323 Depth=1
	s_or_b64 exec, exec, s[28:29]
.LBB405_3007:                           ;   in Loop: Header=BB405_1323 Depth=1
	s_or_b64 exec, exec, s[18:19]
	v_mul_f32_e32 v6, v23, v38
	v_and_b32_e32 v36, 0x7f800000, v6
	v_cmp_ne_u32_e64 s[8:9], s15, v36
                                        ; implicit-def: $vgpr36
	s_and_saveexec_b64 s[18:19], s[8:9]
	s_xor_b64 s[8:9], exec, s[18:19]
; %bb.3008:                             ;   in Loop: Header=BB405_1323 Depth=1
	v_bfe_u32 v36, v6, 16, 1
	v_add3_u32 v36, v6, v36, s25
                                        ; implicit-def: $vgpr6
; %bb.3009:                             ;   in Loop: Header=BB405_1323 Depth=1
	s_andn2_saveexec_b64 s[18:19], s[8:9]
; %bb.3010:                             ;   in Loop: Header=BB405_1323 Depth=1
	v_or_b32_e32 v36, 0x10000, v6
	v_cmp_eq_u32_sdwa s[8:9], v6, v37 src0_sel:WORD_0 src1_sel:DWORD
	v_cndmask_b32_e64 v36, v36, v6, s[8:9]
; %bb.3011:                             ;   in Loop: Header=BB405_1323 Depth=1
	s_or_b64 exec, exec, s[18:19]
	v_lshrrev_b32_e32 v6, 16, v3
	v_cmp_ne_u16_sdwa s[8:9], v6, v37 src0_sel:BYTE_0 src1_sel:DWORD
	v_mov_b32_e32 v38, 0
	s_and_saveexec_b64 s[18:19], s[8:9]
	s_cbranch_execz .LBB405_3017
; %bb.3012:                             ;   in Loop: Header=BB405_1323 Depth=1
	v_cmp_ne_u16_sdwa s[8:9], v6, s34 src0_sel:BYTE_0 src1_sel:DWORD
	v_bfrev_b32_e32 v38, 1
	s_and_saveexec_b64 s[28:29], s[8:9]
	s_cbranch_execz .LBB405_3016
; %bb.3013:                             ;   in Loop: Header=BB405_1323 Depth=1
	v_bfe_u32 v48, v3, 16, 7
	v_cmp_ne_u32_e64 s[8:9], s35, v48
	v_mov_b32_e32 v38, 0x7f800001
	s_and_saveexec_b64 s[30:31], s[8:9]
	s_cbranch_execz .LBB405_3015
; %bb.3014:                             ;   in Loop: Header=BB405_1323 Depth=1
	v_and_b32_e32 v38, 7, v6
	v_lshrrev_b32_e32 v50, 3, v48
	v_cmp_gt_u32_e64 s[8:9], 8, v48
	v_ffbh_u32_e32 v48, v38
	v_min_u32_e32 v48, 32, v48
	v_mov_b32_e32 v55, v54
	v_subrev_u32_e32 v54, 28, v48
	v_lshlrev_b64 v[60:61], v54, v[6:7]
	v_sub_u32_e32 v48, 29, v48
	v_and_b32_e32 v54, 7, v60
	v_cndmask_b32_e64 v48, v50, v48, s[8:9]
	v_cndmask_b32_e64 v38, v38, v54, s[8:9]
	v_lshlrev_b32_e32 v6, 24, v6
	v_lshlrev_b32_e32 v38, 20, v38
	v_and_b32_e32 v6, 0x80000000, v6
	v_lshl_add_u32 v48, v48, 23, v40
	v_mov_b32_e32 v54, v55
	v_or3_b32 v38, v6, v48, v38
.LBB405_3015:                           ;   in Loop: Header=BB405_1323 Depth=1
	s_or_b64 exec, exec, s[30:31]
.LBB405_3016:                           ;   in Loop: Header=BB405_1323 Depth=1
	s_or_b64 exec, exec, s[28:29]
.LBB405_3017:                           ;   in Loop: Header=BB405_1323 Depth=1
	s_or_b64 exec, exec, s[18:19]
	v_mul_f32_e32 v38, v23, v38
	v_and_b32_e32 v6, 0x7f800000, v38
	v_cmp_ne_u32_e64 s[8:9], s15, v6
                                        ; implicit-def: $vgpr6
	s_and_saveexec_b64 s[18:19], s[8:9]
	s_xor_b64 s[8:9], exec, s[18:19]
; %bb.3018:                             ;   in Loop: Header=BB405_1323 Depth=1
	v_bfe_u32 v6, v38, 16, 1
	v_add3_u32 v6, v38, v6, s25
                                        ; implicit-def: $vgpr38
; %bb.3019:                             ;   in Loop: Header=BB405_1323 Depth=1
	s_andn2_saveexec_b64 s[18:19], s[8:9]
; %bb.3020:                             ;   in Loop: Header=BB405_1323 Depth=1
	v_or_b32_e32 v6, 0x10000, v38
	v_cmp_eq_u32_sdwa s[8:9], v38, v37 src0_sel:WORD_0 src1_sel:DWORD
	v_cndmask_b32_e64 v6, v6, v38, s[8:9]
; %bb.3021:                             ;   in Loop: Header=BB405_1323 Depth=1
	s_or_b64 exec, exec, s[18:19]
	v_cmp_lt_u64_e64 s[8:9], s[12:13], v[2:3]
	v_mov_b32_e32 v38, 0
	s_and_saveexec_b64 s[18:19], s[8:9]
	s_cbranch_execz .LBB405_3027
; %bb.3022:                             ;   in Loop: Header=BB405_1323 Depth=1
	v_lshrrev_b32_e32 v2, 24, v3
	v_cmp_ne_u32_e64 s[8:9], s34, v2
	v_bfrev_b32_e32 v38, 1
	s_and_saveexec_b64 s[28:29], s[8:9]
	s_cbranch_execz .LBB405_3026
; %bb.3023:                             ;   in Loop: Header=BB405_1323 Depth=1
	v_bfe_u32 v3, v3, 24, 7
	v_cmp_ne_u32_e64 s[8:9], s35, v3
	v_mov_b32_e32 v38, 0x7f800001
	s_and_saveexec_b64 s[30:31], s[8:9]
	s_cbranch_execz .LBB405_3025
; %bb.3024:                             ;   in Loop: Header=BB405_1323 Depth=1
	v_and_b32_e32 v38, 7, v2
	v_lshrrev_b32_e32 v48, 3, v3
	v_cmp_gt_u32_e64 s[8:9], 8, v3
	v_ffbh_u32_e32 v3, v38
	v_min_u32_e32 v3, 32, v3
	v_subrev_u32_e32 v50, 28, v3
	v_lshlrev_b64 v[60:61], v50, v[2:3]
	v_sub_u32_e32 v3, 29, v3
	v_and_b32_e32 v50, 7, v60
	v_cndmask_b32_e64 v3, v48, v3, s[8:9]
	v_cndmask_b32_e64 v38, v38, v50, s[8:9]
	v_lshlrev_b32_e32 v2, 24, v2
	v_lshlrev_b32_e32 v38, 20, v38
	v_and_b32_e32 v2, 0x80000000, v2
	v_lshl_add_u32 v3, v3, 23, v40
	v_or3_b32 v38, v2, v3, v38
.LBB405_3025:                           ;   in Loop: Header=BB405_1323 Depth=1
	s_or_b64 exec, exec, s[30:31]
.LBB405_3026:                           ;   in Loop: Header=BB405_1323 Depth=1
	s_or_b64 exec, exec, s[28:29]
.LBB405_3027:                           ;   in Loop: Header=BB405_1323 Depth=1
	s_or_b64 exec, exec, s[18:19]
	v_mul_f32_e32 v3, v23, v38
	v_and_b32_e32 v2, 0x7f800000, v3
	v_cmp_ne_u32_e64 s[8:9], s15, v2
                                        ; implicit-def: $vgpr2
	s_and_saveexec_b64 s[18:19], s[8:9]
	s_xor_b64 s[8:9], exec, s[18:19]
; %bb.3028:                             ;   in Loop: Header=BB405_1323 Depth=1
	v_bfe_u32 v2, v3, 16, 1
	v_add3_u32 v2, v3, v2, s25
                                        ; implicit-def: $vgpr3
; %bb.3029:                             ;   in Loop: Header=BB405_1323 Depth=1
	s_andn2_saveexec_b64 s[18:19], s[8:9]
; %bb.3030:                             ;   in Loop: Header=BB405_1323 Depth=1
	v_or_b32_e32 v2, 0x10000, v3
	v_cmp_eq_u32_sdwa s[8:9], v3, v37 src0_sel:WORD_0 src1_sel:DWORD
	v_cndmask_b32_e64 v2, v2, v3, s[8:9]
; %bb.3031:                             ;   in Loop: Header=BB405_1323 Depth=1
	s_or_b64 exec, exec, s[18:19]
	v_lshrrev_b32_e32 v36, 16, v36
	v_lshrrev_b32_e32 v53, 16, v53
	v_lshrrev_b32_e32 v38, 16, v39
	v_lshrrev_b32_e32 v39, 16, v4
	v_lshrrev_b32_e32 v5, 16, v5
	v_lshrrev_b32_e32 v3, 16, v16
	v_lshrrev_b32_e32 v4, 16, v6
	v_lshrrev_b32_e32 v2, 16, v2
	s_and_saveexec_b64 s[18:19], vcc
	s_cbranch_execz .LBB405_3033
; %bb.3032:                             ;   in Loop: Header=BB405_1323 Depth=1
	v_accvgpr_read_b32 v6, a31
	v_cmp_lt_i32_e64 s[8:9], v6, v49
	v_accvgpr_read_b32 v6, a37
	v_cndmask_b32_e64 v3, 0, v3, s[8:9]
	v_cmp_lt_i32_e64 s[8:9], v6, v49
	v_accvgpr_read_b32 v6, a36
	v_cndmask_b32_e64 v5, 0, v5, s[8:9]
	;; [unrolled: 3-line block ×6, first 2 shown]
	v_cmp_lt_i32_e64 s[8:9], v6, v49
	v_cndmask_b32_e64 v4, 0, v4, s[8:9]
	v_cmp_lt_i32_e64 s[8:9], v17, v49
	v_cndmask_b32_e64 v2, 0, v2, s[8:9]
.LBB405_3033:                           ;   in Loop: Header=BB405_1323 Depth=1
	s_or_b64 exec, exec, s[18:19]
	v_lshlrev_b32_e32 v3, 16, v3
	v_accvgpr_read_b32 v6, a38
	v_mul_f32_e32 v6, v6, v3
	v_and_b32_e32 v3, 0x7f800000, v6
	v_cmp_ne_u32_e64 s[8:9], s15, v3
                                        ; implicit-def: $vgpr3
	s_and_saveexec_b64 s[18:19], s[8:9]
	s_xor_b64 s[8:9], exec, s[18:19]
; %bb.3034:                             ;   in Loop: Header=BB405_1323 Depth=1
	v_bfe_u32 v3, v6, 16, 1
	v_add3_u32 v3, v6, v3, s25
                                        ; implicit-def: $vgpr6
; %bb.3035:                             ;   in Loop: Header=BB405_1323 Depth=1
	s_andn2_saveexec_b64 s[18:19], s[8:9]
; %bb.3036:                             ;   in Loop: Header=BB405_1323 Depth=1
	v_or_b32_e32 v3, 0x10000, v6
	v_cmp_eq_u32_sdwa s[8:9], v6, v37 src0_sel:WORD_0 src1_sel:DWORD
	v_cndmask_b32_e64 v3, v3, v6, s[8:9]
; %bb.3037:                             ;   in Loop: Header=BB405_1323 Depth=1
	s_or_b64 exec, exec, s[18:19]
	v_lshlrev_b32_e32 v5, 16, v5
	v_accvgpr_read_b32 v6, a39
	v_mul_f32_e32 v5, v6, v5
	v_and_b32_e32 v6, 0x7f800000, v5
	v_cmp_ne_u32_e64 s[8:9], s15, v6
                                        ; implicit-def: $vgpr6
	s_and_saveexec_b64 s[18:19], s[8:9]
	s_xor_b64 s[8:9], exec, s[18:19]
; %bb.3038:                             ;   in Loop: Header=BB405_1323 Depth=1
	v_bfe_u32 v6, v5, 16, 1
	v_add3_u32 v6, v5, v6, s25
                                        ; implicit-def: $vgpr5
; %bb.3039:                             ;   in Loop: Header=BB405_1323 Depth=1
	s_andn2_saveexec_b64 s[18:19], s[8:9]
; %bb.3040:                             ;   in Loop: Header=BB405_1323 Depth=1
	v_or_b32_e32 v6, 0x10000, v5
	v_cmp_eq_u32_sdwa s[8:9], v5, v37 src0_sel:WORD_0 src1_sel:DWORD
	v_cndmask_b32_e64 v6, v6, v5, s[8:9]
; %bb.3041:                             ;   in Loop: Header=BB405_1323 Depth=1
	s_or_b64 exec, exec, s[18:19]
	v_lshlrev_b32_e32 v5, 16, v39
	v_mul_f32_e32 v5, v45, v5
	v_and_b32_e32 v16, 0x7f800000, v5
	v_accvgpr_write_b32 a40, v45
	v_cmp_ne_u32_e64 s[8:9], s15, v16
                                        ; implicit-def: $vgpr60
	s_and_saveexec_b64 s[18:19], s[8:9]
	s_xor_b64 s[8:9], exec, s[18:19]
; %bb.3042:                             ;   in Loop: Header=BB405_1323 Depth=1
	v_bfe_u32 v16, v5, 16, 1
	v_add3_u32 v60, v5, v16, s25
                                        ; implicit-def: $vgpr5
; %bb.3043:                             ;   in Loop: Header=BB405_1323 Depth=1
	s_andn2_saveexec_b64 s[18:19], s[8:9]
; %bb.3044:                             ;   in Loop: Header=BB405_1323 Depth=1
	v_or_b32_e32 v16, 0x10000, v5
	v_cmp_eq_u32_sdwa s[8:9], v5, v37 src0_sel:WORD_0 src1_sel:DWORD
	v_cndmask_b32_e64 v60, v16, v5, s[8:9]
; %bb.3045:                             ;   in Loop: Header=BB405_1323 Depth=1
	s_or_b64 exec, exec, s[18:19]
	v_lshlrev_b32_e32 v5, 16, v38
	v_mul_f32_e32 v5, v46, v5
	v_and_b32_e32 v16, 0x7f800000, v5
	v_accvgpr_write_b32 a41, v46
	v_cmp_ne_u32_e64 s[8:9], s15, v16
                                        ; implicit-def: $vgpr61
	s_and_saveexec_b64 s[18:19], s[8:9]
	s_xor_b64 s[8:9], exec, s[18:19]
; %bb.3046:                             ;   in Loop: Header=BB405_1323 Depth=1
	v_bfe_u32 v16, v5, 16, 1
	v_add3_u32 v61, v5, v16, s25
                                        ; implicit-def: $vgpr5
; %bb.3047:                             ;   in Loop: Header=BB405_1323 Depth=1
	s_andn2_saveexec_b64 s[18:19], s[8:9]
; %bb.3048:                             ;   in Loop: Header=BB405_1323 Depth=1
	v_or_b32_e32 v16, 0x10000, v5
	v_cmp_eq_u32_sdwa s[8:9], v5, v37 src0_sel:WORD_0 src1_sel:DWORD
	v_cndmask_b32_e64 v61, v16, v5, s[8:9]
; %bb.3049:                             ;   in Loop: Header=BB405_1323 Depth=1
	s_or_b64 exec, exec, s[18:19]
	v_lshlrev_b32_e32 v5, 16, v53
	v_accvgpr_read_b32 v16, a42
	v_mul_f32_e32 v5, v16, v5
	v_and_b32_e32 v16, 0x7f800000, v5
	v_cmp_ne_u32_e64 s[8:9], s15, v16
                                        ; implicit-def: $vgpr16
	s_and_saveexec_b64 s[18:19], s[8:9]
	s_xor_b64 s[8:9], exec, s[18:19]
; %bb.3050:                             ;   in Loop: Header=BB405_1323 Depth=1
	v_bfe_u32 v16, v5, 16, 1
	v_add3_u32 v16, v5, v16, s25
                                        ; implicit-def: $vgpr5
; %bb.3051:                             ;   in Loop: Header=BB405_1323 Depth=1
	s_andn2_saveexec_b64 s[18:19], s[8:9]
; %bb.3052:                             ;   in Loop: Header=BB405_1323 Depth=1
	v_or_b32_e32 v16, 0x10000, v5
	v_cmp_eq_u32_sdwa s[8:9], v5, v37 src0_sel:WORD_0 src1_sel:DWORD
	v_cndmask_b32_e64 v16, v16, v5, s[8:9]
; %bb.3053:                             ;   in Loop: Header=BB405_1323 Depth=1
	s_or_b64 exec, exec, s[18:19]
	v_lshlrev_b32_e32 v5, 16, v36
	v_mul_f32_e32 v5, v62, v5
	v_and_b32_e32 v36, 0x7f800000, v5
	v_accvgpr_write_b32 a43, v62
	v_cmp_ne_u32_e64 s[8:9], s15, v36
                                        ; implicit-def: $vgpr62
	s_and_saveexec_b64 s[18:19], s[8:9]
	s_xor_b64 s[8:9], exec, s[18:19]
; %bb.3054:                             ;   in Loop: Header=BB405_1323 Depth=1
	v_bfe_u32 v36, v5, 16, 1
	v_add3_u32 v62, v5, v36, s25
                                        ; implicit-def: $vgpr5
; %bb.3055:                             ;   in Loop: Header=BB405_1323 Depth=1
	s_andn2_saveexec_b64 s[18:19], s[8:9]
; %bb.3056:                             ;   in Loop: Header=BB405_1323 Depth=1
	v_or_b32_e32 v36, 0x10000, v5
	v_cmp_eq_u32_sdwa s[8:9], v5, v37 src0_sel:WORD_0 src1_sel:DWORD
	v_cndmask_b32_e64 v62, v36, v5, s[8:9]
; %bb.3057:                             ;   in Loop: Header=BB405_1323 Depth=1
	s_or_b64 exec, exec, s[18:19]
	v_lshlrev_b32_e32 v4, 16, v4
	v_accvgpr_read_b32 v5, a44
	v_mul_f32_e32 v4, v5, v4
	v_and_b32_e32 v5, 0x7f800000, v4
	v_cmp_ne_u32_e64 s[8:9], s15, v5
                                        ; implicit-def: $vgpr53
	s_and_saveexec_b64 s[18:19], s[8:9]
	s_xor_b64 s[8:9], exec, s[18:19]
; %bb.3058:                             ;   in Loop: Header=BB405_1323 Depth=1
	v_bfe_u32 v5, v4, 16, 1
	v_add3_u32 v53, v4, v5, s25
                                        ; implicit-def: $vgpr4
; %bb.3059:                             ;   in Loop: Header=BB405_1323 Depth=1
	s_andn2_saveexec_b64 s[18:19], s[8:9]
; %bb.3060:                             ;   in Loop: Header=BB405_1323 Depth=1
	v_or_b32_e32 v5, 0x10000, v4
	v_cmp_eq_u32_sdwa s[8:9], v4, v37 src0_sel:WORD_0 src1_sel:DWORD
	v_cndmask_b32_e64 v53, v5, v4, s[8:9]
; %bb.3061:                             ;   in Loop: Header=BB405_1323 Depth=1
	s_or_b64 exec, exec, s[18:19]
	v_lshlrev_b32_e32 v2, 16, v2
	v_mul_f32_e32 v2, v52, v2
	v_and_b32_e32 v4, 0x7f800000, v2
	v_cmp_ne_u32_e64 s[8:9], s15, v4
                                        ; implicit-def: $vgpr39
	s_and_saveexec_b64 s[18:19], s[8:9]
	s_xor_b64 s[8:9], exec, s[18:19]
; %bb.3062:                             ;   in Loop: Header=BB405_1323 Depth=1
	v_bfe_u32 v4, v2, 16, 1
	v_add3_u32 v39, v2, v4, s25
                                        ; implicit-def: $vgpr2
; %bb.3063:                             ;   in Loop: Header=BB405_1323 Depth=1
	s_andn2_saveexec_b64 s[18:19], s[8:9]
; %bb.3064:                             ;   in Loop: Header=BB405_1323 Depth=1
	v_or_b32_e32 v4, 0x10000, v2
	v_cmp_eq_u32_sdwa s[8:9], v2, v37 src0_sel:WORD_0 src1_sel:DWORD
	v_cndmask_b32_e64 v39, v4, v2, s[8:9]
; %bb.3065:                             ;   in Loop: Header=BB405_1323 Depth=1
	s_or_b64 exec, exec, s[18:19]
	buffer_load_dword v4, off, s[0:3], s32 offset:472 ; 4-byte Folded Reload
	buffer_load_dword v5, off, s[0:3], s32 offset:476 ; 4-byte Folded Reload
	v_mov_b32_e32 v2, 0
	s_waitcnt vmcnt(1)
	v_add_co_u32_e64 v0, s[8:9], v0, v4
	v_addc_co_u32_e64 v1, s[8:9], 0, v1, s[8:9]
	flat_load_dwordx2 v[0:1], v[0:1]
	s_waitcnt vmcnt(0) lgkmcnt(0)
	v_cmp_ne_u16_sdwa s[8:9], v0, v37 src0_sel:BYTE_0 src1_sel:DWORD
	s_and_saveexec_b64 s[18:19], s[8:9]
	s_cbranch_execz .LBB405_3071
; %bb.3066:                             ;   in Loop: Header=BB405_1323 Depth=1
	v_cmp_ne_u16_sdwa s[8:9], v0, s34 src0_sel:BYTE_0 src1_sel:DWORD
	v_bfrev_b32_e32 v2, 1
	s_and_saveexec_b64 s[28:29], s[8:9]
	s_cbranch_execz .LBB405_3070
; %bb.3067:                             ;   in Loop: Header=BB405_1323 Depth=1
	v_and_b32_e32 v4, 0x7f, v0
	v_cmp_ne_u32_e64 s[8:9], s35, v4
	v_mov_b32_e32 v2, 0x7f800001
	s_and_saveexec_b64 s[30:31], s[8:9]
	s_cbranch_execz .LBB405_3069
; %bb.3068:                             ;   in Loop: Header=BB405_1323 Depth=1
	v_and_b32_e32 v2, 7, v0
	v_ffbh_u32_e32 v2, v2
	v_min_u32_e32 v2, 32, v2
	v_lshrrev_b32_e32 v5, 3, v4
	v_cmp_gt_u32_e64 s[8:9], 8, v4
	v_subrev_u32_e32 v4, 28, v2
	v_sub_u32_e32 v2, 29, v2
	v_cndmask_b32_e64 v4, 0, v4, s[8:9]
	v_cndmask_b32_e64 v2, v5, v2, s[8:9]
	v_lshlrev_b64 v[4:5], v4, v[0:1]
	v_lshlrev_b32_e32 v4, 20, v4
	v_lshlrev_b32_e32 v5, 24, v0
	v_and_b32_e32 v4, 0x700000, v4
	v_and_b32_e32 v5, 0x80000000, v5
	v_lshl_add_u32 v2, v2, 23, v40
	v_or3_b32 v2, v5, v2, v4
.LBB405_3069:                           ;   in Loop: Header=BB405_1323 Depth=1
	s_or_b64 exec, exec, s[30:31]
.LBB405_3070:                           ;   in Loop: Header=BB405_1323 Depth=1
	s_or_b64 exec, exec, s[28:29]
.LBB405_3071:                           ;   in Loop: Header=BB405_1323 Depth=1
	s_or_b64 exec, exec, s[18:19]
	v_mul_f32_e32 v2, v23, v2
	v_and_b32_e32 v4, 0x7f800000, v2
	v_cmp_ne_u32_e64 s[8:9], s15, v4
                                        ; implicit-def: $vgpr5
	s_and_saveexec_b64 s[18:19], s[8:9]
	s_xor_b64 s[8:9], exec, s[18:19]
; %bb.3072:                             ;   in Loop: Header=BB405_1323 Depth=1
	v_bfe_u32 v4, v2, 16, 1
	v_add3_u32 v5, v2, v4, s25
                                        ; implicit-def: $vgpr2
; %bb.3073:                             ;   in Loop: Header=BB405_1323 Depth=1
	s_andn2_saveexec_b64 s[18:19], s[8:9]
; %bb.3074:                             ;   in Loop: Header=BB405_1323 Depth=1
	v_or_b32_e32 v4, 0x10000, v2
	v_cmp_eq_u32_sdwa s[8:9], v2, v37 src0_sel:WORD_0 src1_sel:DWORD
	v_cndmask_b32_e64 v5, v4, v2, s[8:9]
; %bb.3075:                             ;   in Loop: Header=BB405_1323 Depth=1
	s_or_b64 exec, exec, s[18:19]
	v_lshrrev_b16_e32 v2, 8, v0
	v_cmp_ne_u16_e64 s[8:9], 0, v2
	v_mov_b32_e32 v4, 0
	s_and_saveexec_b64 s[18:19], s[8:9]
	s_cbranch_execz .LBB405_3081
; %bb.3076:                             ;   in Loop: Header=BB405_1323 Depth=1
	v_cmp_ne_u16_e64 s[8:9], s34, v2
	v_bfrev_b32_e32 v4, 1
	s_and_saveexec_b64 s[28:29], s[8:9]
	s_cbranch_execz .LBB405_3080
; %bb.3077:                             ;   in Loop: Header=BB405_1323 Depth=1
	v_and_b32_e32 v36, 0x7f, v2
	v_cmp_ne_u32_e64 s[8:9], s35, v36
	v_mov_b32_e32 v4, 0x7f800001
	s_and_saveexec_b64 s[30:31], s[8:9]
	s_cbranch_execz .LBB405_3079
; %bb.3078:                             ;   in Loop: Header=BB405_1323 Depth=1
	v_and_b32_e32 v4, 7, v2
	v_lshrrev_b32_e32 v38, 3, v36
	v_cmp_gt_u32_e64 s[8:9], 8, v36
	v_ffbh_u32_e32 v36, v4
	v_min_u32_e32 v36, 32, v36
	v_subrev_u32_e32 v48, 28, v36
	v_mov_b32_e32 v50, v54
	v_lshlrev_b64 v[54:55], v48, v[2:3]
	v_sub_u32_e32 v2, 29, v36
	v_and_b32_e32 v36, 7, v54
	v_cndmask_b32_e64 v2, v38, v2, s[8:9]
	v_cndmask_b32_e64 v4, v4, v36, s[8:9]
	v_lshlrev_b32_e32 v36, 16, v0
	v_lshlrev_b32_e32 v4, 20, v4
	v_and_b32_e32 v36, 0x80000000, v36
	v_lshl_add_u32 v2, v2, 23, v40
	v_mov_b32_e32 v54, v50
	v_or3_b32 v4, v36, v2, v4
.LBB405_3079:                           ;   in Loop: Header=BB405_1323 Depth=1
	s_or_b64 exec, exec, s[30:31]
.LBB405_3080:                           ;   in Loop: Header=BB405_1323 Depth=1
	s_or_b64 exec, exec, s[28:29]
.LBB405_3081:                           ;   in Loop: Header=BB405_1323 Depth=1
	s_or_b64 exec, exec, s[18:19]
	v_mul_f32_e32 v2, v23, v4
	v_and_b32_e32 v4, 0x7f800000, v2
	v_cmp_ne_u32_e64 s[8:9], s15, v4
                                        ; implicit-def: $vgpr4
	s_and_saveexec_b64 s[18:19], s[8:9]
	s_xor_b64 s[8:9], exec, s[18:19]
; %bb.3082:                             ;   in Loop: Header=BB405_1323 Depth=1
	v_bfe_u32 v4, v2, 16, 1
	v_add3_u32 v4, v2, v4, s25
                                        ; implicit-def: $vgpr2
; %bb.3083:                             ;   in Loop: Header=BB405_1323 Depth=1
	s_andn2_saveexec_b64 s[18:19], s[8:9]
; %bb.3084:                             ;   in Loop: Header=BB405_1323 Depth=1
	v_or_b32_e32 v4, 0x10000, v2
	v_cmp_eq_u32_sdwa s[8:9], v2, v37 src0_sel:WORD_0 src1_sel:DWORD
	v_cndmask_b32_e64 v4, v4, v2, s[8:9]
; %bb.3085:                             ;   in Loop: Header=BB405_1323 Depth=1
	s_or_b64 exec, exec, s[18:19]
	v_lshrrev_b32_e32 v2, 16, v0
	v_cmp_ne_u16_sdwa s[8:9], v2, v37 src0_sel:BYTE_0 src1_sel:DWORD
	v_mov_b32_e32 v36, 0
	s_and_saveexec_b64 s[18:19], s[8:9]
	s_cbranch_execz .LBB405_3091
; %bb.3086:                             ;   in Loop: Header=BB405_1323 Depth=1
	v_cmp_ne_u16_sdwa s[8:9], v2, s34 src0_sel:BYTE_0 src1_sel:DWORD
	v_bfrev_b32_e32 v36, 1
	s_and_saveexec_b64 s[28:29], s[8:9]
	s_cbranch_execz .LBB405_3090
; %bb.3087:                             ;   in Loop: Header=BB405_1323 Depth=1
	v_bfe_u32 v38, v0, 16, 7
	v_cmp_ne_u32_e64 s[8:9], s35, v38
	v_mov_b32_e32 v36, 0x7f800001
	s_and_saveexec_b64 s[30:31], s[8:9]
	s_cbranch_execz .LBB405_3089
; %bb.3088:                             ;   in Loop: Header=BB405_1323 Depth=1
	v_and_b32_e32 v36, 7, v2
	v_lshrrev_b32_e32 v48, 3, v38
	v_cmp_gt_u32_e64 s[8:9], 8, v38
	v_ffbh_u32_e32 v38, v36
	v_min_u32_e32 v38, 32, v38
	v_subrev_u32_e32 v50, 28, v38
	v_accvgpr_write_b32 a11, v54
	v_lshlrev_b64 v[54:55], v50, v[2:3]
	v_sub_u32_e32 v38, 29, v38
	v_and_b32_e32 v50, 7, v54
	v_cndmask_b32_e64 v38, v48, v38, s[8:9]
	v_cndmask_b32_e64 v36, v36, v50, s[8:9]
	v_lshlrev_b32_e32 v2, 24, v2
	v_lshlrev_b32_e32 v36, 20, v36
	v_and_b32_e32 v2, 0x80000000, v2
	v_lshl_add_u32 v38, v38, 23, v40
	v_accvgpr_read_b32 v54, a11
	v_or3_b32 v36, v2, v38, v36
.LBB405_3089:                           ;   in Loop: Header=BB405_1323 Depth=1
	s_or_b64 exec, exec, s[30:31]
.LBB405_3090:                           ;   in Loop: Header=BB405_1323 Depth=1
	s_or_b64 exec, exec, s[28:29]
.LBB405_3091:                           ;   in Loop: Header=BB405_1323 Depth=1
	s_or_b64 exec, exec, s[18:19]
	v_mul_f32_e32 v2, v23, v36
	v_and_b32_e32 v36, 0x7f800000, v2
	v_cmp_ne_u32_e64 s[8:9], s15, v36
                                        ; implicit-def: $vgpr55
	s_and_saveexec_b64 s[18:19], s[8:9]
	s_xor_b64 s[8:9], exec, s[18:19]
; %bb.3092:                             ;   in Loop: Header=BB405_1323 Depth=1
	v_bfe_u32 v36, v2, 16, 1
	v_add3_u32 v55, v2, v36, s25
                                        ; implicit-def: $vgpr2
; %bb.3093:                             ;   in Loop: Header=BB405_1323 Depth=1
	s_andn2_saveexec_b64 s[18:19], s[8:9]
; %bb.3094:                             ;   in Loop: Header=BB405_1323 Depth=1
	v_or_b32_e32 v36, 0x10000, v2
	v_cmp_eq_u32_sdwa s[8:9], v2, v37 src0_sel:WORD_0 src1_sel:DWORD
	v_cndmask_b32_e64 v55, v36, v2, s[8:9]
; %bb.3095:                             ;   in Loop: Header=BB405_1323 Depth=1
	s_or_b64 exec, exec, s[18:19]
	v_cmp_lt_u32_e64 s[8:9], s13, v0
	v_mov_b32_e32 v36, 0
	s_and_saveexec_b64 s[18:19], s[8:9]
	s_cbranch_execz .LBB405_3101
; %bb.3096:                             ;   in Loop: Header=BB405_1323 Depth=1
	v_lshrrev_b32_e32 v2, 24, v0
	v_cmp_ne_u32_e64 s[8:9], s34, v2
	v_bfrev_b32_e32 v36, 1
	s_and_saveexec_b64 s[28:29], s[8:9]
	s_cbranch_execz .LBB405_3100
; %bb.3097:                             ;   in Loop: Header=BB405_1323 Depth=1
	v_bfe_u32 v38, v0, 24, 7
	v_cmp_ne_u32_e64 s[8:9], s35, v38
	v_mov_b32_e32 v36, 0x7f800001
	s_and_saveexec_b64 s[30:31], s[8:9]
	s_cbranch_execz .LBB405_3099
; %bb.3098:                             ;   in Loop: Header=BB405_1323 Depth=1
	v_and_b32_e32 v36, 7, v2
	v_lshrrev_b32_e32 v48, 3, v38
	v_cmp_gt_u32_e64 s[8:9], 8, v38
	v_ffbh_u32_e32 v38, v36
	v_min_u32_e32 v38, 32, v38
	v_subrev_u32_e32 v50, 28, v38
	v_lshlrev_b64 v[44:45], v50, v[2:3]
	v_and_b32_e32 v50, 7, v44
	buffer_load_dword v44, off, s[0:3], s32 offset:480 ; 4-byte Folded Reload
	v_sub_u32_e32 v38, 29, v38
	v_cndmask_b32_e64 v38, v48, v38, s[8:9]
	v_cndmask_b32_e64 v36, v36, v50, s[8:9]
	v_lshlrev_b32_e32 v2, 24, v2
	v_lshlrev_b32_e32 v36, 20, v36
	v_and_b32_e32 v2, 0x80000000, v2
	v_lshl_add_u32 v38, v38, 23, v40
	v_or3_b32 v36, v2, v38, v36
.LBB405_3099:                           ;   in Loop: Header=BB405_1323 Depth=1
	s_or_b64 exec, exec, s[30:31]
.LBB405_3100:                           ;   in Loop: Header=BB405_1323 Depth=1
	s_or_b64 exec, exec, s[28:29]
.LBB405_3101:                           ;   in Loop: Header=BB405_1323 Depth=1
	s_or_b64 exec, exec, s[18:19]
	v_mul_f32_e32 v2, v23, v36
	v_and_b32_e32 v36, 0x7f800000, v2
	v_cmp_ne_u32_e64 s[8:9], s15, v36
                                        ; implicit-def: $vgpr46
	s_and_saveexec_b64 s[18:19], s[8:9]
	s_xor_b64 s[8:9], exec, s[18:19]
; %bb.3102:                             ;   in Loop: Header=BB405_1323 Depth=1
	v_bfe_u32 v36, v2, 16, 1
	v_add3_u32 v46, v2, v36, s25
                                        ; implicit-def: $vgpr2
; %bb.3103:                             ;   in Loop: Header=BB405_1323 Depth=1
	s_andn2_saveexec_b64 s[18:19], s[8:9]
; %bb.3104:                             ;   in Loop: Header=BB405_1323 Depth=1
	v_or_b32_e32 v36, 0x10000, v2
	v_cmp_eq_u32_sdwa s[8:9], v2, v37 src0_sel:WORD_0 src1_sel:DWORD
	v_cndmask_b32_e64 v46, v36, v2, s[8:9]
; %bb.3105:                             ;   in Loop: Header=BB405_1323 Depth=1
	s_or_b64 exec, exec, s[18:19]
	v_mov_b32_e32 v36, v1
	v_cmp_ne_u16_sdwa s[8:9], v1, v37 src0_sel:BYTE_0 src1_sel:DWORD
	v_mov_b32_e32 v2, 0
	s_and_saveexec_b64 s[18:19], s[8:9]
	s_cbranch_execz .LBB405_3111
; %bb.3106:                             ;   in Loop: Header=BB405_1323 Depth=1
	v_cmp_ne_u16_sdwa s[8:9], v1, s34 src0_sel:BYTE_0 src1_sel:DWORD
	v_bfrev_b32_e32 v2, 1
	s_and_saveexec_b64 s[28:29], s[8:9]
	s_cbranch_execz .LBB405_3110
; %bb.3107:                             ;   in Loop: Header=BB405_1323 Depth=1
	v_and_b32_e32 v38, 0x7f, v1
	v_cmp_ne_u32_e64 s[8:9], s35, v38
	v_mov_b32_e32 v2, 0x7f800001
	s_and_saveexec_b64 s[30:31], s[8:9]
	s_cbranch_execz .LBB405_3109
; %bb.3108:                             ;   in Loop: Header=BB405_1323 Depth=1
	v_and_b32_e32 v2, 7, v1
	v_ffbh_u32_e32 v2, v2
	v_min_u32_e32 v2, 32, v2
	v_lshrrev_b32_e32 v48, 3, v38
	v_cmp_gt_u32_e64 s[8:9], 8, v38
	v_subrev_u32_e32 v38, 28, v2
	v_cndmask_b32_e64 v38, 0, v38, s[8:9]
	s_waitcnt vmcnt(0)
	v_lshlrev_b64 v[44:45], v38, v[36:37]
	v_lshlrev_b32_e32 v38, 20, v44
	buffer_load_dword v44, off, s[0:3], s32 offset:480 ; 4-byte Folded Reload
	v_sub_u32_e32 v2, 29, v2
	v_cndmask_b32_e64 v2, v48, v2, s[8:9]
	v_lshlrev_b32_e32 v48, 24, v36
	v_and_b32_e32 v38, 0x700000, v38
	v_and_b32_e32 v48, 0x80000000, v48
	v_lshl_add_u32 v2, v2, 23, v40
	v_or3_b32 v2, v48, v2, v38
.LBB405_3109:                           ;   in Loop: Header=BB405_1323 Depth=1
	s_or_b64 exec, exec, s[30:31]
.LBB405_3110:                           ;   in Loop: Header=BB405_1323 Depth=1
	s_or_b64 exec, exec, s[28:29]
.LBB405_3111:                           ;   in Loop: Header=BB405_1323 Depth=1
	s_or_b64 exec, exec, s[18:19]
	v_mul_f32_e32 v2, v23, v2
	v_and_b32_e32 v38, 0x7f800000, v2
	v_cmp_ne_u32_e64 s[8:9], s15, v38
                                        ; implicit-def: $vgpr45
	s_and_saveexec_b64 s[18:19], s[8:9]
	s_xor_b64 s[8:9], exec, s[18:19]
; %bb.3112:                             ;   in Loop: Header=BB405_1323 Depth=1
	v_bfe_u32 v38, v2, 16, 1
	v_add3_u32 v45, v2, v38, s25
                                        ; implicit-def: $vgpr2
; %bb.3113:                             ;   in Loop: Header=BB405_1323 Depth=1
	s_andn2_saveexec_b64 s[18:19], s[8:9]
; %bb.3114:                             ;   in Loop: Header=BB405_1323 Depth=1
	v_or_b32_e32 v38, 0x10000, v2
	v_cmp_eq_u32_sdwa s[8:9], v2, v37 src0_sel:WORD_0 src1_sel:DWORD
	v_cndmask_b32_e64 v45, v38, v2, s[8:9]
; %bb.3115:                             ;   in Loop: Header=BB405_1323 Depth=1
	s_or_b64 exec, exec, s[18:19]
	v_lshrrev_b16_e32 v2, 8, v36
	v_cmp_ne_u16_e64 s[8:9], 0, v2
	v_mov_b32_e32 v38, 0
	s_and_saveexec_b64 s[18:19], s[8:9]
	s_cbranch_execz .LBB405_3121
; %bb.3116:                             ;   in Loop: Header=BB405_1323 Depth=1
	v_cmp_ne_u16_e64 s[8:9], s34, v2
	v_bfrev_b32_e32 v38, 1
	s_and_saveexec_b64 s[28:29], s[8:9]
	s_cbranch_execz .LBB405_3120
; %bb.3117:                             ;   in Loop: Header=BB405_1323 Depth=1
	v_and_b32_e32 v48, 0x7f, v2
	v_cmp_ne_u32_e64 s[8:9], s35, v48
	v_mov_b32_e32 v38, 0x7f800001
	s_and_saveexec_b64 s[30:31], s[8:9]
	s_cbranch_execz .LBB405_3119
; %bb.3118:                             ;   in Loop: Header=BB405_1323 Depth=1
	v_and_b32_e32 v38, 7, v2
	v_lshrrev_b32_e32 v50, 3, v48
	v_cmp_gt_u32_e64 s[8:9], 8, v48
	v_ffbh_u32_e32 v48, v38
	v_min_u32_e32 v48, 32, v48
	v_accvgpr_write_b32 a15, v54
	v_subrev_u32_e32 v54, 28, v48
	v_accvgpr_write_b32 a11, v41
	v_lshlrev_b64 v[40:41], v54, v[2:3]
	v_sub_u32_e32 v2, 29, v48
	v_and_b32_e32 v48, 7, v40
	v_bfrev_b32_e32 v40, 60
	v_cndmask_b32_e64 v2, v50, v2, s[8:9]
	v_cndmask_b32_e64 v38, v38, v48, s[8:9]
	v_lshlrev_b32_e32 v36, 16, v36
	v_lshlrev_b32_e32 v38, 20, v38
	v_and_b32_e32 v36, 0x80000000, v36
	v_lshl_add_u32 v2, v2, 23, v40
	v_accvgpr_read_b32 v54, a15
	v_accvgpr_read_b32 v41, a11
	v_or3_b32 v38, v36, v2, v38
.LBB405_3119:                           ;   in Loop: Header=BB405_1323 Depth=1
	s_or_b64 exec, exec, s[30:31]
.LBB405_3120:                           ;   in Loop: Header=BB405_1323 Depth=1
	s_or_b64 exec, exec, s[28:29]
.LBB405_3121:                           ;   in Loop: Header=BB405_1323 Depth=1
	s_or_b64 exec, exec, s[18:19]
	v_mul_f32_e32 v2, v23, v38
	v_and_b32_e32 v36, 0x7f800000, v2
	v_cmp_ne_u32_e64 s[8:9], s15, v36
                                        ; implicit-def: $vgpr36
	s_and_saveexec_b64 s[18:19], s[8:9]
	s_xor_b64 s[8:9], exec, s[18:19]
; %bb.3122:                             ;   in Loop: Header=BB405_1323 Depth=1
	v_bfe_u32 v36, v2, 16, 1
	v_add3_u32 v36, v2, v36, s25
                                        ; implicit-def: $vgpr2
; %bb.3123:                             ;   in Loop: Header=BB405_1323 Depth=1
	s_andn2_saveexec_b64 s[18:19], s[8:9]
; %bb.3124:                             ;   in Loop: Header=BB405_1323 Depth=1
	v_or_b32_e32 v36, 0x10000, v2
	v_cmp_eq_u32_sdwa s[8:9], v2, v37 src0_sel:WORD_0 src1_sel:DWORD
	v_cndmask_b32_e64 v36, v36, v2, s[8:9]
; %bb.3125:                             ;   in Loop: Header=BB405_1323 Depth=1
	s_or_b64 exec, exec, s[18:19]
	v_lshrrev_b32_e32 v2, 16, v1
	v_cmp_ne_u16_sdwa s[8:9], v2, v37 src0_sel:BYTE_0 src1_sel:DWORD
	v_mov_b32_e32 v38, 0
	s_and_saveexec_b64 s[18:19], s[8:9]
	s_cbranch_execz .LBB405_3131
; %bb.3126:                             ;   in Loop: Header=BB405_1323 Depth=1
	v_cmp_ne_u16_sdwa s[8:9], v2, s34 src0_sel:BYTE_0 src1_sel:DWORD
	v_bfrev_b32_e32 v38, 1
	s_and_saveexec_b64 s[28:29], s[8:9]
	s_cbranch_execz .LBB405_3130
; %bb.3127:                             ;   in Loop: Header=BB405_1323 Depth=1
	v_bfe_u32 v48, v1, 16, 7
	v_cmp_ne_u32_e64 s[8:9], s35, v48
	v_mov_b32_e32 v38, 0x7f800001
	s_and_saveexec_b64 s[30:31], s[8:9]
	s_cbranch_execz .LBB405_3129
; %bb.3128:                             ;   in Loop: Header=BB405_1323 Depth=1
	v_and_b32_e32 v38, 7, v2
	v_lshrrev_b32_e32 v50, 3, v48
	v_cmp_gt_u32_e64 s[8:9], 8, v48
	v_ffbh_u32_e32 v48, v38
	v_min_u32_e32 v48, 32, v48
	v_accvgpr_write_b32 a15, v54
	v_subrev_u32_e32 v54, 28, v48
	v_accvgpr_write_b32 a11, v41
	v_lshlrev_b64 v[40:41], v54, v[2:3]
	v_sub_u32_e32 v48, 29, v48
	v_and_b32_e32 v54, 7, v40
	v_bfrev_b32_e32 v40, 60
	v_cndmask_b32_e64 v48, v50, v48, s[8:9]
	v_cndmask_b32_e64 v38, v38, v54, s[8:9]
	v_lshlrev_b32_e32 v2, 24, v2
	v_lshlrev_b32_e32 v38, 20, v38
	v_and_b32_e32 v2, 0x80000000, v2
	v_lshl_add_u32 v48, v48, 23, v40
	v_accvgpr_read_b32 v41, a11
	v_accvgpr_read_b32 v54, a15
	v_or3_b32 v38, v2, v48, v38
.LBB405_3129:                           ;   in Loop: Header=BB405_1323 Depth=1
	s_or_b64 exec, exec, s[30:31]
.LBB405_3130:                           ;   in Loop: Header=BB405_1323 Depth=1
	s_or_b64 exec, exec, s[28:29]
.LBB405_3131:                           ;   in Loop: Header=BB405_1323 Depth=1
	s_or_b64 exec, exec, s[18:19]
	v_mul_f32_e32 v38, v23, v38
	v_and_b32_e32 v2, 0x7f800000, v38
	v_cmp_ne_u32_e64 s[8:9], s15, v2
                                        ; implicit-def: $vgpr2
	s_and_saveexec_b64 s[18:19], s[8:9]
	s_xor_b64 s[8:9], exec, s[18:19]
; %bb.3132:                             ;   in Loop: Header=BB405_1323 Depth=1
	v_bfe_u32 v2, v38, 16, 1
	v_add3_u32 v2, v38, v2, s25
                                        ; implicit-def: $vgpr38
; %bb.3133:                             ;   in Loop: Header=BB405_1323 Depth=1
	s_andn2_saveexec_b64 s[18:19], s[8:9]
; %bb.3134:                             ;   in Loop: Header=BB405_1323 Depth=1
	v_or_b32_e32 v2, 0x10000, v38
	v_cmp_eq_u32_sdwa s[8:9], v38, v37 src0_sel:WORD_0 src1_sel:DWORD
	v_cndmask_b32_e64 v2, v2, v38, s[8:9]
; %bb.3135:                             ;   in Loop: Header=BB405_1323 Depth=1
	s_or_b64 exec, exec, s[18:19]
	v_cmp_lt_u64_e64 s[8:9], s[12:13], v[0:1]
	v_mov_b32_e32 v38, 0
	s_and_saveexec_b64 s[18:19], s[8:9]
	s_cbranch_execz .LBB405_3141
; %bb.3136:                             ;   in Loop: Header=BB405_1323 Depth=1
	v_lshrrev_b32_e32 v0, 24, v1
	v_cmp_ne_u32_e64 s[8:9], s34, v0
	v_bfrev_b32_e32 v38, 1
	s_and_saveexec_b64 s[28:29], s[8:9]
	s_cbranch_execz .LBB405_3140
; %bb.3137:                             ;   in Loop: Header=BB405_1323 Depth=1
	v_bfe_u32 v1, v1, 24, 7
	v_cmp_ne_u32_e64 s[8:9], s35, v1
	v_mov_b32_e32 v38, 0x7f800001
	s_and_saveexec_b64 s[30:31], s[8:9]
	s_cbranch_execz .LBB405_3139
; %bb.3138:                             ;   in Loop: Header=BB405_1323 Depth=1
	v_and_b32_e32 v38, 7, v0
	v_lshrrev_b32_e32 v48, 3, v1
	v_cmp_gt_u32_e64 s[8:9], 8, v1
	v_ffbh_u32_e32 v1, v38
	v_min_u32_e32 v1, 32, v1
	v_subrev_u32_e32 v50, 28, v1
	v_accvgpr_write_b32 a11, v54
	v_mov_b32_e32 v54, v41
	v_lshlrev_b64 v[40:41], v50, v[0:1]
	v_sub_u32_e32 v1, 29, v1
	v_and_b32_e32 v50, 7, v40
	v_bfrev_b32_e32 v40, 60
	v_cndmask_b32_e64 v1, v48, v1, s[8:9]
	v_cndmask_b32_e64 v38, v38, v50, s[8:9]
	v_lshlrev_b32_e32 v0, 24, v0
	v_lshlrev_b32_e32 v38, 20, v38
	v_and_b32_e32 v0, 0x80000000, v0
	v_lshl_add_u32 v1, v1, 23, v40
	v_mov_b32_e32 v41, v54
	v_accvgpr_read_b32 v54, a11
	v_or3_b32 v38, v0, v1, v38
.LBB405_3139:                           ;   in Loop: Header=BB405_1323 Depth=1
	s_or_b64 exec, exec, s[30:31]
.LBB405_3140:                           ;   in Loop: Header=BB405_1323 Depth=1
	s_or_b64 exec, exec, s[28:29]
.LBB405_3141:                           ;   in Loop: Header=BB405_1323 Depth=1
	s_or_b64 exec, exec, s[18:19]
	v_mul_f32_e32 v0, v23, v38
	v_and_b32_e32 v1, 0x7f800000, v0
	v_cmp_ne_u32_e64 s[8:9], s15, v1
                                        ; implicit-def: $vgpr50
	s_and_saveexec_b64 s[18:19], s[8:9]
	s_xor_b64 s[8:9], exec, s[18:19]
; %bb.3142:                             ;   in Loop: Header=BB405_1323 Depth=1
	v_bfe_u32 v1, v0, 16, 1
	v_add3_u32 v50, v0, v1, s25
                                        ; implicit-def: $vgpr0
; %bb.3143:                             ;   in Loop: Header=BB405_1323 Depth=1
	s_andn2_saveexec_b64 s[18:19], s[8:9]
; %bb.3144:                             ;   in Loop: Header=BB405_1323 Depth=1
	v_or_b32_e32 v1, 0x10000, v0
	v_cmp_eq_u32_sdwa s[8:9], v0, v37 src0_sel:WORD_0 src1_sel:DWORD
	v_cndmask_b32_e64 v50, v1, v0, s[8:9]
; %bb.3145:                             ;   in Loop: Header=BB405_1323 Depth=1
	s_or_b64 exec, exec, s[18:19]
	v_lshrrev_b32_e32 v36, 16, v36
	v_lshrrev_b32_e32 v38, 16, v45
	;; [unrolled: 1-line block ×8, first 2 shown]
	s_and_saveexec_b64 s[8:9], vcc
	s_cbranch_execz .LBB405_3147
; %bb.3146:                             ;   in Loop: Header=BB405_1323 Depth=1
	v_accvgpr_read_b32 v2, a31
	v_cmp_lt_i32_e32 vcc, v2, v49
	v_accvgpr_read_b32 v2, a37
	v_cndmask_b32_e32 v0, 0, v0, vcc
	v_cmp_lt_i32_e32 vcc, v2, v49
	v_accvgpr_read_b32 v2, a36
	v_cndmask_b32_e32 v1, 0, v1, vcc
	;; [unrolled: 3-line block ×6, first 2 shown]
	v_cmp_lt_i32_e32 vcc, v2, v49
	v_cndmask_b32_e32 v45, 0, v45, vcc
	v_cmp_lt_i32_e32 vcc, v17, v49
	v_cndmask_b32_e32 v55, 0, v55, vcc
.LBB405_3147:                           ;   in Loop: Header=BB405_1323 Depth=1
	s_or_b64 exec, exec, s[8:9]
	v_lshlrev_b32_e32 v0, 16, v0
	v_accvgpr_read_b32 v2, a38
	v_mul_f32_e32 v2, v2, v0
	v_and_b32_e32 v0, 0x7f800000, v2
	v_cmp_ne_u32_e32 vcc, s15, v0
                                        ; implicit-def: $vgpr0
	s_and_saveexec_b64 s[8:9], vcc
	s_xor_b64 s[8:9], exec, s[8:9]
; %bb.3148:                             ;   in Loop: Header=BB405_1323 Depth=1
	v_bfe_u32 v0, v2, 16, 1
	v_add3_u32 v0, v2, v0, s25
                                        ; implicit-def: $vgpr2
; %bb.3149:                             ;   in Loop: Header=BB405_1323 Depth=1
	s_andn2_saveexec_b64 s[8:9], s[8:9]
; %bb.3150:                             ;   in Loop: Header=BB405_1323 Depth=1
	v_or_b32_e32 v0, 0x10000, v2
	v_cmp_eq_u32_sdwa vcc, v2, v37 src0_sel:WORD_0 src1_sel:DWORD
	v_cndmask_b32_e32 v0, v0, v2, vcc
; %bb.3151:                             ;   in Loop: Header=BB405_1323 Depth=1
	s_or_b64 exec, exec, s[8:9]
	v_lshlrev_b32_e32 v1, 16, v1
	v_accvgpr_read_b32 v2, a39
	v_mul_f32_e32 v2, v2, v1
	v_and_b32_e32 v1, 0x7f800000, v2
	v_cmp_ne_u32_e32 vcc, s15, v1
                                        ; implicit-def: $vgpr1
	s_and_saveexec_b64 s[8:9], vcc
	s_xor_b64 s[8:9], exec, s[8:9]
; %bb.3152:                             ;   in Loop: Header=BB405_1323 Depth=1
	v_bfe_u32 v1, v2, 16, 1
	v_add3_u32 v1, v2, v1, s25
                                        ; implicit-def: $vgpr2
; %bb.3153:                             ;   in Loop: Header=BB405_1323 Depth=1
	s_andn2_saveexec_b64 s[8:9], s[8:9]
; %bb.3154:                             ;   in Loop: Header=BB405_1323 Depth=1
	v_or_b32_e32 v1, 0x10000, v2
	v_cmp_eq_u32_sdwa vcc, v2, v37 src0_sel:WORD_0 src1_sel:DWORD
	v_cndmask_b32_e32 v1, v1, v2, vcc
; %bb.3155:                             ;   in Loop: Header=BB405_1323 Depth=1
	s_or_b64 exec, exec, s[8:9]
	v_lshlrev_b32_e32 v2, 16, v48
	v_accvgpr_read_b32 v4, a40
	v_mul_f32_e32 v4, v4, v2
	v_and_b32_e32 v2, 0x7f800000, v4
	v_cmp_ne_u32_e32 vcc, s15, v2
                                        ; implicit-def: $vgpr2
	s_and_saveexec_b64 s[8:9], vcc
	s_xor_b64 s[8:9], exec, s[8:9]
; %bb.3156:                             ;   in Loop: Header=BB405_1323 Depth=1
	v_bfe_u32 v2, v4, 16, 1
	v_add3_u32 v2, v4, v2, s25
                                        ; implicit-def: $vgpr4
; %bb.3157:                             ;   in Loop: Header=BB405_1323 Depth=1
	s_andn2_saveexec_b64 s[8:9], s[8:9]
; %bb.3158:                             ;   in Loop: Header=BB405_1323 Depth=1
	v_or_b32_e32 v2, 0x10000, v4
	v_cmp_eq_u32_sdwa vcc, v4, v37 src0_sel:WORD_0 src1_sel:DWORD
	v_cndmask_b32_e32 v2, v2, v4, vcc
; %bb.3159:                             ;   in Loop: Header=BB405_1323 Depth=1
	s_or_b64 exec, exec, s[8:9]
	v_lshlrev_b32_e32 v4, 16, v46
	v_accvgpr_read_b32 v5, a41
	v_mul_f32_e32 v5, v5, v4
	v_and_b32_e32 v4, 0x7f800000, v5
	v_cmp_ne_u32_e32 vcc, s15, v4
                                        ; implicit-def: $vgpr4
	s_and_saveexec_b64 s[8:9], vcc
	s_xor_b64 s[8:9], exec, s[8:9]
; %bb.3160:                             ;   in Loop: Header=BB405_1323 Depth=1
	v_bfe_u32 v4, v5, 16, 1
	v_add3_u32 v4, v5, v4, s25
                                        ; implicit-def: $vgpr5
; %bb.3161:                             ;   in Loop: Header=BB405_1323 Depth=1
	s_andn2_saveexec_b64 s[8:9], s[8:9]
; %bb.3162:                             ;   in Loop: Header=BB405_1323 Depth=1
	v_or_b32_e32 v4, 0x10000, v5
	v_cmp_eq_u32_sdwa vcc, v5, v37 src0_sel:WORD_0 src1_sel:DWORD
	v_cndmask_b32_e32 v4, v4, v5, vcc
; %bb.3163:                             ;   in Loop: Header=BB405_1323 Depth=1
	s_or_b64 exec, exec, s[8:9]
	v_lshlrev_b32_e32 v5, 16, v38
	v_accvgpr_read_b32 v38, a42
	v_mul_f32_e32 v38, v38, v5
	v_and_b32_e32 v5, 0x7f800000, v38
	v_cmp_ne_u32_e32 vcc, s15, v5
                                        ; implicit-def: $vgpr5
	s_and_saveexec_b64 s[8:9], vcc
	s_xor_b64 s[8:9], exec, s[8:9]
; %bb.3164:                             ;   in Loop: Header=BB405_1323 Depth=1
	v_bfe_u32 v5, v38, 16, 1
	v_add3_u32 v5, v38, v5, s25
                                        ; implicit-def: $vgpr38
; %bb.3165:                             ;   in Loop: Header=BB405_1323 Depth=1
	s_andn2_saveexec_b64 s[8:9], s[8:9]
; %bb.3166:                             ;   in Loop: Header=BB405_1323 Depth=1
	v_or_b32_e32 v5, 0x10000, v38
	v_cmp_eq_u32_sdwa vcc, v38, v37 src0_sel:WORD_0 src1_sel:DWORD
	v_cndmask_b32_e32 v5, v5, v38, vcc
; %bb.3167:                             ;   in Loop: Header=BB405_1323 Depth=1
	s_or_b64 exec, exec, s[8:9]
	v_lshlrev_b32_e32 v36, 16, v36
	v_accvgpr_read_b32 v38, a43
	v_mul_f32_e32 v38, v38, v36
	v_and_b32_e32 v36, 0x7f800000, v38
	v_cmp_ne_u32_e32 vcc, s15, v36
                                        ; implicit-def: $vgpr36
	s_and_saveexec_b64 s[8:9], vcc
	s_xor_b64 s[8:9], exec, s[8:9]
; %bb.3168:                             ;   in Loop: Header=BB405_1323 Depth=1
	v_bfe_u32 v36, v38, 16, 1
	v_add3_u32 v36, v38, v36, s25
                                        ; implicit-def: $vgpr38
; %bb.3169:                             ;   in Loop: Header=BB405_1323 Depth=1
	s_andn2_saveexec_b64 s[8:9], s[8:9]
; %bb.3170:                             ;   in Loop: Header=BB405_1323 Depth=1
	v_or_b32_e32 v36, 0x10000, v38
	v_cmp_eq_u32_sdwa vcc, v38, v37 src0_sel:WORD_0 src1_sel:DWORD
	v_cndmask_b32_e32 v36, v36, v38, vcc
; %bb.3171:                             ;   in Loop: Header=BB405_1323 Depth=1
	s_or_b64 exec, exec, s[8:9]
	v_lshlrev_b32_e32 v38, 16, v45
	v_accvgpr_read_b32 v48, a44
	v_mul_f32_e32 v48, v48, v38
	v_and_b32_e32 v38, 0x7f800000, v48
	v_cmp_ne_u32_e32 vcc, s15, v38
                                        ; implicit-def: $vgpr38
	s_and_saveexec_b64 s[8:9], vcc
	s_xor_b64 s[8:9], exec, s[8:9]
; %bb.3172:                             ;   in Loop: Header=BB405_1323 Depth=1
	v_bfe_u32 v38, v48, 16, 1
	v_add3_u32 v38, v48, v38, s25
                                        ; implicit-def: $vgpr48
; %bb.3173:                             ;   in Loop: Header=BB405_1323 Depth=1
	s_andn2_saveexec_b64 s[8:9], s[8:9]
; %bb.3174:                             ;   in Loop: Header=BB405_1323 Depth=1
	v_or_b32_e32 v38, 0x10000, v48
	v_cmp_eq_u32_sdwa vcc, v48, v37 src0_sel:WORD_0 src1_sel:DWORD
	v_cndmask_b32_e32 v38, v38, v48, vcc
; %bb.3175:                             ;   in Loop: Header=BB405_1323 Depth=1
	s_or_b64 exec, exec, s[8:9]
	v_lshlrev_b32_e32 v48, 16, v55
	v_mul_f32_e32 v50, v52, v48
	v_and_b32_e32 v48, 0x7f800000, v50
	v_cmp_ne_u32_e32 vcc, s15, v48
                                        ; implicit-def: $vgpr48
	s_and_saveexec_b64 s[8:9], vcc
	s_xor_b64 s[8:9], exec, s[8:9]
; %bb.3176:                             ;   in Loop: Header=BB405_1323 Depth=1
	v_bfe_u32 v48, v50, 16, 1
	v_add3_u32 v48, v50, v48, s25
                                        ; implicit-def: $vgpr50
; %bb.3177:                             ;   in Loop: Header=BB405_1323 Depth=1
	s_andn2_saveexec_b64 s[8:9], s[8:9]
	s_cbranch_execz .LBB405_1322
; %bb.3178:                             ;   in Loop: Header=BB405_1323 Depth=1
	v_or_b32_e32 v48, 0x10000, v50
	v_cmp_eq_u32_sdwa vcc, v50, v37 src0_sel:WORD_0 src1_sel:DWORD
	v_cndmask_b32_e32 v48, v48, v50, vcc
	s_branch .LBB405_1322
.LBB405_3179:
	s_or_b64 exec, exec, s[16:17]
	buffer_load_dword v36, off, s[0:3], s32 offset:496 ; 4-byte Folded Reload
	buffer_load_dword v37, off, s[0:3], s32 offset:492 ; 4-byte Folded Reload
	;; [unrolled: 1-line block ×4, first 2 shown]
.LBB405_3180:
	s_or_b64 exec, exec, s[10:11]
	s_waitcnt vmcnt(0)
	ds_bpermute_b32 v0, v22, v34
	ds_bpermute_b32 v1, v22, v35
	;; [unrolled: 1-line block ×6, first 2 shown]
	s_waitcnt lgkmcnt(0)
	v_pk_add_f32 v[0:1], v[34:35], v[0:1]
	ds_bpermute_b32 v4, v23, v0
	ds_bpermute_b32 v5, v23, v1
	v_pk_add_f32 v[2:3], v[32:33], v[2:3]
	v_mov_b32_e32 v32, v23
	ds_bpermute_b32 v8, v23, v2
	ds_bpermute_b32 v9, v32, v3
	v_mov_b32_e32 v27, v22
	s_waitcnt lgkmcnt(2)
	v_pk_add_f32 v[22:23], v[0:1], v[4:5]
	v_pk_add_f32 v[0:1], v[30:31], v[6:7]
	ds_bpermute_b32 v4, v32, v0
	ds_bpermute_b32 v5, v32, v1
	;; [unrolled: 1-line block ×6, first 2 shown]
	s_waitcnt lgkmcnt(6)
	v_pk_add_f32 v[16:17], v[2:3], v[8:9]
	ds_bpermute_b32 v2, v27, v24
	ds_bpermute_b32 v3, v27, v25
	s_waitcnt lgkmcnt(6)
	v_pk_add_f32 v[14:15], v[0:1], v[4:5]
	s_waitcnt lgkmcnt(4)
	v_pk_add_f32 v[0:1], v[28:29], v[6:7]
	;; [unrolled: 2-line block ×3, first 2 shown]
	ds_bpermute_b32 v4, v32, v0
	ds_bpermute_b32 v5, v32, v1
	s_waitcnt lgkmcnt(2)
	v_pk_add_f32 v[2:3], v[24:25], v[2:3]
	ds_bpermute_b32 v24, v32, v18
	ds_bpermute_b32 v25, v32, v19
	s_waitcnt lgkmcnt(0)
	v_pk_add_f32 v[10:11], v[0:1], v[4:5]
	s_barrier
	v_pk_add_f32 v[0:1], v[18:19], v[24:25]
	buffer_load_dword v18, off, s[0:3], s32 offset:876 ; 4-byte Folded Reload
	ds_bpermute_b32 v6, v27, v20
	ds_bpermute_b32 v7, v27, v21
	;; [unrolled: 1-line block ×6, first 2 shown]
	s_waitcnt lgkmcnt(4)
	v_pk_add_f32 v[6:7], v[20:21], v[6:7]
	ds_bpermute_b32 v20, v32, v6
	ds_bpermute_b32 v21, v32, v7
	s_waitcnt lgkmcnt(4)
	v_pk_add_f32 v[8:9], v[2:3], v[8:9]
	s_waitcnt lgkmcnt(2)
	v_pk_add_f32 v[2:3], v[12:13], v[26:27]
	ds_bpermute_b32 v12, v32, v2
	ds_bpermute_b32 v13, v32, v3
	s_waitcnt lgkmcnt(2)
	v_pk_add_f32 v[6:7], v[6:7], v[20:21]
	s_waitcnt vmcnt(0)
	v_and_b32_e32 v4, 0x3c3, v18
	v_cmp_ne_u32_e32 vcc, 64, v4
	s_and_saveexec_b64 s[8:9], vcc
	s_xor_b64 s[8:9], exec, s[8:9]
; %bb.3181:
                                        ; implicit-def: $vgpr37
; %bb.3182:
	s_or_saveexec_b64 s[8:9], s[8:9]
	s_waitcnt lgkmcnt(0)
	v_pk_add_f32 v[2:3], v[2:3], v[12:13]
	s_xor_b64 exec, exec, s[8:9]
	s_cbranch_execz .LBB405_3184
; %bb.3183:
	s_ashr_i32 s25, s24, 31
	s_lshl_b64 s[10:11], s[24:25], 2
	s_getpc_b64 s[12:13]
	s_add_u32 s12, s12, llvm.amdgcn.dynlds.offset.table@rel32@lo+4
	s_addc_u32 s13, s13, llvm.amdgcn.dynlds.offset.table@rel32@hi+12
	s_add_u32 s10, s10, s12
	s_addc_u32 s11, s11, s13
	s_load_dword s10, s[10:11], 0x0
	s_waitcnt lgkmcnt(0)
	v_add_u32_e32 v4, s10, v37
	ds_write2_b32 v4, v22, v23 offset1:16
	ds_write2_b32 v4, v16, v17 offset0:32 offset1:48
	ds_write2_b32 v4, v14, v15 offset0:64 offset1:80
	;; [unrolled: 1-line block ×7, first 2 shown]
.LBB405_3184:
	s_or_b64 exec, exec, s[8:9]
	s_waitcnt lgkmcnt(0)
	s_barrier
	s_and_saveexec_b64 s[8:9], s[6:7]
	s_xor_b64 s[6:7], exec, s[8:9]
	s_andn2_saveexec_b64 s[6:7], s[6:7]
	s_cbranch_execz .LBB405_3203
; %bb.3185:
	v_cmp_eq_u32_e32 vcc, 0, v36
	v_lshrrev_b32_e32 v4, 2, v18
	s_and_saveexec_b64 s[8:9], vcc
	s_cbranch_execnz .LBB405_3271
; %bb.3186:
	s_or_b64 exec, exec, s[8:9]
	s_and_saveexec_b64 s[8:9], vcc
	s_cbranch_execnz .LBB405_3272
.LBB405_3187:
	s_or_b64 exec, exec, s[8:9]
	s_and_saveexec_b64 s[8:9], vcc
	s_cbranch_execnz .LBB405_3273
.LBB405_3188:
	s_or_b64 exec, exec, s[8:9]
	s_and_saveexec_b64 s[8:9], vcc
	s_cbranch_execnz .LBB405_3274
.LBB405_3189:
	s_or_b64 exec, exec, s[8:9]
	s_and_saveexec_b64 s[8:9], vcc
	s_cbranch_execnz .LBB405_3275
.LBB405_3190:
	s_or_b64 exec, exec, s[8:9]
	s_and_saveexec_b64 s[8:9], vcc
	s_cbranch_execnz .LBB405_3276
.LBB405_3191:
	s_or_b64 exec, exec, s[8:9]
	s_and_saveexec_b64 s[8:9], vcc
	s_cbranch_execnz .LBB405_3277
.LBB405_3192:
	s_or_b64 exec, exec, s[8:9]
	s_and_saveexec_b64 s[8:9], vcc
	s_cbranch_execnz .LBB405_3278
.LBB405_3193:
	s_or_b64 exec, exec, s[8:9]
	s_and_saveexec_b64 s[8:9], vcc
	s_cbranch_execnz .LBB405_3279
.LBB405_3194:
	s_or_b64 exec, exec, s[8:9]
	s_and_saveexec_b64 s[8:9], vcc
	s_cbranch_execnz .LBB405_3280
.LBB405_3195:
	s_or_b64 exec, exec, s[8:9]
	s_and_saveexec_b64 s[8:9], vcc
	s_cbranch_execnz .LBB405_3281
.LBB405_3196:
	s_or_b64 exec, exec, s[8:9]
	s_and_saveexec_b64 s[8:9], vcc
	s_cbranch_execnz .LBB405_3282
.LBB405_3197:
	s_or_b64 exec, exec, s[8:9]
	s_and_saveexec_b64 s[8:9], vcc
	s_cbranch_execnz .LBB405_3283
.LBB405_3198:
	s_or_b64 exec, exec, s[8:9]
	s_and_saveexec_b64 s[8:9], vcc
	s_cbranch_execnz .LBB405_3284
.LBB405_3199:
	s_or_b64 exec, exec, s[8:9]
	s_and_saveexec_b64 s[8:9], vcc
	s_cbranch_execnz .LBB405_3285
.LBB405_3200:
	s_or_b64 exec, exec, s[8:9]
	s_and_saveexec_b64 s[8:9], vcc
	s_cbranch_execz .LBB405_3202
.LBB405_3201:
	s_ashr_i32 s25, s24, 31
	s_lshl_b64 s[10:11], s[24:25], 2
	s_getpc_b64 s[12:13]
	s_add_u32 s12, s12, llvm.amdgcn.dynlds.offset.table@rel32@lo+4
	s_addc_u32 s13, s13, llvm.amdgcn.dynlds.offset.table@rel32@hi+12
	s_add_u32 s10, s10, s12
	s_addc_u32 s11, s11, s13
	s_load_dword s10, s[10:11], 0x0
	s_waitcnt lgkmcnt(0)
	v_lshl_add_u32 v4, v4, 2, s10
	ds_read_b32 v4, v4 offset:960
	s_waitcnt lgkmcnt(0)
	v_add_f32_e32 v3, v4, v3
.LBB405_3202:
	s_or_b64 exec, exec, s[8:9]
.LBB405_3203:
	s_or_b64 exec, exec, s[6:7]
	s_barrier
	s_and_b64 exec, exec, s[4:5]
	s_cbranch_execz .LBB405_3270
; %bb.3204:
	v_cmp_eq_u32_e32 vcc, 0, v36
	s_and_b64 exec, exec, vcc
	s_cbranch_execz .LBB405_3270
; %bb.3205:
	s_mov_b32 s4, 0x7f800000
	v_and_b32_e32 v4, 0x7f800000, v22
	v_cmp_ne_u32_e32 vcc, s4, v4
                                        ; implicit-def: $vgpr12
	s_and_saveexec_b64 s[4:5], vcc
	s_xor_b64 s[4:5], exec, s[4:5]
; %bb.3206:
	v_bfe_u32 v4, v22, 16, 1
	s_movk_i32 s6, 0x7fff
	v_add3_u32 v12, v22, v4, s6
; %bb.3207:
	s_andn2_saveexec_b64 s[4:5], s[4:5]
; %bb.3208:
	v_mov_b32_e32 v4, 0
	v_or_b32_e32 v5, 0x10000, v22
	v_cmp_eq_u32_sdwa vcc, v22, v4 src0_sel:WORD_0 src1_sel:DWORD
	v_cndmask_b32_e32 v12, v5, v22, vcc
; %bb.3209:
	s_or_b64 exec, exec, s[4:5]
	buffer_load_dword v5, off, s[0:3], s32 offset:892 ; 4-byte Folded Reload
	buffer_load_dword v13, off, s[0:3], s32 offset:888 ; 4-byte Folded Reload
	s_mul_i32 s4, s27, s22
	s_mul_i32 s4, s4, s23
	s_lshl_b32 s4, s4, 8
	s_mul_i32 s6, s26, s27
	s_lshl_b32 s8, s14, 8
	s_ashr_i32 s5, s4, 31
	s_ashr_i32 s7, s6, 31
	;; [unrolled: 1-line block ×3, first 2 shown]
	s_lshl_b64 s[4:5], s[4:5], 1
	s_lshl_b64 s[6:7], s[6:7], 1
	;; [unrolled: 1-line block ×3, first 2 shown]
	s_add_u32 s6, s8, s6
	s_addc_u32 s7, s9, s7
	s_add_u32 s4, s6, s4
	s_addc_u32 s5, s7, s5
	v_mov_b32_e32 v4, s5
	s_waitcnt vmcnt(1)
	v_add_co_u32_e32 v5, vcc, s4, v5
	s_waitcnt vmcnt(0)
	v_addc_co_u32_e32 v13, vcc, v4, v13, vcc
	v_lshrrev_b32_e32 v4, 1, v18
	v_and_b32_e32 v4, 0x1fe, v4
	v_add_co_u32_e32 v4, vcc, v5, v4
	v_addc_co_u32_e32 v5, vcc, 0, v13, vcc
	flat_store_short_d16_hi v[4:5], v12
	s_mov_b32 s4, 0x7f800000
	v_and_b32_e32 v12, 0x7f800000, v23
	v_cmp_ne_u32_e32 vcc, s4, v12
                                        ; implicit-def: $vgpr12
	s_and_saveexec_b64 s[4:5], vcc
	s_xor_b64 s[4:5], exec, s[4:5]
; %bb.3210:
	v_bfe_u32 v12, v23, 16, 1
	s_movk_i32 s6, 0x7fff
	v_add3_u32 v12, v23, v12, s6
                                        ; implicit-def: $vgpr22_vgpr23
; %bb.3211:
	s_andn2_saveexec_b64 s[4:5], s[4:5]
; %bb.3212:
	v_mov_b32_e32 v12, 0
	v_or_b32_e32 v13, 0x10000, v23
	v_cmp_eq_u32_sdwa vcc, v23, v12 src0_sel:WORD_0 src1_sel:DWORD
	v_cndmask_b32_e32 v12, v13, v23, vcc
; %bb.3213:
	s_or_b64 exec, exec, s[4:5]
	flat_store_short_d16_hi v[4:5], v12 offset:32
	s_mov_b32 s4, 0x7f800000
	v_and_b32_e32 v12, 0x7f800000, v16
	v_cmp_ne_u32_e32 vcc, s4, v12
                                        ; implicit-def: $vgpr12
	s_and_saveexec_b64 s[4:5], vcc
	s_xor_b64 s[4:5], exec, s[4:5]
; %bb.3214:
	v_bfe_u32 v12, v16, 16, 1
	s_movk_i32 s6, 0x7fff
	v_add3_u32 v12, v16, v12, s6
; %bb.3215:
	s_andn2_saveexec_b64 s[4:5], s[4:5]
; %bb.3216:
	v_mov_b32_e32 v12, 0
	v_or_b32_e32 v13, 0x10000, v16
	v_cmp_eq_u32_sdwa vcc, v16, v12 src0_sel:WORD_0 src1_sel:DWORD
	v_cndmask_b32_e32 v12, v13, v16, vcc
; %bb.3217:
	s_or_b64 exec, exec, s[4:5]
	flat_store_short_d16_hi v[4:5], v12 offset:64
	s_mov_b32 s4, 0x7f800000
	v_and_b32_e32 v12, 0x7f800000, v17
	v_cmp_ne_u32_e32 vcc, s4, v12
                                        ; implicit-def: $vgpr12
	s_and_saveexec_b64 s[4:5], vcc
	s_xor_b64 s[4:5], exec, s[4:5]
; %bb.3218:
	v_bfe_u32 v12, v17, 16, 1
	s_movk_i32 s6, 0x7fff
	v_add3_u32 v12, v17, v12, s6
                                        ; implicit-def: $vgpr16_vgpr17
; %bb.3219:
	s_andn2_saveexec_b64 s[4:5], s[4:5]
; %bb.3220:
	v_mov_b32_e32 v12, 0
	v_or_b32_e32 v13, 0x10000, v17
	v_cmp_eq_u32_sdwa vcc, v17, v12 src0_sel:WORD_0 src1_sel:DWORD
	v_cndmask_b32_e32 v12, v13, v17, vcc
; %bb.3221:
	s_or_b64 exec, exec, s[4:5]
	flat_store_short_d16_hi v[4:5], v12 offset:96
	s_mov_b32 s4, 0x7f800000
	v_and_b32_e32 v12, 0x7f800000, v14
	v_cmp_ne_u32_e32 vcc, s4, v12
                                        ; implicit-def: $vgpr12
	s_and_saveexec_b64 s[4:5], vcc
	s_xor_b64 s[4:5], exec, s[4:5]
; %bb.3222:
	v_bfe_u32 v12, v14, 16, 1
	s_movk_i32 s6, 0x7fff
	v_add3_u32 v12, v14, v12, s6
; %bb.3223:
	s_andn2_saveexec_b64 s[4:5], s[4:5]
; %bb.3224:
	v_mov_b32_e32 v12, 0
	v_or_b32_e32 v13, 0x10000, v14
	v_cmp_eq_u32_sdwa vcc, v14, v12 src0_sel:WORD_0 src1_sel:DWORD
	v_cndmask_b32_e32 v12, v13, v14, vcc
; %bb.3225:
	s_or_b64 exec, exec, s[4:5]
	flat_store_short_d16_hi v[4:5], v12 offset:128
	s_mov_b32 s4, 0x7f800000
	v_and_b32_e32 v12, 0x7f800000, v15
	v_cmp_ne_u32_e32 vcc, s4, v12
                                        ; implicit-def: $vgpr12
	s_and_saveexec_b64 s[4:5], vcc
	s_xor_b64 s[4:5], exec, s[4:5]
; %bb.3226:
	v_bfe_u32 v12, v15, 16, 1
	s_movk_i32 s6, 0x7fff
	v_add3_u32 v12, v15, v12, s6
                                        ; implicit-def: $vgpr14_vgpr15
; %bb.3227:
	s_andn2_saveexec_b64 s[4:5], s[4:5]
; %bb.3228:
	v_mov_b32_e32 v12, 0
	v_or_b32_e32 v13, 0x10000, v15
	v_cmp_eq_u32_sdwa vcc, v15, v12 src0_sel:WORD_0 src1_sel:DWORD
	v_cndmask_b32_e32 v12, v13, v15, vcc
; %bb.3229:
	s_or_b64 exec, exec, s[4:5]
	flat_store_short_d16_hi v[4:5], v12 offset:160
	s_mov_b32 s4, 0x7f800000
	v_and_b32_e32 v12, 0x7f800000, v10
	v_cmp_ne_u32_e32 vcc, s4, v12
                                        ; implicit-def: $vgpr12
	s_and_saveexec_b64 s[4:5], vcc
	s_xor_b64 s[4:5], exec, s[4:5]
; %bb.3230:
	v_bfe_u32 v12, v10, 16, 1
	s_movk_i32 s6, 0x7fff
	v_add3_u32 v12, v10, v12, s6
; %bb.3231:
	s_andn2_saveexec_b64 s[4:5], s[4:5]
; %bb.3232:
	v_mov_b32_e32 v12, 0
	v_or_b32_e32 v13, 0x10000, v10
	v_cmp_eq_u32_sdwa vcc, v10, v12 src0_sel:WORD_0 src1_sel:DWORD
	v_cndmask_b32_e32 v12, v13, v10, vcc
; %bb.3233:
	s_or_b64 exec, exec, s[4:5]
	s_mov_b32 s4, 0x7f800000
	v_and_b32_e32 v10, 0x7f800000, v11
	v_cmp_ne_u32_e32 vcc, s4, v10
	flat_store_short_d16_hi v[4:5], v12 offset:192
                                        ; implicit-def: $vgpr12
	s_and_saveexec_b64 s[4:5], vcc
	s_xor_b64 s[4:5], exec, s[4:5]
; %bb.3234:
	v_bfe_u32 v10, v11, 16, 1
	s_movk_i32 s6, 0x7fff
	v_add3_u32 v12, v11, v10, s6
                                        ; implicit-def: $vgpr10_vgpr11
; %bb.3235:
	s_andn2_saveexec_b64 s[4:5], s[4:5]
; %bb.3236:
	v_mov_b32_e32 v10, 0
	v_or_b32_e32 v12, 0x10000, v11
	v_cmp_eq_u32_sdwa vcc, v11, v10 src0_sel:WORD_0 src1_sel:DWORD
	v_cndmask_b32_e32 v12, v12, v11, vcc
; %bb.3237:
	s_or_b64 exec, exec, s[4:5]
	s_mov_b32 s4, 0x7f800000
	v_and_b32_e32 v10, 0x7f800000, v8
	v_cmp_ne_u32_e32 vcc, s4, v10
	flat_store_short_d16_hi v[4:5], v12 offset:224
                                        ; implicit-def: $vgpr10
	s_and_saveexec_b64 s[4:5], vcc
	s_xor_b64 s[4:5], exec, s[4:5]
; %bb.3238:
	v_bfe_u32 v10, v8, 16, 1
	s_movk_i32 s6, 0x7fff
	v_add3_u32 v10, v8, v10, s6
; %bb.3239:
	s_andn2_saveexec_b64 s[4:5], s[4:5]
; %bb.3240:
	v_mov_b32_e32 v10, 0
	v_or_b32_e32 v11, 0x10000, v8
	v_cmp_eq_u32_sdwa vcc, v8, v10 src0_sel:WORD_0 src1_sel:DWORD
	v_cndmask_b32_e32 v10, v11, v8, vcc
; %bb.3241:
	s_or_b64 exec, exec, s[4:5]
	s_mov_b32 s4, 0x7f800000
	v_and_b32_e32 v8, 0x7f800000, v9
	v_cmp_ne_u32_e32 vcc, s4, v8
	flat_store_short_d16_hi v[4:5], v10 offset:256
                                        ; implicit-def: $vgpr10
	s_and_saveexec_b64 s[4:5], vcc
	s_xor_b64 s[4:5], exec, s[4:5]
; %bb.3242:
	v_bfe_u32 v8, v9, 16, 1
	s_movk_i32 s6, 0x7fff
	v_add3_u32 v10, v9, v8, s6
                                        ; implicit-def: $vgpr8_vgpr9
; %bb.3243:
	s_andn2_saveexec_b64 s[4:5], s[4:5]
; %bb.3244:
	v_mov_b32_e32 v8, 0
	v_or_b32_e32 v10, 0x10000, v9
	v_cmp_eq_u32_sdwa vcc, v9, v8 src0_sel:WORD_0 src1_sel:DWORD
	v_cndmask_b32_e32 v10, v10, v9, vcc
; %bb.3245:
	s_or_b64 exec, exec, s[4:5]
	s_mov_b32 s4, 0x7f800000
	v_and_b32_e32 v8, 0x7f800000, v6
	v_cmp_ne_u32_e32 vcc, s4, v8
	flat_store_short_d16_hi v[4:5], v10 offset:288
                                        ; implicit-def: $vgpr8
	s_and_saveexec_b64 s[4:5], vcc
	s_xor_b64 s[4:5], exec, s[4:5]
; %bb.3246:
	v_bfe_u32 v8, v6, 16, 1
	s_movk_i32 s6, 0x7fff
	v_add3_u32 v8, v6, v8, s6
; %bb.3247:
	s_andn2_saveexec_b64 s[4:5], s[4:5]
; %bb.3248:
	v_mov_b32_e32 v8, 0
	v_or_b32_e32 v9, 0x10000, v6
	v_cmp_eq_u32_sdwa vcc, v6, v8 src0_sel:WORD_0 src1_sel:DWORD
	v_cndmask_b32_e32 v8, v9, v6, vcc
; %bb.3249:
	s_or_b64 exec, exec, s[4:5]
	s_mov_b32 s4, 0x7f800000
	v_and_b32_e32 v6, 0x7f800000, v7
	v_cmp_ne_u32_e32 vcc, s4, v6
	flat_store_short_d16_hi v[4:5], v8 offset:320
                                        ; implicit-def: $vgpr8
	s_and_saveexec_b64 s[4:5], vcc
	s_xor_b64 s[4:5], exec, s[4:5]
; %bb.3250:
	v_bfe_u32 v6, v7, 16, 1
	s_movk_i32 s6, 0x7fff
	v_add3_u32 v8, v7, v6, s6
                                        ; implicit-def: $vgpr6_vgpr7
; %bb.3251:
	s_andn2_saveexec_b64 s[4:5], s[4:5]
; %bb.3252:
	v_mov_b32_e32 v6, 0
	v_or_b32_e32 v8, 0x10000, v7
	v_cmp_eq_u32_sdwa vcc, v7, v6 src0_sel:WORD_0 src1_sel:DWORD
	v_cndmask_b32_e32 v8, v8, v7, vcc
; %bb.3253:
	s_or_b64 exec, exec, s[4:5]
	s_mov_b32 s4, 0x7f800000
	v_and_b32_e32 v6, 0x7f800000, v0
	v_cmp_ne_u32_e32 vcc, s4, v6
	flat_store_short_d16_hi v[4:5], v8 offset:352
                                        ; implicit-def: $vgpr6
	s_and_saveexec_b64 s[4:5], vcc
	s_xor_b64 s[4:5], exec, s[4:5]
; %bb.3254:
	v_bfe_u32 v6, v0, 16, 1
	s_movk_i32 s6, 0x7fff
	v_add3_u32 v6, v0, v6, s6
; %bb.3255:
	s_andn2_saveexec_b64 s[4:5], s[4:5]
; %bb.3256:
	v_mov_b32_e32 v6, 0
	v_or_b32_e32 v7, 0x10000, v0
	v_cmp_eq_u32_sdwa vcc, v0, v6 src0_sel:WORD_0 src1_sel:DWORD
	v_cndmask_b32_e32 v6, v7, v0, vcc
; %bb.3257:
	s_or_b64 exec, exec, s[4:5]
	s_mov_b32 s4, 0x7f800000
	v_and_b32_e32 v0, 0x7f800000, v1
	v_cmp_ne_u32_e32 vcc, s4, v0
	flat_store_short_d16_hi v[4:5], v6 offset:384
                                        ; implicit-def: $vgpr6
	s_and_saveexec_b64 s[4:5], vcc
	s_xor_b64 s[4:5], exec, s[4:5]
; %bb.3258:
	v_bfe_u32 v0, v1, 16, 1
	s_movk_i32 s6, 0x7fff
	v_add3_u32 v6, v1, v0, s6
                                        ; implicit-def: $vgpr0_vgpr1
; %bb.3259:
	s_andn2_saveexec_b64 s[4:5], s[4:5]
; %bb.3260:
	v_mov_b32_e32 v0, 0
	v_or_b32_e32 v6, 0x10000, v1
	v_cmp_eq_u32_sdwa vcc, v1, v0 src0_sel:WORD_0 src1_sel:DWORD
	v_cndmask_b32_e32 v6, v6, v1, vcc
; %bb.3261:
	s_or_b64 exec, exec, s[4:5]
	s_mov_b32 s4, 0x7f800000
	v_and_b32_e32 v0, 0x7f800000, v2
	v_cmp_ne_u32_e32 vcc, s4, v0
	flat_store_short_d16_hi v[4:5], v6 offset:416
                                        ; implicit-def: $vgpr0
	s_and_saveexec_b64 s[4:5], vcc
	s_xor_b64 s[4:5], exec, s[4:5]
; %bb.3262:
	v_bfe_u32 v0, v2, 16, 1
	s_movk_i32 s6, 0x7fff
	v_add3_u32 v0, v2, v0, s6
; %bb.3263:
	s_andn2_saveexec_b64 s[4:5], s[4:5]
; %bb.3264:
	v_mov_b32_e32 v0, 0
	v_or_b32_e32 v1, 0x10000, v2
	v_cmp_eq_u32_sdwa vcc, v2, v0 src0_sel:WORD_0 src1_sel:DWORD
	v_cndmask_b32_e32 v0, v1, v2, vcc
; %bb.3265:
	s_or_b64 exec, exec, s[4:5]
	flat_store_short_d16_hi v[4:5], v0 offset:448
	s_mov_b32 s4, 0x7f800000
	v_and_b32_e32 v0, 0x7f800000, v3
	v_cmp_ne_u32_e32 vcc, s4, v0
                                        ; implicit-def: $vgpr0
	s_and_saveexec_b64 s[4:5], vcc
	s_xor_b64 s[4:5], exec, s[4:5]
; %bb.3266:
	v_bfe_u32 v0, v3, 16, 1
	s_movk_i32 s6, 0x7fff
	v_add3_u32 v0, v3, v0, s6
                                        ; implicit-def: $vgpr2_vgpr3
; %bb.3267:
	s_andn2_saveexec_b64 s[4:5], s[4:5]
; %bb.3268:
	v_mov_b32_e32 v0, 0
	v_or_b32_e32 v1, 0x10000, v3
	v_cmp_eq_u32_sdwa vcc, v3, v0 src0_sel:WORD_0 src1_sel:DWORD
	v_cndmask_b32_e32 v0, v1, v3, vcc
; %bb.3269:
	s_or_b64 exec, exec, s[4:5]
	flat_store_short_d16_hi v[4:5], v0 offset:480
.LBB405_3270:
	s_or_b64 exec, exec, s[20:21]
	buffer_load_dword a63, off, s[0:3], s32 ; 4-byte Folded Reload
	buffer_load_dword a62, off, s[0:3], s32 offset:4 ; 4-byte Folded Reload
	buffer_load_dword a61, off, s[0:3], s32 offset:8 ; 4-byte Folded Reload
	;; [unrolled: 1-line block ×46, first 2 shown]
	v_readlane_b32 s30, v63, 11
	v_readlane_b32 s31, v63, 12
	v_readlane_b32 s44, v63, 10
	v_readlane_b32 s43, v63, 9
	v_readlane_b32 s42, v63, 8
	v_readlane_b32 s41, v63, 7
	v_readlane_b32 s40, v63, 6
	v_readlane_b32 s39, v63, 5
	v_readlane_b32 s38, v63, 4
	v_readlane_b32 s37, v63, 3
	v_readlane_b32 s36, v63, 2
	v_readlane_b32 s35, v63, 1
	v_readlane_b32 s34, v63, 0
	s_or_saveexec_b64 s[4:5], -1
	buffer_load_dword v63, off, s[0:3], s32 offset:952 ; 4-byte Folded Reload
	s_mov_b64 exec, s[4:5]
	s_waitcnt vmcnt(0) lgkmcnt(0)
	s_setpc_b64 s[30:31]
.LBB405_3271:
	s_ashr_i32 s25, s24, 31
	s_lshl_b64 s[10:11], s[24:25], 2
	s_getpc_b64 s[12:13]
	s_add_u32 s12, s12, llvm.amdgcn.dynlds.offset.table@rel32@lo+4
	s_addc_u32 s13, s13, llvm.amdgcn.dynlds.offset.table@rel32@hi+12
	s_add_u32 s10, s10, s12
	s_addc_u32 s11, s11, s13
	s_load_dword s10, s[10:11], 0x0
	s_waitcnt lgkmcnt(0)
	v_lshl_add_u32 v5, v4, 2, s10
	ds_read_b32 v5, v5
	s_waitcnt lgkmcnt(0)
	v_add_f32_e32 v22, v5, v22
	s_or_b64 exec, exec, s[8:9]
	s_and_saveexec_b64 s[8:9], vcc
	s_cbranch_execz .LBB405_3187
.LBB405_3272:
	s_ashr_i32 s25, s24, 31
	s_lshl_b64 s[10:11], s[24:25], 2
	s_getpc_b64 s[12:13]
	s_add_u32 s12, s12, llvm.amdgcn.dynlds.offset.table@rel32@lo+4
	s_addc_u32 s13, s13, llvm.amdgcn.dynlds.offset.table@rel32@hi+12
	s_add_u32 s10, s10, s12
	s_addc_u32 s11, s11, s13
	s_load_dword s10, s[10:11], 0x0
	s_waitcnt lgkmcnt(0)
	v_lshl_add_u32 v5, v4, 2, s10
	ds_read_b32 v5, v5 offset:64
	s_waitcnt lgkmcnt(0)
	v_add_f32_e32 v23, v5, v23
	s_or_b64 exec, exec, s[8:9]
	s_and_saveexec_b64 s[8:9], vcc
	s_cbranch_execz .LBB405_3188
.LBB405_3273:
	s_ashr_i32 s25, s24, 31
	s_lshl_b64 s[10:11], s[24:25], 2
	s_getpc_b64 s[12:13]
	s_add_u32 s12, s12, llvm.amdgcn.dynlds.offset.table@rel32@lo+4
	s_addc_u32 s13, s13, llvm.amdgcn.dynlds.offset.table@rel32@hi+12
	s_add_u32 s10, s10, s12
	s_addc_u32 s11, s11, s13
	s_load_dword s10, s[10:11], 0x0
	s_waitcnt lgkmcnt(0)
	v_lshl_add_u32 v5, v4, 2, s10
	ds_read_b32 v5, v5 offset:128
	s_waitcnt lgkmcnt(0)
	v_add_f32_e32 v16, v5, v16
	s_or_b64 exec, exec, s[8:9]
	s_and_saveexec_b64 s[8:9], vcc
	s_cbranch_execz .LBB405_3189
.LBB405_3274:
	s_ashr_i32 s25, s24, 31
	s_lshl_b64 s[10:11], s[24:25], 2
	s_getpc_b64 s[12:13]
	s_add_u32 s12, s12, llvm.amdgcn.dynlds.offset.table@rel32@lo+4
	s_addc_u32 s13, s13, llvm.amdgcn.dynlds.offset.table@rel32@hi+12
	s_add_u32 s10, s10, s12
	s_addc_u32 s11, s11, s13
	s_load_dword s10, s[10:11], 0x0
	s_waitcnt lgkmcnt(0)
	v_lshl_add_u32 v5, v4, 2, s10
	ds_read_b32 v5, v5 offset:192
	s_waitcnt lgkmcnt(0)
	v_add_f32_e32 v17, v5, v17
	s_or_b64 exec, exec, s[8:9]
	s_and_saveexec_b64 s[8:9], vcc
	s_cbranch_execz .LBB405_3190
.LBB405_3275:
	s_ashr_i32 s25, s24, 31
	s_lshl_b64 s[10:11], s[24:25], 2
	s_getpc_b64 s[12:13]
	s_add_u32 s12, s12, llvm.amdgcn.dynlds.offset.table@rel32@lo+4
	s_addc_u32 s13, s13, llvm.amdgcn.dynlds.offset.table@rel32@hi+12
	s_add_u32 s10, s10, s12
	s_addc_u32 s11, s11, s13
	s_load_dword s10, s[10:11], 0x0
	s_waitcnt lgkmcnt(0)
	v_lshl_add_u32 v5, v4, 2, s10
	ds_read_b32 v5, v5 offset:256
	s_waitcnt lgkmcnt(0)
	v_add_f32_e32 v14, v5, v14
	s_or_b64 exec, exec, s[8:9]
	s_and_saveexec_b64 s[8:9], vcc
	s_cbranch_execz .LBB405_3191
.LBB405_3276:
	s_ashr_i32 s25, s24, 31
	s_lshl_b64 s[10:11], s[24:25], 2
	s_getpc_b64 s[12:13]
	s_add_u32 s12, s12, llvm.amdgcn.dynlds.offset.table@rel32@lo+4
	s_addc_u32 s13, s13, llvm.amdgcn.dynlds.offset.table@rel32@hi+12
	s_add_u32 s10, s10, s12
	s_addc_u32 s11, s11, s13
	s_load_dword s10, s[10:11], 0x0
	s_waitcnt lgkmcnt(0)
	v_lshl_add_u32 v5, v4, 2, s10
	ds_read_b32 v5, v5 offset:320
	s_waitcnt lgkmcnt(0)
	v_add_f32_e32 v15, v5, v15
	s_or_b64 exec, exec, s[8:9]
	s_and_saveexec_b64 s[8:9], vcc
	s_cbranch_execz .LBB405_3192
.LBB405_3277:
	s_ashr_i32 s25, s24, 31
	s_lshl_b64 s[10:11], s[24:25], 2
	s_getpc_b64 s[12:13]
	s_add_u32 s12, s12, llvm.amdgcn.dynlds.offset.table@rel32@lo+4
	s_addc_u32 s13, s13, llvm.amdgcn.dynlds.offset.table@rel32@hi+12
	s_add_u32 s10, s10, s12
	s_addc_u32 s11, s11, s13
	s_load_dword s10, s[10:11], 0x0
	s_waitcnt lgkmcnt(0)
	v_lshl_add_u32 v5, v4, 2, s10
	ds_read_b32 v5, v5 offset:384
	s_waitcnt lgkmcnt(0)
	v_add_f32_e32 v10, v5, v10
	s_or_b64 exec, exec, s[8:9]
	s_and_saveexec_b64 s[8:9], vcc
	s_cbranch_execz .LBB405_3193
.LBB405_3278:
	s_ashr_i32 s25, s24, 31
	s_lshl_b64 s[10:11], s[24:25], 2
	s_getpc_b64 s[12:13]
	s_add_u32 s12, s12, llvm.amdgcn.dynlds.offset.table@rel32@lo+4
	s_addc_u32 s13, s13, llvm.amdgcn.dynlds.offset.table@rel32@hi+12
	s_add_u32 s10, s10, s12
	s_addc_u32 s11, s11, s13
	s_load_dword s10, s[10:11], 0x0
	s_waitcnt lgkmcnt(0)
	v_lshl_add_u32 v5, v4, 2, s10
	ds_read_b32 v5, v5 offset:448
	s_waitcnt lgkmcnt(0)
	v_add_f32_e32 v11, v5, v11
	s_or_b64 exec, exec, s[8:9]
	s_and_saveexec_b64 s[8:9], vcc
	s_cbranch_execz .LBB405_3194
.LBB405_3279:
	s_ashr_i32 s25, s24, 31
	s_lshl_b64 s[10:11], s[24:25], 2
	s_getpc_b64 s[12:13]
	s_add_u32 s12, s12, llvm.amdgcn.dynlds.offset.table@rel32@lo+4
	s_addc_u32 s13, s13, llvm.amdgcn.dynlds.offset.table@rel32@hi+12
	s_add_u32 s10, s10, s12
	s_addc_u32 s11, s11, s13
	s_load_dword s10, s[10:11], 0x0
	s_waitcnt lgkmcnt(0)
	v_lshl_add_u32 v5, v4, 2, s10
	ds_read_b32 v5, v5 offset:512
	s_waitcnt lgkmcnt(0)
	v_add_f32_e32 v8, v5, v8
	s_or_b64 exec, exec, s[8:9]
	s_and_saveexec_b64 s[8:9], vcc
	s_cbranch_execz .LBB405_3195
.LBB405_3280:
	s_ashr_i32 s25, s24, 31
	s_lshl_b64 s[10:11], s[24:25], 2
	s_getpc_b64 s[12:13]
	s_add_u32 s12, s12, llvm.amdgcn.dynlds.offset.table@rel32@lo+4
	s_addc_u32 s13, s13, llvm.amdgcn.dynlds.offset.table@rel32@hi+12
	s_add_u32 s10, s10, s12
	s_addc_u32 s11, s11, s13
	s_load_dword s10, s[10:11], 0x0
	s_waitcnt lgkmcnt(0)
	v_lshl_add_u32 v5, v4, 2, s10
	ds_read_b32 v5, v5 offset:576
	s_waitcnt lgkmcnt(0)
	v_add_f32_e32 v9, v5, v9
	s_or_b64 exec, exec, s[8:9]
	s_and_saveexec_b64 s[8:9], vcc
	s_cbranch_execz .LBB405_3196
.LBB405_3281:
	s_ashr_i32 s25, s24, 31
	s_lshl_b64 s[10:11], s[24:25], 2
	s_getpc_b64 s[12:13]
	s_add_u32 s12, s12, llvm.amdgcn.dynlds.offset.table@rel32@lo+4
	s_addc_u32 s13, s13, llvm.amdgcn.dynlds.offset.table@rel32@hi+12
	s_add_u32 s10, s10, s12
	s_addc_u32 s11, s11, s13
	s_load_dword s10, s[10:11], 0x0
	s_waitcnt lgkmcnt(0)
	v_lshl_add_u32 v5, v4, 2, s10
	ds_read_b32 v5, v5 offset:640
	s_waitcnt lgkmcnt(0)
	v_add_f32_e32 v6, v5, v6
	s_or_b64 exec, exec, s[8:9]
	s_and_saveexec_b64 s[8:9], vcc
	s_cbranch_execz .LBB405_3197
.LBB405_3282:
	s_ashr_i32 s25, s24, 31
	s_lshl_b64 s[10:11], s[24:25], 2
	s_getpc_b64 s[12:13]
	s_add_u32 s12, s12, llvm.amdgcn.dynlds.offset.table@rel32@lo+4
	s_addc_u32 s13, s13, llvm.amdgcn.dynlds.offset.table@rel32@hi+12
	s_add_u32 s10, s10, s12
	s_addc_u32 s11, s11, s13
	s_load_dword s10, s[10:11], 0x0
	s_waitcnt lgkmcnt(0)
	v_lshl_add_u32 v5, v4, 2, s10
	ds_read_b32 v5, v5 offset:704
	s_waitcnt lgkmcnt(0)
	v_add_f32_e32 v7, v5, v7
	s_or_b64 exec, exec, s[8:9]
	s_and_saveexec_b64 s[8:9], vcc
	s_cbranch_execz .LBB405_3198
.LBB405_3283:
	s_ashr_i32 s25, s24, 31
	s_lshl_b64 s[10:11], s[24:25], 2
	s_getpc_b64 s[12:13]
	s_add_u32 s12, s12, llvm.amdgcn.dynlds.offset.table@rel32@lo+4
	s_addc_u32 s13, s13, llvm.amdgcn.dynlds.offset.table@rel32@hi+12
	s_add_u32 s10, s10, s12
	s_addc_u32 s11, s11, s13
	s_load_dword s10, s[10:11], 0x0
	s_waitcnt lgkmcnt(0)
	v_lshl_add_u32 v5, v4, 2, s10
	ds_read_b32 v5, v5 offset:768
	s_waitcnt lgkmcnt(0)
	v_add_f32_e32 v0, v5, v0
	s_or_b64 exec, exec, s[8:9]
	s_and_saveexec_b64 s[8:9], vcc
	s_cbranch_execz .LBB405_3199
.LBB405_3284:
	s_ashr_i32 s25, s24, 31
	s_lshl_b64 s[10:11], s[24:25], 2
	s_getpc_b64 s[12:13]
	s_add_u32 s12, s12, llvm.amdgcn.dynlds.offset.table@rel32@lo+4
	s_addc_u32 s13, s13, llvm.amdgcn.dynlds.offset.table@rel32@hi+12
	s_add_u32 s10, s10, s12
	s_addc_u32 s11, s11, s13
	s_load_dword s10, s[10:11], 0x0
	s_waitcnt lgkmcnt(0)
	v_lshl_add_u32 v5, v4, 2, s10
	ds_read_b32 v5, v5 offset:832
	s_waitcnt lgkmcnt(0)
	v_add_f32_e32 v1, v5, v1
	s_or_b64 exec, exec, s[8:9]
	s_and_saveexec_b64 s[8:9], vcc
	s_cbranch_execz .LBB405_3200
.LBB405_3285:
	s_ashr_i32 s25, s24, 31
	s_lshl_b64 s[10:11], s[24:25], 2
	s_getpc_b64 s[12:13]
	s_add_u32 s12, s12, llvm.amdgcn.dynlds.offset.table@rel32@lo+4
	s_addc_u32 s13, s13, llvm.amdgcn.dynlds.offset.table@rel32@hi+12
	s_add_u32 s10, s10, s12
	s_addc_u32 s11, s11, s13
	s_load_dword s10, s[10:11], 0x0
	s_waitcnt lgkmcnt(0)
	v_lshl_add_u32 v5, v4, 2, s10
	ds_read_b32 v5, v5 offset:896
	s_waitcnt lgkmcnt(0)
	v_add_f32_e32 v2, v5, v2
	s_or_b64 exec, exec, s[8:9]
	s_and_saveexec_b64 s[8:9], vcc
	s_cbranch_execnz .LBB405_3201
	s_branch .LBB405_3202
.Lfunc_end405:
	.size	_ZN4vllm22paged_attention_kernelI14__hip_bfloat16hLi256ELi32ELi128ELNS_18Fp8KVCacheDataTypeE1ELb0ELi512EEEvPfS3_PT_PKS4_PKT0_SA_ifPKiSC_iPKfiiiSE_SE_iiiii, .Lfunc_end405-_ZN4vllm22paged_attention_kernelI14__hip_bfloat16hLi256ELi32ELi128ELNS_18Fp8KVCacheDataTypeE1ELb0ELi512EEEvPfS3_PT_PKS4_PKT0_SA_ifPKiSC_iPKfiiiSE_SE_iiiii
                                        ; -- End function
	.section	.AMDGPU.csdata,"",@progbits
; Function info:
; codeLenInByte = 98508
; NumSgprs: 49
; NumVgprs: 64
; NumAgprs: 64
; TotalNumVgprs: 128
; ScratchSize: 960
; MemoryBound: 0
	.section	.text._ZN4vllm25paged_attention_v2_kernelI14__hip_bfloat16hLi256ELi32ELi128ELNS_18Fp8KVCacheDataTypeE1ELb0ELi512EEEvPfS3_PT_PKS4_PKT0_SA_ifPKiSC_iPKfiiiSE_SE_iiiii,"axG",@progbits,_ZN4vllm25paged_attention_v2_kernelI14__hip_bfloat16hLi256ELi32ELi128ELNS_18Fp8KVCacheDataTypeE1ELb0ELi512EEEvPfS3_PT_PKS4_PKT0_SA_ifPKiSC_iPKfiiiSE_SE_iiiii,comdat
	.protected	_ZN4vllm25paged_attention_v2_kernelI14__hip_bfloat16hLi256ELi32ELi128ELNS_18Fp8KVCacheDataTypeE1ELb0ELi512EEEvPfS3_PT_PKS4_PKT0_SA_ifPKiSC_iPKfiiiSE_SE_iiiii ; -- Begin function _ZN4vllm25paged_attention_v2_kernelI14__hip_bfloat16hLi256ELi32ELi128ELNS_18Fp8KVCacheDataTypeE1ELb0ELi512EEEvPfS3_PT_PKS4_PKT0_SA_ifPKiSC_iPKfiiiSE_SE_iiiii
	.globl	_ZN4vllm25paged_attention_v2_kernelI14__hip_bfloat16hLi256ELi32ELi128ELNS_18Fp8KVCacheDataTypeE1ELb0ELi512EEEvPfS3_PT_PKS4_PKT0_SA_ifPKiSC_iPKfiiiSE_SE_iiiii
	.p2align	8
	.type	_ZN4vllm25paged_attention_v2_kernelI14__hip_bfloat16hLi256ELi32ELi128ELNS_18Fp8KVCacheDataTypeE1ELb0ELi512EEEvPfS3_PT_PKS4_PKT0_SA_ifPKiSC_iPKfiiiSE_SE_iiiii,@function
_ZN4vllm25paged_attention_v2_kernelI14__hip_bfloat16hLi256ELi32ELi128ELNS_18Fp8KVCacheDataTypeE1ELb0ELi512EEEvPfS3_PT_PKS4_PKT0_SA_ifPKiSC_iPKfiiiSE_SE_iiiii: ; @_ZN4vllm25paged_attention_v2_kernelI14__hip_bfloat16hLi256ELi32ELi128ELNS_18Fp8KVCacheDataTypeE1ELb0ELi512EEEvPfS3_PT_PKS4_PKT0_SA_ifPKiSC_iPKfiiiSE_SE_iiiii
; %bb.0:
	s_add_u32 flat_scratch_lo, s6, s11
	s_addc_u32 flat_scratch_hi, s7, 0
	s_add_u32 s0, s0, s11
	s_load_dwordx8 s[24:31], s[4:5], 0x0
	s_load_dwordx8 s[16:23], s[4:5], 0x20
	s_load_dwordx2 s[6:7], s[4:5], 0x40
	s_load_dwordx2 s[34:35], s[4:5], 0x50
	s_load_dword s11, s[4:5], 0x48
	s_load_dwordx8 s[36:43], s[4:5], 0x58
	s_addc_u32 s1, s1, 0
	s_mov_b32 s12, s8
	s_add_u32 s8, s4, 0x90
	s_mov_b32 s13, s9
	s_addc_u32 s9, s5, 0
	s_mov_b32 s14, s10
	s_mov_b32 s15, 18
	v_mov_b32_e32 v31, v0
	s_waitcnt lgkmcnt(0)
	v_mov_b32_e32 v0, s24
	v_mov_b32_e32 v1, s25
	;; [unrolled: 1-line block ×28, first 2 shown]
	s_mov_b32 s32, 0
	s_getpc_b64 s[4:5]
	s_add_u32 s4, s4, _ZN4vllm22paged_attention_kernelI14__hip_bfloat16hLi256ELi32ELi128ELNS_18Fp8KVCacheDataTypeE1ELb0ELi512EEEvPfS3_PT_PKS4_PKT0_SA_ifPKiSC_iPKfiiiSE_SE_iiiii@rel32@lo+4
	s_addc_u32 s5, s5, _ZN4vllm22paged_attention_kernelI14__hip_bfloat16hLi256ELi32ELi128ELNS_18Fp8KVCacheDataTypeE1ELb0ELi512EEEvPfS3_PT_PKS4_PKT0_SA_ifPKiSC_iPKfiiiSE_SE_iiiii@rel32@hi+12
	s_swappc_b64 s[30:31], s[4:5]
	s_endpgm
	.section	.rodata,"a",@progbits
	.p2align	6, 0x0
	.amdhsa_kernel _ZN4vllm25paged_attention_v2_kernelI14__hip_bfloat16hLi256ELi32ELi128ELNS_18Fp8KVCacheDataTypeE1ELb0ELi512EEEvPfS3_PT_PKS4_PKT0_SA_ifPKiSC_iPKfiiiSE_SE_iiiii
		.amdhsa_group_segment_fixed_size 528
		.amdhsa_private_segment_fixed_size 960
		.amdhsa_kernarg_size 400
		.amdhsa_user_sgpr_count 8
		.amdhsa_user_sgpr_private_segment_buffer 1
		.amdhsa_user_sgpr_dispatch_ptr 0
		.amdhsa_user_sgpr_queue_ptr 0
		.amdhsa_user_sgpr_kernarg_segment_ptr 1
		.amdhsa_user_sgpr_dispatch_id 0
		.amdhsa_user_sgpr_flat_scratch_init 1
		.amdhsa_user_sgpr_kernarg_preload_length 0
		.amdhsa_user_sgpr_kernarg_preload_offset 0
		.amdhsa_user_sgpr_private_segment_size 0
		.amdhsa_uses_dynamic_stack 0
		.amdhsa_system_sgpr_private_segment_wavefront_offset 1
		.amdhsa_system_sgpr_workgroup_id_x 1
		.amdhsa_system_sgpr_workgroup_id_y 1
		.amdhsa_system_sgpr_workgroup_id_z 1
		.amdhsa_system_sgpr_workgroup_info 0
		.amdhsa_system_vgpr_workitem_id 0
		.amdhsa_next_free_vgpr 128
		.amdhsa_next_free_sgpr 45
		.amdhsa_accum_offset 64
		.amdhsa_reserve_vcc 1
		.amdhsa_reserve_flat_scratch 1
		.amdhsa_float_round_mode_32 0
		.amdhsa_float_round_mode_16_64 0
		.amdhsa_float_denorm_mode_32 3
		.amdhsa_float_denorm_mode_16_64 3
		.amdhsa_dx10_clamp 1
		.amdhsa_ieee_mode 1
		.amdhsa_fp16_overflow 0
		.amdhsa_tg_split 0
		.amdhsa_exception_fp_ieee_invalid_op 0
		.amdhsa_exception_fp_denorm_src 0
		.amdhsa_exception_fp_ieee_div_zero 0
		.amdhsa_exception_fp_ieee_overflow 0
		.amdhsa_exception_fp_ieee_underflow 0
		.amdhsa_exception_fp_ieee_inexact 0
		.amdhsa_exception_int_div_zero 0
	.end_amdhsa_kernel
	.section	.text._ZN4vllm25paged_attention_v2_kernelI14__hip_bfloat16hLi256ELi32ELi128ELNS_18Fp8KVCacheDataTypeE1ELb0ELi512EEEvPfS3_PT_PKS4_PKT0_SA_ifPKiSC_iPKfiiiSE_SE_iiiii,"axG",@progbits,_ZN4vllm25paged_attention_v2_kernelI14__hip_bfloat16hLi256ELi32ELi128ELNS_18Fp8KVCacheDataTypeE1ELb0ELi512EEEvPfS3_PT_PKS4_PKT0_SA_ifPKiSC_iPKfiiiSE_SE_iiiii,comdat
.Lfunc_end406:
	.size	_ZN4vllm25paged_attention_v2_kernelI14__hip_bfloat16hLi256ELi32ELi128ELNS_18Fp8KVCacheDataTypeE1ELb0ELi512EEEvPfS3_PT_PKS4_PKT0_SA_ifPKiSC_iPKfiiiSE_SE_iiiii, .Lfunc_end406-_ZN4vllm25paged_attention_v2_kernelI14__hip_bfloat16hLi256ELi32ELi128ELNS_18Fp8KVCacheDataTypeE1ELb0ELi512EEEvPfS3_PT_PKS4_PKT0_SA_ifPKiSC_iPKfiiiSE_SE_iiiii
                                        ; -- End function
	.section	.AMDGPU.csdata,"",@progbits
; Kernel info:
; codeLenInByte = 244
; NumSgprs: 51
; NumVgprs: 64
; NumAgprs: 64
; TotalNumVgprs: 128
; ScratchSize: 960
; MemoryBound: 0
; FloatMode: 240
; IeeeMode: 1
; LDSByteSize: 528 bytes/workgroup (compile time only)
; SGPRBlocks: 6
; VGPRBlocks: 15
; NumSGPRsForWavesPerEU: 51
; NumVGPRsForWavesPerEU: 128
; AccumOffset: 64
; Occupancy: 4
; WaveLimiterHint : 1
; COMPUTE_PGM_RSRC2:SCRATCH_EN: 1
; COMPUTE_PGM_RSRC2:USER_SGPR: 8
; COMPUTE_PGM_RSRC2:TRAP_HANDLER: 0
; COMPUTE_PGM_RSRC2:TGID_X_EN: 1
; COMPUTE_PGM_RSRC2:TGID_Y_EN: 1
; COMPUTE_PGM_RSRC2:TGID_Z_EN: 1
; COMPUTE_PGM_RSRC2:TIDIG_COMP_CNT: 0
; COMPUTE_PGM_RSRC3_GFX90A:ACCUM_OFFSET: 15
; COMPUTE_PGM_RSRC3_GFX90A:TG_SPLIT: 0
	.text
	.p2alignl 6, 3212836864
	.fill 256, 4, 3212836864
	.type	__hip_cuid_7b5d1ddb4d4ec34,@object ; @__hip_cuid_7b5d1ddb4d4ec34
	.section	.bss,"aw",@nobits
	.globl	__hip_cuid_7b5d1ddb4d4ec34
__hip_cuid_7b5d1ddb4d4ec34:
	.byte	0                               ; 0x0
	.size	__hip_cuid_7b5d1ddb4d4ec34, 1

	.type	llvm.amdgcn.dynlds.offset.table,@object ; @llvm.amdgcn.dynlds.offset.table
	.section	.data.rel.ro,"aw",@progbits
	.p2align	4, 0x0
llvm.amdgcn.dynlds.offset.table:
	.long	528
	.long	528
	;; [unrolled: 1-line block ×56, first 2 shown]
	.size	llvm.amdgcn.dynlds.offset.table, 224

	.ident	"AMD clang version 19.0.0git (https://github.com/RadeonOpenCompute/llvm-project roc-6.4.0 25133 c7fe45cf4b819c5991fe208aaa96edf142730f1d)"
	.section	".note.GNU-stack","",@progbits
	.addrsig
	.addrsig_sym __hip_cuid_7b5d1ddb4d4ec34
	.amdgpu_metadata
---
amdhsa.kernels:
  - .agpr_count:     0
    .args:
      - .actual_access:  write_only
        .address_space:  global
        .offset:         0
        .size:           8
        .value_kind:     global_buffer
      - .actual_access:  write_only
        .address_space:  global
        .offset:         8
        .size:           8
        .value_kind:     global_buffer
      - .actual_access:  write_only
        .address_space:  global
        .offset:         16
        .size:           8
        .value_kind:     global_buffer
      - .actual_access:  read_only
        .address_space:  global
        .offset:         24
        .size:           8
        .value_kind:     global_buffer
      - .actual_access:  read_only
        .address_space:  global
        .offset:         32
        .size:           8
        .value_kind:     global_buffer
      - .actual_access:  read_only
        .address_space:  global
        .offset:         40
        .size:           8
        .value_kind:     global_buffer
      - .offset:         48
        .size:           4
        .value_kind:     by_value
      - .offset:         52
        .size:           4
        .value_kind:     by_value
      - .actual_access:  read_only
        .address_space:  global
        .offset:         56
        .size:           8
        .value_kind:     global_buffer
      - .actual_access:  read_only
        .address_space:  global
        .offset:         64
        .size:           8
        .value_kind:     global_buffer
      - .offset:         72
        .size:           4
        .value_kind:     by_value
      - .actual_access:  read_only
        .address_space:  global
        .offset:         80
        .size:           8
        .value_kind:     global_buffer
      - .offset:         88
        .size:           4
        .value_kind:     by_value
      - .offset:         92
        .size:           4
        .value_kind:     by_value
      - .offset:         96
        .size:           4
        .value_kind:     by_value
      - .address_space:  global
        .offset:         104
        .size:           8
        .value_kind:     global_buffer
      - .address_space:  global
        .offset:         112
        .size:           8
        .value_kind:     global_buffer
      - .offset:         120
        .size:           4
        .value_kind:     by_value
      - .offset:         124
        .size:           4
        .value_kind:     by_value
      - .offset:         128
        .size:           4
        .value_kind:     by_value
      - .offset:         132
        .size:           4
        .value_kind:     by_value
      - .offset:         136
        .size:           4
        .value_kind:     by_value
      - .offset:         144
        .size:           4
        .value_kind:     hidden_block_count_x
      - .offset:         148
        .size:           4
        .value_kind:     hidden_block_count_y
      - .offset:         152
        .size:           4
        .value_kind:     hidden_block_count_z
      - .offset:         156
        .size:           2
        .value_kind:     hidden_group_size_x
      - .offset:         158
        .size:           2
        .value_kind:     hidden_group_size_y
      - .offset:         160
        .size:           2
        .value_kind:     hidden_group_size_z
      - .offset:         162
        .size:           2
        .value_kind:     hidden_remainder_x
      - .offset:         164
        .size:           2
        .value_kind:     hidden_remainder_y
      - .offset:         166
        .size:           2
        .value_kind:     hidden_remainder_z
      - .offset:         184
        .size:           8
        .value_kind:     hidden_global_offset_x
      - .offset:         192
        .size:           8
        .value_kind:     hidden_global_offset_y
      - .offset:         200
        .size:           8
        .value_kind:     hidden_global_offset_z
      - .offset:         208
        .size:           2
        .value_kind:     hidden_grid_dims
      - .offset:         264
        .size:           4
        .value_kind:     hidden_dynamic_lds_size
    .group_segment_fixed_size: 144
    .kernarg_segment_align: 8
    .kernarg_segment_size: 400
    .language:       OpenCL C
    .language_version:
      - 2
      - 0
    .max_flat_workgroup_size: 1024
    .name:           _ZN4vllm25paged_attention_v2_kernelIffLi32ELi8ELi128ELNS_18Fp8KVCacheDataTypeE0ELb1ELi512EEEvPfS2_PT_PKS3_PKT0_S9_ifPKiSB_iPKfiiiSD_SD_iiiii
    .private_segment_fixed_size: 0
    .sgpr_count:     56
    .sgpr_spill_count: 0
    .symbol:         _ZN4vllm25paged_attention_v2_kernelIffLi32ELi8ELi128ELNS_18Fp8KVCacheDataTypeE0ELb1ELi512EEEvPfS2_PT_PKS3_PKT0_S9_ifPKiSB_iPKfiiiSD_SD_iiiii.kd
    .uniform_work_group_size: 1
    .uses_dynamic_stack: false
    .vgpr_count:     34
    .vgpr_spill_count: 0
    .wavefront_size: 64
  - .agpr_count:     0
    .args:
      - .actual_access:  write_only
        .address_space:  global
        .offset:         0
        .size:           8
        .value_kind:     global_buffer
      - .actual_access:  read_only
        .address_space:  global
        .offset:         8
        .size:           8
        .value_kind:     global_buffer
      - .actual_access:  read_only
        .address_space:  global
        .offset:         16
        .size:           8
        .value_kind:     global_buffer
      - .actual_access:  read_only
        .address_space:  global
        .offset:         24
        .size:           8
        .value_kind:     global_buffer
      - .actual_access:  read_only
        .address_space:  global
        .offset:         32
        .size:           8
        .value_kind:     global_buffer
      - .offset:         40
        .size:           4
        .value_kind:     by_value
      - .offset:         48
        .size:           4
        .value_kind:     hidden_block_count_x
      - .offset:         52
        .size:           4
        .value_kind:     hidden_block_count_y
      - .offset:         56
        .size:           4
        .value_kind:     hidden_block_count_z
      - .offset:         60
        .size:           2
        .value_kind:     hidden_group_size_x
      - .offset:         62
        .size:           2
        .value_kind:     hidden_group_size_y
      - .offset:         64
        .size:           2
        .value_kind:     hidden_group_size_z
      - .offset:         66
        .size:           2
        .value_kind:     hidden_remainder_x
      - .offset:         68
        .size:           2
        .value_kind:     hidden_remainder_y
      - .offset:         70
        .size:           2
        .value_kind:     hidden_remainder_z
      - .offset:         88
        .size:           8
        .value_kind:     hidden_global_offset_x
      - .offset:         96
        .size:           8
        .value_kind:     hidden_global_offset_y
      - .offset:         104
        .size:           8
        .value_kind:     hidden_global_offset_z
      - .offset:         112
        .size:           2
        .value_kind:     hidden_grid_dims
      - .offset:         168
        .size:           4
        .value_kind:     hidden_dynamic_lds_size
    .group_segment_fixed_size: 16
    .kernarg_segment_align: 8
    .kernarg_segment_size: 304
    .language:       OpenCL C
    .language_version:
      - 2
      - 0
    .max_flat_workgroup_size: 1024
    .name:           _ZN4vllm32paged_attention_v2_reduce_kernelIfLi32ELi128ELi512EEEvPT_PKfS4_PKS1_PKii
    .private_segment_fixed_size: 0
    .sgpr_count:     36
    .sgpr_spill_count: 0
    .symbol:         _ZN4vllm32paged_attention_v2_reduce_kernelIfLi32ELi128ELi512EEEvPT_PKfS4_PKS1_PKii.kd
    .uniform_work_group_size: 1
    .uses_dynamic_stack: false
    .vgpr_count:     24
    .vgpr_spill_count: 0
    .wavefront_size: 64
  - .agpr_count:     0
    .args:
      - .actual_access:  write_only
        .address_space:  global
        .offset:         0
        .size:           8
        .value_kind:     global_buffer
      - .actual_access:  write_only
        .address_space:  global
        .offset:         8
        .size:           8
        .value_kind:     global_buffer
      - .actual_access:  write_only
        .address_space:  global
        .offset:         16
        .size:           8
        .value_kind:     global_buffer
      - .actual_access:  read_only
        .address_space:  global
        .offset:         24
        .size:           8
        .value_kind:     global_buffer
      - .actual_access:  read_only
        .address_space:  global
        .offset:         32
        .size:           8
        .value_kind:     global_buffer
      - .actual_access:  read_only
        .address_space:  global
        .offset:         40
        .size:           8
        .value_kind:     global_buffer
      - .offset:         48
        .size:           4
        .value_kind:     by_value
      - .offset:         52
        .size:           4
        .value_kind:     by_value
      - .actual_access:  read_only
        .address_space:  global
        .offset:         56
        .size:           8
        .value_kind:     global_buffer
      - .actual_access:  read_only
        .address_space:  global
        .offset:         64
        .size:           8
        .value_kind:     global_buffer
      - .offset:         72
        .size:           4
        .value_kind:     by_value
      - .actual_access:  read_only
        .address_space:  global
        .offset:         80
        .size:           8
        .value_kind:     global_buffer
      - .offset:         88
        .size:           4
        .value_kind:     by_value
      - .offset:         92
        .size:           4
        .value_kind:     by_value
      - .offset:         96
        .size:           4
        .value_kind:     by_value
      - .address_space:  global
        .offset:         104
        .size:           8
        .value_kind:     global_buffer
      - .address_space:  global
        .offset:         112
        .size:           8
        .value_kind:     global_buffer
      - .offset:         120
        .size:           4
        .value_kind:     by_value
      - .offset:         124
        .size:           4
        .value_kind:     by_value
      - .offset:         128
        .size:           4
        .value_kind:     by_value
      - .offset:         132
        .size:           4
        .value_kind:     by_value
      - .offset:         136
        .size:           4
        .value_kind:     by_value
      - .offset:         144
        .size:           4
        .value_kind:     hidden_block_count_x
      - .offset:         148
        .size:           4
        .value_kind:     hidden_block_count_y
      - .offset:         152
        .size:           4
        .value_kind:     hidden_block_count_z
      - .offset:         156
        .size:           2
        .value_kind:     hidden_group_size_x
      - .offset:         158
        .size:           2
        .value_kind:     hidden_group_size_y
      - .offset:         160
        .size:           2
        .value_kind:     hidden_group_size_z
      - .offset:         162
        .size:           2
        .value_kind:     hidden_remainder_x
      - .offset:         164
        .size:           2
        .value_kind:     hidden_remainder_y
      - .offset:         166
        .size:           2
        .value_kind:     hidden_remainder_z
      - .offset:         184
        .size:           8
        .value_kind:     hidden_global_offset_x
      - .offset:         192
        .size:           8
        .value_kind:     hidden_global_offset_y
      - .offset:         200
        .size:           8
        .value_kind:     hidden_global_offset_z
      - .offset:         208
        .size:           2
        .value_kind:     hidden_grid_dims
      - .offset:         264
        .size:           4
        .value_kind:     hidden_dynamic_lds_size
    .group_segment_fixed_size: 272
    .kernarg_segment_align: 8
    .kernarg_segment_size: 400
    .language:       OpenCL C
    .language_version:
      - 2
      - 0
    .max_flat_workgroup_size: 1024
    .name:           _ZN4vllm25paged_attention_v2_kernelIffLi64ELi8ELi128ELNS_18Fp8KVCacheDataTypeE0ELb1ELi512EEEvPfS2_PT_PKS3_PKT0_S9_ifPKiSB_iPKfiiiSD_SD_iiiii
    .private_segment_fixed_size: 0
    .sgpr_count:     58
    .sgpr_spill_count: 0
    .symbol:         _ZN4vllm25paged_attention_v2_kernelIffLi64ELi8ELi128ELNS_18Fp8KVCacheDataTypeE0ELb1ELi512EEEvPfS2_PT_PKS3_PKT0_S9_ifPKiSB_iPKfiiiSD_SD_iiiii.kd
    .uniform_work_group_size: 1
    .uses_dynamic_stack: false
    .vgpr_count:     43
    .vgpr_spill_count: 0
    .wavefront_size: 64
  - .agpr_count:     0
    .args:
      - .actual_access:  write_only
        .address_space:  global
        .offset:         0
        .size:           8
        .value_kind:     global_buffer
      - .actual_access:  read_only
        .address_space:  global
        .offset:         8
        .size:           8
        .value_kind:     global_buffer
      - .actual_access:  read_only
        .address_space:  global
        .offset:         16
        .size:           8
        .value_kind:     global_buffer
      - .actual_access:  read_only
        .address_space:  global
        .offset:         24
        .size:           8
        .value_kind:     global_buffer
      - .actual_access:  read_only
        .address_space:  global
        .offset:         32
        .size:           8
        .value_kind:     global_buffer
      - .offset:         40
        .size:           4
        .value_kind:     by_value
      - .offset:         48
        .size:           4
        .value_kind:     hidden_block_count_x
      - .offset:         52
        .size:           4
        .value_kind:     hidden_block_count_y
      - .offset:         56
        .size:           4
        .value_kind:     hidden_block_count_z
      - .offset:         60
        .size:           2
        .value_kind:     hidden_group_size_x
      - .offset:         62
        .size:           2
        .value_kind:     hidden_group_size_y
      - .offset:         64
        .size:           2
        .value_kind:     hidden_group_size_z
      - .offset:         66
        .size:           2
        .value_kind:     hidden_remainder_x
      - .offset:         68
        .size:           2
        .value_kind:     hidden_remainder_y
      - .offset:         70
        .size:           2
        .value_kind:     hidden_remainder_z
      - .offset:         88
        .size:           8
        .value_kind:     hidden_global_offset_x
      - .offset:         96
        .size:           8
        .value_kind:     hidden_global_offset_y
      - .offset:         104
        .size:           8
        .value_kind:     hidden_global_offset_z
      - .offset:         112
        .size:           2
        .value_kind:     hidden_grid_dims
      - .offset:         168
        .size:           4
        .value_kind:     hidden_dynamic_lds_size
    .group_segment_fixed_size: 16
    .kernarg_segment_align: 8
    .kernarg_segment_size: 304
    .language:       OpenCL C
    .language_version:
      - 2
      - 0
    .max_flat_workgroup_size: 1024
    .name:           _ZN4vllm32paged_attention_v2_reduce_kernelIfLi64ELi128ELi512EEEvPT_PKfS4_PKS1_PKii
    .private_segment_fixed_size: 0
    .sgpr_count:     36
    .sgpr_spill_count: 0
    .symbol:         _ZN4vllm32paged_attention_v2_reduce_kernelIfLi64ELi128ELi512EEEvPT_PKfS4_PKS1_PKii.kd
    .uniform_work_group_size: 1
    .uses_dynamic_stack: false
    .vgpr_count:     24
    .vgpr_spill_count: 0
    .wavefront_size: 64
  - .agpr_count:     0
    .args:
      - .actual_access:  write_only
        .address_space:  global
        .offset:         0
        .size:           8
        .value_kind:     global_buffer
      - .actual_access:  write_only
        .address_space:  global
        .offset:         8
        .size:           8
        .value_kind:     global_buffer
      - .actual_access:  write_only
        .address_space:  global
        .offset:         16
        .size:           8
        .value_kind:     global_buffer
      - .actual_access:  read_only
        .address_space:  global
        .offset:         24
        .size:           8
        .value_kind:     global_buffer
      - .actual_access:  read_only
        .address_space:  global
        .offset:         32
        .size:           8
        .value_kind:     global_buffer
      - .actual_access:  read_only
        .address_space:  global
        .offset:         40
        .size:           8
        .value_kind:     global_buffer
      - .offset:         48
        .size:           4
        .value_kind:     by_value
      - .offset:         52
        .size:           4
        .value_kind:     by_value
      - .actual_access:  read_only
        .address_space:  global
        .offset:         56
        .size:           8
        .value_kind:     global_buffer
      - .actual_access:  read_only
        .address_space:  global
        .offset:         64
        .size:           8
        .value_kind:     global_buffer
      - .offset:         72
        .size:           4
        .value_kind:     by_value
      - .actual_access:  read_only
        .address_space:  global
        .offset:         80
        .size:           8
        .value_kind:     global_buffer
      - .offset:         88
        .size:           4
        .value_kind:     by_value
      - .offset:         92
        .size:           4
        .value_kind:     by_value
      - .offset:         96
        .size:           4
        .value_kind:     by_value
      - .address_space:  global
        .offset:         104
        .size:           8
        .value_kind:     global_buffer
      - .address_space:  global
        .offset:         112
        .size:           8
        .value_kind:     global_buffer
      - .offset:         120
        .size:           4
        .value_kind:     by_value
      - .offset:         124
        .size:           4
        .value_kind:     by_value
      - .offset:         128
        .size:           4
        .value_kind:     by_value
      - .offset:         132
        .size:           4
        .value_kind:     by_value
      - .offset:         136
        .size:           4
        .value_kind:     by_value
      - .offset:         144
        .size:           4
        .value_kind:     hidden_block_count_x
      - .offset:         148
        .size:           4
        .value_kind:     hidden_block_count_y
      - .offset:         152
        .size:           4
        .value_kind:     hidden_block_count_z
      - .offset:         156
        .size:           2
        .value_kind:     hidden_group_size_x
      - .offset:         158
        .size:           2
        .value_kind:     hidden_group_size_y
      - .offset:         160
        .size:           2
        .value_kind:     hidden_group_size_z
      - .offset:         162
        .size:           2
        .value_kind:     hidden_remainder_x
      - .offset:         164
        .size:           2
        .value_kind:     hidden_remainder_y
      - .offset:         166
        .size:           2
        .value_kind:     hidden_remainder_z
      - .offset:         184
        .size:           8
        .value_kind:     hidden_global_offset_x
      - .offset:         192
        .size:           8
        .value_kind:     hidden_global_offset_y
      - .offset:         200
        .size:           8
        .value_kind:     hidden_global_offset_z
      - .offset:         208
        .size:           2
        .value_kind:     hidden_grid_dims
      - .offset:         264
        .size:           4
        .value_kind:     hidden_dynamic_lds_size
    .group_segment_fixed_size: 336
    .kernarg_segment_align: 8
    .kernarg_segment_size: 400
    .language:       OpenCL C
    .language_version:
      - 2
      - 0
    .max_flat_workgroup_size: 1024
    .name:           _ZN4vllm25paged_attention_v2_kernelIffLi80ELi8ELi128ELNS_18Fp8KVCacheDataTypeE0ELb1ELi512EEEvPfS2_PT_PKS3_PKT0_S9_ifPKiSB_iPKfiiiSD_SD_iiiii
    .private_segment_fixed_size: 0
    .sgpr_count:     56
    .sgpr_spill_count: 0
    .symbol:         _ZN4vllm25paged_attention_v2_kernelIffLi80ELi8ELi128ELNS_18Fp8KVCacheDataTypeE0ELb1ELi512EEEvPfS2_PT_PKS3_PKT0_S9_ifPKiSB_iPKfiiiSD_SD_iiiii.kd
    .uniform_work_group_size: 1
    .uses_dynamic_stack: false
    .vgpr_count:     47
    .vgpr_spill_count: 0
    .wavefront_size: 64
  - .agpr_count:     0
    .args:
      - .actual_access:  write_only
        .address_space:  global
        .offset:         0
        .size:           8
        .value_kind:     global_buffer
      - .actual_access:  read_only
        .address_space:  global
        .offset:         8
        .size:           8
        .value_kind:     global_buffer
      - .actual_access:  read_only
        .address_space:  global
        .offset:         16
        .size:           8
        .value_kind:     global_buffer
      - .actual_access:  read_only
        .address_space:  global
        .offset:         24
        .size:           8
        .value_kind:     global_buffer
      - .actual_access:  read_only
        .address_space:  global
        .offset:         32
        .size:           8
        .value_kind:     global_buffer
      - .offset:         40
        .size:           4
        .value_kind:     by_value
      - .offset:         48
        .size:           4
        .value_kind:     hidden_block_count_x
      - .offset:         52
        .size:           4
        .value_kind:     hidden_block_count_y
      - .offset:         56
        .size:           4
        .value_kind:     hidden_block_count_z
      - .offset:         60
        .size:           2
        .value_kind:     hidden_group_size_x
      - .offset:         62
        .size:           2
        .value_kind:     hidden_group_size_y
      - .offset:         64
        .size:           2
        .value_kind:     hidden_group_size_z
      - .offset:         66
        .size:           2
        .value_kind:     hidden_remainder_x
      - .offset:         68
        .size:           2
        .value_kind:     hidden_remainder_y
      - .offset:         70
        .size:           2
        .value_kind:     hidden_remainder_z
      - .offset:         88
        .size:           8
        .value_kind:     hidden_global_offset_x
      - .offset:         96
        .size:           8
        .value_kind:     hidden_global_offset_y
      - .offset:         104
        .size:           8
        .value_kind:     hidden_global_offset_z
      - .offset:         112
        .size:           2
        .value_kind:     hidden_grid_dims
      - .offset:         168
        .size:           4
        .value_kind:     hidden_dynamic_lds_size
    .group_segment_fixed_size: 16
    .kernarg_segment_align: 8
    .kernarg_segment_size: 304
    .language:       OpenCL C
    .language_version:
      - 2
      - 0
    .max_flat_workgroup_size: 1024
    .name:           _ZN4vllm32paged_attention_v2_reduce_kernelIfLi80ELi128ELi512EEEvPT_PKfS4_PKS1_PKii
    .private_segment_fixed_size: 0
    .sgpr_count:     36
    .sgpr_spill_count: 0
    .symbol:         _ZN4vllm32paged_attention_v2_reduce_kernelIfLi80ELi128ELi512EEEvPT_PKfS4_PKS1_PKii.kd
    .uniform_work_group_size: 1
    .uses_dynamic_stack: false
    .vgpr_count:     24
    .vgpr_spill_count: 0
    .wavefront_size: 64
  - .agpr_count:     0
    .args:
      - .actual_access:  write_only
        .address_space:  global
        .offset:         0
        .size:           8
        .value_kind:     global_buffer
      - .actual_access:  write_only
        .address_space:  global
        .offset:         8
        .size:           8
        .value_kind:     global_buffer
      - .actual_access:  write_only
        .address_space:  global
        .offset:         16
        .size:           8
        .value_kind:     global_buffer
      - .actual_access:  read_only
        .address_space:  global
        .offset:         24
        .size:           8
        .value_kind:     global_buffer
      - .actual_access:  read_only
        .address_space:  global
        .offset:         32
        .size:           8
        .value_kind:     global_buffer
      - .actual_access:  read_only
        .address_space:  global
        .offset:         40
        .size:           8
        .value_kind:     global_buffer
      - .offset:         48
        .size:           4
        .value_kind:     by_value
      - .offset:         52
        .size:           4
        .value_kind:     by_value
      - .actual_access:  read_only
        .address_space:  global
        .offset:         56
        .size:           8
        .value_kind:     global_buffer
      - .actual_access:  read_only
        .address_space:  global
        .offset:         64
        .size:           8
        .value_kind:     global_buffer
      - .offset:         72
        .size:           4
        .value_kind:     by_value
      - .actual_access:  read_only
        .address_space:  global
        .offset:         80
        .size:           8
        .value_kind:     global_buffer
      - .offset:         88
        .size:           4
        .value_kind:     by_value
      - .offset:         92
        .size:           4
        .value_kind:     by_value
      - .offset:         96
        .size:           4
        .value_kind:     by_value
      - .address_space:  global
        .offset:         104
        .size:           8
        .value_kind:     global_buffer
      - .address_space:  global
        .offset:         112
        .size:           8
        .value_kind:     global_buffer
      - .offset:         120
        .size:           4
        .value_kind:     by_value
      - .offset:         124
        .size:           4
        .value_kind:     by_value
      - .offset:         128
        .size:           4
        .value_kind:     by_value
      - .offset:         132
        .size:           4
        .value_kind:     by_value
      - .offset:         136
        .size:           4
        .value_kind:     by_value
      - .offset:         144
        .size:           4
        .value_kind:     hidden_block_count_x
      - .offset:         148
        .size:           4
        .value_kind:     hidden_block_count_y
      - .offset:         152
        .size:           4
        .value_kind:     hidden_block_count_z
      - .offset:         156
        .size:           2
        .value_kind:     hidden_group_size_x
      - .offset:         158
        .size:           2
        .value_kind:     hidden_group_size_y
      - .offset:         160
        .size:           2
        .value_kind:     hidden_group_size_z
      - .offset:         162
        .size:           2
        .value_kind:     hidden_remainder_x
      - .offset:         164
        .size:           2
        .value_kind:     hidden_remainder_y
      - .offset:         166
        .size:           2
        .value_kind:     hidden_remainder_z
      - .offset:         184
        .size:           8
        .value_kind:     hidden_global_offset_x
      - .offset:         192
        .size:           8
        .value_kind:     hidden_global_offset_y
      - .offset:         200
        .size:           8
        .value_kind:     hidden_global_offset_z
      - .offset:         208
        .size:           2
        .value_kind:     hidden_grid_dims
      - .offset:         264
        .size:           4
        .value_kind:     hidden_dynamic_lds_size
    .group_segment_fixed_size: 400
    .kernarg_segment_align: 8
    .kernarg_segment_size: 400
    .language:       OpenCL C
    .language_version:
      - 2
      - 0
    .max_flat_workgroup_size: 1024
    .name:           _ZN4vllm25paged_attention_v2_kernelIffLi96ELi8ELi128ELNS_18Fp8KVCacheDataTypeE0ELb1ELi512EEEvPfS2_PT_PKS3_PKT0_S9_ifPKiSB_iPKfiiiSD_SD_iiiii
    .private_segment_fixed_size: 0
    .sgpr_count:     56
    .sgpr_spill_count: 0
    .symbol:         _ZN4vllm25paged_attention_v2_kernelIffLi96ELi8ELi128ELNS_18Fp8KVCacheDataTypeE0ELb1ELi512EEEvPfS2_PT_PKS3_PKT0_S9_ifPKiSB_iPKfiiiSD_SD_iiiii.kd
    .uniform_work_group_size: 1
    .uses_dynamic_stack: false
    .vgpr_count:     51
    .vgpr_spill_count: 0
    .wavefront_size: 64
  - .agpr_count:     0
    .args:
      - .actual_access:  write_only
        .address_space:  global
        .offset:         0
        .size:           8
        .value_kind:     global_buffer
      - .actual_access:  read_only
        .address_space:  global
        .offset:         8
        .size:           8
        .value_kind:     global_buffer
      - .actual_access:  read_only
        .address_space:  global
        .offset:         16
        .size:           8
        .value_kind:     global_buffer
      - .actual_access:  read_only
        .address_space:  global
        .offset:         24
        .size:           8
        .value_kind:     global_buffer
      - .actual_access:  read_only
        .address_space:  global
        .offset:         32
        .size:           8
        .value_kind:     global_buffer
      - .offset:         40
        .size:           4
        .value_kind:     by_value
      - .offset:         48
        .size:           4
        .value_kind:     hidden_block_count_x
      - .offset:         52
        .size:           4
        .value_kind:     hidden_block_count_y
      - .offset:         56
        .size:           4
        .value_kind:     hidden_block_count_z
      - .offset:         60
        .size:           2
        .value_kind:     hidden_group_size_x
      - .offset:         62
        .size:           2
        .value_kind:     hidden_group_size_y
      - .offset:         64
        .size:           2
        .value_kind:     hidden_group_size_z
      - .offset:         66
        .size:           2
        .value_kind:     hidden_remainder_x
      - .offset:         68
        .size:           2
        .value_kind:     hidden_remainder_y
      - .offset:         70
        .size:           2
        .value_kind:     hidden_remainder_z
      - .offset:         88
        .size:           8
        .value_kind:     hidden_global_offset_x
      - .offset:         96
        .size:           8
        .value_kind:     hidden_global_offset_y
      - .offset:         104
        .size:           8
        .value_kind:     hidden_global_offset_z
      - .offset:         112
        .size:           2
        .value_kind:     hidden_grid_dims
      - .offset:         168
        .size:           4
        .value_kind:     hidden_dynamic_lds_size
    .group_segment_fixed_size: 16
    .kernarg_segment_align: 8
    .kernarg_segment_size: 304
    .language:       OpenCL C
    .language_version:
      - 2
      - 0
    .max_flat_workgroup_size: 1024
    .name:           _ZN4vllm32paged_attention_v2_reduce_kernelIfLi96ELi128ELi512EEEvPT_PKfS4_PKS1_PKii
    .private_segment_fixed_size: 0
    .sgpr_count:     36
    .sgpr_spill_count: 0
    .symbol:         _ZN4vllm32paged_attention_v2_reduce_kernelIfLi96ELi128ELi512EEEvPT_PKfS4_PKS1_PKii.kd
    .uniform_work_group_size: 1
    .uses_dynamic_stack: false
    .vgpr_count:     24
    .vgpr_spill_count: 0
    .wavefront_size: 64
  - .agpr_count:     0
    .args:
      - .actual_access:  write_only
        .address_space:  global
        .offset:         0
        .size:           8
        .value_kind:     global_buffer
      - .actual_access:  write_only
        .address_space:  global
        .offset:         8
        .size:           8
        .value_kind:     global_buffer
      - .actual_access:  write_only
        .address_space:  global
        .offset:         16
        .size:           8
        .value_kind:     global_buffer
      - .actual_access:  read_only
        .address_space:  global
        .offset:         24
        .size:           8
        .value_kind:     global_buffer
      - .actual_access:  read_only
        .address_space:  global
        .offset:         32
        .size:           8
        .value_kind:     global_buffer
      - .actual_access:  read_only
        .address_space:  global
        .offset:         40
        .size:           8
        .value_kind:     global_buffer
      - .offset:         48
        .size:           4
        .value_kind:     by_value
      - .offset:         52
        .size:           4
        .value_kind:     by_value
      - .actual_access:  read_only
        .address_space:  global
        .offset:         56
        .size:           8
        .value_kind:     global_buffer
      - .actual_access:  read_only
        .address_space:  global
        .offset:         64
        .size:           8
        .value_kind:     global_buffer
      - .offset:         72
        .size:           4
        .value_kind:     by_value
      - .actual_access:  read_only
        .address_space:  global
        .offset:         80
        .size:           8
        .value_kind:     global_buffer
      - .offset:         88
        .size:           4
        .value_kind:     by_value
      - .offset:         92
        .size:           4
        .value_kind:     by_value
      - .offset:         96
        .size:           4
        .value_kind:     by_value
      - .address_space:  global
        .offset:         104
        .size:           8
        .value_kind:     global_buffer
      - .address_space:  global
        .offset:         112
        .size:           8
        .value_kind:     global_buffer
      - .offset:         120
        .size:           4
        .value_kind:     by_value
      - .offset:         124
        .size:           4
        .value_kind:     by_value
      - .offset:         128
        .size:           4
        .value_kind:     by_value
      - .offset:         132
        .size:           4
        .value_kind:     by_value
      - .offset:         136
        .size:           4
        .value_kind:     by_value
      - .offset:         144
        .size:           4
        .value_kind:     hidden_block_count_x
      - .offset:         148
        .size:           4
        .value_kind:     hidden_block_count_y
      - .offset:         152
        .size:           4
        .value_kind:     hidden_block_count_z
      - .offset:         156
        .size:           2
        .value_kind:     hidden_group_size_x
      - .offset:         158
        .size:           2
        .value_kind:     hidden_group_size_y
      - .offset:         160
        .size:           2
        .value_kind:     hidden_group_size_z
      - .offset:         162
        .size:           2
        .value_kind:     hidden_remainder_x
      - .offset:         164
        .size:           2
        .value_kind:     hidden_remainder_y
      - .offset:         166
        .size:           2
        .value_kind:     hidden_remainder_z
      - .offset:         184
        .size:           8
        .value_kind:     hidden_global_offset_x
      - .offset:         192
        .size:           8
        .value_kind:     hidden_global_offset_y
      - .offset:         200
        .size:           8
        .value_kind:     hidden_global_offset_z
      - .offset:         208
        .size:           2
        .value_kind:     hidden_grid_dims
      - .offset:         264
        .size:           4
        .value_kind:     hidden_dynamic_lds_size
    .group_segment_fixed_size: 464
    .kernarg_segment_align: 8
    .kernarg_segment_size: 400
    .language:       OpenCL C
    .language_version:
      - 2
      - 0
    .max_flat_workgroup_size: 1024
    .name:           _ZN4vllm25paged_attention_v2_kernelIffLi112ELi8ELi128ELNS_18Fp8KVCacheDataTypeE0ELb1ELi512EEEvPfS2_PT_PKS3_PKT0_S9_ifPKiSB_iPKfiiiSD_SD_iiiii
    .private_segment_fixed_size: 0
    .sgpr_count:     56
    .sgpr_spill_count: 0
    .symbol:         _ZN4vllm25paged_attention_v2_kernelIffLi112ELi8ELi128ELNS_18Fp8KVCacheDataTypeE0ELb1ELi512EEEvPfS2_PT_PKS3_PKT0_S9_ifPKiSB_iPKfiiiSD_SD_iiiii.kd
    .uniform_work_group_size: 1
    .uses_dynamic_stack: false
    .vgpr_count:     55
    .vgpr_spill_count: 0
    .wavefront_size: 64
  - .agpr_count:     0
    .args:
      - .actual_access:  write_only
        .address_space:  global
        .offset:         0
        .size:           8
        .value_kind:     global_buffer
      - .actual_access:  read_only
        .address_space:  global
        .offset:         8
        .size:           8
        .value_kind:     global_buffer
      - .actual_access:  read_only
        .address_space:  global
        .offset:         16
        .size:           8
        .value_kind:     global_buffer
      - .actual_access:  read_only
        .address_space:  global
        .offset:         24
        .size:           8
        .value_kind:     global_buffer
      - .actual_access:  read_only
        .address_space:  global
        .offset:         32
        .size:           8
        .value_kind:     global_buffer
      - .offset:         40
        .size:           4
        .value_kind:     by_value
      - .offset:         48
        .size:           4
        .value_kind:     hidden_block_count_x
      - .offset:         52
        .size:           4
        .value_kind:     hidden_block_count_y
      - .offset:         56
        .size:           4
        .value_kind:     hidden_block_count_z
      - .offset:         60
        .size:           2
        .value_kind:     hidden_group_size_x
      - .offset:         62
        .size:           2
        .value_kind:     hidden_group_size_y
      - .offset:         64
        .size:           2
        .value_kind:     hidden_group_size_z
      - .offset:         66
        .size:           2
        .value_kind:     hidden_remainder_x
      - .offset:         68
        .size:           2
        .value_kind:     hidden_remainder_y
      - .offset:         70
        .size:           2
        .value_kind:     hidden_remainder_z
      - .offset:         88
        .size:           8
        .value_kind:     hidden_global_offset_x
      - .offset:         96
        .size:           8
        .value_kind:     hidden_global_offset_y
      - .offset:         104
        .size:           8
        .value_kind:     hidden_global_offset_z
      - .offset:         112
        .size:           2
        .value_kind:     hidden_grid_dims
      - .offset:         168
        .size:           4
        .value_kind:     hidden_dynamic_lds_size
    .group_segment_fixed_size: 16
    .kernarg_segment_align: 8
    .kernarg_segment_size: 304
    .language:       OpenCL C
    .language_version:
      - 2
      - 0
    .max_flat_workgroup_size: 1024
    .name:           _ZN4vllm32paged_attention_v2_reduce_kernelIfLi112ELi128ELi512EEEvPT_PKfS4_PKS1_PKii
    .private_segment_fixed_size: 0
    .sgpr_count:     36
    .sgpr_spill_count: 0
    .symbol:         _ZN4vllm32paged_attention_v2_reduce_kernelIfLi112ELi128ELi512EEEvPT_PKfS4_PKS1_PKii.kd
    .uniform_work_group_size: 1
    .uses_dynamic_stack: false
    .vgpr_count:     24
    .vgpr_spill_count: 0
    .wavefront_size: 64
  - .agpr_count:     0
    .args:
      - .actual_access:  write_only
        .address_space:  global
        .offset:         0
        .size:           8
        .value_kind:     global_buffer
      - .actual_access:  write_only
        .address_space:  global
        .offset:         8
        .size:           8
        .value_kind:     global_buffer
      - .actual_access:  write_only
        .address_space:  global
        .offset:         16
        .size:           8
        .value_kind:     global_buffer
      - .actual_access:  read_only
        .address_space:  global
        .offset:         24
        .size:           8
        .value_kind:     global_buffer
      - .actual_access:  read_only
        .address_space:  global
        .offset:         32
        .size:           8
        .value_kind:     global_buffer
      - .actual_access:  read_only
        .address_space:  global
        .offset:         40
        .size:           8
        .value_kind:     global_buffer
      - .offset:         48
        .size:           4
        .value_kind:     by_value
      - .offset:         52
        .size:           4
        .value_kind:     by_value
      - .actual_access:  read_only
        .address_space:  global
        .offset:         56
        .size:           8
        .value_kind:     global_buffer
      - .actual_access:  read_only
        .address_space:  global
        .offset:         64
        .size:           8
        .value_kind:     global_buffer
      - .offset:         72
        .size:           4
        .value_kind:     by_value
      - .actual_access:  read_only
        .address_space:  global
        .offset:         80
        .size:           8
        .value_kind:     global_buffer
      - .offset:         88
        .size:           4
        .value_kind:     by_value
      - .offset:         92
        .size:           4
        .value_kind:     by_value
      - .offset:         96
        .size:           4
        .value_kind:     by_value
      - .address_space:  global
        .offset:         104
        .size:           8
        .value_kind:     global_buffer
      - .address_space:  global
        .offset:         112
        .size:           8
        .value_kind:     global_buffer
      - .offset:         120
        .size:           4
        .value_kind:     by_value
      - .offset:         124
        .size:           4
        .value_kind:     by_value
      - .offset:         128
        .size:           4
        .value_kind:     by_value
      - .offset:         132
        .size:           4
        .value_kind:     by_value
      - .offset:         136
        .size:           4
        .value_kind:     by_value
      - .offset:         144
        .size:           4
        .value_kind:     hidden_block_count_x
      - .offset:         148
        .size:           4
        .value_kind:     hidden_block_count_y
      - .offset:         152
        .size:           4
        .value_kind:     hidden_block_count_z
      - .offset:         156
        .size:           2
        .value_kind:     hidden_group_size_x
      - .offset:         158
        .size:           2
        .value_kind:     hidden_group_size_y
      - .offset:         160
        .size:           2
        .value_kind:     hidden_group_size_z
      - .offset:         162
        .size:           2
        .value_kind:     hidden_remainder_x
      - .offset:         164
        .size:           2
        .value_kind:     hidden_remainder_y
      - .offset:         166
        .size:           2
        .value_kind:     hidden_remainder_z
      - .offset:         184
        .size:           8
        .value_kind:     hidden_global_offset_x
      - .offset:         192
        .size:           8
        .value_kind:     hidden_global_offset_y
      - .offset:         200
        .size:           8
        .value_kind:     hidden_global_offset_z
      - .offset:         208
        .size:           2
        .value_kind:     hidden_grid_dims
      - .offset:         264
        .size:           4
        .value_kind:     hidden_dynamic_lds_size
    .group_segment_fixed_size: 496
    .kernarg_segment_align: 8
    .kernarg_segment_size: 400
    .language:       OpenCL C
    .language_version:
      - 2
      - 0
    .max_flat_workgroup_size: 1024
    .name:           _ZN4vllm25paged_attention_v2_kernelIffLi120ELi8ELi128ELNS_18Fp8KVCacheDataTypeE0ELb1ELi512EEEvPfS2_PT_PKS3_PKT0_S9_ifPKiSB_iPKfiiiSD_SD_iiiii
    .private_segment_fixed_size: 0
    .sgpr_count:     56
    .sgpr_spill_count: 0
    .symbol:         _ZN4vllm25paged_attention_v2_kernelIffLi120ELi8ELi128ELNS_18Fp8KVCacheDataTypeE0ELb1ELi512EEEvPfS2_PT_PKS3_PKT0_S9_ifPKiSB_iPKfiiiSD_SD_iiiii.kd
    .uniform_work_group_size: 1
    .uses_dynamic_stack: false
    .vgpr_count:     57
    .vgpr_spill_count: 0
    .wavefront_size: 64
  - .agpr_count:     0
    .args:
      - .actual_access:  write_only
        .address_space:  global
        .offset:         0
        .size:           8
        .value_kind:     global_buffer
      - .actual_access:  read_only
        .address_space:  global
        .offset:         8
        .size:           8
        .value_kind:     global_buffer
      - .actual_access:  read_only
        .address_space:  global
        .offset:         16
        .size:           8
        .value_kind:     global_buffer
      - .actual_access:  read_only
        .address_space:  global
        .offset:         24
        .size:           8
        .value_kind:     global_buffer
      - .actual_access:  read_only
        .address_space:  global
        .offset:         32
        .size:           8
        .value_kind:     global_buffer
      - .offset:         40
        .size:           4
        .value_kind:     by_value
      - .offset:         48
        .size:           4
        .value_kind:     hidden_block_count_x
      - .offset:         52
        .size:           4
        .value_kind:     hidden_block_count_y
      - .offset:         56
        .size:           4
        .value_kind:     hidden_block_count_z
      - .offset:         60
        .size:           2
        .value_kind:     hidden_group_size_x
      - .offset:         62
        .size:           2
        .value_kind:     hidden_group_size_y
      - .offset:         64
        .size:           2
        .value_kind:     hidden_group_size_z
      - .offset:         66
        .size:           2
        .value_kind:     hidden_remainder_x
      - .offset:         68
        .size:           2
        .value_kind:     hidden_remainder_y
      - .offset:         70
        .size:           2
        .value_kind:     hidden_remainder_z
      - .offset:         88
        .size:           8
        .value_kind:     hidden_global_offset_x
      - .offset:         96
        .size:           8
        .value_kind:     hidden_global_offset_y
      - .offset:         104
        .size:           8
        .value_kind:     hidden_global_offset_z
      - .offset:         112
        .size:           2
        .value_kind:     hidden_grid_dims
      - .offset:         168
        .size:           4
        .value_kind:     hidden_dynamic_lds_size
    .group_segment_fixed_size: 16
    .kernarg_segment_align: 8
    .kernarg_segment_size: 304
    .language:       OpenCL C
    .language_version:
      - 2
      - 0
    .max_flat_workgroup_size: 1024
    .name:           _ZN4vllm32paged_attention_v2_reduce_kernelIfLi120ELi128ELi512EEEvPT_PKfS4_PKS1_PKii
    .private_segment_fixed_size: 0
    .sgpr_count:     36
    .sgpr_spill_count: 0
    .symbol:         _ZN4vllm32paged_attention_v2_reduce_kernelIfLi120ELi128ELi512EEEvPT_PKfS4_PKS1_PKii.kd
    .uniform_work_group_size: 1
    .uses_dynamic_stack: false
    .vgpr_count:     24
    .vgpr_spill_count: 0
    .wavefront_size: 64
  - .agpr_count:     0
    .args:
      - .actual_access:  write_only
        .address_space:  global
        .offset:         0
        .size:           8
        .value_kind:     global_buffer
      - .actual_access:  write_only
        .address_space:  global
        .offset:         8
        .size:           8
        .value_kind:     global_buffer
      - .actual_access:  write_only
        .address_space:  global
        .offset:         16
        .size:           8
        .value_kind:     global_buffer
      - .actual_access:  read_only
        .address_space:  global
        .offset:         24
        .size:           8
        .value_kind:     global_buffer
      - .actual_access:  read_only
        .address_space:  global
        .offset:         32
        .size:           8
        .value_kind:     global_buffer
      - .actual_access:  read_only
        .address_space:  global
        .offset:         40
        .size:           8
        .value_kind:     global_buffer
      - .offset:         48
        .size:           4
        .value_kind:     by_value
      - .offset:         52
        .size:           4
        .value_kind:     by_value
      - .actual_access:  read_only
        .address_space:  global
        .offset:         56
        .size:           8
        .value_kind:     global_buffer
      - .actual_access:  read_only
        .address_space:  global
        .offset:         64
        .size:           8
        .value_kind:     global_buffer
      - .offset:         72
        .size:           4
        .value_kind:     by_value
      - .actual_access:  read_only
        .address_space:  global
        .offset:         80
        .size:           8
        .value_kind:     global_buffer
      - .offset:         88
        .size:           4
        .value_kind:     by_value
      - .offset:         92
        .size:           4
        .value_kind:     by_value
      - .offset:         96
        .size:           4
        .value_kind:     by_value
      - .address_space:  global
        .offset:         104
        .size:           8
        .value_kind:     global_buffer
      - .address_space:  global
        .offset:         112
        .size:           8
        .value_kind:     global_buffer
      - .offset:         120
        .size:           4
        .value_kind:     by_value
      - .offset:         124
        .size:           4
        .value_kind:     by_value
      - .offset:         128
        .size:           4
        .value_kind:     by_value
      - .offset:         132
        .size:           4
        .value_kind:     by_value
      - .offset:         136
        .size:           4
        .value_kind:     by_value
      - .offset:         144
        .size:           4
        .value_kind:     hidden_block_count_x
      - .offset:         148
        .size:           4
        .value_kind:     hidden_block_count_y
      - .offset:         152
        .size:           4
        .value_kind:     hidden_block_count_z
      - .offset:         156
        .size:           2
        .value_kind:     hidden_group_size_x
      - .offset:         158
        .size:           2
        .value_kind:     hidden_group_size_y
      - .offset:         160
        .size:           2
        .value_kind:     hidden_group_size_z
      - .offset:         162
        .size:           2
        .value_kind:     hidden_remainder_x
      - .offset:         164
        .size:           2
        .value_kind:     hidden_remainder_y
      - .offset:         166
        .size:           2
        .value_kind:     hidden_remainder_z
      - .offset:         184
        .size:           8
        .value_kind:     hidden_global_offset_x
      - .offset:         192
        .size:           8
        .value_kind:     hidden_global_offset_y
      - .offset:         200
        .size:           8
        .value_kind:     hidden_global_offset_z
      - .offset:         208
        .size:           2
        .value_kind:     hidden_grid_dims
      - .offset:         264
        .size:           4
        .value_kind:     hidden_dynamic_lds_size
    .group_segment_fixed_size: 528
    .kernarg_segment_align: 8
    .kernarg_segment_size: 400
    .language:       OpenCL C
    .language_version:
      - 2
      - 0
    .max_flat_workgroup_size: 1024
    .name:           _ZN4vllm25paged_attention_v2_kernelIffLi128ELi8ELi128ELNS_18Fp8KVCacheDataTypeE0ELb1ELi512EEEvPfS2_PT_PKS3_PKT0_S9_ifPKiSB_iPKfiiiSD_SD_iiiii
    .private_segment_fixed_size: 0
    .sgpr_count:     56
    .sgpr_spill_count: 0
    .symbol:         _ZN4vllm25paged_attention_v2_kernelIffLi128ELi8ELi128ELNS_18Fp8KVCacheDataTypeE0ELb1ELi512EEEvPfS2_PT_PKS3_PKT0_S9_ifPKiSB_iPKfiiiSD_SD_iiiii.kd
    .uniform_work_group_size: 1
    .uses_dynamic_stack: false
    .vgpr_count:     59
    .vgpr_spill_count: 0
    .wavefront_size: 64
  - .agpr_count:     0
    .args:
      - .actual_access:  write_only
        .address_space:  global
        .offset:         0
        .size:           8
        .value_kind:     global_buffer
      - .actual_access:  read_only
        .address_space:  global
        .offset:         8
        .size:           8
        .value_kind:     global_buffer
      - .actual_access:  read_only
        .address_space:  global
        .offset:         16
        .size:           8
        .value_kind:     global_buffer
      - .actual_access:  read_only
        .address_space:  global
        .offset:         24
        .size:           8
        .value_kind:     global_buffer
      - .actual_access:  read_only
        .address_space:  global
        .offset:         32
        .size:           8
        .value_kind:     global_buffer
      - .offset:         40
        .size:           4
        .value_kind:     by_value
      - .offset:         48
        .size:           4
        .value_kind:     hidden_block_count_x
      - .offset:         52
        .size:           4
        .value_kind:     hidden_block_count_y
      - .offset:         56
        .size:           4
        .value_kind:     hidden_block_count_z
      - .offset:         60
        .size:           2
        .value_kind:     hidden_group_size_x
      - .offset:         62
        .size:           2
        .value_kind:     hidden_group_size_y
      - .offset:         64
        .size:           2
        .value_kind:     hidden_group_size_z
      - .offset:         66
        .size:           2
        .value_kind:     hidden_remainder_x
      - .offset:         68
        .size:           2
        .value_kind:     hidden_remainder_y
      - .offset:         70
        .size:           2
        .value_kind:     hidden_remainder_z
      - .offset:         88
        .size:           8
        .value_kind:     hidden_global_offset_x
      - .offset:         96
        .size:           8
        .value_kind:     hidden_global_offset_y
      - .offset:         104
        .size:           8
        .value_kind:     hidden_global_offset_z
      - .offset:         112
        .size:           2
        .value_kind:     hidden_grid_dims
      - .offset:         168
        .size:           4
        .value_kind:     hidden_dynamic_lds_size
    .group_segment_fixed_size: 16
    .kernarg_segment_align: 8
    .kernarg_segment_size: 304
    .language:       OpenCL C
    .language_version:
      - 2
      - 0
    .max_flat_workgroup_size: 1024
    .name:           _ZN4vllm32paged_attention_v2_reduce_kernelIfLi128ELi128ELi512EEEvPT_PKfS4_PKS1_PKii
    .private_segment_fixed_size: 0
    .sgpr_count:     36
    .sgpr_spill_count: 0
    .symbol:         _ZN4vllm32paged_attention_v2_reduce_kernelIfLi128ELi128ELi512EEEvPT_PKfS4_PKS1_PKii.kd
    .uniform_work_group_size: 1
    .uses_dynamic_stack: false
    .vgpr_count:     24
    .vgpr_spill_count: 0
    .wavefront_size: 64
  - .agpr_count:     0
    .args:
      - .actual_access:  write_only
        .address_space:  global
        .offset:         0
        .size:           8
        .value_kind:     global_buffer
      - .actual_access:  write_only
        .address_space:  global
        .offset:         8
        .size:           8
        .value_kind:     global_buffer
      - .actual_access:  write_only
        .address_space:  global
        .offset:         16
        .size:           8
        .value_kind:     global_buffer
      - .actual_access:  read_only
        .address_space:  global
        .offset:         24
        .size:           8
        .value_kind:     global_buffer
      - .actual_access:  read_only
        .address_space:  global
        .offset:         32
        .size:           8
        .value_kind:     global_buffer
      - .actual_access:  read_only
        .address_space:  global
        .offset:         40
        .size:           8
        .value_kind:     global_buffer
      - .offset:         48
        .size:           4
        .value_kind:     by_value
      - .offset:         52
        .size:           4
        .value_kind:     by_value
      - .actual_access:  read_only
        .address_space:  global
        .offset:         56
        .size:           8
        .value_kind:     global_buffer
      - .actual_access:  read_only
        .address_space:  global
        .offset:         64
        .size:           8
        .value_kind:     global_buffer
      - .offset:         72
        .size:           4
        .value_kind:     by_value
      - .actual_access:  read_only
        .address_space:  global
        .offset:         80
        .size:           8
        .value_kind:     global_buffer
      - .offset:         88
        .size:           4
        .value_kind:     by_value
      - .offset:         92
        .size:           4
        .value_kind:     by_value
      - .offset:         96
        .size:           4
        .value_kind:     by_value
      - .address_space:  global
        .offset:         104
        .size:           8
        .value_kind:     global_buffer
      - .address_space:  global
        .offset:         112
        .size:           8
        .value_kind:     global_buffer
      - .offset:         120
        .size:           4
        .value_kind:     by_value
      - .offset:         124
        .size:           4
        .value_kind:     by_value
      - .offset:         128
        .size:           4
        .value_kind:     by_value
      - .offset:         132
        .size:           4
        .value_kind:     by_value
      - .offset:         136
        .size:           4
        .value_kind:     by_value
      - .offset:         144
        .size:           4
        .value_kind:     hidden_block_count_x
      - .offset:         148
        .size:           4
        .value_kind:     hidden_block_count_y
      - .offset:         152
        .size:           4
        .value_kind:     hidden_block_count_z
      - .offset:         156
        .size:           2
        .value_kind:     hidden_group_size_x
      - .offset:         158
        .size:           2
        .value_kind:     hidden_group_size_y
      - .offset:         160
        .size:           2
        .value_kind:     hidden_group_size_z
      - .offset:         162
        .size:           2
        .value_kind:     hidden_remainder_x
      - .offset:         164
        .size:           2
        .value_kind:     hidden_remainder_y
      - .offset:         166
        .size:           2
        .value_kind:     hidden_remainder_z
      - .offset:         184
        .size:           8
        .value_kind:     hidden_global_offset_x
      - .offset:         192
        .size:           8
        .value_kind:     hidden_global_offset_y
      - .offset:         200
        .size:           8
        .value_kind:     hidden_global_offset_z
      - .offset:         208
        .size:           2
        .value_kind:     hidden_grid_dims
      - .offset:         264
        .size:           4
        .value_kind:     hidden_dynamic_lds_size
    .group_segment_fixed_size: 784
    .kernarg_segment_align: 8
    .kernarg_segment_size: 400
    .language:       OpenCL C
    .language_version:
      - 2
      - 0
    .max_flat_workgroup_size: 1024
    .name:           _ZN4vllm25paged_attention_v2_kernelIffLi192ELi8ELi128ELNS_18Fp8KVCacheDataTypeE0ELb1ELi512EEEvPfS2_PT_PKS3_PKT0_S9_ifPKiSB_iPKfiiiSD_SD_iiiii
    .private_segment_fixed_size: 0
    .sgpr_count:     56
    .sgpr_spill_count: 0
    .symbol:         _ZN4vllm25paged_attention_v2_kernelIffLi192ELi8ELi128ELNS_18Fp8KVCacheDataTypeE0ELb1ELi512EEEvPfS2_PT_PKS3_PKT0_S9_ifPKiSB_iPKfiiiSD_SD_iiiii.kd
    .uniform_work_group_size: 1
    .uses_dynamic_stack: false
    .vgpr_count:     82
    .vgpr_spill_count: 0
    .wavefront_size: 64
  - .agpr_count:     0
    .args:
      - .actual_access:  write_only
        .address_space:  global
        .offset:         0
        .size:           8
        .value_kind:     global_buffer
      - .actual_access:  read_only
        .address_space:  global
        .offset:         8
        .size:           8
        .value_kind:     global_buffer
      - .actual_access:  read_only
        .address_space:  global
        .offset:         16
        .size:           8
        .value_kind:     global_buffer
      - .actual_access:  read_only
        .address_space:  global
        .offset:         24
        .size:           8
        .value_kind:     global_buffer
      - .actual_access:  read_only
        .address_space:  global
        .offset:         32
        .size:           8
        .value_kind:     global_buffer
      - .offset:         40
        .size:           4
        .value_kind:     by_value
      - .offset:         48
        .size:           4
        .value_kind:     hidden_block_count_x
      - .offset:         52
        .size:           4
        .value_kind:     hidden_block_count_y
      - .offset:         56
        .size:           4
        .value_kind:     hidden_block_count_z
      - .offset:         60
        .size:           2
        .value_kind:     hidden_group_size_x
      - .offset:         62
        .size:           2
        .value_kind:     hidden_group_size_y
      - .offset:         64
        .size:           2
        .value_kind:     hidden_group_size_z
      - .offset:         66
        .size:           2
        .value_kind:     hidden_remainder_x
      - .offset:         68
        .size:           2
        .value_kind:     hidden_remainder_y
      - .offset:         70
        .size:           2
        .value_kind:     hidden_remainder_z
      - .offset:         88
        .size:           8
        .value_kind:     hidden_global_offset_x
      - .offset:         96
        .size:           8
        .value_kind:     hidden_global_offset_y
      - .offset:         104
        .size:           8
        .value_kind:     hidden_global_offset_z
      - .offset:         112
        .size:           2
        .value_kind:     hidden_grid_dims
      - .offset:         168
        .size:           4
        .value_kind:     hidden_dynamic_lds_size
    .group_segment_fixed_size: 16
    .kernarg_segment_align: 8
    .kernarg_segment_size: 304
    .language:       OpenCL C
    .language_version:
      - 2
      - 0
    .max_flat_workgroup_size: 1024
    .name:           _ZN4vllm32paged_attention_v2_reduce_kernelIfLi192ELi128ELi512EEEvPT_PKfS4_PKS1_PKii
    .private_segment_fixed_size: 0
    .sgpr_count:     36
    .sgpr_spill_count: 0
    .symbol:         _ZN4vllm32paged_attention_v2_reduce_kernelIfLi192ELi128ELi512EEEvPT_PKfS4_PKS1_PKii.kd
    .uniform_work_group_size: 1
    .uses_dynamic_stack: false
    .vgpr_count:     24
    .vgpr_spill_count: 0
    .wavefront_size: 64
  - .agpr_count:     0
    .args:
      - .actual_access:  write_only
        .address_space:  global
        .offset:         0
        .size:           8
        .value_kind:     global_buffer
      - .actual_access:  write_only
        .address_space:  global
        .offset:         8
        .size:           8
        .value_kind:     global_buffer
      - .actual_access:  write_only
        .address_space:  global
        .offset:         16
        .size:           8
        .value_kind:     global_buffer
      - .actual_access:  read_only
        .address_space:  global
        .offset:         24
        .size:           8
        .value_kind:     global_buffer
      - .actual_access:  read_only
        .address_space:  global
        .offset:         32
        .size:           8
        .value_kind:     global_buffer
      - .actual_access:  read_only
        .address_space:  global
        .offset:         40
        .size:           8
        .value_kind:     global_buffer
      - .offset:         48
        .size:           4
        .value_kind:     by_value
      - .offset:         52
        .size:           4
        .value_kind:     by_value
      - .actual_access:  read_only
        .address_space:  global
        .offset:         56
        .size:           8
        .value_kind:     global_buffer
      - .actual_access:  read_only
        .address_space:  global
        .offset:         64
        .size:           8
        .value_kind:     global_buffer
      - .offset:         72
        .size:           4
        .value_kind:     by_value
      - .actual_access:  read_only
        .address_space:  global
        .offset:         80
        .size:           8
        .value_kind:     global_buffer
      - .offset:         88
        .size:           4
        .value_kind:     by_value
      - .offset:         92
        .size:           4
        .value_kind:     by_value
      - .offset:         96
        .size:           4
        .value_kind:     by_value
      - .address_space:  global
        .offset:         104
        .size:           8
        .value_kind:     global_buffer
      - .address_space:  global
        .offset:         112
        .size:           8
        .value_kind:     global_buffer
      - .offset:         120
        .size:           4
        .value_kind:     by_value
      - .offset:         124
        .size:           4
        .value_kind:     by_value
      - .offset:         128
        .size:           4
        .value_kind:     by_value
      - .offset:         132
        .size:           4
        .value_kind:     by_value
      - .offset:         136
        .size:           4
        .value_kind:     by_value
      - .offset:         144
        .size:           4
        .value_kind:     hidden_block_count_x
      - .offset:         148
        .size:           4
        .value_kind:     hidden_block_count_y
      - .offset:         152
        .size:           4
        .value_kind:     hidden_block_count_z
      - .offset:         156
        .size:           2
        .value_kind:     hidden_group_size_x
      - .offset:         158
        .size:           2
        .value_kind:     hidden_group_size_y
      - .offset:         160
        .size:           2
        .value_kind:     hidden_group_size_z
      - .offset:         162
        .size:           2
        .value_kind:     hidden_remainder_x
      - .offset:         164
        .size:           2
        .value_kind:     hidden_remainder_y
      - .offset:         166
        .size:           2
        .value_kind:     hidden_remainder_z
      - .offset:         184
        .size:           8
        .value_kind:     hidden_global_offset_x
      - .offset:         192
        .size:           8
        .value_kind:     hidden_global_offset_y
      - .offset:         200
        .size:           8
        .value_kind:     hidden_global_offset_z
      - .offset:         208
        .size:           2
        .value_kind:     hidden_grid_dims
      - .offset:         264
        .size:           4
        .value_kind:     hidden_dynamic_lds_size
    .group_segment_fixed_size: 1040
    .kernarg_segment_align: 8
    .kernarg_segment_size: 400
    .language:       OpenCL C
    .language_version:
      - 2
      - 0
    .max_flat_workgroup_size: 1024
    .name:           _ZN4vllm25paged_attention_v2_kernelIffLi256ELi8ELi128ELNS_18Fp8KVCacheDataTypeE0ELb1ELi512EEEvPfS2_PT_PKS3_PKT0_S9_ifPKiSB_iPKfiiiSD_SD_iiiii
    .private_segment_fixed_size: 0
    .sgpr_count:     56
    .sgpr_spill_count: 0
    .symbol:         _ZN4vllm25paged_attention_v2_kernelIffLi256ELi8ELi128ELNS_18Fp8KVCacheDataTypeE0ELb1ELi512EEEvPfS2_PT_PKS3_PKT0_S9_ifPKiSB_iPKfiiiSD_SD_iiiii.kd
    .uniform_work_group_size: 1
    .uses_dynamic_stack: false
    .vgpr_count:     106
    .vgpr_spill_count: 0
    .wavefront_size: 64
  - .agpr_count:     0
    .args:
      - .actual_access:  write_only
        .address_space:  global
        .offset:         0
        .size:           8
        .value_kind:     global_buffer
      - .actual_access:  read_only
        .address_space:  global
        .offset:         8
        .size:           8
        .value_kind:     global_buffer
      - .actual_access:  read_only
        .address_space:  global
        .offset:         16
        .size:           8
        .value_kind:     global_buffer
      - .actual_access:  read_only
        .address_space:  global
        .offset:         24
        .size:           8
        .value_kind:     global_buffer
      - .actual_access:  read_only
        .address_space:  global
        .offset:         32
        .size:           8
        .value_kind:     global_buffer
      - .offset:         40
        .size:           4
        .value_kind:     by_value
      - .offset:         48
        .size:           4
        .value_kind:     hidden_block_count_x
      - .offset:         52
        .size:           4
        .value_kind:     hidden_block_count_y
      - .offset:         56
        .size:           4
        .value_kind:     hidden_block_count_z
      - .offset:         60
        .size:           2
        .value_kind:     hidden_group_size_x
      - .offset:         62
        .size:           2
        .value_kind:     hidden_group_size_y
      - .offset:         64
        .size:           2
        .value_kind:     hidden_group_size_z
      - .offset:         66
        .size:           2
        .value_kind:     hidden_remainder_x
      - .offset:         68
        .size:           2
        .value_kind:     hidden_remainder_y
      - .offset:         70
        .size:           2
        .value_kind:     hidden_remainder_z
      - .offset:         88
        .size:           8
        .value_kind:     hidden_global_offset_x
      - .offset:         96
        .size:           8
        .value_kind:     hidden_global_offset_y
      - .offset:         104
        .size:           8
        .value_kind:     hidden_global_offset_z
      - .offset:         112
        .size:           2
        .value_kind:     hidden_grid_dims
      - .offset:         168
        .size:           4
        .value_kind:     hidden_dynamic_lds_size
    .group_segment_fixed_size: 16
    .kernarg_segment_align: 8
    .kernarg_segment_size: 304
    .language:       OpenCL C
    .language_version:
      - 2
      - 0
    .max_flat_workgroup_size: 1024
    .name:           _ZN4vllm32paged_attention_v2_reduce_kernelIfLi256ELi128ELi512EEEvPT_PKfS4_PKS1_PKii
    .private_segment_fixed_size: 0
    .sgpr_count:     36
    .sgpr_spill_count: 0
    .symbol:         _ZN4vllm32paged_attention_v2_reduce_kernelIfLi256ELi128ELi512EEEvPT_PKfS4_PKS1_PKii.kd
    .uniform_work_group_size: 1
    .uses_dynamic_stack: false
    .vgpr_count:     24
    .vgpr_spill_count: 0
    .wavefront_size: 64
  - .agpr_count:     0
    .args:
      - .actual_access:  write_only
        .address_space:  global
        .offset:         0
        .size:           8
        .value_kind:     global_buffer
      - .actual_access:  write_only
        .address_space:  global
        .offset:         8
        .size:           8
        .value_kind:     global_buffer
      - .actual_access:  write_only
        .address_space:  global
        .offset:         16
        .size:           8
        .value_kind:     global_buffer
      - .actual_access:  read_only
        .address_space:  global
        .offset:         24
        .size:           8
        .value_kind:     global_buffer
      - .actual_access:  read_only
        .address_space:  global
        .offset:         32
        .size:           8
        .value_kind:     global_buffer
      - .actual_access:  read_only
        .address_space:  global
        .offset:         40
        .size:           8
        .value_kind:     global_buffer
      - .offset:         48
        .size:           4
        .value_kind:     by_value
      - .offset:         52
        .size:           4
        .value_kind:     by_value
      - .actual_access:  read_only
        .address_space:  global
        .offset:         56
        .size:           8
        .value_kind:     global_buffer
      - .actual_access:  read_only
        .address_space:  global
        .offset:         64
        .size:           8
        .value_kind:     global_buffer
      - .offset:         72
        .size:           4
        .value_kind:     by_value
      - .actual_access:  read_only
        .address_space:  global
        .offset:         80
        .size:           8
        .value_kind:     global_buffer
      - .offset:         88
        .size:           4
        .value_kind:     by_value
      - .offset:         92
        .size:           4
        .value_kind:     by_value
      - .offset:         96
        .size:           4
        .value_kind:     by_value
      - .address_space:  global
        .offset:         104
        .size:           8
        .value_kind:     global_buffer
      - .address_space:  global
        .offset:         112
        .size:           8
        .value_kind:     global_buffer
      - .offset:         120
        .size:           4
        .value_kind:     by_value
      - .offset:         124
        .size:           4
        .value_kind:     by_value
      - .offset:         128
        .size:           4
        .value_kind:     by_value
      - .offset:         132
        .size:           4
        .value_kind:     by_value
      - .offset:         136
        .size:           4
        .value_kind:     by_value
      - .offset:         144
        .size:           4
        .value_kind:     hidden_block_count_x
      - .offset:         148
        .size:           4
        .value_kind:     hidden_block_count_y
      - .offset:         152
        .size:           4
        .value_kind:     hidden_block_count_z
      - .offset:         156
        .size:           2
        .value_kind:     hidden_group_size_x
      - .offset:         158
        .size:           2
        .value_kind:     hidden_group_size_y
      - .offset:         160
        .size:           2
        .value_kind:     hidden_group_size_z
      - .offset:         162
        .size:           2
        .value_kind:     hidden_remainder_x
      - .offset:         164
        .size:           2
        .value_kind:     hidden_remainder_y
      - .offset:         166
        .size:           2
        .value_kind:     hidden_remainder_z
      - .offset:         184
        .size:           8
        .value_kind:     hidden_global_offset_x
      - .offset:         192
        .size:           8
        .value_kind:     hidden_global_offset_y
      - .offset:         200
        .size:           8
        .value_kind:     hidden_global_offset_z
      - .offset:         208
        .size:           2
        .value_kind:     hidden_grid_dims
      - .offset:         264
        .size:           4
        .value_kind:     hidden_dynamic_lds_size
    .group_segment_fixed_size: 144
    .kernarg_segment_align: 8
    .kernarg_segment_size: 400
    .language:       OpenCL C
    .language_version:
      - 2
      - 0
    .max_flat_workgroup_size: 1024
    .name:           _ZN4vllm25paged_attention_v2_kernelIffLi32ELi8ELi128ELNS_18Fp8KVCacheDataTypeE0ELb0ELi512EEEvPfS2_PT_PKS3_PKT0_S9_ifPKiSB_iPKfiiiSD_SD_iiiii
    .private_segment_fixed_size: 0
    .sgpr_count:     46
    .sgpr_spill_count: 0
    .symbol:         _ZN4vllm25paged_attention_v2_kernelIffLi32ELi8ELi128ELNS_18Fp8KVCacheDataTypeE0ELb0ELi512EEEvPfS2_PT_PKS3_PKT0_S9_ifPKiSB_iPKfiiiSD_SD_iiiii.kd
    .uniform_work_group_size: 1
    .uses_dynamic_stack: false
    .vgpr_count:     28
    .vgpr_spill_count: 0
    .wavefront_size: 64
  - .agpr_count:     0
    .args:
      - .actual_access:  write_only
        .address_space:  global
        .offset:         0
        .size:           8
        .value_kind:     global_buffer
      - .actual_access:  write_only
        .address_space:  global
        .offset:         8
        .size:           8
        .value_kind:     global_buffer
      - .actual_access:  write_only
        .address_space:  global
        .offset:         16
        .size:           8
        .value_kind:     global_buffer
      - .actual_access:  read_only
        .address_space:  global
        .offset:         24
        .size:           8
        .value_kind:     global_buffer
      - .actual_access:  read_only
        .address_space:  global
        .offset:         32
        .size:           8
        .value_kind:     global_buffer
      - .actual_access:  read_only
        .address_space:  global
        .offset:         40
        .size:           8
        .value_kind:     global_buffer
      - .offset:         48
        .size:           4
        .value_kind:     by_value
      - .offset:         52
        .size:           4
        .value_kind:     by_value
      - .actual_access:  read_only
        .address_space:  global
        .offset:         56
        .size:           8
        .value_kind:     global_buffer
      - .actual_access:  read_only
        .address_space:  global
        .offset:         64
        .size:           8
        .value_kind:     global_buffer
      - .offset:         72
        .size:           4
        .value_kind:     by_value
      - .actual_access:  read_only
        .address_space:  global
        .offset:         80
        .size:           8
        .value_kind:     global_buffer
      - .offset:         88
        .size:           4
        .value_kind:     by_value
      - .offset:         92
        .size:           4
        .value_kind:     by_value
      - .offset:         96
        .size:           4
        .value_kind:     by_value
      - .address_space:  global
        .offset:         104
        .size:           8
        .value_kind:     global_buffer
      - .address_space:  global
        .offset:         112
        .size:           8
        .value_kind:     global_buffer
      - .offset:         120
        .size:           4
        .value_kind:     by_value
      - .offset:         124
        .size:           4
        .value_kind:     by_value
      - .offset:         128
        .size:           4
        .value_kind:     by_value
      - .offset:         132
        .size:           4
        .value_kind:     by_value
      - .offset:         136
        .size:           4
        .value_kind:     by_value
      - .offset:         144
        .size:           4
        .value_kind:     hidden_block_count_x
      - .offset:         148
        .size:           4
        .value_kind:     hidden_block_count_y
      - .offset:         152
        .size:           4
        .value_kind:     hidden_block_count_z
      - .offset:         156
        .size:           2
        .value_kind:     hidden_group_size_x
      - .offset:         158
        .size:           2
        .value_kind:     hidden_group_size_y
      - .offset:         160
        .size:           2
        .value_kind:     hidden_group_size_z
      - .offset:         162
        .size:           2
        .value_kind:     hidden_remainder_x
      - .offset:         164
        .size:           2
        .value_kind:     hidden_remainder_y
      - .offset:         166
        .size:           2
        .value_kind:     hidden_remainder_z
      - .offset:         184
        .size:           8
        .value_kind:     hidden_global_offset_x
      - .offset:         192
        .size:           8
        .value_kind:     hidden_global_offset_y
      - .offset:         200
        .size:           8
        .value_kind:     hidden_global_offset_z
      - .offset:         208
        .size:           2
        .value_kind:     hidden_grid_dims
      - .offset:         264
        .size:           4
        .value_kind:     hidden_dynamic_lds_size
    .group_segment_fixed_size: 272
    .kernarg_segment_align: 8
    .kernarg_segment_size: 400
    .language:       OpenCL C
    .language_version:
      - 2
      - 0
    .max_flat_workgroup_size: 1024
    .name:           _ZN4vllm25paged_attention_v2_kernelIffLi64ELi8ELi128ELNS_18Fp8KVCacheDataTypeE0ELb0ELi512EEEvPfS2_PT_PKS3_PKT0_S9_ifPKiSB_iPKfiiiSD_SD_iiiii
    .private_segment_fixed_size: 0
    .sgpr_count:     48
    .sgpr_spill_count: 0
    .symbol:         _ZN4vllm25paged_attention_v2_kernelIffLi64ELi8ELi128ELNS_18Fp8KVCacheDataTypeE0ELb0ELi512EEEvPfS2_PT_PKS3_PKT0_S9_ifPKiSB_iPKfiiiSD_SD_iiiii.kd
    .uniform_work_group_size: 1
    .uses_dynamic_stack: false
    .vgpr_count:     37
    .vgpr_spill_count: 0
    .wavefront_size: 64
  - .agpr_count:     0
    .args:
      - .actual_access:  write_only
        .address_space:  global
        .offset:         0
        .size:           8
        .value_kind:     global_buffer
      - .actual_access:  write_only
        .address_space:  global
        .offset:         8
        .size:           8
        .value_kind:     global_buffer
      - .actual_access:  write_only
        .address_space:  global
        .offset:         16
        .size:           8
        .value_kind:     global_buffer
      - .actual_access:  read_only
        .address_space:  global
        .offset:         24
        .size:           8
        .value_kind:     global_buffer
      - .actual_access:  read_only
        .address_space:  global
        .offset:         32
        .size:           8
        .value_kind:     global_buffer
      - .actual_access:  read_only
        .address_space:  global
        .offset:         40
        .size:           8
        .value_kind:     global_buffer
      - .offset:         48
        .size:           4
        .value_kind:     by_value
      - .offset:         52
        .size:           4
        .value_kind:     by_value
      - .actual_access:  read_only
        .address_space:  global
        .offset:         56
        .size:           8
        .value_kind:     global_buffer
      - .actual_access:  read_only
        .address_space:  global
        .offset:         64
        .size:           8
        .value_kind:     global_buffer
      - .offset:         72
        .size:           4
        .value_kind:     by_value
      - .actual_access:  read_only
        .address_space:  global
        .offset:         80
        .size:           8
        .value_kind:     global_buffer
      - .offset:         88
        .size:           4
        .value_kind:     by_value
      - .offset:         92
        .size:           4
        .value_kind:     by_value
      - .offset:         96
        .size:           4
        .value_kind:     by_value
      - .address_space:  global
        .offset:         104
        .size:           8
        .value_kind:     global_buffer
      - .address_space:  global
        .offset:         112
        .size:           8
        .value_kind:     global_buffer
      - .offset:         120
        .size:           4
        .value_kind:     by_value
      - .offset:         124
        .size:           4
        .value_kind:     by_value
      - .offset:         128
        .size:           4
        .value_kind:     by_value
      - .offset:         132
        .size:           4
        .value_kind:     by_value
      - .offset:         136
        .size:           4
        .value_kind:     by_value
      - .offset:         144
        .size:           4
        .value_kind:     hidden_block_count_x
      - .offset:         148
        .size:           4
        .value_kind:     hidden_block_count_y
      - .offset:         152
        .size:           4
        .value_kind:     hidden_block_count_z
      - .offset:         156
        .size:           2
        .value_kind:     hidden_group_size_x
      - .offset:         158
        .size:           2
        .value_kind:     hidden_group_size_y
      - .offset:         160
        .size:           2
        .value_kind:     hidden_group_size_z
      - .offset:         162
        .size:           2
        .value_kind:     hidden_remainder_x
      - .offset:         164
        .size:           2
        .value_kind:     hidden_remainder_y
      - .offset:         166
        .size:           2
        .value_kind:     hidden_remainder_z
      - .offset:         184
        .size:           8
        .value_kind:     hidden_global_offset_x
      - .offset:         192
        .size:           8
        .value_kind:     hidden_global_offset_y
      - .offset:         200
        .size:           8
        .value_kind:     hidden_global_offset_z
      - .offset:         208
        .size:           2
        .value_kind:     hidden_grid_dims
      - .offset:         264
        .size:           4
        .value_kind:     hidden_dynamic_lds_size
    .group_segment_fixed_size: 336
    .kernarg_segment_align: 8
    .kernarg_segment_size: 400
    .language:       OpenCL C
    .language_version:
      - 2
      - 0
    .max_flat_workgroup_size: 1024
    .name:           _ZN4vllm25paged_attention_v2_kernelIffLi80ELi8ELi128ELNS_18Fp8KVCacheDataTypeE0ELb0ELi512EEEvPfS2_PT_PKS3_PKT0_S9_ifPKiSB_iPKfiiiSD_SD_iiiii
    .private_segment_fixed_size: 0
    .sgpr_count:     46
    .sgpr_spill_count: 0
    .symbol:         _ZN4vllm25paged_attention_v2_kernelIffLi80ELi8ELi128ELNS_18Fp8KVCacheDataTypeE0ELb0ELi512EEEvPfS2_PT_PKS3_PKT0_S9_ifPKiSB_iPKfiiiSD_SD_iiiii.kd
    .uniform_work_group_size: 1
    .uses_dynamic_stack: false
    .vgpr_count:     41
    .vgpr_spill_count: 0
    .wavefront_size: 64
  - .agpr_count:     0
    .args:
      - .actual_access:  write_only
        .address_space:  global
        .offset:         0
        .size:           8
        .value_kind:     global_buffer
      - .actual_access:  write_only
        .address_space:  global
        .offset:         8
        .size:           8
        .value_kind:     global_buffer
      - .actual_access:  write_only
        .address_space:  global
        .offset:         16
        .size:           8
        .value_kind:     global_buffer
      - .actual_access:  read_only
        .address_space:  global
        .offset:         24
        .size:           8
        .value_kind:     global_buffer
      - .actual_access:  read_only
        .address_space:  global
        .offset:         32
        .size:           8
        .value_kind:     global_buffer
      - .actual_access:  read_only
        .address_space:  global
        .offset:         40
        .size:           8
        .value_kind:     global_buffer
      - .offset:         48
        .size:           4
        .value_kind:     by_value
      - .offset:         52
        .size:           4
        .value_kind:     by_value
      - .actual_access:  read_only
        .address_space:  global
        .offset:         56
        .size:           8
        .value_kind:     global_buffer
      - .actual_access:  read_only
        .address_space:  global
        .offset:         64
        .size:           8
        .value_kind:     global_buffer
      - .offset:         72
        .size:           4
        .value_kind:     by_value
      - .actual_access:  read_only
        .address_space:  global
        .offset:         80
        .size:           8
        .value_kind:     global_buffer
      - .offset:         88
        .size:           4
        .value_kind:     by_value
      - .offset:         92
        .size:           4
        .value_kind:     by_value
      - .offset:         96
        .size:           4
        .value_kind:     by_value
      - .address_space:  global
        .offset:         104
        .size:           8
        .value_kind:     global_buffer
      - .address_space:  global
        .offset:         112
        .size:           8
        .value_kind:     global_buffer
      - .offset:         120
        .size:           4
        .value_kind:     by_value
      - .offset:         124
        .size:           4
        .value_kind:     by_value
      - .offset:         128
        .size:           4
        .value_kind:     by_value
      - .offset:         132
        .size:           4
        .value_kind:     by_value
      - .offset:         136
        .size:           4
        .value_kind:     by_value
      - .offset:         144
        .size:           4
        .value_kind:     hidden_block_count_x
      - .offset:         148
        .size:           4
        .value_kind:     hidden_block_count_y
      - .offset:         152
        .size:           4
        .value_kind:     hidden_block_count_z
      - .offset:         156
        .size:           2
        .value_kind:     hidden_group_size_x
      - .offset:         158
        .size:           2
        .value_kind:     hidden_group_size_y
      - .offset:         160
        .size:           2
        .value_kind:     hidden_group_size_z
      - .offset:         162
        .size:           2
        .value_kind:     hidden_remainder_x
      - .offset:         164
        .size:           2
        .value_kind:     hidden_remainder_y
      - .offset:         166
        .size:           2
        .value_kind:     hidden_remainder_z
      - .offset:         184
        .size:           8
        .value_kind:     hidden_global_offset_x
      - .offset:         192
        .size:           8
        .value_kind:     hidden_global_offset_y
      - .offset:         200
        .size:           8
        .value_kind:     hidden_global_offset_z
      - .offset:         208
        .size:           2
        .value_kind:     hidden_grid_dims
      - .offset:         264
        .size:           4
        .value_kind:     hidden_dynamic_lds_size
    .group_segment_fixed_size: 400
    .kernarg_segment_align: 8
    .kernarg_segment_size: 400
    .language:       OpenCL C
    .language_version:
      - 2
      - 0
    .max_flat_workgroup_size: 1024
    .name:           _ZN4vllm25paged_attention_v2_kernelIffLi96ELi8ELi128ELNS_18Fp8KVCacheDataTypeE0ELb0ELi512EEEvPfS2_PT_PKS3_PKT0_S9_ifPKiSB_iPKfiiiSD_SD_iiiii
    .private_segment_fixed_size: 0
    .sgpr_count:     46
    .sgpr_spill_count: 0
    .symbol:         _ZN4vllm25paged_attention_v2_kernelIffLi96ELi8ELi128ELNS_18Fp8KVCacheDataTypeE0ELb0ELi512EEEvPfS2_PT_PKS3_PKT0_S9_ifPKiSB_iPKfiiiSD_SD_iiiii.kd
    .uniform_work_group_size: 1
    .uses_dynamic_stack: false
    .vgpr_count:     45
    .vgpr_spill_count: 0
    .wavefront_size: 64
  - .agpr_count:     0
    .args:
      - .actual_access:  write_only
        .address_space:  global
        .offset:         0
        .size:           8
        .value_kind:     global_buffer
      - .actual_access:  write_only
        .address_space:  global
        .offset:         8
        .size:           8
        .value_kind:     global_buffer
      - .actual_access:  write_only
        .address_space:  global
        .offset:         16
        .size:           8
        .value_kind:     global_buffer
      - .actual_access:  read_only
        .address_space:  global
        .offset:         24
        .size:           8
        .value_kind:     global_buffer
      - .actual_access:  read_only
        .address_space:  global
        .offset:         32
        .size:           8
        .value_kind:     global_buffer
      - .actual_access:  read_only
        .address_space:  global
        .offset:         40
        .size:           8
        .value_kind:     global_buffer
      - .offset:         48
        .size:           4
        .value_kind:     by_value
      - .offset:         52
        .size:           4
        .value_kind:     by_value
      - .actual_access:  read_only
        .address_space:  global
        .offset:         56
        .size:           8
        .value_kind:     global_buffer
      - .actual_access:  read_only
        .address_space:  global
        .offset:         64
        .size:           8
        .value_kind:     global_buffer
      - .offset:         72
        .size:           4
        .value_kind:     by_value
      - .actual_access:  read_only
        .address_space:  global
        .offset:         80
        .size:           8
        .value_kind:     global_buffer
      - .offset:         88
        .size:           4
        .value_kind:     by_value
      - .offset:         92
        .size:           4
        .value_kind:     by_value
      - .offset:         96
        .size:           4
        .value_kind:     by_value
      - .address_space:  global
        .offset:         104
        .size:           8
        .value_kind:     global_buffer
      - .address_space:  global
        .offset:         112
        .size:           8
        .value_kind:     global_buffer
      - .offset:         120
        .size:           4
        .value_kind:     by_value
      - .offset:         124
        .size:           4
        .value_kind:     by_value
      - .offset:         128
        .size:           4
        .value_kind:     by_value
      - .offset:         132
        .size:           4
        .value_kind:     by_value
      - .offset:         136
        .size:           4
        .value_kind:     by_value
      - .offset:         144
        .size:           4
        .value_kind:     hidden_block_count_x
      - .offset:         148
        .size:           4
        .value_kind:     hidden_block_count_y
      - .offset:         152
        .size:           4
        .value_kind:     hidden_block_count_z
      - .offset:         156
        .size:           2
        .value_kind:     hidden_group_size_x
      - .offset:         158
        .size:           2
        .value_kind:     hidden_group_size_y
      - .offset:         160
        .size:           2
        .value_kind:     hidden_group_size_z
      - .offset:         162
        .size:           2
        .value_kind:     hidden_remainder_x
      - .offset:         164
        .size:           2
        .value_kind:     hidden_remainder_y
      - .offset:         166
        .size:           2
        .value_kind:     hidden_remainder_z
      - .offset:         184
        .size:           8
        .value_kind:     hidden_global_offset_x
      - .offset:         192
        .size:           8
        .value_kind:     hidden_global_offset_y
      - .offset:         200
        .size:           8
        .value_kind:     hidden_global_offset_z
      - .offset:         208
        .size:           2
        .value_kind:     hidden_grid_dims
      - .offset:         264
        .size:           4
        .value_kind:     hidden_dynamic_lds_size
    .group_segment_fixed_size: 464
    .kernarg_segment_align: 8
    .kernarg_segment_size: 400
    .language:       OpenCL C
    .language_version:
      - 2
      - 0
    .max_flat_workgroup_size: 1024
    .name:           _ZN4vllm25paged_attention_v2_kernelIffLi112ELi8ELi128ELNS_18Fp8KVCacheDataTypeE0ELb0ELi512EEEvPfS2_PT_PKS3_PKT0_S9_ifPKiSB_iPKfiiiSD_SD_iiiii
    .private_segment_fixed_size: 0
    .sgpr_count:     46
    .sgpr_spill_count: 0
    .symbol:         _ZN4vllm25paged_attention_v2_kernelIffLi112ELi8ELi128ELNS_18Fp8KVCacheDataTypeE0ELb0ELi512EEEvPfS2_PT_PKS3_PKT0_S9_ifPKiSB_iPKfiiiSD_SD_iiiii.kd
    .uniform_work_group_size: 1
    .uses_dynamic_stack: false
    .vgpr_count:     49
    .vgpr_spill_count: 0
    .wavefront_size: 64
  - .agpr_count:     0
    .args:
      - .actual_access:  write_only
        .address_space:  global
        .offset:         0
        .size:           8
        .value_kind:     global_buffer
      - .actual_access:  write_only
        .address_space:  global
        .offset:         8
        .size:           8
        .value_kind:     global_buffer
      - .actual_access:  write_only
        .address_space:  global
        .offset:         16
        .size:           8
        .value_kind:     global_buffer
      - .actual_access:  read_only
        .address_space:  global
        .offset:         24
        .size:           8
        .value_kind:     global_buffer
      - .actual_access:  read_only
        .address_space:  global
        .offset:         32
        .size:           8
        .value_kind:     global_buffer
      - .actual_access:  read_only
        .address_space:  global
        .offset:         40
        .size:           8
        .value_kind:     global_buffer
      - .offset:         48
        .size:           4
        .value_kind:     by_value
      - .offset:         52
        .size:           4
        .value_kind:     by_value
      - .actual_access:  read_only
        .address_space:  global
        .offset:         56
        .size:           8
        .value_kind:     global_buffer
      - .actual_access:  read_only
        .address_space:  global
        .offset:         64
        .size:           8
        .value_kind:     global_buffer
      - .offset:         72
        .size:           4
        .value_kind:     by_value
      - .actual_access:  read_only
        .address_space:  global
        .offset:         80
        .size:           8
        .value_kind:     global_buffer
      - .offset:         88
        .size:           4
        .value_kind:     by_value
      - .offset:         92
        .size:           4
        .value_kind:     by_value
      - .offset:         96
        .size:           4
        .value_kind:     by_value
      - .address_space:  global
        .offset:         104
        .size:           8
        .value_kind:     global_buffer
      - .address_space:  global
        .offset:         112
        .size:           8
        .value_kind:     global_buffer
      - .offset:         120
        .size:           4
        .value_kind:     by_value
      - .offset:         124
        .size:           4
        .value_kind:     by_value
      - .offset:         128
        .size:           4
        .value_kind:     by_value
      - .offset:         132
        .size:           4
        .value_kind:     by_value
      - .offset:         136
        .size:           4
        .value_kind:     by_value
      - .offset:         144
        .size:           4
        .value_kind:     hidden_block_count_x
      - .offset:         148
        .size:           4
        .value_kind:     hidden_block_count_y
      - .offset:         152
        .size:           4
        .value_kind:     hidden_block_count_z
      - .offset:         156
        .size:           2
        .value_kind:     hidden_group_size_x
      - .offset:         158
        .size:           2
        .value_kind:     hidden_group_size_y
      - .offset:         160
        .size:           2
        .value_kind:     hidden_group_size_z
      - .offset:         162
        .size:           2
        .value_kind:     hidden_remainder_x
      - .offset:         164
        .size:           2
        .value_kind:     hidden_remainder_y
      - .offset:         166
        .size:           2
        .value_kind:     hidden_remainder_z
      - .offset:         184
        .size:           8
        .value_kind:     hidden_global_offset_x
      - .offset:         192
        .size:           8
        .value_kind:     hidden_global_offset_y
      - .offset:         200
        .size:           8
        .value_kind:     hidden_global_offset_z
      - .offset:         208
        .size:           2
        .value_kind:     hidden_grid_dims
      - .offset:         264
        .size:           4
        .value_kind:     hidden_dynamic_lds_size
    .group_segment_fixed_size: 496
    .kernarg_segment_align: 8
    .kernarg_segment_size: 400
    .language:       OpenCL C
    .language_version:
      - 2
      - 0
    .max_flat_workgroup_size: 1024
    .name:           _ZN4vllm25paged_attention_v2_kernelIffLi120ELi8ELi128ELNS_18Fp8KVCacheDataTypeE0ELb0ELi512EEEvPfS2_PT_PKS3_PKT0_S9_ifPKiSB_iPKfiiiSD_SD_iiiii
    .private_segment_fixed_size: 0
    .sgpr_count:     46
    .sgpr_spill_count: 0
    .symbol:         _ZN4vllm25paged_attention_v2_kernelIffLi120ELi8ELi128ELNS_18Fp8KVCacheDataTypeE0ELb0ELi512EEEvPfS2_PT_PKS3_PKT0_S9_ifPKiSB_iPKfiiiSD_SD_iiiii.kd
    .uniform_work_group_size: 1
    .uses_dynamic_stack: false
    .vgpr_count:     51
    .vgpr_spill_count: 0
    .wavefront_size: 64
  - .agpr_count:     0
    .args:
      - .actual_access:  write_only
        .address_space:  global
        .offset:         0
        .size:           8
        .value_kind:     global_buffer
      - .actual_access:  write_only
        .address_space:  global
        .offset:         8
        .size:           8
        .value_kind:     global_buffer
      - .actual_access:  write_only
        .address_space:  global
        .offset:         16
        .size:           8
        .value_kind:     global_buffer
      - .actual_access:  read_only
        .address_space:  global
        .offset:         24
        .size:           8
        .value_kind:     global_buffer
      - .actual_access:  read_only
        .address_space:  global
        .offset:         32
        .size:           8
        .value_kind:     global_buffer
      - .actual_access:  read_only
        .address_space:  global
        .offset:         40
        .size:           8
        .value_kind:     global_buffer
      - .offset:         48
        .size:           4
        .value_kind:     by_value
      - .offset:         52
        .size:           4
        .value_kind:     by_value
      - .actual_access:  read_only
        .address_space:  global
        .offset:         56
        .size:           8
        .value_kind:     global_buffer
      - .actual_access:  read_only
        .address_space:  global
        .offset:         64
        .size:           8
        .value_kind:     global_buffer
      - .offset:         72
        .size:           4
        .value_kind:     by_value
      - .actual_access:  read_only
        .address_space:  global
        .offset:         80
        .size:           8
        .value_kind:     global_buffer
      - .offset:         88
        .size:           4
        .value_kind:     by_value
      - .offset:         92
        .size:           4
        .value_kind:     by_value
      - .offset:         96
        .size:           4
        .value_kind:     by_value
      - .address_space:  global
        .offset:         104
        .size:           8
        .value_kind:     global_buffer
      - .address_space:  global
        .offset:         112
        .size:           8
        .value_kind:     global_buffer
      - .offset:         120
        .size:           4
        .value_kind:     by_value
      - .offset:         124
        .size:           4
        .value_kind:     by_value
      - .offset:         128
        .size:           4
        .value_kind:     by_value
      - .offset:         132
        .size:           4
        .value_kind:     by_value
      - .offset:         136
        .size:           4
        .value_kind:     by_value
      - .offset:         144
        .size:           4
        .value_kind:     hidden_block_count_x
      - .offset:         148
        .size:           4
        .value_kind:     hidden_block_count_y
      - .offset:         152
        .size:           4
        .value_kind:     hidden_block_count_z
      - .offset:         156
        .size:           2
        .value_kind:     hidden_group_size_x
      - .offset:         158
        .size:           2
        .value_kind:     hidden_group_size_y
      - .offset:         160
        .size:           2
        .value_kind:     hidden_group_size_z
      - .offset:         162
        .size:           2
        .value_kind:     hidden_remainder_x
      - .offset:         164
        .size:           2
        .value_kind:     hidden_remainder_y
      - .offset:         166
        .size:           2
        .value_kind:     hidden_remainder_z
      - .offset:         184
        .size:           8
        .value_kind:     hidden_global_offset_x
      - .offset:         192
        .size:           8
        .value_kind:     hidden_global_offset_y
      - .offset:         200
        .size:           8
        .value_kind:     hidden_global_offset_z
      - .offset:         208
        .size:           2
        .value_kind:     hidden_grid_dims
      - .offset:         264
        .size:           4
        .value_kind:     hidden_dynamic_lds_size
    .group_segment_fixed_size: 528
    .kernarg_segment_align: 8
    .kernarg_segment_size: 400
    .language:       OpenCL C
    .language_version:
      - 2
      - 0
    .max_flat_workgroup_size: 1024
    .name:           _ZN4vllm25paged_attention_v2_kernelIffLi128ELi8ELi128ELNS_18Fp8KVCacheDataTypeE0ELb0ELi512EEEvPfS2_PT_PKS3_PKT0_S9_ifPKiSB_iPKfiiiSD_SD_iiiii
    .private_segment_fixed_size: 0
    .sgpr_count:     46
    .sgpr_spill_count: 0
    .symbol:         _ZN4vllm25paged_attention_v2_kernelIffLi128ELi8ELi128ELNS_18Fp8KVCacheDataTypeE0ELb0ELi512EEEvPfS2_PT_PKS3_PKT0_S9_ifPKiSB_iPKfiiiSD_SD_iiiii.kd
    .uniform_work_group_size: 1
    .uses_dynamic_stack: false
    .vgpr_count:     52
    .vgpr_spill_count: 0
    .wavefront_size: 64
  - .agpr_count:     0
    .args:
      - .actual_access:  write_only
        .address_space:  global
        .offset:         0
        .size:           8
        .value_kind:     global_buffer
      - .actual_access:  write_only
        .address_space:  global
        .offset:         8
        .size:           8
        .value_kind:     global_buffer
      - .actual_access:  write_only
        .address_space:  global
        .offset:         16
        .size:           8
        .value_kind:     global_buffer
      - .actual_access:  read_only
        .address_space:  global
        .offset:         24
        .size:           8
        .value_kind:     global_buffer
      - .actual_access:  read_only
        .address_space:  global
        .offset:         32
        .size:           8
        .value_kind:     global_buffer
      - .actual_access:  read_only
        .address_space:  global
        .offset:         40
        .size:           8
        .value_kind:     global_buffer
      - .offset:         48
        .size:           4
        .value_kind:     by_value
      - .offset:         52
        .size:           4
        .value_kind:     by_value
      - .actual_access:  read_only
        .address_space:  global
        .offset:         56
        .size:           8
        .value_kind:     global_buffer
      - .actual_access:  read_only
        .address_space:  global
        .offset:         64
        .size:           8
        .value_kind:     global_buffer
      - .offset:         72
        .size:           4
        .value_kind:     by_value
      - .actual_access:  read_only
        .address_space:  global
        .offset:         80
        .size:           8
        .value_kind:     global_buffer
      - .offset:         88
        .size:           4
        .value_kind:     by_value
      - .offset:         92
        .size:           4
        .value_kind:     by_value
      - .offset:         96
        .size:           4
        .value_kind:     by_value
      - .address_space:  global
        .offset:         104
        .size:           8
        .value_kind:     global_buffer
      - .address_space:  global
        .offset:         112
        .size:           8
        .value_kind:     global_buffer
      - .offset:         120
        .size:           4
        .value_kind:     by_value
      - .offset:         124
        .size:           4
        .value_kind:     by_value
      - .offset:         128
        .size:           4
        .value_kind:     by_value
      - .offset:         132
        .size:           4
        .value_kind:     by_value
      - .offset:         136
        .size:           4
        .value_kind:     by_value
      - .offset:         144
        .size:           4
        .value_kind:     hidden_block_count_x
      - .offset:         148
        .size:           4
        .value_kind:     hidden_block_count_y
      - .offset:         152
        .size:           4
        .value_kind:     hidden_block_count_z
      - .offset:         156
        .size:           2
        .value_kind:     hidden_group_size_x
      - .offset:         158
        .size:           2
        .value_kind:     hidden_group_size_y
      - .offset:         160
        .size:           2
        .value_kind:     hidden_group_size_z
      - .offset:         162
        .size:           2
        .value_kind:     hidden_remainder_x
      - .offset:         164
        .size:           2
        .value_kind:     hidden_remainder_y
      - .offset:         166
        .size:           2
        .value_kind:     hidden_remainder_z
      - .offset:         184
        .size:           8
        .value_kind:     hidden_global_offset_x
      - .offset:         192
        .size:           8
        .value_kind:     hidden_global_offset_y
      - .offset:         200
        .size:           8
        .value_kind:     hidden_global_offset_z
      - .offset:         208
        .size:           2
        .value_kind:     hidden_grid_dims
      - .offset:         264
        .size:           4
        .value_kind:     hidden_dynamic_lds_size
    .group_segment_fixed_size: 784
    .kernarg_segment_align: 8
    .kernarg_segment_size: 400
    .language:       OpenCL C
    .language_version:
      - 2
      - 0
    .max_flat_workgroup_size: 1024
    .name:           _ZN4vllm25paged_attention_v2_kernelIffLi192ELi8ELi128ELNS_18Fp8KVCacheDataTypeE0ELb0ELi512EEEvPfS2_PT_PKS3_PKT0_S9_ifPKiSB_iPKfiiiSD_SD_iiiii
    .private_segment_fixed_size: 0
    .sgpr_count:     48
    .sgpr_spill_count: 0
    .symbol:         _ZN4vllm25paged_attention_v2_kernelIffLi192ELi8ELi128ELNS_18Fp8KVCacheDataTypeE0ELb0ELi512EEEvPfS2_PT_PKS3_PKT0_S9_ifPKiSB_iPKfiiiSD_SD_iiiii.kd
    .uniform_work_group_size: 1
    .uses_dynamic_stack: false
    .vgpr_count:     82
    .vgpr_spill_count: 0
    .wavefront_size: 64
  - .agpr_count:     0
    .args:
      - .actual_access:  write_only
        .address_space:  global
        .offset:         0
        .size:           8
        .value_kind:     global_buffer
      - .actual_access:  write_only
        .address_space:  global
        .offset:         8
        .size:           8
        .value_kind:     global_buffer
      - .actual_access:  write_only
        .address_space:  global
        .offset:         16
        .size:           8
        .value_kind:     global_buffer
      - .actual_access:  read_only
        .address_space:  global
        .offset:         24
        .size:           8
        .value_kind:     global_buffer
      - .actual_access:  read_only
        .address_space:  global
        .offset:         32
        .size:           8
        .value_kind:     global_buffer
      - .actual_access:  read_only
        .address_space:  global
        .offset:         40
        .size:           8
        .value_kind:     global_buffer
      - .offset:         48
        .size:           4
        .value_kind:     by_value
      - .offset:         52
        .size:           4
        .value_kind:     by_value
      - .actual_access:  read_only
        .address_space:  global
        .offset:         56
        .size:           8
        .value_kind:     global_buffer
      - .actual_access:  read_only
        .address_space:  global
        .offset:         64
        .size:           8
        .value_kind:     global_buffer
      - .offset:         72
        .size:           4
        .value_kind:     by_value
      - .actual_access:  read_only
        .address_space:  global
        .offset:         80
        .size:           8
        .value_kind:     global_buffer
      - .offset:         88
        .size:           4
        .value_kind:     by_value
      - .offset:         92
        .size:           4
        .value_kind:     by_value
      - .offset:         96
        .size:           4
        .value_kind:     by_value
      - .address_space:  global
        .offset:         104
        .size:           8
        .value_kind:     global_buffer
      - .address_space:  global
        .offset:         112
        .size:           8
        .value_kind:     global_buffer
      - .offset:         120
        .size:           4
        .value_kind:     by_value
      - .offset:         124
        .size:           4
        .value_kind:     by_value
      - .offset:         128
        .size:           4
        .value_kind:     by_value
      - .offset:         132
        .size:           4
        .value_kind:     by_value
      - .offset:         136
        .size:           4
        .value_kind:     by_value
      - .offset:         144
        .size:           4
        .value_kind:     hidden_block_count_x
      - .offset:         148
        .size:           4
        .value_kind:     hidden_block_count_y
      - .offset:         152
        .size:           4
        .value_kind:     hidden_block_count_z
      - .offset:         156
        .size:           2
        .value_kind:     hidden_group_size_x
      - .offset:         158
        .size:           2
        .value_kind:     hidden_group_size_y
      - .offset:         160
        .size:           2
        .value_kind:     hidden_group_size_z
      - .offset:         162
        .size:           2
        .value_kind:     hidden_remainder_x
      - .offset:         164
        .size:           2
        .value_kind:     hidden_remainder_y
      - .offset:         166
        .size:           2
        .value_kind:     hidden_remainder_z
      - .offset:         184
        .size:           8
        .value_kind:     hidden_global_offset_x
      - .offset:         192
        .size:           8
        .value_kind:     hidden_global_offset_y
      - .offset:         200
        .size:           8
        .value_kind:     hidden_global_offset_z
      - .offset:         208
        .size:           2
        .value_kind:     hidden_grid_dims
      - .offset:         264
        .size:           4
        .value_kind:     hidden_dynamic_lds_size
    .group_segment_fixed_size: 1040
    .kernarg_segment_align: 8
    .kernarg_segment_size: 400
    .language:       OpenCL C
    .language_version:
      - 2
      - 0
    .max_flat_workgroup_size: 1024
    .name:           _ZN4vllm25paged_attention_v2_kernelIffLi256ELi8ELi128ELNS_18Fp8KVCacheDataTypeE0ELb0ELi512EEEvPfS2_PT_PKS3_PKT0_S9_ifPKiSB_iPKfiiiSD_SD_iiiii
    .private_segment_fixed_size: 0
    .sgpr_count:     48
    .sgpr_spill_count: 0
    .symbol:         _ZN4vllm25paged_attention_v2_kernelIffLi256ELi8ELi128ELNS_18Fp8KVCacheDataTypeE0ELb0ELi512EEEvPfS2_PT_PKS3_PKT0_S9_ifPKiSB_iPKfiiiSD_SD_iiiii.kd
    .uniform_work_group_size: 1
    .uses_dynamic_stack: false
    .vgpr_count:     111
    .vgpr_spill_count: 0
    .wavefront_size: 64
  - .agpr_count:     0
    .args:
      - .actual_access:  write_only
        .address_space:  global
        .offset:         0
        .size:           8
        .value_kind:     global_buffer
      - .actual_access:  write_only
        .address_space:  global
        .offset:         8
        .size:           8
        .value_kind:     global_buffer
      - .actual_access:  write_only
        .address_space:  global
        .offset:         16
        .size:           8
        .value_kind:     global_buffer
      - .actual_access:  read_only
        .address_space:  global
        .offset:         24
        .size:           8
        .value_kind:     global_buffer
      - .actual_access:  read_only
        .address_space:  global
        .offset:         32
        .size:           8
        .value_kind:     global_buffer
      - .actual_access:  read_only
        .address_space:  global
        .offset:         40
        .size:           8
        .value_kind:     global_buffer
      - .offset:         48
        .size:           4
        .value_kind:     by_value
      - .offset:         52
        .size:           4
        .value_kind:     by_value
      - .actual_access:  read_only
        .address_space:  global
        .offset:         56
        .size:           8
        .value_kind:     global_buffer
      - .actual_access:  read_only
        .address_space:  global
        .offset:         64
        .size:           8
        .value_kind:     global_buffer
      - .offset:         72
        .size:           4
        .value_kind:     by_value
      - .actual_access:  read_only
        .address_space:  global
        .offset:         80
        .size:           8
        .value_kind:     global_buffer
      - .offset:         88
        .size:           4
        .value_kind:     by_value
      - .offset:         92
        .size:           4
        .value_kind:     by_value
      - .offset:         96
        .size:           4
        .value_kind:     by_value
      - .address_space:  global
        .offset:         104
        .size:           8
        .value_kind:     global_buffer
      - .address_space:  global
        .offset:         112
        .size:           8
        .value_kind:     global_buffer
      - .offset:         120
        .size:           4
        .value_kind:     by_value
      - .offset:         124
        .size:           4
        .value_kind:     by_value
      - .offset:         128
        .size:           4
        .value_kind:     by_value
      - .offset:         132
        .size:           4
        .value_kind:     by_value
      - .offset:         136
        .size:           4
        .value_kind:     by_value
      - .offset:         144
        .size:           4
        .value_kind:     hidden_block_count_x
      - .offset:         148
        .size:           4
        .value_kind:     hidden_block_count_y
      - .offset:         152
        .size:           4
        .value_kind:     hidden_block_count_z
      - .offset:         156
        .size:           2
        .value_kind:     hidden_group_size_x
      - .offset:         158
        .size:           2
        .value_kind:     hidden_group_size_y
      - .offset:         160
        .size:           2
        .value_kind:     hidden_group_size_z
      - .offset:         162
        .size:           2
        .value_kind:     hidden_remainder_x
      - .offset:         164
        .size:           2
        .value_kind:     hidden_remainder_y
      - .offset:         166
        .size:           2
        .value_kind:     hidden_remainder_z
      - .offset:         184
        .size:           8
        .value_kind:     hidden_global_offset_x
      - .offset:         192
        .size:           8
        .value_kind:     hidden_global_offset_y
      - .offset:         200
        .size:           8
        .value_kind:     hidden_global_offset_z
      - .offset:         208
        .size:           2
        .value_kind:     hidden_grid_dims
      - .offset:         264
        .size:           4
        .value_kind:     hidden_dynamic_lds_size
    .group_segment_fixed_size: 144
    .kernarg_segment_align: 8
    .kernarg_segment_size: 400
    .language:       OpenCL C
    .language_version:
      - 2
      - 0
    .max_flat_workgroup_size: 1024
    .name:           _ZN4vllm25paged_attention_v2_kernelIffLi32ELi16ELi128ELNS_18Fp8KVCacheDataTypeE0ELb1ELi512EEEvPfS2_PT_PKS3_PKT0_S9_ifPKiSB_iPKfiiiSD_SD_iiiii
    .private_segment_fixed_size: 0
    .sgpr_count:     56
    .sgpr_spill_count: 0
    .symbol:         _ZN4vllm25paged_attention_v2_kernelIffLi32ELi16ELi128ELNS_18Fp8KVCacheDataTypeE0ELb1ELi512EEEvPfS2_PT_PKS3_PKT0_S9_ifPKiSB_iPKfiiiSD_SD_iiiii.kd
    .uniform_work_group_size: 1
    .uses_dynamic_stack: false
    .vgpr_count:     44
    .vgpr_spill_count: 0
    .wavefront_size: 64
  - .agpr_count:     0
    .args:
      - .actual_access:  write_only
        .address_space:  global
        .offset:         0
        .size:           8
        .value_kind:     global_buffer
      - .actual_access:  write_only
        .address_space:  global
        .offset:         8
        .size:           8
        .value_kind:     global_buffer
      - .actual_access:  write_only
        .address_space:  global
        .offset:         16
        .size:           8
        .value_kind:     global_buffer
      - .actual_access:  read_only
        .address_space:  global
        .offset:         24
        .size:           8
        .value_kind:     global_buffer
      - .actual_access:  read_only
        .address_space:  global
        .offset:         32
        .size:           8
        .value_kind:     global_buffer
      - .actual_access:  read_only
        .address_space:  global
        .offset:         40
        .size:           8
        .value_kind:     global_buffer
      - .offset:         48
        .size:           4
        .value_kind:     by_value
      - .offset:         52
        .size:           4
        .value_kind:     by_value
      - .actual_access:  read_only
        .address_space:  global
        .offset:         56
        .size:           8
        .value_kind:     global_buffer
      - .actual_access:  read_only
        .address_space:  global
        .offset:         64
        .size:           8
        .value_kind:     global_buffer
      - .offset:         72
        .size:           4
        .value_kind:     by_value
      - .actual_access:  read_only
        .address_space:  global
        .offset:         80
        .size:           8
        .value_kind:     global_buffer
      - .offset:         88
        .size:           4
        .value_kind:     by_value
      - .offset:         92
        .size:           4
        .value_kind:     by_value
      - .offset:         96
        .size:           4
        .value_kind:     by_value
      - .address_space:  global
        .offset:         104
        .size:           8
        .value_kind:     global_buffer
      - .address_space:  global
        .offset:         112
        .size:           8
        .value_kind:     global_buffer
      - .offset:         120
        .size:           4
        .value_kind:     by_value
      - .offset:         124
        .size:           4
        .value_kind:     by_value
      - .offset:         128
        .size:           4
        .value_kind:     by_value
      - .offset:         132
        .size:           4
        .value_kind:     by_value
      - .offset:         136
        .size:           4
        .value_kind:     by_value
      - .offset:         144
        .size:           4
        .value_kind:     hidden_block_count_x
      - .offset:         148
        .size:           4
        .value_kind:     hidden_block_count_y
      - .offset:         152
        .size:           4
        .value_kind:     hidden_block_count_z
      - .offset:         156
        .size:           2
        .value_kind:     hidden_group_size_x
      - .offset:         158
        .size:           2
        .value_kind:     hidden_group_size_y
      - .offset:         160
        .size:           2
        .value_kind:     hidden_group_size_z
      - .offset:         162
        .size:           2
        .value_kind:     hidden_remainder_x
      - .offset:         164
        .size:           2
        .value_kind:     hidden_remainder_y
      - .offset:         166
        .size:           2
        .value_kind:     hidden_remainder_z
      - .offset:         184
        .size:           8
        .value_kind:     hidden_global_offset_x
      - .offset:         192
        .size:           8
        .value_kind:     hidden_global_offset_y
      - .offset:         200
        .size:           8
        .value_kind:     hidden_global_offset_z
      - .offset:         208
        .size:           2
        .value_kind:     hidden_grid_dims
      - .offset:         264
        .size:           4
        .value_kind:     hidden_dynamic_lds_size
    .group_segment_fixed_size: 272
    .kernarg_segment_align: 8
    .kernarg_segment_size: 400
    .language:       OpenCL C
    .language_version:
      - 2
      - 0
    .max_flat_workgroup_size: 1024
    .name:           _ZN4vllm25paged_attention_v2_kernelIffLi64ELi16ELi128ELNS_18Fp8KVCacheDataTypeE0ELb1ELi512EEEvPfS2_PT_PKS3_PKT0_S9_ifPKiSB_iPKfiiiSD_SD_iiiii
    .private_segment_fixed_size: 0
    .sgpr_count:     58
    .sgpr_spill_count: 0
    .symbol:         _ZN4vllm25paged_attention_v2_kernelIffLi64ELi16ELi128ELNS_18Fp8KVCacheDataTypeE0ELb1ELi512EEEvPfS2_PT_PKS3_PKT0_S9_ifPKiSB_iPKfiiiSD_SD_iiiii.kd
    .uniform_work_group_size: 1
    .uses_dynamic_stack: false
    .vgpr_count:     60
    .vgpr_spill_count: 0
    .wavefront_size: 64
  - .agpr_count:     0
    .args:
      - .actual_access:  write_only
        .address_space:  global
        .offset:         0
        .size:           8
        .value_kind:     global_buffer
      - .actual_access:  write_only
        .address_space:  global
        .offset:         8
        .size:           8
        .value_kind:     global_buffer
      - .actual_access:  write_only
        .address_space:  global
        .offset:         16
        .size:           8
        .value_kind:     global_buffer
      - .actual_access:  read_only
        .address_space:  global
        .offset:         24
        .size:           8
        .value_kind:     global_buffer
      - .actual_access:  read_only
        .address_space:  global
        .offset:         32
        .size:           8
        .value_kind:     global_buffer
      - .actual_access:  read_only
        .address_space:  global
        .offset:         40
        .size:           8
        .value_kind:     global_buffer
      - .offset:         48
        .size:           4
        .value_kind:     by_value
      - .offset:         52
        .size:           4
        .value_kind:     by_value
      - .actual_access:  read_only
        .address_space:  global
        .offset:         56
        .size:           8
        .value_kind:     global_buffer
      - .actual_access:  read_only
        .address_space:  global
        .offset:         64
        .size:           8
        .value_kind:     global_buffer
      - .offset:         72
        .size:           4
        .value_kind:     by_value
      - .actual_access:  read_only
        .address_space:  global
        .offset:         80
        .size:           8
        .value_kind:     global_buffer
      - .offset:         88
        .size:           4
        .value_kind:     by_value
      - .offset:         92
        .size:           4
        .value_kind:     by_value
      - .offset:         96
        .size:           4
        .value_kind:     by_value
      - .address_space:  global
        .offset:         104
        .size:           8
        .value_kind:     global_buffer
      - .address_space:  global
        .offset:         112
        .size:           8
        .value_kind:     global_buffer
      - .offset:         120
        .size:           4
        .value_kind:     by_value
      - .offset:         124
        .size:           4
        .value_kind:     by_value
      - .offset:         128
        .size:           4
        .value_kind:     by_value
      - .offset:         132
        .size:           4
        .value_kind:     by_value
      - .offset:         136
        .size:           4
        .value_kind:     by_value
      - .offset:         144
        .size:           4
        .value_kind:     hidden_block_count_x
      - .offset:         148
        .size:           4
        .value_kind:     hidden_block_count_y
      - .offset:         152
        .size:           4
        .value_kind:     hidden_block_count_z
      - .offset:         156
        .size:           2
        .value_kind:     hidden_group_size_x
      - .offset:         158
        .size:           2
        .value_kind:     hidden_group_size_y
      - .offset:         160
        .size:           2
        .value_kind:     hidden_group_size_z
      - .offset:         162
        .size:           2
        .value_kind:     hidden_remainder_x
      - .offset:         164
        .size:           2
        .value_kind:     hidden_remainder_y
      - .offset:         166
        .size:           2
        .value_kind:     hidden_remainder_z
      - .offset:         184
        .size:           8
        .value_kind:     hidden_global_offset_x
      - .offset:         192
        .size:           8
        .value_kind:     hidden_global_offset_y
      - .offset:         200
        .size:           8
        .value_kind:     hidden_global_offset_z
      - .offset:         208
        .size:           2
        .value_kind:     hidden_grid_dims
      - .offset:         264
        .size:           4
        .value_kind:     hidden_dynamic_lds_size
    .group_segment_fixed_size: 336
    .kernarg_segment_align: 8
    .kernarg_segment_size: 400
    .language:       OpenCL C
    .language_version:
      - 2
      - 0
    .max_flat_workgroup_size: 1024
    .name:           _ZN4vllm25paged_attention_v2_kernelIffLi80ELi16ELi128ELNS_18Fp8KVCacheDataTypeE0ELb1ELi512EEEvPfS2_PT_PKS3_PKT0_S9_ifPKiSB_iPKfiiiSD_SD_iiiii
    .private_segment_fixed_size: 0
    .sgpr_count:     57
    .sgpr_spill_count: 0
    .symbol:         _ZN4vllm25paged_attention_v2_kernelIffLi80ELi16ELi128ELNS_18Fp8KVCacheDataTypeE0ELb1ELi512EEEvPfS2_PT_PKS3_PKT0_S9_ifPKiSB_iPKfiiiSD_SD_iiiii.kd
    .uniform_work_group_size: 1
    .uses_dynamic_stack: false
    .vgpr_count:     68
    .vgpr_spill_count: 0
    .wavefront_size: 64
  - .agpr_count:     0
    .args:
      - .actual_access:  write_only
        .address_space:  global
        .offset:         0
        .size:           8
        .value_kind:     global_buffer
      - .actual_access:  write_only
        .address_space:  global
        .offset:         8
        .size:           8
        .value_kind:     global_buffer
      - .actual_access:  write_only
        .address_space:  global
        .offset:         16
        .size:           8
        .value_kind:     global_buffer
      - .actual_access:  read_only
        .address_space:  global
        .offset:         24
        .size:           8
        .value_kind:     global_buffer
      - .actual_access:  read_only
        .address_space:  global
        .offset:         32
        .size:           8
        .value_kind:     global_buffer
      - .actual_access:  read_only
        .address_space:  global
        .offset:         40
        .size:           8
        .value_kind:     global_buffer
      - .offset:         48
        .size:           4
        .value_kind:     by_value
      - .offset:         52
        .size:           4
        .value_kind:     by_value
      - .actual_access:  read_only
        .address_space:  global
        .offset:         56
        .size:           8
        .value_kind:     global_buffer
      - .actual_access:  read_only
        .address_space:  global
        .offset:         64
        .size:           8
        .value_kind:     global_buffer
      - .offset:         72
        .size:           4
        .value_kind:     by_value
      - .actual_access:  read_only
        .address_space:  global
        .offset:         80
        .size:           8
        .value_kind:     global_buffer
      - .offset:         88
        .size:           4
        .value_kind:     by_value
      - .offset:         92
        .size:           4
        .value_kind:     by_value
      - .offset:         96
        .size:           4
        .value_kind:     by_value
      - .address_space:  global
        .offset:         104
        .size:           8
        .value_kind:     global_buffer
      - .address_space:  global
        .offset:         112
        .size:           8
        .value_kind:     global_buffer
      - .offset:         120
        .size:           4
        .value_kind:     by_value
      - .offset:         124
        .size:           4
        .value_kind:     by_value
      - .offset:         128
        .size:           4
        .value_kind:     by_value
      - .offset:         132
        .size:           4
        .value_kind:     by_value
      - .offset:         136
        .size:           4
        .value_kind:     by_value
      - .offset:         144
        .size:           4
        .value_kind:     hidden_block_count_x
      - .offset:         148
        .size:           4
        .value_kind:     hidden_block_count_y
      - .offset:         152
        .size:           4
        .value_kind:     hidden_block_count_z
      - .offset:         156
        .size:           2
        .value_kind:     hidden_group_size_x
      - .offset:         158
        .size:           2
        .value_kind:     hidden_group_size_y
      - .offset:         160
        .size:           2
        .value_kind:     hidden_group_size_z
      - .offset:         162
        .size:           2
        .value_kind:     hidden_remainder_x
      - .offset:         164
        .size:           2
        .value_kind:     hidden_remainder_y
      - .offset:         166
        .size:           2
        .value_kind:     hidden_remainder_z
      - .offset:         184
        .size:           8
        .value_kind:     hidden_global_offset_x
      - .offset:         192
        .size:           8
        .value_kind:     hidden_global_offset_y
      - .offset:         200
        .size:           8
        .value_kind:     hidden_global_offset_z
      - .offset:         208
        .size:           2
        .value_kind:     hidden_grid_dims
      - .offset:         264
        .size:           4
        .value_kind:     hidden_dynamic_lds_size
    .group_segment_fixed_size: 400
    .kernarg_segment_align: 8
    .kernarg_segment_size: 400
    .language:       OpenCL C
    .language_version:
      - 2
      - 0
    .max_flat_workgroup_size: 1024
    .name:           _ZN4vllm25paged_attention_v2_kernelIffLi96ELi16ELi128ELNS_18Fp8KVCacheDataTypeE0ELb1ELi512EEEvPfS2_PT_PKS3_PKT0_S9_ifPKiSB_iPKfiiiSD_SD_iiiii
    .private_segment_fixed_size: 0
    .sgpr_count:     57
    .sgpr_spill_count: 0
    .symbol:         _ZN4vllm25paged_attention_v2_kernelIffLi96ELi16ELi128ELNS_18Fp8KVCacheDataTypeE0ELb1ELi512EEEvPfS2_PT_PKS3_PKT0_S9_ifPKiSB_iPKfiiiSD_SD_iiiii.kd
    .uniform_work_group_size: 1
    .uses_dynamic_stack: false
    .vgpr_count:     76
    .vgpr_spill_count: 0
    .wavefront_size: 64
  - .agpr_count:     0
    .args:
      - .actual_access:  write_only
        .address_space:  global
        .offset:         0
        .size:           8
        .value_kind:     global_buffer
      - .actual_access:  write_only
        .address_space:  global
        .offset:         8
        .size:           8
        .value_kind:     global_buffer
      - .actual_access:  write_only
        .address_space:  global
        .offset:         16
        .size:           8
        .value_kind:     global_buffer
      - .actual_access:  read_only
        .address_space:  global
        .offset:         24
        .size:           8
        .value_kind:     global_buffer
      - .actual_access:  read_only
        .address_space:  global
        .offset:         32
        .size:           8
        .value_kind:     global_buffer
      - .actual_access:  read_only
        .address_space:  global
        .offset:         40
        .size:           8
        .value_kind:     global_buffer
      - .offset:         48
        .size:           4
        .value_kind:     by_value
      - .offset:         52
        .size:           4
        .value_kind:     by_value
      - .actual_access:  read_only
        .address_space:  global
        .offset:         56
        .size:           8
        .value_kind:     global_buffer
      - .actual_access:  read_only
        .address_space:  global
        .offset:         64
        .size:           8
        .value_kind:     global_buffer
      - .offset:         72
        .size:           4
        .value_kind:     by_value
      - .actual_access:  read_only
        .address_space:  global
        .offset:         80
        .size:           8
        .value_kind:     global_buffer
      - .offset:         88
        .size:           4
        .value_kind:     by_value
      - .offset:         92
        .size:           4
        .value_kind:     by_value
      - .offset:         96
        .size:           4
        .value_kind:     by_value
      - .address_space:  global
        .offset:         104
        .size:           8
        .value_kind:     global_buffer
      - .address_space:  global
        .offset:         112
        .size:           8
        .value_kind:     global_buffer
      - .offset:         120
        .size:           4
        .value_kind:     by_value
      - .offset:         124
        .size:           4
        .value_kind:     by_value
      - .offset:         128
        .size:           4
        .value_kind:     by_value
      - .offset:         132
        .size:           4
        .value_kind:     by_value
      - .offset:         136
        .size:           4
        .value_kind:     by_value
      - .offset:         144
        .size:           4
        .value_kind:     hidden_block_count_x
      - .offset:         148
        .size:           4
        .value_kind:     hidden_block_count_y
      - .offset:         152
        .size:           4
        .value_kind:     hidden_block_count_z
      - .offset:         156
        .size:           2
        .value_kind:     hidden_group_size_x
      - .offset:         158
        .size:           2
        .value_kind:     hidden_group_size_y
      - .offset:         160
        .size:           2
        .value_kind:     hidden_group_size_z
      - .offset:         162
        .size:           2
        .value_kind:     hidden_remainder_x
      - .offset:         164
        .size:           2
        .value_kind:     hidden_remainder_y
      - .offset:         166
        .size:           2
        .value_kind:     hidden_remainder_z
      - .offset:         184
        .size:           8
        .value_kind:     hidden_global_offset_x
      - .offset:         192
        .size:           8
        .value_kind:     hidden_global_offset_y
      - .offset:         200
        .size:           8
        .value_kind:     hidden_global_offset_z
      - .offset:         208
        .size:           2
        .value_kind:     hidden_grid_dims
      - .offset:         264
        .size:           4
        .value_kind:     hidden_dynamic_lds_size
    .group_segment_fixed_size: 464
    .kernarg_segment_align: 8
    .kernarg_segment_size: 400
    .language:       OpenCL C
    .language_version:
      - 2
      - 0
    .max_flat_workgroup_size: 1024
    .name:           _ZN4vllm25paged_attention_v2_kernelIffLi112ELi16ELi128ELNS_18Fp8KVCacheDataTypeE0ELb1ELi512EEEvPfS2_PT_PKS3_PKT0_S9_ifPKiSB_iPKfiiiSD_SD_iiiii
    .private_segment_fixed_size: 0
    .sgpr_count:     57
    .sgpr_spill_count: 0
    .symbol:         _ZN4vllm25paged_attention_v2_kernelIffLi112ELi16ELi128ELNS_18Fp8KVCacheDataTypeE0ELb1ELi512EEEvPfS2_PT_PKS3_PKT0_S9_ifPKiSB_iPKfiiiSD_SD_iiiii.kd
    .uniform_work_group_size: 1
    .uses_dynamic_stack: false
    .vgpr_count:     84
    .vgpr_spill_count: 0
    .wavefront_size: 64
  - .agpr_count:     0
    .args:
      - .actual_access:  write_only
        .address_space:  global
        .offset:         0
        .size:           8
        .value_kind:     global_buffer
      - .actual_access:  write_only
        .address_space:  global
        .offset:         8
        .size:           8
        .value_kind:     global_buffer
      - .actual_access:  write_only
        .address_space:  global
        .offset:         16
        .size:           8
        .value_kind:     global_buffer
      - .actual_access:  read_only
        .address_space:  global
        .offset:         24
        .size:           8
        .value_kind:     global_buffer
      - .actual_access:  read_only
        .address_space:  global
        .offset:         32
        .size:           8
        .value_kind:     global_buffer
      - .actual_access:  read_only
        .address_space:  global
        .offset:         40
        .size:           8
        .value_kind:     global_buffer
      - .offset:         48
        .size:           4
        .value_kind:     by_value
      - .offset:         52
        .size:           4
        .value_kind:     by_value
      - .actual_access:  read_only
        .address_space:  global
        .offset:         56
        .size:           8
        .value_kind:     global_buffer
      - .actual_access:  read_only
        .address_space:  global
        .offset:         64
        .size:           8
        .value_kind:     global_buffer
      - .offset:         72
        .size:           4
        .value_kind:     by_value
      - .actual_access:  read_only
        .address_space:  global
        .offset:         80
        .size:           8
        .value_kind:     global_buffer
      - .offset:         88
        .size:           4
        .value_kind:     by_value
      - .offset:         92
        .size:           4
        .value_kind:     by_value
      - .offset:         96
        .size:           4
        .value_kind:     by_value
      - .address_space:  global
        .offset:         104
        .size:           8
        .value_kind:     global_buffer
      - .address_space:  global
        .offset:         112
        .size:           8
        .value_kind:     global_buffer
      - .offset:         120
        .size:           4
        .value_kind:     by_value
      - .offset:         124
        .size:           4
        .value_kind:     by_value
      - .offset:         128
        .size:           4
        .value_kind:     by_value
      - .offset:         132
        .size:           4
        .value_kind:     by_value
      - .offset:         136
        .size:           4
        .value_kind:     by_value
      - .offset:         144
        .size:           4
        .value_kind:     hidden_block_count_x
      - .offset:         148
        .size:           4
        .value_kind:     hidden_block_count_y
      - .offset:         152
        .size:           4
        .value_kind:     hidden_block_count_z
      - .offset:         156
        .size:           2
        .value_kind:     hidden_group_size_x
      - .offset:         158
        .size:           2
        .value_kind:     hidden_group_size_y
      - .offset:         160
        .size:           2
        .value_kind:     hidden_group_size_z
      - .offset:         162
        .size:           2
        .value_kind:     hidden_remainder_x
      - .offset:         164
        .size:           2
        .value_kind:     hidden_remainder_y
      - .offset:         166
        .size:           2
        .value_kind:     hidden_remainder_z
      - .offset:         184
        .size:           8
        .value_kind:     hidden_global_offset_x
      - .offset:         192
        .size:           8
        .value_kind:     hidden_global_offset_y
      - .offset:         200
        .size:           8
        .value_kind:     hidden_global_offset_z
      - .offset:         208
        .size:           2
        .value_kind:     hidden_grid_dims
      - .offset:         264
        .size:           4
        .value_kind:     hidden_dynamic_lds_size
    .group_segment_fixed_size: 496
    .kernarg_segment_align: 8
    .kernarg_segment_size: 400
    .language:       OpenCL C
    .language_version:
      - 2
      - 0
    .max_flat_workgroup_size: 1024
    .name:           _ZN4vllm25paged_attention_v2_kernelIffLi120ELi16ELi128ELNS_18Fp8KVCacheDataTypeE0ELb1ELi512EEEvPfS2_PT_PKS3_PKT0_S9_ifPKiSB_iPKfiiiSD_SD_iiiii
    .private_segment_fixed_size: 0
    .sgpr_count:     57
    .sgpr_spill_count: 0
    .symbol:         _ZN4vllm25paged_attention_v2_kernelIffLi120ELi16ELi128ELNS_18Fp8KVCacheDataTypeE0ELb1ELi512EEEvPfS2_PT_PKS3_PKT0_S9_ifPKiSB_iPKfiiiSD_SD_iiiii.kd
    .uniform_work_group_size: 1
    .uses_dynamic_stack: false
    .vgpr_count:     88
    .vgpr_spill_count: 0
    .wavefront_size: 64
  - .agpr_count:     0
    .args:
      - .actual_access:  write_only
        .address_space:  global
        .offset:         0
        .size:           8
        .value_kind:     global_buffer
      - .actual_access:  write_only
        .address_space:  global
        .offset:         8
        .size:           8
        .value_kind:     global_buffer
      - .actual_access:  write_only
        .address_space:  global
        .offset:         16
        .size:           8
        .value_kind:     global_buffer
      - .actual_access:  read_only
        .address_space:  global
        .offset:         24
        .size:           8
        .value_kind:     global_buffer
      - .actual_access:  read_only
        .address_space:  global
        .offset:         32
        .size:           8
        .value_kind:     global_buffer
      - .actual_access:  read_only
        .address_space:  global
        .offset:         40
        .size:           8
        .value_kind:     global_buffer
      - .offset:         48
        .size:           4
        .value_kind:     by_value
      - .offset:         52
        .size:           4
        .value_kind:     by_value
      - .actual_access:  read_only
        .address_space:  global
        .offset:         56
        .size:           8
        .value_kind:     global_buffer
      - .actual_access:  read_only
        .address_space:  global
        .offset:         64
        .size:           8
        .value_kind:     global_buffer
      - .offset:         72
        .size:           4
        .value_kind:     by_value
      - .actual_access:  read_only
        .address_space:  global
        .offset:         80
        .size:           8
        .value_kind:     global_buffer
      - .offset:         88
        .size:           4
        .value_kind:     by_value
      - .offset:         92
        .size:           4
        .value_kind:     by_value
      - .offset:         96
        .size:           4
        .value_kind:     by_value
      - .address_space:  global
        .offset:         104
        .size:           8
        .value_kind:     global_buffer
      - .address_space:  global
        .offset:         112
        .size:           8
        .value_kind:     global_buffer
      - .offset:         120
        .size:           4
        .value_kind:     by_value
      - .offset:         124
        .size:           4
        .value_kind:     by_value
      - .offset:         128
        .size:           4
        .value_kind:     by_value
      - .offset:         132
        .size:           4
        .value_kind:     by_value
      - .offset:         136
        .size:           4
        .value_kind:     by_value
      - .offset:         144
        .size:           4
        .value_kind:     hidden_block_count_x
      - .offset:         148
        .size:           4
        .value_kind:     hidden_block_count_y
      - .offset:         152
        .size:           4
        .value_kind:     hidden_block_count_z
      - .offset:         156
        .size:           2
        .value_kind:     hidden_group_size_x
      - .offset:         158
        .size:           2
        .value_kind:     hidden_group_size_y
      - .offset:         160
        .size:           2
        .value_kind:     hidden_group_size_z
      - .offset:         162
        .size:           2
        .value_kind:     hidden_remainder_x
      - .offset:         164
        .size:           2
        .value_kind:     hidden_remainder_y
      - .offset:         166
        .size:           2
        .value_kind:     hidden_remainder_z
      - .offset:         184
        .size:           8
        .value_kind:     hidden_global_offset_x
      - .offset:         192
        .size:           8
        .value_kind:     hidden_global_offset_y
      - .offset:         200
        .size:           8
        .value_kind:     hidden_global_offset_z
      - .offset:         208
        .size:           2
        .value_kind:     hidden_grid_dims
      - .offset:         264
        .size:           4
        .value_kind:     hidden_dynamic_lds_size
    .group_segment_fixed_size: 528
    .kernarg_segment_align: 8
    .kernarg_segment_size: 400
    .language:       OpenCL C
    .language_version:
      - 2
      - 0
    .max_flat_workgroup_size: 1024
    .name:           _ZN4vllm25paged_attention_v2_kernelIffLi128ELi16ELi128ELNS_18Fp8KVCacheDataTypeE0ELb1ELi512EEEvPfS2_PT_PKS3_PKT0_S9_ifPKiSB_iPKfiiiSD_SD_iiiii
    .private_segment_fixed_size: 0
    .sgpr_count:     57
    .sgpr_spill_count: 0
    .symbol:         _ZN4vllm25paged_attention_v2_kernelIffLi128ELi16ELi128ELNS_18Fp8KVCacheDataTypeE0ELb1ELi512EEEvPfS2_PT_PKS3_PKT0_S9_ifPKiSB_iPKfiiiSD_SD_iiiii.kd
    .uniform_work_group_size: 1
    .uses_dynamic_stack: false
    .vgpr_count:     92
    .vgpr_spill_count: 0
    .wavefront_size: 64
  - .agpr_count:     0
    .args:
      - .actual_access:  write_only
        .address_space:  global
        .offset:         0
        .size:           8
        .value_kind:     global_buffer
      - .actual_access:  write_only
        .address_space:  global
        .offset:         8
        .size:           8
        .value_kind:     global_buffer
      - .actual_access:  write_only
        .address_space:  global
        .offset:         16
        .size:           8
        .value_kind:     global_buffer
      - .actual_access:  read_only
        .address_space:  global
        .offset:         24
        .size:           8
        .value_kind:     global_buffer
      - .actual_access:  read_only
        .address_space:  global
        .offset:         32
        .size:           8
        .value_kind:     global_buffer
      - .actual_access:  read_only
        .address_space:  global
        .offset:         40
        .size:           8
        .value_kind:     global_buffer
      - .offset:         48
        .size:           4
        .value_kind:     by_value
      - .offset:         52
        .size:           4
        .value_kind:     by_value
      - .actual_access:  read_only
        .address_space:  global
        .offset:         56
        .size:           8
        .value_kind:     global_buffer
      - .actual_access:  read_only
        .address_space:  global
        .offset:         64
        .size:           8
        .value_kind:     global_buffer
      - .offset:         72
        .size:           4
        .value_kind:     by_value
      - .actual_access:  read_only
        .address_space:  global
        .offset:         80
        .size:           8
        .value_kind:     global_buffer
      - .offset:         88
        .size:           4
        .value_kind:     by_value
      - .offset:         92
        .size:           4
        .value_kind:     by_value
      - .offset:         96
        .size:           4
        .value_kind:     by_value
      - .address_space:  global
        .offset:         104
        .size:           8
        .value_kind:     global_buffer
      - .address_space:  global
        .offset:         112
        .size:           8
        .value_kind:     global_buffer
      - .offset:         120
        .size:           4
        .value_kind:     by_value
      - .offset:         124
        .size:           4
        .value_kind:     by_value
      - .offset:         128
        .size:           4
        .value_kind:     by_value
      - .offset:         132
        .size:           4
        .value_kind:     by_value
      - .offset:         136
        .size:           4
        .value_kind:     by_value
      - .offset:         144
        .size:           4
        .value_kind:     hidden_block_count_x
      - .offset:         148
        .size:           4
        .value_kind:     hidden_block_count_y
      - .offset:         152
        .size:           4
        .value_kind:     hidden_block_count_z
      - .offset:         156
        .size:           2
        .value_kind:     hidden_group_size_x
      - .offset:         158
        .size:           2
        .value_kind:     hidden_group_size_y
      - .offset:         160
        .size:           2
        .value_kind:     hidden_group_size_z
      - .offset:         162
        .size:           2
        .value_kind:     hidden_remainder_x
      - .offset:         164
        .size:           2
        .value_kind:     hidden_remainder_y
      - .offset:         166
        .size:           2
        .value_kind:     hidden_remainder_z
      - .offset:         184
        .size:           8
        .value_kind:     hidden_global_offset_x
      - .offset:         192
        .size:           8
        .value_kind:     hidden_global_offset_y
      - .offset:         200
        .size:           8
        .value_kind:     hidden_global_offset_z
      - .offset:         208
        .size:           2
        .value_kind:     hidden_grid_dims
      - .offset:         264
        .size:           4
        .value_kind:     hidden_dynamic_lds_size
    .group_segment_fixed_size: 784
    .kernarg_segment_align: 8
    .kernarg_segment_size: 400
    .language:       OpenCL C
    .language_version:
      - 2
      - 0
    .max_flat_workgroup_size: 1024
    .name:           _ZN4vllm25paged_attention_v2_kernelIffLi192ELi16ELi128ELNS_18Fp8KVCacheDataTypeE0ELb1ELi512EEEvPfS2_PT_PKS3_PKT0_S9_ifPKiSB_iPKfiiiSD_SD_iiiii
    .private_segment_fixed_size: 0
    .sgpr_count:     58
    .sgpr_spill_count: 0
    .symbol:         _ZN4vllm25paged_attention_v2_kernelIffLi192ELi16ELi128ELNS_18Fp8KVCacheDataTypeE0ELb1ELi512EEEvPfS2_PT_PKS3_PKT0_S9_ifPKiSB_iPKfiiiSD_SD_iiiii.kd
    .uniform_work_group_size: 1
    .uses_dynamic_stack: false
    .vgpr_count:     108
    .vgpr_spill_count: 0
    .wavefront_size: 64
  - .agpr_count:     0
    .args:
      - .actual_access:  write_only
        .address_space:  global
        .offset:         0
        .size:           8
        .value_kind:     global_buffer
      - .actual_access:  write_only
        .address_space:  global
        .offset:         8
        .size:           8
        .value_kind:     global_buffer
      - .actual_access:  write_only
        .address_space:  global
        .offset:         16
        .size:           8
        .value_kind:     global_buffer
      - .actual_access:  read_only
        .address_space:  global
        .offset:         24
        .size:           8
        .value_kind:     global_buffer
      - .actual_access:  read_only
        .address_space:  global
        .offset:         32
        .size:           8
        .value_kind:     global_buffer
      - .actual_access:  read_only
        .address_space:  global
        .offset:         40
        .size:           8
        .value_kind:     global_buffer
      - .offset:         48
        .size:           4
        .value_kind:     by_value
      - .offset:         52
        .size:           4
        .value_kind:     by_value
      - .actual_access:  read_only
        .address_space:  global
        .offset:         56
        .size:           8
        .value_kind:     global_buffer
      - .actual_access:  read_only
        .address_space:  global
        .offset:         64
        .size:           8
        .value_kind:     global_buffer
      - .offset:         72
        .size:           4
        .value_kind:     by_value
      - .actual_access:  read_only
        .address_space:  global
        .offset:         80
        .size:           8
        .value_kind:     global_buffer
      - .offset:         88
        .size:           4
        .value_kind:     by_value
      - .offset:         92
        .size:           4
        .value_kind:     by_value
      - .offset:         96
        .size:           4
        .value_kind:     by_value
      - .address_space:  global
        .offset:         104
        .size:           8
        .value_kind:     global_buffer
      - .address_space:  global
        .offset:         112
        .size:           8
        .value_kind:     global_buffer
      - .offset:         120
        .size:           4
        .value_kind:     by_value
      - .offset:         124
        .size:           4
        .value_kind:     by_value
      - .offset:         128
        .size:           4
        .value_kind:     by_value
      - .offset:         132
        .size:           4
        .value_kind:     by_value
      - .offset:         136
        .size:           4
        .value_kind:     by_value
      - .offset:         144
        .size:           4
        .value_kind:     hidden_block_count_x
      - .offset:         148
        .size:           4
        .value_kind:     hidden_block_count_y
      - .offset:         152
        .size:           4
        .value_kind:     hidden_block_count_z
      - .offset:         156
        .size:           2
        .value_kind:     hidden_group_size_x
      - .offset:         158
        .size:           2
        .value_kind:     hidden_group_size_y
      - .offset:         160
        .size:           2
        .value_kind:     hidden_group_size_z
      - .offset:         162
        .size:           2
        .value_kind:     hidden_remainder_x
      - .offset:         164
        .size:           2
        .value_kind:     hidden_remainder_y
      - .offset:         166
        .size:           2
        .value_kind:     hidden_remainder_z
      - .offset:         184
        .size:           8
        .value_kind:     hidden_global_offset_x
      - .offset:         192
        .size:           8
        .value_kind:     hidden_global_offset_y
      - .offset:         200
        .size:           8
        .value_kind:     hidden_global_offset_z
      - .offset:         208
        .size:           2
        .value_kind:     hidden_grid_dims
      - .offset:         264
        .size:           4
        .value_kind:     hidden_dynamic_lds_size
    .group_segment_fixed_size: 1040
    .kernarg_segment_align: 8
    .kernarg_segment_size: 400
    .language:       OpenCL C
    .language_version:
      - 2
      - 0
    .max_flat_workgroup_size: 1024
    .name:           _ZN4vllm25paged_attention_v2_kernelIffLi256ELi16ELi128ELNS_18Fp8KVCacheDataTypeE0ELb1ELi512EEEvPfS2_PT_PKS3_PKT0_S9_ifPKiSB_iPKfiiiSD_SD_iiiii
    .private_segment_fixed_size: 0
    .sgpr_count:     59
    .sgpr_spill_count: 0
    .symbol:         _ZN4vllm25paged_attention_v2_kernelIffLi256ELi16ELi128ELNS_18Fp8KVCacheDataTypeE0ELb1ELi512EEEvPfS2_PT_PKS3_PKT0_S9_ifPKiSB_iPKfiiiSD_SD_iiiii.kd
    .uniform_work_group_size: 1
    .uses_dynamic_stack: false
    .vgpr_count:     115
    .vgpr_spill_count: 0
    .wavefront_size: 64
  - .agpr_count:     0
    .args:
      - .actual_access:  write_only
        .address_space:  global
        .offset:         0
        .size:           8
        .value_kind:     global_buffer
      - .actual_access:  write_only
        .address_space:  global
        .offset:         8
        .size:           8
        .value_kind:     global_buffer
      - .actual_access:  write_only
        .address_space:  global
        .offset:         16
        .size:           8
        .value_kind:     global_buffer
      - .actual_access:  read_only
        .address_space:  global
        .offset:         24
        .size:           8
        .value_kind:     global_buffer
      - .actual_access:  read_only
        .address_space:  global
        .offset:         32
        .size:           8
        .value_kind:     global_buffer
      - .actual_access:  read_only
        .address_space:  global
        .offset:         40
        .size:           8
        .value_kind:     global_buffer
      - .offset:         48
        .size:           4
        .value_kind:     by_value
      - .offset:         52
        .size:           4
        .value_kind:     by_value
      - .actual_access:  read_only
        .address_space:  global
        .offset:         56
        .size:           8
        .value_kind:     global_buffer
      - .actual_access:  read_only
        .address_space:  global
        .offset:         64
        .size:           8
        .value_kind:     global_buffer
      - .offset:         72
        .size:           4
        .value_kind:     by_value
      - .actual_access:  read_only
        .address_space:  global
        .offset:         80
        .size:           8
        .value_kind:     global_buffer
      - .offset:         88
        .size:           4
        .value_kind:     by_value
      - .offset:         92
        .size:           4
        .value_kind:     by_value
      - .offset:         96
        .size:           4
        .value_kind:     by_value
      - .address_space:  global
        .offset:         104
        .size:           8
        .value_kind:     global_buffer
      - .address_space:  global
        .offset:         112
        .size:           8
        .value_kind:     global_buffer
      - .offset:         120
        .size:           4
        .value_kind:     by_value
      - .offset:         124
        .size:           4
        .value_kind:     by_value
      - .offset:         128
        .size:           4
        .value_kind:     by_value
      - .offset:         132
        .size:           4
        .value_kind:     by_value
      - .offset:         136
        .size:           4
        .value_kind:     by_value
      - .offset:         144
        .size:           4
        .value_kind:     hidden_block_count_x
      - .offset:         148
        .size:           4
        .value_kind:     hidden_block_count_y
      - .offset:         152
        .size:           4
        .value_kind:     hidden_block_count_z
      - .offset:         156
        .size:           2
        .value_kind:     hidden_group_size_x
      - .offset:         158
        .size:           2
        .value_kind:     hidden_group_size_y
      - .offset:         160
        .size:           2
        .value_kind:     hidden_group_size_z
      - .offset:         162
        .size:           2
        .value_kind:     hidden_remainder_x
      - .offset:         164
        .size:           2
        .value_kind:     hidden_remainder_y
      - .offset:         166
        .size:           2
        .value_kind:     hidden_remainder_z
      - .offset:         184
        .size:           8
        .value_kind:     hidden_global_offset_x
      - .offset:         192
        .size:           8
        .value_kind:     hidden_global_offset_y
      - .offset:         200
        .size:           8
        .value_kind:     hidden_global_offset_z
      - .offset:         208
        .size:           2
        .value_kind:     hidden_grid_dims
      - .offset:         264
        .size:           4
        .value_kind:     hidden_dynamic_lds_size
    .group_segment_fixed_size: 144
    .kernarg_segment_align: 8
    .kernarg_segment_size: 400
    .language:       OpenCL C
    .language_version:
      - 2
      - 0
    .max_flat_workgroup_size: 1024
    .name:           _ZN4vllm25paged_attention_v2_kernelIffLi32ELi16ELi128ELNS_18Fp8KVCacheDataTypeE0ELb0ELi512EEEvPfS2_PT_PKS3_PKT0_S9_ifPKiSB_iPKfiiiSD_SD_iiiii
    .private_segment_fixed_size: 0
    .sgpr_count:     46
    .sgpr_spill_count: 0
    .symbol:         _ZN4vllm25paged_attention_v2_kernelIffLi32ELi16ELi128ELNS_18Fp8KVCacheDataTypeE0ELb0ELi512EEEvPfS2_PT_PKS3_PKT0_S9_ifPKiSB_iPKfiiiSD_SD_iiiii.kd
    .uniform_work_group_size: 1
    .uses_dynamic_stack: false
    .vgpr_count:     38
    .vgpr_spill_count: 0
    .wavefront_size: 64
  - .agpr_count:     0
    .args:
      - .actual_access:  write_only
        .address_space:  global
        .offset:         0
        .size:           8
        .value_kind:     global_buffer
      - .actual_access:  write_only
        .address_space:  global
        .offset:         8
        .size:           8
        .value_kind:     global_buffer
      - .actual_access:  write_only
        .address_space:  global
        .offset:         16
        .size:           8
        .value_kind:     global_buffer
      - .actual_access:  read_only
        .address_space:  global
        .offset:         24
        .size:           8
        .value_kind:     global_buffer
      - .actual_access:  read_only
        .address_space:  global
        .offset:         32
        .size:           8
        .value_kind:     global_buffer
      - .actual_access:  read_only
        .address_space:  global
        .offset:         40
        .size:           8
        .value_kind:     global_buffer
      - .offset:         48
        .size:           4
        .value_kind:     by_value
      - .offset:         52
        .size:           4
        .value_kind:     by_value
      - .actual_access:  read_only
        .address_space:  global
        .offset:         56
        .size:           8
        .value_kind:     global_buffer
      - .actual_access:  read_only
        .address_space:  global
        .offset:         64
        .size:           8
        .value_kind:     global_buffer
      - .offset:         72
        .size:           4
        .value_kind:     by_value
      - .actual_access:  read_only
        .address_space:  global
        .offset:         80
        .size:           8
        .value_kind:     global_buffer
      - .offset:         88
        .size:           4
        .value_kind:     by_value
      - .offset:         92
        .size:           4
        .value_kind:     by_value
      - .offset:         96
        .size:           4
        .value_kind:     by_value
      - .address_space:  global
        .offset:         104
        .size:           8
        .value_kind:     global_buffer
      - .address_space:  global
        .offset:         112
        .size:           8
        .value_kind:     global_buffer
      - .offset:         120
        .size:           4
        .value_kind:     by_value
      - .offset:         124
        .size:           4
        .value_kind:     by_value
      - .offset:         128
        .size:           4
        .value_kind:     by_value
      - .offset:         132
        .size:           4
        .value_kind:     by_value
      - .offset:         136
        .size:           4
        .value_kind:     by_value
      - .offset:         144
        .size:           4
        .value_kind:     hidden_block_count_x
      - .offset:         148
        .size:           4
        .value_kind:     hidden_block_count_y
      - .offset:         152
        .size:           4
        .value_kind:     hidden_block_count_z
      - .offset:         156
        .size:           2
        .value_kind:     hidden_group_size_x
      - .offset:         158
        .size:           2
        .value_kind:     hidden_group_size_y
      - .offset:         160
        .size:           2
        .value_kind:     hidden_group_size_z
      - .offset:         162
        .size:           2
        .value_kind:     hidden_remainder_x
      - .offset:         164
        .size:           2
        .value_kind:     hidden_remainder_y
      - .offset:         166
        .size:           2
        .value_kind:     hidden_remainder_z
      - .offset:         184
        .size:           8
        .value_kind:     hidden_global_offset_x
      - .offset:         192
        .size:           8
        .value_kind:     hidden_global_offset_y
      - .offset:         200
        .size:           8
        .value_kind:     hidden_global_offset_z
      - .offset:         208
        .size:           2
        .value_kind:     hidden_grid_dims
      - .offset:         264
        .size:           4
        .value_kind:     hidden_dynamic_lds_size
    .group_segment_fixed_size: 272
    .kernarg_segment_align: 8
    .kernarg_segment_size: 400
    .language:       OpenCL C
    .language_version:
      - 2
      - 0
    .max_flat_workgroup_size: 1024
    .name:           _ZN4vllm25paged_attention_v2_kernelIffLi64ELi16ELi128ELNS_18Fp8KVCacheDataTypeE0ELb0ELi512EEEvPfS2_PT_PKS3_PKT0_S9_ifPKiSB_iPKfiiiSD_SD_iiiii
    .private_segment_fixed_size: 0
    .sgpr_count:     48
    .sgpr_spill_count: 0
    .symbol:         _ZN4vllm25paged_attention_v2_kernelIffLi64ELi16ELi128ELNS_18Fp8KVCacheDataTypeE0ELb0ELi512EEEvPfS2_PT_PKS3_PKT0_S9_ifPKiSB_iPKfiiiSD_SD_iiiii.kd
    .uniform_work_group_size: 1
    .uses_dynamic_stack: false
    .vgpr_count:     53
    .vgpr_spill_count: 0
    .wavefront_size: 64
  - .agpr_count:     0
    .args:
      - .actual_access:  write_only
        .address_space:  global
        .offset:         0
        .size:           8
        .value_kind:     global_buffer
      - .actual_access:  write_only
        .address_space:  global
        .offset:         8
        .size:           8
        .value_kind:     global_buffer
      - .actual_access:  write_only
        .address_space:  global
        .offset:         16
        .size:           8
        .value_kind:     global_buffer
      - .actual_access:  read_only
        .address_space:  global
        .offset:         24
        .size:           8
        .value_kind:     global_buffer
      - .actual_access:  read_only
        .address_space:  global
        .offset:         32
        .size:           8
        .value_kind:     global_buffer
      - .actual_access:  read_only
        .address_space:  global
        .offset:         40
        .size:           8
        .value_kind:     global_buffer
      - .offset:         48
        .size:           4
        .value_kind:     by_value
      - .offset:         52
        .size:           4
        .value_kind:     by_value
      - .actual_access:  read_only
        .address_space:  global
        .offset:         56
        .size:           8
        .value_kind:     global_buffer
      - .actual_access:  read_only
        .address_space:  global
        .offset:         64
        .size:           8
        .value_kind:     global_buffer
      - .offset:         72
        .size:           4
        .value_kind:     by_value
      - .actual_access:  read_only
        .address_space:  global
        .offset:         80
        .size:           8
        .value_kind:     global_buffer
      - .offset:         88
        .size:           4
        .value_kind:     by_value
      - .offset:         92
        .size:           4
        .value_kind:     by_value
      - .offset:         96
        .size:           4
        .value_kind:     by_value
      - .address_space:  global
        .offset:         104
        .size:           8
        .value_kind:     global_buffer
      - .address_space:  global
        .offset:         112
        .size:           8
        .value_kind:     global_buffer
      - .offset:         120
        .size:           4
        .value_kind:     by_value
      - .offset:         124
        .size:           4
        .value_kind:     by_value
      - .offset:         128
        .size:           4
        .value_kind:     by_value
      - .offset:         132
        .size:           4
        .value_kind:     by_value
      - .offset:         136
        .size:           4
        .value_kind:     by_value
      - .offset:         144
        .size:           4
        .value_kind:     hidden_block_count_x
      - .offset:         148
        .size:           4
        .value_kind:     hidden_block_count_y
      - .offset:         152
        .size:           4
        .value_kind:     hidden_block_count_z
      - .offset:         156
        .size:           2
        .value_kind:     hidden_group_size_x
      - .offset:         158
        .size:           2
        .value_kind:     hidden_group_size_y
      - .offset:         160
        .size:           2
        .value_kind:     hidden_group_size_z
      - .offset:         162
        .size:           2
        .value_kind:     hidden_remainder_x
      - .offset:         164
        .size:           2
        .value_kind:     hidden_remainder_y
      - .offset:         166
        .size:           2
        .value_kind:     hidden_remainder_z
      - .offset:         184
        .size:           8
        .value_kind:     hidden_global_offset_x
      - .offset:         192
        .size:           8
        .value_kind:     hidden_global_offset_y
      - .offset:         200
        .size:           8
        .value_kind:     hidden_global_offset_z
      - .offset:         208
        .size:           2
        .value_kind:     hidden_grid_dims
      - .offset:         264
        .size:           4
        .value_kind:     hidden_dynamic_lds_size
    .group_segment_fixed_size: 336
    .kernarg_segment_align: 8
    .kernarg_segment_size: 400
    .language:       OpenCL C
    .language_version:
      - 2
      - 0
    .max_flat_workgroup_size: 1024
    .name:           _ZN4vllm25paged_attention_v2_kernelIffLi80ELi16ELi128ELNS_18Fp8KVCacheDataTypeE0ELb0ELi512EEEvPfS2_PT_PKS3_PKT0_S9_ifPKiSB_iPKfiiiSD_SD_iiiii
    .private_segment_fixed_size: 0
    .sgpr_count:     47
    .sgpr_spill_count: 0
    .symbol:         _ZN4vllm25paged_attention_v2_kernelIffLi80ELi16ELi128ELNS_18Fp8KVCacheDataTypeE0ELb0ELi512EEEvPfS2_PT_PKS3_PKT0_S9_ifPKiSB_iPKfiiiSD_SD_iiiii.kd
    .uniform_work_group_size: 1
    .uses_dynamic_stack: false
    .vgpr_count:     62
    .vgpr_spill_count: 0
    .wavefront_size: 64
  - .agpr_count:     0
    .args:
      - .actual_access:  write_only
        .address_space:  global
        .offset:         0
        .size:           8
        .value_kind:     global_buffer
      - .actual_access:  write_only
        .address_space:  global
        .offset:         8
        .size:           8
        .value_kind:     global_buffer
      - .actual_access:  write_only
        .address_space:  global
        .offset:         16
        .size:           8
        .value_kind:     global_buffer
      - .actual_access:  read_only
        .address_space:  global
        .offset:         24
        .size:           8
        .value_kind:     global_buffer
      - .actual_access:  read_only
        .address_space:  global
        .offset:         32
        .size:           8
        .value_kind:     global_buffer
      - .actual_access:  read_only
        .address_space:  global
        .offset:         40
        .size:           8
        .value_kind:     global_buffer
      - .offset:         48
        .size:           4
        .value_kind:     by_value
      - .offset:         52
        .size:           4
        .value_kind:     by_value
      - .actual_access:  read_only
        .address_space:  global
        .offset:         56
        .size:           8
        .value_kind:     global_buffer
      - .actual_access:  read_only
        .address_space:  global
        .offset:         64
        .size:           8
        .value_kind:     global_buffer
      - .offset:         72
        .size:           4
        .value_kind:     by_value
      - .actual_access:  read_only
        .address_space:  global
        .offset:         80
        .size:           8
        .value_kind:     global_buffer
      - .offset:         88
        .size:           4
        .value_kind:     by_value
      - .offset:         92
        .size:           4
        .value_kind:     by_value
      - .offset:         96
        .size:           4
        .value_kind:     by_value
      - .address_space:  global
        .offset:         104
        .size:           8
        .value_kind:     global_buffer
      - .address_space:  global
        .offset:         112
        .size:           8
        .value_kind:     global_buffer
      - .offset:         120
        .size:           4
        .value_kind:     by_value
      - .offset:         124
        .size:           4
        .value_kind:     by_value
      - .offset:         128
        .size:           4
        .value_kind:     by_value
      - .offset:         132
        .size:           4
        .value_kind:     by_value
      - .offset:         136
        .size:           4
        .value_kind:     by_value
      - .offset:         144
        .size:           4
        .value_kind:     hidden_block_count_x
      - .offset:         148
        .size:           4
        .value_kind:     hidden_block_count_y
      - .offset:         152
        .size:           4
        .value_kind:     hidden_block_count_z
      - .offset:         156
        .size:           2
        .value_kind:     hidden_group_size_x
      - .offset:         158
        .size:           2
        .value_kind:     hidden_group_size_y
      - .offset:         160
        .size:           2
        .value_kind:     hidden_group_size_z
      - .offset:         162
        .size:           2
        .value_kind:     hidden_remainder_x
      - .offset:         164
        .size:           2
        .value_kind:     hidden_remainder_y
      - .offset:         166
        .size:           2
        .value_kind:     hidden_remainder_z
      - .offset:         184
        .size:           8
        .value_kind:     hidden_global_offset_x
      - .offset:         192
        .size:           8
        .value_kind:     hidden_global_offset_y
      - .offset:         200
        .size:           8
        .value_kind:     hidden_global_offset_z
      - .offset:         208
        .size:           2
        .value_kind:     hidden_grid_dims
      - .offset:         264
        .size:           4
        .value_kind:     hidden_dynamic_lds_size
    .group_segment_fixed_size: 400
    .kernarg_segment_align: 8
    .kernarg_segment_size: 400
    .language:       OpenCL C
    .language_version:
      - 2
      - 0
    .max_flat_workgroup_size: 1024
    .name:           _ZN4vllm25paged_attention_v2_kernelIffLi96ELi16ELi128ELNS_18Fp8KVCacheDataTypeE0ELb0ELi512EEEvPfS2_PT_PKS3_PKT0_S9_ifPKiSB_iPKfiiiSD_SD_iiiii
    .private_segment_fixed_size: 0
    .sgpr_count:     47
    .sgpr_spill_count: 0
    .symbol:         _ZN4vllm25paged_attention_v2_kernelIffLi96ELi16ELi128ELNS_18Fp8KVCacheDataTypeE0ELb0ELi512EEEvPfS2_PT_PKS3_PKT0_S9_ifPKiSB_iPKfiiiSD_SD_iiiii.kd
    .uniform_work_group_size: 1
    .uses_dynamic_stack: false
    .vgpr_count:     69
    .vgpr_spill_count: 0
    .wavefront_size: 64
  - .agpr_count:     0
    .args:
      - .actual_access:  write_only
        .address_space:  global
        .offset:         0
        .size:           8
        .value_kind:     global_buffer
      - .actual_access:  write_only
        .address_space:  global
        .offset:         8
        .size:           8
        .value_kind:     global_buffer
      - .actual_access:  write_only
        .address_space:  global
        .offset:         16
        .size:           8
        .value_kind:     global_buffer
      - .actual_access:  read_only
        .address_space:  global
        .offset:         24
        .size:           8
        .value_kind:     global_buffer
      - .actual_access:  read_only
        .address_space:  global
        .offset:         32
        .size:           8
        .value_kind:     global_buffer
      - .actual_access:  read_only
        .address_space:  global
        .offset:         40
        .size:           8
        .value_kind:     global_buffer
      - .offset:         48
        .size:           4
        .value_kind:     by_value
      - .offset:         52
        .size:           4
        .value_kind:     by_value
      - .actual_access:  read_only
        .address_space:  global
        .offset:         56
        .size:           8
        .value_kind:     global_buffer
      - .actual_access:  read_only
        .address_space:  global
        .offset:         64
        .size:           8
        .value_kind:     global_buffer
      - .offset:         72
        .size:           4
        .value_kind:     by_value
      - .actual_access:  read_only
        .address_space:  global
        .offset:         80
        .size:           8
        .value_kind:     global_buffer
      - .offset:         88
        .size:           4
        .value_kind:     by_value
      - .offset:         92
        .size:           4
        .value_kind:     by_value
      - .offset:         96
        .size:           4
        .value_kind:     by_value
      - .address_space:  global
        .offset:         104
        .size:           8
        .value_kind:     global_buffer
      - .address_space:  global
        .offset:         112
        .size:           8
        .value_kind:     global_buffer
      - .offset:         120
        .size:           4
        .value_kind:     by_value
      - .offset:         124
        .size:           4
        .value_kind:     by_value
      - .offset:         128
        .size:           4
        .value_kind:     by_value
      - .offset:         132
        .size:           4
        .value_kind:     by_value
      - .offset:         136
        .size:           4
        .value_kind:     by_value
      - .offset:         144
        .size:           4
        .value_kind:     hidden_block_count_x
      - .offset:         148
        .size:           4
        .value_kind:     hidden_block_count_y
      - .offset:         152
        .size:           4
        .value_kind:     hidden_block_count_z
      - .offset:         156
        .size:           2
        .value_kind:     hidden_group_size_x
      - .offset:         158
        .size:           2
        .value_kind:     hidden_group_size_y
      - .offset:         160
        .size:           2
        .value_kind:     hidden_group_size_z
      - .offset:         162
        .size:           2
        .value_kind:     hidden_remainder_x
      - .offset:         164
        .size:           2
        .value_kind:     hidden_remainder_y
      - .offset:         166
        .size:           2
        .value_kind:     hidden_remainder_z
      - .offset:         184
        .size:           8
        .value_kind:     hidden_global_offset_x
      - .offset:         192
        .size:           8
        .value_kind:     hidden_global_offset_y
      - .offset:         200
        .size:           8
        .value_kind:     hidden_global_offset_z
      - .offset:         208
        .size:           2
        .value_kind:     hidden_grid_dims
      - .offset:         264
        .size:           4
        .value_kind:     hidden_dynamic_lds_size
    .group_segment_fixed_size: 464
    .kernarg_segment_align: 8
    .kernarg_segment_size: 400
    .language:       OpenCL C
    .language_version:
      - 2
      - 0
    .max_flat_workgroup_size: 1024
    .name:           _ZN4vllm25paged_attention_v2_kernelIffLi112ELi16ELi128ELNS_18Fp8KVCacheDataTypeE0ELb0ELi512EEEvPfS2_PT_PKS3_PKT0_S9_ifPKiSB_iPKfiiiSD_SD_iiiii
    .private_segment_fixed_size: 0
    .sgpr_count:     47
    .sgpr_spill_count: 0
    .symbol:         _ZN4vllm25paged_attention_v2_kernelIffLi112ELi16ELi128ELNS_18Fp8KVCacheDataTypeE0ELb0ELi512EEEvPfS2_PT_PKS3_PKT0_S9_ifPKiSB_iPKfiiiSD_SD_iiiii.kd
    .uniform_work_group_size: 1
    .uses_dynamic_stack: false
    .vgpr_count:     77
    .vgpr_spill_count: 0
    .wavefront_size: 64
  - .agpr_count:     0
    .args:
      - .actual_access:  write_only
        .address_space:  global
        .offset:         0
        .size:           8
        .value_kind:     global_buffer
      - .actual_access:  write_only
        .address_space:  global
        .offset:         8
        .size:           8
        .value_kind:     global_buffer
      - .actual_access:  write_only
        .address_space:  global
        .offset:         16
        .size:           8
        .value_kind:     global_buffer
      - .actual_access:  read_only
        .address_space:  global
        .offset:         24
        .size:           8
        .value_kind:     global_buffer
      - .actual_access:  read_only
        .address_space:  global
        .offset:         32
        .size:           8
        .value_kind:     global_buffer
      - .actual_access:  read_only
        .address_space:  global
        .offset:         40
        .size:           8
        .value_kind:     global_buffer
      - .offset:         48
        .size:           4
        .value_kind:     by_value
      - .offset:         52
        .size:           4
        .value_kind:     by_value
      - .actual_access:  read_only
        .address_space:  global
        .offset:         56
        .size:           8
        .value_kind:     global_buffer
      - .actual_access:  read_only
        .address_space:  global
        .offset:         64
        .size:           8
        .value_kind:     global_buffer
      - .offset:         72
        .size:           4
        .value_kind:     by_value
      - .actual_access:  read_only
        .address_space:  global
        .offset:         80
        .size:           8
        .value_kind:     global_buffer
      - .offset:         88
        .size:           4
        .value_kind:     by_value
      - .offset:         92
        .size:           4
        .value_kind:     by_value
      - .offset:         96
        .size:           4
        .value_kind:     by_value
      - .address_space:  global
        .offset:         104
        .size:           8
        .value_kind:     global_buffer
      - .address_space:  global
        .offset:         112
        .size:           8
        .value_kind:     global_buffer
      - .offset:         120
        .size:           4
        .value_kind:     by_value
      - .offset:         124
        .size:           4
        .value_kind:     by_value
      - .offset:         128
        .size:           4
        .value_kind:     by_value
      - .offset:         132
        .size:           4
        .value_kind:     by_value
      - .offset:         136
        .size:           4
        .value_kind:     by_value
      - .offset:         144
        .size:           4
        .value_kind:     hidden_block_count_x
      - .offset:         148
        .size:           4
        .value_kind:     hidden_block_count_y
      - .offset:         152
        .size:           4
        .value_kind:     hidden_block_count_z
      - .offset:         156
        .size:           2
        .value_kind:     hidden_group_size_x
      - .offset:         158
        .size:           2
        .value_kind:     hidden_group_size_y
      - .offset:         160
        .size:           2
        .value_kind:     hidden_group_size_z
      - .offset:         162
        .size:           2
        .value_kind:     hidden_remainder_x
      - .offset:         164
        .size:           2
        .value_kind:     hidden_remainder_y
      - .offset:         166
        .size:           2
        .value_kind:     hidden_remainder_z
      - .offset:         184
        .size:           8
        .value_kind:     hidden_global_offset_x
      - .offset:         192
        .size:           8
        .value_kind:     hidden_global_offset_y
      - .offset:         200
        .size:           8
        .value_kind:     hidden_global_offset_z
      - .offset:         208
        .size:           2
        .value_kind:     hidden_grid_dims
      - .offset:         264
        .size:           4
        .value_kind:     hidden_dynamic_lds_size
    .group_segment_fixed_size: 496
    .kernarg_segment_align: 8
    .kernarg_segment_size: 400
    .language:       OpenCL C
    .language_version:
      - 2
      - 0
    .max_flat_workgroup_size: 1024
    .name:           _ZN4vllm25paged_attention_v2_kernelIffLi120ELi16ELi128ELNS_18Fp8KVCacheDataTypeE0ELb0ELi512EEEvPfS2_PT_PKS3_PKT0_S9_ifPKiSB_iPKfiiiSD_SD_iiiii
    .private_segment_fixed_size: 0
    .sgpr_count:     47
    .sgpr_spill_count: 0
    .symbol:         _ZN4vllm25paged_attention_v2_kernelIffLi120ELi16ELi128ELNS_18Fp8KVCacheDataTypeE0ELb0ELi512EEEvPfS2_PT_PKS3_PKT0_S9_ifPKiSB_iPKfiiiSD_SD_iiiii.kd
    .uniform_work_group_size: 1
    .uses_dynamic_stack: false
    .vgpr_count:     81
    .vgpr_spill_count: 0
    .wavefront_size: 64
  - .agpr_count:     0
    .args:
      - .actual_access:  write_only
        .address_space:  global
        .offset:         0
        .size:           8
        .value_kind:     global_buffer
      - .actual_access:  write_only
        .address_space:  global
        .offset:         8
        .size:           8
        .value_kind:     global_buffer
      - .actual_access:  write_only
        .address_space:  global
        .offset:         16
        .size:           8
        .value_kind:     global_buffer
      - .actual_access:  read_only
        .address_space:  global
        .offset:         24
        .size:           8
        .value_kind:     global_buffer
      - .actual_access:  read_only
        .address_space:  global
        .offset:         32
        .size:           8
        .value_kind:     global_buffer
      - .actual_access:  read_only
        .address_space:  global
        .offset:         40
        .size:           8
        .value_kind:     global_buffer
      - .offset:         48
        .size:           4
        .value_kind:     by_value
      - .offset:         52
        .size:           4
        .value_kind:     by_value
      - .actual_access:  read_only
        .address_space:  global
        .offset:         56
        .size:           8
        .value_kind:     global_buffer
      - .actual_access:  read_only
        .address_space:  global
        .offset:         64
        .size:           8
        .value_kind:     global_buffer
      - .offset:         72
        .size:           4
        .value_kind:     by_value
      - .actual_access:  read_only
        .address_space:  global
        .offset:         80
        .size:           8
        .value_kind:     global_buffer
      - .offset:         88
        .size:           4
        .value_kind:     by_value
      - .offset:         92
        .size:           4
        .value_kind:     by_value
      - .offset:         96
        .size:           4
        .value_kind:     by_value
      - .address_space:  global
        .offset:         104
        .size:           8
        .value_kind:     global_buffer
      - .address_space:  global
        .offset:         112
        .size:           8
        .value_kind:     global_buffer
      - .offset:         120
        .size:           4
        .value_kind:     by_value
      - .offset:         124
        .size:           4
        .value_kind:     by_value
      - .offset:         128
        .size:           4
        .value_kind:     by_value
      - .offset:         132
        .size:           4
        .value_kind:     by_value
      - .offset:         136
        .size:           4
        .value_kind:     by_value
      - .offset:         144
        .size:           4
        .value_kind:     hidden_block_count_x
      - .offset:         148
        .size:           4
        .value_kind:     hidden_block_count_y
      - .offset:         152
        .size:           4
        .value_kind:     hidden_block_count_z
      - .offset:         156
        .size:           2
        .value_kind:     hidden_group_size_x
      - .offset:         158
        .size:           2
        .value_kind:     hidden_group_size_y
      - .offset:         160
        .size:           2
        .value_kind:     hidden_group_size_z
      - .offset:         162
        .size:           2
        .value_kind:     hidden_remainder_x
      - .offset:         164
        .size:           2
        .value_kind:     hidden_remainder_y
      - .offset:         166
        .size:           2
        .value_kind:     hidden_remainder_z
      - .offset:         184
        .size:           8
        .value_kind:     hidden_global_offset_x
      - .offset:         192
        .size:           8
        .value_kind:     hidden_global_offset_y
      - .offset:         200
        .size:           8
        .value_kind:     hidden_global_offset_z
      - .offset:         208
        .size:           2
        .value_kind:     hidden_grid_dims
      - .offset:         264
        .size:           4
        .value_kind:     hidden_dynamic_lds_size
    .group_segment_fixed_size: 528
    .kernarg_segment_align: 8
    .kernarg_segment_size: 400
    .language:       OpenCL C
    .language_version:
      - 2
      - 0
    .max_flat_workgroup_size: 1024
    .name:           _ZN4vllm25paged_attention_v2_kernelIffLi128ELi16ELi128ELNS_18Fp8KVCacheDataTypeE0ELb0ELi512EEEvPfS2_PT_PKS3_PKT0_S9_ifPKiSB_iPKfiiiSD_SD_iiiii
    .private_segment_fixed_size: 0
    .sgpr_count:     47
    .sgpr_spill_count: 0
    .symbol:         _ZN4vllm25paged_attention_v2_kernelIffLi128ELi16ELi128ELNS_18Fp8KVCacheDataTypeE0ELb0ELi512EEEvPfS2_PT_PKS3_PKT0_S9_ifPKiSB_iPKfiiiSD_SD_iiiii.kd
    .uniform_work_group_size: 1
    .uses_dynamic_stack: false
    .vgpr_count:     85
    .vgpr_spill_count: 0
    .wavefront_size: 64
  - .agpr_count:     0
    .args:
      - .actual_access:  write_only
        .address_space:  global
        .offset:         0
        .size:           8
        .value_kind:     global_buffer
      - .actual_access:  write_only
        .address_space:  global
        .offset:         8
        .size:           8
        .value_kind:     global_buffer
      - .actual_access:  write_only
        .address_space:  global
        .offset:         16
        .size:           8
        .value_kind:     global_buffer
      - .actual_access:  read_only
        .address_space:  global
        .offset:         24
        .size:           8
        .value_kind:     global_buffer
      - .actual_access:  read_only
        .address_space:  global
        .offset:         32
        .size:           8
        .value_kind:     global_buffer
      - .actual_access:  read_only
        .address_space:  global
        .offset:         40
        .size:           8
        .value_kind:     global_buffer
      - .offset:         48
        .size:           4
        .value_kind:     by_value
      - .offset:         52
        .size:           4
        .value_kind:     by_value
      - .actual_access:  read_only
        .address_space:  global
        .offset:         56
        .size:           8
        .value_kind:     global_buffer
      - .actual_access:  read_only
        .address_space:  global
        .offset:         64
        .size:           8
        .value_kind:     global_buffer
      - .offset:         72
        .size:           4
        .value_kind:     by_value
      - .actual_access:  read_only
        .address_space:  global
        .offset:         80
        .size:           8
        .value_kind:     global_buffer
      - .offset:         88
        .size:           4
        .value_kind:     by_value
      - .offset:         92
        .size:           4
        .value_kind:     by_value
      - .offset:         96
        .size:           4
        .value_kind:     by_value
      - .address_space:  global
        .offset:         104
        .size:           8
        .value_kind:     global_buffer
      - .address_space:  global
        .offset:         112
        .size:           8
        .value_kind:     global_buffer
      - .offset:         120
        .size:           4
        .value_kind:     by_value
      - .offset:         124
        .size:           4
        .value_kind:     by_value
      - .offset:         128
        .size:           4
        .value_kind:     by_value
      - .offset:         132
        .size:           4
        .value_kind:     by_value
      - .offset:         136
        .size:           4
        .value_kind:     by_value
      - .offset:         144
        .size:           4
        .value_kind:     hidden_block_count_x
      - .offset:         148
        .size:           4
        .value_kind:     hidden_block_count_y
      - .offset:         152
        .size:           4
        .value_kind:     hidden_block_count_z
      - .offset:         156
        .size:           2
        .value_kind:     hidden_group_size_x
      - .offset:         158
        .size:           2
        .value_kind:     hidden_group_size_y
      - .offset:         160
        .size:           2
        .value_kind:     hidden_group_size_z
      - .offset:         162
        .size:           2
        .value_kind:     hidden_remainder_x
      - .offset:         164
        .size:           2
        .value_kind:     hidden_remainder_y
      - .offset:         166
        .size:           2
        .value_kind:     hidden_remainder_z
      - .offset:         184
        .size:           8
        .value_kind:     hidden_global_offset_x
      - .offset:         192
        .size:           8
        .value_kind:     hidden_global_offset_y
      - .offset:         200
        .size:           8
        .value_kind:     hidden_global_offset_z
      - .offset:         208
        .size:           2
        .value_kind:     hidden_grid_dims
      - .offset:         264
        .size:           4
        .value_kind:     hidden_dynamic_lds_size
    .group_segment_fixed_size: 784
    .kernarg_segment_align: 8
    .kernarg_segment_size: 400
    .language:       OpenCL C
    .language_version:
      - 2
      - 0
    .max_flat_workgroup_size: 1024
    .name:           _ZN4vllm25paged_attention_v2_kernelIffLi192ELi16ELi128ELNS_18Fp8KVCacheDataTypeE0ELb0ELi512EEEvPfS2_PT_PKS3_PKT0_S9_ifPKiSB_iPKfiiiSD_SD_iiiii
    .private_segment_fixed_size: 0
    .sgpr_count:     48
    .sgpr_spill_count: 0
    .symbol:         _ZN4vllm25paged_attention_v2_kernelIffLi192ELi16ELi128ELNS_18Fp8KVCacheDataTypeE0ELb0ELi512EEEvPfS2_PT_PKS3_PKT0_S9_ifPKiSB_iPKfiiiSD_SD_iiiii.kd
    .uniform_work_group_size: 1
    .uses_dynamic_stack: false
    .vgpr_count:     116
    .vgpr_spill_count: 0
    .wavefront_size: 64
  - .agpr_count:     0
    .args:
      - .actual_access:  write_only
        .address_space:  global
        .offset:         0
        .size:           8
        .value_kind:     global_buffer
      - .actual_access:  write_only
        .address_space:  global
        .offset:         8
        .size:           8
        .value_kind:     global_buffer
      - .actual_access:  write_only
        .address_space:  global
        .offset:         16
        .size:           8
        .value_kind:     global_buffer
      - .actual_access:  read_only
        .address_space:  global
        .offset:         24
        .size:           8
        .value_kind:     global_buffer
      - .actual_access:  read_only
        .address_space:  global
        .offset:         32
        .size:           8
        .value_kind:     global_buffer
      - .actual_access:  read_only
        .address_space:  global
        .offset:         40
        .size:           8
        .value_kind:     global_buffer
      - .offset:         48
        .size:           4
        .value_kind:     by_value
      - .offset:         52
        .size:           4
        .value_kind:     by_value
      - .actual_access:  read_only
        .address_space:  global
        .offset:         56
        .size:           8
        .value_kind:     global_buffer
      - .actual_access:  read_only
        .address_space:  global
        .offset:         64
        .size:           8
        .value_kind:     global_buffer
      - .offset:         72
        .size:           4
        .value_kind:     by_value
      - .actual_access:  read_only
        .address_space:  global
        .offset:         80
        .size:           8
        .value_kind:     global_buffer
      - .offset:         88
        .size:           4
        .value_kind:     by_value
      - .offset:         92
        .size:           4
        .value_kind:     by_value
      - .offset:         96
        .size:           4
        .value_kind:     by_value
      - .address_space:  global
        .offset:         104
        .size:           8
        .value_kind:     global_buffer
      - .address_space:  global
        .offset:         112
        .size:           8
        .value_kind:     global_buffer
      - .offset:         120
        .size:           4
        .value_kind:     by_value
      - .offset:         124
        .size:           4
        .value_kind:     by_value
      - .offset:         128
        .size:           4
        .value_kind:     by_value
      - .offset:         132
        .size:           4
        .value_kind:     by_value
      - .offset:         136
        .size:           4
        .value_kind:     by_value
      - .offset:         144
        .size:           4
        .value_kind:     hidden_block_count_x
      - .offset:         148
        .size:           4
        .value_kind:     hidden_block_count_y
      - .offset:         152
        .size:           4
        .value_kind:     hidden_block_count_z
      - .offset:         156
        .size:           2
        .value_kind:     hidden_group_size_x
      - .offset:         158
        .size:           2
        .value_kind:     hidden_group_size_y
      - .offset:         160
        .size:           2
        .value_kind:     hidden_group_size_z
      - .offset:         162
        .size:           2
        .value_kind:     hidden_remainder_x
      - .offset:         164
        .size:           2
        .value_kind:     hidden_remainder_y
      - .offset:         166
        .size:           2
        .value_kind:     hidden_remainder_z
      - .offset:         184
        .size:           8
        .value_kind:     hidden_global_offset_x
      - .offset:         192
        .size:           8
        .value_kind:     hidden_global_offset_y
      - .offset:         200
        .size:           8
        .value_kind:     hidden_global_offset_z
      - .offset:         208
        .size:           2
        .value_kind:     hidden_grid_dims
      - .offset:         264
        .size:           4
        .value_kind:     hidden_dynamic_lds_size
    .group_segment_fixed_size: 1040
    .kernarg_segment_align: 8
    .kernarg_segment_size: 400
    .language:       OpenCL C
    .language_version:
      - 2
      - 0
    .max_flat_workgroup_size: 1024
    .name:           _ZN4vllm25paged_attention_v2_kernelIffLi256ELi16ELi128ELNS_18Fp8KVCacheDataTypeE0ELb0ELi512EEEvPfS2_PT_PKS3_PKT0_S9_ifPKiSB_iPKfiiiSD_SD_iiiii
    .private_segment_fixed_size: 100
    .sgpr_count:     56
    .sgpr_spill_count: 0
    .symbol:         _ZN4vllm25paged_attention_v2_kernelIffLi256ELi16ELi128ELNS_18Fp8KVCacheDataTypeE0ELb0ELi512EEEvPfS2_PT_PKS3_PKT0_S9_ifPKiSB_iPKfiiiSD_SD_iiiii.kd
    .uniform_work_group_size: 1
    .uses_dynamic_stack: false
    .vgpr_count:     128
    .vgpr_spill_count: 25
    .wavefront_size: 64
  - .agpr_count:     0
    .args:
      - .actual_access:  write_only
        .address_space:  global
        .offset:         0
        .size:           8
        .value_kind:     global_buffer
      - .actual_access:  write_only
        .address_space:  global
        .offset:         8
        .size:           8
        .value_kind:     global_buffer
      - .actual_access:  write_only
        .address_space:  global
        .offset:         16
        .size:           8
        .value_kind:     global_buffer
      - .actual_access:  read_only
        .address_space:  global
        .offset:         24
        .size:           8
        .value_kind:     global_buffer
      - .actual_access:  read_only
        .address_space:  global
        .offset:         32
        .size:           8
        .value_kind:     global_buffer
      - .actual_access:  read_only
        .address_space:  global
        .offset:         40
        .size:           8
        .value_kind:     global_buffer
      - .offset:         48
        .size:           4
        .value_kind:     by_value
      - .offset:         52
        .size:           4
        .value_kind:     by_value
      - .actual_access:  read_only
        .address_space:  global
        .offset:         56
        .size:           8
        .value_kind:     global_buffer
      - .actual_access:  read_only
        .address_space:  global
        .offset:         64
        .size:           8
        .value_kind:     global_buffer
      - .offset:         72
        .size:           4
        .value_kind:     by_value
      - .actual_access:  read_only
        .address_space:  global
        .offset:         80
        .size:           8
        .value_kind:     global_buffer
      - .offset:         88
        .size:           4
        .value_kind:     by_value
      - .offset:         92
        .size:           4
        .value_kind:     by_value
      - .offset:         96
        .size:           4
        .value_kind:     by_value
      - .address_space:  global
        .offset:         104
        .size:           8
        .value_kind:     global_buffer
      - .address_space:  global
        .offset:         112
        .size:           8
        .value_kind:     global_buffer
      - .offset:         120
        .size:           4
        .value_kind:     by_value
      - .offset:         124
        .size:           4
        .value_kind:     by_value
      - .offset:         128
        .size:           4
        .value_kind:     by_value
      - .offset:         132
        .size:           4
        .value_kind:     by_value
      - .offset:         136
        .size:           4
        .value_kind:     by_value
      - .offset:         144
        .size:           4
        .value_kind:     hidden_block_count_x
      - .offset:         148
        .size:           4
        .value_kind:     hidden_block_count_y
      - .offset:         152
        .size:           4
        .value_kind:     hidden_block_count_z
      - .offset:         156
        .size:           2
        .value_kind:     hidden_group_size_x
      - .offset:         158
        .size:           2
        .value_kind:     hidden_group_size_y
      - .offset:         160
        .size:           2
        .value_kind:     hidden_group_size_z
      - .offset:         162
        .size:           2
        .value_kind:     hidden_remainder_x
      - .offset:         164
        .size:           2
        .value_kind:     hidden_remainder_y
      - .offset:         166
        .size:           2
        .value_kind:     hidden_remainder_z
      - .offset:         184
        .size:           8
        .value_kind:     hidden_global_offset_x
      - .offset:         192
        .size:           8
        .value_kind:     hidden_global_offset_y
      - .offset:         200
        .size:           8
        .value_kind:     hidden_global_offset_z
      - .offset:         208
        .size:           2
        .value_kind:     hidden_grid_dims
      - .offset:         264
        .size:           4
        .value_kind:     hidden_dynamic_lds_size
    .group_segment_fixed_size: 144
    .kernarg_segment_align: 8
    .kernarg_segment_size: 400
    .language:       OpenCL C
    .language_version:
      - 2
      - 0
    .max_flat_workgroup_size: 1024
    .name:           _ZN4vllm25paged_attention_v2_kernelIffLi32ELi32ELi128ELNS_18Fp8KVCacheDataTypeE0ELb1ELi512EEEvPfS2_PT_PKS3_PKT0_S9_ifPKiSB_iPKfiiiSD_SD_iiiii
    .private_segment_fixed_size: 0
    .sgpr_count:     56
    .sgpr_spill_count: 0
    .symbol:         _ZN4vllm25paged_attention_v2_kernelIffLi32ELi32ELi128ELNS_18Fp8KVCacheDataTypeE0ELb1ELi512EEEvPfS2_PT_PKS3_PKT0_S9_ifPKiSB_iPKfiiiSD_SD_iiiii.kd
    .uniform_work_group_size: 1
    .uses_dynamic_stack: false
    .vgpr_count:     57
    .vgpr_spill_count: 0
    .wavefront_size: 64
  - .agpr_count:     0
    .args:
      - .actual_access:  write_only
        .address_space:  global
        .offset:         0
        .size:           8
        .value_kind:     global_buffer
      - .actual_access:  write_only
        .address_space:  global
        .offset:         8
        .size:           8
        .value_kind:     global_buffer
      - .actual_access:  write_only
        .address_space:  global
        .offset:         16
        .size:           8
        .value_kind:     global_buffer
      - .actual_access:  read_only
        .address_space:  global
        .offset:         24
        .size:           8
        .value_kind:     global_buffer
      - .actual_access:  read_only
        .address_space:  global
        .offset:         32
        .size:           8
        .value_kind:     global_buffer
      - .actual_access:  read_only
        .address_space:  global
        .offset:         40
        .size:           8
        .value_kind:     global_buffer
      - .offset:         48
        .size:           4
        .value_kind:     by_value
      - .offset:         52
        .size:           4
        .value_kind:     by_value
      - .actual_access:  read_only
        .address_space:  global
        .offset:         56
        .size:           8
        .value_kind:     global_buffer
      - .actual_access:  read_only
        .address_space:  global
        .offset:         64
        .size:           8
        .value_kind:     global_buffer
      - .offset:         72
        .size:           4
        .value_kind:     by_value
      - .actual_access:  read_only
        .address_space:  global
        .offset:         80
        .size:           8
        .value_kind:     global_buffer
      - .offset:         88
        .size:           4
        .value_kind:     by_value
      - .offset:         92
        .size:           4
        .value_kind:     by_value
      - .offset:         96
        .size:           4
        .value_kind:     by_value
      - .address_space:  global
        .offset:         104
        .size:           8
        .value_kind:     global_buffer
      - .address_space:  global
        .offset:         112
        .size:           8
        .value_kind:     global_buffer
      - .offset:         120
        .size:           4
        .value_kind:     by_value
      - .offset:         124
        .size:           4
        .value_kind:     by_value
      - .offset:         128
        .size:           4
        .value_kind:     by_value
      - .offset:         132
        .size:           4
        .value_kind:     by_value
      - .offset:         136
        .size:           4
        .value_kind:     by_value
      - .offset:         144
        .size:           4
        .value_kind:     hidden_block_count_x
      - .offset:         148
        .size:           4
        .value_kind:     hidden_block_count_y
      - .offset:         152
        .size:           4
        .value_kind:     hidden_block_count_z
      - .offset:         156
        .size:           2
        .value_kind:     hidden_group_size_x
      - .offset:         158
        .size:           2
        .value_kind:     hidden_group_size_y
      - .offset:         160
        .size:           2
        .value_kind:     hidden_group_size_z
      - .offset:         162
        .size:           2
        .value_kind:     hidden_remainder_x
      - .offset:         164
        .size:           2
        .value_kind:     hidden_remainder_y
      - .offset:         166
        .size:           2
        .value_kind:     hidden_remainder_z
      - .offset:         184
        .size:           8
        .value_kind:     hidden_global_offset_x
      - .offset:         192
        .size:           8
        .value_kind:     hidden_global_offset_y
      - .offset:         200
        .size:           8
        .value_kind:     hidden_global_offset_z
      - .offset:         208
        .size:           2
        .value_kind:     hidden_grid_dims
      - .offset:         264
        .size:           4
        .value_kind:     hidden_dynamic_lds_size
    .group_segment_fixed_size: 272
    .kernarg_segment_align: 8
    .kernarg_segment_size: 400
    .language:       OpenCL C
    .language_version:
      - 2
      - 0
    .max_flat_workgroup_size: 1024
    .name:           _ZN4vllm25paged_attention_v2_kernelIffLi64ELi32ELi128ELNS_18Fp8KVCacheDataTypeE0ELb1ELi512EEEvPfS2_PT_PKS3_PKT0_S9_ifPKiSB_iPKfiiiSD_SD_iiiii
    .private_segment_fixed_size: 0
    .sgpr_count:     57
    .sgpr_spill_count: 0
    .symbol:         _ZN4vllm25paged_attention_v2_kernelIffLi64ELi32ELi128ELNS_18Fp8KVCacheDataTypeE0ELb1ELi512EEEvPfS2_PT_PKS3_PKT0_S9_ifPKiSB_iPKfiiiSD_SD_iiiii.kd
    .uniform_work_group_size: 1
    .uses_dynamic_stack: false
    .vgpr_count:     89
    .vgpr_spill_count: 0
    .wavefront_size: 64
  - .agpr_count:     0
    .args:
      - .actual_access:  write_only
        .address_space:  global
        .offset:         0
        .size:           8
        .value_kind:     global_buffer
      - .actual_access:  write_only
        .address_space:  global
        .offset:         8
        .size:           8
        .value_kind:     global_buffer
      - .actual_access:  write_only
        .address_space:  global
        .offset:         16
        .size:           8
        .value_kind:     global_buffer
      - .actual_access:  read_only
        .address_space:  global
        .offset:         24
        .size:           8
        .value_kind:     global_buffer
      - .actual_access:  read_only
        .address_space:  global
        .offset:         32
        .size:           8
        .value_kind:     global_buffer
      - .actual_access:  read_only
        .address_space:  global
        .offset:         40
        .size:           8
        .value_kind:     global_buffer
      - .offset:         48
        .size:           4
        .value_kind:     by_value
      - .offset:         52
        .size:           4
        .value_kind:     by_value
      - .actual_access:  read_only
        .address_space:  global
        .offset:         56
        .size:           8
        .value_kind:     global_buffer
      - .actual_access:  read_only
        .address_space:  global
        .offset:         64
        .size:           8
        .value_kind:     global_buffer
      - .offset:         72
        .size:           4
        .value_kind:     by_value
      - .actual_access:  read_only
        .address_space:  global
        .offset:         80
        .size:           8
        .value_kind:     global_buffer
      - .offset:         88
        .size:           4
        .value_kind:     by_value
      - .offset:         92
        .size:           4
        .value_kind:     by_value
      - .offset:         96
        .size:           4
        .value_kind:     by_value
      - .address_space:  global
        .offset:         104
        .size:           8
        .value_kind:     global_buffer
      - .address_space:  global
        .offset:         112
        .size:           8
        .value_kind:     global_buffer
      - .offset:         120
        .size:           4
        .value_kind:     by_value
      - .offset:         124
        .size:           4
        .value_kind:     by_value
      - .offset:         128
        .size:           4
        .value_kind:     by_value
      - .offset:         132
        .size:           4
        .value_kind:     by_value
      - .offset:         136
        .size:           4
        .value_kind:     by_value
      - .offset:         144
        .size:           4
        .value_kind:     hidden_block_count_x
      - .offset:         148
        .size:           4
        .value_kind:     hidden_block_count_y
      - .offset:         152
        .size:           4
        .value_kind:     hidden_block_count_z
      - .offset:         156
        .size:           2
        .value_kind:     hidden_group_size_x
      - .offset:         158
        .size:           2
        .value_kind:     hidden_group_size_y
      - .offset:         160
        .size:           2
        .value_kind:     hidden_group_size_z
      - .offset:         162
        .size:           2
        .value_kind:     hidden_remainder_x
      - .offset:         164
        .size:           2
        .value_kind:     hidden_remainder_y
      - .offset:         166
        .size:           2
        .value_kind:     hidden_remainder_z
      - .offset:         184
        .size:           8
        .value_kind:     hidden_global_offset_x
      - .offset:         192
        .size:           8
        .value_kind:     hidden_global_offset_y
      - .offset:         200
        .size:           8
        .value_kind:     hidden_global_offset_z
      - .offset:         208
        .size:           2
        .value_kind:     hidden_grid_dims
      - .offset:         264
        .size:           4
        .value_kind:     hidden_dynamic_lds_size
    .group_segment_fixed_size: 336
    .kernarg_segment_align: 8
    .kernarg_segment_size: 400
    .language:       OpenCL C
    .language_version:
      - 2
      - 0
    .max_flat_workgroup_size: 1024
    .name:           _ZN4vllm25paged_attention_v2_kernelIffLi80ELi32ELi128ELNS_18Fp8KVCacheDataTypeE0ELb1ELi512EEEvPfS2_PT_PKS3_PKT0_S9_ifPKiSB_iPKfiiiSD_SD_iiiii
    .private_segment_fixed_size: 0
    .sgpr_count:     58
    .sgpr_spill_count: 0
    .symbol:         _ZN4vllm25paged_attention_v2_kernelIffLi80ELi32ELi128ELNS_18Fp8KVCacheDataTypeE0ELb1ELi512EEEvPfS2_PT_PKS3_PKT0_S9_ifPKiSB_iPKfiiiSD_SD_iiiii.kd
    .uniform_work_group_size: 1
    .uses_dynamic_stack: false
    .vgpr_count:     90
    .vgpr_spill_count: 0
    .wavefront_size: 64
  - .agpr_count:     0
    .args:
      - .actual_access:  write_only
        .address_space:  global
        .offset:         0
        .size:           8
        .value_kind:     global_buffer
      - .actual_access:  write_only
        .address_space:  global
        .offset:         8
        .size:           8
        .value_kind:     global_buffer
      - .actual_access:  write_only
        .address_space:  global
        .offset:         16
        .size:           8
        .value_kind:     global_buffer
      - .actual_access:  read_only
        .address_space:  global
        .offset:         24
        .size:           8
        .value_kind:     global_buffer
      - .actual_access:  read_only
        .address_space:  global
        .offset:         32
        .size:           8
        .value_kind:     global_buffer
      - .actual_access:  read_only
        .address_space:  global
        .offset:         40
        .size:           8
        .value_kind:     global_buffer
      - .offset:         48
        .size:           4
        .value_kind:     by_value
      - .offset:         52
        .size:           4
        .value_kind:     by_value
      - .actual_access:  read_only
        .address_space:  global
        .offset:         56
        .size:           8
        .value_kind:     global_buffer
      - .actual_access:  read_only
        .address_space:  global
        .offset:         64
        .size:           8
        .value_kind:     global_buffer
      - .offset:         72
        .size:           4
        .value_kind:     by_value
      - .actual_access:  read_only
        .address_space:  global
        .offset:         80
        .size:           8
        .value_kind:     global_buffer
      - .offset:         88
        .size:           4
        .value_kind:     by_value
      - .offset:         92
        .size:           4
        .value_kind:     by_value
      - .offset:         96
        .size:           4
        .value_kind:     by_value
      - .address_space:  global
        .offset:         104
        .size:           8
        .value_kind:     global_buffer
      - .address_space:  global
        .offset:         112
        .size:           8
        .value_kind:     global_buffer
      - .offset:         120
        .size:           4
        .value_kind:     by_value
      - .offset:         124
        .size:           4
        .value_kind:     by_value
      - .offset:         128
        .size:           4
        .value_kind:     by_value
      - .offset:         132
        .size:           4
        .value_kind:     by_value
      - .offset:         136
        .size:           4
        .value_kind:     by_value
      - .offset:         144
        .size:           4
        .value_kind:     hidden_block_count_x
      - .offset:         148
        .size:           4
        .value_kind:     hidden_block_count_y
      - .offset:         152
        .size:           4
        .value_kind:     hidden_block_count_z
      - .offset:         156
        .size:           2
        .value_kind:     hidden_group_size_x
      - .offset:         158
        .size:           2
        .value_kind:     hidden_group_size_y
      - .offset:         160
        .size:           2
        .value_kind:     hidden_group_size_z
      - .offset:         162
        .size:           2
        .value_kind:     hidden_remainder_x
      - .offset:         164
        .size:           2
        .value_kind:     hidden_remainder_y
      - .offset:         166
        .size:           2
        .value_kind:     hidden_remainder_z
      - .offset:         184
        .size:           8
        .value_kind:     hidden_global_offset_x
      - .offset:         192
        .size:           8
        .value_kind:     hidden_global_offset_y
      - .offset:         200
        .size:           8
        .value_kind:     hidden_global_offset_z
      - .offset:         208
        .size:           2
        .value_kind:     hidden_grid_dims
      - .offset:         264
        .size:           4
        .value_kind:     hidden_dynamic_lds_size
    .group_segment_fixed_size: 400
    .kernarg_segment_align: 8
    .kernarg_segment_size: 400
    .language:       OpenCL C
    .language_version:
      - 2
      - 0
    .max_flat_workgroup_size: 1024
    .name:           _ZN4vllm25paged_attention_v2_kernelIffLi96ELi32ELi128ELNS_18Fp8KVCacheDataTypeE0ELb1ELi512EEEvPfS2_PT_PKS3_PKT0_S9_ifPKiSB_iPKfiiiSD_SD_iiiii
    .private_segment_fixed_size: 0
    .sgpr_count:     58
    .sgpr_spill_count: 0
    .symbol:         _ZN4vllm25paged_attention_v2_kernelIffLi96ELi32ELi128ELNS_18Fp8KVCacheDataTypeE0ELb1ELi512EEEvPfS2_PT_PKS3_PKT0_S9_ifPKiSB_iPKfiiiSD_SD_iiiii.kd
    .uniform_work_group_size: 1
    .uses_dynamic_stack: false
    .vgpr_count:     106
    .vgpr_spill_count: 0
    .wavefront_size: 64
  - .agpr_count:     0
    .args:
      - .actual_access:  write_only
        .address_space:  global
        .offset:         0
        .size:           8
        .value_kind:     global_buffer
      - .actual_access:  write_only
        .address_space:  global
        .offset:         8
        .size:           8
        .value_kind:     global_buffer
      - .actual_access:  write_only
        .address_space:  global
        .offset:         16
        .size:           8
        .value_kind:     global_buffer
      - .actual_access:  read_only
        .address_space:  global
        .offset:         24
        .size:           8
        .value_kind:     global_buffer
      - .actual_access:  read_only
        .address_space:  global
        .offset:         32
        .size:           8
        .value_kind:     global_buffer
      - .actual_access:  read_only
        .address_space:  global
        .offset:         40
        .size:           8
        .value_kind:     global_buffer
      - .offset:         48
        .size:           4
        .value_kind:     by_value
      - .offset:         52
        .size:           4
        .value_kind:     by_value
      - .actual_access:  read_only
        .address_space:  global
        .offset:         56
        .size:           8
        .value_kind:     global_buffer
      - .actual_access:  read_only
        .address_space:  global
        .offset:         64
        .size:           8
        .value_kind:     global_buffer
      - .offset:         72
        .size:           4
        .value_kind:     by_value
      - .actual_access:  read_only
        .address_space:  global
        .offset:         80
        .size:           8
        .value_kind:     global_buffer
      - .offset:         88
        .size:           4
        .value_kind:     by_value
      - .offset:         92
        .size:           4
        .value_kind:     by_value
      - .offset:         96
        .size:           4
        .value_kind:     by_value
      - .address_space:  global
        .offset:         104
        .size:           8
        .value_kind:     global_buffer
      - .address_space:  global
        .offset:         112
        .size:           8
        .value_kind:     global_buffer
      - .offset:         120
        .size:           4
        .value_kind:     by_value
      - .offset:         124
        .size:           4
        .value_kind:     by_value
      - .offset:         128
        .size:           4
        .value_kind:     by_value
      - .offset:         132
        .size:           4
        .value_kind:     by_value
      - .offset:         136
        .size:           4
        .value_kind:     by_value
      - .offset:         144
        .size:           4
        .value_kind:     hidden_block_count_x
      - .offset:         148
        .size:           4
        .value_kind:     hidden_block_count_y
      - .offset:         152
        .size:           4
        .value_kind:     hidden_block_count_z
      - .offset:         156
        .size:           2
        .value_kind:     hidden_group_size_x
      - .offset:         158
        .size:           2
        .value_kind:     hidden_group_size_y
      - .offset:         160
        .size:           2
        .value_kind:     hidden_group_size_z
      - .offset:         162
        .size:           2
        .value_kind:     hidden_remainder_x
      - .offset:         164
        .size:           2
        .value_kind:     hidden_remainder_y
      - .offset:         166
        .size:           2
        .value_kind:     hidden_remainder_z
      - .offset:         184
        .size:           8
        .value_kind:     hidden_global_offset_x
      - .offset:         192
        .size:           8
        .value_kind:     hidden_global_offset_y
      - .offset:         200
        .size:           8
        .value_kind:     hidden_global_offset_z
      - .offset:         208
        .size:           2
        .value_kind:     hidden_grid_dims
      - .offset:         264
        .size:           4
        .value_kind:     hidden_dynamic_lds_size
    .group_segment_fixed_size: 464
    .kernarg_segment_align: 8
    .kernarg_segment_size: 400
    .language:       OpenCL C
    .language_version:
      - 2
      - 0
    .max_flat_workgroup_size: 1024
    .name:           _ZN4vllm25paged_attention_v2_kernelIffLi112ELi32ELi128ELNS_18Fp8KVCacheDataTypeE0ELb1ELi512EEEvPfS2_PT_PKS3_PKT0_S9_ifPKiSB_iPKfiiiSD_SD_iiiii
    .private_segment_fixed_size: 0
    .sgpr_count:     59
    .sgpr_spill_count: 0
    .symbol:         _ZN4vllm25paged_attention_v2_kernelIffLi112ELi32ELi128ELNS_18Fp8KVCacheDataTypeE0ELb1ELi512EEEvPfS2_PT_PKS3_PKT0_S9_ifPKiSB_iPKfiiiSD_SD_iiiii.kd
    .uniform_work_group_size: 1
    .uses_dynamic_stack: false
    .vgpr_count:     102
    .vgpr_spill_count: 0
    .wavefront_size: 64
  - .agpr_count:     0
    .args:
      - .actual_access:  write_only
        .address_space:  global
        .offset:         0
        .size:           8
        .value_kind:     global_buffer
      - .actual_access:  write_only
        .address_space:  global
        .offset:         8
        .size:           8
        .value_kind:     global_buffer
      - .actual_access:  write_only
        .address_space:  global
        .offset:         16
        .size:           8
        .value_kind:     global_buffer
      - .actual_access:  read_only
        .address_space:  global
        .offset:         24
        .size:           8
        .value_kind:     global_buffer
      - .actual_access:  read_only
        .address_space:  global
        .offset:         32
        .size:           8
        .value_kind:     global_buffer
      - .actual_access:  read_only
        .address_space:  global
        .offset:         40
        .size:           8
        .value_kind:     global_buffer
      - .offset:         48
        .size:           4
        .value_kind:     by_value
      - .offset:         52
        .size:           4
        .value_kind:     by_value
      - .actual_access:  read_only
        .address_space:  global
        .offset:         56
        .size:           8
        .value_kind:     global_buffer
      - .actual_access:  read_only
        .address_space:  global
        .offset:         64
        .size:           8
        .value_kind:     global_buffer
      - .offset:         72
        .size:           4
        .value_kind:     by_value
      - .actual_access:  read_only
        .address_space:  global
        .offset:         80
        .size:           8
        .value_kind:     global_buffer
      - .offset:         88
        .size:           4
        .value_kind:     by_value
      - .offset:         92
        .size:           4
        .value_kind:     by_value
      - .offset:         96
        .size:           4
        .value_kind:     by_value
      - .address_space:  global
        .offset:         104
        .size:           8
        .value_kind:     global_buffer
      - .address_space:  global
        .offset:         112
        .size:           8
        .value_kind:     global_buffer
      - .offset:         120
        .size:           4
        .value_kind:     by_value
      - .offset:         124
        .size:           4
        .value_kind:     by_value
      - .offset:         128
        .size:           4
        .value_kind:     by_value
      - .offset:         132
        .size:           4
        .value_kind:     by_value
      - .offset:         136
        .size:           4
        .value_kind:     by_value
      - .offset:         144
        .size:           4
        .value_kind:     hidden_block_count_x
      - .offset:         148
        .size:           4
        .value_kind:     hidden_block_count_y
      - .offset:         152
        .size:           4
        .value_kind:     hidden_block_count_z
      - .offset:         156
        .size:           2
        .value_kind:     hidden_group_size_x
      - .offset:         158
        .size:           2
        .value_kind:     hidden_group_size_y
      - .offset:         160
        .size:           2
        .value_kind:     hidden_group_size_z
      - .offset:         162
        .size:           2
        .value_kind:     hidden_remainder_x
      - .offset:         164
        .size:           2
        .value_kind:     hidden_remainder_y
      - .offset:         166
        .size:           2
        .value_kind:     hidden_remainder_z
      - .offset:         184
        .size:           8
        .value_kind:     hidden_global_offset_x
      - .offset:         192
        .size:           8
        .value_kind:     hidden_global_offset_y
      - .offset:         200
        .size:           8
        .value_kind:     hidden_global_offset_z
      - .offset:         208
        .size:           2
        .value_kind:     hidden_grid_dims
      - .offset:         264
        .size:           4
        .value_kind:     hidden_dynamic_lds_size
    .group_segment_fixed_size: 496
    .kernarg_segment_align: 8
    .kernarg_segment_size: 400
    .language:       OpenCL C
    .language_version:
      - 2
      - 0
    .max_flat_workgroup_size: 1024
    .name:           _ZN4vllm25paged_attention_v2_kernelIffLi120ELi32ELi128ELNS_18Fp8KVCacheDataTypeE0ELb1ELi512EEEvPfS2_PT_PKS3_PKT0_S9_ifPKiSB_iPKfiiiSD_SD_iiiii
    .private_segment_fixed_size: 0
    .sgpr_count:     59
    .sgpr_spill_count: 0
    .symbol:         _ZN4vllm25paged_attention_v2_kernelIffLi120ELi32ELi128ELNS_18Fp8KVCacheDataTypeE0ELb1ELi512EEEvPfS2_PT_PKS3_PKT0_S9_ifPKiSB_iPKfiiiSD_SD_iiiii.kd
    .uniform_work_group_size: 1
    .uses_dynamic_stack: false
    .vgpr_count:     108
    .vgpr_spill_count: 0
    .wavefront_size: 64
  - .agpr_count:     0
    .args:
      - .actual_access:  write_only
        .address_space:  global
        .offset:         0
        .size:           8
        .value_kind:     global_buffer
      - .actual_access:  write_only
        .address_space:  global
        .offset:         8
        .size:           8
        .value_kind:     global_buffer
      - .actual_access:  write_only
        .address_space:  global
        .offset:         16
        .size:           8
        .value_kind:     global_buffer
      - .actual_access:  read_only
        .address_space:  global
        .offset:         24
        .size:           8
        .value_kind:     global_buffer
      - .actual_access:  read_only
        .address_space:  global
        .offset:         32
        .size:           8
        .value_kind:     global_buffer
      - .actual_access:  read_only
        .address_space:  global
        .offset:         40
        .size:           8
        .value_kind:     global_buffer
      - .offset:         48
        .size:           4
        .value_kind:     by_value
      - .offset:         52
        .size:           4
        .value_kind:     by_value
      - .actual_access:  read_only
        .address_space:  global
        .offset:         56
        .size:           8
        .value_kind:     global_buffer
      - .actual_access:  read_only
        .address_space:  global
        .offset:         64
        .size:           8
        .value_kind:     global_buffer
      - .offset:         72
        .size:           4
        .value_kind:     by_value
      - .actual_access:  read_only
        .address_space:  global
        .offset:         80
        .size:           8
        .value_kind:     global_buffer
      - .offset:         88
        .size:           4
        .value_kind:     by_value
      - .offset:         92
        .size:           4
        .value_kind:     by_value
      - .offset:         96
        .size:           4
        .value_kind:     by_value
      - .address_space:  global
        .offset:         104
        .size:           8
        .value_kind:     global_buffer
      - .address_space:  global
        .offset:         112
        .size:           8
        .value_kind:     global_buffer
      - .offset:         120
        .size:           4
        .value_kind:     by_value
      - .offset:         124
        .size:           4
        .value_kind:     by_value
      - .offset:         128
        .size:           4
        .value_kind:     by_value
      - .offset:         132
        .size:           4
        .value_kind:     by_value
      - .offset:         136
        .size:           4
        .value_kind:     by_value
      - .offset:         144
        .size:           4
        .value_kind:     hidden_block_count_x
      - .offset:         148
        .size:           4
        .value_kind:     hidden_block_count_y
      - .offset:         152
        .size:           4
        .value_kind:     hidden_block_count_z
      - .offset:         156
        .size:           2
        .value_kind:     hidden_group_size_x
      - .offset:         158
        .size:           2
        .value_kind:     hidden_group_size_y
      - .offset:         160
        .size:           2
        .value_kind:     hidden_group_size_z
      - .offset:         162
        .size:           2
        .value_kind:     hidden_remainder_x
      - .offset:         164
        .size:           2
        .value_kind:     hidden_remainder_y
      - .offset:         166
        .size:           2
        .value_kind:     hidden_remainder_z
      - .offset:         184
        .size:           8
        .value_kind:     hidden_global_offset_x
      - .offset:         192
        .size:           8
        .value_kind:     hidden_global_offset_y
      - .offset:         200
        .size:           8
        .value_kind:     hidden_global_offset_z
      - .offset:         208
        .size:           2
        .value_kind:     hidden_grid_dims
      - .offset:         264
        .size:           4
        .value_kind:     hidden_dynamic_lds_size
    .group_segment_fixed_size: 528
    .kernarg_segment_align: 8
    .kernarg_segment_size: 400
    .language:       OpenCL C
    .language_version:
      - 2
      - 0
    .max_flat_workgroup_size: 1024
    .name:           _ZN4vllm25paged_attention_v2_kernelIffLi128ELi32ELi128ELNS_18Fp8KVCacheDataTypeE0ELb1ELi512EEEvPfS2_PT_PKS3_PKT0_S9_ifPKiSB_iPKfiiiSD_SD_iiiii
    .private_segment_fixed_size: 0
    .sgpr_count:     61
    .sgpr_spill_count: 0
    .symbol:         _ZN4vllm25paged_attention_v2_kernelIffLi128ELi32ELi128ELNS_18Fp8KVCacheDataTypeE0ELb1ELi512EEEvPfS2_PT_PKS3_PKT0_S9_ifPKiSB_iPKfiiiSD_SD_iiiii.kd
    .uniform_work_group_size: 1
    .uses_dynamic_stack: false
    .vgpr_count:     114
    .vgpr_spill_count: 0
    .wavefront_size: 64
  - .agpr_count:     0
    .args:
      - .actual_access:  write_only
        .address_space:  global
        .offset:         0
        .size:           8
        .value_kind:     global_buffer
      - .actual_access:  write_only
        .address_space:  global
        .offset:         8
        .size:           8
        .value_kind:     global_buffer
      - .actual_access:  write_only
        .address_space:  global
        .offset:         16
        .size:           8
        .value_kind:     global_buffer
      - .actual_access:  read_only
        .address_space:  global
        .offset:         24
        .size:           8
        .value_kind:     global_buffer
      - .actual_access:  read_only
        .address_space:  global
        .offset:         32
        .size:           8
        .value_kind:     global_buffer
      - .actual_access:  read_only
        .address_space:  global
        .offset:         40
        .size:           8
        .value_kind:     global_buffer
      - .offset:         48
        .size:           4
        .value_kind:     by_value
      - .offset:         52
        .size:           4
        .value_kind:     by_value
      - .actual_access:  read_only
        .address_space:  global
        .offset:         56
        .size:           8
        .value_kind:     global_buffer
      - .actual_access:  read_only
        .address_space:  global
        .offset:         64
        .size:           8
        .value_kind:     global_buffer
      - .offset:         72
        .size:           4
        .value_kind:     by_value
      - .actual_access:  read_only
        .address_space:  global
        .offset:         80
        .size:           8
        .value_kind:     global_buffer
      - .offset:         88
        .size:           4
        .value_kind:     by_value
      - .offset:         92
        .size:           4
        .value_kind:     by_value
      - .offset:         96
        .size:           4
        .value_kind:     by_value
      - .address_space:  global
        .offset:         104
        .size:           8
        .value_kind:     global_buffer
      - .address_space:  global
        .offset:         112
        .size:           8
        .value_kind:     global_buffer
      - .offset:         120
        .size:           4
        .value_kind:     by_value
      - .offset:         124
        .size:           4
        .value_kind:     by_value
      - .offset:         128
        .size:           4
        .value_kind:     by_value
      - .offset:         132
        .size:           4
        .value_kind:     by_value
      - .offset:         136
        .size:           4
        .value_kind:     by_value
      - .offset:         144
        .size:           4
        .value_kind:     hidden_block_count_x
      - .offset:         148
        .size:           4
        .value_kind:     hidden_block_count_y
      - .offset:         152
        .size:           4
        .value_kind:     hidden_block_count_z
      - .offset:         156
        .size:           2
        .value_kind:     hidden_group_size_x
      - .offset:         158
        .size:           2
        .value_kind:     hidden_group_size_y
      - .offset:         160
        .size:           2
        .value_kind:     hidden_group_size_z
      - .offset:         162
        .size:           2
        .value_kind:     hidden_remainder_x
      - .offset:         164
        .size:           2
        .value_kind:     hidden_remainder_y
      - .offset:         166
        .size:           2
        .value_kind:     hidden_remainder_z
      - .offset:         184
        .size:           8
        .value_kind:     hidden_global_offset_x
      - .offset:         192
        .size:           8
        .value_kind:     hidden_global_offset_y
      - .offset:         200
        .size:           8
        .value_kind:     hidden_global_offset_z
      - .offset:         208
        .size:           2
        .value_kind:     hidden_grid_dims
      - .offset:         264
        .size:           4
        .value_kind:     hidden_dynamic_lds_size
    .group_segment_fixed_size: 784
    .kernarg_segment_align: 8
    .kernarg_segment_size: 400
    .language:       OpenCL C
    .language_version:
      - 2
      - 0
    .max_flat_workgroup_size: 1024
    .name:           _ZN4vllm25paged_attention_v2_kernelIffLi192ELi32ELi128ELNS_18Fp8KVCacheDataTypeE0ELb1ELi512EEEvPfS2_PT_PKS3_PKT0_S9_ifPKiSB_iPKfiiiSD_SD_iiiii
    .private_segment_fixed_size: 132
    .sgpr_count:     68
    .sgpr_spill_count: 0
    .symbol:         _ZN4vllm25paged_attention_v2_kernelIffLi192ELi32ELi128ELNS_18Fp8KVCacheDataTypeE0ELb1ELi512EEEvPfS2_PT_PKS3_PKT0_S9_ifPKiSB_iPKfiiiSD_SD_iiiii.kd
    .uniform_work_group_size: 1
    .uses_dynamic_stack: false
    .vgpr_count:     128
    .vgpr_spill_count: 38
    .wavefront_size: 64
  - .agpr_count:     0
    .args:
      - .actual_access:  write_only
        .address_space:  global
        .offset:         0
        .size:           8
        .value_kind:     global_buffer
      - .actual_access:  write_only
        .address_space:  global
        .offset:         8
        .size:           8
        .value_kind:     global_buffer
      - .actual_access:  write_only
        .address_space:  global
        .offset:         16
        .size:           8
        .value_kind:     global_buffer
      - .actual_access:  read_only
        .address_space:  global
        .offset:         24
        .size:           8
        .value_kind:     global_buffer
      - .actual_access:  read_only
        .address_space:  global
        .offset:         32
        .size:           8
        .value_kind:     global_buffer
      - .actual_access:  read_only
        .address_space:  global
        .offset:         40
        .size:           8
        .value_kind:     global_buffer
      - .offset:         48
        .size:           4
        .value_kind:     by_value
      - .offset:         52
        .size:           4
        .value_kind:     by_value
      - .actual_access:  read_only
        .address_space:  global
        .offset:         56
        .size:           8
        .value_kind:     global_buffer
      - .actual_access:  read_only
        .address_space:  global
        .offset:         64
        .size:           8
        .value_kind:     global_buffer
      - .offset:         72
        .size:           4
        .value_kind:     by_value
      - .actual_access:  read_only
        .address_space:  global
        .offset:         80
        .size:           8
        .value_kind:     global_buffer
      - .offset:         88
        .size:           4
        .value_kind:     by_value
      - .offset:         92
        .size:           4
        .value_kind:     by_value
      - .offset:         96
        .size:           4
        .value_kind:     by_value
      - .address_space:  global
        .offset:         104
        .size:           8
        .value_kind:     global_buffer
      - .address_space:  global
        .offset:         112
        .size:           8
        .value_kind:     global_buffer
      - .offset:         120
        .size:           4
        .value_kind:     by_value
      - .offset:         124
        .size:           4
        .value_kind:     by_value
      - .offset:         128
        .size:           4
        .value_kind:     by_value
      - .offset:         132
        .size:           4
        .value_kind:     by_value
      - .offset:         136
        .size:           4
        .value_kind:     by_value
      - .offset:         144
        .size:           4
        .value_kind:     hidden_block_count_x
      - .offset:         148
        .size:           4
        .value_kind:     hidden_block_count_y
      - .offset:         152
        .size:           4
        .value_kind:     hidden_block_count_z
      - .offset:         156
        .size:           2
        .value_kind:     hidden_group_size_x
      - .offset:         158
        .size:           2
        .value_kind:     hidden_group_size_y
      - .offset:         160
        .size:           2
        .value_kind:     hidden_group_size_z
      - .offset:         162
        .size:           2
        .value_kind:     hidden_remainder_x
      - .offset:         164
        .size:           2
        .value_kind:     hidden_remainder_y
      - .offset:         166
        .size:           2
        .value_kind:     hidden_remainder_z
      - .offset:         184
        .size:           8
        .value_kind:     hidden_global_offset_x
      - .offset:         192
        .size:           8
        .value_kind:     hidden_global_offset_y
      - .offset:         200
        .size:           8
        .value_kind:     hidden_global_offset_z
      - .offset:         208
        .size:           2
        .value_kind:     hidden_grid_dims
      - .offset:         264
        .size:           4
        .value_kind:     hidden_dynamic_lds_size
    .group_segment_fixed_size: 1040
    .kernarg_segment_align: 8
    .kernarg_segment_size: 400
    .language:       OpenCL C
    .language_version:
      - 2
      - 0
    .max_flat_workgroup_size: 1024
    .name:           _ZN4vllm25paged_attention_v2_kernelIffLi256ELi32ELi128ELNS_18Fp8KVCacheDataTypeE0ELb1ELi512EEEvPfS2_PT_PKS3_PKT0_S9_ifPKiSB_iPKfiiiSD_SD_iiiii
    .private_segment_fixed_size: 340
    .sgpr_count:     68
    .sgpr_spill_count: 0
    .symbol:         _ZN4vllm25paged_attention_v2_kernelIffLi256ELi32ELi128ELNS_18Fp8KVCacheDataTypeE0ELb1ELi512EEEvPfS2_PT_PKS3_PKT0_S9_ifPKiSB_iPKfiiiSD_SD_iiiii.kd
    .uniform_work_group_size: 1
    .uses_dynamic_stack: false
    .vgpr_count:     128
    .vgpr_spill_count: 124
    .wavefront_size: 64
  - .agpr_count:     0
    .args:
      - .actual_access:  write_only
        .address_space:  global
        .offset:         0
        .size:           8
        .value_kind:     global_buffer
      - .actual_access:  write_only
        .address_space:  global
        .offset:         8
        .size:           8
        .value_kind:     global_buffer
      - .actual_access:  write_only
        .address_space:  global
        .offset:         16
        .size:           8
        .value_kind:     global_buffer
      - .actual_access:  read_only
        .address_space:  global
        .offset:         24
        .size:           8
        .value_kind:     global_buffer
      - .actual_access:  read_only
        .address_space:  global
        .offset:         32
        .size:           8
        .value_kind:     global_buffer
      - .actual_access:  read_only
        .address_space:  global
        .offset:         40
        .size:           8
        .value_kind:     global_buffer
      - .offset:         48
        .size:           4
        .value_kind:     by_value
      - .offset:         52
        .size:           4
        .value_kind:     by_value
      - .actual_access:  read_only
        .address_space:  global
        .offset:         56
        .size:           8
        .value_kind:     global_buffer
      - .actual_access:  read_only
        .address_space:  global
        .offset:         64
        .size:           8
        .value_kind:     global_buffer
      - .offset:         72
        .size:           4
        .value_kind:     by_value
      - .actual_access:  read_only
        .address_space:  global
        .offset:         80
        .size:           8
        .value_kind:     global_buffer
      - .offset:         88
        .size:           4
        .value_kind:     by_value
      - .offset:         92
        .size:           4
        .value_kind:     by_value
      - .offset:         96
        .size:           4
        .value_kind:     by_value
      - .address_space:  global
        .offset:         104
        .size:           8
        .value_kind:     global_buffer
      - .address_space:  global
        .offset:         112
        .size:           8
        .value_kind:     global_buffer
      - .offset:         120
        .size:           4
        .value_kind:     by_value
      - .offset:         124
        .size:           4
        .value_kind:     by_value
      - .offset:         128
        .size:           4
        .value_kind:     by_value
      - .offset:         132
        .size:           4
        .value_kind:     by_value
      - .offset:         136
        .size:           4
        .value_kind:     by_value
      - .offset:         144
        .size:           4
        .value_kind:     hidden_block_count_x
      - .offset:         148
        .size:           4
        .value_kind:     hidden_block_count_y
      - .offset:         152
        .size:           4
        .value_kind:     hidden_block_count_z
      - .offset:         156
        .size:           2
        .value_kind:     hidden_group_size_x
      - .offset:         158
        .size:           2
        .value_kind:     hidden_group_size_y
      - .offset:         160
        .size:           2
        .value_kind:     hidden_group_size_z
      - .offset:         162
        .size:           2
        .value_kind:     hidden_remainder_x
      - .offset:         164
        .size:           2
        .value_kind:     hidden_remainder_y
      - .offset:         166
        .size:           2
        .value_kind:     hidden_remainder_z
      - .offset:         184
        .size:           8
        .value_kind:     hidden_global_offset_x
      - .offset:         192
        .size:           8
        .value_kind:     hidden_global_offset_y
      - .offset:         200
        .size:           8
        .value_kind:     hidden_global_offset_z
      - .offset:         208
        .size:           2
        .value_kind:     hidden_grid_dims
      - .offset:         264
        .size:           4
        .value_kind:     hidden_dynamic_lds_size
    .group_segment_fixed_size: 144
    .kernarg_segment_align: 8
    .kernarg_segment_size: 400
    .language:       OpenCL C
    .language_version:
      - 2
      - 0
    .max_flat_workgroup_size: 1024
    .name:           _ZN4vllm25paged_attention_v2_kernelIffLi32ELi32ELi128ELNS_18Fp8KVCacheDataTypeE0ELb0ELi512EEEvPfS2_PT_PKS3_PKT0_S9_ifPKiSB_iPKfiiiSD_SD_iiiii
    .private_segment_fixed_size: 0
    .sgpr_count:     46
    .sgpr_spill_count: 0
    .symbol:         _ZN4vllm25paged_attention_v2_kernelIffLi32ELi32ELi128ELNS_18Fp8KVCacheDataTypeE0ELb0ELi512EEEvPfS2_PT_PKS3_PKT0_S9_ifPKiSB_iPKfiiiSD_SD_iiiii.kd
    .uniform_work_group_size: 1
    .uses_dynamic_stack: false
    .vgpr_count:     50
    .vgpr_spill_count: 0
    .wavefront_size: 64
  - .agpr_count:     0
    .args:
      - .actual_access:  write_only
        .address_space:  global
        .offset:         0
        .size:           8
        .value_kind:     global_buffer
      - .actual_access:  write_only
        .address_space:  global
        .offset:         8
        .size:           8
        .value_kind:     global_buffer
      - .actual_access:  write_only
        .address_space:  global
        .offset:         16
        .size:           8
        .value_kind:     global_buffer
      - .actual_access:  read_only
        .address_space:  global
        .offset:         24
        .size:           8
        .value_kind:     global_buffer
      - .actual_access:  read_only
        .address_space:  global
        .offset:         32
        .size:           8
        .value_kind:     global_buffer
      - .actual_access:  read_only
        .address_space:  global
        .offset:         40
        .size:           8
        .value_kind:     global_buffer
      - .offset:         48
        .size:           4
        .value_kind:     by_value
      - .offset:         52
        .size:           4
        .value_kind:     by_value
      - .actual_access:  read_only
        .address_space:  global
        .offset:         56
        .size:           8
        .value_kind:     global_buffer
      - .actual_access:  read_only
        .address_space:  global
        .offset:         64
        .size:           8
        .value_kind:     global_buffer
      - .offset:         72
        .size:           4
        .value_kind:     by_value
      - .actual_access:  read_only
        .address_space:  global
        .offset:         80
        .size:           8
        .value_kind:     global_buffer
      - .offset:         88
        .size:           4
        .value_kind:     by_value
      - .offset:         92
        .size:           4
        .value_kind:     by_value
      - .offset:         96
        .size:           4
        .value_kind:     by_value
      - .address_space:  global
        .offset:         104
        .size:           8
        .value_kind:     global_buffer
      - .address_space:  global
        .offset:         112
        .size:           8
        .value_kind:     global_buffer
      - .offset:         120
        .size:           4
        .value_kind:     by_value
      - .offset:         124
        .size:           4
        .value_kind:     by_value
      - .offset:         128
        .size:           4
        .value_kind:     by_value
      - .offset:         132
        .size:           4
        .value_kind:     by_value
      - .offset:         136
        .size:           4
        .value_kind:     by_value
      - .offset:         144
        .size:           4
        .value_kind:     hidden_block_count_x
      - .offset:         148
        .size:           4
        .value_kind:     hidden_block_count_y
      - .offset:         152
        .size:           4
        .value_kind:     hidden_block_count_z
      - .offset:         156
        .size:           2
        .value_kind:     hidden_group_size_x
      - .offset:         158
        .size:           2
        .value_kind:     hidden_group_size_y
      - .offset:         160
        .size:           2
        .value_kind:     hidden_group_size_z
      - .offset:         162
        .size:           2
        .value_kind:     hidden_remainder_x
      - .offset:         164
        .size:           2
        .value_kind:     hidden_remainder_y
      - .offset:         166
        .size:           2
        .value_kind:     hidden_remainder_z
      - .offset:         184
        .size:           8
        .value_kind:     hidden_global_offset_x
      - .offset:         192
        .size:           8
        .value_kind:     hidden_global_offset_y
      - .offset:         200
        .size:           8
        .value_kind:     hidden_global_offset_z
      - .offset:         208
        .size:           2
        .value_kind:     hidden_grid_dims
      - .offset:         264
        .size:           4
        .value_kind:     hidden_dynamic_lds_size
    .group_segment_fixed_size: 272
    .kernarg_segment_align: 8
    .kernarg_segment_size: 400
    .language:       OpenCL C
    .language_version:
      - 2
      - 0
    .max_flat_workgroup_size: 1024
    .name:           _ZN4vllm25paged_attention_v2_kernelIffLi64ELi32ELi128ELNS_18Fp8KVCacheDataTypeE0ELb0ELi512EEEvPfS2_PT_PKS3_PKT0_S9_ifPKiSB_iPKfiiiSD_SD_iiiii
    .private_segment_fixed_size: 0
    .sgpr_count:     47
    .sgpr_spill_count: 0
    .symbol:         _ZN4vllm25paged_attention_v2_kernelIffLi64ELi32ELi128ELNS_18Fp8KVCacheDataTypeE0ELb0ELi512EEEvPfS2_PT_PKS3_PKT0_S9_ifPKiSB_iPKfiiiSD_SD_iiiii.kd
    .uniform_work_group_size: 1
    .uses_dynamic_stack: false
    .vgpr_count:     78
    .vgpr_spill_count: 0
    .wavefront_size: 64
  - .agpr_count:     0
    .args:
      - .actual_access:  write_only
        .address_space:  global
        .offset:         0
        .size:           8
        .value_kind:     global_buffer
      - .actual_access:  write_only
        .address_space:  global
        .offset:         8
        .size:           8
        .value_kind:     global_buffer
      - .actual_access:  write_only
        .address_space:  global
        .offset:         16
        .size:           8
        .value_kind:     global_buffer
      - .actual_access:  read_only
        .address_space:  global
        .offset:         24
        .size:           8
        .value_kind:     global_buffer
      - .actual_access:  read_only
        .address_space:  global
        .offset:         32
        .size:           8
        .value_kind:     global_buffer
      - .actual_access:  read_only
        .address_space:  global
        .offset:         40
        .size:           8
        .value_kind:     global_buffer
      - .offset:         48
        .size:           4
        .value_kind:     by_value
      - .offset:         52
        .size:           4
        .value_kind:     by_value
      - .actual_access:  read_only
        .address_space:  global
        .offset:         56
        .size:           8
        .value_kind:     global_buffer
      - .actual_access:  read_only
        .address_space:  global
        .offset:         64
        .size:           8
        .value_kind:     global_buffer
      - .offset:         72
        .size:           4
        .value_kind:     by_value
      - .actual_access:  read_only
        .address_space:  global
        .offset:         80
        .size:           8
        .value_kind:     global_buffer
      - .offset:         88
        .size:           4
        .value_kind:     by_value
      - .offset:         92
        .size:           4
        .value_kind:     by_value
      - .offset:         96
        .size:           4
        .value_kind:     by_value
      - .address_space:  global
        .offset:         104
        .size:           8
        .value_kind:     global_buffer
      - .address_space:  global
        .offset:         112
        .size:           8
        .value_kind:     global_buffer
      - .offset:         120
        .size:           4
        .value_kind:     by_value
      - .offset:         124
        .size:           4
        .value_kind:     by_value
      - .offset:         128
        .size:           4
        .value_kind:     by_value
      - .offset:         132
        .size:           4
        .value_kind:     by_value
      - .offset:         136
        .size:           4
        .value_kind:     by_value
      - .offset:         144
        .size:           4
        .value_kind:     hidden_block_count_x
      - .offset:         148
        .size:           4
        .value_kind:     hidden_block_count_y
      - .offset:         152
        .size:           4
        .value_kind:     hidden_block_count_z
      - .offset:         156
        .size:           2
        .value_kind:     hidden_group_size_x
      - .offset:         158
        .size:           2
        .value_kind:     hidden_group_size_y
      - .offset:         160
        .size:           2
        .value_kind:     hidden_group_size_z
      - .offset:         162
        .size:           2
        .value_kind:     hidden_remainder_x
      - .offset:         164
        .size:           2
        .value_kind:     hidden_remainder_y
      - .offset:         166
        .size:           2
        .value_kind:     hidden_remainder_z
      - .offset:         184
        .size:           8
        .value_kind:     hidden_global_offset_x
      - .offset:         192
        .size:           8
        .value_kind:     hidden_global_offset_y
      - .offset:         200
        .size:           8
        .value_kind:     hidden_global_offset_z
      - .offset:         208
        .size:           2
        .value_kind:     hidden_grid_dims
      - .offset:         264
        .size:           4
        .value_kind:     hidden_dynamic_lds_size
    .group_segment_fixed_size: 336
    .kernarg_segment_align: 8
    .kernarg_segment_size: 400
    .language:       OpenCL C
    .language_version:
      - 2
      - 0
    .max_flat_workgroup_size: 1024
    .name:           _ZN4vllm25paged_attention_v2_kernelIffLi80ELi32ELi128ELNS_18Fp8KVCacheDataTypeE0ELb0ELi512EEEvPfS2_PT_PKS3_PKT0_S9_ifPKiSB_iPKfiiiSD_SD_iiiii
    .private_segment_fixed_size: 0
    .sgpr_count:     48
    .sgpr_spill_count: 0
    .symbol:         _ZN4vllm25paged_attention_v2_kernelIffLi80ELi32ELi128ELNS_18Fp8KVCacheDataTypeE0ELb0ELi512EEEvPfS2_PT_PKS3_PKT0_S9_ifPKiSB_iPKfiiiSD_SD_iiiii.kd
    .uniform_work_group_size: 1
    .uses_dynamic_stack: false
    .vgpr_count:     88
    .vgpr_spill_count: 0
    .wavefront_size: 64
  - .agpr_count:     0
    .args:
      - .actual_access:  write_only
        .address_space:  global
        .offset:         0
        .size:           8
        .value_kind:     global_buffer
      - .actual_access:  write_only
        .address_space:  global
        .offset:         8
        .size:           8
        .value_kind:     global_buffer
      - .actual_access:  write_only
        .address_space:  global
        .offset:         16
        .size:           8
        .value_kind:     global_buffer
      - .actual_access:  read_only
        .address_space:  global
        .offset:         24
        .size:           8
        .value_kind:     global_buffer
      - .actual_access:  read_only
        .address_space:  global
        .offset:         32
        .size:           8
        .value_kind:     global_buffer
      - .actual_access:  read_only
        .address_space:  global
        .offset:         40
        .size:           8
        .value_kind:     global_buffer
      - .offset:         48
        .size:           4
        .value_kind:     by_value
      - .offset:         52
        .size:           4
        .value_kind:     by_value
      - .actual_access:  read_only
        .address_space:  global
        .offset:         56
        .size:           8
        .value_kind:     global_buffer
      - .actual_access:  read_only
        .address_space:  global
        .offset:         64
        .size:           8
        .value_kind:     global_buffer
      - .offset:         72
        .size:           4
        .value_kind:     by_value
      - .actual_access:  read_only
        .address_space:  global
        .offset:         80
        .size:           8
        .value_kind:     global_buffer
      - .offset:         88
        .size:           4
        .value_kind:     by_value
      - .offset:         92
        .size:           4
        .value_kind:     by_value
      - .offset:         96
        .size:           4
        .value_kind:     by_value
      - .address_space:  global
        .offset:         104
        .size:           8
        .value_kind:     global_buffer
      - .address_space:  global
        .offset:         112
        .size:           8
        .value_kind:     global_buffer
      - .offset:         120
        .size:           4
        .value_kind:     by_value
      - .offset:         124
        .size:           4
        .value_kind:     by_value
      - .offset:         128
        .size:           4
        .value_kind:     by_value
      - .offset:         132
        .size:           4
        .value_kind:     by_value
      - .offset:         136
        .size:           4
        .value_kind:     by_value
      - .offset:         144
        .size:           4
        .value_kind:     hidden_block_count_x
      - .offset:         148
        .size:           4
        .value_kind:     hidden_block_count_y
      - .offset:         152
        .size:           4
        .value_kind:     hidden_block_count_z
      - .offset:         156
        .size:           2
        .value_kind:     hidden_group_size_x
      - .offset:         158
        .size:           2
        .value_kind:     hidden_group_size_y
      - .offset:         160
        .size:           2
        .value_kind:     hidden_group_size_z
      - .offset:         162
        .size:           2
        .value_kind:     hidden_remainder_x
      - .offset:         164
        .size:           2
        .value_kind:     hidden_remainder_y
      - .offset:         166
        .size:           2
        .value_kind:     hidden_remainder_z
      - .offset:         184
        .size:           8
        .value_kind:     hidden_global_offset_x
      - .offset:         192
        .size:           8
        .value_kind:     hidden_global_offset_y
      - .offset:         200
        .size:           8
        .value_kind:     hidden_global_offset_z
      - .offset:         208
        .size:           2
        .value_kind:     hidden_grid_dims
      - .offset:         264
        .size:           4
        .value_kind:     hidden_dynamic_lds_size
    .group_segment_fixed_size: 400
    .kernarg_segment_align: 8
    .kernarg_segment_size: 400
    .language:       OpenCL C
    .language_version:
      - 2
      - 0
    .max_flat_workgroup_size: 1024
    .name:           _ZN4vllm25paged_attention_v2_kernelIffLi96ELi32ELi128ELNS_18Fp8KVCacheDataTypeE0ELb0ELi512EEEvPfS2_PT_PKS3_PKT0_S9_ifPKiSB_iPKfiiiSD_SD_iiiii
    .private_segment_fixed_size: 0
    .sgpr_count:     48
    .sgpr_spill_count: 0
    .symbol:         _ZN4vllm25paged_attention_v2_kernelIffLi96ELi32ELi128ELNS_18Fp8KVCacheDataTypeE0ELb0ELi512EEEvPfS2_PT_PKS3_PKT0_S9_ifPKiSB_iPKfiiiSD_SD_iiiii.kd
    .uniform_work_group_size: 1
    .uses_dynamic_stack: false
    .vgpr_count:     102
    .vgpr_spill_count: 0
    .wavefront_size: 64
  - .agpr_count:     0
    .args:
      - .actual_access:  write_only
        .address_space:  global
        .offset:         0
        .size:           8
        .value_kind:     global_buffer
      - .actual_access:  write_only
        .address_space:  global
        .offset:         8
        .size:           8
        .value_kind:     global_buffer
      - .actual_access:  write_only
        .address_space:  global
        .offset:         16
        .size:           8
        .value_kind:     global_buffer
      - .actual_access:  read_only
        .address_space:  global
        .offset:         24
        .size:           8
        .value_kind:     global_buffer
      - .actual_access:  read_only
        .address_space:  global
        .offset:         32
        .size:           8
        .value_kind:     global_buffer
      - .actual_access:  read_only
        .address_space:  global
        .offset:         40
        .size:           8
        .value_kind:     global_buffer
      - .offset:         48
        .size:           4
        .value_kind:     by_value
      - .offset:         52
        .size:           4
        .value_kind:     by_value
      - .actual_access:  read_only
        .address_space:  global
        .offset:         56
        .size:           8
        .value_kind:     global_buffer
      - .actual_access:  read_only
        .address_space:  global
        .offset:         64
        .size:           8
        .value_kind:     global_buffer
      - .offset:         72
        .size:           4
        .value_kind:     by_value
      - .actual_access:  read_only
        .address_space:  global
        .offset:         80
        .size:           8
        .value_kind:     global_buffer
      - .offset:         88
        .size:           4
        .value_kind:     by_value
      - .offset:         92
        .size:           4
        .value_kind:     by_value
      - .offset:         96
        .size:           4
        .value_kind:     by_value
      - .address_space:  global
        .offset:         104
        .size:           8
        .value_kind:     global_buffer
      - .address_space:  global
        .offset:         112
        .size:           8
        .value_kind:     global_buffer
      - .offset:         120
        .size:           4
        .value_kind:     by_value
      - .offset:         124
        .size:           4
        .value_kind:     by_value
      - .offset:         128
        .size:           4
        .value_kind:     by_value
      - .offset:         132
        .size:           4
        .value_kind:     by_value
      - .offset:         136
        .size:           4
        .value_kind:     by_value
      - .offset:         144
        .size:           4
        .value_kind:     hidden_block_count_x
      - .offset:         148
        .size:           4
        .value_kind:     hidden_block_count_y
      - .offset:         152
        .size:           4
        .value_kind:     hidden_block_count_z
      - .offset:         156
        .size:           2
        .value_kind:     hidden_group_size_x
      - .offset:         158
        .size:           2
        .value_kind:     hidden_group_size_y
      - .offset:         160
        .size:           2
        .value_kind:     hidden_group_size_z
      - .offset:         162
        .size:           2
        .value_kind:     hidden_remainder_x
      - .offset:         164
        .size:           2
        .value_kind:     hidden_remainder_y
      - .offset:         166
        .size:           2
        .value_kind:     hidden_remainder_z
      - .offset:         184
        .size:           8
        .value_kind:     hidden_global_offset_x
      - .offset:         192
        .size:           8
        .value_kind:     hidden_global_offset_y
      - .offset:         200
        .size:           8
        .value_kind:     hidden_global_offset_z
      - .offset:         208
        .size:           2
        .value_kind:     hidden_grid_dims
      - .offset:         264
        .size:           4
        .value_kind:     hidden_dynamic_lds_size
    .group_segment_fixed_size: 464
    .kernarg_segment_align: 8
    .kernarg_segment_size: 400
    .language:       OpenCL C
    .language_version:
      - 2
      - 0
    .max_flat_workgroup_size: 1024
    .name:           _ZN4vllm25paged_attention_v2_kernelIffLi112ELi32ELi128ELNS_18Fp8KVCacheDataTypeE0ELb0ELi512EEEvPfS2_PT_PKS3_PKT0_S9_ifPKiSB_iPKfiiiSD_SD_iiiii
    .private_segment_fixed_size: 0
    .sgpr_count:     49
    .sgpr_spill_count: 0
    .symbol:         _ZN4vllm25paged_attention_v2_kernelIffLi112ELi32ELi128ELNS_18Fp8KVCacheDataTypeE0ELb0ELi512EEEvPfS2_PT_PKS3_PKT0_S9_ifPKiSB_iPKfiiiSD_SD_iiiii.kd
    .uniform_work_group_size: 1
    .uses_dynamic_stack: false
    .vgpr_count:     100
    .vgpr_spill_count: 0
    .wavefront_size: 64
  - .agpr_count:     0
    .args:
      - .actual_access:  write_only
        .address_space:  global
        .offset:         0
        .size:           8
        .value_kind:     global_buffer
      - .actual_access:  write_only
        .address_space:  global
        .offset:         8
        .size:           8
        .value_kind:     global_buffer
      - .actual_access:  write_only
        .address_space:  global
        .offset:         16
        .size:           8
        .value_kind:     global_buffer
      - .actual_access:  read_only
        .address_space:  global
        .offset:         24
        .size:           8
        .value_kind:     global_buffer
      - .actual_access:  read_only
        .address_space:  global
        .offset:         32
        .size:           8
        .value_kind:     global_buffer
      - .actual_access:  read_only
        .address_space:  global
        .offset:         40
        .size:           8
        .value_kind:     global_buffer
      - .offset:         48
        .size:           4
        .value_kind:     by_value
      - .offset:         52
        .size:           4
        .value_kind:     by_value
      - .actual_access:  read_only
        .address_space:  global
        .offset:         56
        .size:           8
        .value_kind:     global_buffer
      - .actual_access:  read_only
        .address_space:  global
        .offset:         64
        .size:           8
        .value_kind:     global_buffer
      - .offset:         72
        .size:           4
        .value_kind:     by_value
      - .actual_access:  read_only
        .address_space:  global
        .offset:         80
        .size:           8
        .value_kind:     global_buffer
      - .offset:         88
        .size:           4
        .value_kind:     by_value
      - .offset:         92
        .size:           4
        .value_kind:     by_value
      - .offset:         96
        .size:           4
        .value_kind:     by_value
      - .address_space:  global
        .offset:         104
        .size:           8
        .value_kind:     global_buffer
      - .address_space:  global
        .offset:         112
        .size:           8
        .value_kind:     global_buffer
      - .offset:         120
        .size:           4
        .value_kind:     by_value
      - .offset:         124
        .size:           4
        .value_kind:     by_value
      - .offset:         128
        .size:           4
        .value_kind:     by_value
      - .offset:         132
        .size:           4
        .value_kind:     by_value
      - .offset:         136
        .size:           4
        .value_kind:     by_value
      - .offset:         144
        .size:           4
        .value_kind:     hidden_block_count_x
      - .offset:         148
        .size:           4
        .value_kind:     hidden_block_count_y
      - .offset:         152
        .size:           4
        .value_kind:     hidden_block_count_z
      - .offset:         156
        .size:           2
        .value_kind:     hidden_group_size_x
      - .offset:         158
        .size:           2
        .value_kind:     hidden_group_size_y
      - .offset:         160
        .size:           2
        .value_kind:     hidden_group_size_z
      - .offset:         162
        .size:           2
        .value_kind:     hidden_remainder_x
      - .offset:         164
        .size:           2
        .value_kind:     hidden_remainder_y
      - .offset:         166
        .size:           2
        .value_kind:     hidden_remainder_z
      - .offset:         184
        .size:           8
        .value_kind:     hidden_global_offset_x
      - .offset:         192
        .size:           8
        .value_kind:     hidden_global_offset_y
      - .offset:         200
        .size:           8
        .value_kind:     hidden_global_offset_z
      - .offset:         208
        .size:           2
        .value_kind:     hidden_grid_dims
      - .offset:         264
        .size:           4
        .value_kind:     hidden_dynamic_lds_size
    .group_segment_fixed_size: 496
    .kernarg_segment_align: 8
    .kernarg_segment_size: 400
    .language:       OpenCL C
    .language_version:
      - 2
      - 0
    .max_flat_workgroup_size: 1024
    .name:           _ZN4vllm25paged_attention_v2_kernelIffLi120ELi32ELi128ELNS_18Fp8KVCacheDataTypeE0ELb0ELi512EEEvPfS2_PT_PKS3_PKT0_S9_ifPKiSB_iPKfiiiSD_SD_iiiii
    .private_segment_fixed_size: 0
    .sgpr_count:     51
    .sgpr_spill_count: 0
    .symbol:         _ZN4vllm25paged_attention_v2_kernelIffLi120ELi32ELi128ELNS_18Fp8KVCacheDataTypeE0ELb0ELi512EEEvPfS2_PT_PKS3_PKT0_S9_ifPKiSB_iPKfiiiSD_SD_iiiii.kd
    .uniform_work_group_size: 1
    .uses_dynamic_stack: false
    .vgpr_count:     106
    .vgpr_spill_count: 0
    .wavefront_size: 64
  - .agpr_count:     0
    .args:
      - .actual_access:  write_only
        .address_space:  global
        .offset:         0
        .size:           8
        .value_kind:     global_buffer
      - .actual_access:  write_only
        .address_space:  global
        .offset:         8
        .size:           8
        .value_kind:     global_buffer
      - .actual_access:  write_only
        .address_space:  global
        .offset:         16
        .size:           8
        .value_kind:     global_buffer
      - .actual_access:  read_only
        .address_space:  global
        .offset:         24
        .size:           8
        .value_kind:     global_buffer
      - .actual_access:  read_only
        .address_space:  global
        .offset:         32
        .size:           8
        .value_kind:     global_buffer
      - .actual_access:  read_only
        .address_space:  global
        .offset:         40
        .size:           8
        .value_kind:     global_buffer
      - .offset:         48
        .size:           4
        .value_kind:     by_value
      - .offset:         52
        .size:           4
        .value_kind:     by_value
      - .actual_access:  read_only
        .address_space:  global
        .offset:         56
        .size:           8
        .value_kind:     global_buffer
      - .actual_access:  read_only
        .address_space:  global
        .offset:         64
        .size:           8
        .value_kind:     global_buffer
      - .offset:         72
        .size:           4
        .value_kind:     by_value
      - .actual_access:  read_only
        .address_space:  global
        .offset:         80
        .size:           8
        .value_kind:     global_buffer
      - .offset:         88
        .size:           4
        .value_kind:     by_value
      - .offset:         92
        .size:           4
        .value_kind:     by_value
      - .offset:         96
        .size:           4
        .value_kind:     by_value
      - .address_space:  global
        .offset:         104
        .size:           8
        .value_kind:     global_buffer
      - .address_space:  global
        .offset:         112
        .size:           8
        .value_kind:     global_buffer
      - .offset:         120
        .size:           4
        .value_kind:     by_value
      - .offset:         124
        .size:           4
        .value_kind:     by_value
      - .offset:         128
        .size:           4
        .value_kind:     by_value
      - .offset:         132
        .size:           4
        .value_kind:     by_value
      - .offset:         136
        .size:           4
        .value_kind:     by_value
      - .offset:         144
        .size:           4
        .value_kind:     hidden_block_count_x
      - .offset:         148
        .size:           4
        .value_kind:     hidden_block_count_y
      - .offset:         152
        .size:           4
        .value_kind:     hidden_block_count_z
      - .offset:         156
        .size:           2
        .value_kind:     hidden_group_size_x
      - .offset:         158
        .size:           2
        .value_kind:     hidden_group_size_y
      - .offset:         160
        .size:           2
        .value_kind:     hidden_group_size_z
      - .offset:         162
        .size:           2
        .value_kind:     hidden_remainder_x
      - .offset:         164
        .size:           2
        .value_kind:     hidden_remainder_y
      - .offset:         166
        .size:           2
        .value_kind:     hidden_remainder_z
      - .offset:         184
        .size:           8
        .value_kind:     hidden_global_offset_x
      - .offset:         192
        .size:           8
        .value_kind:     hidden_global_offset_y
      - .offset:         200
        .size:           8
        .value_kind:     hidden_global_offset_z
      - .offset:         208
        .size:           2
        .value_kind:     hidden_grid_dims
      - .offset:         264
        .size:           4
        .value_kind:     hidden_dynamic_lds_size
    .group_segment_fixed_size: 528
    .kernarg_segment_align: 8
    .kernarg_segment_size: 400
    .language:       OpenCL C
    .language_version:
      - 2
      - 0
    .max_flat_workgroup_size: 1024
    .name:           _ZN4vllm25paged_attention_v2_kernelIffLi128ELi32ELi128ELNS_18Fp8KVCacheDataTypeE0ELb0ELi512EEEvPfS2_PT_PKS3_PKT0_S9_ifPKiSB_iPKfiiiSD_SD_iiiii
    .private_segment_fixed_size: 0
    .sgpr_count:     53
    .sgpr_spill_count: 0
    .symbol:         _ZN4vllm25paged_attention_v2_kernelIffLi128ELi32ELi128ELNS_18Fp8KVCacheDataTypeE0ELb0ELi512EEEvPfS2_PT_PKS3_PKT0_S9_ifPKiSB_iPKfiiiSD_SD_iiiii.kd
    .uniform_work_group_size: 1
    .uses_dynamic_stack: false
    .vgpr_count:     112
    .vgpr_spill_count: 0
    .wavefront_size: 64
  - .agpr_count:     0
    .args:
      - .actual_access:  write_only
        .address_space:  global
        .offset:         0
        .size:           8
        .value_kind:     global_buffer
      - .actual_access:  write_only
        .address_space:  global
        .offset:         8
        .size:           8
        .value_kind:     global_buffer
      - .actual_access:  write_only
        .address_space:  global
        .offset:         16
        .size:           8
        .value_kind:     global_buffer
      - .actual_access:  read_only
        .address_space:  global
        .offset:         24
        .size:           8
        .value_kind:     global_buffer
      - .actual_access:  read_only
        .address_space:  global
        .offset:         32
        .size:           8
        .value_kind:     global_buffer
      - .actual_access:  read_only
        .address_space:  global
        .offset:         40
        .size:           8
        .value_kind:     global_buffer
      - .offset:         48
        .size:           4
        .value_kind:     by_value
      - .offset:         52
        .size:           4
        .value_kind:     by_value
      - .actual_access:  read_only
        .address_space:  global
        .offset:         56
        .size:           8
        .value_kind:     global_buffer
      - .actual_access:  read_only
        .address_space:  global
        .offset:         64
        .size:           8
        .value_kind:     global_buffer
      - .offset:         72
        .size:           4
        .value_kind:     by_value
      - .actual_access:  read_only
        .address_space:  global
        .offset:         80
        .size:           8
        .value_kind:     global_buffer
      - .offset:         88
        .size:           4
        .value_kind:     by_value
      - .offset:         92
        .size:           4
        .value_kind:     by_value
      - .offset:         96
        .size:           4
        .value_kind:     by_value
      - .address_space:  global
        .offset:         104
        .size:           8
        .value_kind:     global_buffer
      - .address_space:  global
        .offset:         112
        .size:           8
        .value_kind:     global_buffer
      - .offset:         120
        .size:           4
        .value_kind:     by_value
      - .offset:         124
        .size:           4
        .value_kind:     by_value
      - .offset:         128
        .size:           4
        .value_kind:     by_value
      - .offset:         132
        .size:           4
        .value_kind:     by_value
      - .offset:         136
        .size:           4
        .value_kind:     by_value
      - .offset:         144
        .size:           4
        .value_kind:     hidden_block_count_x
      - .offset:         148
        .size:           4
        .value_kind:     hidden_block_count_y
      - .offset:         152
        .size:           4
        .value_kind:     hidden_block_count_z
      - .offset:         156
        .size:           2
        .value_kind:     hidden_group_size_x
      - .offset:         158
        .size:           2
        .value_kind:     hidden_group_size_y
      - .offset:         160
        .size:           2
        .value_kind:     hidden_group_size_z
      - .offset:         162
        .size:           2
        .value_kind:     hidden_remainder_x
      - .offset:         164
        .size:           2
        .value_kind:     hidden_remainder_y
      - .offset:         166
        .size:           2
        .value_kind:     hidden_remainder_z
      - .offset:         184
        .size:           8
        .value_kind:     hidden_global_offset_x
      - .offset:         192
        .size:           8
        .value_kind:     hidden_global_offset_y
      - .offset:         200
        .size:           8
        .value_kind:     hidden_global_offset_z
      - .offset:         208
        .size:           2
        .value_kind:     hidden_grid_dims
      - .offset:         264
        .size:           4
        .value_kind:     hidden_dynamic_lds_size
    .group_segment_fixed_size: 784
    .kernarg_segment_align: 8
    .kernarg_segment_size: 400
    .language:       OpenCL C
    .language_version:
      - 2
      - 0
    .max_flat_workgroup_size: 1024
    .name:           _ZN4vllm25paged_attention_v2_kernelIffLi192ELi32ELi128ELNS_18Fp8KVCacheDataTypeE0ELb0ELi512EEEvPfS2_PT_PKS3_PKT0_S9_ifPKiSB_iPKfiiiSD_SD_iiiii
    .private_segment_fixed_size: 144
    .sgpr_count:     64
    .sgpr_spill_count: 0
    .symbol:         _ZN4vllm25paged_attention_v2_kernelIffLi192ELi32ELi128ELNS_18Fp8KVCacheDataTypeE0ELb0ELi512EEEvPfS2_PT_PKS3_PKT0_S9_ifPKiSB_iPKfiiiSD_SD_iiiii.kd
    .uniform_work_group_size: 1
    .uses_dynamic_stack: false
    .vgpr_count:     128
    .vgpr_spill_count: 44
    .wavefront_size: 64
  - .agpr_count:     0
    .args:
      - .actual_access:  write_only
        .address_space:  global
        .offset:         0
        .size:           8
        .value_kind:     global_buffer
      - .actual_access:  write_only
        .address_space:  global
        .offset:         8
        .size:           8
        .value_kind:     global_buffer
      - .actual_access:  write_only
        .address_space:  global
        .offset:         16
        .size:           8
        .value_kind:     global_buffer
      - .actual_access:  read_only
        .address_space:  global
        .offset:         24
        .size:           8
        .value_kind:     global_buffer
      - .actual_access:  read_only
        .address_space:  global
        .offset:         32
        .size:           8
        .value_kind:     global_buffer
      - .actual_access:  read_only
        .address_space:  global
        .offset:         40
        .size:           8
        .value_kind:     global_buffer
      - .offset:         48
        .size:           4
        .value_kind:     by_value
      - .offset:         52
        .size:           4
        .value_kind:     by_value
      - .actual_access:  read_only
        .address_space:  global
        .offset:         56
        .size:           8
        .value_kind:     global_buffer
      - .actual_access:  read_only
        .address_space:  global
        .offset:         64
        .size:           8
        .value_kind:     global_buffer
      - .offset:         72
        .size:           4
        .value_kind:     by_value
      - .actual_access:  read_only
        .address_space:  global
        .offset:         80
        .size:           8
        .value_kind:     global_buffer
      - .offset:         88
        .size:           4
        .value_kind:     by_value
      - .offset:         92
        .size:           4
        .value_kind:     by_value
      - .offset:         96
        .size:           4
        .value_kind:     by_value
      - .address_space:  global
        .offset:         104
        .size:           8
        .value_kind:     global_buffer
      - .address_space:  global
        .offset:         112
        .size:           8
        .value_kind:     global_buffer
      - .offset:         120
        .size:           4
        .value_kind:     by_value
      - .offset:         124
        .size:           4
        .value_kind:     by_value
      - .offset:         128
        .size:           4
        .value_kind:     by_value
      - .offset:         132
        .size:           4
        .value_kind:     by_value
      - .offset:         136
        .size:           4
        .value_kind:     by_value
      - .offset:         144
        .size:           4
        .value_kind:     hidden_block_count_x
      - .offset:         148
        .size:           4
        .value_kind:     hidden_block_count_y
      - .offset:         152
        .size:           4
        .value_kind:     hidden_block_count_z
      - .offset:         156
        .size:           2
        .value_kind:     hidden_group_size_x
      - .offset:         158
        .size:           2
        .value_kind:     hidden_group_size_y
      - .offset:         160
        .size:           2
        .value_kind:     hidden_group_size_z
      - .offset:         162
        .size:           2
        .value_kind:     hidden_remainder_x
      - .offset:         164
        .size:           2
        .value_kind:     hidden_remainder_y
      - .offset:         166
        .size:           2
        .value_kind:     hidden_remainder_z
      - .offset:         184
        .size:           8
        .value_kind:     hidden_global_offset_x
      - .offset:         192
        .size:           8
        .value_kind:     hidden_global_offset_y
      - .offset:         200
        .size:           8
        .value_kind:     hidden_global_offset_z
      - .offset:         208
        .size:           2
        .value_kind:     hidden_grid_dims
      - .offset:         264
        .size:           4
        .value_kind:     hidden_dynamic_lds_size
    .group_segment_fixed_size: 1040
    .kernarg_segment_align: 8
    .kernarg_segment_size: 400
    .language:       OpenCL C
    .language_version:
      - 2
      - 0
    .max_flat_workgroup_size: 1024
    .name:           _ZN4vllm25paged_attention_v2_kernelIffLi256ELi32ELi128ELNS_18Fp8KVCacheDataTypeE0ELb0ELi512EEEvPfS2_PT_PKS3_PKT0_S9_ifPKiSB_iPKfiiiSD_SD_iiiii
    .private_segment_fixed_size: 360
    .sgpr_count:     60
    .sgpr_spill_count: 0
    .symbol:         _ZN4vllm25paged_attention_v2_kernelIffLi256ELi32ELi128ELNS_18Fp8KVCacheDataTypeE0ELb0ELi512EEEvPfS2_PT_PKS3_PKT0_S9_ifPKiSB_iPKfiiiSD_SD_iiiii.kd
    .uniform_work_group_size: 1
    .uses_dynamic_stack: false
    .vgpr_count:     128
    .vgpr_spill_count: 162
    .wavefront_size: 64
  - .agpr_count:     0
    .args:
      - .actual_access:  write_only
        .address_space:  global
        .offset:         0
        .size:           8
        .value_kind:     global_buffer
      - .actual_access:  write_only
        .address_space:  global
        .offset:         8
        .size:           8
        .value_kind:     global_buffer
      - .actual_access:  write_only
        .address_space:  global
        .offset:         16
        .size:           8
        .value_kind:     global_buffer
      - .actual_access:  read_only
        .address_space:  global
        .offset:         24
        .size:           8
        .value_kind:     global_buffer
      - .actual_access:  read_only
        .address_space:  global
        .offset:         32
        .size:           8
        .value_kind:     global_buffer
      - .actual_access:  read_only
        .address_space:  global
        .offset:         40
        .size:           8
        .value_kind:     global_buffer
      - .offset:         48
        .size:           4
        .value_kind:     by_value
      - .offset:         52
        .size:           4
        .value_kind:     by_value
      - .actual_access:  read_only
        .address_space:  global
        .offset:         56
        .size:           8
        .value_kind:     global_buffer
      - .actual_access:  read_only
        .address_space:  global
        .offset:         64
        .size:           8
        .value_kind:     global_buffer
      - .offset:         72
        .size:           4
        .value_kind:     by_value
      - .actual_access:  read_only
        .address_space:  global
        .offset:         80
        .size:           8
        .value_kind:     global_buffer
      - .offset:         88
        .size:           4
        .value_kind:     by_value
      - .offset:         92
        .size:           4
        .value_kind:     by_value
      - .offset:         96
        .size:           4
        .value_kind:     by_value
      - .address_space:  global
        .offset:         104
        .size:           8
        .value_kind:     global_buffer
      - .address_space:  global
        .offset:         112
        .size:           8
        .value_kind:     global_buffer
      - .offset:         120
        .size:           4
        .value_kind:     by_value
      - .offset:         124
        .size:           4
        .value_kind:     by_value
      - .offset:         128
        .size:           4
        .value_kind:     by_value
      - .offset:         132
        .size:           4
        .value_kind:     by_value
      - .offset:         136
        .size:           4
        .value_kind:     by_value
      - .offset:         144
        .size:           4
        .value_kind:     hidden_block_count_x
      - .offset:         148
        .size:           4
        .value_kind:     hidden_block_count_y
      - .offset:         152
        .size:           4
        .value_kind:     hidden_block_count_z
      - .offset:         156
        .size:           2
        .value_kind:     hidden_group_size_x
      - .offset:         158
        .size:           2
        .value_kind:     hidden_group_size_y
      - .offset:         160
        .size:           2
        .value_kind:     hidden_group_size_z
      - .offset:         162
        .size:           2
        .value_kind:     hidden_remainder_x
      - .offset:         164
        .size:           2
        .value_kind:     hidden_remainder_y
      - .offset:         166
        .size:           2
        .value_kind:     hidden_remainder_z
      - .offset:         184
        .size:           8
        .value_kind:     hidden_global_offset_x
      - .offset:         192
        .size:           8
        .value_kind:     hidden_global_offset_y
      - .offset:         200
        .size:           8
        .value_kind:     hidden_global_offset_z
      - .offset:         208
        .size:           2
        .value_kind:     hidden_grid_dims
      - .offset:         264
        .size:           4
        .value_kind:     hidden_dynamic_lds_size
    .group_segment_fixed_size: 80
    .kernarg_segment_align: 8
    .kernarg_segment_size: 400
    .language:       OpenCL C
    .language_version:
      - 2
      - 0
    .max_flat_workgroup_size: 1024
    .name:           _ZN4vllm25paged_attention_v2_kernelIttLi32ELi8ELi128ELNS_18Fp8KVCacheDataTypeE0ELb1ELi512EEEvPfS2_PT_PKS3_PKT0_S9_ifPKiSB_iPKfiiiSD_SD_iiiii
    .private_segment_fixed_size: 0
    .sgpr_count:     56
    .sgpr_spill_count: 0
    .symbol:         _ZN4vllm25paged_attention_v2_kernelIttLi32ELi8ELi128ELNS_18Fp8KVCacheDataTypeE0ELb1ELi512EEEvPfS2_PT_PKS3_PKT0_S9_ifPKiSB_iPKfiiiSD_SD_iiiii.kd
    .uniform_work_group_size: 1
    .uses_dynamic_stack: false
    .vgpr_count:     33
    .vgpr_spill_count: 0
    .wavefront_size: 64
  - .agpr_count:     0
    .args:
      - .actual_access:  write_only
        .address_space:  global
        .offset:         0
        .size:           8
        .value_kind:     global_buffer
      - .actual_access:  read_only
        .address_space:  global
        .offset:         8
        .size:           8
        .value_kind:     global_buffer
      - .actual_access:  read_only
        .address_space:  global
        .offset:         16
        .size:           8
        .value_kind:     global_buffer
      - .actual_access:  read_only
        .address_space:  global
        .offset:         24
        .size:           8
        .value_kind:     global_buffer
      - .actual_access:  read_only
        .address_space:  global
        .offset:         32
        .size:           8
        .value_kind:     global_buffer
      - .offset:         40
        .size:           4
        .value_kind:     by_value
      - .offset:         48
        .size:           4
        .value_kind:     hidden_block_count_x
      - .offset:         52
        .size:           4
        .value_kind:     hidden_block_count_y
      - .offset:         56
        .size:           4
        .value_kind:     hidden_block_count_z
      - .offset:         60
        .size:           2
        .value_kind:     hidden_group_size_x
      - .offset:         62
        .size:           2
        .value_kind:     hidden_group_size_y
      - .offset:         64
        .size:           2
        .value_kind:     hidden_group_size_z
      - .offset:         66
        .size:           2
        .value_kind:     hidden_remainder_x
      - .offset:         68
        .size:           2
        .value_kind:     hidden_remainder_y
      - .offset:         70
        .size:           2
        .value_kind:     hidden_remainder_z
      - .offset:         88
        .size:           8
        .value_kind:     hidden_global_offset_x
      - .offset:         96
        .size:           8
        .value_kind:     hidden_global_offset_y
      - .offset:         104
        .size:           8
        .value_kind:     hidden_global_offset_z
      - .offset:         112
        .size:           2
        .value_kind:     hidden_grid_dims
      - .offset:         168
        .size:           4
        .value_kind:     hidden_dynamic_lds_size
    .group_segment_fixed_size: 16
    .kernarg_segment_align: 8
    .kernarg_segment_size: 304
    .language:       OpenCL C
    .language_version:
      - 2
      - 0
    .max_flat_workgroup_size: 1024
    .name:           _ZN4vllm32paged_attention_v2_reduce_kernelItLi32ELi128ELi512EEEvPT_PKfS4_PKS1_PKii
    .private_segment_fixed_size: 0
    .sgpr_count:     36
    .sgpr_spill_count: 0
    .symbol:         _ZN4vllm32paged_attention_v2_reduce_kernelItLi32ELi128ELi512EEEvPT_PKfS4_PKS1_PKii.kd
    .uniform_work_group_size: 1
    .uses_dynamic_stack: false
    .vgpr_count:     24
    .vgpr_spill_count: 0
    .wavefront_size: 64
  - .agpr_count:     0
    .args:
      - .actual_access:  write_only
        .address_space:  global
        .offset:         0
        .size:           8
        .value_kind:     global_buffer
      - .actual_access:  write_only
        .address_space:  global
        .offset:         8
        .size:           8
        .value_kind:     global_buffer
      - .actual_access:  write_only
        .address_space:  global
        .offset:         16
        .size:           8
        .value_kind:     global_buffer
      - .actual_access:  read_only
        .address_space:  global
        .offset:         24
        .size:           8
        .value_kind:     global_buffer
      - .actual_access:  read_only
        .address_space:  global
        .offset:         32
        .size:           8
        .value_kind:     global_buffer
      - .actual_access:  read_only
        .address_space:  global
        .offset:         40
        .size:           8
        .value_kind:     global_buffer
      - .offset:         48
        .size:           4
        .value_kind:     by_value
      - .offset:         52
        .size:           4
        .value_kind:     by_value
      - .actual_access:  read_only
        .address_space:  global
        .offset:         56
        .size:           8
        .value_kind:     global_buffer
      - .actual_access:  read_only
        .address_space:  global
        .offset:         64
        .size:           8
        .value_kind:     global_buffer
      - .offset:         72
        .size:           4
        .value_kind:     by_value
      - .actual_access:  read_only
        .address_space:  global
        .offset:         80
        .size:           8
        .value_kind:     global_buffer
      - .offset:         88
        .size:           4
        .value_kind:     by_value
      - .offset:         92
        .size:           4
        .value_kind:     by_value
      - .offset:         96
        .size:           4
        .value_kind:     by_value
      - .address_space:  global
        .offset:         104
        .size:           8
        .value_kind:     global_buffer
      - .address_space:  global
        .offset:         112
        .size:           8
        .value_kind:     global_buffer
      - .offset:         120
        .size:           4
        .value_kind:     by_value
      - .offset:         124
        .size:           4
        .value_kind:     by_value
      - .offset:         128
        .size:           4
        .value_kind:     by_value
      - .offset:         132
        .size:           4
        .value_kind:     by_value
      - .offset:         136
        .size:           4
        .value_kind:     by_value
      - .offset:         144
        .size:           4
        .value_kind:     hidden_block_count_x
      - .offset:         148
        .size:           4
        .value_kind:     hidden_block_count_y
      - .offset:         152
        .size:           4
        .value_kind:     hidden_block_count_z
      - .offset:         156
        .size:           2
        .value_kind:     hidden_group_size_x
      - .offset:         158
        .size:           2
        .value_kind:     hidden_group_size_y
      - .offset:         160
        .size:           2
        .value_kind:     hidden_group_size_z
      - .offset:         162
        .size:           2
        .value_kind:     hidden_remainder_x
      - .offset:         164
        .size:           2
        .value_kind:     hidden_remainder_y
      - .offset:         166
        .size:           2
        .value_kind:     hidden_remainder_z
      - .offset:         184
        .size:           8
        .value_kind:     hidden_global_offset_x
      - .offset:         192
        .size:           8
        .value_kind:     hidden_global_offset_y
      - .offset:         200
        .size:           8
        .value_kind:     hidden_global_offset_z
      - .offset:         208
        .size:           2
        .value_kind:     hidden_grid_dims
      - .offset:         264
        .size:           4
        .value_kind:     hidden_dynamic_lds_size
    .group_segment_fixed_size: 144
    .kernarg_segment_align: 8
    .kernarg_segment_size: 400
    .language:       OpenCL C
    .language_version:
      - 2
      - 0
    .max_flat_workgroup_size: 1024
    .name:           _ZN4vllm25paged_attention_v2_kernelIttLi64ELi8ELi128ELNS_18Fp8KVCacheDataTypeE0ELb1ELi512EEEvPfS2_PT_PKS3_PKT0_S9_ifPKiSB_iPKfiiiSD_SD_iiiii
    .private_segment_fixed_size: 0
    .sgpr_count:     58
    .sgpr_spill_count: 0
    .symbol:         _ZN4vllm25paged_attention_v2_kernelIttLi64ELi8ELi128ELNS_18Fp8KVCacheDataTypeE0ELb1ELi512EEEvPfS2_PT_PKS3_PKT0_S9_ifPKiSB_iPKfiiiSD_SD_iiiii.kd
    .uniform_work_group_size: 1
    .uses_dynamic_stack: false
    .vgpr_count:     40
    .vgpr_spill_count: 0
    .wavefront_size: 64
  - .agpr_count:     0
    .args:
      - .actual_access:  write_only
        .address_space:  global
        .offset:         0
        .size:           8
        .value_kind:     global_buffer
      - .actual_access:  read_only
        .address_space:  global
        .offset:         8
        .size:           8
        .value_kind:     global_buffer
      - .actual_access:  read_only
        .address_space:  global
        .offset:         16
        .size:           8
        .value_kind:     global_buffer
      - .actual_access:  read_only
        .address_space:  global
        .offset:         24
        .size:           8
        .value_kind:     global_buffer
      - .actual_access:  read_only
        .address_space:  global
        .offset:         32
        .size:           8
        .value_kind:     global_buffer
      - .offset:         40
        .size:           4
        .value_kind:     by_value
      - .offset:         48
        .size:           4
        .value_kind:     hidden_block_count_x
      - .offset:         52
        .size:           4
        .value_kind:     hidden_block_count_y
      - .offset:         56
        .size:           4
        .value_kind:     hidden_block_count_z
      - .offset:         60
        .size:           2
        .value_kind:     hidden_group_size_x
      - .offset:         62
        .size:           2
        .value_kind:     hidden_group_size_y
      - .offset:         64
        .size:           2
        .value_kind:     hidden_group_size_z
      - .offset:         66
        .size:           2
        .value_kind:     hidden_remainder_x
      - .offset:         68
        .size:           2
        .value_kind:     hidden_remainder_y
      - .offset:         70
        .size:           2
        .value_kind:     hidden_remainder_z
      - .offset:         88
        .size:           8
        .value_kind:     hidden_global_offset_x
      - .offset:         96
        .size:           8
        .value_kind:     hidden_global_offset_y
      - .offset:         104
        .size:           8
        .value_kind:     hidden_global_offset_z
      - .offset:         112
        .size:           2
        .value_kind:     hidden_grid_dims
      - .offset:         168
        .size:           4
        .value_kind:     hidden_dynamic_lds_size
    .group_segment_fixed_size: 16
    .kernarg_segment_align: 8
    .kernarg_segment_size: 304
    .language:       OpenCL C
    .language_version:
      - 2
      - 0
    .max_flat_workgroup_size: 1024
    .name:           _ZN4vllm32paged_attention_v2_reduce_kernelItLi64ELi128ELi512EEEvPT_PKfS4_PKS1_PKii
    .private_segment_fixed_size: 0
    .sgpr_count:     36
    .sgpr_spill_count: 0
    .symbol:         _ZN4vllm32paged_attention_v2_reduce_kernelItLi64ELi128ELi512EEEvPT_PKfS4_PKS1_PKii.kd
    .uniform_work_group_size: 1
    .uses_dynamic_stack: false
    .vgpr_count:     24
    .vgpr_spill_count: 0
    .wavefront_size: 64
  - .agpr_count:     0
    .args:
      - .actual_access:  write_only
        .address_space:  global
        .offset:         0
        .size:           8
        .value_kind:     global_buffer
      - .actual_access:  write_only
        .address_space:  global
        .offset:         8
        .size:           8
        .value_kind:     global_buffer
      - .actual_access:  write_only
        .address_space:  global
        .offset:         16
        .size:           8
        .value_kind:     global_buffer
      - .actual_access:  read_only
        .address_space:  global
        .offset:         24
        .size:           8
        .value_kind:     global_buffer
      - .actual_access:  read_only
        .address_space:  global
        .offset:         32
        .size:           8
        .value_kind:     global_buffer
      - .actual_access:  read_only
        .address_space:  global
        .offset:         40
        .size:           8
        .value_kind:     global_buffer
      - .offset:         48
        .size:           4
        .value_kind:     by_value
      - .offset:         52
        .size:           4
        .value_kind:     by_value
      - .actual_access:  read_only
        .address_space:  global
        .offset:         56
        .size:           8
        .value_kind:     global_buffer
      - .actual_access:  read_only
        .address_space:  global
        .offset:         64
        .size:           8
        .value_kind:     global_buffer
      - .offset:         72
        .size:           4
        .value_kind:     by_value
      - .actual_access:  read_only
        .address_space:  global
        .offset:         80
        .size:           8
        .value_kind:     global_buffer
      - .offset:         88
        .size:           4
        .value_kind:     by_value
      - .offset:         92
        .size:           4
        .value_kind:     by_value
      - .offset:         96
        .size:           4
        .value_kind:     by_value
      - .address_space:  global
        .offset:         104
        .size:           8
        .value_kind:     global_buffer
      - .address_space:  global
        .offset:         112
        .size:           8
        .value_kind:     global_buffer
      - .offset:         120
        .size:           4
        .value_kind:     by_value
      - .offset:         124
        .size:           4
        .value_kind:     by_value
      - .offset:         128
        .size:           4
        .value_kind:     by_value
      - .offset:         132
        .size:           4
        .value_kind:     by_value
      - .offset:         136
        .size:           4
        .value_kind:     by_value
      - .offset:         144
        .size:           4
        .value_kind:     hidden_block_count_x
      - .offset:         148
        .size:           4
        .value_kind:     hidden_block_count_y
      - .offset:         152
        .size:           4
        .value_kind:     hidden_block_count_z
      - .offset:         156
        .size:           2
        .value_kind:     hidden_group_size_x
      - .offset:         158
        .size:           2
        .value_kind:     hidden_group_size_y
      - .offset:         160
        .size:           2
        .value_kind:     hidden_group_size_z
      - .offset:         162
        .size:           2
        .value_kind:     hidden_remainder_x
      - .offset:         164
        .size:           2
        .value_kind:     hidden_remainder_y
      - .offset:         166
        .size:           2
        .value_kind:     hidden_remainder_z
      - .offset:         184
        .size:           8
        .value_kind:     hidden_global_offset_x
      - .offset:         192
        .size:           8
        .value_kind:     hidden_global_offset_y
      - .offset:         200
        .size:           8
        .value_kind:     hidden_global_offset_z
      - .offset:         208
        .size:           2
        .value_kind:     hidden_grid_dims
      - .offset:         264
        .size:           4
        .value_kind:     hidden_dynamic_lds_size
    .group_segment_fixed_size: 176
    .kernarg_segment_align: 8
    .kernarg_segment_size: 400
    .language:       OpenCL C
    .language_version:
      - 2
      - 0
    .max_flat_workgroup_size: 1024
    .name:           _ZN4vllm25paged_attention_v2_kernelIttLi80ELi8ELi128ELNS_18Fp8KVCacheDataTypeE0ELb1ELi512EEEvPfS2_PT_PKS3_PKT0_S9_ifPKiSB_iPKfiiiSD_SD_iiiii
    .private_segment_fixed_size: 0
    .sgpr_count:     58
    .sgpr_spill_count: 0
    .symbol:         _ZN4vllm25paged_attention_v2_kernelIttLi80ELi8ELi128ELNS_18Fp8KVCacheDataTypeE0ELb1ELi512EEEvPfS2_PT_PKS3_PKT0_S9_ifPKiSB_iPKfiiiSD_SD_iiiii.kd
    .uniform_work_group_size: 1
    .uses_dynamic_stack: false
    .vgpr_count:     44
    .vgpr_spill_count: 0
    .wavefront_size: 64
  - .agpr_count:     0
    .args:
      - .actual_access:  write_only
        .address_space:  global
        .offset:         0
        .size:           8
        .value_kind:     global_buffer
      - .actual_access:  read_only
        .address_space:  global
        .offset:         8
        .size:           8
        .value_kind:     global_buffer
      - .actual_access:  read_only
        .address_space:  global
        .offset:         16
        .size:           8
        .value_kind:     global_buffer
      - .actual_access:  read_only
        .address_space:  global
        .offset:         24
        .size:           8
        .value_kind:     global_buffer
      - .actual_access:  read_only
        .address_space:  global
        .offset:         32
        .size:           8
        .value_kind:     global_buffer
      - .offset:         40
        .size:           4
        .value_kind:     by_value
      - .offset:         48
        .size:           4
        .value_kind:     hidden_block_count_x
      - .offset:         52
        .size:           4
        .value_kind:     hidden_block_count_y
      - .offset:         56
        .size:           4
        .value_kind:     hidden_block_count_z
      - .offset:         60
        .size:           2
        .value_kind:     hidden_group_size_x
      - .offset:         62
        .size:           2
        .value_kind:     hidden_group_size_y
      - .offset:         64
        .size:           2
        .value_kind:     hidden_group_size_z
      - .offset:         66
        .size:           2
        .value_kind:     hidden_remainder_x
      - .offset:         68
        .size:           2
        .value_kind:     hidden_remainder_y
      - .offset:         70
        .size:           2
        .value_kind:     hidden_remainder_z
      - .offset:         88
        .size:           8
        .value_kind:     hidden_global_offset_x
      - .offset:         96
        .size:           8
        .value_kind:     hidden_global_offset_y
      - .offset:         104
        .size:           8
        .value_kind:     hidden_global_offset_z
      - .offset:         112
        .size:           2
        .value_kind:     hidden_grid_dims
      - .offset:         168
        .size:           4
        .value_kind:     hidden_dynamic_lds_size
    .group_segment_fixed_size: 16
    .kernarg_segment_align: 8
    .kernarg_segment_size: 304
    .language:       OpenCL C
    .language_version:
      - 2
      - 0
    .max_flat_workgroup_size: 1024
    .name:           _ZN4vllm32paged_attention_v2_reduce_kernelItLi80ELi128ELi512EEEvPT_PKfS4_PKS1_PKii
    .private_segment_fixed_size: 0
    .sgpr_count:     36
    .sgpr_spill_count: 0
    .symbol:         _ZN4vllm32paged_attention_v2_reduce_kernelItLi80ELi128ELi512EEEvPT_PKfS4_PKS1_PKii.kd
    .uniform_work_group_size: 1
    .uses_dynamic_stack: false
    .vgpr_count:     24
    .vgpr_spill_count: 0
    .wavefront_size: 64
  - .agpr_count:     0
    .args:
      - .actual_access:  write_only
        .address_space:  global
        .offset:         0
        .size:           8
        .value_kind:     global_buffer
      - .actual_access:  write_only
        .address_space:  global
        .offset:         8
        .size:           8
        .value_kind:     global_buffer
      - .actual_access:  write_only
        .address_space:  global
        .offset:         16
        .size:           8
        .value_kind:     global_buffer
      - .actual_access:  read_only
        .address_space:  global
        .offset:         24
        .size:           8
        .value_kind:     global_buffer
      - .actual_access:  read_only
        .address_space:  global
        .offset:         32
        .size:           8
        .value_kind:     global_buffer
      - .actual_access:  read_only
        .address_space:  global
        .offset:         40
        .size:           8
        .value_kind:     global_buffer
      - .offset:         48
        .size:           4
        .value_kind:     by_value
      - .offset:         52
        .size:           4
        .value_kind:     by_value
      - .actual_access:  read_only
        .address_space:  global
        .offset:         56
        .size:           8
        .value_kind:     global_buffer
      - .actual_access:  read_only
        .address_space:  global
        .offset:         64
        .size:           8
        .value_kind:     global_buffer
      - .offset:         72
        .size:           4
        .value_kind:     by_value
      - .actual_access:  read_only
        .address_space:  global
        .offset:         80
        .size:           8
        .value_kind:     global_buffer
      - .offset:         88
        .size:           4
        .value_kind:     by_value
      - .offset:         92
        .size:           4
        .value_kind:     by_value
      - .offset:         96
        .size:           4
        .value_kind:     by_value
      - .address_space:  global
        .offset:         104
        .size:           8
        .value_kind:     global_buffer
      - .address_space:  global
        .offset:         112
        .size:           8
        .value_kind:     global_buffer
      - .offset:         120
        .size:           4
        .value_kind:     by_value
      - .offset:         124
        .size:           4
        .value_kind:     by_value
      - .offset:         128
        .size:           4
        .value_kind:     by_value
      - .offset:         132
        .size:           4
        .value_kind:     by_value
      - .offset:         136
        .size:           4
        .value_kind:     by_value
      - .offset:         144
        .size:           4
        .value_kind:     hidden_block_count_x
      - .offset:         148
        .size:           4
        .value_kind:     hidden_block_count_y
      - .offset:         152
        .size:           4
        .value_kind:     hidden_block_count_z
      - .offset:         156
        .size:           2
        .value_kind:     hidden_group_size_x
      - .offset:         158
        .size:           2
        .value_kind:     hidden_group_size_y
      - .offset:         160
        .size:           2
        .value_kind:     hidden_group_size_z
      - .offset:         162
        .size:           2
        .value_kind:     hidden_remainder_x
      - .offset:         164
        .size:           2
        .value_kind:     hidden_remainder_y
      - .offset:         166
        .size:           2
        .value_kind:     hidden_remainder_z
      - .offset:         184
        .size:           8
        .value_kind:     hidden_global_offset_x
      - .offset:         192
        .size:           8
        .value_kind:     hidden_global_offset_y
      - .offset:         200
        .size:           8
        .value_kind:     hidden_global_offset_z
      - .offset:         208
        .size:           2
        .value_kind:     hidden_grid_dims
      - .offset:         264
        .size:           4
        .value_kind:     hidden_dynamic_lds_size
    .group_segment_fixed_size: 208
    .kernarg_segment_align: 8
    .kernarg_segment_size: 400
    .language:       OpenCL C
    .language_version:
      - 2
      - 0
    .max_flat_workgroup_size: 1024
    .name:           _ZN4vllm25paged_attention_v2_kernelIttLi96ELi8ELi128ELNS_18Fp8KVCacheDataTypeE0ELb1ELi512EEEvPfS2_PT_PKS3_PKT0_S9_ifPKiSB_iPKfiiiSD_SD_iiiii
    .private_segment_fixed_size: 0
    .sgpr_count:     58
    .sgpr_spill_count: 0
    .symbol:         _ZN4vllm25paged_attention_v2_kernelIttLi96ELi8ELi128ELNS_18Fp8KVCacheDataTypeE0ELb1ELi512EEEvPfS2_PT_PKS3_PKT0_S9_ifPKiSB_iPKfiiiSD_SD_iiiii.kd
    .uniform_work_group_size: 1
    .uses_dynamic_stack: false
    .vgpr_count:     48
    .vgpr_spill_count: 0
    .wavefront_size: 64
  - .agpr_count:     0
    .args:
      - .actual_access:  write_only
        .address_space:  global
        .offset:         0
        .size:           8
        .value_kind:     global_buffer
      - .actual_access:  read_only
        .address_space:  global
        .offset:         8
        .size:           8
        .value_kind:     global_buffer
      - .actual_access:  read_only
        .address_space:  global
        .offset:         16
        .size:           8
        .value_kind:     global_buffer
      - .actual_access:  read_only
        .address_space:  global
        .offset:         24
        .size:           8
        .value_kind:     global_buffer
      - .actual_access:  read_only
        .address_space:  global
        .offset:         32
        .size:           8
        .value_kind:     global_buffer
      - .offset:         40
        .size:           4
        .value_kind:     by_value
      - .offset:         48
        .size:           4
        .value_kind:     hidden_block_count_x
      - .offset:         52
        .size:           4
        .value_kind:     hidden_block_count_y
      - .offset:         56
        .size:           4
        .value_kind:     hidden_block_count_z
      - .offset:         60
        .size:           2
        .value_kind:     hidden_group_size_x
      - .offset:         62
        .size:           2
        .value_kind:     hidden_group_size_y
      - .offset:         64
        .size:           2
        .value_kind:     hidden_group_size_z
      - .offset:         66
        .size:           2
        .value_kind:     hidden_remainder_x
      - .offset:         68
        .size:           2
        .value_kind:     hidden_remainder_y
      - .offset:         70
        .size:           2
        .value_kind:     hidden_remainder_z
      - .offset:         88
        .size:           8
        .value_kind:     hidden_global_offset_x
      - .offset:         96
        .size:           8
        .value_kind:     hidden_global_offset_y
      - .offset:         104
        .size:           8
        .value_kind:     hidden_global_offset_z
      - .offset:         112
        .size:           2
        .value_kind:     hidden_grid_dims
      - .offset:         168
        .size:           4
        .value_kind:     hidden_dynamic_lds_size
    .group_segment_fixed_size: 16
    .kernarg_segment_align: 8
    .kernarg_segment_size: 304
    .language:       OpenCL C
    .language_version:
      - 2
      - 0
    .max_flat_workgroup_size: 1024
    .name:           _ZN4vllm32paged_attention_v2_reduce_kernelItLi96ELi128ELi512EEEvPT_PKfS4_PKS1_PKii
    .private_segment_fixed_size: 0
    .sgpr_count:     36
    .sgpr_spill_count: 0
    .symbol:         _ZN4vllm32paged_attention_v2_reduce_kernelItLi96ELi128ELi512EEEvPT_PKfS4_PKS1_PKii.kd
    .uniform_work_group_size: 1
    .uses_dynamic_stack: false
    .vgpr_count:     24
    .vgpr_spill_count: 0
    .wavefront_size: 64
  - .agpr_count:     0
    .args:
      - .actual_access:  write_only
        .address_space:  global
        .offset:         0
        .size:           8
        .value_kind:     global_buffer
      - .actual_access:  write_only
        .address_space:  global
        .offset:         8
        .size:           8
        .value_kind:     global_buffer
      - .actual_access:  write_only
        .address_space:  global
        .offset:         16
        .size:           8
        .value_kind:     global_buffer
      - .actual_access:  read_only
        .address_space:  global
        .offset:         24
        .size:           8
        .value_kind:     global_buffer
      - .actual_access:  read_only
        .address_space:  global
        .offset:         32
        .size:           8
        .value_kind:     global_buffer
      - .actual_access:  read_only
        .address_space:  global
        .offset:         40
        .size:           8
        .value_kind:     global_buffer
      - .offset:         48
        .size:           4
        .value_kind:     by_value
      - .offset:         52
        .size:           4
        .value_kind:     by_value
      - .actual_access:  read_only
        .address_space:  global
        .offset:         56
        .size:           8
        .value_kind:     global_buffer
      - .actual_access:  read_only
        .address_space:  global
        .offset:         64
        .size:           8
        .value_kind:     global_buffer
      - .offset:         72
        .size:           4
        .value_kind:     by_value
      - .actual_access:  read_only
        .address_space:  global
        .offset:         80
        .size:           8
        .value_kind:     global_buffer
      - .offset:         88
        .size:           4
        .value_kind:     by_value
      - .offset:         92
        .size:           4
        .value_kind:     by_value
      - .offset:         96
        .size:           4
        .value_kind:     by_value
      - .address_space:  global
        .offset:         104
        .size:           8
        .value_kind:     global_buffer
      - .address_space:  global
        .offset:         112
        .size:           8
        .value_kind:     global_buffer
      - .offset:         120
        .size:           4
        .value_kind:     by_value
      - .offset:         124
        .size:           4
        .value_kind:     by_value
      - .offset:         128
        .size:           4
        .value_kind:     by_value
      - .offset:         132
        .size:           4
        .value_kind:     by_value
      - .offset:         136
        .size:           4
        .value_kind:     by_value
      - .offset:         144
        .size:           4
        .value_kind:     hidden_block_count_x
      - .offset:         148
        .size:           4
        .value_kind:     hidden_block_count_y
      - .offset:         152
        .size:           4
        .value_kind:     hidden_block_count_z
      - .offset:         156
        .size:           2
        .value_kind:     hidden_group_size_x
      - .offset:         158
        .size:           2
        .value_kind:     hidden_group_size_y
      - .offset:         160
        .size:           2
        .value_kind:     hidden_group_size_z
      - .offset:         162
        .size:           2
        .value_kind:     hidden_remainder_x
      - .offset:         164
        .size:           2
        .value_kind:     hidden_remainder_y
      - .offset:         166
        .size:           2
        .value_kind:     hidden_remainder_z
      - .offset:         184
        .size:           8
        .value_kind:     hidden_global_offset_x
      - .offset:         192
        .size:           8
        .value_kind:     hidden_global_offset_y
      - .offset:         200
        .size:           8
        .value_kind:     hidden_global_offset_z
      - .offset:         208
        .size:           2
        .value_kind:     hidden_grid_dims
      - .offset:         264
        .size:           4
        .value_kind:     hidden_dynamic_lds_size
    .group_segment_fixed_size: 240
    .kernarg_segment_align: 8
    .kernarg_segment_size: 400
    .language:       OpenCL C
    .language_version:
      - 2
      - 0
    .max_flat_workgroup_size: 1024
    .name:           _ZN4vllm25paged_attention_v2_kernelIttLi112ELi8ELi128ELNS_18Fp8KVCacheDataTypeE0ELb1ELi512EEEvPfS2_PT_PKS3_PKT0_S9_ifPKiSB_iPKfiiiSD_SD_iiiii
    .private_segment_fixed_size: 0
    .sgpr_count:     58
    .sgpr_spill_count: 0
    .symbol:         _ZN4vllm25paged_attention_v2_kernelIttLi112ELi8ELi128ELNS_18Fp8KVCacheDataTypeE0ELb1ELi512EEEvPfS2_PT_PKS3_PKT0_S9_ifPKiSB_iPKfiiiSD_SD_iiiii.kd
    .uniform_work_group_size: 1
    .uses_dynamic_stack: false
    .vgpr_count:     51
    .vgpr_spill_count: 0
    .wavefront_size: 64
  - .agpr_count:     0
    .args:
      - .actual_access:  write_only
        .address_space:  global
        .offset:         0
        .size:           8
        .value_kind:     global_buffer
      - .actual_access:  read_only
        .address_space:  global
        .offset:         8
        .size:           8
        .value_kind:     global_buffer
      - .actual_access:  read_only
        .address_space:  global
        .offset:         16
        .size:           8
        .value_kind:     global_buffer
      - .actual_access:  read_only
        .address_space:  global
        .offset:         24
        .size:           8
        .value_kind:     global_buffer
      - .actual_access:  read_only
        .address_space:  global
        .offset:         32
        .size:           8
        .value_kind:     global_buffer
      - .offset:         40
        .size:           4
        .value_kind:     by_value
      - .offset:         48
        .size:           4
        .value_kind:     hidden_block_count_x
      - .offset:         52
        .size:           4
        .value_kind:     hidden_block_count_y
      - .offset:         56
        .size:           4
        .value_kind:     hidden_block_count_z
      - .offset:         60
        .size:           2
        .value_kind:     hidden_group_size_x
      - .offset:         62
        .size:           2
        .value_kind:     hidden_group_size_y
      - .offset:         64
        .size:           2
        .value_kind:     hidden_group_size_z
      - .offset:         66
        .size:           2
        .value_kind:     hidden_remainder_x
      - .offset:         68
        .size:           2
        .value_kind:     hidden_remainder_y
      - .offset:         70
        .size:           2
        .value_kind:     hidden_remainder_z
      - .offset:         88
        .size:           8
        .value_kind:     hidden_global_offset_x
      - .offset:         96
        .size:           8
        .value_kind:     hidden_global_offset_y
      - .offset:         104
        .size:           8
        .value_kind:     hidden_global_offset_z
      - .offset:         112
        .size:           2
        .value_kind:     hidden_grid_dims
      - .offset:         168
        .size:           4
        .value_kind:     hidden_dynamic_lds_size
    .group_segment_fixed_size: 16
    .kernarg_segment_align: 8
    .kernarg_segment_size: 304
    .language:       OpenCL C
    .language_version:
      - 2
      - 0
    .max_flat_workgroup_size: 1024
    .name:           _ZN4vllm32paged_attention_v2_reduce_kernelItLi112ELi128ELi512EEEvPT_PKfS4_PKS1_PKii
    .private_segment_fixed_size: 0
    .sgpr_count:     36
    .sgpr_spill_count: 0
    .symbol:         _ZN4vllm32paged_attention_v2_reduce_kernelItLi112ELi128ELi512EEEvPT_PKfS4_PKS1_PKii.kd
    .uniform_work_group_size: 1
    .uses_dynamic_stack: false
    .vgpr_count:     24
    .vgpr_spill_count: 0
    .wavefront_size: 64
  - .agpr_count:     0
    .args:
      - .actual_access:  write_only
        .address_space:  global
        .offset:         0
        .size:           8
        .value_kind:     global_buffer
      - .actual_access:  write_only
        .address_space:  global
        .offset:         8
        .size:           8
        .value_kind:     global_buffer
      - .actual_access:  write_only
        .address_space:  global
        .offset:         16
        .size:           8
        .value_kind:     global_buffer
      - .actual_access:  read_only
        .address_space:  global
        .offset:         24
        .size:           8
        .value_kind:     global_buffer
      - .actual_access:  read_only
        .address_space:  global
        .offset:         32
        .size:           8
        .value_kind:     global_buffer
      - .actual_access:  read_only
        .address_space:  global
        .offset:         40
        .size:           8
        .value_kind:     global_buffer
      - .offset:         48
        .size:           4
        .value_kind:     by_value
      - .offset:         52
        .size:           4
        .value_kind:     by_value
      - .actual_access:  read_only
        .address_space:  global
        .offset:         56
        .size:           8
        .value_kind:     global_buffer
      - .actual_access:  read_only
        .address_space:  global
        .offset:         64
        .size:           8
        .value_kind:     global_buffer
      - .offset:         72
        .size:           4
        .value_kind:     by_value
      - .actual_access:  read_only
        .address_space:  global
        .offset:         80
        .size:           8
        .value_kind:     global_buffer
      - .offset:         88
        .size:           4
        .value_kind:     by_value
      - .offset:         92
        .size:           4
        .value_kind:     by_value
      - .offset:         96
        .size:           4
        .value_kind:     by_value
      - .address_space:  global
        .offset:         104
        .size:           8
        .value_kind:     global_buffer
      - .address_space:  global
        .offset:         112
        .size:           8
        .value_kind:     global_buffer
      - .offset:         120
        .size:           4
        .value_kind:     by_value
      - .offset:         124
        .size:           4
        .value_kind:     by_value
      - .offset:         128
        .size:           4
        .value_kind:     by_value
      - .offset:         132
        .size:           4
        .value_kind:     by_value
      - .offset:         136
        .size:           4
        .value_kind:     by_value
      - .offset:         144
        .size:           4
        .value_kind:     hidden_block_count_x
      - .offset:         148
        .size:           4
        .value_kind:     hidden_block_count_y
      - .offset:         152
        .size:           4
        .value_kind:     hidden_block_count_z
      - .offset:         156
        .size:           2
        .value_kind:     hidden_group_size_x
      - .offset:         158
        .size:           2
        .value_kind:     hidden_group_size_y
      - .offset:         160
        .size:           2
        .value_kind:     hidden_group_size_z
      - .offset:         162
        .size:           2
        .value_kind:     hidden_remainder_x
      - .offset:         164
        .size:           2
        .value_kind:     hidden_remainder_y
      - .offset:         166
        .size:           2
        .value_kind:     hidden_remainder_z
      - .offset:         184
        .size:           8
        .value_kind:     hidden_global_offset_x
      - .offset:         192
        .size:           8
        .value_kind:     hidden_global_offset_y
      - .offset:         200
        .size:           8
        .value_kind:     hidden_global_offset_z
      - .offset:         208
        .size:           2
        .value_kind:     hidden_grid_dims
      - .offset:         264
        .size:           4
        .value_kind:     hidden_dynamic_lds_size
    .group_segment_fixed_size: 256
    .kernarg_segment_align: 8
    .kernarg_segment_size: 400
    .language:       OpenCL C
    .language_version:
      - 2
      - 0
    .max_flat_workgroup_size: 1024
    .name:           _ZN4vllm25paged_attention_v2_kernelIttLi120ELi8ELi128ELNS_18Fp8KVCacheDataTypeE0ELb1ELi512EEEvPfS2_PT_PKS3_PKT0_S9_ifPKiSB_iPKfiiiSD_SD_iiiii
    .private_segment_fixed_size: 0
    .sgpr_count:     58
    .sgpr_spill_count: 0
    .symbol:         _ZN4vllm25paged_attention_v2_kernelIttLi120ELi8ELi128ELNS_18Fp8KVCacheDataTypeE0ELb1ELi512EEEvPfS2_PT_PKS3_PKT0_S9_ifPKiSB_iPKfiiiSD_SD_iiiii.kd
    .uniform_work_group_size: 1
    .uses_dynamic_stack: false
    .vgpr_count:     53
    .vgpr_spill_count: 0
    .wavefront_size: 64
  - .agpr_count:     0
    .args:
      - .actual_access:  write_only
        .address_space:  global
        .offset:         0
        .size:           8
        .value_kind:     global_buffer
      - .actual_access:  read_only
        .address_space:  global
        .offset:         8
        .size:           8
        .value_kind:     global_buffer
      - .actual_access:  read_only
        .address_space:  global
        .offset:         16
        .size:           8
        .value_kind:     global_buffer
      - .actual_access:  read_only
        .address_space:  global
        .offset:         24
        .size:           8
        .value_kind:     global_buffer
      - .actual_access:  read_only
        .address_space:  global
        .offset:         32
        .size:           8
        .value_kind:     global_buffer
      - .offset:         40
        .size:           4
        .value_kind:     by_value
      - .offset:         48
        .size:           4
        .value_kind:     hidden_block_count_x
      - .offset:         52
        .size:           4
        .value_kind:     hidden_block_count_y
      - .offset:         56
        .size:           4
        .value_kind:     hidden_block_count_z
      - .offset:         60
        .size:           2
        .value_kind:     hidden_group_size_x
      - .offset:         62
        .size:           2
        .value_kind:     hidden_group_size_y
      - .offset:         64
        .size:           2
        .value_kind:     hidden_group_size_z
      - .offset:         66
        .size:           2
        .value_kind:     hidden_remainder_x
      - .offset:         68
        .size:           2
        .value_kind:     hidden_remainder_y
      - .offset:         70
        .size:           2
        .value_kind:     hidden_remainder_z
      - .offset:         88
        .size:           8
        .value_kind:     hidden_global_offset_x
      - .offset:         96
        .size:           8
        .value_kind:     hidden_global_offset_y
      - .offset:         104
        .size:           8
        .value_kind:     hidden_global_offset_z
      - .offset:         112
        .size:           2
        .value_kind:     hidden_grid_dims
      - .offset:         168
        .size:           4
        .value_kind:     hidden_dynamic_lds_size
    .group_segment_fixed_size: 16
    .kernarg_segment_align: 8
    .kernarg_segment_size: 304
    .language:       OpenCL C
    .language_version:
      - 2
      - 0
    .max_flat_workgroup_size: 1024
    .name:           _ZN4vllm32paged_attention_v2_reduce_kernelItLi120ELi128ELi512EEEvPT_PKfS4_PKS1_PKii
    .private_segment_fixed_size: 0
    .sgpr_count:     36
    .sgpr_spill_count: 0
    .symbol:         _ZN4vllm32paged_attention_v2_reduce_kernelItLi120ELi128ELi512EEEvPT_PKfS4_PKS1_PKii.kd
    .uniform_work_group_size: 1
    .uses_dynamic_stack: false
    .vgpr_count:     24
    .vgpr_spill_count: 0
    .wavefront_size: 64
  - .agpr_count:     0
    .args:
      - .actual_access:  write_only
        .address_space:  global
        .offset:         0
        .size:           8
        .value_kind:     global_buffer
      - .actual_access:  write_only
        .address_space:  global
        .offset:         8
        .size:           8
        .value_kind:     global_buffer
      - .actual_access:  write_only
        .address_space:  global
        .offset:         16
        .size:           8
        .value_kind:     global_buffer
      - .actual_access:  read_only
        .address_space:  global
        .offset:         24
        .size:           8
        .value_kind:     global_buffer
      - .actual_access:  read_only
        .address_space:  global
        .offset:         32
        .size:           8
        .value_kind:     global_buffer
      - .actual_access:  read_only
        .address_space:  global
        .offset:         40
        .size:           8
        .value_kind:     global_buffer
      - .offset:         48
        .size:           4
        .value_kind:     by_value
      - .offset:         52
        .size:           4
        .value_kind:     by_value
      - .actual_access:  read_only
        .address_space:  global
        .offset:         56
        .size:           8
        .value_kind:     global_buffer
      - .actual_access:  read_only
        .address_space:  global
        .offset:         64
        .size:           8
        .value_kind:     global_buffer
      - .offset:         72
        .size:           4
        .value_kind:     by_value
      - .actual_access:  read_only
        .address_space:  global
        .offset:         80
        .size:           8
        .value_kind:     global_buffer
      - .offset:         88
        .size:           4
        .value_kind:     by_value
      - .offset:         92
        .size:           4
        .value_kind:     by_value
      - .offset:         96
        .size:           4
        .value_kind:     by_value
      - .address_space:  global
        .offset:         104
        .size:           8
        .value_kind:     global_buffer
      - .address_space:  global
        .offset:         112
        .size:           8
        .value_kind:     global_buffer
      - .offset:         120
        .size:           4
        .value_kind:     by_value
      - .offset:         124
        .size:           4
        .value_kind:     by_value
      - .offset:         128
        .size:           4
        .value_kind:     by_value
      - .offset:         132
        .size:           4
        .value_kind:     by_value
      - .offset:         136
        .size:           4
        .value_kind:     by_value
      - .offset:         144
        .size:           4
        .value_kind:     hidden_block_count_x
      - .offset:         148
        .size:           4
        .value_kind:     hidden_block_count_y
      - .offset:         152
        .size:           4
        .value_kind:     hidden_block_count_z
      - .offset:         156
        .size:           2
        .value_kind:     hidden_group_size_x
      - .offset:         158
        .size:           2
        .value_kind:     hidden_group_size_y
      - .offset:         160
        .size:           2
        .value_kind:     hidden_group_size_z
      - .offset:         162
        .size:           2
        .value_kind:     hidden_remainder_x
      - .offset:         164
        .size:           2
        .value_kind:     hidden_remainder_y
      - .offset:         166
        .size:           2
        .value_kind:     hidden_remainder_z
      - .offset:         184
        .size:           8
        .value_kind:     hidden_global_offset_x
      - .offset:         192
        .size:           8
        .value_kind:     hidden_global_offset_y
      - .offset:         200
        .size:           8
        .value_kind:     hidden_global_offset_z
      - .offset:         208
        .size:           2
        .value_kind:     hidden_grid_dims
      - .offset:         264
        .size:           4
        .value_kind:     hidden_dynamic_lds_size
    .group_segment_fixed_size: 272
    .kernarg_segment_align: 8
    .kernarg_segment_size: 400
    .language:       OpenCL C
    .language_version:
      - 2
      - 0
    .max_flat_workgroup_size: 1024
    .name:           _ZN4vllm25paged_attention_v2_kernelIttLi128ELi8ELi128ELNS_18Fp8KVCacheDataTypeE0ELb1ELi512EEEvPfS2_PT_PKS3_PKT0_S9_ifPKiSB_iPKfiiiSD_SD_iiiii
    .private_segment_fixed_size: 0
    .sgpr_count:     56
    .sgpr_spill_count: 0
    .symbol:         _ZN4vllm25paged_attention_v2_kernelIttLi128ELi8ELi128ELNS_18Fp8KVCacheDataTypeE0ELb1ELi512EEEvPfS2_PT_PKS3_PKT0_S9_ifPKiSB_iPKfiiiSD_SD_iiiii.kd
    .uniform_work_group_size: 1
    .uses_dynamic_stack: false
    .vgpr_count:     55
    .vgpr_spill_count: 0
    .wavefront_size: 64
  - .agpr_count:     0
    .args:
      - .actual_access:  write_only
        .address_space:  global
        .offset:         0
        .size:           8
        .value_kind:     global_buffer
      - .actual_access:  read_only
        .address_space:  global
        .offset:         8
        .size:           8
        .value_kind:     global_buffer
      - .actual_access:  read_only
        .address_space:  global
        .offset:         16
        .size:           8
        .value_kind:     global_buffer
      - .actual_access:  read_only
        .address_space:  global
        .offset:         24
        .size:           8
        .value_kind:     global_buffer
      - .actual_access:  read_only
        .address_space:  global
        .offset:         32
        .size:           8
        .value_kind:     global_buffer
      - .offset:         40
        .size:           4
        .value_kind:     by_value
      - .offset:         48
        .size:           4
        .value_kind:     hidden_block_count_x
      - .offset:         52
        .size:           4
        .value_kind:     hidden_block_count_y
      - .offset:         56
        .size:           4
        .value_kind:     hidden_block_count_z
      - .offset:         60
        .size:           2
        .value_kind:     hidden_group_size_x
      - .offset:         62
        .size:           2
        .value_kind:     hidden_group_size_y
      - .offset:         64
        .size:           2
        .value_kind:     hidden_group_size_z
      - .offset:         66
        .size:           2
        .value_kind:     hidden_remainder_x
      - .offset:         68
        .size:           2
        .value_kind:     hidden_remainder_y
      - .offset:         70
        .size:           2
        .value_kind:     hidden_remainder_z
      - .offset:         88
        .size:           8
        .value_kind:     hidden_global_offset_x
      - .offset:         96
        .size:           8
        .value_kind:     hidden_global_offset_y
      - .offset:         104
        .size:           8
        .value_kind:     hidden_global_offset_z
      - .offset:         112
        .size:           2
        .value_kind:     hidden_grid_dims
      - .offset:         168
        .size:           4
        .value_kind:     hidden_dynamic_lds_size
    .group_segment_fixed_size: 16
    .kernarg_segment_align: 8
    .kernarg_segment_size: 304
    .language:       OpenCL C
    .language_version:
      - 2
      - 0
    .max_flat_workgroup_size: 1024
    .name:           _ZN4vllm32paged_attention_v2_reduce_kernelItLi128ELi128ELi512EEEvPT_PKfS4_PKS1_PKii
    .private_segment_fixed_size: 0
    .sgpr_count:     36
    .sgpr_spill_count: 0
    .symbol:         _ZN4vllm32paged_attention_v2_reduce_kernelItLi128ELi128ELi512EEEvPT_PKfS4_PKS1_PKii.kd
    .uniform_work_group_size: 1
    .uses_dynamic_stack: false
    .vgpr_count:     24
    .vgpr_spill_count: 0
    .wavefront_size: 64
  - .agpr_count:     0
    .args:
      - .actual_access:  write_only
        .address_space:  global
        .offset:         0
        .size:           8
        .value_kind:     global_buffer
      - .actual_access:  write_only
        .address_space:  global
        .offset:         8
        .size:           8
        .value_kind:     global_buffer
      - .actual_access:  write_only
        .address_space:  global
        .offset:         16
        .size:           8
        .value_kind:     global_buffer
      - .actual_access:  read_only
        .address_space:  global
        .offset:         24
        .size:           8
        .value_kind:     global_buffer
      - .actual_access:  read_only
        .address_space:  global
        .offset:         32
        .size:           8
        .value_kind:     global_buffer
      - .actual_access:  read_only
        .address_space:  global
        .offset:         40
        .size:           8
        .value_kind:     global_buffer
      - .offset:         48
        .size:           4
        .value_kind:     by_value
      - .offset:         52
        .size:           4
        .value_kind:     by_value
      - .actual_access:  read_only
        .address_space:  global
        .offset:         56
        .size:           8
        .value_kind:     global_buffer
      - .actual_access:  read_only
        .address_space:  global
        .offset:         64
        .size:           8
        .value_kind:     global_buffer
      - .offset:         72
        .size:           4
        .value_kind:     by_value
      - .actual_access:  read_only
        .address_space:  global
        .offset:         80
        .size:           8
        .value_kind:     global_buffer
      - .offset:         88
        .size:           4
        .value_kind:     by_value
      - .offset:         92
        .size:           4
        .value_kind:     by_value
      - .offset:         96
        .size:           4
        .value_kind:     by_value
      - .address_space:  global
        .offset:         104
        .size:           8
        .value_kind:     global_buffer
      - .address_space:  global
        .offset:         112
        .size:           8
        .value_kind:     global_buffer
      - .offset:         120
        .size:           4
        .value_kind:     by_value
      - .offset:         124
        .size:           4
        .value_kind:     by_value
      - .offset:         128
        .size:           4
        .value_kind:     by_value
      - .offset:         132
        .size:           4
        .value_kind:     by_value
      - .offset:         136
        .size:           4
        .value_kind:     by_value
      - .offset:         144
        .size:           4
        .value_kind:     hidden_block_count_x
      - .offset:         148
        .size:           4
        .value_kind:     hidden_block_count_y
      - .offset:         152
        .size:           4
        .value_kind:     hidden_block_count_z
      - .offset:         156
        .size:           2
        .value_kind:     hidden_group_size_x
      - .offset:         158
        .size:           2
        .value_kind:     hidden_group_size_y
      - .offset:         160
        .size:           2
        .value_kind:     hidden_group_size_z
      - .offset:         162
        .size:           2
        .value_kind:     hidden_remainder_x
      - .offset:         164
        .size:           2
        .value_kind:     hidden_remainder_y
      - .offset:         166
        .size:           2
        .value_kind:     hidden_remainder_z
      - .offset:         184
        .size:           8
        .value_kind:     hidden_global_offset_x
      - .offset:         192
        .size:           8
        .value_kind:     hidden_global_offset_y
      - .offset:         200
        .size:           8
        .value_kind:     hidden_global_offset_z
      - .offset:         208
        .size:           2
        .value_kind:     hidden_grid_dims
      - .offset:         264
        .size:           4
        .value_kind:     hidden_dynamic_lds_size
    .group_segment_fixed_size: 400
    .kernarg_segment_align: 8
    .kernarg_segment_size: 400
    .language:       OpenCL C
    .language_version:
      - 2
      - 0
    .max_flat_workgroup_size: 1024
    .name:           _ZN4vllm25paged_attention_v2_kernelIttLi192ELi8ELi128ELNS_18Fp8KVCacheDataTypeE0ELb1ELi512EEEvPfS2_PT_PKS3_PKT0_S9_ifPKiSB_iPKfiiiSD_SD_iiiii
    .private_segment_fixed_size: 0
    .sgpr_count:     56
    .sgpr_spill_count: 0
    .symbol:         _ZN4vllm25paged_attention_v2_kernelIttLi192ELi8ELi128ELNS_18Fp8KVCacheDataTypeE0ELb1ELi512EEEvPfS2_PT_PKS3_PKT0_S9_ifPKiSB_iPKfiiiSD_SD_iiiii.kd
    .uniform_work_group_size: 1
    .uses_dynamic_stack: false
    .vgpr_count:     68
    .vgpr_spill_count: 0
    .wavefront_size: 64
  - .agpr_count:     0
    .args:
      - .actual_access:  write_only
        .address_space:  global
        .offset:         0
        .size:           8
        .value_kind:     global_buffer
      - .actual_access:  read_only
        .address_space:  global
        .offset:         8
        .size:           8
        .value_kind:     global_buffer
      - .actual_access:  read_only
        .address_space:  global
        .offset:         16
        .size:           8
        .value_kind:     global_buffer
      - .actual_access:  read_only
        .address_space:  global
        .offset:         24
        .size:           8
        .value_kind:     global_buffer
      - .actual_access:  read_only
        .address_space:  global
        .offset:         32
        .size:           8
        .value_kind:     global_buffer
      - .offset:         40
        .size:           4
        .value_kind:     by_value
      - .offset:         48
        .size:           4
        .value_kind:     hidden_block_count_x
      - .offset:         52
        .size:           4
        .value_kind:     hidden_block_count_y
      - .offset:         56
        .size:           4
        .value_kind:     hidden_block_count_z
      - .offset:         60
        .size:           2
        .value_kind:     hidden_group_size_x
      - .offset:         62
        .size:           2
        .value_kind:     hidden_group_size_y
      - .offset:         64
        .size:           2
        .value_kind:     hidden_group_size_z
      - .offset:         66
        .size:           2
        .value_kind:     hidden_remainder_x
      - .offset:         68
        .size:           2
        .value_kind:     hidden_remainder_y
      - .offset:         70
        .size:           2
        .value_kind:     hidden_remainder_z
      - .offset:         88
        .size:           8
        .value_kind:     hidden_global_offset_x
      - .offset:         96
        .size:           8
        .value_kind:     hidden_global_offset_y
      - .offset:         104
        .size:           8
        .value_kind:     hidden_global_offset_z
      - .offset:         112
        .size:           2
        .value_kind:     hidden_grid_dims
      - .offset:         168
        .size:           4
        .value_kind:     hidden_dynamic_lds_size
    .group_segment_fixed_size: 16
    .kernarg_segment_align: 8
    .kernarg_segment_size: 304
    .language:       OpenCL C
    .language_version:
      - 2
      - 0
    .max_flat_workgroup_size: 1024
    .name:           _ZN4vllm32paged_attention_v2_reduce_kernelItLi192ELi128ELi512EEEvPT_PKfS4_PKS1_PKii
    .private_segment_fixed_size: 0
    .sgpr_count:     36
    .sgpr_spill_count: 0
    .symbol:         _ZN4vllm32paged_attention_v2_reduce_kernelItLi192ELi128ELi512EEEvPT_PKfS4_PKS1_PKii.kd
    .uniform_work_group_size: 1
    .uses_dynamic_stack: false
    .vgpr_count:     24
    .vgpr_spill_count: 0
    .wavefront_size: 64
  - .agpr_count:     0
    .args:
      - .actual_access:  write_only
        .address_space:  global
        .offset:         0
        .size:           8
        .value_kind:     global_buffer
      - .actual_access:  write_only
        .address_space:  global
        .offset:         8
        .size:           8
        .value_kind:     global_buffer
      - .actual_access:  write_only
        .address_space:  global
        .offset:         16
        .size:           8
        .value_kind:     global_buffer
      - .actual_access:  read_only
        .address_space:  global
        .offset:         24
        .size:           8
        .value_kind:     global_buffer
      - .actual_access:  read_only
        .address_space:  global
        .offset:         32
        .size:           8
        .value_kind:     global_buffer
      - .actual_access:  read_only
        .address_space:  global
        .offset:         40
        .size:           8
        .value_kind:     global_buffer
      - .offset:         48
        .size:           4
        .value_kind:     by_value
      - .offset:         52
        .size:           4
        .value_kind:     by_value
      - .actual_access:  read_only
        .address_space:  global
        .offset:         56
        .size:           8
        .value_kind:     global_buffer
      - .actual_access:  read_only
        .address_space:  global
        .offset:         64
        .size:           8
        .value_kind:     global_buffer
      - .offset:         72
        .size:           4
        .value_kind:     by_value
      - .actual_access:  read_only
        .address_space:  global
        .offset:         80
        .size:           8
        .value_kind:     global_buffer
      - .offset:         88
        .size:           4
        .value_kind:     by_value
      - .offset:         92
        .size:           4
        .value_kind:     by_value
      - .offset:         96
        .size:           4
        .value_kind:     by_value
      - .address_space:  global
        .offset:         104
        .size:           8
        .value_kind:     global_buffer
      - .address_space:  global
        .offset:         112
        .size:           8
        .value_kind:     global_buffer
      - .offset:         120
        .size:           4
        .value_kind:     by_value
      - .offset:         124
        .size:           4
        .value_kind:     by_value
      - .offset:         128
        .size:           4
        .value_kind:     by_value
      - .offset:         132
        .size:           4
        .value_kind:     by_value
      - .offset:         136
        .size:           4
        .value_kind:     by_value
      - .offset:         144
        .size:           4
        .value_kind:     hidden_block_count_x
      - .offset:         148
        .size:           4
        .value_kind:     hidden_block_count_y
      - .offset:         152
        .size:           4
        .value_kind:     hidden_block_count_z
      - .offset:         156
        .size:           2
        .value_kind:     hidden_group_size_x
      - .offset:         158
        .size:           2
        .value_kind:     hidden_group_size_y
      - .offset:         160
        .size:           2
        .value_kind:     hidden_group_size_z
      - .offset:         162
        .size:           2
        .value_kind:     hidden_remainder_x
      - .offset:         164
        .size:           2
        .value_kind:     hidden_remainder_y
      - .offset:         166
        .size:           2
        .value_kind:     hidden_remainder_z
      - .offset:         184
        .size:           8
        .value_kind:     hidden_global_offset_x
      - .offset:         192
        .size:           8
        .value_kind:     hidden_global_offset_y
      - .offset:         200
        .size:           8
        .value_kind:     hidden_global_offset_z
      - .offset:         208
        .size:           2
        .value_kind:     hidden_grid_dims
      - .offset:         264
        .size:           4
        .value_kind:     hidden_dynamic_lds_size
    .group_segment_fixed_size: 528
    .kernarg_segment_align: 8
    .kernarg_segment_size: 400
    .language:       OpenCL C
    .language_version:
      - 2
      - 0
    .max_flat_workgroup_size: 1024
    .name:           _ZN4vllm25paged_attention_v2_kernelIttLi256ELi8ELi128ELNS_18Fp8KVCacheDataTypeE0ELb1ELi512EEEvPfS2_PT_PKS3_PKT0_S9_ifPKiSB_iPKfiiiSD_SD_iiiii
    .private_segment_fixed_size: 0
    .sgpr_count:     56
    .sgpr_spill_count: 0
    .symbol:         _ZN4vllm25paged_attention_v2_kernelIttLi256ELi8ELi128ELNS_18Fp8KVCacheDataTypeE0ELb1ELi512EEEvPfS2_PT_PKS3_PKT0_S9_ifPKiSB_iPKfiiiSD_SD_iiiii.kd
    .uniform_work_group_size: 1
    .uses_dynamic_stack: false
    .vgpr_count:     82
    .vgpr_spill_count: 0
    .wavefront_size: 64
  - .agpr_count:     0
    .args:
      - .actual_access:  write_only
        .address_space:  global
        .offset:         0
        .size:           8
        .value_kind:     global_buffer
      - .actual_access:  read_only
        .address_space:  global
        .offset:         8
        .size:           8
        .value_kind:     global_buffer
      - .actual_access:  read_only
        .address_space:  global
        .offset:         16
        .size:           8
        .value_kind:     global_buffer
      - .actual_access:  read_only
        .address_space:  global
        .offset:         24
        .size:           8
        .value_kind:     global_buffer
      - .actual_access:  read_only
        .address_space:  global
        .offset:         32
        .size:           8
        .value_kind:     global_buffer
      - .offset:         40
        .size:           4
        .value_kind:     by_value
      - .offset:         48
        .size:           4
        .value_kind:     hidden_block_count_x
      - .offset:         52
        .size:           4
        .value_kind:     hidden_block_count_y
      - .offset:         56
        .size:           4
        .value_kind:     hidden_block_count_z
      - .offset:         60
        .size:           2
        .value_kind:     hidden_group_size_x
      - .offset:         62
        .size:           2
        .value_kind:     hidden_group_size_y
      - .offset:         64
        .size:           2
        .value_kind:     hidden_group_size_z
      - .offset:         66
        .size:           2
        .value_kind:     hidden_remainder_x
      - .offset:         68
        .size:           2
        .value_kind:     hidden_remainder_y
      - .offset:         70
        .size:           2
        .value_kind:     hidden_remainder_z
      - .offset:         88
        .size:           8
        .value_kind:     hidden_global_offset_x
      - .offset:         96
        .size:           8
        .value_kind:     hidden_global_offset_y
      - .offset:         104
        .size:           8
        .value_kind:     hidden_global_offset_z
      - .offset:         112
        .size:           2
        .value_kind:     hidden_grid_dims
      - .offset:         168
        .size:           4
        .value_kind:     hidden_dynamic_lds_size
    .group_segment_fixed_size: 16
    .kernarg_segment_align: 8
    .kernarg_segment_size: 304
    .language:       OpenCL C
    .language_version:
      - 2
      - 0
    .max_flat_workgroup_size: 1024
    .name:           _ZN4vllm32paged_attention_v2_reduce_kernelItLi256ELi128ELi512EEEvPT_PKfS4_PKS1_PKii
    .private_segment_fixed_size: 0
    .sgpr_count:     36
    .sgpr_spill_count: 0
    .symbol:         _ZN4vllm32paged_attention_v2_reduce_kernelItLi256ELi128ELi512EEEvPT_PKfS4_PKS1_PKii.kd
    .uniform_work_group_size: 1
    .uses_dynamic_stack: false
    .vgpr_count:     24
    .vgpr_spill_count: 0
    .wavefront_size: 64
  - .agpr_count:     0
    .args:
      - .actual_access:  write_only
        .address_space:  global
        .offset:         0
        .size:           8
        .value_kind:     global_buffer
      - .actual_access:  write_only
        .address_space:  global
        .offset:         8
        .size:           8
        .value_kind:     global_buffer
      - .actual_access:  write_only
        .address_space:  global
        .offset:         16
        .size:           8
        .value_kind:     global_buffer
      - .actual_access:  read_only
        .address_space:  global
        .offset:         24
        .size:           8
        .value_kind:     global_buffer
      - .actual_access:  read_only
        .address_space:  global
        .offset:         32
        .size:           8
        .value_kind:     global_buffer
      - .actual_access:  read_only
        .address_space:  global
        .offset:         40
        .size:           8
        .value_kind:     global_buffer
      - .offset:         48
        .size:           4
        .value_kind:     by_value
      - .offset:         52
        .size:           4
        .value_kind:     by_value
      - .actual_access:  read_only
        .address_space:  global
        .offset:         56
        .size:           8
        .value_kind:     global_buffer
      - .actual_access:  read_only
        .address_space:  global
        .offset:         64
        .size:           8
        .value_kind:     global_buffer
      - .offset:         72
        .size:           4
        .value_kind:     by_value
      - .actual_access:  read_only
        .address_space:  global
        .offset:         80
        .size:           8
        .value_kind:     global_buffer
      - .offset:         88
        .size:           4
        .value_kind:     by_value
      - .offset:         92
        .size:           4
        .value_kind:     by_value
      - .offset:         96
        .size:           4
        .value_kind:     by_value
      - .address_space:  global
        .offset:         104
        .size:           8
        .value_kind:     global_buffer
      - .address_space:  global
        .offset:         112
        .size:           8
        .value_kind:     global_buffer
      - .offset:         120
        .size:           4
        .value_kind:     by_value
      - .offset:         124
        .size:           4
        .value_kind:     by_value
      - .offset:         128
        .size:           4
        .value_kind:     by_value
      - .offset:         132
        .size:           4
        .value_kind:     by_value
      - .offset:         136
        .size:           4
        .value_kind:     by_value
      - .offset:         144
        .size:           4
        .value_kind:     hidden_block_count_x
      - .offset:         148
        .size:           4
        .value_kind:     hidden_block_count_y
      - .offset:         152
        .size:           4
        .value_kind:     hidden_block_count_z
      - .offset:         156
        .size:           2
        .value_kind:     hidden_group_size_x
      - .offset:         158
        .size:           2
        .value_kind:     hidden_group_size_y
      - .offset:         160
        .size:           2
        .value_kind:     hidden_group_size_z
      - .offset:         162
        .size:           2
        .value_kind:     hidden_remainder_x
      - .offset:         164
        .size:           2
        .value_kind:     hidden_remainder_y
      - .offset:         166
        .size:           2
        .value_kind:     hidden_remainder_z
      - .offset:         184
        .size:           8
        .value_kind:     hidden_global_offset_x
      - .offset:         192
        .size:           8
        .value_kind:     hidden_global_offset_y
      - .offset:         200
        .size:           8
        .value_kind:     hidden_global_offset_z
      - .offset:         208
        .size:           2
        .value_kind:     hidden_grid_dims
      - .offset:         264
        .size:           4
        .value_kind:     hidden_dynamic_lds_size
    .group_segment_fixed_size: 80
    .kernarg_segment_align: 8
    .kernarg_segment_size: 400
    .language:       OpenCL C
    .language_version:
      - 2
      - 0
    .max_flat_workgroup_size: 1024
    .name:           _ZN4vllm25paged_attention_v2_kernelIttLi32ELi8ELi128ELNS_18Fp8KVCacheDataTypeE0ELb0ELi512EEEvPfS2_PT_PKS3_PKT0_S9_ifPKiSB_iPKfiiiSD_SD_iiiii
    .private_segment_fixed_size: 0
    .sgpr_count:     46
    .sgpr_spill_count: 0
    .symbol:         _ZN4vllm25paged_attention_v2_kernelIttLi32ELi8ELi128ELNS_18Fp8KVCacheDataTypeE0ELb0ELi512EEEvPfS2_PT_PKS3_PKT0_S9_ifPKiSB_iPKfiiiSD_SD_iiiii.kd
    .uniform_work_group_size: 1
    .uses_dynamic_stack: false
    .vgpr_count:     30
    .vgpr_spill_count: 0
    .wavefront_size: 64
  - .agpr_count:     0
    .args:
      - .actual_access:  write_only
        .address_space:  global
        .offset:         0
        .size:           8
        .value_kind:     global_buffer
      - .actual_access:  write_only
        .address_space:  global
        .offset:         8
        .size:           8
        .value_kind:     global_buffer
      - .actual_access:  write_only
        .address_space:  global
        .offset:         16
        .size:           8
        .value_kind:     global_buffer
      - .actual_access:  read_only
        .address_space:  global
        .offset:         24
        .size:           8
        .value_kind:     global_buffer
      - .actual_access:  read_only
        .address_space:  global
        .offset:         32
        .size:           8
        .value_kind:     global_buffer
      - .actual_access:  read_only
        .address_space:  global
        .offset:         40
        .size:           8
        .value_kind:     global_buffer
      - .offset:         48
        .size:           4
        .value_kind:     by_value
      - .offset:         52
        .size:           4
        .value_kind:     by_value
      - .actual_access:  read_only
        .address_space:  global
        .offset:         56
        .size:           8
        .value_kind:     global_buffer
      - .actual_access:  read_only
        .address_space:  global
        .offset:         64
        .size:           8
        .value_kind:     global_buffer
      - .offset:         72
        .size:           4
        .value_kind:     by_value
      - .actual_access:  read_only
        .address_space:  global
        .offset:         80
        .size:           8
        .value_kind:     global_buffer
      - .offset:         88
        .size:           4
        .value_kind:     by_value
      - .offset:         92
        .size:           4
        .value_kind:     by_value
      - .offset:         96
        .size:           4
        .value_kind:     by_value
      - .address_space:  global
        .offset:         104
        .size:           8
        .value_kind:     global_buffer
      - .address_space:  global
        .offset:         112
        .size:           8
        .value_kind:     global_buffer
      - .offset:         120
        .size:           4
        .value_kind:     by_value
      - .offset:         124
        .size:           4
        .value_kind:     by_value
      - .offset:         128
        .size:           4
        .value_kind:     by_value
      - .offset:         132
        .size:           4
        .value_kind:     by_value
      - .offset:         136
        .size:           4
        .value_kind:     by_value
      - .offset:         144
        .size:           4
        .value_kind:     hidden_block_count_x
      - .offset:         148
        .size:           4
        .value_kind:     hidden_block_count_y
      - .offset:         152
        .size:           4
        .value_kind:     hidden_block_count_z
      - .offset:         156
        .size:           2
        .value_kind:     hidden_group_size_x
      - .offset:         158
        .size:           2
        .value_kind:     hidden_group_size_y
      - .offset:         160
        .size:           2
        .value_kind:     hidden_group_size_z
      - .offset:         162
        .size:           2
        .value_kind:     hidden_remainder_x
      - .offset:         164
        .size:           2
        .value_kind:     hidden_remainder_y
      - .offset:         166
        .size:           2
        .value_kind:     hidden_remainder_z
      - .offset:         184
        .size:           8
        .value_kind:     hidden_global_offset_x
      - .offset:         192
        .size:           8
        .value_kind:     hidden_global_offset_y
      - .offset:         200
        .size:           8
        .value_kind:     hidden_global_offset_z
      - .offset:         208
        .size:           2
        .value_kind:     hidden_grid_dims
      - .offset:         264
        .size:           4
        .value_kind:     hidden_dynamic_lds_size
    .group_segment_fixed_size: 144
    .kernarg_segment_align: 8
    .kernarg_segment_size: 400
    .language:       OpenCL C
    .language_version:
      - 2
      - 0
    .max_flat_workgroup_size: 1024
    .name:           _ZN4vllm25paged_attention_v2_kernelIttLi64ELi8ELi128ELNS_18Fp8KVCacheDataTypeE0ELb0ELi512EEEvPfS2_PT_PKS3_PKT0_S9_ifPKiSB_iPKfiiiSD_SD_iiiii
    .private_segment_fixed_size: 0
    .sgpr_count:     48
    .sgpr_spill_count: 0
    .symbol:         _ZN4vllm25paged_attention_v2_kernelIttLi64ELi8ELi128ELNS_18Fp8KVCacheDataTypeE0ELb0ELi512EEEvPfS2_PT_PKS3_PKT0_S9_ifPKiSB_iPKfiiiSD_SD_iiiii.kd
    .uniform_work_group_size: 1
    .uses_dynamic_stack: false
    .vgpr_count:     34
    .vgpr_spill_count: 0
    .wavefront_size: 64
  - .agpr_count:     0
    .args:
      - .actual_access:  write_only
        .address_space:  global
        .offset:         0
        .size:           8
        .value_kind:     global_buffer
      - .actual_access:  write_only
        .address_space:  global
        .offset:         8
        .size:           8
        .value_kind:     global_buffer
      - .actual_access:  write_only
        .address_space:  global
        .offset:         16
        .size:           8
        .value_kind:     global_buffer
      - .actual_access:  read_only
        .address_space:  global
        .offset:         24
        .size:           8
        .value_kind:     global_buffer
      - .actual_access:  read_only
        .address_space:  global
        .offset:         32
        .size:           8
        .value_kind:     global_buffer
      - .actual_access:  read_only
        .address_space:  global
        .offset:         40
        .size:           8
        .value_kind:     global_buffer
      - .offset:         48
        .size:           4
        .value_kind:     by_value
      - .offset:         52
        .size:           4
        .value_kind:     by_value
      - .actual_access:  read_only
        .address_space:  global
        .offset:         56
        .size:           8
        .value_kind:     global_buffer
      - .actual_access:  read_only
        .address_space:  global
        .offset:         64
        .size:           8
        .value_kind:     global_buffer
      - .offset:         72
        .size:           4
        .value_kind:     by_value
      - .actual_access:  read_only
        .address_space:  global
        .offset:         80
        .size:           8
        .value_kind:     global_buffer
      - .offset:         88
        .size:           4
        .value_kind:     by_value
      - .offset:         92
        .size:           4
        .value_kind:     by_value
      - .offset:         96
        .size:           4
        .value_kind:     by_value
      - .address_space:  global
        .offset:         104
        .size:           8
        .value_kind:     global_buffer
      - .address_space:  global
        .offset:         112
        .size:           8
        .value_kind:     global_buffer
      - .offset:         120
        .size:           4
        .value_kind:     by_value
      - .offset:         124
        .size:           4
        .value_kind:     by_value
      - .offset:         128
        .size:           4
        .value_kind:     by_value
      - .offset:         132
        .size:           4
        .value_kind:     by_value
      - .offset:         136
        .size:           4
        .value_kind:     by_value
      - .offset:         144
        .size:           4
        .value_kind:     hidden_block_count_x
      - .offset:         148
        .size:           4
        .value_kind:     hidden_block_count_y
      - .offset:         152
        .size:           4
        .value_kind:     hidden_block_count_z
      - .offset:         156
        .size:           2
        .value_kind:     hidden_group_size_x
      - .offset:         158
        .size:           2
        .value_kind:     hidden_group_size_y
      - .offset:         160
        .size:           2
        .value_kind:     hidden_group_size_z
      - .offset:         162
        .size:           2
        .value_kind:     hidden_remainder_x
      - .offset:         164
        .size:           2
        .value_kind:     hidden_remainder_y
      - .offset:         166
        .size:           2
        .value_kind:     hidden_remainder_z
      - .offset:         184
        .size:           8
        .value_kind:     hidden_global_offset_x
      - .offset:         192
        .size:           8
        .value_kind:     hidden_global_offset_y
      - .offset:         200
        .size:           8
        .value_kind:     hidden_global_offset_z
      - .offset:         208
        .size:           2
        .value_kind:     hidden_grid_dims
      - .offset:         264
        .size:           4
        .value_kind:     hidden_dynamic_lds_size
    .group_segment_fixed_size: 176
    .kernarg_segment_align: 8
    .kernarg_segment_size: 400
    .language:       OpenCL C
    .language_version:
      - 2
      - 0
    .max_flat_workgroup_size: 1024
    .name:           _ZN4vllm25paged_attention_v2_kernelIttLi80ELi8ELi128ELNS_18Fp8KVCacheDataTypeE0ELb0ELi512EEEvPfS2_PT_PKS3_PKT0_S9_ifPKiSB_iPKfiiiSD_SD_iiiii
    .private_segment_fixed_size: 0
    .sgpr_count:     48
    .sgpr_spill_count: 0
    .symbol:         _ZN4vllm25paged_attention_v2_kernelIttLi80ELi8ELi128ELNS_18Fp8KVCacheDataTypeE0ELb0ELi512EEEvPfS2_PT_PKS3_PKT0_S9_ifPKiSB_iPKfiiiSD_SD_iiiii.kd
    .uniform_work_group_size: 1
    .uses_dynamic_stack: false
    .vgpr_count:     38
    .vgpr_spill_count: 0
    .wavefront_size: 64
  - .agpr_count:     0
    .args:
      - .actual_access:  write_only
        .address_space:  global
        .offset:         0
        .size:           8
        .value_kind:     global_buffer
      - .actual_access:  write_only
        .address_space:  global
        .offset:         8
        .size:           8
        .value_kind:     global_buffer
      - .actual_access:  write_only
        .address_space:  global
        .offset:         16
        .size:           8
        .value_kind:     global_buffer
      - .actual_access:  read_only
        .address_space:  global
        .offset:         24
        .size:           8
        .value_kind:     global_buffer
      - .actual_access:  read_only
        .address_space:  global
        .offset:         32
        .size:           8
        .value_kind:     global_buffer
      - .actual_access:  read_only
        .address_space:  global
        .offset:         40
        .size:           8
        .value_kind:     global_buffer
      - .offset:         48
        .size:           4
        .value_kind:     by_value
      - .offset:         52
        .size:           4
        .value_kind:     by_value
      - .actual_access:  read_only
        .address_space:  global
        .offset:         56
        .size:           8
        .value_kind:     global_buffer
      - .actual_access:  read_only
        .address_space:  global
        .offset:         64
        .size:           8
        .value_kind:     global_buffer
      - .offset:         72
        .size:           4
        .value_kind:     by_value
      - .actual_access:  read_only
        .address_space:  global
        .offset:         80
        .size:           8
        .value_kind:     global_buffer
      - .offset:         88
        .size:           4
        .value_kind:     by_value
      - .offset:         92
        .size:           4
        .value_kind:     by_value
      - .offset:         96
        .size:           4
        .value_kind:     by_value
      - .address_space:  global
        .offset:         104
        .size:           8
        .value_kind:     global_buffer
      - .address_space:  global
        .offset:         112
        .size:           8
        .value_kind:     global_buffer
      - .offset:         120
        .size:           4
        .value_kind:     by_value
      - .offset:         124
        .size:           4
        .value_kind:     by_value
      - .offset:         128
        .size:           4
        .value_kind:     by_value
      - .offset:         132
        .size:           4
        .value_kind:     by_value
      - .offset:         136
        .size:           4
        .value_kind:     by_value
      - .offset:         144
        .size:           4
        .value_kind:     hidden_block_count_x
      - .offset:         148
        .size:           4
        .value_kind:     hidden_block_count_y
      - .offset:         152
        .size:           4
        .value_kind:     hidden_block_count_z
      - .offset:         156
        .size:           2
        .value_kind:     hidden_group_size_x
      - .offset:         158
        .size:           2
        .value_kind:     hidden_group_size_y
      - .offset:         160
        .size:           2
        .value_kind:     hidden_group_size_z
      - .offset:         162
        .size:           2
        .value_kind:     hidden_remainder_x
      - .offset:         164
        .size:           2
        .value_kind:     hidden_remainder_y
      - .offset:         166
        .size:           2
        .value_kind:     hidden_remainder_z
      - .offset:         184
        .size:           8
        .value_kind:     hidden_global_offset_x
      - .offset:         192
        .size:           8
        .value_kind:     hidden_global_offset_y
      - .offset:         200
        .size:           8
        .value_kind:     hidden_global_offset_z
      - .offset:         208
        .size:           2
        .value_kind:     hidden_grid_dims
      - .offset:         264
        .size:           4
        .value_kind:     hidden_dynamic_lds_size
    .group_segment_fixed_size: 208
    .kernarg_segment_align: 8
    .kernarg_segment_size: 400
    .language:       OpenCL C
    .language_version:
      - 2
      - 0
    .max_flat_workgroup_size: 1024
    .name:           _ZN4vllm25paged_attention_v2_kernelIttLi96ELi8ELi128ELNS_18Fp8KVCacheDataTypeE0ELb0ELi512EEEvPfS2_PT_PKS3_PKT0_S9_ifPKiSB_iPKfiiiSD_SD_iiiii
    .private_segment_fixed_size: 0
    .sgpr_count:     48
    .sgpr_spill_count: 0
    .symbol:         _ZN4vllm25paged_attention_v2_kernelIttLi96ELi8ELi128ELNS_18Fp8KVCacheDataTypeE0ELb0ELi512EEEvPfS2_PT_PKS3_PKT0_S9_ifPKiSB_iPKfiiiSD_SD_iiiii.kd
    .uniform_work_group_size: 1
    .uses_dynamic_stack: false
    .vgpr_count:     42
    .vgpr_spill_count: 0
    .wavefront_size: 64
  - .agpr_count:     0
    .args:
      - .actual_access:  write_only
        .address_space:  global
        .offset:         0
        .size:           8
        .value_kind:     global_buffer
      - .actual_access:  write_only
        .address_space:  global
        .offset:         8
        .size:           8
        .value_kind:     global_buffer
      - .actual_access:  write_only
        .address_space:  global
        .offset:         16
        .size:           8
        .value_kind:     global_buffer
      - .actual_access:  read_only
        .address_space:  global
        .offset:         24
        .size:           8
        .value_kind:     global_buffer
      - .actual_access:  read_only
        .address_space:  global
        .offset:         32
        .size:           8
        .value_kind:     global_buffer
      - .actual_access:  read_only
        .address_space:  global
        .offset:         40
        .size:           8
        .value_kind:     global_buffer
      - .offset:         48
        .size:           4
        .value_kind:     by_value
      - .offset:         52
        .size:           4
        .value_kind:     by_value
      - .actual_access:  read_only
        .address_space:  global
        .offset:         56
        .size:           8
        .value_kind:     global_buffer
      - .actual_access:  read_only
        .address_space:  global
        .offset:         64
        .size:           8
        .value_kind:     global_buffer
      - .offset:         72
        .size:           4
        .value_kind:     by_value
      - .actual_access:  read_only
        .address_space:  global
        .offset:         80
        .size:           8
        .value_kind:     global_buffer
      - .offset:         88
        .size:           4
        .value_kind:     by_value
      - .offset:         92
        .size:           4
        .value_kind:     by_value
      - .offset:         96
        .size:           4
        .value_kind:     by_value
      - .address_space:  global
        .offset:         104
        .size:           8
        .value_kind:     global_buffer
      - .address_space:  global
        .offset:         112
        .size:           8
        .value_kind:     global_buffer
      - .offset:         120
        .size:           4
        .value_kind:     by_value
      - .offset:         124
        .size:           4
        .value_kind:     by_value
      - .offset:         128
        .size:           4
        .value_kind:     by_value
      - .offset:         132
        .size:           4
        .value_kind:     by_value
      - .offset:         136
        .size:           4
        .value_kind:     by_value
      - .offset:         144
        .size:           4
        .value_kind:     hidden_block_count_x
      - .offset:         148
        .size:           4
        .value_kind:     hidden_block_count_y
      - .offset:         152
        .size:           4
        .value_kind:     hidden_block_count_z
      - .offset:         156
        .size:           2
        .value_kind:     hidden_group_size_x
      - .offset:         158
        .size:           2
        .value_kind:     hidden_group_size_y
      - .offset:         160
        .size:           2
        .value_kind:     hidden_group_size_z
      - .offset:         162
        .size:           2
        .value_kind:     hidden_remainder_x
      - .offset:         164
        .size:           2
        .value_kind:     hidden_remainder_y
      - .offset:         166
        .size:           2
        .value_kind:     hidden_remainder_z
      - .offset:         184
        .size:           8
        .value_kind:     hidden_global_offset_x
      - .offset:         192
        .size:           8
        .value_kind:     hidden_global_offset_y
      - .offset:         200
        .size:           8
        .value_kind:     hidden_global_offset_z
      - .offset:         208
        .size:           2
        .value_kind:     hidden_grid_dims
      - .offset:         264
        .size:           4
        .value_kind:     hidden_dynamic_lds_size
    .group_segment_fixed_size: 240
    .kernarg_segment_align: 8
    .kernarg_segment_size: 400
    .language:       OpenCL C
    .language_version:
      - 2
      - 0
    .max_flat_workgroup_size: 1024
    .name:           _ZN4vllm25paged_attention_v2_kernelIttLi112ELi8ELi128ELNS_18Fp8KVCacheDataTypeE0ELb0ELi512EEEvPfS2_PT_PKS3_PKT0_S9_ifPKiSB_iPKfiiiSD_SD_iiiii
    .private_segment_fixed_size: 0
    .sgpr_count:     48
    .sgpr_spill_count: 0
    .symbol:         _ZN4vllm25paged_attention_v2_kernelIttLi112ELi8ELi128ELNS_18Fp8KVCacheDataTypeE0ELb0ELi512EEEvPfS2_PT_PKS3_PKT0_S9_ifPKiSB_iPKfiiiSD_SD_iiiii.kd
    .uniform_work_group_size: 1
    .uses_dynamic_stack: false
    .vgpr_count:     45
    .vgpr_spill_count: 0
    .wavefront_size: 64
  - .agpr_count:     0
    .args:
      - .actual_access:  write_only
        .address_space:  global
        .offset:         0
        .size:           8
        .value_kind:     global_buffer
      - .actual_access:  write_only
        .address_space:  global
        .offset:         8
        .size:           8
        .value_kind:     global_buffer
      - .actual_access:  write_only
        .address_space:  global
        .offset:         16
        .size:           8
        .value_kind:     global_buffer
      - .actual_access:  read_only
        .address_space:  global
        .offset:         24
        .size:           8
        .value_kind:     global_buffer
      - .actual_access:  read_only
        .address_space:  global
        .offset:         32
        .size:           8
        .value_kind:     global_buffer
      - .actual_access:  read_only
        .address_space:  global
        .offset:         40
        .size:           8
        .value_kind:     global_buffer
      - .offset:         48
        .size:           4
        .value_kind:     by_value
      - .offset:         52
        .size:           4
        .value_kind:     by_value
      - .actual_access:  read_only
        .address_space:  global
        .offset:         56
        .size:           8
        .value_kind:     global_buffer
      - .actual_access:  read_only
        .address_space:  global
        .offset:         64
        .size:           8
        .value_kind:     global_buffer
      - .offset:         72
        .size:           4
        .value_kind:     by_value
      - .actual_access:  read_only
        .address_space:  global
        .offset:         80
        .size:           8
        .value_kind:     global_buffer
      - .offset:         88
        .size:           4
        .value_kind:     by_value
      - .offset:         92
        .size:           4
        .value_kind:     by_value
      - .offset:         96
        .size:           4
        .value_kind:     by_value
      - .address_space:  global
        .offset:         104
        .size:           8
        .value_kind:     global_buffer
      - .address_space:  global
        .offset:         112
        .size:           8
        .value_kind:     global_buffer
      - .offset:         120
        .size:           4
        .value_kind:     by_value
      - .offset:         124
        .size:           4
        .value_kind:     by_value
      - .offset:         128
        .size:           4
        .value_kind:     by_value
      - .offset:         132
        .size:           4
        .value_kind:     by_value
      - .offset:         136
        .size:           4
        .value_kind:     by_value
      - .offset:         144
        .size:           4
        .value_kind:     hidden_block_count_x
      - .offset:         148
        .size:           4
        .value_kind:     hidden_block_count_y
      - .offset:         152
        .size:           4
        .value_kind:     hidden_block_count_z
      - .offset:         156
        .size:           2
        .value_kind:     hidden_group_size_x
      - .offset:         158
        .size:           2
        .value_kind:     hidden_group_size_y
      - .offset:         160
        .size:           2
        .value_kind:     hidden_group_size_z
      - .offset:         162
        .size:           2
        .value_kind:     hidden_remainder_x
      - .offset:         164
        .size:           2
        .value_kind:     hidden_remainder_y
      - .offset:         166
        .size:           2
        .value_kind:     hidden_remainder_z
      - .offset:         184
        .size:           8
        .value_kind:     hidden_global_offset_x
      - .offset:         192
        .size:           8
        .value_kind:     hidden_global_offset_y
      - .offset:         200
        .size:           8
        .value_kind:     hidden_global_offset_z
      - .offset:         208
        .size:           2
        .value_kind:     hidden_grid_dims
      - .offset:         264
        .size:           4
        .value_kind:     hidden_dynamic_lds_size
    .group_segment_fixed_size: 256
    .kernarg_segment_align: 8
    .kernarg_segment_size: 400
    .language:       OpenCL C
    .language_version:
      - 2
      - 0
    .max_flat_workgroup_size: 1024
    .name:           _ZN4vllm25paged_attention_v2_kernelIttLi120ELi8ELi128ELNS_18Fp8KVCacheDataTypeE0ELb0ELi512EEEvPfS2_PT_PKS3_PKT0_S9_ifPKiSB_iPKfiiiSD_SD_iiiii
    .private_segment_fixed_size: 0
    .sgpr_count:     48
    .sgpr_spill_count: 0
    .symbol:         _ZN4vllm25paged_attention_v2_kernelIttLi120ELi8ELi128ELNS_18Fp8KVCacheDataTypeE0ELb0ELi512EEEvPfS2_PT_PKS3_PKT0_S9_ifPKiSB_iPKfiiiSD_SD_iiiii.kd
    .uniform_work_group_size: 1
    .uses_dynamic_stack: false
    .vgpr_count:     47
    .vgpr_spill_count: 0
    .wavefront_size: 64
  - .agpr_count:     0
    .args:
      - .actual_access:  write_only
        .address_space:  global
        .offset:         0
        .size:           8
        .value_kind:     global_buffer
      - .actual_access:  write_only
        .address_space:  global
        .offset:         8
        .size:           8
        .value_kind:     global_buffer
      - .actual_access:  write_only
        .address_space:  global
        .offset:         16
        .size:           8
        .value_kind:     global_buffer
      - .actual_access:  read_only
        .address_space:  global
        .offset:         24
        .size:           8
        .value_kind:     global_buffer
      - .actual_access:  read_only
        .address_space:  global
        .offset:         32
        .size:           8
        .value_kind:     global_buffer
      - .actual_access:  read_only
        .address_space:  global
        .offset:         40
        .size:           8
        .value_kind:     global_buffer
      - .offset:         48
        .size:           4
        .value_kind:     by_value
      - .offset:         52
        .size:           4
        .value_kind:     by_value
      - .actual_access:  read_only
        .address_space:  global
        .offset:         56
        .size:           8
        .value_kind:     global_buffer
      - .actual_access:  read_only
        .address_space:  global
        .offset:         64
        .size:           8
        .value_kind:     global_buffer
      - .offset:         72
        .size:           4
        .value_kind:     by_value
      - .actual_access:  read_only
        .address_space:  global
        .offset:         80
        .size:           8
        .value_kind:     global_buffer
      - .offset:         88
        .size:           4
        .value_kind:     by_value
      - .offset:         92
        .size:           4
        .value_kind:     by_value
      - .offset:         96
        .size:           4
        .value_kind:     by_value
      - .address_space:  global
        .offset:         104
        .size:           8
        .value_kind:     global_buffer
      - .address_space:  global
        .offset:         112
        .size:           8
        .value_kind:     global_buffer
      - .offset:         120
        .size:           4
        .value_kind:     by_value
      - .offset:         124
        .size:           4
        .value_kind:     by_value
      - .offset:         128
        .size:           4
        .value_kind:     by_value
      - .offset:         132
        .size:           4
        .value_kind:     by_value
      - .offset:         136
        .size:           4
        .value_kind:     by_value
      - .offset:         144
        .size:           4
        .value_kind:     hidden_block_count_x
      - .offset:         148
        .size:           4
        .value_kind:     hidden_block_count_y
      - .offset:         152
        .size:           4
        .value_kind:     hidden_block_count_z
      - .offset:         156
        .size:           2
        .value_kind:     hidden_group_size_x
      - .offset:         158
        .size:           2
        .value_kind:     hidden_group_size_y
      - .offset:         160
        .size:           2
        .value_kind:     hidden_group_size_z
      - .offset:         162
        .size:           2
        .value_kind:     hidden_remainder_x
      - .offset:         164
        .size:           2
        .value_kind:     hidden_remainder_y
      - .offset:         166
        .size:           2
        .value_kind:     hidden_remainder_z
      - .offset:         184
        .size:           8
        .value_kind:     hidden_global_offset_x
      - .offset:         192
        .size:           8
        .value_kind:     hidden_global_offset_y
      - .offset:         200
        .size:           8
        .value_kind:     hidden_global_offset_z
      - .offset:         208
        .size:           2
        .value_kind:     hidden_grid_dims
      - .offset:         264
        .size:           4
        .value_kind:     hidden_dynamic_lds_size
    .group_segment_fixed_size: 272
    .kernarg_segment_align: 8
    .kernarg_segment_size: 400
    .language:       OpenCL C
    .language_version:
      - 2
      - 0
    .max_flat_workgroup_size: 1024
    .name:           _ZN4vllm25paged_attention_v2_kernelIttLi128ELi8ELi128ELNS_18Fp8KVCacheDataTypeE0ELb0ELi512EEEvPfS2_PT_PKS3_PKT0_S9_ifPKiSB_iPKfiiiSD_SD_iiiii
    .private_segment_fixed_size: 0
    .sgpr_count:     46
    .sgpr_spill_count: 0
    .symbol:         _ZN4vllm25paged_attention_v2_kernelIttLi128ELi8ELi128ELNS_18Fp8KVCacheDataTypeE0ELb0ELi512EEEvPfS2_PT_PKS3_PKT0_S9_ifPKiSB_iPKfiiiSD_SD_iiiii.kd
    .uniform_work_group_size: 1
    .uses_dynamic_stack: false
    .vgpr_count:     49
    .vgpr_spill_count: 0
    .wavefront_size: 64
  - .agpr_count:     0
    .args:
      - .actual_access:  write_only
        .address_space:  global
        .offset:         0
        .size:           8
        .value_kind:     global_buffer
      - .actual_access:  write_only
        .address_space:  global
        .offset:         8
        .size:           8
        .value_kind:     global_buffer
      - .actual_access:  write_only
        .address_space:  global
        .offset:         16
        .size:           8
        .value_kind:     global_buffer
      - .actual_access:  read_only
        .address_space:  global
        .offset:         24
        .size:           8
        .value_kind:     global_buffer
      - .actual_access:  read_only
        .address_space:  global
        .offset:         32
        .size:           8
        .value_kind:     global_buffer
      - .actual_access:  read_only
        .address_space:  global
        .offset:         40
        .size:           8
        .value_kind:     global_buffer
      - .offset:         48
        .size:           4
        .value_kind:     by_value
      - .offset:         52
        .size:           4
        .value_kind:     by_value
      - .actual_access:  read_only
        .address_space:  global
        .offset:         56
        .size:           8
        .value_kind:     global_buffer
      - .actual_access:  read_only
        .address_space:  global
        .offset:         64
        .size:           8
        .value_kind:     global_buffer
      - .offset:         72
        .size:           4
        .value_kind:     by_value
      - .actual_access:  read_only
        .address_space:  global
        .offset:         80
        .size:           8
        .value_kind:     global_buffer
      - .offset:         88
        .size:           4
        .value_kind:     by_value
      - .offset:         92
        .size:           4
        .value_kind:     by_value
      - .offset:         96
        .size:           4
        .value_kind:     by_value
      - .address_space:  global
        .offset:         104
        .size:           8
        .value_kind:     global_buffer
      - .address_space:  global
        .offset:         112
        .size:           8
        .value_kind:     global_buffer
      - .offset:         120
        .size:           4
        .value_kind:     by_value
      - .offset:         124
        .size:           4
        .value_kind:     by_value
      - .offset:         128
        .size:           4
        .value_kind:     by_value
      - .offset:         132
        .size:           4
        .value_kind:     by_value
      - .offset:         136
        .size:           4
        .value_kind:     by_value
      - .offset:         144
        .size:           4
        .value_kind:     hidden_block_count_x
      - .offset:         148
        .size:           4
        .value_kind:     hidden_block_count_y
      - .offset:         152
        .size:           4
        .value_kind:     hidden_block_count_z
      - .offset:         156
        .size:           2
        .value_kind:     hidden_group_size_x
      - .offset:         158
        .size:           2
        .value_kind:     hidden_group_size_y
      - .offset:         160
        .size:           2
        .value_kind:     hidden_group_size_z
      - .offset:         162
        .size:           2
        .value_kind:     hidden_remainder_x
      - .offset:         164
        .size:           2
        .value_kind:     hidden_remainder_y
      - .offset:         166
        .size:           2
        .value_kind:     hidden_remainder_z
      - .offset:         184
        .size:           8
        .value_kind:     hidden_global_offset_x
      - .offset:         192
        .size:           8
        .value_kind:     hidden_global_offset_y
      - .offset:         200
        .size:           8
        .value_kind:     hidden_global_offset_z
      - .offset:         208
        .size:           2
        .value_kind:     hidden_grid_dims
      - .offset:         264
        .size:           4
        .value_kind:     hidden_dynamic_lds_size
    .group_segment_fixed_size: 400
    .kernarg_segment_align: 8
    .kernarg_segment_size: 400
    .language:       OpenCL C
    .language_version:
      - 2
      - 0
    .max_flat_workgroup_size: 1024
    .name:           _ZN4vllm25paged_attention_v2_kernelIttLi192ELi8ELi128ELNS_18Fp8KVCacheDataTypeE0ELb0ELi512EEEvPfS2_PT_PKS3_PKT0_S9_ifPKiSB_iPKfiiiSD_SD_iiiii
    .private_segment_fixed_size: 0
    .sgpr_count:     48
    .sgpr_spill_count: 0
    .symbol:         _ZN4vllm25paged_attention_v2_kernelIttLi192ELi8ELi128ELNS_18Fp8KVCacheDataTypeE0ELb0ELi512EEEvPfS2_PT_PKS3_PKT0_S9_ifPKiSB_iPKfiiiSD_SD_iiiii.kd
    .uniform_work_group_size: 1
    .uses_dynamic_stack: false
    .vgpr_count:     62
    .vgpr_spill_count: 0
    .wavefront_size: 64
  - .agpr_count:     0
    .args:
      - .actual_access:  write_only
        .address_space:  global
        .offset:         0
        .size:           8
        .value_kind:     global_buffer
      - .actual_access:  write_only
        .address_space:  global
        .offset:         8
        .size:           8
        .value_kind:     global_buffer
      - .actual_access:  write_only
        .address_space:  global
        .offset:         16
        .size:           8
        .value_kind:     global_buffer
      - .actual_access:  read_only
        .address_space:  global
        .offset:         24
        .size:           8
        .value_kind:     global_buffer
      - .actual_access:  read_only
        .address_space:  global
        .offset:         32
        .size:           8
        .value_kind:     global_buffer
      - .actual_access:  read_only
        .address_space:  global
        .offset:         40
        .size:           8
        .value_kind:     global_buffer
      - .offset:         48
        .size:           4
        .value_kind:     by_value
      - .offset:         52
        .size:           4
        .value_kind:     by_value
      - .actual_access:  read_only
        .address_space:  global
        .offset:         56
        .size:           8
        .value_kind:     global_buffer
      - .actual_access:  read_only
        .address_space:  global
        .offset:         64
        .size:           8
        .value_kind:     global_buffer
      - .offset:         72
        .size:           4
        .value_kind:     by_value
      - .actual_access:  read_only
        .address_space:  global
        .offset:         80
        .size:           8
        .value_kind:     global_buffer
      - .offset:         88
        .size:           4
        .value_kind:     by_value
      - .offset:         92
        .size:           4
        .value_kind:     by_value
      - .offset:         96
        .size:           4
        .value_kind:     by_value
      - .address_space:  global
        .offset:         104
        .size:           8
        .value_kind:     global_buffer
      - .address_space:  global
        .offset:         112
        .size:           8
        .value_kind:     global_buffer
      - .offset:         120
        .size:           4
        .value_kind:     by_value
      - .offset:         124
        .size:           4
        .value_kind:     by_value
      - .offset:         128
        .size:           4
        .value_kind:     by_value
      - .offset:         132
        .size:           4
        .value_kind:     by_value
      - .offset:         136
        .size:           4
        .value_kind:     by_value
      - .offset:         144
        .size:           4
        .value_kind:     hidden_block_count_x
      - .offset:         148
        .size:           4
        .value_kind:     hidden_block_count_y
      - .offset:         152
        .size:           4
        .value_kind:     hidden_block_count_z
      - .offset:         156
        .size:           2
        .value_kind:     hidden_group_size_x
      - .offset:         158
        .size:           2
        .value_kind:     hidden_group_size_y
      - .offset:         160
        .size:           2
        .value_kind:     hidden_group_size_z
      - .offset:         162
        .size:           2
        .value_kind:     hidden_remainder_x
      - .offset:         164
        .size:           2
        .value_kind:     hidden_remainder_y
      - .offset:         166
        .size:           2
        .value_kind:     hidden_remainder_z
      - .offset:         184
        .size:           8
        .value_kind:     hidden_global_offset_x
      - .offset:         192
        .size:           8
        .value_kind:     hidden_global_offset_y
      - .offset:         200
        .size:           8
        .value_kind:     hidden_global_offset_z
      - .offset:         208
        .size:           2
        .value_kind:     hidden_grid_dims
      - .offset:         264
        .size:           4
        .value_kind:     hidden_dynamic_lds_size
    .group_segment_fixed_size: 528
    .kernarg_segment_align: 8
    .kernarg_segment_size: 400
    .language:       OpenCL C
    .language_version:
      - 2
      - 0
    .max_flat_workgroup_size: 1024
    .name:           _ZN4vllm25paged_attention_v2_kernelIttLi256ELi8ELi128ELNS_18Fp8KVCacheDataTypeE0ELb0ELi512EEEvPfS2_PT_PKS3_PKT0_S9_ifPKiSB_iPKfiiiSD_SD_iiiii
    .private_segment_fixed_size: 0
    .sgpr_count:     48
    .sgpr_spill_count: 0
    .symbol:         _ZN4vllm25paged_attention_v2_kernelIttLi256ELi8ELi128ELNS_18Fp8KVCacheDataTypeE0ELb0ELi512EEEvPfS2_PT_PKS3_PKT0_S9_ifPKiSB_iPKfiiiSD_SD_iiiii.kd
    .uniform_work_group_size: 1
    .uses_dynamic_stack: false
    .vgpr_count:     61
    .vgpr_spill_count: 0
    .wavefront_size: 64
  - .agpr_count:     0
    .args:
      - .actual_access:  write_only
        .address_space:  global
        .offset:         0
        .size:           8
        .value_kind:     global_buffer
      - .actual_access:  write_only
        .address_space:  global
        .offset:         8
        .size:           8
        .value_kind:     global_buffer
      - .actual_access:  write_only
        .address_space:  global
        .offset:         16
        .size:           8
        .value_kind:     global_buffer
      - .actual_access:  read_only
        .address_space:  global
        .offset:         24
        .size:           8
        .value_kind:     global_buffer
      - .actual_access:  read_only
        .address_space:  global
        .offset:         32
        .size:           8
        .value_kind:     global_buffer
      - .actual_access:  read_only
        .address_space:  global
        .offset:         40
        .size:           8
        .value_kind:     global_buffer
      - .offset:         48
        .size:           4
        .value_kind:     by_value
      - .offset:         52
        .size:           4
        .value_kind:     by_value
      - .actual_access:  read_only
        .address_space:  global
        .offset:         56
        .size:           8
        .value_kind:     global_buffer
      - .actual_access:  read_only
        .address_space:  global
        .offset:         64
        .size:           8
        .value_kind:     global_buffer
      - .offset:         72
        .size:           4
        .value_kind:     by_value
      - .actual_access:  read_only
        .address_space:  global
        .offset:         80
        .size:           8
        .value_kind:     global_buffer
      - .offset:         88
        .size:           4
        .value_kind:     by_value
      - .offset:         92
        .size:           4
        .value_kind:     by_value
      - .offset:         96
        .size:           4
        .value_kind:     by_value
      - .address_space:  global
        .offset:         104
        .size:           8
        .value_kind:     global_buffer
      - .address_space:  global
        .offset:         112
        .size:           8
        .value_kind:     global_buffer
      - .offset:         120
        .size:           4
        .value_kind:     by_value
      - .offset:         124
        .size:           4
        .value_kind:     by_value
      - .offset:         128
        .size:           4
        .value_kind:     by_value
      - .offset:         132
        .size:           4
        .value_kind:     by_value
      - .offset:         136
        .size:           4
        .value_kind:     by_value
      - .offset:         144
        .size:           4
        .value_kind:     hidden_block_count_x
      - .offset:         148
        .size:           4
        .value_kind:     hidden_block_count_y
      - .offset:         152
        .size:           4
        .value_kind:     hidden_block_count_z
      - .offset:         156
        .size:           2
        .value_kind:     hidden_group_size_x
      - .offset:         158
        .size:           2
        .value_kind:     hidden_group_size_y
      - .offset:         160
        .size:           2
        .value_kind:     hidden_group_size_z
      - .offset:         162
        .size:           2
        .value_kind:     hidden_remainder_x
      - .offset:         164
        .size:           2
        .value_kind:     hidden_remainder_y
      - .offset:         166
        .size:           2
        .value_kind:     hidden_remainder_z
      - .offset:         184
        .size:           8
        .value_kind:     hidden_global_offset_x
      - .offset:         192
        .size:           8
        .value_kind:     hidden_global_offset_y
      - .offset:         200
        .size:           8
        .value_kind:     hidden_global_offset_z
      - .offset:         208
        .size:           2
        .value_kind:     hidden_grid_dims
      - .offset:         264
        .size:           4
        .value_kind:     hidden_dynamic_lds_size
    .group_segment_fixed_size: 80
    .kernarg_segment_align: 8
    .kernarg_segment_size: 400
    .language:       OpenCL C
    .language_version:
      - 2
      - 0
    .max_flat_workgroup_size: 1024
    .name:           _ZN4vllm25paged_attention_v2_kernelIttLi32ELi16ELi128ELNS_18Fp8KVCacheDataTypeE0ELb1ELi512EEEvPfS2_PT_PKS3_PKT0_S9_ifPKiSB_iPKfiiiSD_SD_iiiii
    .private_segment_fixed_size: 0
    .sgpr_count:     56
    .sgpr_spill_count: 0
    .symbol:         _ZN4vllm25paged_attention_v2_kernelIttLi32ELi16ELi128ELNS_18Fp8KVCacheDataTypeE0ELb1ELi512EEEvPfS2_PT_PKS3_PKT0_S9_ifPKiSB_iPKfiiiSD_SD_iiiii.kd
    .uniform_work_group_size: 1
    .uses_dynamic_stack: false
    .vgpr_count:     37
    .vgpr_spill_count: 0
    .wavefront_size: 64
  - .agpr_count:     0
    .args:
      - .actual_access:  write_only
        .address_space:  global
        .offset:         0
        .size:           8
        .value_kind:     global_buffer
      - .actual_access:  write_only
        .address_space:  global
        .offset:         8
        .size:           8
        .value_kind:     global_buffer
      - .actual_access:  write_only
        .address_space:  global
        .offset:         16
        .size:           8
        .value_kind:     global_buffer
      - .actual_access:  read_only
        .address_space:  global
        .offset:         24
        .size:           8
        .value_kind:     global_buffer
      - .actual_access:  read_only
        .address_space:  global
        .offset:         32
        .size:           8
        .value_kind:     global_buffer
      - .actual_access:  read_only
        .address_space:  global
        .offset:         40
        .size:           8
        .value_kind:     global_buffer
      - .offset:         48
        .size:           4
        .value_kind:     by_value
      - .offset:         52
        .size:           4
        .value_kind:     by_value
      - .actual_access:  read_only
        .address_space:  global
        .offset:         56
        .size:           8
        .value_kind:     global_buffer
      - .actual_access:  read_only
        .address_space:  global
        .offset:         64
        .size:           8
        .value_kind:     global_buffer
      - .offset:         72
        .size:           4
        .value_kind:     by_value
      - .actual_access:  read_only
        .address_space:  global
        .offset:         80
        .size:           8
        .value_kind:     global_buffer
      - .offset:         88
        .size:           4
        .value_kind:     by_value
      - .offset:         92
        .size:           4
        .value_kind:     by_value
      - .offset:         96
        .size:           4
        .value_kind:     by_value
      - .address_space:  global
        .offset:         104
        .size:           8
        .value_kind:     global_buffer
      - .address_space:  global
        .offset:         112
        .size:           8
        .value_kind:     global_buffer
      - .offset:         120
        .size:           4
        .value_kind:     by_value
      - .offset:         124
        .size:           4
        .value_kind:     by_value
      - .offset:         128
        .size:           4
        .value_kind:     by_value
      - .offset:         132
        .size:           4
        .value_kind:     by_value
      - .offset:         136
        .size:           4
        .value_kind:     by_value
      - .offset:         144
        .size:           4
        .value_kind:     hidden_block_count_x
      - .offset:         148
        .size:           4
        .value_kind:     hidden_block_count_y
      - .offset:         152
        .size:           4
        .value_kind:     hidden_block_count_z
      - .offset:         156
        .size:           2
        .value_kind:     hidden_group_size_x
      - .offset:         158
        .size:           2
        .value_kind:     hidden_group_size_y
      - .offset:         160
        .size:           2
        .value_kind:     hidden_group_size_z
      - .offset:         162
        .size:           2
        .value_kind:     hidden_remainder_x
      - .offset:         164
        .size:           2
        .value_kind:     hidden_remainder_y
      - .offset:         166
        .size:           2
        .value_kind:     hidden_remainder_z
      - .offset:         184
        .size:           8
        .value_kind:     hidden_global_offset_x
      - .offset:         192
        .size:           8
        .value_kind:     hidden_global_offset_y
      - .offset:         200
        .size:           8
        .value_kind:     hidden_global_offset_z
      - .offset:         208
        .size:           2
        .value_kind:     hidden_grid_dims
      - .offset:         264
        .size:           4
        .value_kind:     hidden_dynamic_lds_size
    .group_segment_fixed_size: 144
    .kernarg_segment_align: 8
    .kernarg_segment_size: 400
    .language:       OpenCL C
    .language_version:
      - 2
      - 0
    .max_flat_workgroup_size: 1024
    .name:           _ZN4vllm25paged_attention_v2_kernelIttLi64ELi16ELi128ELNS_18Fp8KVCacheDataTypeE0ELb1ELi512EEEvPfS2_PT_PKS3_PKT0_S9_ifPKiSB_iPKfiiiSD_SD_iiiii
    .private_segment_fixed_size: 0
    .sgpr_count:     56
    .sgpr_spill_count: 0
    .symbol:         _ZN4vllm25paged_attention_v2_kernelIttLi64ELi16ELi128ELNS_18Fp8KVCacheDataTypeE0ELb1ELi512EEEvPfS2_PT_PKS3_PKT0_S9_ifPKiSB_iPKfiiiSD_SD_iiiii.kd
    .uniform_work_group_size: 1
    .uses_dynamic_stack: false
    .vgpr_count:     49
    .vgpr_spill_count: 0
    .wavefront_size: 64
  - .agpr_count:     0
    .args:
      - .actual_access:  write_only
        .address_space:  global
        .offset:         0
        .size:           8
        .value_kind:     global_buffer
      - .actual_access:  write_only
        .address_space:  global
        .offset:         8
        .size:           8
        .value_kind:     global_buffer
      - .actual_access:  write_only
        .address_space:  global
        .offset:         16
        .size:           8
        .value_kind:     global_buffer
      - .actual_access:  read_only
        .address_space:  global
        .offset:         24
        .size:           8
        .value_kind:     global_buffer
      - .actual_access:  read_only
        .address_space:  global
        .offset:         32
        .size:           8
        .value_kind:     global_buffer
      - .actual_access:  read_only
        .address_space:  global
        .offset:         40
        .size:           8
        .value_kind:     global_buffer
      - .offset:         48
        .size:           4
        .value_kind:     by_value
      - .offset:         52
        .size:           4
        .value_kind:     by_value
      - .actual_access:  read_only
        .address_space:  global
        .offset:         56
        .size:           8
        .value_kind:     global_buffer
      - .actual_access:  read_only
        .address_space:  global
        .offset:         64
        .size:           8
        .value_kind:     global_buffer
      - .offset:         72
        .size:           4
        .value_kind:     by_value
      - .actual_access:  read_only
        .address_space:  global
        .offset:         80
        .size:           8
        .value_kind:     global_buffer
      - .offset:         88
        .size:           4
        .value_kind:     by_value
      - .offset:         92
        .size:           4
        .value_kind:     by_value
      - .offset:         96
        .size:           4
        .value_kind:     by_value
      - .address_space:  global
        .offset:         104
        .size:           8
        .value_kind:     global_buffer
      - .address_space:  global
        .offset:         112
        .size:           8
        .value_kind:     global_buffer
      - .offset:         120
        .size:           4
        .value_kind:     by_value
      - .offset:         124
        .size:           4
        .value_kind:     by_value
      - .offset:         128
        .size:           4
        .value_kind:     by_value
      - .offset:         132
        .size:           4
        .value_kind:     by_value
      - .offset:         136
        .size:           4
        .value_kind:     by_value
      - .offset:         144
        .size:           4
        .value_kind:     hidden_block_count_x
      - .offset:         148
        .size:           4
        .value_kind:     hidden_block_count_y
      - .offset:         152
        .size:           4
        .value_kind:     hidden_block_count_z
      - .offset:         156
        .size:           2
        .value_kind:     hidden_group_size_x
      - .offset:         158
        .size:           2
        .value_kind:     hidden_group_size_y
      - .offset:         160
        .size:           2
        .value_kind:     hidden_group_size_z
      - .offset:         162
        .size:           2
        .value_kind:     hidden_remainder_x
      - .offset:         164
        .size:           2
        .value_kind:     hidden_remainder_y
      - .offset:         166
        .size:           2
        .value_kind:     hidden_remainder_z
      - .offset:         184
        .size:           8
        .value_kind:     hidden_global_offset_x
      - .offset:         192
        .size:           8
        .value_kind:     hidden_global_offset_y
      - .offset:         200
        .size:           8
        .value_kind:     hidden_global_offset_z
      - .offset:         208
        .size:           2
        .value_kind:     hidden_grid_dims
      - .offset:         264
        .size:           4
        .value_kind:     hidden_dynamic_lds_size
    .group_segment_fixed_size: 176
    .kernarg_segment_align: 8
    .kernarg_segment_size: 400
    .language:       OpenCL C
    .language_version:
      - 2
      - 0
    .max_flat_workgroup_size: 1024
    .name:           _ZN4vllm25paged_attention_v2_kernelIttLi80ELi16ELi128ELNS_18Fp8KVCacheDataTypeE0ELb1ELi512EEEvPfS2_PT_PKS3_PKT0_S9_ifPKiSB_iPKfiiiSD_SD_iiiii
    .private_segment_fixed_size: 0
    .sgpr_count:     56
    .sgpr_spill_count: 0
    .symbol:         _ZN4vllm25paged_attention_v2_kernelIttLi80ELi16ELi128ELNS_18Fp8KVCacheDataTypeE0ELb1ELi512EEEvPfS2_PT_PKS3_PKT0_S9_ifPKiSB_iPKfiiiSD_SD_iiiii.kd
    .uniform_work_group_size: 1
    .uses_dynamic_stack: false
    .vgpr_count:     55
    .vgpr_spill_count: 0
    .wavefront_size: 64
  - .agpr_count:     0
    .args:
      - .actual_access:  write_only
        .address_space:  global
        .offset:         0
        .size:           8
        .value_kind:     global_buffer
      - .actual_access:  write_only
        .address_space:  global
        .offset:         8
        .size:           8
        .value_kind:     global_buffer
      - .actual_access:  write_only
        .address_space:  global
        .offset:         16
        .size:           8
        .value_kind:     global_buffer
      - .actual_access:  read_only
        .address_space:  global
        .offset:         24
        .size:           8
        .value_kind:     global_buffer
      - .actual_access:  read_only
        .address_space:  global
        .offset:         32
        .size:           8
        .value_kind:     global_buffer
      - .actual_access:  read_only
        .address_space:  global
        .offset:         40
        .size:           8
        .value_kind:     global_buffer
      - .offset:         48
        .size:           4
        .value_kind:     by_value
      - .offset:         52
        .size:           4
        .value_kind:     by_value
      - .actual_access:  read_only
        .address_space:  global
        .offset:         56
        .size:           8
        .value_kind:     global_buffer
      - .actual_access:  read_only
        .address_space:  global
        .offset:         64
        .size:           8
        .value_kind:     global_buffer
      - .offset:         72
        .size:           4
        .value_kind:     by_value
      - .actual_access:  read_only
        .address_space:  global
        .offset:         80
        .size:           8
        .value_kind:     global_buffer
      - .offset:         88
        .size:           4
        .value_kind:     by_value
      - .offset:         92
        .size:           4
        .value_kind:     by_value
      - .offset:         96
        .size:           4
        .value_kind:     by_value
      - .address_space:  global
        .offset:         104
        .size:           8
        .value_kind:     global_buffer
      - .address_space:  global
        .offset:         112
        .size:           8
        .value_kind:     global_buffer
      - .offset:         120
        .size:           4
        .value_kind:     by_value
      - .offset:         124
        .size:           4
        .value_kind:     by_value
      - .offset:         128
        .size:           4
        .value_kind:     by_value
      - .offset:         132
        .size:           4
        .value_kind:     by_value
      - .offset:         136
        .size:           4
        .value_kind:     by_value
      - .offset:         144
        .size:           4
        .value_kind:     hidden_block_count_x
      - .offset:         148
        .size:           4
        .value_kind:     hidden_block_count_y
      - .offset:         152
        .size:           4
        .value_kind:     hidden_block_count_z
      - .offset:         156
        .size:           2
        .value_kind:     hidden_group_size_x
      - .offset:         158
        .size:           2
        .value_kind:     hidden_group_size_y
      - .offset:         160
        .size:           2
        .value_kind:     hidden_group_size_z
      - .offset:         162
        .size:           2
        .value_kind:     hidden_remainder_x
      - .offset:         164
        .size:           2
        .value_kind:     hidden_remainder_y
      - .offset:         166
        .size:           2
        .value_kind:     hidden_remainder_z
      - .offset:         184
        .size:           8
        .value_kind:     hidden_global_offset_x
      - .offset:         192
        .size:           8
        .value_kind:     hidden_global_offset_y
      - .offset:         200
        .size:           8
        .value_kind:     hidden_global_offset_z
      - .offset:         208
        .size:           2
        .value_kind:     hidden_grid_dims
      - .offset:         264
        .size:           4
        .value_kind:     hidden_dynamic_lds_size
    .group_segment_fixed_size: 208
    .kernarg_segment_align: 8
    .kernarg_segment_size: 400
    .language:       OpenCL C
    .language_version:
      - 2
      - 0
    .max_flat_workgroup_size: 1024
    .name:           _ZN4vllm25paged_attention_v2_kernelIttLi96ELi16ELi128ELNS_18Fp8KVCacheDataTypeE0ELb1ELi512EEEvPfS2_PT_PKS3_PKT0_S9_ifPKiSB_iPKfiiiSD_SD_iiiii
    .private_segment_fixed_size: 0
    .sgpr_count:     56
    .sgpr_spill_count: 0
    .symbol:         _ZN4vllm25paged_attention_v2_kernelIttLi96ELi16ELi128ELNS_18Fp8KVCacheDataTypeE0ELb1ELi512EEEvPfS2_PT_PKS3_PKT0_S9_ifPKiSB_iPKfiiiSD_SD_iiiii.kd
    .uniform_work_group_size: 1
    .uses_dynamic_stack: false
    .vgpr_count:     61
    .vgpr_spill_count: 0
    .wavefront_size: 64
  - .agpr_count:     0
    .args:
      - .actual_access:  write_only
        .address_space:  global
        .offset:         0
        .size:           8
        .value_kind:     global_buffer
      - .actual_access:  write_only
        .address_space:  global
        .offset:         8
        .size:           8
        .value_kind:     global_buffer
      - .actual_access:  write_only
        .address_space:  global
        .offset:         16
        .size:           8
        .value_kind:     global_buffer
      - .actual_access:  read_only
        .address_space:  global
        .offset:         24
        .size:           8
        .value_kind:     global_buffer
      - .actual_access:  read_only
        .address_space:  global
        .offset:         32
        .size:           8
        .value_kind:     global_buffer
      - .actual_access:  read_only
        .address_space:  global
        .offset:         40
        .size:           8
        .value_kind:     global_buffer
      - .offset:         48
        .size:           4
        .value_kind:     by_value
      - .offset:         52
        .size:           4
        .value_kind:     by_value
      - .actual_access:  read_only
        .address_space:  global
        .offset:         56
        .size:           8
        .value_kind:     global_buffer
      - .actual_access:  read_only
        .address_space:  global
        .offset:         64
        .size:           8
        .value_kind:     global_buffer
      - .offset:         72
        .size:           4
        .value_kind:     by_value
      - .actual_access:  read_only
        .address_space:  global
        .offset:         80
        .size:           8
        .value_kind:     global_buffer
      - .offset:         88
        .size:           4
        .value_kind:     by_value
      - .offset:         92
        .size:           4
        .value_kind:     by_value
      - .offset:         96
        .size:           4
        .value_kind:     by_value
      - .address_space:  global
        .offset:         104
        .size:           8
        .value_kind:     global_buffer
      - .address_space:  global
        .offset:         112
        .size:           8
        .value_kind:     global_buffer
      - .offset:         120
        .size:           4
        .value_kind:     by_value
      - .offset:         124
        .size:           4
        .value_kind:     by_value
      - .offset:         128
        .size:           4
        .value_kind:     by_value
      - .offset:         132
        .size:           4
        .value_kind:     by_value
      - .offset:         136
        .size:           4
        .value_kind:     by_value
      - .offset:         144
        .size:           4
        .value_kind:     hidden_block_count_x
      - .offset:         148
        .size:           4
        .value_kind:     hidden_block_count_y
      - .offset:         152
        .size:           4
        .value_kind:     hidden_block_count_z
      - .offset:         156
        .size:           2
        .value_kind:     hidden_group_size_x
      - .offset:         158
        .size:           2
        .value_kind:     hidden_group_size_y
      - .offset:         160
        .size:           2
        .value_kind:     hidden_group_size_z
      - .offset:         162
        .size:           2
        .value_kind:     hidden_remainder_x
      - .offset:         164
        .size:           2
        .value_kind:     hidden_remainder_y
      - .offset:         166
        .size:           2
        .value_kind:     hidden_remainder_z
      - .offset:         184
        .size:           8
        .value_kind:     hidden_global_offset_x
      - .offset:         192
        .size:           8
        .value_kind:     hidden_global_offset_y
      - .offset:         200
        .size:           8
        .value_kind:     hidden_global_offset_z
      - .offset:         208
        .size:           2
        .value_kind:     hidden_grid_dims
      - .offset:         264
        .size:           4
        .value_kind:     hidden_dynamic_lds_size
    .group_segment_fixed_size: 240
    .kernarg_segment_align: 8
    .kernarg_segment_size: 400
    .language:       OpenCL C
    .language_version:
      - 2
      - 0
    .max_flat_workgroup_size: 1024
    .name:           _ZN4vllm25paged_attention_v2_kernelIttLi112ELi16ELi128ELNS_18Fp8KVCacheDataTypeE0ELb1ELi512EEEvPfS2_PT_PKS3_PKT0_S9_ifPKiSB_iPKfiiiSD_SD_iiiii
    .private_segment_fixed_size: 0
    .sgpr_count:     56
    .sgpr_spill_count: 0
    .symbol:         _ZN4vllm25paged_attention_v2_kernelIttLi112ELi16ELi128ELNS_18Fp8KVCacheDataTypeE0ELb1ELi512EEEvPfS2_PT_PKS3_PKT0_S9_ifPKiSB_iPKfiiiSD_SD_iiiii.kd
    .uniform_work_group_size: 1
    .uses_dynamic_stack: false
    .vgpr_count:     67
    .vgpr_spill_count: 0
    .wavefront_size: 64
  - .agpr_count:     0
    .args:
      - .actual_access:  write_only
        .address_space:  global
        .offset:         0
        .size:           8
        .value_kind:     global_buffer
      - .actual_access:  write_only
        .address_space:  global
        .offset:         8
        .size:           8
        .value_kind:     global_buffer
      - .actual_access:  write_only
        .address_space:  global
        .offset:         16
        .size:           8
        .value_kind:     global_buffer
      - .actual_access:  read_only
        .address_space:  global
        .offset:         24
        .size:           8
        .value_kind:     global_buffer
      - .actual_access:  read_only
        .address_space:  global
        .offset:         32
        .size:           8
        .value_kind:     global_buffer
      - .actual_access:  read_only
        .address_space:  global
        .offset:         40
        .size:           8
        .value_kind:     global_buffer
      - .offset:         48
        .size:           4
        .value_kind:     by_value
      - .offset:         52
        .size:           4
        .value_kind:     by_value
      - .actual_access:  read_only
        .address_space:  global
        .offset:         56
        .size:           8
        .value_kind:     global_buffer
      - .actual_access:  read_only
        .address_space:  global
        .offset:         64
        .size:           8
        .value_kind:     global_buffer
      - .offset:         72
        .size:           4
        .value_kind:     by_value
      - .actual_access:  read_only
        .address_space:  global
        .offset:         80
        .size:           8
        .value_kind:     global_buffer
      - .offset:         88
        .size:           4
        .value_kind:     by_value
      - .offset:         92
        .size:           4
        .value_kind:     by_value
      - .offset:         96
        .size:           4
        .value_kind:     by_value
      - .address_space:  global
        .offset:         104
        .size:           8
        .value_kind:     global_buffer
      - .address_space:  global
        .offset:         112
        .size:           8
        .value_kind:     global_buffer
      - .offset:         120
        .size:           4
        .value_kind:     by_value
      - .offset:         124
        .size:           4
        .value_kind:     by_value
      - .offset:         128
        .size:           4
        .value_kind:     by_value
      - .offset:         132
        .size:           4
        .value_kind:     by_value
      - .offset:         136
        .size:           4
        .value_kind:     by_value
      - .offset:         144
        .size:           4
        .value_kind:     hidden_block_count_x
      - .offset:         148
        .size:           4
        .value_kind:     hidden_block_count_y
      - .offset:         152
        .size:           4
        .value_kind:     hidden_block_count_z
      - .offset:         156
        .size:           2
        .value_kind:     hidden_group_size_x
      - .offset:         158
        .size:           2
        .value_kind:     hidden_group_size_y
      - .offset:         160
        .size:           2
        .value_kind:     hidden_group_size_z
      - .offset:         162
        .size:           2
        .value_kind:     hidden_remainder_x
      - .offset:         164
        .size:           2
        .value_kind:     hidden_remainder_y
      - .offset:         166
        .size:           2
        .value_kind:     hidden_remainder_z
      - .offset:         184
        .size:           8
        .value_kind:     hidden_global_offset_x
      - .offset:         192
        .size:           8
        .value_kind:     hidden_global_offset_y
      - .offset:         200
        .size:           8
        .value_kind:     hidden_global_offset_z
      - .offset:         208
        .size:           2
        .value_kind:     hidden_grid_dims
      - .offset:         264
        .size:           4
        .value_kind:     hidden_dynamic_lds_size
    .group_segment_fixed_size: 256
    .kernarg_segment_align: 8
    .kernarg_segment_size: 400
    .language:       OpenCL C
    .language_version:
      - 2
      - 0
    .max_flat_workgroup_size: 1024
    .name:           _ZN4vllm25paged_attention_v2_kernelIttLi120ELi16ELi128ELNS_18Fp8KVCacheDataTypeE0ELb1ELi512EEEvPfS2_PT_PKS3_PKT0_S9_ifPKiSB_iPKfiiiSD_SD_iiiii
    .private_segment_fixed_size: 0
    .sgpr_count:     56
    .sgpr_spill_count: 0
    .symbol:         _ZN4vllm25paged_attention_v2_kernelIttLi120ELi16ELi128ELNS_18Fp8KVCacheDataTypeE0ELb1ELi512EEEvPfS2_PT_PKS3_PKT0_S9_ifPKiSB_iPKfiiiSD_SD_iiiii.kd
    .uniform_work_group_size: 1
    .uses_dynamic_stack: false
    .vgpr_count:     71
    .vgpr_spill_count: 0
    .wavefront_size: 64
  - .agpr_count:     0
    .args:
      - .actual_access:  write_only
        .address_space:  global
        .offset:         0
        .size:           8
        .value_kind:     global_buffer
      - .actual_access:  write_only
        .address_space:  global
        .offset:         8
        .size:           8
        .value_kind:     global_buffer
      - .actual_access:  write_only
        .address_space:  global
        .offset:         16
        .size:           8
        .value_kind:     global_buffer
      - .actual_access:  read_only
        .address_space:  global
        .offset:         24
        .size:           8
        .value_kind:     global_buffer
      - .actual_access:  read_only
        .address_space:  global
        .offset:         32
        .size:           8
        .value_kind:     global_buffer
      - .actual_access:  read_only
        .address_space:  global
        .offset:         40
        .size:           8
        .value_kind:     global_buffer
      - .offset:         48
        .size:           4
        .value_kind:     by_value
      - .offset:         52
        .size:           4
        .value_kind:     by_value
      - .actual_access:  read_only
        .address_space:  global
        .offset:         56
        .size:           8
        .value_kind:     global_buffer
      - .actual_access:  read_only
        .address_space:  global
        .offset:         64
        .size:           8
        .value_kind:     global_buffer
      - .offset:         72
        .size:           4
        .value_kind:     by_value
      - .actual_access:  read_only
        .address_space:  global
        .offset:         80
        .size:           8
        .value_kind:     global_buffer
      - .offset:         88
        .size:           4
        .value_kind:     by_value
      - .offset:         92
        .size:           4
        .value_kind:     by_value
      - .offset:         96
        .size:           4
        .value_kind:     by_value
      - .address_space:  global
        .offset:         104
        .size:           8
        .value_kind:     global_buffer
      - .address_space:  global
        .offset:         112
        .size:           8
        .value_kind:     global_buffer
      - .offset:         120
        .size:           4
        .value_kind:     by_value
      - .offset:         124
        .size:           4
        .value_kind:     by_value
      - .offset:         128
        .size:           4
        .value_kind:     by_value
      - .offset:         132
        .size:           4
        .value_kind:     by_value
      - .offset:         136
        .size:           4
        .value_kind:     by_value
      - .offset:         144
        .size:           4
        .value_kind:     hidden_block_count_x
      - .offset:         148
        .size:           4
        .value_kind:     hidden_block_count_y
      - .offset:         152
        .size:           4
        .value_kind:     hidden_block_count_z
      - .offset:         156
        .size:           2
        .value_kind:     hidden_group_size_x
      - .offset:         158
        .size:           2
        .value_kind:     hidden_group_size_y
      - .offset:         160
        .size:           2
        .value_kind:     hidden_group_size_z
      - .offset:         162
        .size:           2
        .value_kind:     hidden_remainder_x
      - .offset:         164
        .size:           2
        .value_kind:     hidden_remainder_y
      - .offset:         166
        .size:           2
        .value_kind:     hidden_remainder_z
      - .offset:         184
        .size:           8
        .value_kind:     hidden_global_offset_x
      - .offset:         192
        .size:           8
        .value_kind:     hidden_global_offset_y
      - .offset:         200
        .size:           8
        .value_kind:     hidden_global_offset_z
      - .offset:         208
        .size:           2
        .value_kind:     hidden_grid_dims
      - .offset:         264
        .size:           4
        .value_kind:     hidden_dynamic_lds_size
    .group_segment_fixed_size: 272
    .kernarg_segment_align: 8
    .kernarg_segment_size: 400
    .language:       OpenCL C
    .language_version:
      - 2
      - 0
    .max_flat_workgroup_size: 1024
    .name:           _ZN4vllm25paged_attention_v2_kernelIttLi128ELi16ELi128ELNS_18Fp8KVCacheDataTypeE0ELb1ELi512EEEvPfS2_PT_PKS3_PKT0_S9_ifPKiSB_iPKfiiiSD_SD_iiiii
    .private_segment_fixed_size: 0
    .sgpr_count:     58
    .sgpr_spill_count: 0
    .symbol:         _ZN4vllm25paged_attention_v2_kernelIttLi128ELi16ELi128ELNS_18Fp8KVCacheDataTypeE0ELb1ELi512EEEvPfS2_PT_PKS3_PKT0_S9_ifPKiSB_iPKfiiiSD_SD_iiiii.kd
    .uniform_work_group_size: 1
    .uses_dynamic_stack: false
    .vgpr_count:     73
    .vgpr_spill_count: 0
    .wavefront_size: 64
  - .agpr_count:     0
    .args:
      - .actual_access:  write_only
        .address_space:  global
        .offset:         0
        .size:           8
        .value_kind:     global_buffer
      - .actual_access:  write_only
        .address_space:  global
        .offset:         8
        .size:           8
        .value_kind:     global_buffer
      - .actual_access:  write_only
        .address_space:  global
        .offset:         16
        .size:           8
        .value_kind:     global_buffer
      - .actual_access:  read_only
        .address_space:  global
        .offset:         24
        .size:           8
        .value_kind:     global_buffer
      - .actual_access:  read_only
        .address_space:  global
        .offset:         32
        .size:           8
        .value_kind:     global_buffer
      - .actual_access:  read_only
        .address_space:  global
        .offset:         40
        .size:           8
        .value_kind:     global_buffer
      - .offset:         48
        .size:           4
        .value_kind:     by_value
      - .offset:         52
        .size:           4
        .value_kind:     by_value
      - .actual_access:  read_only
        .address_space:  global
        .offset:         56
        .size:           8
        .value_kind:     global_buffer
      - .actual_access:  read_only
        .address_space:  global
        .offset:         64
        .size:           8
        .value_kind:     global_buffer
      - .offset:         72
        .size:           4
        .value_kind:     by_value
      - .actual_access:  read_only
        .address_space:  global
        .offset:         80
        .size:           8
        .value_kind:     global_buffer
      - .offset:         88
        .size:           4
        .value_kind:     by_value
      - .offset:         92
        .size:           4
        .value_kind:     by_value
      - .offset:         96
        .size:           4
        .value_kind:     by_value
      - .address_space:  global
        .offset:         104
        .size:           8
        .value_kind:     global_buffer
      - .address_space:  global
        .offset:         112
        .size:           8
        .value_kind:     global_buffer
      - .offset:         120
        .size:           4
        .value_kind:     by_value
      - .offset:         124
        .size:           4
        .value_kind:     by_value
      - .offset:         128
        .size:           4
        .value_kind:     by_value
      - .offset:         132
        .size:           4
        .value_kind:     by_value
      - .offset:         136
        .size:           4
        .value_kind:     by_value
      - .offset:         144
        .size:           4
        .value_kind:     hidden_block_count_x
      - .offset:         148
        .size:           4
        .value_kind:     hidden_block_count_y
      - .offset:         152
        .size:           4
        .value_kind:     hidden_block_count_z
      - .offset:         156
        .size:           2
        .value_kind:     hidden_group_size_x
      - .offset:         158
        .size:           2
        .value_kind:     hidden_group_size_y
      - .offset:         160
        .size:           2
        .value_kind:     hidden_group_size_z
      - .offset:         162
        .size:           2
        .value_kind:     hidden_remainder_x
      - .offset:         164
        .size:           2
        .value_kind:     hidden_remainder_y
      - .offset:         166
        .size:           2
        .value_kind:     hidden_remainder_z
      - .offset:         184
        .size:           8
        .value_kind:     hidden_global_offset_x
      - .offset:         192
        .size:           8
        .value_kind:     hidden_global_offset_y
      - .offset:         200
        .size:           8
        .value_kind:     hidden_global_offset_z
      - .offset:         208
        .size:           2
        .value_kind:     hidden_grid_dims
      - .offset:         264
        .size:           4
        .value_kind:     hidden_dynamic_lds_size
    .group_segment_fixed_size: 400
    .kernarg_segment_align: 8
    .kernarg_segment_size: 400
    .language:       OpenCL C
    .language_version:
      - 2
      - 0
    .max_flat_workgroup_size: 1024
    .name:           _ZN4vllm25paged_attention_v2_kernelIttLi192ELi16ELi128ELNS_18Fp8KVCacheDataTypeE0ELb1ELi512EEEvPfS2_PT_PKS3_PKT0_S9_ifPKiSB_iPKfiiiSD_SD_iiiii
    .private_segment_fixed_size: 0
    .sgpr_count:     57
    .sgpr_spill_count: 0
    .symbol:         _ZN4vllm25paged_attention_v2_kernelIttLi192ELi16ELi128ELNS_18Fp8KVCacheDataTypeE0ELb1ELi512EEEvPfS2_PT_PKS3_PKT0_S9_ifPKiSB_iPKfiiiSD_SD_iiiii.kd
    .uniform_work_group_size: 1
    .uses_dynamic_stack: false
    .vgpr_count:     90
    .vgpr_spill_count: 0
    .wavefront_size: 64
  - .agpr_count:     0
    .args:
      - .actual_access:  write_only
        .address_space:  global
        .offset:         0
        .size:           8
        .value_kind:     global_buffer
      - .actual_access:  write_only
        .address_space:  global
        .offset:         8
        .size:           8
        .value_kind:     global_buffer
      - .actual_access:  write_only
        .address_space:  global
        .offset:         16
        .size:           8
        .value_kind:     global_buffer
      - .actual_access:  read_only
        .address_space:  global
        .offset:         24
        .size:           8
        .value_kind:     global_buffer
      - .actual_access:  read_only
        .address_space:  global
        .offset:         32
        .size:           8
        .value_kind:     global_buffer
      - .actual_access:  read_only
        .address_space:  global
        .offset:         40
        .size:           8
        .value_kind:     global_buffer
      - .offset:         48
        .size:           4
        .value_kind:     by_value
      - .offset:         52
        .size:           4
        .value_kind:     by_value
      - .actual_access:  read_only
        .address_space:  global
        .offset:         56
        .size:           8
        .value_kind:     global_buffer
      - .actual_access:  read_only
        .address_space:  global
        .offset:         64
        .size:           8
        .value_kind:     global_buffer
      - .offset:         72
        .size:           4
        .value_kind:     by_value
      - .actual_access:  read_only
        .address_space:  global
        .offset:         80
        .size:           8
        .value_kind:     global_buffer
      - .offset:         88
        .size:           4
        .value_kind:     by_value
      - .offset:         92
        .size:           4
        .value_kind:     by_value
      - .offset:         96
        .size:           4
        .value_kind:     by_value
      - .address_space:  global
        .offset:         104
        .size:           8
        .value_kind:     global_buffer
      - .address_space:  global
        .offset:         112
        .size:           8
        .value_kind:     global_buffer
      - .offset:         120
        .size:           4
        .value_kind:     by_value
      - .offset:         124
        .size:           4
        .value_kind:     by_value
      - .offset:         128
        .size:           4
        .value_kind:     by_value
      - .offset:         132
        .size:           4
        .value_kind:     by_value
      - .offset:         136
        .size:           4
        .value_kind:     by_value
      - .offset:         144
        .size:           4
        .value_kind:     hidden_block_count_x
      - .offset:         148
        .size:           4
        .value_kind:     hidden_block_count_y
      - .offset:         152
        .size:           4
        .value_kind:     hidden_block_count_z
      - .offset:         156
        .size:           2
        .value_kind:     hidden_group_size_x
      - .offset:         158
        .size:           2
        .value_kind:     hidden_group_size_y
      - .offset:         160
        .size:           2
        .value_kind:     hidden_group_size_z
      - .offset:         162
        .size:           2
        .value_kind:     hidden_remainder_x
      - .offset:         164
        .size:           2
        .value_kind:     hidden_remainder_y
      - .offset:         166
        .size:           2
        .value_kind:     hidden_remainder_z
      - .offset:         184
        .size:           8
        .value_kind:     hidden_global_offset_x
      - .offset:         192
        .size:           8
        .value_kind:     hidden_global_offset_y
      - .offset:         200
        .size:           8
        .value_kind:     hidden_global_offset_z
      - .offset:         208
        .size:           2
        .value_kind:     hidden_grid_dims
      - .offset:         264
        .size:           4
        .value_kind:     hidden_dynamic_lds_size
    .group_segment_fixed_size: 528
    .kernarg_segment_align: 8
    .kernarg_segment_size: 400
    .language:       OpenCL C
    .language_version:
      - 2
      - 0
    .max_flat_workgroup_size: 1024
    .name:           _ZN4vllm25paged_attention_v2_kernelIttLi256ELi16ELi128ELNS_18Fp8KVCacheDataTypeE0ELb1ELi512EEEvPfS2_PT_PKS3_PKT0_S9_ifPKiSB_iPKfiiiSD_SD_iiiii
    .private_segment_fixed_size: 0
    .sgpr_count:     57
    .sgpr_spill_count: 0
    .symbol:         _ZN4vllm25paged_attention_v2_kernelIttLi256ELi16ELi128ELNS_18Fp8KVCacheDataTypeE0ELb1ELi512EEEvPfS2_PT_PKS3_PKT0_S9_ifPKiSB_iPKfiiiSD_SD_iiiii.kd
    .uniform_work_group_size: 1
    .uses_dynamic_stack: false
    .vgpr_count:     91
    .vgpr_spill_count: 0
    .wavefront_size: 64
  - .agpr_count:     0
    .args:
      - .actual_access:  write_only
        .address_space:  global
        .offset:         0
        .size:           8
        .value_kind:     global_buffer
      - .actual_access:  write_only
        .address_space:  global
        .offset:         8
        .size:           8
        .value_kind:     global_buffer
      - .actual_access:  write_only
        .address_space:  global
        .offset:         16
        .size:           8
        .value_kind:     global_buffer
      - .actual_access:  read_only
        .address_space:  global
        .offset:         24
        .size:           8
        .value_kind:     global_buffer
      - .actual_access:  read_only
        .address_space:  global
        .offset:         32
        .size:           8
        .value_kind:     global_buffer
      - .actual_access:  read_only
        .address_space:  global
        .offset:         40
        .size:           8
        .value_kind:     global_buffer
      - .offset:         48
        .size:           4
        .value_kind:     by_value
      - .offset:         52
        .size:           4
        .value_kind:     by_value
      - .actual_access:  read_only
        .address_space:  global
        .offset:         56
        .size:           8
        .value_kind:     global_buffer
      - .actual_access:  read_only
        .address_space:  global
        .offset:         64
        .size:           8
        .value_kind:     global_buffer
      - .offset:         72
        .size:           4
        .value_kind:     by_value
      - .actual_access:  read_only
        .address_space:  global
        .offset:         80
        .size:           8
        .value_kind:     global_buffer
      - .offset:         88
        .size:           4
        .value_kind:     by_value
      - .offset:         92
        .size:           4
        .value_kind:     by_value
      - .offset:         96
        .size:           4
        .value_kind:     by_value
      - .address_space:  global
        .offset:         104
        .size:           8
        .value_kind:     global_buffer
      - .address_space:  global
        .offset:         112
        .size:           8
        .value_kind:     global_buffer
      - .offset:         120
        .size:           4
        .value_kind:     by_value
      - .offset:         124
        .size:           4
        .value_kind:     by_value
      - .offset:         128
        .size:           4
        .value_kind:     by_value
      - .offset:         132
        .size:           4
        .value_kind:     by_value
      - .offset:         136
        .size:           4
        .value_kind:     by_value
      - .offset:         144
        .size:           4
        .value_kind:     hidden_block_count_x
      - .offset:         148
        .size:           4
        .value_kind:     hidden_block_count_y
      - .offset:         152
        .size:           4
        .value_kind:     hidden_block_count_z
      - .offset:         156
        .size:           2
        .value_kind:     hidden_group_size_x
      - .offset:         158
        .size:           2
        .value_kind:     hidden_group_size_y
      - .offset:         160
        .size:           2
        .value_kind:     hidden_group_size_z
      - .offset:         162
        .size:           2
        .value_kind:     hidden_remainder_x
      - .offset:         164
        .size:           2
        .value_kind:     hidden_remainder_y
      - .offset:         166
        .size:           2
        .value_kind:     hidden_remainder_z
      - .offset:         184
        .size:           8
        .value_kind:     hidden_global_offset_x
      - .offset:         192
        .size:           8
        .value_kind:     hidden_global_offset_y
      - .offset:         200
        .size:           8
        .value_kind:     hidden_global_offset_z
      - .offset:         208
        .size:           2
        .value_kind:     hidden_grid_dims
      - .offset:         264
        .size:           4
        .value_kind:     hidden_dynamic_lds_size
    .group_segment_fixed_size: 80
    .kernarg_segment_align: 8
    .kernarg_segment_size: 400
    .language:       OpenCL C
    .language_version:
      - 2
      - 0
    .max_flat_workgroup_size: 1024
    .name:           _ZN4vllm25paged_attention_v2_kernelIttLi32ELi16ELi128ELNS_18Fp8KVCacheDataTypeE0ELb0ELi512EEEvPfS2_PT_PKS3_PKT0_S9_ifPKiSB_iPKfiiiSD_SD_iiiii
    .private_segment_fixed_size: 0
    .sgpr_count:     46
    .sgpr_spill_count: 0
    .symbol:         _ZN4vllm25paged_attention_v2_kernelIttLi32ELi16ELi128ELNS_18Fp8KVCacheDataTypeE0ELb0ELi512EEEvPfS2_PT_PKS3_PKT0_S9_ifPKiSB_iPKfiiiSD_SD_iiiii.kd
    .uniform_work_group_size: 1
    .uses_dynamic_stack: false
    .vgpr_count:     32
    .vgpr_spill_count: 0
    .wavefront_size: 64
  - .agpr_count:     0
    .args:
      - .actual_access:  write_only
        .address_space:  global
        .offset:         0
        .size:           8
        .value_kind:     global_buffer
      - .actual_access:  write_only
        .address_space:  global
        .offset:         8
        .size:           8
        .value_kind:     global_buffer
      - .actual_access:  write_only
        .address_space:  global
        .offset:         16
        .size:           8
        .value_kind:     global_buffer
      - .actual_access:  read_only
        .address_space:  global
        .offset:         24
        .size:           8
        .value_kind:     global_buffer
      - .actual_access:  read_only
        .address_space:  global
        .offset:         32
        .size:           8
        .value_kind:     global_buffer
      - .actual_access:  read_only
        .address_space:  global
        .offset:         40
        .size:           8
        .value_kind:     global_buffer
      - .offset:         48
        .size:           4
        .value_kind:     by_value
      - .offset:         52
        .size:           4
        .value_kind:     by_value
      - .actual_access:  read_only
        .address_space:  global
        .offset:         56
        .size:           8
        .value_kind:     global_buffer
      - .actual_access:  read_only
        .address_space:  global
        .offset:         64
        .size:           8
        .value_kind:     global_buffer
      - .offset:         72
        .size:           4
        .value_kind:     by_value
      - .actual_access:  read_only
        .address_space:  global
        .offset:         80
        .size:           8
        .value_kind:     global_buffer
      - .offset:         88
        .size:           4
        .value_kind:     by_value
      - .offset:         92
        .size:           4
        .value_kind:     by_value
      - .offset:         96
        .size:           4
        .value_kind:     by_value
      - .address_space:  global
        .offset:         104
        .size:           8
        .value_kind:     global_buffer
      - .address_space:  global
        .offset:         112
        .size:           8
        .value_kind:     global_buffer
      - .offset:         120
        .size:           4
        .value_kind:     by_value
      - .offset:         124
        .size:           4
        .value_kind:     by_value
      - .offset:         128
        .size:           4
        .value_kind:     by_value
      - .offset:         132
        .size:           4
        .value_kind:     by_value
      - .offset:         136
        .size:           4
        .value_kind:     by_value
      - .offset:         144
        .size:           4
        .value_kind:     hidden_block_count_x
      - .offset:         148
        .size:           4
        .value_kind:     hidden_block_count_y
      - .offset:         152
        .size:           4
        .value_kind:     hidden_block_count_z
      - .offset:         156
        .size:           2
        .value_kind:     hidden_group_size_x
      - .offset:         158
        .size:           2
        .value_kind:     hidden_group_size_y
      - .offset:         160
        .size:           2
        .value_kind:     hidden_group_size_z
      - .offset:         162
        .size:           2
        .value_kind:     hidden_remainder_x
      - .offset:         164
        .size:           2
        .value_kind:     hidden_remainder_y
      - .offset:         166
        .size:           2
        .value_kind:     hidden_remainder_z
      - .offset:         184
        .size:           8
        .value_kind:     hidden_global_offset_x
      - .offset:         192
        .size:           8
        .value_kind:     hidden_global_offset_y
      - .offset:         200
        .size:           8
        .value_kind:     hidden_global_offset_z
      - .offset:         208
        .size:           2
        .value_kind:     hidden_grid_dims
      - .offset:         264
        .size:           4
        .value_kind:     hidden_dynamic_lds_size
    .group_segment_fixed_size: 144
    .kernarg_segment_align: 8
    .kernarg_segment_size: 400
    .language:       OpenCL C
    .language_version:
      - 2
      - 0
    .max_flat_workgroup_size: 1024
    .name:           _ZN4vllm25paged_attention_v2_kernelIttLi64ELi16ELi128ELNS_18Fp8KVCacheDataTypeE0ELb0ELi512EEEvPfS2_PT_PKS3_PKT0_S9_ifPKiSB_iPKfiiiSD_SD_iiiii
    .private_segment_fixed_size: 0
    .sgpr_count:     46
    .sgpr_spill_count: 0
    .symbol:         _ZN4vllm25paged_attention_v2_kernelIttLi64ELi16ELi128ELNS_18Fp8KVCacheDataTypeE0ELb0ELi512EEEvPfS2_PT_PKS3_PKT0_S9_ifPKiSB_iPKfiiiSD_SD_iiiii.kd
    .uniform_work_group_size: 1
    .uses_dynamic_stack: false
    .vgpr_count:     44
    .vgpr_spill_count: 0
    .wavefront_size: 64
  - .agpr_count:     0
    .args:
      - .actual_access:  write_only
        .address_space:  global
        .offset:         0
        .size:           8
        .value_kind:     global_buffer
      - .actual_access:  write_only
        .address_space:  global
        .offset:         8
        .size:           8
        .value_kind:     global_buffer
      - .actual_access:  write_only
        .address_space:  global
        .offset:         16
        .size:           8
        .value_kind:     global_buffer
      - .actual_access:  read_only
        .address_space:  global
        .offset:         24
        .size:           8
        .value_kind:     global_buffer
      - .actual_access:  read_only
        .address_space:  global
        .offset:         32
        .size:           8
        .value_kind:     global_buffer
      - .actual_access:  read_only
        .address_space:  global
        .offset:         40
        .size:           8
        .value_kind:     global_buffer
      - .offset:         48
        .size:           4
        .value_kind:     by_value
      - .offset:         52
        .size:           4
        .value_kind:     by_value
      - .actual_access:  read_only
        .address_space:  global
        .offset:         56
        .size:           8
        .value_kind:     global_buffer
      - .actual_access:  read_only
        .address_space:  global
        .offset:         64
        .size:           8
        .value_kind:     global_buffer
      - .offset:         72
        .size:           4
        .value_kind:     by_value
      - .actual_access:  read_only
        .address_space:  global
        .offset:         80
        .size:           8
        .value_kind:     global_buffer
      - .offset:         88
        .size:           4
        .value_kind:     by_value
      - .offset:         92
        .size:           4
        .value_kind:     by_value
      - .offset:         96
        .size:           4
        .value_kind:     by_value
      - .address_space:  global
        .offset:         104
        .size:           8
        .value_kind:     global_buffer
      - .address_space:  global
        .offset:         112
        .size:           8
        .value_kind:     global_buffer
      - .offset:         120
        .size:           4
        .value_kind:     by_value
      - .offset:         124
        .size:           4
        .value_kind:     by_value
      - .offset:         128
        .size:           4
        .value_kind:     by_value
      - .offset:         132
        .size:           4
        .value_kind:     by_value
      - .offset:         136
        .size:           4
        .value_kind:     by_value
      - .offset:         144
        .size:           4
        .value_kind:     hidden_block_count_x
      - .offset:         148
        .size:           4
        .value_kind:     hidden_block_count_y
      - .offset:         152
        .size:           4
        .value_kind:     hidden_block_count_z
      - .offset:         156
        .size:           2
        .value_kind:     hidden_group_size_x
      - .offset:         158
        .size:           2
        .value_kind:     hidden_group_size_y
      - .offset:         160
        .size:           2
        .value_kind:     hidden_group_size_z
      - .offset:         162
        .size:           2
        .value_kind:     hidden_remainder_x
      - .offset:         164
        .size:           2
        .value_kind:     hidden_remainder_y
      - .offset:         166
        .size:           2
        .value_kind:     hidden_remainder_z
      - .offset:         184
        .size:           8
        .value_kind:     hidden_global_offset_x
      - .offset:         192
        .size:           8
        .value_kind:     hidden_global_offset_y
      - .offset:         200
        .size:           8
        .value_kind:     hidden_global_offset_z
      - .offset:         208
        .size:           2
        .value_kind:     hidden_grid_dims
      - .offset:         264
        .size:           4
        .value_kind:     hidden_dynamic_lds_size
    .group_segment_fixed_size: 176
    .kernarg_segment_align: 8
    .kernarg_segment_size: 400
    .language:       OpenCL C
    .language_version:
      - 2
      - 0
    .max_flat_workgroup_size: 1024
    .name:           _ZN4vllm25paged_attention_v2_kernelIttLi80ELi16ELi128ELNS_18Fp8KVCacheDataTypeE0ELb0ELi512EEEvPfS2_PT_PKS3_PKT0_S9_ifPKiSB_iPKfiiiSD_SD_iiiii
    .private_segment_fixed_size: 0
    .sgpr_count:     46
    .sgpr_spill_count: 0
    .symbol:         _ZN4vllm25paged_attention_v2_kernelIttLi80ELi16ELi128ELNS_18Fp8KVCacheDataTypeE0ELb0ELi512EEEvPfS2_PT_PKS3_PKT0_S9_ifPKiSB_iPKfiiiSD_SD_iiiii.kd
    .uniform_work_group_size: 1
    .uses_dynamic_stack: false
    .vgpr_count:     50
    .vgpr_spill_count: 0
    .wavefront_size: 64
  - .agpr_count:     0
    .args:
      - .actual_access:  write_only
        .address_space:  global
        .offset:         0
        .size:           8
        .value_kind:     global_buffer
      - .actual_access:  write_only
        .address_space:  global
        .offset:         8
        .size:           8
        .value_kind:     global_buffer
      - .actual_access:  write_only
        .address_space:  global
        .offset:         16
        .size:           8
        .value_kind:     global_buffer
      - .actual_access:  read_only
        .address_space:  global
        .offset:         24
        .size:           8
        .value_kind:     global_buffer
      - .actual_access:  read_only
        .address_space:  global
        .offset:         32
        .size:           8
        .value_kind:     global_buffer
      - .actual_access:  read_only
        .address_space:  global
        .offset:         40
        .size:           8
        .value_kind:     global_buffer
      - .offset:         48
        .size:           4
        .value_kind:     by_value
      - .offset:         52
        .size:           4
        .value_kind:     by_value
      - .actual_access:  read_only
        .address_space:  global
        .offset:         56
        .size:           8
        .value_kind:     global_buffer
      - .actual_access:  read_only
        .address_space:  global
        .offset:         64
        .size:           8
        .value_kind:     global_buffer
      - .offset:         72
        .size:           4
        .value_kind:     by_value
      - .actual_access:  read_only
        .address_space:  global
        .offset:         80
        .size:           8
        .value_kind:     global_buffer
      - .offset:         88
        .size:           4
        .value_kind:     by_value
      - .offset:         92
        .size:           4
        .value_kind:     by_value
      - .offset:         96
        .size:           4
        .value_kind:     by_value
      - .address_space:  global
        .offset:         104
        .size:           8
        .value_kind:     global_buffer
      - .address_space:  global
        .offset:         112
        .size:           8
        .value_kind:     global_buffer
      - .offset:         120
        .size:           4
        .value_kind:     by_value
      - .offset:         124
        .size:           4
        .value_kind:     by_value
      - .offset:         128
        .size:           4
        .value_kind:     by_value
      - .offset:         132
        .size:           4
        .value_kind:     by_value
      - .offset:         136
        .size:           4
        .value_kind:     by_value
      - .offset:         144
        .size:           4
        .value_kind:     hidden_block_count_x
      - .offset:         148
        .size:           4
        .value_kind:     hidden_block_count_y
      - .offset:         152
        .size:           4
        .value_kind:     hidden_block_count_z
      - .offset:         156
        .size:           2
        .value_kind:     hidden_group_size_x
      - .offset:         158
        .size:           2
        .value_kind:     hidden_group_size_y
      - .offset:         160
        .size:           2
        .value_kind:     hidden_group_size_z
      - .offset:         162
        .size:           2
        .value_kind:     hidden_remainder_x
      - .offset:         164
        .size:           2
        .value_kind:     hidden_remainder_y
      - .offset:         166
        .size:           2
        .value_kind:     hidden_remainder_z
      - .offset:         184
        .size:           8
        .value_kind:     hidden_global_offset_x
      - .offset:         192
        .size:           8
        .value_kind:     hidden_global_offset_y
      - .offset:         200
        .size:           8
        .value_kind:     hidden_global_offset_z
      - .offset:         208
        .size:           2
        .value_kind:     hidden_grid_dims
      - .offset:         264
        .size:           4
        .value_kind:     hidden_dynamic_lds_size
    .group_segment_fixed_size: 208
    .kernarg_segment_align: 8
    .kernarg_segment_size: 400
    .language:       OpenCL C
    .language_version:
      - 2
      - 0
    .max_flat_workgroup_size: 1024
    .name:           _ZN4vllm25paged_attention_v2_kernelIttLi96ELi16ELi128ELNS_18Fp8KVCacheDataTypeE0ELb0ELi512EEEvPfS2_PT_PKS3_PKT0_S9_ifPKiSB_iPKfiiiSD_SD_iiiii
    .private_segment_fixed_size: 0
    .sgpr_count:     46
    .sgpr_spill_count: 0
    .symbol:         _ZN4vllm25paged_attention_v2_kernelIttLi96ELi16ELi128ELNS_18Fp8KVCacheDataTypeE0ELb0ELi512EEEvPfS2_PT_PKS3_PKT0_S9_ifPKiSB_iPKfiiiSD_SD_iiiii.kd
    .uniform_work_group_size: 1
    .uses_dynamic_stack: false
    .vgpr_count:     56
    .vgpr_spill_count: 0
    .wavefront_size: 64
  - .agpr_count:     0
    .args:
      - .actual_access:  write_only
        .address_space:  global
        .offset:         0
        .size:           8
        .value_kind:     global_buffer
      - .actual_access:  write_only
        .address_space:  global
        .offset:         8
        .size:           8
        .value_kind:     global_buffer
      - .actual_access:  write_only
        .address_space:  global
        .offset:         16
        .size:           8
        .value_kind:     global_buffer
      - .actual_access:  read_only
        .address_space:  global
        .offset:         24
        .size:           8
        .value_kind:     global_buffer
      - .actual_access:  read_only
        .address_space:  global
        .offset:         32
        .size:           8
        .value_kind:     global_buffer
      - .actual_access:  read_only
        .address_space:  global
        .offset:         40
        .size:           8
        .value_kind:     global_buffer
      - .offset:         48
        .size:           4
        .value_kind:     by_value
      - .offset:         52
        .size:           4
        .value_kind:     by_value
      - .actual_access:  read_only
        .address_space:  global
        .offset:         56
        .size:           8
        .value_kind:     global_buffer
      - .actual_access:  read_only
        .address_space:  global
        .offset:         64
        .size:           8
        .value_kind:     global_buffer
      - .offset:         72
        .size:           4
        .value_kind:     by_value
      - .actual_access:  read_only
        .address_space:  global
        .offset:         80
        .size:           8
        .value_kind:     global_buffer
      - .offset:         88
        .size:           4
        .value_kind:     by_value
      - .offset:         92
        .size:           4
        .value_kind:     by_value
      - .offset:         96
        .size:           4
        .value_kind:     by_value
      - .address_space:  global
        .offset:         104
        .size:           8
        .value_kind:     global_buffer
      - .address_space:  global
        .offset:         112
        .size:           8
        .value_kind:     global_buffer
      - .offset:         120
        .size:           4
        .value_kind:     by_value
      - .offset:         124
        .size:           4
        .value_kind:     by_value
      - .offset:         128
        .size:           4
        .value_kind:     by_value
      - .offset:         132
        .size:           4
        .value_kind:     by_value
      - .offset:         136
        .size:           4
        .value_kind:     by_value
      - .offset:         144
        .size:           4
        .value_kind:     hidden_block_count_x
      - .offset:         148
        .size:           4
        .value_kind:     hidden_block_count_y
      - .offset:         152
        .size:           4
        .value_kind:     hidden_block_count_z
      - .offset:         156
        .size:           2
        .value_kind:     hidden_group_size_x
      - .offset:         158
        .size:           2
        .value_kind:     hidden_group_size_y
      - .offset:         160
        .size:           2
        .value_kind:     hidden_group_size_z
      - .offset:         162
        .size:           2
        .value_kind:     hidden_remainder_x
      - .offset:         164
        .size:           2
        .value_kind:     hidden_remainder_y
      - .offset:         166
        .size:           2
        .value_kind:     hidden_remainder_z
      - .offset:         184
        .size:           8
        .value_kind:     hidden_global_offset_x
      - .offset:         192
        .size:           8
        .value_kind:     hidden_global_offset_y
      - .offset:         200
        .size:           8
        .value_kind:     hidden_global_offset_z
      - .offset:         208
        .size:           2
        .value_kind:     hidden_grid_dims
      - .offset:         264
        .size:           4
        .value_kind:     hidden_dynamic_lds_size
    .group_segment_fixed_size: 240
    .kernarg_segment_align: 8
    .kernarg_segment_size: 400
    .language:       OpenCL C
    .language_version:
      - 2
      - 0
    .max_flat_workgroup_size: 1024
    .name:           _ZN4vllm25paged_attention_v2_kernelIttLi112ELi16ELi128ELNS_18Fp8KVCacheDataTypeE0ELb0ELi512EEEvPfS2_PT_PKS3_PKT0_S9_ifPKiSB_iPKfiiiSD_SD_iiiii
    .private_segment_fixed_size: 0
    .sgpr_count:     46
    .sgpr_spill_count: 0
    .symbol:         _ZN4vllm25paged_attention_v2_kernelIttLi112ELi16ELi128ELNS_18Fp8KVCacheDataTypeE0ELb0ELi512EEEvPfS2_PT_PKS3_PKT0_S9_ifPKiSB_iPKfiiiSD_SD_iiiii.kd
    .uniform_work_group_size: 1
    .uses_dynamic_stack: false
    .vgpr_count:     62
    .vgpr_spill_count: 0
    .wavefront_size: 64
  - .agpr_count:     0
    .args:
      - .actual_access:  write_only
        .address_space:  global
        .offset:         0
        .size:           8
        .value_kind:     global_buffer
      - .actual_access:  write_only
        .address_space:  global
        .offset:         8
        .size:           8
        .value_kind:     global_buffer
      - .actual_access:  write_only
        .address_space:  global
        .offset:         16
        .size:           8
        .value_kind:     global_buffer
      - .actual_access:  read_only
        .address_space:  global
        .offset:         24
        .size:           8
        .value_kind:     global_buffer
      - .actual_access:  read_only
        .address_space:  global
        .offset:         32
        .size:           8
        .value_kind:     global_buffer
      - .actual_access:  read_only
        .address_space:  global
        .offset:         40
        .size:           8
        .value_kind:     global_buffer
      - .offset:         48
        .size:           4
        .value_kind:     by_value
      - .offset:         52
        .size:           4
        .value_kind:     by_value
      - .actual_access:  read_only
        .address_space:  global
        .offset:         56
        .size:           8
        .value_kind:     global_buffer
      - .actual_access:  read_only
        .address_space:  global
        .offset:         64
        .size:           8
        .value_kind:     global_buffer
      - .offset:         72
        .size:           4
        .value_kind:     by_value
      - .actual_access:  read_only
        .address_space:  global
        .offset:         80
        .size:           8
        .value_kind:     global_buffer
      - .offset:         88
        .size:           4
        .value_kind:     by_value
      - .offset:         92
        .size:           4
        .value_kind:     by_value
      - .offset:         96
        .size:           4
        .value_kind:     by_value
      - .address_space:  global
        .offset:         104
        .size:           8
        .value_kind:     global_buffer
      - .address_space:  global
        .offset:         112
        .size:           8
        .value_kind:     global_buffer
      - .offset:         120
        .size:           4
        .value_kind:     by_value
      - .offset:         124
        .size:           4
        .value_kind:     by_value
      - .offset:         128
        .size:           4
        .value_kind:     by_value
      - .offset:         132
        .size:           4
        .value_kind:     by_value
      - .offset:         136
        .size:           4
        .value_kind:     by_value
      - .offset:         144
        .size:           4
        .value_kind:     hidden_block_count_x
      - .offset:         148
        .size:           4
        .value_kind:     hidden_block_count_y
      - .offset:         152
        .size:           4
        .value_kind:     hidden_block_count_z
      - .offset:         156
        .size:           2
        .value_kind:     hidden_group_size_x
      - .offset:         158
        .size:           2
        .value_kind:     hidden_group_size_y
      - .offset:         160
        .size:           2
        .value_kind:     hidden_group_size_z
      - .offset:         162
        .size:           2
        .value_kind:     hidden_remainder_x
      - .offset:         164
        .size:           2
        .value_kind:     hidden_remainder_y
      - .offset:         166
        .size:           2
        .value_kind:     hidden_remainder_z
      - .offset:         184
        .size:           8
        .value_kind:     hidden_global_offset_x
      - .offset:         192
        .size:           8
        .value_kind:     hidden_global_offset_y
      - .offset:         200
        .size:           8
        .value_kind:     hidden_global_offset_z
      - .offset:         208
        .size:           2
        .value_kind:     hidden_grid_dims
      - .offset:         264
        .size:           4
        .value_kind:     hidden_dynamic_lds_size
    .group_segment_fixed_size: 256
    .kernarg_segment_align: 8
    .kernarg_segment_size: 400
    .language:       OpenCL C
    .language_version:
      - 2
      - 0
    .max_flat_workgroup_size: 1024
    .name:           _ZN4vllm25paged_attention_v2_kernelIttLi120ELi16ELi128ELNS_18Fp8KVCacheDataTypeE0ELb0ELi512EEEvPfS2_PT_PKS3_PKT0_S9_ifPKiSB_iPKfiiiSD_SD_iiiii
    .private_segment_fixed_size: 0
    .sgpr_count:     46
    .sgpr_spill_count: 0
    .symbol:         _ZN4vllm25paged_attention_v2_kernelIttLi120ELi16ELi128ELNS_18Fp8KVCacheDataTypeE0ELb0ELi512EEEvPfS2_PT_PKS3_PKT0_S9_ifPKiSB_iPKfiiiSD_SD_iiiii.kd
    .uniform_work_group_size: 1
    .uses_dynamic_stack: false
    .vgpr_count:     66
    .vgpr_spill_count: 0
    .wavefront_size: 64
  - .agpr_count:     0
    .args:
      - .actual_access:  write_only
        .address_space:  global
        .offset:         0
        .size:           8
        .value_kind:     global_buffer
      - .actual_access:  write_only
        .address_space:  global
        .offset:         8
        .size:           8
        .value_kind:     global_buffer
      - .actual_access:  write_only
        .address_space:  global
        .offset:         16
        .size:           8
        .value_kind:     global_buffer
      - .actual_access:  read_only
        .address_space:  global
        .offset:         24
        .size:           8
        .value_kind:     global_buffer
      - .actual_access:  read_only
        .address_space:  global
        .offset:         32
        .size:           8
        .value_kind:     global_buffer
      - .actual_access:  read_only
        .address_space:  global
        .offset:         40
        .size:           8
        .value_kind:     global_buffer
      - .offset:         48
        .size:           4
        .value_kind:     by_value
      - .offset:         52
        .size:           4
        .value_kind:     by_value
      - .actual_access:  read_only
        .address_space:  global
        .offset:         56
        .size:           8
        .value_kind:     global_buffer
      - .actual_access:  read_only
        .address_space:  global
        .offset:         64
        .size:           8
        .value_kind:     global_buffer
      - .offset:         72
        .size:           4
        .value_kind:     by_value
      - .actual_access:  read_only
        .address_space:  global
        .offset:         80
        .size:           8
        .value_kind:     global_buffer
      - .offset:         88
        .size:           4
        .value_kind:     by_value
      - .offset:         92
        .size:           4
        .value_kind:     by_value
      - .offset:         96
        .size:           4
        .value_kind:     by_value
      - .address_space:  global
        .offset:         104
        .size:           8
        .value_kind:     global_buffer
      - .address_space:  global
        .offset:         112
        .size:           8
        .value_kind:     global_buffer
      - .offset:         120
        .size:           4
        .value_kind:     by_value
      - .offset:         124
        .size:           4
        .value_kind:     by_value
      - .offset:         128
        .size:           4
        .value_kind:     by_value
      - .offset:         132
        .size:           4
        .value_kind:     by_value
      - .offset:         136
        .size:           4
        .value_kind:     by_value
      - .offset:         144
        .size:           4
        .value_kind:     hidden_block_count_x
      - .offset:         148
        .size:           4
        .value_kind:     hidden_block_count_y
      - .offset:         152
        .size:           4
        .value_kind:     hidden_block_count_z
      - .offset:         156
        .size:           2
        .value_kind:     hidden_group_size_x
      - .offset:         158
        .size:           2
        .value_kind:     hidden_group_size_y
      - .offset:         160
        .size:           2
        .value_kind:     hidden_group_size_z
      - .offset:         162
        .size:           2
        .value_kind:     hidden_remainder_x
      - .offset:         164
        .size:           2
        .value_kind:     hidden_remainder_y
      - .offset:         166
        .size:           2
        .value_kind:     hidden_remainder_z
      - .offset:         184
        .size:           8
        .value_kind:     hidden_global_offset_x
      - .offset:         192
        .size:           8
        .value_kind:     hidden_global_offset_y
      - .offset:         200
        .size:           8
        .value_kind:     hidden_global_offset_z
      - .offset:         208
        .size:           2
        .value_kind:     hidden_grid_dims
      - .offset:         264
        .size:           4
        .value_kind:     hidden_dynamic_lds_size
    .group_segment_fixed_size: 272
    .kernarg_segment_align: 8
    .kernarg_segment_size: 400
    .language:       OpenCL C
    .language_version:
      - 2
      - 0
    .max_flat_workgroup_size: 1024
    .name:           _ZN4vllm25paged_attention_v2_kernelIttLi128ELi16ELi128ELNS_18Fp8KVCacheDataTypeE0ELb0ELi512EEEvPfS2_PT_PKS3_PKT0_S9_ifPKiSB_iPKfiiiSD_SD_iiiii
    .private_segment_fixed_size: 0
    .sgpr_count:     48
    .sgpr_spill_count: 0
    .symbol:         _ZN4vllm25paged_attention_v2_kernelIttLi128ELi16ELi128ELNS_18Fp8KVCacheDataTypeE0ELb0ELi512EEEvPfS2_PT_PKS3_PKT0_S9_ifPKiSB_iPKfiiiSD_SD_iiiii.kd
    .uniform_work_group_size: 1
    .uses_dynamic_stack: false
    .vgpr_count:     68
    .vgpr_spill_count: 0
    .wavefront_size: 64
  - .agpr_count:     0
    .args:
      - .actual_access:  write_only
        .address_space:  global
        .offset:         0
        .size:           8
        .value_kind:     global_buffer
      - .actual_access:  write_only
        .address_space:  global
        .offset:         8
        .size:           8
        .value_kind:     global_buffer
      - .actual_access:  write_only
        .address_space:  global
        .offset:         16
        .size:           8
        .value_kind:     global_buffer
      - .actual_access:  read_only
        .address_space:  global
        .offset:         24
        .size:           8
        .value_kind:     global_buffer
      - .actual_access:  read_only
        .address_space:  global
        .offset:         32
        .size:           8
        .value_kind:     global_buffer
      - .actual_access:  read_only
        .address_space:  global
        .offset:         40
        .size:           8
        .value_kind:     global_buffer
      - .offset:         48
        .size:           4
        .value_kind:     by_value
      - .offset:         52
        .size:           4
        .value_kind:     by_value
      - .actual_access:  read_only
        .address_space:  global
        .offset:         56
        .size:           8
        .value_kind:     global_buffer
      - .actual_access:  read_only
        .address_space:  global
        .offset:         64
        .size:           8
        .value_kind:     global_buffer
      - .offset:         72
        .size:           4
        .value_kind:     by_value
      - .actual_access:  read_only
        .address_space:  global
        .offset:         80
        .size:           8
        .value_kind:     global_buffer
      - .offset:         88
        .size:           4
        .value_kind:     by_value
      - .offset:         92
        .size:           4
        .value_kind:     by_value
      - .offset:         96
        .size:           4
        .value_kind:     by_value
      - .address_space:  global
        .offset:         104
        .size:           8
        .value_kind:     global_buffer
      - .address_space:  global
        .offset:         112
        .size:           8
        .value_kind:     global_buffer
      - .offset:         120
        .size:           4
        .value_kind:     by_value
      - .offset:         124
        .size:           4
        .value_kind:     by_value
      - .offset:         128
        .size:           4
        .value_kind:     by_value
      - .offset:         132
        .size:           4
        .value_kind:     by_value
      - .offset:         136
        .size:           4
        .value_kind:     by_value
      - .offset:         144
        .size:           4
        .value_kind:     hidden_block_count_x
      - .offset:         148
        .size:           4
        .value_kind:     hidden_block_count_y
      - .offset:         152
        .size:           4
        .value_kind:     hidden_block_count_z
      - .offset:         156
        .size:           2
        .value_kind:     hidden_group_size_x
      - .offset:         158
        .size:           2
        .value_kind:     hidden_group_size_y
      - .offset:         160
        .size:           2
        .value_kind:     hidden_group_size_z
      - .offset:         162
        .size:           2
        .value_kind:     hidden_remainder_x
      - .offset:         164
        .size:           2
        .value_kind:     hidden_remainder_y
      - .offset:         166
        .size:           2
        .value_kind:     hidden_remainder_z
      - .offset:         184
        .size:           8
        .value_kind:     hidden_global_offset_x
      - .offset:         192
        .size:           8
        .value_kind:     hidden_global_offset_y
      - .offset:         200
        .size:           8
        .value_kind:     hidden_global_offset_z
      - .offset:         208
        .size:           2
        .value_kind:     hidden_grid_dims
      - .offset:         264
        .size:           4
        .value_kind:     hidden_dynamic_lds_size
    .group_segment_fixed_size: 400
    .kernarg_segment_align: 8
    .kernarg_segment_size: 400
    .language:       OpenCL C
    .language_version:
      - 2
      - 0
    .max_flat_workgroup_size: 1024
    .name:           _ZN4vllm25paged_attention_v2_kernelIttLi192ELi16ELi128ELNS_18Fp8KVCacheDataTypeE0ELb0ELi512EEEvPfS2_PT_PKS3_PKT0_S9_ifPKiSB_iPKfiiiSD_SD_iiiii
    .private_segment_fixed_size: 0
    .sgpr_count:     47
    .sgpr_spill_count: 0
    .symbol:         _ZN4vllm25paged_attention_v2_kernelIttLi192ELi16ELi128ELNS_18Fp8KVCacheDataTypeE0ELb0ELi512EEEvPfS2_PT_PKS3_PKT0_S9_ifPKiSB_iPKfiiiSD_SD_iiiii.kd
    .uniform_work_group_size: 1
    .uses_dynamic_stack: false
    .vgpr_count:     62
    .vgpr_spill_count: 0
    .wavefront_size: 64
  - .agpr_count:     0
    .args:
      - .actual_access:  write_only
        .address_space:  global
        .offset:         0
        .size:           8
        .value_kind:     global_buffer
      - .actual_access:  write_only
        .address_space:  global
        .offset:         8
        .size:           8
        .value_kind:     global_buffer
      - .actual_access:  write_only
        .address_space:  global
        .offset:         16
        .size:           8
        .value_kind:     global_buffer
      - .actual_access:  read_only
        .address_space:  global
        .offset:         24
        .size:           8
        .value_kind:     global_buffer
      - .actual_access:  read_only
        .address_space:  global
        .offset:         32
        .size:           8
        .value_kind:     global_buffer
      - .actual_access:  read_only
        .address_space:  global
        .offset:         40
        .size:           8
        .value_kind:     global_buffer
      - .offset:         48
        .size:           4
        .value_kind:     by_value
      - .offset:         52
        .size:           4
        .value_kind:     by_value
      - .actual_access:  read_only
        .address_space:  global
        .offset:         56
        .size:           8
        .value_kind:     global_buffer
      - .actual_access:  read_only
        .address_space:  global
        .offset:         64
        .size:           8
        .value_kind:     global_buffer
      - .offset:         72
        .size:           4
        .value_kind:     by_value
      - .actual_access:  read_only
        .address_space:  global
        .offset:         80
        .size:           8
        .value_kind:     global_buffer
      - .offset:         88
        .size:           4
        .value_kind:     by_value
      - .offset:         92
        .size:           4
        .value_kind:     by_value
      - .offset:         96
        .size:           4
        .value_kind:     by_value
      - .address_space:  global
        .offset:         104
        .size:           8
        .value_kind:     global_buffer
      - .address_space:  global
        .offset:         112
        .size:           8
        .value_kind:     global_buffer
      - .offset:         120
        .size:           4
        .value_kind:     by_value
      - .offset:         124
        .size:           4
        .value_kind:     by_value
      - .offset:         128
        .size:           4
        .value_kind:     by_value
      - .offset:         132
        .size:           4
        .value_kind:     by_value
      - .offset:         136
        .size:           4
        .value_kind:     by_value
      - .offset:         144
        .size:           4
        .value_kind:     hidden_block_count_x
      - .offset:         148
        .size:           4
        .value_kind:     hidden_block_count_y
      - .offset:         152
        .size:           4
        .value_kind:     hidden_block_count_z
      - .offset:         156
        .size:           2
        .value_kind:     hidden_group_size_x
      - .offset:         158
        .size:           2
        .value_kind:     hidden_group_size_y
      - .offset:         160
        .size:           2
        .value_kind:     hidden_group_size_z
      - .offset:         162
        .size:           2
        .value_kind:     hidden_remainder_x
      - .offset:         164
        .size:           2
        .value_kind:     hidden_remainder_y
      - .offset:         166
        .size:           2
        .value_kind:     hidden_remainder_z
      - .offset:         184
        .size:           8
        .value_kind:     hidden_global_offset_x
      - .offset:         192
        .size:           8
        .value_kind:     hidden_global_offset_y
      - .offset:         200
        .size:           8
        .value_kind:     hidden_global_offset_z
      - .offset:         208
        .size:           2
        .value_kind:     hidden_grid_dims
      - .offset:         264
        .size:           4
        .value_kind:     hidden_dynamic_lds_size
    .group_segment_fixed_size: 528
    .kernarg_segment_align: 8
    .kernarg_segment_size: 400
    .language:       OpenCL C
    .language_version:
      - 2
      - 0
    .max_flat_workgroup_size: 1024
    .name:           _ZN4vllm25paged_attention_v2_kernelIttLi256ELi16ELi128ELNS_18Fp8KVCacheDataTypeE0ELb0ELi512EEEvPfS2_PT_PKS3_PKT0_S9_ifPKiSB_iPKfiiiSD_SD_iiiii
    .private_segment_fixed_size: 0
    .sgpr_count:     47
    .sgpr_spill_count: 0
    .symbol:         _ZN4vllm25paged_attention_v2_kernelIttLi256ELi16ELi128ELNS_18Fp8KVCacheDataTypeE0ELb0ELi512EEEvPfS2_PT_PKS3_PKT0_S9_ifPKiSB_iPKfiiiSD_SD_iiiii.kd
    .uniform_work_group_size: 1
    .uses_dynamic_stack: false
    .vgpr_count:     63
    .vgpr_spill_count: 0
    .wavefront_size: 64
  - .agpr_count:     0
    .args:
      - .actual_access:  write_only
        .address_space:  global
        .offset:         0
        .size:           8
        .value_kind:     global_buffer
      - .actual_access:  write_only
        .address_space:  global
        .offset:         8
        .size:           8
        .value_kind:     global_buffer
      - .actual_access:  write_only
        .address_space:  global
        .offset:         16
        .size:           8
        .value_kind:     global_buffer
      - .actual_access:  read_only
        .address_space:  global
        .offset:         24
        .size:           8
        .value_kind:     global_buffer
      - .actual_access:  read_only
        .address_space:  global
        .offset:         32
        .size:           8
        .value_kind:     global_buffer
      - .actual_access:  read_only
        .address_space:  global
        .offset:         40
        .size:           8
        .value_kind:     global_buffer
      - .offset:         48
        .size:           4
        .value_kind:     by_value
      - .offset:         52
        .size:           4
        .value_kind:     by_value
      - .actual_access:  read_only
        .address_space:  global
        .offset:         56
        .size:           8
        .value_kind:     global_buffer
      - .actual_access:  read_only
        .address_space:  global
        .offset:         64
        .size:           8
        .value_kind:     global_buffer
      - .offset:         72
        .size:           4
        .value_kind:     by_value
      - .actual_access:  read_only
        .address_space:  global
        .offset:         80
        .size:           8
        .value_kind:     global_buffer
      - .offset:         88
        .size:           4
        .value_kind:     by_value
      - .offset:         92
        .size:           4
        .value_kind:     by_value
      - .offset:         96
        .size:           4
        .value_kind:     by_value
      - .address_space:  global
        .offset:         104
        .size:           8
        .value_kind:     global_buffer
      - .address_space:  global
        .offset:         112
        .size:           8
        .value_kind:     global_buffer
      - .offset:         120
        .size:           4
        .value_kind:     by_value
      - .offset:         124
        .size:           4
        .value_kind:     by_value
      - .offset:         128
        .size:           4
        .value_kind:     by_value
      - .offset:         132
        .size:           4
        .value_kind:     by_value
      - .offset:         136
        .size:           4
        .value_kind:     by_value
      - .offset:         144
        .size:           4
        .value_kind:     hidden_block_count_x
      - .offset:         148
        .size:           4
        .value_kind:     hidden_block_count_y
      - .offset:         152
        .size:           4
        .value_kind:     hidden_block_count_z
      - .offset:         156
        .size:           2
        .value_kind:     hidden_group_size_x
      - .offset:         158
        .size:           2
        .value_kind:     hidden_group_size_y
      - .offset:         160
        .size:           2
        .value_kind:     hidden_group_size_z
      - .offset:         162
        .size:           2
        .value_kind:     hidden_remainder_x
      - .offset:         164
        .size:           2
        .value_kind:     hidden_remainder_y
      - .offset:         166
        .size:           2
        .value_kind:     hidden_remainder_z
      - .offset:         184
        .size:           8
        .value_kind:     hidden_global_offset_x
      - .offset:         192
        .size:           8
        .value_kind:     hidden_global_offset_y
      - .offset:         200
        .size:           8
        .value_kind:     hidden_global_offset_z
      - .offset:         208
        .size:           2
        .value_kind:     hidden_grid_dims
      - .offset:         264
        .size:           4
        .value_kind:     hidden_dynamic_lds_size
    .group_segment_fixed_size: 80
    .kernarg_segment_align: 8
    .kernarg_segment_size: 400
    .language:       OpenCL C
    .language_version:
      - 2
      - 0
    .max_flat_workgroup_size: 1024
    .name:           _ZN4vllm25paged_attention_v2_kernelIttLi32ELi32ELi128ELNS_18Fp8KVCacheDataTypeE0ELb1ELi512EEEvPfS2_PT_PKS3_PKT0_S9_ifPKiSB_iPKfiiiSD_SD_iiiii
    .private_segment_fixed_size: 0
    .sgpr_count:     56
    .sgpr_spill_count: 0
    .symbol:         _ZN4vllm25paged_attention_v2_kernelIttLi32ELi32ELi128ELNS_18Fp8KVCacheDataTypeE0ELb1ELi512EEEvPfS2_PT_PKS3_PKT0_S9_ifPKiSB_iPKfiiiSD_SD_iiiii.kd
    .uniform_work_group_size: 1
    .uses_dynamic_stack: false
    .vgpr_count:     50
    .vgpr_spill_count: 0
    .wavefront_size: 64
  - .agpr_count:     0
    .args:
      - .actual_access:  write_only
        .address_space:  global
        .offset:         0
        .size:           8
        .value_kind:     global_buffer
      - .actual_access:  write_only
        .address_space:  global
        .offset:         8
        .size:           8
        .value_kind:     global_buffer
      - .actual_access:  write_only
        .address_space:  global
        .offset:         16
        .size:           8
        .value_kind:     global_buffer
      - .actual_access:  read_only
        .address_space:  global
        .offset:         24
        .size:           8
        .value_kind:     global_buffer
      - .actual_access:  read_only
        .address_space:  global
        .offset:         32
        .size:           8
        .value_kind:     global_buffer
      - .actual_access:  read_only
        .address_space:  global
        .offset:         40
        .size:           8
        .value_kind:     global_buffer
      - .offset:         48
        .size:           4
        .value_kind:     by_value
      - .offset:         52
        .size:           4
        .value_kind:     by_value
      - .actual_access:  read_only
        .address_space:  global
        .offset:         56
        .size:           8
        .value_kind:     global_buffer
      - .actual_access:  read_only
        .address_space:  global
        .offset:         64
        .size:           8
        .value_kind:     global_buffer
      - .offset:         72
        .size:           4
        .value_kind:     by_value
      - .actual_access:  read_only
        .address_space:  global
        .offset:         80
        .size:           8
        .value_kind:     global_buffer
      - .offset:         88
        .size:           4
        .value_kind:     by_value
      - .offset:         92
        .size:           4
        .value_kind:     by_value
      - .offset:         96
        .size:           4
        .value_kind:     by_value
      - .address_space:  global
        .offset:         104
        .size:           8
        .value_kind:     global_buffer
      - .address_space:  global
        .offset:         112
        .size:           8
        .value_kind:     global_buffer
      - .offset:         120
        .size:           4
        .value_kind:     by_value
      - .offset:         124
        .size:           4
        .value_kind:     by_value
      - .offset:         128
        .size:           4
        .value_kind:     by_value
      - .offset:         132
        .size:           4
        .value_kind:     by_value
      - .offset:         136
        .size:           4
        .value_kind:     by_value
      - .offset:         144
        .size:           4
        .value_kind:     hidden_block_count_x
      - .offset:         148
        .size:           4
        .value_kind:     hidden_block_count_y
      - .offset:         152
        .size:           4
        .value_kind:     hidden_block_count_z
      - .offset:         156
        .size:           2
        .value_kind:     hidden_group_size_x
      - .offset:         158
        .size:           2
        .value_kind:     hidden_group_size_y
      - .offset:         160
        .size:           2
        .value_kind:     hidden_group_size_z
      - .offset:         162
        .size:           2
        .value_kind:     hidden_remainder_x
      - .offset:         164
        .size:           2
        .value_kind:     hidden_remainder_y
      - .offset:         166
        .size:           2
        .value_kind:     hidden_remainder_z
      - .offset:         184
        .size:           8
        .value_kind:     hidden_global_offset_x
      - .offset:         192
        .size:           8
        .value_kind:     hidden_global_offset_y
      - .offset:         200
        .size:           8
        .value_kind:     hidden_global_offset_z
      - .offset:         208
        .size:           2
        .value_kind:     hidden_grid_dims
      - .offset:         264
        .size:           4
        .value_kind:     hidden_dynamic_lds_size
    .group_segment_fixed_size: 144
    .kernarg_segment_align: 8
    .kernarg_segment_size: 400
    .language:       OpenCL C
    .language_version:
      - 2
      - 0
    .max_flat_workgroup_size: 1024
    .name:           _ZN4vllm25paged_attention_v2_kernelIttLi64ELi32ELi128ELNS_18Fp8KVCacheDataTypeE0ELb1ELi512EEEvPfS2_PT_PKS3_PKT0_S9_ifPKiSB_iPKfiiiSD_SD_iiiii
    .private_segment_fixed_size: 0
    .sgpr_count:     56
    .sgpr_spill_count: 0
    .symbol:         _ZN4vllm25paged_attention_v2_kernelIttLi64ELi32ELi128ELNS_18Fp8KVCacheDataTypeE0ELb1ELi512EEEvPfS2_PT_PKS3_PKT0_S9_ifPKiSB_iPKfiiiSD_SD_iiiii.kd
    .uniform_work_group_size: 1
    .uses_dynamic_stack: false
    .vgpr_count:     66
    .vgpr_spill_count: 0
    .wavefront_size: 64
  - .agpr_count:     0
    .args:
      - .actual_access:  write_only
        .address_space:  global
        .offset:         0
        .size:           8
        .value_kind:     global_buffer
      - .actual_access:  write_only
        .address_space:  global
        .offset:         8
        .size:           8
        .value_kind:     global_buffer
      - .actual_access:  write_only
        .address_space:  global
        .offset:         16
        .size:           8
        .value_kind:     global_buffer
      - .actual_access:  read_only
        .address_space:  global
        .offset:         24
        .size:           8
        .value_kind:     global_buffer
      - .actual_access:  read_only
        .address_space:  global
        .offset:         32
        .size:           8
        .value_kind:     global_buffer
      - .actual_access:  read_only
        .address_space:  global
        .offset:         40
        .size:           8
        .value_kind:     global_buffer
      - .offset:         48
        .size:           4
        .value_kind:     by_value
      - .offset:         52
        .size:           4
        .value_kind:     by_value
      - .actual_access:  read_only
        .address_space:  global
        .offset:         56
        .size:           8
        .value_kind:     global_buffer
      - .actual_access:  read_only
        .address_space:  global
        .offset:         64
        .size:           8
        .value_kind:     global_buffer
      - .offset:         72
        .size:           4
        .value_kind:     by_value
      - .actual_access:  read_only
        .address_space:  global
        .offset:         80
        .size:           8
        .value_kind:     global_buffer
      - .offset:         88
        .size:           4
        .value_kind:     by_value
      - .offset:         92
        .size:           4
        .value_kind:     by_value
      - .offset:         96
        .size:           4
        .value_kind:     by_value
      - .address_space:  global
        .offset:         104
        .size:           8
        .value_kind:     global_buffer
      - .address_space:  global
        .offset:         112
        .size:           8
        .value_kind:     global_buffer
      - .offset:         120
        .size:           4
        .value_kind:     by_value
      - .offset:         124
        .size:           4
        .value_kind:     by_value
      - .offset:         128
        .size:           4
        .value_kind:     by_value
      - .offset:         132
        .size:           4
        .value_kind:     by_value
      - .offset:         136
        .size:           4
        .value_kind:     by_value
      - .offset:         144
        .size:           4
        .value_kind:     hidden_block_count_x
      - .offset:         148
        .size:           4
        .value_kind:     hidden_block_count_y
      - .offset:         152
        .size:           4
        .value_kind:     hidden_block_count_z
      - .offset:         156
        .size:           2
        .value_kind:     hidden_group_size_x
      - .offset:         158
        .size:           2
        .value_kind:     hidden_group_size_y
      - .offset:         160
        .size:           2
        .value_kind:     hidden_group_size_z
      - .offset:         162
        .size:           2
        .value_kind:     hidden_remainder_x
      - .offset:         164
        .size:           2
        .value_kind:     hidden_remainder_y
      - .offset:         166
        .size:           2
        .value_kind:     hidden_remainder_z
      - .offset:         184
        .size:           8
        .value_kind:     hidden_global_offset_x
      - .offset:         192
        .size:           8
        .value_kind:     hidden_global_offset_y
      - .offset:         200
        .size:           8
        .value_kind:     hidden_global_offset_z
      - .offset:         208
        .size:           2
        .value_kind:     hidden_grid_dims
      - .offset:         264
        .size:           4
        .value_kind:     hidden_dynamic_lds_size
    .group_segment_fixed_size: 176
    .kernarg_segment_align: 8
    .kernarg_segment_size: 400
    .language:       OpenCL C
    .language_version:
      - 2
      - 0
    .max_flat_workgroup_size: 1024
    .name:           _ZN4vllm25paged_attention_v2_kernelIttLi80ELi32ELi128ELNS_18Fp8KVCacheDataTypeE0ELb1ELi512EEEvPfS2_PT_PKS3_PKT0_S9_ifPKiSB_iPKfiiiSD_SD_iiiii
    .private_segment_fixed_size: 0
    .sgpr_count:     60
    .sgpr_spill_count: 0
    .symbol:         _ZN4vllm25paged_attention_v2_kernelIttLi80ELi32ELi128ELNS_18Fp8KVCacheDataTypeE0ELb1ELi512EEEvPfS2_PT_PKS3_PKT0_S9_ifPKiSB_iPKfiiiSD_SD_iiiii.kd
    .uniform_work_group_size: 1
    .uses_dynamic_stack: false
    .vgpr_count:     71
    .vgpr_spill_count: 0
    .wavefront_size: 64
  - .agpr_count:     0
    .args:
      - .actual_access:  write_only
        .address_space:  global
        .offset:         0
        .size:           8
        .value_kind:     global_buffer
      - .actual_access:  write_only
        .address_space:  global
        .offset:         8
        .size:           8
        .value_kind:     global_buffer
      - .actual_access:  write_only
        .address_space:  global
        .offset:         16
        .size:           8
        .value_kind:     global_buffer
      - .actual_access:  read_only
        .address_space:  global
        .offset:         24
        .size:           8
        .value_kind:     global_buffer
      - .actual_access:  read_only
        .address_space:  global
        .offset:         32
        .size:           8
        .value_kind:     global_buffer
      - .actual_access:  read_only
        .address_space:  global
        .offset:         40
        .size:           8
        .value_kind:     global_buffer
      - .offset:         48
        .size:           4
        .value_kind:     by_value
      - .offset:         52
        .size:           4
        .value_kind:     by_value
      - .actual_access:  read_only
        .address_space:  global
        .offset:         56
        .size:           8
        .value_kind:     global_buffer
      - .actual_access:  read_only
        .address_space:  global
        .offset:         64
        .size:           8
        .value_kind:     global_buffer
      - .offset:         72
        .size:           4
        .value_kind:     by_value
      - .actual_access:  read_only
        .address_space:  global
        .offset:         80
        .size:           8
        .value_kind:     global_buffer
      - .offset:         88
        .size:           4
        .value_kind:     by_value
      - .offset:         92
        .size:           4
        .value_kind:     by_value
      - .offset:         96
        .size:           4
        .value_kind:     by_value
      - .address_space:  global
        .offset:         104
        .size:           8
        .value_kind:     global_buffer
      - .address_space:  global
        .offset:         112
        .size:           8
        .value_kind:     global_buffer
      - .offset:         120
        .size:           4
        .value_kind:     by_value
      - .offset:         124
        .size:           4
        .value_kind:     by_value
      - .offset:         128
        .size:           4
        .value_kind:     by_value
      - .offset:         132
        .size:           4
        .value_kind:     by_value
      - .offset:         136
        .size:           4
        .value_kind:     by_value
      - .offset:         144
        .size:           4
        .value_kind:     hidden_block_count_x
      - .offset:         148
        .size:           4
        .value_kind:     hidden_block_count_y
      - .offset:         152
        .size:           4
        .value_kind:     hidden_block_count_z
      - .offset:         156
        .size:           2
        .value_kind:     hidden_group_size_x
      - .offset:         158
        .size:           2
        .value_kind:     hidden_group_size_y
      - .offset:         160
        .size:           2
        .value_kind:     hidden_group_size_z
      - .offset:         162
        .size:           2
        .value_kind:     hidden_remainder_x
      - .offset:         164
        .size:           2
        .value_kind:     hidden_remainder_y
      - .offset:         166
        .size:           2
        .value_kind:     hidden_remainder_z
      - .offset:         184
        .size:           8
        .value_kind:     hidden_global_offset_x
      - .offset:         192
        .size:           8
        .value_kind:     hidden_global_offset_y
      - .offset:         200
        .size:           8
        .value_kind:     hidden_global_offset_z
      - .offset:         208
        .size:           2
        .value_kind:     hidden_grid_dims
      - .offset:         264
        .size:           4
        .value_kind:     hidden_dynamic_lds_size
    .group_segment_fixed_size: 208
    .kernarg_segment_align: 8
    .kernarg_segment_size: 400
    .language:       OpenCL C
    .language_version:
      - 2
      - 0
    .max_flat_workgroup_size: 1024
    .name:           _ZN4vllm25paged_attention_v2_kernelIttLi96ELi32ELi128ELNS_18Fp8KVCacheDataTypeE0ELb1ELi512EEEvPfS2_PT_PKS3_PKT0_S9_ifPKiSB_iPKfiiiSD_SD_iiiii
    .private_segment_fixed_size: 0
    .sgpr_count:     60
    .sgpr_spill_count: 0
    .symbol:         _ZN4vllm25paged_attention_v2_kernelIttLi96ELi32ELi128ELNS_18Fp8KVCacheDataTypeE0ELb1ELi512EEEvPfS2_PT_PKS3_PKT0_S9_ifPKiSB_iPKfiiiSD_SD_iiiii.kd
    .uniform_work_group_size: 1
    .uses_dynamic_stack: false
    .vgpr_count:     76
    .vgpr_spill_count: 0
    .wavefront_size: 64
  - .agpr_count:     0
    .args:
      - .actual_access:  write_only
        .address_space:  global
        .offset:         0
        .size:           8
        .value_kind:     global_buffer
      - .actual_access:  write_only
        .address_space:  global
        .offset:         8
        .size:           8
        .value_kind:     global_buffer
      - .actual_access:  write_only
        .address_space:  global
        .offset:         16
        .size:           8
        .value_kind:     global_buffer
      - .actual_access:  read_only
        .address_space:  global
        .offset:         24
        .size:           8
        .value_kind:     global_buffer
      - .actual_access:  read_only
        .address_space:  global
        .offset:         32
        .size:           8
        .value_kind:     global_buffer
      - .actual_access:  read_only
        .address_space:  global
        .offset:         40
        .size:           8
        .value_kind:     global_buffer
      - .offset:         48
        .size:           4
        .value_kind:     by_value
      - .offset:         52
        .size:           4
        .value_kind:     by_value
      - .actual_access:  read_only
        .address_space:  global
        .offset:         56
        .size:           8
        .value_kind:     global_buffer
      - .actual_access:  read_only
        .address_space:  global
        .offset:         64
        .size:           8
        .value_kind:     global_buffer
      - .offset:         72
        .size:           4
        .value_kind:     by_value
      - .actual_access:  read_only
        .address_space:  global
        .offset:         80
        .size:           8
        .value_kind:     global_buffer
      - .offset:         88
        .size:           4
        .value_kind:     by_value
      - .offset:         92
        .size:           4
        .value_kind:     by_value
      - .offset:         96
        .size:           4
        .value_kind:     by_value
      - .address_space:  global
        .offset:         104
        .size:           8
        .value_kind:     global_buffer
      - .address_space:  global
        .offset:         112
        .size:           8
        .value_kind:     global_buffer
      - .offset:         120
        .size:           4
        .value_kind:     by_value
      - .offset:         124
        .size:           4
        .value_kind:     by_value
      - .offset:         128
        .size:           4
        .value_kind:     by_value
      - .offset:         132
        .size:           4
        .value_kind:     by_value
      - .offset:         136
        .size:           4
        .value_kind:     by_value
      - .offset:         144
        .size:           4
        .value_kind:     hidden_block_count_x
      - .offset:         148
        .size:           4
        .value_kind:     hidden_block_count_y
      - .offset:         152
        .size:           4
        .value_kind:     hidden_block_count_z
      - .offset:         156
        .size:           2
        .value_kind:     hidden_group_size_x
      - .offset:         158
        .size:           2
        .value_kind:     hidden_group_size_y
      - .offset:         160
        .size:           2
        .value_kind:     hidden_group_size_z
      - .offset:         162
        .size:           2
        .value_kind:     hidden_remainder_x
      - .offset:         164
        .size:           2
        .value_kind:     hidden_remainder_y
      - .offset:         166
        .size:           2
        .value_kind:     hidden_remainder_z
      - .offset:         184
        .size:           8
        .value_kind:     hidden_global_offset_x
      - .offset:         192
        .size:           8
        .value_kind:     hidden_global_offset_y
      - .offset:         200
        .size:           8
        .value_kind:     hidden_global_offset_z
      - .offset:         208
        .size:           2
        .value_kind:     hidden_grid_dims
      - .offset:         264
        .size:           4
        .value_kind:     hidden_dynamic_lds_size
    .group_segment_fixed_size: 240
    .kernarg_segment_align: 8
    .kernarg_segment_size: 400
    .language:       OpenCL C
    .language_version:
      - 2
      - 0
    .max_flat_workgroup_size: 1024
    .name:           _ZN4vllm25paged_attention_v2_kernelIttLi112ELi32ELi128ELNS_18Fp8KVCacheDataTypeE0ELb1ELi512EEEvPfS2_PT_PKS3_PKT0_S9_ifPKiSB_iPKfiiiSD_SD_iiiii
    .private_segment_fixed_size: 0
    .sgpr_count:     60
    .sgpr_spill_count: 0
    .symbol:         _ZN4vllm25paged_attention_v2_kernelIttLi112ELi32ELi128ELNS_18Fp8KVCacheDataTypeE0ELb1ELi512EEEvPfS2_PT_PKS3_PKT0_S9_ifPKiSB_iPKfiiiSD_SD_iiiii.kd
    .uniform_work_group_size: 1
    .uses_dynamic_stack: false
    .vgpr_count:     80
    .vgpr_spill_count: 0
    .wavefront_size: 64
  - .agpr_count:     0
    .args:
      - .actual_access:  write_only
        .address_space:  global
        .offset:         0
        .size:           8
        .value_kind:     global_buffer
      - .actual_access:  write_only
        .address_space:  global
        .offset:         8
        .size:           8
        .value_kind:     global_buffer
      - .actual_access:  write_only
        .address_space:  global
        .offset:         16
        .size:           8
        .value_kind:     global_buffer
      - .actual_access:  read_only
        .address_space:  global
        .offset:         24
        .size:           8
        .value_kind:     global_buffer
      - .actual_access:  read_only
        .address_space:  global
        .offset:         32
        .size:           8
        .value_kind:     global_buffer
      - .actual_access:  read_only
        .address_space:  global
        .offset:         40
        .size:           8
        .value_kind:     global_buffer
      - .offset:         48
        .size:           4
        .value_kind:     by_value
      - .offset:         52
        .size:           4
        .value_kind:     by_value
      - .actual_access:  read_only
        .address_space:  global
        .offset:         56
        .size:           8
        .value_kind:     global_buffer
      - .actual_access:  read_only
        .address_space:  global
        .offset:         64
        .size:           8
        .value_kind:     global_buffer
      - .offset:         72
        .size:           4
        .value_kind:     by_value
      - .actual_access:  read_only
        .address_space:  global
        .offset:         80
        .size:           8
        .value_kind:     global_buffer
      - .offset:         88
        .size:           4
        .value_kind:     by_value
      - .offset:         92
        .size:           4
        .value_kind:     by_value
      - .offset:         96
        .size:           4
        .value_kind:     by_value
      - .address_space:  global
        .offset:         104
        .size:           8
        .value_kind:     global_buffer
      - .address_space:  global
        .offset:         112
        .size:           8
        .value_kind:     global_buffer
      - .offset:         120
        .size:           4
        .value_kind:     by_value
      - .offset:         124
        .size:           4
        .value_kind:     by_value
      - .offset:         128
        .size:           4
        .value_kind:     by_value
      - .offset:         132
        .size:           4
        .value_kind:     by_value
      - .offset:         136
        .size:           4
        .value_kind:     by_value
      - .offset:         144
        .size:           4
        .value_kind:     hidden_block_count_x
      - .offset:         148
        .size:           4
        .value_kind:     hidden_block_count_y
      - .offset:         152
        .size:           4
        .value_kind:     hidden_block_count_z
      - .offset:         156
        .size:           2
        .value_kind:     hidden_group_size_x
      - .offset:         158
        .size:           2
        .value_kind:     hidden_group_size_y
      - .offset:         160
        .size:           2
        .value_kind:     hidden_group_size_z
      - .offset:         162
        .size:           2
        .value_kind:     hidden_remainder_x
      - .offset:         164
        .size:           2
        .value_kind:     hidden_remainder_y
      - .offset:         166
        .size:           2
        .value_kind:     hidden_remainder_z
      - .offset:         184
        .size:           8
        .value_kind:     hidden_global_offset_x
      - .offset:         192
        .size:           8
        .value_kind:     hidden_global_offset_y
      - .offset:         200
        .size:           8
        .value_kind:     hidden_global_offset_z
      - .offset:         208
        .size:           2
        .value_kind:     hidden_grid_dims
      - .offset:         264
        .size:           4
        .value_kind:     hidden_dynamic_lds_size
    .group_segment_fixed_size: 256
    .kernarg_segment_align: 8
    .kernarg_segment_size: 400
    .language:       OpenCL C
    .language_version:
      - 2
      - 0
    .max_flat_workgroup_size: 1024
    .name:           _ZN4vllm25paged_attention_v2_kernelIttLi120ELi32ELi128ELNS_18Fp8KVCacheDataTypeE0ELb1ELi512EEEvPfS2_PT_PKS3_PKT0_S9_ifPKiSB_iPKfiiiSD_SD_iiiii
    .private_segment_fixed_size: 0
    .sgpr_count:     60
    .sgpr_spill_count: 0
    .symbol:         _ZN4vllm25paged_attention_v2_kernelIttLi120ELi32ELi128ELNS_18Fp8KVCacheDataTypeE0ELb1ELi512EEEvPfS2_PT_PKS3_PKT0_S9_ifPKiSB_iPKfiiiSD_SD_iiiii.kd
    .uniform_work_group_size: 1
    .uses_dynamic_stack: false
    .vgpr_count:     82
    .vgpr_spill_count: 0
    .wavefront_size: 64
  - .agpr_count:     0
    .args:
      - .actual_access:  write_only
        .address_space:  global
        .offset:         0
        .size:           8
        .value_kind:     global_buffer
      - .actual_access:  write_only
        .address_space:  global
        .offset:         8
        .size:           8
        .value_kind:     global_buffer
      - .actual_access:  write_only
        .address_space:  global
        .offset:         16
        .size:           8
        .value_kind:     global_buffer
      - .actual_access:  read_only
        .address_space:  global
        .offset:         24
        .size:           8
        .value_kind:     global_buffer
      - .actual_access:  read_only
        .address_space:  global
        .offset:         32
        .size:           8
        .value_kind:     global_buffer
      - .actual_access:  read_only
        .address_space:  global
        .offset:         40
        .size:           8
        .value_kind:     global_buffer
      - .offset:         48
        .size:           4
        .value_kind:     by_value
      - .offset:         52
        .size:           4
        .value_kind:     by_value
      - .actual_access:  read_only
        .address_space:  global
        .offset:         56
        .size:           8
        .value_kind:     global_buffer
      - .actual_access:  read_only
        .address_space:  global
        .offset:         64
        .size:           8
        .value_kind:     global_buffer
      - .offset:         72
        .size:           4
        .value_kind:     by_value
      - .actual_access:  read_only
        .address_space:  global
        .offset:         80
        .size:           8
        .value_kind:     global_buffer
      - .offset:         88
        .size:           4
        .value_kind:     by_value
      - .offset:         92
        .size:           4
        .value_kind:     by_value
      - .offset:         96
        .size:           4
        .value_kind:     by_value
      - .address_space:  global
        .offset:         104
        .size:           8
        .value_kind:     global_buffer
      - .address_space:  global
        .offset:         112
        .size:           8
        .value_kind:     global_buffer
      - .offset:         120
        .size:           4
        .value_kind:     by_value
      - .offset:         124
        .size:           4
        .value_kind:     by_value
      - .offset:         128
        .size:           4
        .value_kind:     by_value
      - .offset:         132
        .size:           4
        .value_kind:     by_value
      - .offset:         136
        .size:           4
        .value_kind:     by_value
      - .offset:         144
        .size:           4
        .value_kind:     hidden_block_count_x
      - .offset:         148
        .size:           4
        .value_kind:     hidden_block_count_y
      - .offset:         152
        .size:           4
        .value_kind:     hidden_block_count_z
      - .offset:         156
        .size:           2
        .value_kind:     hidden_group_size_x
      - .offset:         158
        .size:           2
        .value_kind:     hidden_group_size_y
      - .offset:         160
        .size:           2
        .value_kind:     hidden_group_size_z
      - .offset:         162
        .size:           2
        .value_kind:     hidden_remainder_x
      - .offset:         164
        .size:           2
        .value_kind:     hidden_remainder_y
      - .offset:         166
        .size:           2
        .value_kind:     hidden_remainder_z
      - .offset:         184
        .size:           8
        .value_kind:     hidden_global_offset_x
      - .offset:         192
        .size:           8
        .value_kind:     hidden_global_offset_y
      - .offset:         200
        .size:           8
        .value_kind:     hidden_global_offset_z
      - .offset:         208
        .size:           2
        .value_kind:     hidden_grid_dims
      - .offset:         264
        .size:           4
        .value_kind:     hidden_dynamic_lds_size
    .group_segment_fixed_size: 272
    .kernarg_segment_align: 8
    .kernarg_segment_size: 400
    .language:       OpenCL C
    .language_version:
      - 2
      - 0
    .max_flat_workgroup_size: 1024
    .name:           _ZN4vllm25paged_attention_v2_kernelIttLi128ELi32ELi128ELNS_18Fp8KVCacheDataTypeE0ELb1ELi512EEEvPfS2_PT_PKS3_PKT0_S9_ifPKiSB_iPKfiiiSD_SD_iiiii
    .private_segment_fixed_size: 0
    .sgpr_count:     60
    .sgpr_spill_count: 0
    .symbol:         _ZN4vllm25paged_attention_v2_kernelIttLi128ELi32ELi128ELNS_18Fp8KVCacheDataTypeE0ELb1ELi512EEEvPfS2_PT_PKS3_PKT0_S9_ifPKiSB_iPKfiiiSD_SD_iiiii.kd
    .uniform_work_group_size: 1
    .uses_dynamic_stack: false
    .vgpr_count:     84
    .vgpr_spill_count: 0
    .wavefront_size: 64
  - .agpr_count:     0
    .args:
      - .actual_access:  write_only
        .address_space:  global
        .offset:         0
        .size:           8
        .value_kind:     global_buffer
      - .actual_access:  write_only
        .address_space:  global
        .offset:         8
        .size:           8
        .value_kind:     global_buffer
      - .actual_access:  write_only
        .address_space:  global
        .offset:         16
        .size:           8
        .value_kind:     global_buffer
      - .actual_access:  read_only
        .address_space:  global
        .offset:         24
        .size:           8
        .value_kind:     global_buffer
      - .actual_access:  read_only
        .address_space:  global
        .offset:         32
        .size:           8
        .value_kind:     global_buffer
      - .actual_access:  read_only
        .address_space:  global
        .offset:         40
        .size:           8
        .value_kind:     global_buffer
      - .offset:         48
        .size:           4
        .value_kind:     by_value
      - .offset:         52
        .size:           4
        .value_kind:     by_value
      - .actual_access:  read_only
        .address_space:  global
        .offset:         56
        .size:           8
        .value_kind:     global_buffer
      - .actual_access:  read_only
        .address_space:  global
        .offset:         64
        .size:           8
        .value_kind:     global_buffer
      - .offset:         72
        .size:           4
        .value_kind:     by_value
      - .actual_access:  read_only
        .address_space:  global
        .offset:         80
        .size:           8
        .value_kind:     global_buffer
      - .offset:         88
        .size:           4
        .value_kind:     by_value
      - .offset:         92
        .size:           4
        .value_kind:     by_value
      - .offset:         96
        .size:           4
        .value_kind:     by_value
      - .address_space:  global
        .offset:         104
        .size:           8
        .value_kind:     global_buffer
      - .address_space:  global
        .offset:         112
        .size:           8
        .value_kind:     global_buffer
      - .offset:         120
        .size:           4
        .value_kind:     by_value
      - .offset:         124
        .size:           4
        .value_kind:     by_value
      - .offset:         128
        .size:           4
        .value_kind:     by_value
      - .offset:         132
        .size:           4
        .value_kind:     by_value
      - .offset:         136
        .size:           4
        .value_kind:     by_value
      - .offset:         144
        .size:           4
        .value_kind:     hidden_block_count_x
      - .offset:         148
        .size:           4
        .value_kind:     hidden_block_count_y
      - .offset:         152
        .size:           4
        .value_kind:     hidden_block_count_z
      - .offset:         156
        .size:           2
        .value_kind:     hidden_group_size_x
      - .offset:         158
        .size:           2
        .value_kind:     hidden_group_size_y
      - .offset:         160
        .size:           2
        .value_kind:     hidden_group_size_z
      - .offset:         162
        .size:           2
        .value_kind:     hidden_remainder_x
      - .offset:         164
        .size:           2
        .value_kind:     hidden_remainder_y
      - .offset:         166
        .size:           2
        .value_kind:     hidden_remainder_z
      - .offset:         184
        .size:           8
        .value_kind:     hidden_global_offset_x
      - .offset:         192
        .size:           8
        .value_kind:     hidden_global_offset_y
      - .offset:         200
        .size:           8
        .value_kind:     hidden_global_offset_z
      - .offset:         208
        .size:           2
        .value_kind:     hidden_grid_dims
      - .offset:         264
        .size:           4
        .value_kind:     hidden_dynamic_lds_size
    .group_segment_fixed_size: 400
    .kernarg_segment_align: 8
    .kernarg_segment_size: 400
    .language:       OpenCL C
    .language_version:
      - 2
      - 0
    .max_flat_workgroup_size: 1024
    .name:           _ZN4vllm25paged_attention_v2_kernelIttLi192ELi32ELi128ELNS_18Fp8KVCacheDataTypeE0ELb1ELi512EEEvPfS2_PT_PKS3_PKT0_S9_ifPKiSB_iPKfiiiSD_SD_iiiii
    .private_segment_fixed_size: 0
    .sgpr_count:     60
    .sgpr_spill_count: 0
    .symbol:         _ZN4vllm25paged_attention_v2_kernelIttLi192ELi32ELi128ELNS_18Fp8KVCacheDataTypeE0ELb1ELi512EEEvPfS2_PT_PKS3_PKT0_S9_ifPKiSB_iPKfiiiSD_SD_iiiii.kd
    .uniform_work_group_size: 1
    .uses_dynamic_stack: false
    .vgpr_count:     98
    .vgpr_spill_count: 0
    .wavefront_size: 64
  - .agpr_count:     0
    .args:
      - .actual_access:  write_only
        .address_space:  global
        .offset:         0
        .size:           8
        .value_kind:     global_buffer
      - .actual_access:  write_only
        .address_space:  global
        .offset:         8
        .size:           8
        .value_kind:     global_buffer
      - .actual_access:  write_only
        .address_space:  global
        .offset:         16
        .size:           8
        .value_kind:     global_buffer
      - .actual_access:  read_only
        .address_space:  global
        .offset:         24
        .size:           8
        .value_kind:     global_buffer
      - .actual_access:  read_only
        .address_space:  global
        .offset:         32
        .size:           8
        .value_kind:     global_buffer
      - .actual_access:  read_only
        .address_space:  global
        .offset:         40
        .size:           8
        .value_kind:     global_buffer
      - .offset:         48
        .size:           4
        .value_kind:     by_value
      - .offset:         52
        .size:           4
        .value_kind:     by_value
      - .actual_access:  read_only
        .address_space:  global
        .offset:         56
        .size:           8
        .value_kind:     global_buffer
      - .actual_access:  read_only
        .address_space:  global
        .offset:         64
        .size:           8
        .value_kind:     global_buffer
      - .offset:         72
        .size:           4
        .value_kind:     by_value
      - .actual_access:  read_only
        .address_space:  global
        .offset:         80
        .size:           8
        .value_kind:     global_buffer
      - .offset:         88
        .size:           4
        .value_kind:     by_value
      - .offset:         92
        .size:           4
        .value_kind:     by_value
      - .offset:         96
        .size:           4
        .value_kind:     by_value
      - .address_space:  global
        .offset:         104
        .size:           8
        .value_kind:     global_buffer
      - .address_space:  global
        .offset:         112
        .size:           8
        .value_kind:     global_buffer
      - .offset:         120
        .size:           4
        .value_kind:     by_value
      - .offset:         124
        .size:           4
        .value_kind:     by_value
      - .offset:         128
        .size:           4
        .value_kind:     by_value
      - .offset:         132
        .size:           4
        .value_kind:     by_value
      - .offset:         136
        .size:           4
        .value_kind:     by_value
      - .offset:         144
        .size:           4
        .value_kind:     hidden_block_count_x
      - .offset:         148
        .size:           4
        .value_kind:     hidden_block_count_y
      - .offset:         152
        .size:           4
        .value_kind:     hidden_block_count_z
      - .offset:         156
        .size:           2
        .value_kind:     hidden_group_size_x
      - .offset:         158
        .size:           2
        .value_kind:     hidden_group_size_y
      - .offset:         160
        .size:           2
        .value_kind:     hidden_group_size_z
      - .offset:         162
        .size:           2
        .value_kind:     hidden_remainder_x
      - .offset:         164
        .size:           2
        .value_kind:     hidden_remainder_y
      - .offset:         166
        .size:           2
        .value_kind:     hidden_remainder_z
      - .offset:         184
        .size:           8
        .value_kind:     hidden_global_offset_x
      - .offset:         192
        .size:           8
        .value_kind:     hidden_global_offset_y
      - .offset:         200
        .size:           8
        .value_kind:     hidden_global_offset_z
      - .offset:         208
        .size:           2
        .value_kind:     hidden_grid_dims
      - .offset:         264
        .size:           4
        .value_kind:     hidden_dynamic_lds_size
    .group_segment_fixed_size: 528
    .kernarg_segment_align: 8
    .kernarg_segment_size: 400
    .language:       OpenCL C
    .language_version:
      - 2
      - 0
    .max_flat_workgroup_size: 1024
    .name:           _ZN4vllm25paged_attention_v2_kernelIttLi256ELi32ELi128ELNS_18Fp8KVCacheDataTypeE0ELb1ELi512EEEvPfS2_PT_PKS3_PKT0_S9_ifPKiSB_iPKfiiiSD_SD_iiiii
    .private_segment_fixed_size: 0
    .sgpr_count:     64
    .sgpr_spill_count: 0
    .symbol:         _ZN4vllm25paged_attention_v2_kernelIttLi256ELi32ELi128ELNS_18Fp8KVCacheDataTypeE0ELb1ELi512EEEvPfS2_PT_PKS3_PKT0_S9_ifPKiSB_iPKfiiiSD_SD_iiiii.kd
    .uniform_work_group_size: 1
    .uses_dynamic_stack: false
    .vgpr_count:     113
    .vgpr_spill_count: 0
    .wavefront_size: 64
  - .agpr_count:     0
    .args:
      - .actual_access:  write_only
        .address_space:  global
        .offset:         0
        .size:           8
        .value_kind:     global_buffer
      - .actual_access:  write_only
        .address_space:  global
        .offset:         8
        .size:           8
        .value_kind:     global_buffer
      - .actual_access:  write_only
        .address_space:  global
        .offset:         16
        .size:           8
        .value_kind:     global_buffer
      - .actual_access:  read_only
        .address_space:  global
        .offset:         24
        .size:           8
        .value_kind:     global_buffer
      - .actual_access:  read_only
        .address_space:  global
        .offset:         32
        .size:           8
        .value_kind:     global_buffer
      - .actual_access:  read_only
        .address_space:  global
        .offset:         40
        .size:           8
        .value_kind:     global_buffer
      - .offset:         48
        .size:           4
        .value_kind:     by_value
      - .offset:         52
        .size:           4
        .value_kind:     by_value
      - .actual_access:  read_only
        .address_space:  global
        .offset:         56
        .size:           8
        .value_kind:     global_buffer
      - .actual_access:  read_only
        .address_space:  global
        .offset:         64
        .size:           8
        .value_kind:     global_buffer
      - .offset:         72
        .size:           4
        .value_kind:     by_value
      - .actual_access:  read_only
        .address_space:  global
        .offset:         80
        .size:           8
        .value_kind:     global_buffer
      - .offset:         88
        .size:           4
        .value_kind:     by_value
      - .offset:         92
        .size:           4
        .value_kind:     by_value
      - .offset:         96
        .size:           4
        .value_kind:     by_value
      - .address_space:  global
        .offset:         104
        .size:           8
        .value_kind:     global_buffer
      - .address_space:  global
        .offset:         112
        .size:           8
        .value_kind:     global_buffer
      - .offset:         120
        .size:           4
        .value_kind:     by_value
      - .offset:         124
        .size:           4
        .value_kind:     by_value
      - .offset:         128
        .size:           4
        .value_kind:     by_value
      - .offset:         132
        .size:           4
        .value_kind:     by_value
      - .offset:         136
        .size:           4
        .value_kind:     by_value
      - .offset:         144
        .size:           4
        .value_kind:     hidden_block_count_x
      - .offset:         148
        .size:           4
        .value_kind:     hidden_block_count_y
      - .offset:         152
        .size:           4
        .value_kind:     hidden_block_count_z
      - .offset:         156
        .size:           2
        .value_kind:     hidden_group_size_x
      - .offset:         158
        .size:           2
        .value_kind:     hidden_group_size_y
      - .offset:         160
        .size:           2
        .value_kind:     hidden_group_size_z
      - .offset:         162
        .size:           2
        .value_kind:     hidden_remainder_x
      - .offset:         164
        .size:           2
        .value_kind:     hidden_remainder_y
      - .offset:         166
        .size:           2
        .value_kind:     hidden_remainder_z
      - .offset:         184
        .size:           8
        .value_kind:     hidden_global_offset_x
      - .offset:         192
        .size:           8
        .value_kind:     hidden_global_offset_y
      - .offset:         200
        .size:           8
        .value_kind:     hidden_global_offset_z
      - .offset:         208
        .size:           2
        .value_kind:     hidden_grid_dims
      - .offset:         264
        .size:           4
        .value_kind:     hidden_dynamic_lds_size
    .group_segment_fixed_size: 80
    .kernarg_segment_align: 8
    .kernarg_segment_size: 400
    .language:       OpenCL C
    .language_version:
      - 2
      - 0
    .max_flat_workgroup_size: 1024
    .name:           _ZN4vllm25paged_attention_v2_kernelIttLi32ELi32ELi128ELNS_18Fp8KVCacheDataTypeE0ELb0ELi512EEEvPfS2_PT_PKS3_PKT0_S9_ifPKiSB_iPKfiiiSD_SD_iiiii
    .private_segment_fixed_size: 0
    .sgpr_count:     46
    .sgpr_spill_count: 0
    .symbol:         _ZN4vllm25paged_attention_v2_kernelIttLi32ELi32ELi128ELNS_18Fp8KVCacheDataTypeE0ELb0ELi512EEEvPfS2_PT_PKS3_PKT0_S9_ifPKiSB_iPKfiiiSD_SD_iiiii.kd
    .uniform_work_group_size: 1
    .uses_dynamic_stack: false
    .vgpr_count:     45
    .vgpr_spill_count: 0
    .wavefront_size: 64
  - .agpr_count:     0
    .args:
      - .actual_access:  write_only
        .address_space:  global
        .offset:         0
        .size:           8
        .value_kind:     global_buffer
      - .actual_access:  write_only
        .address_space:  global
        .offset:         8
        .size:           8
        .value_kind:     global_buffer
      - .actual_access:  write_only
        .address_space:  global
        .offset:         16
        .size:           8
        .value_kind:     global_buffer
      - .actual_access:  read_only
        .address_space:  global
        .offset:         24
        .size:           8
        .value_kind:     global_buffer
      - .actual_access:  read_only
        .address_space:  global
        .offset:         32
        .size:           8
        .value_kind:     global_buffer
      - .actual_access:  read_only
        .address_space:  global
        .offset:         40
        .size:           8
        .value_kind:     global_buffer
      - .offset:         48
        .size:           4
        .value_kind:     by_value
      - .offset:         52
        .size:           4
        .value_kind:     by_value
      - .actual_access:  read_only
        .address_space:  global
        .offset:         56
        .size:           8
        .value_kind:     global_buffer
      - .actual_access:  read_only
        .address_space:  global
        .offset:         64
        .size:           8
        .value_kind:     global_buffer
      - .offset:         72
        .size:           4
        .value_kind:     by_value
      - .actual_access:  read_only
        .address_space:  global
        .offset:         80
        .size:           8
        .value_kind:     global_buffer
      - .offset:         88
        .size:           4
        .value_kind:     by_value
      - .offset:         92
        .size:           4
        .value_kind:     by_value
      - .offset:         96
        .size:           4
        .value_kind:     by_value
      - .address_space:  global
        .offset:         104
        .size:           8
        .value_kind:     global_buffer
      - .address_space:  global
        .offset:         112
        .size:           8
        .value_kind:     global_buffer
      - .offset:         120
        .size:           4
        .value_kind:     by_value
      - .offset:         124
        .size:           4
        .value_kind:     by_value
      - .offset:         128
        .size:           4
        .value_kind:     by_value
      - .offset:         132
        .size:           4
        .value_kind:     by_value
      - .offset:         136
        .size:           4
        .value_kind:     by_value
      - .offset:         144
        .size:           4
        .value_kind:     hidden_block_count_x
      - .offset:         148
        .size:           4
        .value_kind:     hidden_block_count_y
      - .offset:         152
        .size:           4
        .value_kind:     hidden_block_count_z
      - .offset:         156
        .size:           2
        .value_kind:     hidden_group_size_x
      - .offset:         158
        .size:           2
        .value_kind:     hidden_group_size_y
      - .offset:         160
        .size:           2
        .value_kind:     hidden_group_size_z
      - .offset:         162
        .size:           2
        .value_kind:     hidden_remainder_x
      - .offset:         164
        .size:           2
        .value_kind:     hidden_remainder_y
      - .offset:         166
        .size:           2
        .value_kind:     hidden_remainder_z
      - .offset:         184
        .size:           8
        .value_kind:     hidden_global_offset_x
      - .offset:         192
        .size:           8
        .value_kind:     hidden_global_offset_y
      - .offset:         200
        .size:           8
        .value_kind:     hidden_global_offset_z
      - .offset:         208
        .size:           2
        .value_kind:     hidden_grid_dims
      - .offset:         264
        .size:           4
        .value_kind:     hidden_dynamic_lds_size
    .group_segment_fixed_size: 144
    .kernarg_segment_align: 8
    .kernarg_segment_size: 400
    .language:       OpenCL C
    .language_version:
      - 2
      - 0
    .max_flat_workgroup_size: 1024
    .name:           _ZN4vllm25paged_attention_v2_kernelIttLi64ELi32ELi128ELNS_18Fp8KVCacheDataTypeE0ELb0ELi512EEEvPfS2_PT_PKS3_PKT0_S9_ifPKiSB_iPKfiiiSD_SD_iiiii
    .private_segment_fixed_size: 0
    .sgpr_count:     46
    .sgpr_spill_count: 0
    .symbol:         _ZN4vllm25paged_attention_v2_kernelIttLi64ELi32ELi128ELNS_18Fp8KVCacheDataTypeE0ELb0ELi512EEEvPfS2_PT_PKS3_PKT0_S9_ifPKiSB_iPKfiiiSD_SD_iiiii.kd
    .uniform_work_group_size: 1
    .uses_dynamic_stack: false
    .vgpr_count:     61
    .vgpr_spill_count: 0
    .wavefront_size: 64
  - .agpr_count:     0
    .args:
      - .actual_access:  write_only
        .address_space:  global
        .offset:         0
        .size:           8
        .value_kind:     global_buffer
      - .actual_access:  write_only
        .address_space:  global
        .offset:         8
        .size:           8
        .value_kind:     global_buffer
      - .actual_access:  write_only
        .address_space:  global
        .offset:         16
        .size:           8
        .value_kind:     global_buffer
      - .actual_access:  read_only
        .address_space:  global
        .offset:         24
        .size:           8
        .value_kind:     global_buffer
      - .actual_access:  read_only
        .address_space:  global
        .offset:         32
        .size:           8
        .value_kind:     global_buffer
      - .actual_access:  read_only
        .address_space:  global
        .offset:         40
        .size:           8
        .value_kind:     global_buffer
      - .offset:         48
        .size:           4
        .value_kind:     by_value
      - .offset:         52
        .size:           4
        .value_kind:     by_value
      - .actual_access:  read_only
        .address_space:  global
        .offset:         56
        .size:           8
        .value_kind:     global_buffer
      - .actual_access:  read_only
        .address_space:  global
        .offset:         64
        .size:           8
        .value_kind:     global_buffer
      - .offset:         72
        .size:           4
        .value_kind:     by_value
      - .actual_access:  read_only
        .address_space:  global
        .offset:         80
        .size:           8
        .value_kind:     global_buffer
      - .offset:         88
        .size:           4
        .value_kind:     by_value
      - .offset:         92
        .size:           4
        .value_kind:     by_value
      - .offset:         96
        .size:           4
        .value_kind:     by_value
      - .address_space:  global
        .offset:         104
        .size:           8
        .value_kind:     global_buffer
      - .address_space:  global
        .offset:         112
        .size:           8
        .value_kind:     global_buffer
      - .offset:         120
        .size:           4
        .value_kind:     by_value
      - .offset:         124
        .size:           4
        .value_kind:     by_value
      - .offset:         128
        .size:           4
        .value_kind:     by_value
      - .offset:         132
        .size:           4
        .value_kind:     by_value
      - .offset:         136
        .size:           4
        .value_kind:     by_value
      - .offset:         144
        .size:           4
        .value_kind:     hidden_block_count_x
      - .offset:         148
        .size:           4
        .value_kind:     hidden_block_count_y
      - .offset:         152
        .size:           4
        .value_kind:     hidden_block_count_z
      - .offset:         156
        .size:           2
        .value_kind:     hidden_group_size_x
      - .offset:         158
        .size:           2
        .value_kind:     hidden_group_size_y
      - .offset:         160
        .size:           2
        .value_kind:     hidden_group_size_z
      - .offset:         162
        .size:           2
        .value_kind:     hidden_remainder_x
      - .offset:         164
        .size:           2
        .value_kind:     hidden_remainder_y
      - .offset:         166
        .size:           2
        .value_kind:     hidden_remainder_z
      - .offset:         184
        .size:           8
        .value_kind:     hidden_global_offset_x
      - .offset:         192
        .size:           8
        .value_kind:     hidden_global_offset_y
      - .offset:         200
        .size:           8
        .value_kind:     hidden_global_offset_z
      - .offset:         208
        .size:           2
        .value_kind:     hidden_grid_dims
      - .offset:         264
        .size:           4
        .value_kind:     hidden_dynamic_lds_size
    .group_segment_fixed_size: 176
    .kernarg_segment_align: 8
    .kernarg_segment_size: 400
    .language:       OpenCL C
    .language_version:
      - 2
      - 0
    .max_flat_workgroup_size: 1024
    .name:           _ZN4vllm25paged_attention_v2_kernelIttLi80ELi32ELi128ELNS_18Fp8KVCacheDataTypeE0ELb0ELi512EEEvPfS2_PT_PKS3_PKT0_S9_ifPKiSB_iPKfiiiSD_SD_iiiii
    .private_segment_fixed_size: 0
    .sgpr_count:     47
    .sgpr_spill_count: 0
    .symbol:         _ZN4vllm25paged_attention_v2_kernelIttLi80ELi32ELi128ELNS_18Fp8KVCacheDataTypeE0ELb0ELi512EEEvPfS2_PT_PKS3_PKT0_S9_ifPKiSB_iPKfiiiSD_SD_iiiii.kd
    .uniform_work_group_size: 1
    .uses_dynamic_stack: false
    .vgpr_count:     67
    .vgpr_spill_count: 0
    .wavefront_size: 64
  - .agpr_count:     0
    .args:
      - .actual_access:  write_only
        .address_space:  global
        .offset:         0
        .size:           8
        .value_kind:     global_buffer
      - .actual_access:  write_only
        .address_space:  global
        .offset:         8
        .size:           8
        .value_kind:     global_buffer
      - .actual_access:  write_only
        .address_space:  global
        .offset:         16
        .size:           8
        .value_kind:     global_buffer
      - .actual_access:  read_only
        .address_space:  global
        .offset:         24
        .size:           8
        .value_kind:     global_buffer
      - .actual_access:  read_only
        .address_space:  global
        .offset:         32
        .size:           8
        .value_kind:     global_buffer
      - .actual_access:  read_only
        .address_space:  global
        .offset:         40
        .size:           8
        .value_kind:     global_buffer
      - .offset:         48
        .size:           4
        .value_kind:     by_value
      - .offset:         52
        .size:           4
        .value_kind:     by_value
      - .actual_access:  read_only
        .address_space:  global
        .offset:         56
        .size:           8
        .value_kind:     global_buffer
      - .actual_access:  read_only
        .address_space:  global
        .offset:         64
        .size:           8
        .value_kind:     global_buffer
      - .offset:         72
        .size:           4
        .value_kind:     by_value
      - .actual_access:  read_only
        .address_space:  global
        .offset:         80
        .size:           8
        .value_kind:     global_buffer
      - .offset:         88
        .size:           4
        .value_kind:     by_value
      - .offset:         92
        .size:           4
        .value_kind:     by_value
      - .offset:         96
        .size:           4
        .value_kind:     by_value
      - .address_space:  global
        .offset:         104
        .size:           8
        .value_kind:     global_buffer
      - .address_space:  global
        .offset:         112
        .size:           8
        .value_kind:     global_buffer
      - .offset:         120
        .size:           4
        .value_kind:     by_value
      - .offset:         124
        .size:           4
        .value_kind:     by_value
      - .offset:         128
        .size:           4
        .value_kind:     by_value
      - .offset:         132
        .size:           4
        .value_kind:     by_value
      - .offset:         136
        .size:           4
        .value_kind:     by_value
      - .offset:         144
        .size:           4
        .value_kind:     hidden_block_count_x
      - .offset:         148
        .size:           4
        .value_kind:     hidden_block_count_y
      - .offset:         152
        .size:           4
        .value_kind:     hidden_block_count_z
      - .offset:         156
        .size:           2
        .value_kind:     hidden_group_size_x
      - .offset:         158
        .size:           2
        .value_kind:     hidden_group_size_y
      - .offset:         160
        .size:           2
        .value_kind:     hidden_group_size_z
      - .offset:         162
        .size:           2
        .value_kind:     hidden_remainder_x
      - .offset:         164
        .size:           2
        .value_kind:     hidden_remainder_y
      - .offset:         166
        .size:           2
        .value_kind:     hidden_remainder_z
      - .offset:         184
        .size:           8
        .value_kind:     hidden_global_offset_x
      - .offset:         192
        .size:           8
        .value_kind:     hidden_global_offset_y
      - .offset:         200
        .size:           8
        .value_kind:     hidden_global_offset_z
      - .offset:         208
        .size:           2
        .value_kind:     hidden_grid_dims
      - .offset:         264
        .size:           4
        .value_kind:     hidden_dynamic_lds_size
    .group_segment_fixed_size: 208
    .kernarg_segment_align: 8
    .kernarg_segment_size: 400
    .language:       OpenCL C
    .language_version:
      - 2
      - 0
    .max_flat_workgroup_size: 1024
    .name:           _ZN4vllm25paged_attention_v2_kernelIttLi96ELi32ELi128ELNS_18Fp8KVCacheDataTypeE0ELb0ELi512EEEvPfS2_PT_PKS3_PKT0_S9_ifPKiSB_iPKfiiiSD_SD_iiiii
    .private_segment_fixed_size: 0
    .sgpr_count:     47
    .sgpr_spill_count: 0
    .symbol:         _ZN4vllm25paged_attention_v2_kernelIttLi96ELi32ELi128ELNS_18Fp8KVCacheDataTypeE0ELb0ELi512EEEvPfS2_PT_PKS3_PKT0_S9_ifPKiSB_iPKfiiiSD_SD_iiiii.kd
    .uniform_work_group_size: 1
    .uses_dynamic_stack: false
    .vgpr_count:     71
    .vgpr_spill_count: 0
    .wavefront_size: 64
  - .agpr_count:     0
    .args:
      - .actual_access:  write_only
        .address_space:  global
        .offset:         0
        .size:           8
        .value_kind:     global_buffer
      - .actual_access:  write_only
        .address_space:  global
        .offset:         8
        .size:           8
        .value_kind:     global_buffer
      - .actual_access:  write_only
        .address_space:  global
        .offset:         16
        .size:           8
        .value_kind:     global_buffer
      - .actual_access:  read_only
        .address_space:  global
        .offset:         24
        .size:           8
        .value_kind:     global_buffer
      - .actual_access:  read_only
        .address_space:  global
        .offset:         32
        .size:           8
        .value_kind:     global_buffer
      - .actual_access:  read_only
        .address_space:  global
        .offset:         40
        .size:           8
        .value_kind:     global_buffer
      - .offset:         48
        .size:           4
        .value_kind:     by_value
      - .offset:         52
        .size:           4
        .value_kind:     by_value
      - .actual_access:  read_only
        .address_space:  global
        .offset:         56
        .size:           8
        .value_kind:     global_buffer
      - .actual_access:  read_only
        .address_space:  global
        .offset:         64
        .size:           8
        .value_kind:     global_buffer
      - .offset:         72
        .size:           4
        .value_kind:     by_value
      - .actual_access:  read_only
        .address_space:  global
        .offset:         80
        .size:           8
        .value_kind:     global_buffer
      - .offset:         88
        .size:           4
        .value_kind:     by_value
      - .offset:         92
        .size:           4
        .value_kind:     by_value
      - .offset:         96
        .size:           4
        .value_kind:     by_value
      - .address_space:  global
        .offset:         104
        .size:           8
        .value_kind:     global_buffer
      - .address_space:  global
        .offset:         112
        .size:           8
        .value_kind:     global_buffer
      - .offset:         120
        .size:           4
        .value_kind:     by_value
      - .offset:         124
        .size:           4
        .value_kind:     by_value
      - .offset:         128
        .size:           4
        .value_kind:     by_value
      - .offset:         132
        .size:           4
        .value_kind:     by_value
      - .offset:         136
        .size:           4
        .value_kind:     by_value
      - .offset:         144
        .size:           4
        .value_kind:     hidden_block_count_x
      - .offset:         148
        .size:           4
        .value_kind:     hidden_block_count_y
      - .offset:         152
        .size:           4
        .value_kind:     hidden_block_count_z
      - .offset:         156
        .size:           2
        .value_kind:     hidden_group_size_x
      - .offset:         158
        .size:           2
        .value_kind:     hidden_group_size_y
      - .offset:         160
        .size:           2
        .value_kind:     hidden_group_size_z
      - .offset:         162
        .size:           2
        .value_kind:     hidden_remainder_x
      - .offset:         164
        .size:           2
        .value_kind:     hidden_remainder_y
      - .offset:         166
        .size:           2
        .value_kind:     hidden_remainder_z
      - .offset:         184
        .size:           8
        .value_kind:     hidden_global_offset_x
      - .offset:         192
        .size:           8
        .value_kind:     hidden_global_offset_y
      - .offset:         200
        .size:           8
        .value_kind:     hidden_global_offset_z
      - .offset:         208
        .size:           2
        .value_kind:     hidden_grid_dims
      - .offset:         264
        .size:           4
        .value_kind:     hidden_dynamic_lds_size
    .group_segment_fixed_size: 240
    .kernarg_segment_align: 8
    .kernarg_segment_size: 400
    .language:       OpenCL C
    .language_version:
      - 2
      - 0
    .max_flat_workgroup_size: 1024
    .name:           _ZN4vllm25paged_attention_v2_kernelIttLi112ELi32ELi128ELNS_18Fp8KVCacheDataTypeE0ELb0ELi512EEEvPfS2_PT_PKS3_PKT0_S9_ifPKiSB_iPKfiiiSD_SD_iiiii
    .private_segment_fixed_size: 0
    .sgpr_count:     47
    .sgpr_spill_count: 0
    .symbol:         _ZN4vllm25paged_attention_v2_kernelIttLi112ELi32ELi128ELNS_18Fp8KVCacheDataTypeE0ELb0ELi512EEEvPfS2_PT_PKS3_PKT0_S9_ifPKiSB_iPKfiiiSD_SD_iiiii.kd
    .uniform_work_group_size: 1
    .uses_dynamic_stack: false
    .vgpr_count:     75
    .vgpr_spill_count: 0
    .wavefront_size: 64
  - .agpr_count:     0
    .args:
      - .actual_access:  write_only
        .address_space:  global
        .offset:         0
        .size:           8
        .value_kind:     global_buffer
      - .actual_access:  write_only
        .address_space:  global
        .offset:         8
        .size:           8
        .value_kind:     global_buffer
      - .actual_access:  write_only
        .address_space:  global
        .offset:         16
        .size:           8
        .value_kind:     global_buffer
      - .actual_access:  read_only
        .address_space:  global
        .offset:         24
        .size:           8
        .value_kind:     global_buffer
      - .actual_access:  read_only
        .address_space:  global
        .offset:         32
        .size:           8
        .value_kind:     global_buffer
      - .actual_access:  read_only
        .address_space:  global
        .offset:         40
        .size:           8
        .value_kind:     global_buffer
      - .offset:         48
        .size:           4
        .value_kind:     by_value
      - .offset:         52
        .size:           4
        .value_kind:     by_value
      - .actual_access:  read_only
        .address_space:  global
        .offset:         56
        .size:           8
        .value_kind:     global_buffer
      - .actual_access:  read_only
        .address_space:  global
        .offset:         64
        .size:           8
        .value_kind:     global_buffer
      - .offset:         72
        .size:           4
        .value_kind:     by_value
      - .actual_access:  read_only
        .address_space:  global
        .offset:         80
        .size:           8
        .value_kind:     global_buffer
      - .offset:         88
        .size:           4
        .value_kind:     by_value
      - .offset:         92
        .size:           4
        .value_kind:     by_value
      - .offset:         96
        .size:           4
        .value_kind:     by_value
      - .address_space:  global
        .offset:         104
        .size:           8
        .value_kind:     global_buffer
      - .address_space:  global
        .offset:         112
        .size:           8
        .value_kind:     global_buffer
      - .offset:         120
        .size:           4
        .value_kind:     by_value
      - .offset:         124
        .size:           4
        .value_kind:     by_value
      - .offset:         128
        .size:           4
        .value_kind:     by_value
      - .offset:         132
        .size:           4
        .value_kind:     by_value
      - .offset:         136
        .size:           4
        .value_kind:     by_value
      - .offset:         144
        .size:           4
        .value_kind:     hidden_block_count_x
      - .offset:         148
        .size:           4
        .value_kind:     hidden_block_count_y
      - .offset:         152
        .size:           4
        .value_kind:     hidden_block_count_z
      - .offset:         156
        .size:           2
        .value_kind:     hidden_group_size_x
      - .offset:         158
        .size:           2
        .value_kind:     hidden_group_size_y
      - .offset:         160
        .size:           2
        .value_kind:     hidden_group_size_z
      - .offset:         162
        .size:           2
        .value_kind:     hidden_remainder_x
      - .offset:         164
        .size:           2
        .value_kind:     hidden_remainder_y
      - .offset:         166
        .size:           2
        .value_kind:     hidden_remainder_z
      - .offset:         184
        .size:           8
        .value_kind:     hidden_global_offset_x
      - .offset:         192
        .size:           8
        .value_kind:     hidden_global_offset_y
      - .offset:         200
        .size:           8
        .value_kind:     hidden_global_offset_z
      - .offset:         208
        .size:           2
        .value_kind:     hidden_grid_dims
      - .offset:         264
        .size:           4
        .value_kind:     hidden_dynamic_lds_size
    .group_segment_fixed_size: 256
    .kernarg_segment_align: 8
    .kernarg_segment_size: 400
    .language:       OpenCL C
    .language_version:
      - 2
      - 0
    .max_flat_workgroup_size: 1024
    .name:           _ZN4vllm25paged_attention_v2_kernelIttLi120ELi32ELi128ELNS_18Fp8KVCacheDataTypeE0ELb0ELi512EEEvPfS2_PT_PKS3_PKT0_S9_ifPKiSB_iPKfiiiSD_SD_iiiii
    .private_segment_fixed_size: 0
    .sgpr_count:     47
    .sgpr_spill_count: 0
    .symbol:         _ZN4vllm25paged_attention_v2_kernelIttLi120ELi32ELi128ELNS_18Fp8KVCacheDataTypeE0ELb0ELi512EEEvPfS2_PT_PKS3_PKT0_S9_ifPKiSB_iPKfiiiSD_SD_iiiii.kd
    .uniform_work_group_size: 1
    .uses_dynamic_stack: false
    .vgpr_count:     77
    .vgpr_spill_count: 0
    .wavefront_size: 64
  - .agpr_count:     0
    .args:
      - .actual_access:  write_only
        .address_space:  global
        .offset:         0
        .size:           8
        .value_kind:     global_buffer
      - .actual_access:  write_only
        .address_space:  global
        .offset:         8
        .size:           8
        .value_kind:     global_buffer
      - .actual_access:  write_only
        .address_space:  global
        .offset:         16
        .size:           8
        .value_kind:     global_buffer
      - .actual_access:  read_only
        .address_space:  global
        .offset:         24
        .size:           8
        .value_kind:     global_buffer
      - .actual_access:  read_only
        .address_space:  global
        .offset:         32
        .size:           8
        .value_kind:     global_buffer
      - .actual_access:  read_only
        .address_space:  global
        .offset:         40
        .size:           8
        .value_kind:     global_buffer
      - .offset:         48
        .size:           4
        .value_kind:     by_value
      - .offset:         52
        .size:           4
        .value_kind:     by_value
      - .actual_access:  read_only
        .address_space:  global
        .offset:         56
        .size:           8
        .value_kind:     global_buffer
      - .actual_access:  read_only
        .address_space:  global
        .offset:         64
        .size:           8
        .value_kind:     global_buffer
      - .offset:         72
        .size:           4
        .value_kind:     by_value
      - .actual_access:  read_only
        .address_space:  global
        .offset:         80
        .size:           8
        .value_kind:     global_buffer
      - .offset:         88
        .size:           4
        .value_kind:     by_value
      - .offset:         92
        .size:           4
        .value_kind:     by_value
      - .offset:         96
        .size:           4
        .value_kind:     by_value
      - .address_space:  global
        .offset:         104
        .size:           8
        .value_kind:     global_buffer
      - .address_space:  global
        .offset:         112
        .size:           8
        .value_kind:     global_buffer
      - .offset:         120
        .size:           4
        .value_kind:     by_value
      - .offset:         124
        .size:           4
        .value_kind:     by_value
      - .offset:         128
        .size:           4
        .value_kind:     by_value
      - .offset:         132
        .size:           4
        .value_kind:     by_value
      - .offset:         136
        .size:           4
        .value_kind:     by_value
      - .offset:         144
        .size:           4
        .value_kind:     hidden_block_count_x
      - .offset:         148
        .size:           4
        .value_kind:     hidden_block_count_y
      - .offset:         152
        .size:           4
        .value_kind:     hidden_block_count_z
      - .offset:         156
        .size:           2
        .value_kind:     hidden_group_size_x
      - .offset:         158
        .size:           2
        .value_kind:     hidden_group_size_y
      - .offset:         160
        .size:           2
        .value_kind:     hidden_group_size_z
      - .offset:         162
        .size:           2
        .value_kind:     hidden_remainder_x
      - .offset:         164
        .size:           2
        .value_kind:     hidden_remainder_y
      - .offset:         166
        .size:           2
        .value_kind:     hidden_remainder_z
      - .offset:         184
        .size:           8
        .value_kind:     hidden_global_offset_x
      - .offset:         192
        .size:           8
        .value_kind:     hidden_global_offset_y
      - .offset:         200
        .size:           8
        .value_kind:     hidden_global_offset_z
      - .offset:         208
        .size:           2
        .value_kind:     hidden_grid_dims
      - .offset:         264
        .size:           4
        .value_kind:     hidden_dynamic_lds_size
    .group_segment_fixed_size: 272
    .kernarg_segment_align: 8
    .kernarg_segment_size: 400
    .language:       OpenCL C
    .language_version:
      - 2
      - 0
    .max_flat_workgroup_size: 1024
    .name:           _ZN4vllm25paged_attention_v2_kernelIttLi128ELi32ELi128ELNS_18Fp8KVCacheDataTypeE0ELb0ELi512EEEvPfS2_PT_PKS3_PKT0_S9_ifPKiSB_iPKfiiiSD_SD_iiiii
    .private_segment_fixed_size: 0
    .sgpr_count:     47
    .sgpr_spill_count: 0
    .symbol:         _ZN4vllm25paged_attention_v2_kernelIttLi128ELi32ELi128ELNS_18Fp8KVCacheDataTypeE0ELb0ELi512EEEvPfS2_PT_PKS3_PKT0_S9_ifPKiSB_iPKfiiiSD_SD_iiiii.kd
    .uniform_work_group_size: 1
    .uses_dynamic_stack: false
    .vgpr_count:     79
    .vgpr_spill_count: 0
    .wavefront_size: 64
  - .agpr_count:     0
    .args:
      - .actual_access:  write_only
        .address_space:  global
        .offset:         0
        .size:           8
        .value_kind:     global_buffer
      - .actual_access:  write_only
        .address_space:  global
        .offset:         8
        .size:           8
        .value_kind:     global_buffer
      - .actual_access:  write_only
        .address_space:  global
        .offset:         16
        .size:           8
        .value_kind:     global_buffer
      - .actual_access:  read_only
        .address_space:  global
        .offset:         24
        .size:           8
        .value_kind:     global_buffer
      - .actual_access:  read_only
        .address_space:  global
        .offset:         32
        .size:           8
        .value_kind:     global_buffer
      - .actual_access:  read_only
        .address_space:  global
        .offset:         40
        .size:           8
        .value_kind:     global_buffer
      - .offset:         48
        .size:           4
        .value_kind:     by_value
      - .offset:         52
        .size:           4
        .value_kind:     by_value
      - .actual_access:  read_only
        .address_space:  global
        .offset:         56
        .size:           8
        .value_kind:     global_buffer
      - .actual_access:  read_only
        .address_space:  global
        .offset:         64
        .size:           8
        .value_kind:     global_buffer
      - .offset:         72
        .size:           4
        .value_kind:     by_value
      - .actual_access:  read_only
        .address_space:  global
        .offset:         80
        .size:           8
        .value_kind:     global_buffer
      - .offset:         88
        .size:           4
        .value_kind:     by_value
      - .offset:         92
        .size:           4
        .value_kind:     by_value
      - .offset:         96
        .size:           4
        .value_kind:     by_value
      - .address_space:  global
        .offset:         104
        .size:           8
        .value_kind:     global_buffer
      - .address_space:  global
        .offset:         112
        .size:           8
        .value_kind:     global_buffer
      - .offset:         120
        .size:           4
        .value_kind:     by_value
      - .offset:         124
        .size:           4
        .value_kind:     by_value
      - .offset:         128
        .size:           4
        .value_kind:     by_value
      - .offset:         132
        .size:           4
        .value_kind:     by_value
      - .offset:         136
        .size:           4
        .value_kind:     by_value
      - .offset:         144
        .size:           4
        .value_kind:     hidden_block_count_x
      - .offset:         148
        .size:           4
        .value_kind:     hidden_block_count_y
      - .offset:         152
        .size:           4
        .value_kind:     hidden_block_count_z
      - .offset:         156
        .size:           2
        .value_kind:     hidden_group_size_x
      - .offset:         158
        .size:           2
        .value_kind:     hidden_group_size_y
      - .offset:         160
        .size:           2
        .value_kind:     hidden_group_size_z
      - .offset:         162
        .size:           2
        .value_kind:     hidden_remainder_x
      - .offset:         164
        .size:           2
        .value_kind:     hidden_remainder_y
      - .offset:         166
        .size:           2
        .value_kind:     hidden_remainder_z
      - .offset:         184
        .size:           8
        .value_kind:     hidden_global_offset_x
      - .offset:         192
        .size:           8
        .value_kind:     hidden_global_offset_y
      - .offset:         200
        .size:           8
        .value_kind:     hidden_global_offset_z
      - .offset:         208
        .size:           2
        .value_kind:     hidden_grid_dims
      - .offset:         264
        .size:           4
        .value_kind:     hidden_dynamic_lds_size
    .group_segment_fixed_size: 400
    .kernarg_segment_align: 8
    .kernarg_segment_size: 400
    .language:       OpenCL C
    .language_version:
      - 2
      - 0
    .max_flat_workgroup_size: 1024
    .name:           _ZN4vllm25paged_attention_v2_kernelIttLi192ELi32ELi128ELNS_18Fp8KVCacheDataTypeE0ELb0ELi512EEEvPfS2_PT_PKS3_PKT0_S9_ifPKiSB_iPKfiiiSD_SD_iiiii
    .private_segment_fixed_size: 0
    .sgpr_count:     48
    .sgpr_spill_count: 0
    .symbol:         _ZN4vllm25paged_attention_v2_kernelIttLi192ELi32ELi128ELNS_18Fp8KVCacheDataTypeE0ELb0ELi512EEEvPfS2_PT_PKS3_PKT0_S9_ifPKiSB_iPKfiiiSD_SD_iiiii.kd
    .uniform_work_group_size: 1
    .uses_dynamic_stack: false
    .vgpr_count:     89
    .vgpr_spill_count: 0
    .wavefront_size: 64
  - .agpr_count:     0
    .args:
      - .actual_access:  write_only
        .address_space:  global
        .offset:         0
        .size:           8
        .value_kind:     global_buffer
      - .actual_access:  write_only
        .address_space:  global
        .offset:         8
        .size:           8
        .value_kind:     global_buffer
      - .actual_access:  write_only
        .address_space:  global
        .offset:         16
        .size:           8
        .value_kind:     global_buffer
      - .actual_access:  read_only
        .address_space:  global
        .offset:         24
        .size:           8
        .value_kind:     global_buffer
      - .actual_access:  read_only
        .address_space:  global
        .offset:         32
        .size:           8
        .value_kind:     global_buffer
      - .actual_access:  read_only
        .address_space:  global
        .offset:         40
        .size:           8
        .value_kind:     global_buffer
      - .offset:         48
        .size:           4
        .value_kind:     by_value
      - .offset:         52
        .size:           4
        .value_kind:     by_value
      - .actual_access:  read_only
        .address_space:  global
        .offset:         56
        .size:           8
        .value_kind:     global_buffer
      - .actual_access:  read_only
        .address_space:  global
        .offset:         64
        .size:           8
        .value_kind:     global_buffer
      - .offset:         72
        .size:           4
        .value_kind:     by_value
      - .actual_access:  read_only
        .address_space:  global
        .offset:         80
        .size:           8
        .value_kind:     global_buffer
      - .offset:         88
        .size:           4
        .value_kind:     by_value
      - .offset:         92
        .size:           4
        .value_kind:     by_value
      - .offset:         96
        .size:           4
        .value_kind:     by_value
      - .address_space:  global
        .offset:         104
        .size:           8
        .value_kind:     global_buffer
      - .address_space:  global
        .offset:         112
        .size:           8
        .value_kind:     global_buffer
      - .offset:         120
        .size:           4
        .value_kind:     by_value
      - .offset:         124
        .size:           4
        .value_kind:     by_value
      - .offset:         128
        .size:           4
        .value_kind:     by_value
      - .offset:         132
        .size:           4
        .value_kind:     by_value
      - .offset:         136
        .size:           4
        .value_kind:     by_value
      - .offset:         144
        .size:           4
        .value_kind:     hidden_block_count_x
      - .offset:         148
        .size:           4
        .value_kind:     hidden_block_count_y
      - .offset:         152
        .size:           4
        .value_kind:     hidden_block_count_z
      - .offset:         156
        .size:           2
        .value_kind:     hidden_group_size_x
      - .offset:         158
        .size:           2
        .value_kind:     hidden_group_size_y
      - .offset:         160
        .size:           2
        .value_kind:     hidden_group_size_z
      - .offset:         162
        .size:           2
        .value_kind:     hidden_remainder_x
      - .offset:         164
        .size:           2
        .value_kind:     hidden_remainder_y
      - .offset:         166
        .size:           2
        .value_kind:     hidden_remainder_z
      - .offset:         184
        .size:           8
        .value_kind:     hidden_global_offset_x
      - .offset:         192
        .size:           8
        .value_kind:     hidden_global_offset_y
      - .offset:         200
        .size:           8
        .value_kind:     hidden_global_offset_z
      - .offset:         208
        .size:           2
        .value_kind:     hidden_grid_dims
      - .offset:         264
        .size:           4
        .value_kind:     hidden_dynamic_lds_size
    .group_segment_fixed_size: 528
    .kernarg_segment_align: 8
    .kernarg_segment_size: 400
    .language:       OpenCL C
    .language_version:
      - 2
      - 0
    .max_flat_workgroup_size: 1024
    .name:           _ZN4vllm25paged_attention_v2_kernelIttLi256ELi32ELi128ELNS_18Fp8KVCacheDataTypeE0ELb0ELi512EEEvPfS2_PT_PKS3_PKT0_S9_ifPKiSB_iPKfiiiSD_SD_iiiii
    .private_segment_fixed_size: 0
    .sgpr_count:     51
    .sgpr_spill_count: 0
    .symbol:         _ZN4vllm25paged_attention_v2_kernelIttLi256ELi32ELi128ELNS_18Fp8KVCacheDataTypeE0ELb0ELi512EEEvPfS2_PT_PKS3_PKT0_S9_ifPKiSB_iPKfiiiSD_SD_iiiii.kd
    .uniform_work_group_size: 1
    .uses_dynamic_stack: false
    .vgpr_count:     106
    .vgpr_spill_count: 0
    .wavefront_size: 64
  - .agpr_count:     0
    .args:
      - .actual_access:  write_only
        .address_space:  global
        .offset:         0
        .size:           8
        .value_kind:     global_buffer
      - .actual_access:  write_only
        .address_space:  global
        .offset:         8
        .size:           8
        .value_kind:     global_buffer
      - .actual_access:  write_only
        .address_space:  global
        .offset:         16
        .size:           8
        .value_kind:     global_buffer
      - .actual_access:  read_only
        .address_space:  global
        .offset:         24
        .size:           8
        .value_kind:     global_buffer
      - .actual_access:  read_only
        .address_space:  global
        .offset:         32
        .size:           8
        .value_kind:     global_buffer
      - .actual_access:  read_only
        .address_space:  global
        .offset:         40
        .size:           8
        .value_kind:     global_buffer
      - .offset:         48
        .size:           4
        .value_kind:     by_value
      - .offset:         52
        .size:           4
        .value_kind:     by_value
      - .actual_access:  read_only
        .address_space:  global
        .offset:         56
        .size:           8
        .value_kind:     global_buffer
      - .actual_access:  read_only
        .address_space:  global
        .offset:         64
        .size:           8
        .value_kind:     global_buffer
      - .offset:         72
        .size:           4
        .value_kind:     by_value
      - .actual_access:  read_only
        .address_space:  global
        .offset:         80
        .size:           8
        .value_kind:     global_buffer
      - .offset:         88
        .size:           4
        .value_kind:     by_value
      - .offset:         92
        .size:           4
        .value_kind:     by_value
      - .offset:         96
        .size:           4
        .value_kind:     by_value
      - .address_space:  global
        .offset:         104
        .size:           8
        .value_kind:     global_buffer
      - .address_space:  global
        .offset:         112
        .size:           8
        .value_kind:     global_buffer
      - .offset:         120
        .size:           4
        .value_kind:     by_value
      - .offset:         124
        .size:           4
        .value_kind:     by_value
      - .offset:         128
        .size:           4
        .value_kind:     by_value
      - .offset:         132
        .size:           4
        .value_kind:     by_value
      - .offset:         136
        .size:           4
        .value_kind:     by_value
      - .offset:         144
        .size:           4
        .value_kind:     hidden_block_count_x
      - .offset:         148
        .size:           4
        .value_kind:     hidden_block_count_y
      - .offset:         152
        .size:           4
        .value_kind:     hidden_block_count_z
      - .offset:         156
        .size:           2
        .value_kind:     hidden_group_size_x
      - .offset:         158
        .size:           2
        .value_kind:     hidden_group_size_y
      - .offset:         160
        .size:           2
        .value_kind:     hidden_group_size_z
      - .offset:         162
        .size:           2
        .value_kind:     hidden_remainder_x
      - .offset:         164
        .size:           2
        .value_kind:     hidden_remainder_y
      - .offset:         166
        .size:           2
        .value_kind:     hidden_remainder_z
      - .offset:         184
        .size:           8
        .value_kind:     hidden_global_offset_x
      - .offset:         192
        .size:           8
        .value_kind:     hidden_global_offset_y
      - .offset:         200
        .size:           8
        .value_kind:     hidden_global_offset_z
      - .offset:         208
        .size:           2
        .value_kind:     hidden_grid_dims
      - .offset:         264
        .size:           4
        .value_kind:     hidden_dynamic_lds_size
    .group_segment_fixed_size: 80
    .kernarg_segment_align: 8
    .kernarg_segment_size: 400
    .language:       OpenCL C
    .language_version:
      - 2
      - 0
    .max_flat_workgroup_size: 1024
    .name:           _ZN4vllm25paged_attention_v2_kernelI14__hip_bfloat16S1_Li32ELi8ELi128ELNS_18Fp8KVCacheDataTypeE0ELb1ELi512EEEvPfS3_PT_PKS4_PKT0_SA_ifPKiSC_iPKfiiiSE_SE_iiiii
    .private_segment_fixed_size: 0
    .sgpr_count:     56
    .sgpr_spill_count: 0
    .symbol:         _ZN4vllm25paged_attention_v2_kernelI14__hip_bfloat16S1_Li32ELi8ELi128ELNS_18Fp8KVCacheDataTypeE0ELb1ELi512EEEvPfS3_PT_PKS4_PKT0_SA_ifPKiSC_iPKfiiiSE_SE_iiiii.kd
    .uniform_work_group_size: 1
    .uses_dynamic_stack: false
    .vgpr_count:     33
    .vgpr_spill_count: 0
    .wavefront_size: 64
  - .agpr_count:     0
    .args:
      - .actual_access:  write_only
        .address_space:  global
        .offset:         0
        .size:           8
        .value_kind:     global_buffer
      - .actual_access:  read_only
        .address_space:  global
        .offset:         8
        .size:           8
        .value_kind:     global_buffer
      - .actual_access:  read_only
        .address_space:  global
        .offset:         16
        .size:           8
        .value_kind:     global_buffer
      - .actual_access:  read_only
        .address_space:  global
        .offset:         24
        .size:           8
        .value_kind:     global_buffer
      - .actual_access:  read_only
        .address_space:  global
        .offset:         32
        .size:           8
        .value_kind:     global_buffer
      - .offset:         40
        .size:           4
        .value_kind:     by_value
      - .offset:         48
        .size:           4
        .value_kind:     hidden_block_count_x
      - .offset:         52
        .size:           4
        .value_kind:     hidden_block_count_y
      - .offset:         56
        .size:           4
        .value_kind:     hidden_block_count_z
      - .offset:         60
        .size:           2
        .value_kind:     hidden_group_size_x
      - .offset:         62
        .size:           2
        .value_kind:     hidden_group_size_y
      - .offset:         64
        .size:           2
        .value_kind:     hidden_group_size_z
      - .offset:         66
        .size:           2
        .value_kind:     hidden_remainder_x
      - .offset:         68
        .size:           2
        .value_kind:     hidden_remainder_y
      - .offset:         70
        .size:           2
        .value_kind:     hidden_remainder_z
      - .offset:         88
        .size:           8
        .value_kind:     hidden_global_offset_x
      - .offset:         96
        .size:           8
        .value_kind:     hidden_global_offset_y
      - .offset:         104
        .size:           8
        .value_kind:     hidden_global_offset_z
      - .offset:         112
        .size:           2
        .value_kind:     hidden_grid_dims
      - .offset:         168
        .size:           4
        .value_kind:     hidden_dynamic_lds_size
    .group_segment_fixed_size: 16
    .kernarg_segment_align: 8
    .kernarg_segment_size: 304
    .language:       OpenCL C
    .language_version:
      - 2
      - 0
    .max_flat_workgroup_size: 1024
    .name:           _ZN4vllm32paged_attention_v2_reduce_kernelI14__hip_bfloat16Li32ELi128ELi512EEEvPT_PKfS5_PKS2_PKii
    .private_segment_fixed_size: 0
    .sgpr_count:     36
    .sgpr_spill_count: 0
    .symbol:         _ZN4vllm32paged_attention_v2_reduce_kernelI14__hip_bfloat16Li32ELi128ELi512EEEvPT_PKfS5_PKS2_PKii.kd
    .uniform_work_group_size: 1
    .uses_dynamic_stack: false
    .vgpr_count:     24
    .vgpr_spill_count: 0
    .wavefront_size: 64
  - .agpr_count:     0
    .args:
      - .actual_access:  write_only
        .address_space:  global
        .offset:         0
        .size:           8
        .value_kind:     global_buffer
      - .actual_access:  write_only
        .address_space:  global
        .offset:         8
        .size:           8
        .value_kind:     global_buffer
      - .actual_access:  write_only
        .address_space:  global
        .offset:         16
        .size:           8
        .value_kind:     global_buffer
      - .actual_access:  read_only
        .address_space:  global
        .offset:         24
        .size:           8
        .value_kind:     global_buffer
      - .actual_access:  read_only
        .address_space:  global
        .offset:         32
        .size:           8
        .value_kind:     global_buffer
      - .actual_access:  read_only
        .address_space:  global
        .offset:         40
        .size:           8
        .value_kind:     global_buffer
      - .offset:         48
        .size:           4
        .value_kind:     by_value
      - .offset:         52
        .size:           4
        .value_kind:     by_value
      - .actual_access:  read_only
        .address_space:  global
        .offset:         56
        .size:           8
        .value_kind:     global_buffer
      - .actual_access:  read_only
        .address_space:  global
        .offset:         64
        .size:           8
        .value_kind:     global_buffer
      - .offset:         72
        .size:           4
        .value_kind:     by_value
      - .actual_access:  read_only
        .address_space:  global
        .offset:         80
        .size:           8
        .value_kind:     global_buffer
      - .offset:         88
        .size:           4
        .value_kind:     by_value
      - .offset:         92
        .size:           4
        .value_kind:     by_value
      - .offset:         96
        .size:           4
        .value_kind:     by_value
      - .address_space:  global
        .offset:         104
        .size:           8
        .value_kind:     global_buffer
      - .address_space:  global
        .offset:         112
        .size:           8
        .value_kind:     global_buffer
      - .offset:         120
        .size:           4
        .value_kind:     by_value
      - .offset:         124
        .size:           4
        .value_kind:     by_value
      - .offset:         128
        .size:           4
        .value_kind:     by_value
      - .offset:         132
        .size:           4
        .value_kind:     by_value
      - .offset:         136
        .size:           4
        .value_kind:     by_value
      - .offset:         144
        .size:           4
        .value_kind:     hidden_block_count_x
      - .offset:         148
        .size:           4
        .value_kind:     hidden_block_count_y
      - .offset:         152
        .size:           4
        .value_kind:     hidden_block_count_z
      - .offset:         156
        .size:           2
        .value_kind:     hidden_group_size_x
      - .offset:         158
        .size:           2
        .value_kind:     hidden_group_size_y
      - .offset:         160
        .size:           2
        .value_kind:     hidden_group_size_z
      - .offset:         162
        .size:           2
        .value_kind:     hidden_remainder_x
      - .offset:         164
        .size:           2
        .value_kind:     hidden_remainder_y
      - .offset:         166
        .size:           2
        .value_kind:     hidden_remainder_z
      - .offset:         184
        .size:           8
        .value_kind:     hidden_global_offset_x
      - .offset:         192
        .size:           8
        .value_kind:     hidden_global_offset_y
      - .offset:         200
        .size:           8
        .value_kind:     hidden_global_offset_z
      - .offset:         208
        .size:           2
        .value_kind:     hidden_grid_dims
      - .offset:         264
        .size:           4
        .value_kind:     hidden_dynamic_lds_size
    .group_segment_fixed_size: 144
    .kernarg_segment_align: 8
    .kernarg_segment_size: 400
    .language:       OpenCL C
    .language_version:
      - 2
      - 0
    .max_flat_workgroup_size: 1024
    .name:           _ZN4vllm25paged_attention_v2_kernelI14__hip_bfloat16S1_Li64ELi8ELi128ELNS_18Fp8KVCacheDataTypeE0ELb1ELi512EEEvPfS3_PT_PKS4_PKT0_SA_ifPKiSC_iPKfiiiSE_SE_iiiii
    .private_segment_fixed_size: 0
    .sgpr_count:     58
    .sgpr_spill_count: 0
    .symbol:         _ZN4vllm25paged_attention_v2_kernelI14__hip_bfloat16S1_Li64ELi8ELi128ELNS_18Fp8KVCacheDataTypeE0ELb1ELi512EEEvPfS3_PT_PKS4_PKT0_SA_ifPKiSC_iPKfiiiSE_SE_iiiii.kd
    .uniform_work_group_size: 1
    .uses_dynamic_stack: false
    .vgpr_count:     41
    .vgpr_spill_count: 0
    .wavefront_size: 64
  - .agpr_count:     0
    .args:
      - .actual_access:  write_only
        .address_space:  global
        .offset:         0
        .size:           8
        .value_kind:     global_buffer
      - .actual_access:  read_only
        .address_space:  global
        .offset:         8
        .size:           8
        .value_kind:     global_buffer
      - .actual_access:  read_only
        .address_space:  global
        .offset:         16
        .size:           8
        .value_kind:     global_buffer
      - .actual_access:  read_only
        .address_space:  global
        .offset:         24
        .size:           8
        .value_kind:     global_buffer
      - .actual_access:  read_only
        .address_space:  global
        .offset:         32
        .size:           8
        .value_kind:     global_buffer
      - .offset:         40
        .size:           4
        .value_kind:     by_value
      - .offset:         48
        .size:           4
        .value_kind:     hidden_block_count_x
      - .offset:         52
        .size:           4
        .value_kind:     hidden_block_count_y
      - .offset:         56
        .size:           4
        .value_kind:     hidden_block_count_z
      - .offset:         60
        .size:           2
        .value_kind:     hidden_group_size_x
      - .offset:         62
        .size:           2
        .value_kind:     hidden_group_size_y
      - .offset:         64
        .size:           2
        .value_kind:     hidden_group_size_z
      - .offset:         66
        .size:           2
        .value_kind:     hidden_remainder_x
      - .offset:         68
        .size:           2
        .value_kind:     hidden_remainder_y
      - .offset:         70
        .size:           2
        .value_kind:     hidden_remainder_z
      - .offset:         88
        .size:           8
        .value_kind:     hidden_global_offset_x
      - .offset:         96
        .size:           8
        .value_kind:     hidden_global_offset_y
      - .offset:         104
        .size:           8
        .value_kind:     hidden_global_offset_z
      - .offset:         112
        .size:           2
        .value_kind:     hidden_grid_dims
      - .offset:         168
        .size:           4
        .value_kind:     hidden_dynamic_lds_size
    .group_segment_fixed_size: 16
    .kernarg_segment_align: 8
    .kernarg_segment_size: 304
    .language:       OpenCL C
    .language_version:
      - 2
      - 0
    .max_flat_workgroup_size: 1024
    .name:           _ZN4vllm32paged_attention_v2_reduce_kernelI14__hip_bfloat16Li64ELi128ELi512EEEvPT_PKfS5_PKS2_PKii
    .private_segment_fixed_size: 0
    .sgpr_count:     36
    .sgpr_spill_count: 0
    .symbol:         _ZN4vllm32paged_attention_v2_reduce_kernelI14__hip_bfloat16Li64ELi128ELi512EEEvPT_PKfS5_PKS2_PKii.kd
    .uniform_work_group_size: 1
    .uses_dynamic_stack: false
    .vgpr_count:     28
    .vgpr_spill_count: 0
    .wavefront_size: 64
  - .agpr_count:     0
    .args:
      - .actual_access:  write_only
        .address_space:  global
        .offset:         0
        .size:           8
        .value_kind:     global_buffer
      - .actual_access:  write_only
        .address_space:  global
        .offset:         8
        .size:           8
        .value_kind:     global_buffer
      - .actual_access:  write_only
        .address_space:  global
        .offset:         16
        .size:           8
        .value_kind:     global_buffer
      - .actual_access:  read_only
        .address_space:  global
        .offset:         24
        .size:           8
        .value_kind:     global_buffer
      - .actual_access:  read_only
        .address_space:  global
        .offset:         32
        .size:           8
        .value_kind:     global_buffer
      - .actual_access:  read_only
        .address_space:  global
        .offset:         40
        .size:           8
        .value_kind:     global_buffer
      - .offset:         48
        .size:           4
        .value_kind:     by_value
      - .offset:         52
        .size:           4
        .value_kind:     by_value
      - .actual_access:  read_only
        .address_space:  global
        .offset:         56
        .size:           8
        .value_kind:     global_buffer
      - .actual_access:  read_only
        .address_space:  global
        .offset:         64
        .size:           8
        .value_kind:     global_buffer
      - .offset:         72
        .size:           4
        .value_kind:     by_value
      - .actual_access:  read_only
        .address_space:  global
        .offset:         80
        .size:           8
        .value_kind:     global_buffer
      - .offset:         88
        .size:           4
        .value_kind:     by_value
      - .offset:         92
        .size:           4
        .value_kind:     by_value
      - .offset:         96
        .size:           4
        .value_kind:     by_value
      - .address_space:  global
        .offset:         104
        .size:           8
        .value_kind:     global_buffer
      - .address_space:  global
        .offset:         112
        .size:           8
        .value_kind:     global_buffer
      - .offset:         120
        .size:           4
        .value_kind:     by_value
      - .offset:         124
        .size:           4
        .value_kind:     by_value
      - .offset:         128
        .size:           4
        .value_kind:     by_value
      - .offset:         132
        .size:           4
        .value_kind:     by_value
      - .offset:         136
        .size:           4
        .value_kind:     by_value
      - .offset:         144
        .size:           4
        .value_kind:     hidden_block_count_x
      - .offset:         148
        .size:           4
        .value_kind:     hidden_block_count_y
      - .offset:         152
        .size:           4
        .value_kind:     hidden_block_count_z
      - .offset:         156
        .size:           2
        .value_kind:     hidden_group_size_x
      - .offset:         158
        .size:           2
        .value_kind:     hidden_group_size_y
      - .offset:         160
        .size:           2
        .value_kind:     hidden_group_size_z
      - .offset:         162
        .size:           2
        .value_kind:     hidden_remainder_x
      - .offset:         164
        .size:           2
        .value_kind:     hidden_remainder_y
      - .offset:         166
        .size:           2
        .value_kind:     hidden_remainder_z
      - .offset:         184
        .size:           8
        .value_kind:     hidden_global_offset_x
      - .offset:         192
        .size:           8
        .value_kind:     hidden_global_offset_y
      - .offset:         200
        .size:           8
        .value_kind:     hidden_global_offset_z
      - .offset:         208
        .size:           2
        .value_kind:     hidden_grid_dims
      - .offset:         264
        .size:           4
        .value_kind:     hidden_dynamic_lds_size
    .group_segment_fixed_size: 176
    .kernarg_segment_align: 8
    .kernarg_segment_size: 400
    .language:       OpenCL C
    .language_version:
      - 2
      - 0
    .max_flat_workgroup_size: 1024
    .name:           _ZN4vllm25paged_attention_v2_kernelI14__hip_bfloat16S1_Li80ELi8ELi128ELNS_18Fp8KVCacheDataTypeE0ELb1ELi512EEEvPfS3_PT_PKS4_PKT0_SA_ifPKiSC_iPKfiiiSE_SE_iiiii
    .private_segment_fixed_size: 0
    .sgpr_count:     58
    .sgpr_spill_count: 0
    .symbol:         _ZN4vllm25paged_attention_v2_kernelI14__hip_bfloat16S1_Li80ELi8ELi128ELNS_18Fp8KVCacheDataTypeE0ELb1ELi512EEEvPfS3_PT_PKS4_PKT0_SA_ifPKiSC_iPKfiiiSE_SE_iiiii.kd
    .uniform_work_group_size: 1
    .uses_dynamic_stack: false
    .vgpr_count:     46
    .vgpr_spill_count: 0
    .wavefront_size: 64
  - .agpr_count:     0
    .args:
      - .actual_access:  write_only
        .address_space:  global
        .offset:         0
        .size:           8
        .value_kind:     global_buffer
      - .actual_access:  read_only
        .address_space:  global
        .offset:         8
        .size:           8
        .value_kind:     global_buffer
      - .actual_access:  read_only
        .address_space:  global
        .offset:         16
        .size:           8
        .value_kind:     global_buffer
      - .actual_access:  read_only
        .address_space:  global
        .offset:         24
        .size:           8
        .value_kind:     global_buffer
      - .actual_access:  read_only
        .address_space:  global
        .offset:         32
        .size:           8
        .value_kind:     global_buffer
      - .offset:         40
        .size:           4
        .value_kind:     by_value
      - .offset:         48
        .size:           4
        .value_kind:     hidden_block_count_x
      - .offset:         52
        .size:           4
        .value_kind:     hidden_block_count_y
      - .offset:         56
        .size:           4
        .value_kind:     hidden_block_count_z
      - .offset:         60
        .size:           2
        .value_kind:     hidden_group_size_x
      - .offset:         62
        .size:           2
        .value_kind:     hidden_group_size_y
      - .offset:         64
        .size:           2
        .value_kind:     hidden_group_size_z
      - .offset:         66
        .size:           2
        .value_kind:     hidden_remainder_x
      - .offset:         68
        .size:           2
        .value_kind:     hidden_remainder_y
      - .offset:         70
        .size:           2
        .value_kind:     hidden_remainder_z
      - .offset:         88
        .size:           8
        .value_kind:     hidden_global_offset_x
      - .offset:         96
        .size:           8
        .value_kind:     hidden_global_offset_y
      - .offset:         104
        .size:           8
        .value_kind:     hidden_global_offset_z
      - .offset:         112
        .size:           2
        .value_kind:     hidden_grid_dims
      - .offset:         168
        .size:           4
        .value_kind:     hidden_dynamic_lds_size
    .group_segment_fixed_size: 16
    .kernarg_segment_align: 8
    .kernarg_segment_size: 304
    .language:       OpenCL C
    .language_version:
      - 2
      - 0
    .max_flat_workgroup_size: 1024
    .name:           _ZN4vllm32paged_attention_v2_reduce_kernelI14__hip_bfloat16Li80ELi128ELi512EEEvPT_PKfS5_PKS2_PKii
    .private_segment_fixed_size: 0
    .sgpr_count:     36
    .sgpr_spill_count: 0
    .symbol:         _ZN4vllm32paged_attention_v2_reduce_kernelI14__hip_bfloat16Li80ELi128ELi512EEEvPT_PKfS5_PKS2_PKii.kd
    .uniform_work_group_size: 1
    .uses_dynamic_stack: false
    .vgpr_count:     28
    .vgpr_spill_count: 0
    .wavefront_size: 64
  - .agpr_count:     0
    .args:
      - .actual_access:  write_only
        .address_space:  global
        .offset:         0
        .size:           8
        .value_kind:     global_buffer
      - .actual_access:  write_only
        .address_space:  global
        .offset:         8
        .size:           8
        .value_kind:     global_buffer
      - .actual_access:  write_only
        .address_space:  global
        .offset:         16
        .size:           8
        .value_kind:     global_buffer
      - .actual_access:  read_only
        .address_space:  global
        .offset:         24
        .size:           8
        .value_kind:     global_buffer
      - .actual_access:  read_only
        .address_space:  global
        .offset:         32
        .size:           8
        .value_kind:     global_buffer
      - .actual_access:  read_only
        .address_space:  global
        .offset:         40
        .size:           8
        .value_kind:     global_buffer
      - .offset:         48
        .size:           4
        .value_kind:     by_value
      - .offset:         52
        .size:           4
        .value_kind:     by_value
      - .actual_access:  read_only
        .address_space:  global
        .offset:         56
        .size:           8
        .value_kind:     global_buffer
      - .actual_access:  read_only
        .address_space:  global
        .offset:         64
        .size:           8
        .value_kind:     global_buffer
      - .offset:         72
        .size:           4
        .value_kind:     by_value
      - .actual_access:  read_only
        .address_space:  global
        .offset:         80
        .size:           8
        .value_kind:     global_buffer
      - .offset:         88
        .size:           4
        .value_kind:     by_value
      - .offset:         92
        .size:           4
        .value_kind:     by_value
      - .offset:         96
        .size:           4
        .value_kind:     by_value
      - .address_space:  global
        .offset:         104
        .size:           8
        .value_kind:     global_buffer
      - .address_space:  global
        .offset:         112
        .size:           8
        .value_kind:     global_buffer
      - .offset:         120
        .size:           4
        .value_kind:     by_value
      - .offset:         124
        .size:           4
        .value_kind:     by_value
      - .offset:         128
        .size:           4
        .value_kind:     by_value
      - .offset:         132
        .size:           4
        .value_kind:     by_value
      - .offset:         136
        .size:           4
        .value_kind:     by_value
      - .offset:         144
        .size:           4
        .value_kind:     hidden_block_count_x
      - .offset:         148
        .size:           4
        .value_kind:     hidden_block_count_y
      - .offset:         152
        .size:           4
        .value_kind:     hidden_block_count_z
      - .offset:         156
        .size:           2
        .value_kind:     hidden_group_size_x
      - .offset:         158
        .size:           2
        .value_kind:     hidden_group_size_y
      - .offset:         160
        .size:           2
        .value_kind:     hidden_group_size_z
      - .offset:         162
        .size:           2
        .value_kind:     hidden_remainder_x
      - .offset:         164
        .size:           2
        .value_kind:     hidden_remainder_y
      - .offset:         166
        .size:           2
        .value_kind:     hidden_remainder_z
      - .offset:         184
        .size:           8
        .value_kind:     hidden_global_offset_x
      - .offset:         192
        .size:           8
        .value_kind:     hidden_global_offset_y
      - .offset:         200
        .size:           8
        .value_kind:     hidden_global_offset_z
      - .offset:         208
        .size:           2
        .value_kind:     hidden_grid_dims
      - .offset:         264
        .size:           4
        .value_kind:     hidden_dynamic_lds_size
    .group_segment_fixed_size: 208
    .kernarg_segment_align: 8
    .kernarg_segment_size: 400
    .language:       OpenCL C
    .language_version:
      - 2
      - 0
    .max_flat_workgroup_size: 1024
    .name:           _ZN4vllm25paged_attention_v2_kernelI14__hip_bfloat16S1_Li96ELi8ELi128ELNS_18Fp8KVCacheDataTypeE0ELb1ELi512EEEvPfS3_PT_PKS4_PKT0_SA_ifPKiSC_iPKfiiiSE_SE_iiiii
    .private_segment_fixed_size: 0
    .sgpr_count:     58
    .sgpr_spill_count: 0
    .symbol:         _ZN4vllm25paged_attention_v2_kernelI14__hip_bfloat16S1_Li96ELi8ELi128ELNS_18Fp8KVCacheDataTypeE0ELb1ELi512EEEvPfS3_PT_PKS4_PKT0_SA_ifPKiSC_iPKfiiiSE_SE_iiiii.kd
    .uniform_work_group_size: 1
    .uses_dynamic_stack: false
    .vgpr_count:     50
    .vgpr_spill_count: 0
    .wavefront_size: 64
  - .agpr_count:     0
    .args:
      - .actual_access:  write_only
        .address_space:  global
        .offset:         0
        .size:           8
        .value_kind:     global_buffer
      - .actual_access:  read_only
        .address_space:  global
        .offset:         8
        .size:           8
        .value_kind:     global_buffer
      - .actual_access:  read_only
        .address_space:  global
        .offset:         16
        .size:           8
        .value_kind:     global_buffer
      - .actual_access:  read_only
        .address_space:  global
        .offset:         24
        .size:           8
        .value_kind:     global_buffer
      - .actual_access:  read_only
        .address_space:  global
        .offset:         32
        .size:           8
        .value_kind:     global_buffer
      - .offset:         40
        .size:           4
        .value_kind:     by_value
      - .offset:         48
        .size:           4
        .value_kind:     hidden_block_count_x
      - .offset:         52
        .size:           4
        .value_kind:     hidden_block_count_y
      - .offset:         56
        .size:           4
        .value_kind:     hidden_block_count_z
      - .offset:         60
        .size:           2
        .value_kind:     hidden_group_size_x
      - .offset:         62
        .size:           2
        .value_kind:     hidden_group_size_y
      - .offset:         64
        .size:           2
        .value_kind:     hidden_group_size_z
      - .offset:         66
        .size:           2
        .value_kind:     hidden_remainder_x
      - .offset:         68
        .size:           2
        .value_kind:     hidden_remainder_y
      - .offset:         70
        .size:           2
        .value_kind:     hidden_remainder_z
      - .offset:         88
        .size:           8
        .value_kind:     hidden_global_offset_x
      - .offset:         96
        .size:           8
        .value_kind:     hidden_global_offset_y
      - .offset:         104
        .size:           8
        .value_kind:     hidden_global_offset_z
      - .offset:         112
        .size:           2
        .value_kind:     hidden_grid_dims
      - .offset:         168
        .size:           4
        .value_kind:     hidden_dynamic_lds_size
    .group_segment_fixed_size: 16
    .kernarg_segment_align: 8
    .kernarg_segment_size: 304
    .language:       OpenCL C
    .language_version:
      - 2
      - 0
    .max_flat_workgroup_size: 1024
    .name:           _ZN4vllm32paged_attention_v2_reduce_kernelI14__hip_bfloat16Li96ELi128ELi512EEEvPT_PKfS5_PKS2_PKii
    .private_segment_fixed_size: 0
    .sgpr_count:     36
    .sgpr_spill_count: 0
    .symbol:         _ZN4vllm32paged_attention_v2_reduce_kernelI14__hip_bfloat16Li96ELi128ELi512EEEvPT_PKfS5_PKS2_PKii.kd
    .uniform_work_group_size: 1
    .uses_dynamic_stack: false
    .vgpr_count:     28
    .vgpr_spill_count: 0
    .wavefront_size: 64
  - .agpr_count:     0
    .args:
      - .actual_access:  write_only
        .address_space:  global
        .offset:         0
        .size:           8
        .value_kind:     global_buffer
      - .actual_access:  write_only
        .address_space:  global
        .offset:         8
        .size:           8
        .value_kind:     global_buffer
      - .actual_access:  write_only
        .address_space:  global
        .offset:         16
        .size:           8
        .value_kind:     global_buffer
      - .actual_access:  read_only
        .address_space:  global
        .offset:         24
        .size:           8
        .value_kind:     global_buffer
      - .actual_access:  read_only
        .address_space:  global
        .offset:         32
        .size:           8
        .value_kind:     global_buffer
      - .actual_access:  read_only
        .address_space:  global
        .offset:         40
        .size:           8
        .value_kind:     global_buffer
      - .offset:         48
        .size:           4
        .value_kind:     by_value
      - .offset:         52
        .size:           4
        .value_kind:     by_value
      - .actual_access:  read_only
        .address_space:  global
        .offset:         56
        .size:           8
        .value_kind:     global_buffer
      - .actual_access:  read_only
        .address_space:  global
        .offset:         64
        .size:           8
        .value_kind:     global_buffer
      - .offset:         72
        .size:           4
        .value_kind:     by_value
      - .actual_access:  read_only
        .address_space:  global
        .offset:         80
        .size:           8
        .value_kind:     global_buffer
      - .offset:         88
        .size:           4
        .value_kind:     by_value
      - .offset:         92
        .size:           4
        .value_kind:     by_value
      - .offset:         96
        .size:           4
        .value_kind:     by_value
      - .address_space:  global
        .offset:         104
        .size:           8
        .value_kind:     global_buffer
      - .address_space:  global
        .offset:         112
        .size:           8
        .value_kind:     global_buffer
      - .offset:         120
        .size:           4
        .value_kind:     by_value
      - .offset:         124
        .size:           4
        .value_kind:     by_value
      - .offset:         128
        .size:           4
        .value_kind:     by_value
      - .offset:         132
        .size:           4
        .value_kind:     by_value
      - .offset:         136
        .size:           4
        .value_kind:     by_value
      - .offset:         144
        .size:           4
        .value_kind:     hidden_block_count_x
      - .offset:         148
        .size:           4
        .value_kind:     hidden_block_count_y
      - .offset:         152
        .size:           4
        .value_kind:     hidden_block_count_z
      - .offset:         156
        .size:           2
        .value_kind:     hidden_group_size_x
      - .offset:         158
        .size:           2
        .value_kind:     hidden_group_size_y
      - .offset:         160
        .size:           2
        .value_kind:     hidden_group_size_z
      - .offset:         162
        .size:           2
        .value_kind:     hidden_remainder_x
      - .offset:         164
        .size:           2
        .value_kind:     hidden_remainder_y
      - .offset:         166
        .size:           2
        .value_kind:     hidden_remainder_z
      - .offset:         184
        .size:           8
        .value_kind:     hidden_global_offset_x
      - .offset:         192
        .size:           8
        .value_kind:     hidden_global_offset_y
      - .offset:         200
        .size:           8
        .value_kind:     hidden_global_offset_z
      - .offset:         208
        .size:           2
        .value_kind:     hidden_grid_dims
      - .offset:         264
        .size:           4
        .value_kind:     hidden_dynamic_lds_size
    .group_segment_fixed_size: 240
    .kernarg_segment_align: 8
    .kernarg_segment_size: 400
    .language:       OpenCL C
    .language_version:
      - 2
      - 0
    .max_flat_workgroup_size: 1024
    .name:           _ZN4vllm25paged_attention_v2_kernelI14__hip_bfloat16S1_Li112ELi8ELi128ELNS_18Fp8KVCacheDataTypeE0ELb1ELi512EEEvPfS3_PT_PKS4_PKT0_SA_ifPKiSC_iPKfiiiSE_SE_iiiii
    .private_segment_fixed_size: 0
    .sgpr_count:     58
    .sgpr_spill_count: 0
    .symbol:         _ZN4vllm25paged_attention_v2_kernelI14__hip_bfloat16S1_Li112ELi8ELi128ELNS_18Fp8KVCacheDataTypeE0ELb1ELi512EEEvPfS3_PT_PKS4_PKT0_SA_ifPKiSC_iPKfiiiSE_SE_iiiii.kd
    .uniform_work_group_size: 1
    .uses_dynamic_stack: false
    .vgpr_count:     54
    .vgpr_spill_count: 0
    .wavefront_size: 64
  - .agpr_count:     0
    .args:
      - .actual_access:  write_only
        .address_space:  global
        .offset:         0
        .size:           8
        .value_kind:     global_buffer
      - .actual_access:  read_only
        .address_space:  global
        .offset:         8
        .size:           8
        .value_kind:     global_buffer
      - .actual_access:  read_only
        .address_space:  global
        .offset:         16
        .size:           8
        .value_kind:     global_buffer
      - .actual_access:  read_only
        .address_space:  global
        .offset:         24
        .size:           8
        .value_kind:     global_buffer
      - .actual_access:  read_only
        .address_space:  global
        .offset:         32
        .size:           8
        .value_kind:     global_buffer
      - .offset:         40
        .size:           4
        .value_kind:     by_value
      - .offset:         48
        .size:           4
        .value_kind:     hidden_block_count_x
      - .offset:         52
        .size:           4
        .value_kind:     hidden_block_count_y
      - .offset:         56
        .size:           4
        .value_kind:     hidden_block_count_z
      - .offset:         60
        .size:           2
        .value_kind:     hidden_group_size_x
      - .offset:         62
        .size:           2
        .value_kind:     hidden_group_size_y
      - .offset:         64
        .size:           2
        .value_kind:     hidden_group_size_z
      - .offset:         66
        .size:           2
        .value_kind:     hidden_remainder_x
      - .offset:         68
        .size:           2
        .value_kind:     hidden_remainder_y
      - .offset:         70
        .size:           2
        .value_kind:     hidden_remainder_z
      - .offset:         88
        .size:           8
        .value_kind:     hidden_global_offset_x
      - .offset:         96
        .size:           8
        .value_kind:     hidden_global_offset_y
      - .offset:         104
        .size:           8
        .value_kind:     hidden_global_offset_z
      - .offset:         112
        .size:           2
        .value_kind:     hidden_grid_dims
      - .offset:         168
        .size:           4
        .value_kind:     hidden_dynamic_lds_size
    .group_segment_fixed_size: 16
    .kernarg_segment_align: 8
    .kernarg_segment_size: 304
    .language:       OpenCL C
    .language_version:
      - 2
      - 0
    .max_flat_workgroup_size: 1024
    .name:           _ZN4vllm32paged_attention_v2_reduce_kernelI14__hip_bfloat16Li112ELi128ELi512EEEvPT_PKfS5_PKS2_PKii
    .private_segment_fixed_size: 0
    .sgpr_count:     36
    .sgpr_spill_count: 0
    .symbol:         _ZN4vllm32paged_attention_v2_reduce_kernelI14__hip_bfloat16Li112ELi128ELi512EEEvPT_PKfS5_PKS2_PKii.kd
    .uniform_work_group_size: 1
    .uses_dynamic_stack: false
    .vgpr_count:     28
    .vgpr_spill_count: 0
    .wavefront_size: 64
  - .agpr_count:     0
    .args:
      - .actual_access:  write_only
        .address_space:  global
        .offset:         0
        .size:           8
        .value_kind:     global_buffer
      - .actual_access:  write_only
        .address_space:  global
        .offset:         8
        .size:           8
        .value_kind:     global_buffer
      - .actual_access:  write_only
        .address_space:  global
        .offset:         16
        .size:           8
        .value_kind:     global_buffer
      - .actual_access:  read_only
        .address_space:  global
        .offset:         24
        .size:           8
        .value_kind:     global_buffer
      - .actual_access:  read_only
        .address_space:  global
        .offset:         32
        .size:           8
        .value_kind:     global_buffer
      - .actual_access:  read_only
        .address_space:  global
        .offset:         40
        .size:           8
        .value_kind:     global_buffer
      - .offset:         48
        .size:           4
        .value_kind:     by_value
      - .offset:         52
        .size:           4
        .value_kind:     by_value
      - .actual_access:  read_only
        .address_space:  global
        .offset:         56
        .size:           8
        .value_kind:     global_buffer
      - .actual_access:  read_only
        .address_space:  global
        .offset:         64
        .size:           8
        .value_kind:     global_buffer
      - .offset:         72
        .size:           4
        .value_kind:     by_value
      - .actual_access:  read_only
        .address_space:  global
        .offset:         80
        .size:           8
        .value_kind:     global_buffer
      - .offset:         88
        .size:           4
        .value_kind:     by_value
      - .offset:         92
        .size:           4
        .value_kind:     by_value
      - .offset:         96
        .size:           4
        .value_kind:     by_value
      - .address_space:  global
        .offset:         104
        .size:           8
        .value_kind:     global_buffer
      - .address_space:  global
        .offset:         112
        .size:           8
        .value_kind:     global_buffer
      - .offset:         120
        .size:           4
        .value_kind:     by_value
      - .offset:         124
        .size:           4
        .value_kind:     by_value
      - .offset:         128
        .size:           4
        .value_kind:     by_value
      - .offset:         132
        .size:           4
        .value_kind:     by_value
      - .offset:         136
        .size:           4
        .value_kind:     by_value
      - .offset:         144
        .size:           4
        .value_kind:     hidden_block_count_x
      - .offset:         148
        .size:           4
        .value_kind:     hidden_block_count_y
      - .offset:         152
        .size:           4
        .value_kind:     hidden_block_count_z
      - .offset:         156
        .size:           2
        .value_kind:     hidden_group_size_x
      - .offset:         158
        .size:           2
        .value_kind:     hidden_group_size_y
      - .offset:         160
        .size:           2
        .value_kind:     hidden_group_size_z
      - .offset:         162
        .size:           2
        .value_kind:     hidden_remainder_x
      - .offset:         164
        .size:           2
        .value_kind:     hidden_remainder_y
      - .offset:         166
        .size:           2
        .value_kind:     hidden_remainder_z
      - .offset:         184
        .size:           8
        .value_kind:     hidden_global_offset_x
      - .offset:         192
        .size:           8
        .value_kind:     hidden_global_offset_y
      - .offset:         200
        .size:           8
        .value_kind:     hidden_global_offset_z
      - .offset:         208
        .size:           2
        .value_kind:     hidden_grid_dims
      - .offset:         264
        .size:           4
        .value_kind:     hidden_dynamic_lds_size
    .group_segment_fixed_size: 256
    .kernarg_segment_align: 8
    .kernarg_segment_size: 400
    .language:       OpenCL C
    .language_version:
      - 2
      - 0
    .max_flat_workgroup_size: 1024
    .name:           _ZN4vllm25paged_attention_v2_kernelI14__hip_bfloat16S1_Li120ELi8ELi128ELNS_18Fp8KVCacheDataTypeE0ELb1ELi512EEEvPfS3_PT_PKS4_PKT0_SA_ifPKiSC_iPKfiiiSE_SE_iiiii
    .private_segment_fixed_size: 0
    .sgpr_count:     58
    .sgpr_spill_count: 0
    .symbol:         _ZN4vllm25paged_attention_v2_kernelI14__hip_bfloat16S1_Li120ELi8ELi128ELNS_18Fp8KVCacheDataTypeE0ELb1ELi512EEEvPfS3_PT_PKS4_PKT0_SA_ifPKiSC_iPKfiiiSE_SE_iiiii.kd
    .uniform_work_group_size: 1
    .uses_dynamic_stack: false
    .vgpr_count:     56
    .vgpr_spill_count: 0
    .wavefront_size: 64
  - .agpr_count:     0
    .args:
      - .actual_access:  write_only
        .address_space:  global
        .offset:         0
        .size:           8
        .value_kind:     global_buffer
      - .actual_access:  read_only
        .address_space:  global
        .offset:         8
        .size:           8
        .value_kind:     global_buffer
      - .actual_access:  read_only
        .address_space:  global
        .offset:         16
        .size:           8
        .value_kind:     global_buffer
      - .actual_access:  read_only
        .address_space:  global
        .offset:         24
        .size:           8
        .value_kind:     global_buffer
      - .actual_access:  read_only
        .address_space:  global
        .offset:         32
        .size:           8
        .value_kind:     global_buffer
      - .offset:         40
        .size:           4
        .value_kind:     by_value
      - .offset:         48
        .size:           4
        .value_kind:     hidden_block_count_x
      - .offset:         52
        .size:           4
        .value_kind:     hidden_block_count_y
      - .offset:         56
        .size:           4
        .value_kind:     hidden_block_count_z
      - .offset:         60
        .size:           2
        .value_kind:     hidden_group_size_x
      - .offset:         62
        .size:           2
        .value_kind:     hidden_group_size_y
      - .offset:         64
        .size:           2
        .value_kind:     hidden_group_size_z
      - .offset:         66
        .size:           2
        .value_kind:     hidden_remainder_x
      - .offset:         68
        .size:           2
        .value_kind:     hidden_remainder_y
      - .offset:         70
        .size:           2
        .value_kind:     hidden_remainder_z
      - .offset:         88
        .size:           8
        .value_kind:     hidden_global_offset_x
      - .offset:         96
        .size:           8
        .value_kind:     hidden_global_offset_y
      - .offset:         104
        .size:           8
        .value_kind:     hidden_global_offset_z
      - .offset:         112
        .size:           2
        .value_kind:     hidden_grid_dims
      - .offset:         168
        .size:           4
        .value_kind:     hidden_dynamic_lds_size
    .group_segment_fixed_size: 16
    .kernarg_segment_align: 8
    .kernarg_segment_size: 304
    .language:       OpenCL C
    .language_version:
      - 2
      - 0
    .max_flat_workgroup_size: 1024
    .name:           _ZN4vllm32paged_attention_v2_reduce_kernelI14__hip_bfloat16Li120ELi128ELi512EEEvPT_PKfS5_PKS2_PKii
    .private_segment_fixed_size: 0
    .sgpr_count:     36
    .sgpr_spill_count: 0
    .symbol:         _ZN4vllm32paged_attention_v2_reduce_kernelI14__hip_bfloat16Li120ELi128ELi512EEEvPT_PKfS5_PKS2_PKii.kd
    .uniform_work_group_size: 1
    .uses_dynamic_stack: false
    .vgpr_count:     28
    .vgpr_spill_count: 0
    .wavefront_size: 64
  - .agpr_count:     0
    .args:
      - .actual_access:  write_only
        .address_space:  global
        .offset:         0
        .size:           8
        .value_kind:     global_buffer
      - .actual_access:  write_only
        .address_space:  global
        .offset:         8
        .size:           8
        .value_kind:     global_buffer
      - .actual_access:  write_only
        .address_space:  global
        .offset:         16
        .size:           8
        .value_kind:     global_buffer
      - .actual_access:  read_only
        .address_space:  global
        .offset:         24
        .size:           8
        .value_kind:     global_buffer
      - .actual_access:  read_only
        .address_space:  global
        .offset:         32
        .size:           8
        .value_kind:     global_buffer
      - .actual_access:  read_only
        .address_space:  global
        .offset:         40
        .size:           8
        .value_kind:     global_buffer
      - .offset:         48
        .size:           4
        .value_kind:     by_value
      - .offset:         52
        .size:           4
        .value_kind:     by_value
      - .actual_access:  read_only
        .address_space:  global
        .offset:         56
        .size:           8
        .value_kind:     global_buffer
      - .actual_access:  read_only
        .address_space:  global
        .offset:         64
        .size:           8
        .value_kind:     global_buffer
      - .offset:         72
        .size:           4
        .value_kind:     by_value
      - .actual_access:  read_only
        .address_space:  global
        .offset:         80
        .size:           8
        .value_kind:     global_buffer
      - .offset:         88
        .size:           4
        .value_kind:     by_value
      - .offset:         92
        .size:           4
        .value_kind:     by_value
      - .offset:         96
        .size:           4
        .value_kind:     by_value
      - .address_space:  global
        .offset:         104
        .size:           8
        .value_kind:     global_buffer
      - .address_space:  global
        .offset:         112
        .size:           8
        .value_kind:     global_buffer
      - .offset:         120
        .size:           4
        .value_kind:     by_value
      - .offset:         124
        .size:           4
        .value_kind:     by_value
      - .offset:         128
        .size:           4
        .value_kind:     by_value
      - .offset:         132
        .size:           4
        .value_kind:     by_value
      - .offset:         136
        .size:           4
        .value_kind:     by_value
      - .offset:         144
        .size:           4
        .value_kind:     hidden_block_count_x
      - .offset:         148
        .size:           4
        .value_kind:     hidden_block_count_y
      - .offset:         152
        .size:           4
        .value_kind:     hidden_block_count_z
      - .offset:         156
        .size:           2
        .value_kind:     hidden_group_size_x
      - .offset:         158
        .size:           2
        .value_kind:     hidden_group_size_y
      - .offset:         160
        .size:           2
        .value_kind:     hidden_group_size_z
      - .offset:         162
        .size:           2
        .value_kind:     hidden_remainder_x
      - .offset:         164
        .size:           2
        .value_kind:     hidden_remainder_y
      - .offset:         166
        .size:           2
        .value_kind:     hidden_remainder_z
      - .offset:         184
        .size:           8
        .value_kind:     hidden_global_offset_x
      - .offset:         192
        .size:           8
        .value_kind:     hidden_global_offset_y
      - .offset:         200
        .size:           8
        .value_kind:     hidden_global_offset_z
      - .offset:         208
        .size:           2
        .value_kind:     hidden_grid_dims
      - .offset:         264
        .size:           4
        .value_kind:     hidden_dynamic_lds_size
    .group_segment_fixed_size: 272
    .kernarg_segment_align: 8
    .kernarg_segment_size: 400
    .language:       OpenCL C
    .language_version:
      - 2
      - 0
    .max_flat_workgroup_size: 1024
    .name:           _ZN4vllm25paged_attention_v2_kernelI14__hip_bfloat16S1_Li128ELi8ELi128ELNS_18Fp8KVCacheDataTypeE0ELb1ELi512EEEvPfS3_PT_PKS4_PKT0_SA_ifPKiSC_iPKfiiiSE_SE_iiiii
    .private_segment_fixed_size: 0
    .sgpr_count:     56
    .sgpr_spill_count: 0
    .symbol:         _ZN4vllm25paged_attention_v2_kernelI14__hip_bfloat16S1_Li128ELi8ELi128ELNS_18Fp8KVCacheDataTypeE0ELb1ELi512EEEvPfS3_PT_PKS4_PKT0_SA_ifPKiSC_iPKfiiiSE_SE_iiiii.kd
    .uniform_work_group_size: 1
    .uses_dynamic_stack: false
    .vgpr_count:     58
    .vgpr_spill_count: 0
    .wavefront_size: 64
  - .agpr_count:     0
    .args:
      - .actual_access:  write_only
        .address_space:  global
        .offset:         0
        .size:           8
        .value_kind:     global_buffer
      - .actual_access:  read_only
        .address_space:  global
        .offset:         8
        .size:           8
        .value_kind:     global_buffer
      - .actual_access:  read_only
        .address_space:  global
        .offset:         16
        .size:           8
        .value_kind:     global_buffer
      - .actual_access:  read_only
        .address_space:  global
        .offset:         24
        .size:           8
        .value_kind:     global_buffer
      - .actual_access:  read_only
        .address_space:  global
        .offset:         32
        .size:           8
        .value_kind:     global_buffer
      - .offset:         40
        .size:           4
        .value_kind:     by_value
      - .offset:         48
        .size:           4
        .value_kind:     hidden_block_count_x
      - .offset:         52
        .size:           4
        .value_kind:     hidden_block_count_y
      - .offset:         56
        .size:           4
        .value_kind:     hidden_block_count_z
      - .offset:         60
        .size:           2
        .value_kind:     hidden_group_size_x
      - .offset:         62
        .size:           2
        .value_kind:     hidden_group_size_y
      - .offset:         64
        .size:           2
        .value_kind:     hidden_group_size_z
      - .offset:         66
        .size:           2
        .value_kind:     hidden_remainder_x
      - .offset:         68
        .size:           2
        .value_kind:     hidden_remainder_y
      - .offset:         70
        .size:           2
        .value_kind:     hidden_remainder_z
      - .offset:         88
        .size:           8
        .value_kind:     hidden_global_offset_x
      - .offset:         96
        .size:           8
        .value_kind:     hidden_global_offset_y
      - .offset:         104
        .size:           8
        .value_kind:     hidden_global_offset_z
      - .offset:         112
        .size:           2
        .value_kind:     hidden_grid_dims
      - .offset:         168
        .size:           4
        .value_kind:     hidden_dynamic_lds_size
    .group_segment_fixed_size: 16
    .kernarg_segment_align: 8
    .kernarg_segment_size: 304
    .language:       OpenCL C
    .language_version:
      - 2
      - 0
    .max_flat_workgroup_size: 1024
    .name:           _ZN4vllm32paged_attention_v2_reduce_kernelI14__hip_bfloat16Li128ELi128ELi512EEEvPT_PKfS5_PKS2_PKii
    .private_segment_fixed_size: 0
    .sgpr_count:     36
    .sgpr_spill_count: 0
    .symbol:         _ZN4vllm32paged_attention_v2_reduce_kernelI14__hip_bfloat16Li128ELi128ELi512EEEvPT_PKfS5_PKS2_PKii.kd
    .uniform_work_group_size: 1
    .uses_dynamic_stack: false
    .vgpr_count:     28
    .vgpr_spill_count: 0
    .wavefront_size: 64
  - .agpr_count:     0
    .args:
      - .actual_access:  write_only
        .address_space:  global
        .offset:         0
        .size:           8
        .value_kind:     global_buffer
      - .actual_access:  write_only
        .address_space:  global
        .offset:         8
        .size:           8
        .value_kind:     global_buffer
      - .actual_access:  write_only
        .address_space:  global
        .offset:         16
        .size:           8
        .value_kind:     global_buffer
      - .actual_access:  read_only
        .address_space:  global
        .offset:         24
        .size:           8
        .value_kind:     global_buffer
      - .actual_access:  read_only
        .address_space:  global
        .offset:         32
        .size:           8
        .value_kind:     global_buffer
      - .actual_access:  read_only
        .address_space:  global
        .offset:         40
        .size:           8
        .value_kind:     global_buffer
      - .offset:         48
        .size:           4
        .value_kind:     by_value
      - .offset:         52
        .size:           4
        .value_kind:     by_value
      - .actual_access:  read_only
        .address_space:  global
        .offset:         56
        .size:           8
        .value_kind:     global_buffer
      - .actual_access:  read_only
        .address_space:  global
        .offset:         64
        .size:           8
        .value_kind:     global_buffer
      - .offset:         72
        .size:           4
        .value_kind:     by_value
      - .actual_access:  read_only
        .address_space:  global
        .offset:         80
        .size:           8
        .value_kind:     global_buffer
      - .offset:         88
        .size:           4
        .value_kind:     by_value
      - .offset:         92
        .size:           4
        .value_kind:     by_value
      - .offset:         96
        .size:           4
        .value_kind:     by_value
      - .address_space:  global
        .offset:         104
        .size:           8
        .value_kind:     global_buffer
      - .address_space:  global
        .offset:         112
        .size:           8
        .value_kind:     global_buffer
      - .offset:         120
        .size:           4
        .value_kind:     by_value
      - .offset:         124
        .size:           4
        .value_kind:     by_value
      - .offset:         128
        .size:           4
        .value_kind:     by_value
      - .offset:         132
        .size:           4
        .value_kind:     by_value
      - .offset:         136
        .size:           4
        .value_kind:     by_value
      - .offset:         144
        .size:           4
        .value_kind:     hidden_block_count_x
      - .offset:         148
        .size:           4
        .value_kind:     hidden_block_count_y
      - .offset:         152
        .size:           4
        .value_kind:     hidden_block_count_z
      - .offset:         156
        .size:           2
        .value_kind:     hidden_group_size_x
      - .offset:         158
        .size:           2
        .value_kind:     hidden_group_size_y
      - .offset:         160
        .size:           2
        .value_kind:     hidden_group_size_z
      - .offset:         162
        .size:           2
        .value_kind:     hidden_remainder_x
      - .offset:         164
        .size:           2
        .value_kind:     hidden_remainder_y
      - .offset:         166
        .size:           2
        .value_kind:     hidden_remainder_z
      - .offset:         184
        .size:           8
        .value_kind:     hidden_global_offset_x
      - .offset:         192
        .size:           8
        .value_kind:     hidden_global_offset_y
      - .offset:         200
        .size:           8
        .value_kind:     hidden_global_offset_z
      - .offset:         208
        .size:           2
        .value_kind:     hidden_grid_dims
      - .offset:         264
        .size:           4
        .value_kind:     hidden_dynamic_lds_size
    .group_segment_fixed_size: 400
    .kernarg_segment_align: 8
    .kernarg_segment_size: 400
    .language:       OpenCL C
    .language_version:
      - 2
      - 0
    .max_flat_workgroup_size: 1024
    .name:           _ZN4vllm25paged_attention_v2_kernelI14__hip_bfloat16S1_Li192ELi8ELi128ELNS_18Fp8KVCacheDataTypeE0ELb1ELi512EEEvPfS3_PT_PKS4_PKT0_SA_ifPKiSC_iPKfiiiSE_SE_iiiii
    .private_segment_fixed_size: 0
    .sgpr_count:     56
    .sgpr_spill_count: 0
    .symbol:         _ZN4vllm25paged_attention_v2_kernelI14__hip_bfloat16S1_Li192ELi8ELi128ELNS_18Fp8KVCacheDataTypeE0ELb1ELi512EEEvPfS3_PT_PKS4_PKT0_SA_ifPKiSC_iPKfiiiSE_SE_iiiii.kd
    .uniform_work_group_size: 1
    .uses_dynamic_stack: false
    .vgpr_count:     73
    .vgpr_spill_count: 0
    .wavefront_size: 64
  - .agpr_count:     0
    .args:
      - .actual_access:  write_only
        .address_space:  global
        .offset:         0
        .size:           8
        .value_kind:     global_buffer
      - .actual_access:  read_only
        .address_space:  global
        .offset:         8
        .size:           8
        .value_kind:     global_buffer
      - .actual_access:  read_only
        .address_space:  global
        .offset:         16
        .size:           8
        .value_kind:     global_buffer
      - .actual_access:  read_only
        .address_space:  global
        .offset:         24
        .size:           8
        .value_kind:     global_buffer
      - .actual_access:  read_only
        .address_space:  global
        .offset:         32
        .size:           8
        .value_kind:     global_buffer
      - .offset:         40
        .size:           4
        .value_kind:     by_value
      - .offset:         48
        .size:           4
        .value_kind:     hidden_block_count_x
      - .offset:         52
        .size:           4
        .value_kind:     hidden_block_count_y
      - .offset:         56
        .size:           4
        .value_kind:     hidden_block_count_z
      - .offset:         60
        .size:           2
        .value_kind:     hidden_group_size_x
      - .offset:         62
        .size:           2
        .value_kind:     hidden_group_size_y
      - .offset:         64
        .size:           2
        .value_kind:     hidden_group_size_z
      - .offset:         66
        .size:           2
        .value_kind:     hidden_remainder_x
      - .offset:         68
        .size:           2
        .value_kind:     hidden_remainder_y
      - .offset:         70
        .size:           2
        .value_kind:     hidden_remainder_z
      - .offset:         88
        .size:           8
        .value_kind:     hidden_global_offset_x
      - .offset:         96
        .size:           8
        .value_kind:     hidden_global_offset_y
      - .offset:         104
        .size:           8
        .value_kind:     hidden_global_offset_z
      - .offset:         112
        .size:           2
        .value_kind:     hidden_grid_dims
      - .offset:         168
        .size:           4
        .value_kind:     hidden_dynamic_lds_size
    .group_segment_fixed_size: 16
    .kernarg_segment_align: 8
    .kernarg_segment_size: 304
    .language:       OpenCL C
    .language_version:
      - 2
      - 0
    .max_flat_workgroup_size: 1024
    .name:           _ZN4vllm32paged_attention_v2_reduce_kernelI14__hip_bfloat16Li192ELi128ELi512EEEvPT_PKfS5_PKS2_PKii
    .private_segment_fixed_size: 0
    .sgpr_count:     36
    .sgpr_spill_count: 0
    .symbol:         _ZN4vllm32paged_attention_v2_reduce_kernelI14__hip_bfloat16Li192ELi128ELi512EEEvPT_PKfS5_PKS2_PKii.kd
    .uniform_work_group_size: 1
    .uses_dynamic_stack: false
    .vgpr_count:     28
    .vgpr_spill_count: 0
    .wavefront_size: 64
  - .agpr_count:     0
    .args:
      - .actual_access:  write_only
        .address_space:  global
        .offset:         0
        .size:           8
        .value_kind:     global_buffer
      - .actual_access:  write_only
        .address_space:  global
        .offset:         8
        .size:           8
        .value_kind:     global_buffer
      - .actual_access:  write_only
        .address_space:  global
        .offset:         16
        .size:           8
        .value_kind:     global_buffer
      - .actual_access:  read_only
        .address_space:  global
        .offset:         24
        .size:           8
        .value_kind:     global_buffer
      - .actual_access:  read_only
        .address_space:  global
        .offset:         32
        .size:           8
        .value_kind:     global_buffer
      - .actual_access:  read_only
        .address_space:  global
        .offset:         40
        .size:           8
        .value_kind:     global_buffer
      - .offset:         48
        .size:           4
        .value_kind:     by_value
      - .offset:         52
        .size:           4
        .value_kind:     by_value
      - .actual_access:  read_only
        .address_space:  global
        .offset:         56
        .size:           8
        .value_kind:     global_buffer
      - .actual_access:  read_only
        .address_space:  global
        .offset:         64
        .size:           8
        .value_kind:     global_buffer
      - .offset:         72
        .size:           4
        .value_kind:     by_value
      - .actual_access:  read_only
        .address_space:  global
        .offset:         80
        .size:           8
        .value_kind:     global_buffer
      - .offset:         88
        .size:           4
        .value_kind:     by_value
      - .offset:         92
        .size:           4
        .value_kind:     by_value
      - .offset:         96
        .size:           4
        .value_kind:     by_value
      - .address_space:  global
        .offset:         104
        .size:           8
        .value_kind:     global_buffer
      - .address_space:  global
        .offset:         112
        .size:           8
        .value_kind:     global_buffer
      - .offset:         120
        .size:           4
        .value_kind:     by_value
      - .offset:         124
        .size:           4
        .value_kind:     by_value
      - .offset:         128
        .size:           4
        .value_kind:     by_value
      - .offset:         132
        .size:           4
        .value_kind:     by_value
      - .offset:         136
        .size:           4
        .value_kind:     by_value
      - .offset:         144
        .size:           4
        .value_kind:     hidden_block_count_x
      - .offset:         148
        .size:           4
        .value_kind:     hidden_block_count_y
      - .offset:         152
        .size:           4
        .value_kind:     hidden_block_count_z
      - .offset:         156
        .size:           2
        .value_kind:     hidden_group_size_x
      - .offset:         158
        .size:           2
        .value_kind:     hidden_group_size_y
      - .offset:         160
        .size:           2
        .value_kind:     hidden_group_size_z
      - .offset:         162
        .size:           2
        .value_kind:     hidden_remainder_x
      - .offset:         164
        .size:           2
        .value_kind:     hidden_remainder_y
      - .offset:         166
        .size:           2
        .value_kind:     hidden_remainder_z
      - .offset:         184
        .size:           8
        .value_kind:     hidden_global_offset_x
      - .offset:         192
        .size:           8
        .value_kind:     hidden_global_offset_y
      - .offset:         200
        .size:           8
        .value_kind:     hidden_global_offset_z
      - .offset:         208
        .size:           2
        .value_kind:     hidden_grid_dims
      - .offset:         264
        .size:           4
        .value_kind:     hidden_dynamic_lds_size
    .group_segment_fixed_size: 528
    .kernarg_segment_align: 8
    .kernarg_segment_size: 400
    .language:       OpenCL C
    .language_version:
      - 2
      - 0
    .max_flat_workgroup_size: 1024
    .name:           _ZN4vllm25paged_attention_v2_kernelI14__hip_bfloat16S1_Li256ELi8ELi128ELNS_18Fp8KVCacheDataTypeE0ELb1ELi512EEEvPfS3_PT_PKS4_PKT0_SA_ifPKiSC_iPKfiiiSE_SE_iiiii
    .private_segment_fixed_size: 0
    .sgpr_count:     56
    .sgpr_spill_count: 0
    .symbol:         _ZN4vllm25paged_attention_v2_kernelI14__hip_bfloat16S1_Li256ELi8ELi128ELNS_18Fp8KVCacheDataTypeE0ELb1ELi512EEEvPfS3_PT_PKS4_PKT0_SA_ifPKiSC_iPKfiiiSE_SE_iiiii.kd
    .uniform_work_group_size: 1
    .uses_dynamic_stack: false
    .vgpr_count:     89
    .vgpr_spill_count: 0
    .wavefront_size: 64
  - .agpr_count:     0
    .args:
      - .actual_access:  write_only
        .address_space:  global
        .offset:         0
        .size:           8
        .value_kind:     global_buffer
      - .actual_access:  read_only
        .address_space:  global
        .offset:         8
        .size:           8
        .value_kind:     global_buffer
      - .actual_access:  read_only
        .address_space:  global
        .offset:         16
        .size:           8
        .value_kind:     global_buffer
      - .actual_access:  read_only
        .address_space:  global
        .offset:         24
        .size:           8
        .value_kind:     global_buffer
      - .actual_access:  read_only
        .address_space:  global
        .offset:         32
        .size:           8
        .value_kind:     global_buffer
      - .offset:         40
        .size:           4
        .value_kind:     by_value
      - .offset:         48
        .size:           4
        .value_kind:     hidden_block_count_x
      - .offset:         52
        .size:           4
        .value_kind:     hidden_block_count_y
      - .offset:         56
        .size:           4
        .value_kind:     hidden_block_count_z
      - .offset:         60
        .size:           2
        .value_kind:     hidden_group_size_x
      - .offset:         62
        .size:           2
        .value_kind:     hidden_group_size_y
      - .offset:         64
        .size:           2
        .value_kind:     hidden_group_size_z
      - .offset:         66
        .size:           2
        .value_kind:     hidden_remainder_x
      - .offset:         68
        .size:           2
        .value_kind:     hidden_remainder_y
      - .offset:         70
        .size:           2
        .value_kind:     hidden_remainder_z
      - .offset:         88
        .size:           8
        .value_kind:     hidden_global_offset_x
      - .offset:         96
        .size:           8
        .value_kind:     hidden_global_offset_y
      - .offset:         104
        .size:           8
        .value_kind:     hidden_global_offset_z
      - .offset:         112
        .size:           2
        .value_kind:     hidden_grid_dims
      - .offset:         168
        .size:           4
        .value_kind:     hidden_dynamic_lds_size
    .group_segment_fixed_size: 16
    .kernarg_segment_align: 8
    .kernarg_segment_size: 304
    .language:       OpenCL C
    .language_version:
      - 2
      - 0
    .max_flat_workgroup_size: 1024
    .name:           _ZN4vllm32paged_attention_v2_reduce_kernelI14__hip_bfloat16Li256ELi128ELi512EEEvPT_PKfS5_PKS2_PKii
    .private_segment_fixed_size: 0
    .sgpr_count:     36
    .sgpr_spill_count: 0
    .symbol:         _ZN4vllm32paged_attention_v2_reduce_kernelI14__hip_bfloat16Li256ELi128ELi512EEEvPT_PKfS5_PKS2_PKii.kd
    .uniform_work_group_size: 1
    .uses_dynamic_stack: false
    .vgpr_count:     28
    .vgpr_spill_count: 0
    .wavefront_size: 64
  - .agpr_count:     0
    .args:
      - .actual_access:  write_only
        .address_space:  global
        .offset:         0
        .size:           8
        .value_kind:     global_buffer
      - .actual_access:  write_only
        .address_space:  global
        .offset:         8
        .size:           8
        .value_kind:     global_buffer
      - .actual_access:  write_only
        .address_space:  global
        .offset:         16
        .size:           8
        .value_kind:     global_buffer
      - .actual_access:  read_only
        .address_space:  global
        .offset:         24
        .size:           8
        .value_kind:     global_buffer
      - .actual_access:  read_only
        .address_space:  global
        .offset:         32
        .size:           8
        .value_kind:     global_buffer
      - .actual_access:  read_only
        .address_space:  global
        .offset:         40
        .size:           8
        .value_kind:     global_buffer
      - .offset:         48
        .size:           4
        .value_kind:     by_value
      - .offset:         52
        .size:           4
        .value_kind:     by_value
      - .actual_access:  read_only
        .address_space:  global
        .offset:         56
        .size:           8
        .value_kind:     global_buffer
      - .actual_access:  read_only
        .address_space:  global
        .offset:         64
        .size:           8
        .value_kind:     global_buffer
      - .offset:         72
        .size:           4
        .value_kind:     by_value
      - .actual_access:  read_only
        .address_space:  global
        .offset:         80
        .size:           8
        .value_kind:     global_buffer
      - .offset:         88
        .size:           4
        .value_kind:     by_value
      - .offset:         92
        .size:           4
        .value_kind:     by_value
      - .offset:         96
        .size:           4
        .value_kind:     by_value
      - .address_space:  global
        .offset:         104
        .size:           8
        .value_kind:     global_buffer
      - .address_space:  global
        .offset:         112
        .size:           8
        .value_kind:     global_buffer
      - .offset:         120
        .size:           4
        .value_kind:     by_value
      - .offset:         124
        .size:           4
        .value_kind:     by_value
      - .offset:         128
        .size:           4
        .value_kind:     by_value
      - .offset:         132
        .size:           4
        .value_kind:     by_value
      - .offset:         136
        .size:           4
        .value_kind:     by_value
      - .offset:         144
        .size:           4
        .value_kind:     hidden_block_count_x
      - .offset:         148
        .size:           4
        .value_kind:     hidden_block_count_y
      - .offset:         152
        .size:           4
        .value_kind:     hidden_block_count_z
      - .offset:         156
        .size:           2
        .value_kind:     hidden_group_size_x
      - .offset:         158
        .size:           2
        .value_kind:     hidden_group_size_y
      - .offset:         160
        .size:           2
        .value_kind:     hidden_group_size_z
      - .offset:         162
        .size:           2
        .value_kind:     hidden_remainder_x
      - .offset:         164
        .size:           2
        .value_kind:     hidden_remainder_y
      - .offset:         166
        .size:           2
        .value_kind:     hidden_remainder_z
      - .offset:         184
        .size:           8
        .value_kind:     hidden_global_offset_x
      - .offset:         192
        .size:           8
        .value_kind:     hidden_global_offset_y
      - .offset:         200
        .size:           8
        .value_kind:     hidden_global_offset_z
      - .offset:         208
        .size:           2
        .value_kind:     hidden_grid_dims
      - .offset:         264
        .size:           4
        .value_kind:     hidden_dynamic_lds_size
    .group_segment_fixed_size: 80
    .kernarg_segment_align: 8
    .kernarg_segment_size: 400
    .language:       OpenCL C
    .language_version:
      - 2
      - 0
    .max_flat_workgroup_size: 1024
    .name:           _ZN4vllm25paged_attention_v2_kernelI14__hip_bfloat16S1_Li32ELi8ELi128ELNS_18Fp8KVCacheDataTypeE0ELb0ELi512EEEvPfS3_PT_PKS4_PKT0_SA_ifPKiSC_iPKfiiiSE_SE_iiiii
    .private_segment_fixed_size: 0
    .sgpr_count:     46
    .sgpr_spill_count: 0
    .symbol:         _ZN4vllm25paged_attention_v2_kernelI14__hip_bfloat16S1_Li32ELi8ELi128ELNS_18Fp8KVCacheDataTypeE0ELb0ELi512EEEvPfS3_PT_PKS4_PKT0_SA_ifPKiSC_iPKfiiiSE_SE_iiiii.kd
    .uniform_work_group_size: 1
    .uses_dynamic_stack: false
    .vgpr_count:     28
    .vgpr_spill_count: 0
    .wavefront_size: 64
  - .agpr_count:     0
    .args:
      - .actual_access:  write_only
        .address_space:  global
        .offset:         0
        .size:           8
        .value_kind:     global_buffer
      - .actual_access:  write_only
        .address_space:  global
        .offset:         8
        .size:           8
        .value_kind:     global_buffer
      - .actual_access:  write_only
        .address_space:  global
        .offset:         16
        .size:           8
        .value_kind:     global_buffer
      - .actual_access:  read_only
        .address_space:  global
        .offset:         24
        .size:           8
        .value_kind:     global_buffer
      - .actual_access:  read_only
        .address_space:  global
        .offset:         32
        .size:           8
        .value_kind:     global_buffer
      - .actual_access:  read_only
        .address_space:  global
        .offset:         40
        .size:           8
        .value_kind:     global_buffer
      - .offset:         48
        .size:           4
        .value_kind:     by_value
      - .offset:         52
        .size:           4
        .value_kind:     by_value
      - .actual_access:  read_only
        .address_space:  global
        .offset:         56
        .size:           8
        .value_kind:     global_buffer
      - .actual_access:  read_only
        .address_space:  global
        .offset:         64
        .size:           8
        .value_kind:     global_buffer
      - .offset:         72
        .size:           4
        .value_kind:     by_value
      - .actual_access:  read_only
        .address_space:  global
        .offset:         80
        .size:           8
        .value_kind:     global_buffer
      - .offset:         88
        .size:           4
        .value_kind:     by_value
      - .offset:         92
        .size:           4
        .value_kind:     by_value
      - .offset:         96
        .size:           4
        .value_kind:     by_value
      - .address_space:  global
        .offset:         104
        .size:           8
        .value_kind:     global_buffer
      - .address_space:  global
        .offset:         112
        .size:           8
        .value_kind:     global_buffer
      - .offset:         120
        .size:           4
        .value_kind:     by_value
      - .offset:         124
        .size:           4
        .value_kind:     by_value
      - .offset:         128
        .size:           4
        .value_kind:     by_value
      - .offset:         132
        .size:           4
        .value_kind:     by_value
      - .offset:         136
        .size:           4
        .value_kind:     by_value
      - .offset:         144
        .size:           4
        .value_kind:     hidden_block_count_x
      - .offset:         148
        .size:           4
        .value_kind:     hidden_block_count_y
      - .offset:         152
        .size:           4
        .value_kind:     hidden_block_count_z
      - .offset:         156
        .size:           2
        .value_kind:     hidden_group_size_x
      - .offset:         158
        .size:           2
        .value_kind:     hidden_group_size_y
      - .offset:         160
        .size:           2
        .value_kind:     hidden_group_size_z
      - .offset:         162
        .size:           2
        .value_kind:     hidden_remainder_x
      - .offset:         164
        .size:           2
        .value_kind:     hidden_remainder_y
      - .offset:         166
        .size:           2
        .value_kind:     hidden_remainder_z
      - .offset:         184
        .size:           8
        .value_kind:     hidden_global_offset_x
      - .offset:         192
        .size:           8
        .value_kind:     hidden_global_offset_y
      - .offset:         200
        .size:           8
        .value_kind:     hidden_global_offset_z
      - .offset:         208
        .size:           2
        .value_kind:     hidden_grid_dims
      - .offset:         264
        .size:           4
        .value_kind:     hidden_dynamic_lds_size
    .group_segment_fixed_size: 144
    .kernarg_segment_align: 8
    .kernarg_segment_size: 400
    .language:       OpenCL C
    .language_version:
      - 2
      - 0
    .max_flat_workgroup_size: 1024
    .name:           _ZN4vllm25paged_attention_v2_kernelI14__hip_bfloat16S1_Li64ELi8ELi128ELNS_18Fp8KVCacheDataTypeE0ELb0ELi512EEEvPfS3_PT_PKS4_PKT0_SA_ifPKiSC_iPKfiiiSE_SE_iiiii
    .private_segment_fixed_size: 0
    .sgpr_count:     48
    .sgpr_spill_count: 0
    .symbol:         _ZN4vllm25paged_attention_v2_kernelI14__hip_bfloat16S1_Li64ELi8ELi128ELNS_18Fp8KVCacheDataTypeE0ELb0ELi512EEEvPfS3_PT_PKS4_PKT0_SA_ifPKiSC_iPKfiiiSE_SE_iiiii.kd
    .uniform_work_group_size: 1
    .uses_dynamic_stack: false
    .vgpr_count:     36
    .vgpr_spill_count: 0
    .wavefront_size: 64
  - .agpr_count:     0
    .args:
      - .actual_access:  write_only
        .address_space:  global
        .offset:         0
        .size:           8
        .value_kind:     global_buffer
      - .actual_access:  write_only
        .address_space:  global
        .offset:         8
        .size:           8
        .value_kind:     global_buffer
      - .actual_access:  write_only
        .address_space:  global
        .offset:         16
        .size:           8
        .value_kind:     global_buffer
      - .actual_access:  read_only
        .address_space:  global
        .offset:         24
        .size:           8
        .value_kind:     global_buffer
      - .actual_access:  read_only
        .address_space:  global
        .offset:         32
        .size:           8
        .value_kind:     global_buffer
      - .actual_access:  read_only
        .address_space:  global
        .offset:         40
        .size:           8
        .value_kind:     global_buffer
      - .offset:         48
        .size:           4
        .value_kind:     by_value
      - .offset:         52
        .size:           4
        .value_kind:     by_value
      - .actual_access:  read_only
        .address_space:  global
        .offset:         56
        .size:           8
        .value_kind:     global_buffer
      - .actual_access:  read_only
        .address_space:  global
        .offset:         64
        .size:           8
        .value_kind:     global_buffer
      - .offset:         72
        .size:           4
        .value_kind:     by_value
      - .actual_access:  read_only
        .address_space:  global
        .offset:         80
        .size:           8
        .value_kind:     global_buffer
      - .offset:         88
        .size:           4
        .value_kind:     by_value
      - .offset:         92
        .size:           4
        .value_kind:     by_value
      - .offset:         96
        .size:           4
        .value_kind:     by_value
      - .address_space:  global
        .offset:         104
        .size:           8
        .value_kind:     global_buffer
      - .address_space:  global
        .offset:         112
        .size:           8
        .value_kind:     global_buffer
      - .offset:         120
        .size:           4
        .value_kind:     by_value
      - .offset:         124
        .size:           4
        .value_kind:     by_value
      - .offset:         128
        .size:           4
        .value_kind:     by_value
      - .offset:         132
        .size:           4
        .value_kind:     by_value
      - .offset:         136
        .size:           4
        .value_kind:     by_value
      - .offset:         144
        .size:           4
        .value_kind:     hidden_block_count_x
      - .offset:         148
        .size:           4
        .value_kind:     hidden_block_count_y
      - .offset:         152
        .size:           4
        .value_kind:     hidden_block_count_z
      - .offset:         156
        .size:           2
        .value_kind:     hidden_group_size_x
      - .offset:         158
        .size:           2
        .value_kind:     hidden_group_size_y
      - .offset:         160
        .size:           2
        .value_kind:     hidden_group_size_z
      - .offset:         162
        .size:           2
        .value_kind:     hidden_remainder_x
      - .offset:         164
        .size:           2
        .value_kind:     hidden_remainder_y
      - .offset:         166
        .size:           2
        .value_kind:     hidden_remainder_z
      - .offset:         184
        .size:           8
        .value_kind:     hidden_global_offset_x
      - .offset:         192
        .size:           8
        .value_kind:     hidden_global_offset_y
      - .offset:         200
        .size:           8
        .value_kind:     hidden_global_offset_z
      - .offset:         208
        .size:           2
        .value_kind:     hidden_grid_dims
      - .offset:         264
        .size:           4
        .value_kind:     hidden_dynamic_lds_size
    .group_segment_fixed_size: 176
    .kernarg_segment_align: 8
    .kernarg_segment_size: 400
    .language:       OpenCL C
    .language_version:
      - 2
      - 0
    .max_flat_workgroup_size: 1024
    .name:           _ZN4vllm25paged_attention_v2_kernelI14__hip_bfloat16S1_Li80ELi8ELi128ELNS_18Fp8KVCacheDataTypeE0ELb0ELi512EEEvPfS3_PT_PKS4_PKT0_SA_ifPKiSC_iPKfiiiSE_SE_iiiii
    .private_segment_fixed_size: 0
    .sgpr_count:     48
    .sgpr_spill_count: 0
    .symbol:         _ZN4vllm25paged_attention_v2_kernelI14__hip_bfloat16S1_Li80ELi8ELi128ELNS_18Fp8KVCacheDataTypeE0ELb0ELi512EEEvPfS3_PT_PKS4_PKT0_SA_ifPKiSC_iPKfiiiSE_SE_iiiii.kd
    .uniform_work_group_size: 1
    .uses_dynamic_stack: false
    .vgpr_count:     41
    .vgpr_spill_count: 0
    .wavefront_size: 64
  - .agpr_count:     0
    .args:
      - .actual_access:  write_only
        .address_space:  global
        .offset:         0
        .size:           8
        .value_kind:     global_buffer
      - .actual_access:  write_only
        .address_space:  global
        .offset:         8
        .size:           8
        .value_kind:     global_buffer
      - .actual_access:  write_only
        .address_space:  global
        .offset:         16
        .size:           8
        .value_kind:     global_buffer
      - .actual_access:  read_only
        .address_space:  global
        .offset:         24
        .size:           8
        .value_kind:     global_buffer
      - .actual_access:  read_only
        .address_space:  global
        .offset:         32
        .size:           8
        .value_kind:     global_buffer
      - .actual_access:  read_only
        .address_space:  global
        .offset:         40
        .size:           8
        .value_kind:     global_buffer
      - .offset:         48
        .size:           4
        .value_kind:     by_value
      - .offset:         52
        .size:           4
        .value_kind:     by_value
      - .actual_access:  read_only
        .address_space:  global
        .offset:         56
        .size:           8
        .value_kind:     global_buffer
      - .actual_access:  read_only
        .address_space:  global
        .offset:         64
        .size:           8
        .value_kind:     global_buffer
      - .offset:         72
        .size:           4
        .value_kind:     by_value
      - .actual_access:  read_only
        .address_space:  global
        .offset:         80
        .size:           8
        .value_kind:     global_buffer
      - .offset:         88
        .size:           4
        .value_kind:     by_value
      - .offset:         92
        .size:           4
        .value_kind:     by_value
      - .offset:         96
        .size:           4
        .value_kind:     by_value
      - .address_space:  global
        .offset:         104
        .size:           8
        .value_kind:     global_buffer
      - .address_space:  global
        .offset:         112
        .size:           8
        .value_kind:     global_buffer
      - .offset:         120
        .size:           4
        .value_kind:     by_value
      - .offset:         124
        .size:           4
        .value_kind:     by_value
      - .offset:         128
        .size:           4
        .value_kind:     by_value
      - .offset:         132
        .size:           4
        .value_kind:     by_value
      - .offset:         136
        .size:           4
        .value_kind:     by_value
      - .offset:         144
        .size:           4
        .value_kind:     hidden_block_count_x
      - .offset:         148
        .size:           4
        .value_kind:     hidden_block_count_y
      - .offset:         152
        .size:           4
        .value_kind:     hidden_block_count_z
      - .offset:         156
        .size:           2
        .value_kind:     hidden_group_size_x
      - .offset:         158
        .size:           2
        .value_kind:     hidden_group_size_y
      - .offset:         160
        .size:           2
        .value_kind:     hidden_group_size_z
      - .offset:         162
        .size:           2
        .value_kind:     hidden_remainder_x
      - .offset:         164
        .size:           2
        .value_kind:     hidden_remainder_y
      - .offset:         166
        .size:           2
        .value_kind:     hidden_remainder_z
      - .offset:         184
        .size:           8
        .value_kind:     hidden_global_offset_x
      - .offset:         192
        .size:           8
        .value_kind:     hidden_global_offset_y
      - .offset:         200
        .size:           8
        .value_kind:     hidden_global_offset_z
      - .offset:         208
        .size:           2
        .value_kind:     hidden_grid_dims
      - .offset:         264
        .size:           4
        .value_kind:     hidden_dynamic_lds_size
    .group_segment_fixed_size: 208
    .kernarg_segment_align: 8
    .kernarg_segment_size: 400
    .language:       OpenCL C
    .language_version:
      - 2
      - 0
    .max_flat_workgroup_size: 1024
    .name:           _ZN4vllm25paged_attention_v2_kernelI14__hip_bfloat16S1_Li96ELi8ELi128ELNS_18Fp8KVCacheDataTypeE0ELb0ELi512EEEvPfS3_PT_PKS4_PKT0_SA_ifPKiSC_iPKfiiiSE_SE_iiiii
    .private_segment_fixed_size: 0
    .sgpr_count:     48
    .sgpr_spill_count: 0
    .symbol:         _ZN4vllm25paged_attention_v2_kernelI14__hip_bfloat16S1_Li96ELi8ELi128ELNS_18Fp8KVCacheDataTypeE0ELb0ELi512EEEvPfS3_PT_PKS4_PKT0_SA_ifPKiSC_iPKfiiiSE_SE_iiiii.kd
    .uniform_work_group_size: 1
    .uses_dynamic_stack: false
    .vgpr_count:     45
    .vgpr_spill_count: 0
    .wavefront_size: 64
  - .agpr_count:     0
    .args:
      - .actual_access:  write_only
        .address_space:  global
        .offset:         0
        .size:           8
        .value_kind:     global_buffer
      - .actual_access:  write_only
        .address_space:  global
        .offset:         8
        .size:           8
        .value_kind:     global_buffer
      - .actual_access:  write_only
        .address_space:  global
        .offset:         16
        .size:           8
        .value_kind:     global_buffer
      - .actual_access:  read_only
        .address_space:  global
        .offset:         24
        .size:           8
        .value_kind:     global_buffer
      - .actual_access:  read_only
        .address_space:  global
        .offset:         32
        .size:           8
        .value_kind:     global_buffer
      - .actual_access:  read_only
        .address_space:  global
        .offset:         40
        .size:           8
        .value_kind:     global_buffer
      - .offset:         48
        .size:           4
        .value_kind:     by_value
      - .offset:         52
        .size:           4
        .value_kind:     by_value
      - .actual_access:  read_only
        .address_space:  global
        .offset:         56
        .size:           8
        .value_kind:     global_buffer
      - .actual_access:  read_only
        .address_space:  global
        .offset:         64
        .size:           8
        .value_kind:     global_buffer
      - .offset:         72
        .size:           4
        .value_kind:     by_value
      - .actual_access:  read_only
        .address_space:  global
        .offset:         80
        .size:           8
        .value_kind:     global_buffer
      - .offset:         88
        .size:           4
        .value_kind:     by_value
      - .offset:         92
        .size:           4
        .value_kind:     by_value
      - .offset:         96
        .size:           4
        .value_kind:     by_value
      - .address_space:  global
        .offset:         104
        .size:           8
        .value_kind:     global_buffer
      - .address_space:  global
        .offset:         112
        .size:           8
        .value_kind:     global_buffer
      - .offset:         120
        .size:           4
        .value_kind:     by_value
      - .offset:         124
        .size:           4
        .value_kind:     by_value
      - .offset:         128
        .size:           4
        .value_kind:     by_value
      - .offset:         132
        .size:           4
        .value_kind:     by_value
      - .offset:         136
        .size:           4
        .value_kind:     by_value
      - .offset:         144
        .size:           4
        .value_kind:     hidden_block_count_x
      - .offset:         148
        .size:           4
        .value_kind:     hidden_block_count_y
      - .offset:         152
        .size:           4
        .value_kind:     hidden_block_count_z
      - .offset:         156
        .size:           2
        .value_kind:     hidden_group_size_x
      - .offset:         158
        .size:           2
        .value_kind:     hidden_group_size_y
      - .offset:         160
        .size:           2
        .value_kind:     hidden_group_size_z
      - .offset:         162
        .size:           2
        .value_kind:     hidden_remainder_x
      - .offset:         164
        .size:           2
        .value_kind:     hidden_remainder_y
      - .offset:         166
        .size:           2
        .value_kind:     hidden_remainder_z
      - .offset:         184
        .size:           8
        .value_kind:     hidden_global_offset_x
      - .offset:         192
        .size:           8
        .value_kind:     hidden_global_offset_y
      - .offset:         200
        .size:           8
        .value_kind:     hidden_global_offset_z
      - .offset:         208
        .size:           2
        .value_kind:     hidden_grid_dims
      - .offset:         264
        .size:           4
        .value_kind:     hidden_dynamic_lds_size
    .group_segment_fixed_size: 240
    .kernarg_segment_align: 8
    .kernarg_segment_size: 400
    .language:       OpenCL C
    .language_version:
      - 2
      - 0
    .max_flat_workgroup_size: 1024
    .name:           _ZN4vllm25paged_attention_v2_kernelI14__hip_bfloat16S1_Li112ELi8ELi128ELNS_18Fp8KVCacheDataTypeE0ELb0ELi512EEEvPfS3_PT_PKS4_PKT0_SA_ifPKiSC_iPKfiiiSE_SE_iiiii
    .private_segment_fixed_size: 0
    .sgpr_count:     48
    .sgpr_spill_count: 0
    .symbol:         _ZN4vllm25paged_attention_v2_kernelI14__hip_bfloat16S1_Li112ELi8ELi128ELNS_18Fp8KVCacheDataTypeE0ELb0ELi512EEEvPfS3_PT_PKS4_PKT0_SA_ifPKiSC_iPKfiiiSE_SE_iiiii.kd
    .uniform_work_group_size: 1
    .uses_dynamic_stack: false
    .vgpr_count:     49
    .vgpr_spill_count: 0
    .wavefront_size: 64
  - .agpr_count:     0
    .args:
      - .actual_access:  write_only
        .address_space:  global
        .offset:         0
        .size:           8
        .value_kind:     global_buffer
      - .actual_access:  write_only
        .address_space:  global
        .offset:         8
        .size:           8
        .value_kind:     global_buffer
      - .actual_access:  write_only
        .address_space:  global
        .offset:         16
        .size:           8
        .value_kind:     global_buffer
      - .actual_access:  read_only
        .address_space:  global
        .offset:         24
        .size:           8
        .value_kind:     global_buffer
      - .actual_access:  read_only
        .address_space:  global
        .offset:         32
        .size:           8
        .value_kind:     global_buffer
      - .actual_access:  read_only
        .address_space:  global
        .offset:         40
        .size:           8
        .value_kind:     global_buffer
      - .offset:         48
        .size:           4
        .value_kind:     by_value
      - .offset:         52
        .size:           4
        .value_kind:     by_value
      - .actual_access:  read_only
        .address_space:  global
        .offset:         56
        .size:           8
        .value_kind:     global_buffer
      - .actual_access:  read_only
        .address_space:  global
        .offset:         64
        .size:           8
        .value_kind:     global_buffer
      - .offset:         72
        .size:           4
        .value_kind:     by_value
      - .actual_access:  read_only
        .address_space:  global
        .offset:         80
        .size:           8
        .value_kind:     global_buffer
      - .offset:         88
        .size:           4
        .value_kind:     by_value
      - .offset:         92
        .size:           4
        .value_kind:     by_value
      - .offset:         96
        .size:           4
        .value_kind:     by_value
      - .address_space:  global
        .offset:         104
        .size:           8
        .value_kind:     global_buffer
      - .address_space:  global
        .offset:         112
        .size:           8
        .value_kind:     global_buffer
      - .offset:         120
        .size:           4
        .value_kind:     by_value
      - .offset:         124
        .size:           4
        .value_kind:     by_value
      - .offset:         128
        .size:           4
        .value_kind:     by_value
      - .offset:         132
        .size:           4
        .value_kind:     by_value
      - .offset:         136
        .size:           4
        .value_kind:     by_value
      - .offset:         144
        .size:           4
        .value_kind:     hidden_block_count_x
      - .offset:         148
        .size:           4
        .value_kind:     hidden_block_count_y
      - .offset:         152
        .size:           4
        .value_kind:     hidden_block_count_z
      - .offset:         156
        .size:           2
        .value_kind:     hidden_group_size_x
      - .offset:         158
        .size:           2
        .value_kind:     hidden_group_size_y
      - .offset:         160
        .size:           2
        .value_kind:     hidden_group_size_z
      - .offset:         162
        .size:           2
        .value_kind:     hidden_remainder_x
      - .offset:         164
        .size:           2
        .value_kind:     hidden_remainder_y
      - .offset:         166
        .size:           2
        .value_kind:     hidden_remainder_z
      - .offset:         184
        .size:           8
        .value_kind:     hidden_global_offset_x
      - .offset:         192
        .size:           8
        .value_kind:     hidden_global_offset_y
      - .offset:         200
        .size:           8
        .value_kind:     hidden_global_offset_z
      - .offset:         208
        .size:           2
        .value_kind:     hidden_grid_dims
      - .offset:         264
        .size:           4
        .value_kind:     hidden_dynamic_lds_size
    .group_segment_fixed_size: 256
    .kernarg_segment_align: 8
    .kernarg_segment_size: 400
    .language:       OpenCL C
    .language_version:
      - 2
      - 0
    .max_flat_workgroup_size: 1024
    .name:           _ZN4vllm25paged_attention_v2_kernelI14__hip_bfloat16S1_Li120ELi8ELi128ELNS_18Fp8KVCacheDataTypeE0ELb0ELi512EEEvPfS3_PT_PKS4_PKT0_SA_ifPKiSC_iPKfiiiSE_SE_iiiii
    .private_segment_fixed_size: 0
    .sgpr_count:     48
    .sgpr_spill_count: 0
    .symbol:         _ZN4vllm25paged_attention_v2_kernelI14__hip_bfloat16S1_Li120ELi8ELi128ELNS_18Fp8KVCacheDataTypeE0ELb0ELi512EEEvPfS3_PT_PKS4_PKT0_SA_ifPKiSC_iPKfiiiSE_SE_iiiii.kd
    .uniform_work_group_size: 1
    .uses_dynamic_stack: false
    .vgpr_count:     51
    .vgpr_spill_count: 0
    .wavefront_size: 64
  - .agpr_count:     0
    .args:
      - .actual_access:  write_only
        .address_space:  global
        .offset:         0
        .size:           8
        .value_kind:     global_buffer
      - .actual_access:  write_only
        .address_space:  global
        .offset:         8
        .size:           8
        .value_kind:     global_buffer
      - .actual_access:  write_only
        .address_space:  global
        .offset:         16
        .size:           8
        .value_kind:     global_buffer
      - .actual_access:  read_only
        .address_space:  global
        .offset:         24
        .size:           8
        .value_kind:     global_buffer
      - .actual_access:  read_only
        .address_space:  global
        .offset:         32
        .size:           8
        .value_kind:     global_buffer
      - .actual_access:  read_only
        .address_space:  global
        .offset:         40
        .size:           8
        .value_kind:     global_buffer
      - .offset:         48
        .size:           4
        .value_kind:     by_value
      - .offset:         52
        .size:           4
        .value_kind:     by_value
      - .actual_access:  read_only
        .address_space:  global
        .offset:         56
        .size:           8
        .value_kind:     global_buffer
      - .actual_access:  read_only
        .address_space:  global
        .offset:         64
        .size:           8
        .value_kind:     global_buffer
      - .offset:         72
        .size:           4
        .value_kind:     by_value
      - .actual_access:  read_only
        .address_space:  global
        .offset:         80
        .size:           8
        .value_kind:     global_buffer
      - .offset:         88
        .size:           4
        .value_kind:     by_value
      - .offset:         92
        .size:           4
        .value_kind:     by_value
      - .offset:         96
        .size:           4
        .value_kind:     by_value
      - .address_space:  global
        .offset:         104
        .size:           8
        .value_kind:     global_buffer
      - .address_space:  global
        .offset:         112
        .size:           8
        .value_kind:     global_buffer
      - .offset:         120
        .size:           4
        .value_kind:     by_value
      - .offset:         124
        .size:           4
        .value_kind:     by_value
      - .offset:         128
        .size:           4
        .value_kind:     by_value
      - .offset:         132
        .size:           4
        .value_kind:     by_value
      - .offset:         136
        .size:           4
        .value_kind:     by_value
      - .offset:         144
        .size:           4
        .value_kind:     hidden_block_count_x
      - .offset:         148
        .size:           4
        .value_kind:     hidden_block_count_y
      - .offset:         152
        .size:           4
        .value_kind:     hidden_block_count_z
      - .offset:         156
        .size:           2
        .value_kind:     hidden_group_size_x
      - .offset:         158
        .size:           2
        .value_kind:     hidden_group_size_y
      - .offset:         160
        .size:           2
        .value_kind:     hidden_group_size_z
      - .offset:         162
        .size:           2
        .value_kind:     hidden_remainder_x
      - .offset:         164
        .size:           2
        .value_kind:     hidden_remainder_y
      - .offset:         166
        .size:           2
        .value_kind:     hidden_remainder_z
      - .offset:         184
        .size:           8
        .value_kind:     hidden_global_offset_x
      - .offset:         192
        .size:           8
        .value_kind:     hidden_global_offset_y
      - .offset:         200
        .size:           8
        .value_kind:     hidden_global_offset_z
      - .offset:         208
        .size:           2
        .value_kind:     hidden_grid_dims
      - .offset:         264
        .size:           4
        .value_kind:     hidden_dynamic_lds_size
    .group_segment_fixed_size: 272
    .kernarg_segment_align: 8
    .kernarg_segment_size: 400
    .language:       OpenCL C
    .language_version:
      - 2
      - 0
    .max_flat_workgroup_size: 1024
    .name:           _ZN4vllm25paged_attention_v2_kernelI14__hip_bfloat16S1_Li128ELi8ELi128ELNS_18Fp8KVCacheDataTypeE0ELb0ELi512EEEvPfS3_PT_PKS4_PKT0_SA_ifPKiSC_iPKfiiiSE_SE_iiiii
    .private_segment_fixed_size: 0
    .sgpr_count:     46
    .sgpr_spill_count: 0
    .symbol:         _ZN4vllm25paged_attention_v2_kernelI14__hip_bfloat16S1_Li128ELi8ELi128ELNS_18Fp8KVCacheDataTypeE0ELb0ELi512EEEvPfS3_PT_PKS4_PKT0_SA_ifPKiSC_iPKfiiiSE_SE_iiiii.kd
    .uniform_work_group_size: 1
    .uses_dynamic_stack: false
    .vgpr_count:     52
    .vgpr_spill_count: 0
    .wavefront_size: 64
  - .agpr_count:     0
    .args:
      - .actual_access:  write_only
        .address_space:  global
        .offset:         0
        .size:           8
        .value_kind:     global_buffer
      - .actual_access:  write_only
        .address_space:  global
        .offset:         8
        .size:           8
        .value_kind:     global_buffer
      - .actual_access:  write_only
        .address_space:  global
        .offset:         16
        .size:           8
        .value_kind:     global_buffer
      - .actual_access:  read_only
        .address_space:  global
        .offset:         24
        .size:           8
        .value_kind:     global_buffer
      - .actual_access:  read_only
        .address_space:  global
        .offset:         32
        .size:           8
        .value_kind:     global_buffer
      - .actual_access:  read_only
        .address_space:  global
        .offset:         40
        .size:           8
        .value_kind:     global_buffer
      - .offset:         48
        .size:           4
        .value_kind:     by_value
      - .offset:         52
        .size:           4
        .value_kind:     by_value
      - .actual_access:  read_only
        .address_space:  global
        .offset:         56
        .size:           8
        .value_kind:     global_buffer
      - .actual_access:  read_only
        .address_space:  global
        .offset:         64
        .size:           8
        .value_kind:     global_buffer
      - .offset:         72
        .size:           4
        .value_kind:     by_value
      - .actual_access:  read_only
        .address_space:  global
        .offset:         80
        .size:           8
        .value_kind:     global_buffer
      - .offset:         88
        .size:           4
        .value_kind:     by_value
      - .offset:         92
        .size:           4
        .value_kind:     by_value
      - .offset:         96
        .size:           4
        .value_kind:     by_value
      - .address_space:  global
        .offset:         104
        .size:           8
        .value_kind:     global_buffer
      - .address_space:  global
        .offset:         112
        .size:           8
        .value_kind:     global_buffer
      - .offset:         120
        .size:           4
        .value_kind:     by_value
      - .offset:         124
        .size:           4
        .value_kind:     by_value
      - .offset:         128
        .size:           4
        .value_kind:     by_value
      - .offset:         132
        .size:           4
        .value_kind:     by_value
      - .offset:         136
        .size:           4
        .value_kind:     by_value
      - .offset:         144
        .size:           4
        .value_kind:     hidden_block_count_x
      - .offset:         148
        .size:           4
        .value_kind:     hidden_block_count_y
      - .offset:         152
        .size:           4
        .value_kind:     hidden_block_count_z
      - .offset:         156
        .size:           2
        .value_kind:     hidden_group_size_x
      - .offset:         158
        .size:           2
        .value_kind:     hidden_group_size_y
      - .offset:         160
        .size:           2
        .value_kind:     hidden_group_size_z
      - .offset:         162
        .size:           2
        .value_kind:     hidden_remainder_x
      - .offset:         164
        .size:           2
        .value_kind:     hidden_remainder_y
      - .offset:         166
        .size:           2
        .value_kind:     hidden_remainder_z
      - .offset:         184
        .size:           8
        .value_kind:     hidden_global_offset_x
      - .offset:         192
        .size:           8
        .value_kind:     hidden_global_offset_y
      - .offset:         200
        .size:           8
        .value_kind:     hidden_global_offset_z
      - .offset:         208
        .size:           2
        .value_kind:     hidden_grid_dims
      - .offset:         264
        .size:           4
        .value_kind:     hidden_dynamic_lds_size
    .group_segment_fixed_size: 400
    .kernarg_segment_align: 8
    .kernarg_segment_size: 400
    .language:       OpenCL C
    .language_version:
      - 2
      - 0
    .max_flat_workgroup_size: 1024
    .name:           _ZN4vllm25paged_attention_v2_kernelI14__hip_bfloat16S1_Li192ELi8ELi128ELNS_18Fp8KVCacheDataTypeE0ELb0ELi512EEEvPfS3_PT_PKS4_PKT0_SA_ifPKiSC_iPKfiiiSE_SE_iiiii
    .private_segment_fixed_size: 0
    .sgpr_count:     48
    .sgpr_spill_count: 0
    .symbol:         _ZN4vllm25paged_attention_v2_kernelI14__hip_bfloat16S1_Li192ELi8ELi128ELNS_18Fp8KVCacheDataTypeE0ELb0ELi512EEEvPfS3_PT_PKS4_PKT0_SA_ifPKiSC_iPKfiiiSE_SE_iiiii.kd
    .uniform_work_group_size: 1
    .uses_dynamic_stack: false
    .vgpr_count:     67
    .vgpr_spill_count: 0
    .wavefront_size: 64
  - .agpr_count:     0
    .args:
      - .actual_access:  write_only
        .address_space:  global
        .offset:         0
        .size:           8
        .value_kind:     global_buffer
      - .actual_access:  write_only
        .address_space:  global
        .offset:         8
        .size:           8
        .value_kind:     global_buffer
      - .actual_access:  write_only
        .address_space:  global
        .offset:         16
        .size:           8
        .value_kind:     global_buffer
      - .actual_access:  read_only
        .address_space:  global
        .offset:         24
        .size:           8
        .value_kind:     global_buffer
      - .actual_access:  read_only
        .address_space:  global
        .offset:         32
        .size:           8
        .value_kind:     global_buffer
      - .actual_access:  read_only
        .address_space:  global
        .offset:         40
        .size:           8
        .value_kind:     global_buffer
      - .offset:         48
        .size:           4
        .value_kind:     by_value
      - .offset:         52
        .size:           4
        .value_kind:     by_value
      - .actual_access:  read_only
        .address_space:  global
        .offset:         56
        .size:           8
        .value_kind:     global_buffer
      - .actual_access:  read_only
        .address_space:  global
        .offset:         64
        .size:           8
        .value_kind:     global_buffer
      - .offset:         72
        .size:           4
        .value_kind:     by_value
      - .actual_access:  read_only
        .address_space:  global
        .offset:         80
        .size:           8
        .value_kind:     global_buffer
      - .offset:         88
        .size:           4
        .value_kind:     by_value
      - .offset:         92
        .size:           4
        .value_kind:     by_value
      - .offset:         96
        .size:           4
        .value_kind:     by_value
      - .address_space:  global
        .offset:         104
        .size:           8
        .value_kind:     global_buffer
      - .address_space:  global
        .offset:         112
        .size:           8
        .value_kind:     global_buffer
      - .offset:         120
        .size:           4
        .value_kind:     by_value
      - .offset:         124
        .size:           4
        .value_kind:     by_value
      - .offset:         128
        .size:           4
        .value_kind:     by_value
      - .offset:         132
        .size:           4
        .value_kind:     by_value
      - .offset:         136
        .size:           4
        .value_kind:     by_value
      - .offset:         144
        .size:           4
        .value_kind:     hidden_block_count_x
      - .offset:         148
        .size:           4
        .value_kind:     hidden_block_count_y
      - .offset:         152
        .size:           4
        .value_kind:     hidden_block_count_z
      - .offset:         156
        .size:           2
        .value_kind:     hidden_group_size_x
      - .offset:         158
        .size:           2
        .value_kind:     hidden_group_size_y
      - .offset:         160
        .size:           2
        .value_kind:     hidden_group_size_z
      - .offset:         162
        .size:           2
        .value_kind:     hidden_remainder_x
      - .offset:         164
        .size:           2
        .value_kind:     hidden_remainder_y
      - .offset:         166
        .size:           2
        .value_kind:     hidden_remainder_z
      - .offset:         184
        .size:           8
        .value_kind:     hidden_global_offset_x
      - .offset:         192
        .size:           8
        .value_kind:     hidden_global_offset_y
      - .offset:         200
        .size:           8
        .value_kind:     hidden_global_offset_z
      - .offset:         208
        .size:           2
        .value_kind:     hidden_grid_dims
      - .offset:         264
        .size:           4
        .value_kind:     hidden_dynamic_lds_size
    .group_segment_fixed_size: 528
    .kernarg_segment_align: 8
    .kernarg_segment_size: 400
    .language:       OpenCL C
    .language_version:
      - 2
      - 0
    .max_flat_workgroup_size: 1024
    .name:           _ZN4vllm25paged_attention_v2_kernelI14__hip_bfloat16S1_Li256ELi8ELi128ELNS_18Fp8KVCacheDataTypeE0ELb0ELi512EEEvPfS3_PT_PKS4_PKT0_SA_ifPKiSC_iPKfiiiSE_SE_iiiii
    .private_segment_fixed_size: 0
    .sgpr_count:     48
    .sgpr_spill_count: 0
    .symbol:         _ZN4vllm25paged_attention_v2_kernelI14__hip_bfloat16S1_Li256ELi8ELi128ELNS_18Fp8KVCacheDataTypeE0ELb0ELi512EEEvPfS3_PT_PKS4_PKT0_SA_ifPKiSC_iPKfiiiSE_SE_iiiii.kd
    .uniform_work_group_size: 1
    .uses_dynamic_stack: false
    .vgpr_count:     83
    .vgpr_spill_count: 0
    .wavefront_size: 64
  - .agpr_count:     0
    .args:
      - .actual_access:  write_only
        .address_space:  global
        .offset:         0
        .size:           8
        .value_kind:     global_buffer
      - .actual_access:  write_only
        .address_space:  global
        .offset:         8
        .size:           8
        .value_kind:     global_buffer
      - .actual_access:  write_only
        .address_space:  global
        .offset:         16
        .size:           8
        .value_kind:     global_buffer
      - .actual_access:  read_only
        .address_space:  global
        .offset:         24
        .size:           8
        .value_kind:     global_buffer
      - .actual_access:  read_only
        .address_space:  global
        .offset:         32
        .size:           8
        .value_kind:     global_buffer
      - .actual_access:  read_only
        .address_space:  global
        .offset:         40
        .size:           8
        .value_kind:     global_buffer
      - .offset:         48
        .size:           4
        .value_kind:     by_value
      - .offset:         52
        .size:           4
        .value_kind:     by_value
      - .actual_access:  read_only
        .address_space:  global
        .offset:         56
        .size:           8
        .value_kind:     global_buffer
      - .actual_access:  read_only
        .address_space:  global
        .offset:         64
        .size:           8
        .value_kind:     global_buffer
      - .offset:         72
        .size:           4
        .value_kind:     by_value
      - .actual_access:  read_only
        .address_space:  global
        .offset:         80
        .size:           8
        .value_kind:     global_buffer
      - .offset:         88
        .size:           4
        .value_kind:     by_value
      - .offset:         92
        .size:           4
        .value_kind:     by_value
      - .offset:         96
        .size:           4
        .value_kind:     by_value
      - .address_space:  global
        .offset:         104
        .size:           8
        .value_kind:     global_buffer
      - .address_space:  global
        .offset:         112
        .size:           8
        .value_kind:     global_buffer
      - .offset:         120
        .size:           4
        .value_kind:     by_value
      - .offset:         124
        .size:           4
        .value_kind:     by_value
      - .offset:         128
        .size:           4
        .value_kind:     by_value
      - .offset:         132
        .size:           4
        .value_kind:     by_value
      - .offset:         136
        .size:           4
        .value_kind:     by_value
      - .offset:         144
        .size:           4
        .value_kind:     hidden_block_count_x
      - .offset:         148
        .size:           4
        .value_kind:     hidden_block_count_y
      - .offset:         152
        .size:           4
        .value_kind:     hidden_block_count_z
      - .offset:         156
        .size:           2
        .value_kind:     hidden_group_size_x
      - .offset:         158
        .size:           2
        .value_kind:     hidden_group_size_y
      - .offset:         160
        .size:           2
        .value_kind:     hidden_group_size_z
      - .offset:         162
        .size:           2
        .value_kind:     hidden_remainder_x
      - .offset:         164
        .size:           2
        .value_kind:     hidden_remainder_y
      - .offset:         166
        .size:           2
        .value_kind:     hidden_remainder_z
      - .offset:         184
        .size:           8
        .value_kind:     hidden_global_offset_x
      - .offset:         192
        .size:           8
        .value_kind:     hidden_global_offset_y
      - .offset:         200
        .size:           8
        .value_kind:     hidden_global_offset_z
      - .offset:         208
        .size:           2
        .value_kind:     hidden_grid_dims
      - .offset:         264
        .size:           4
        .value_kind:     hidden_dynamic_lds_size
    .group_segment_fixed_size: 80
    .kernarg_segment_align: 8
    .kernarg_segment_size: 400
    .language:       OpenCL C
    .language_version:
      - 2
      - 0
    .max_flat_workgroup_size: 1024
    .name:           _ZN4vllm25paged_attention_v2_kernelI14__hip_bfloat16S1_Li32ELi16ELi128ELNS_18Fp8KVCacheDataTypeE0ELb1ELi512EEEvPfS3_PT_PKS4_PKT0_SA_ifPKiSC_iPKfiiiSE_SE_iiiii
    .private_segment_fixed_size: 0
    .sgpr_count:     56
    .sgpr_spill_count: 0
    .symbol:         _ZN4vllm25paged_attention_v2_kernelI14__hip_bfloat16S1_Li32ELi16ELi128ELNS_18Fp8KVCacheDataTypeE0ELb1ELi512EEEvPfS3_PT_PKS4_PKT0_SA_ifPKiSC_iPKfiiiSE_SE_iiiii.kd
    .uniform_work_group_size: 1
    .uses_dynamic_stack: false
    .vgpr_count:     40
    .vgpr_spill_count: 0
    .wavefront_size: 64
  - .agpr_count:     0
    .args:
      - .actual_access:  write_only
        .address_space:  global
        .offset:         0
        .size:           8
        .value_kind:     global_buffer
      - .actual_access:  write_only
        .address_space:  global
        .offset:         8
        .size:           8
        .value_kind:     global_buffer
      - .actual_access:  write_only
        .address_space:  global
        .offset:         16
        .size:           8
        .value_kind:     global_buffer
      - .actual_access:  read_only
        .address_space:  global
        .offset:         24
        .size:           8
        .value_kind:     global_buffer
      - .actual_access:  read_only
        .address_space:  global
        .offset:         32
        .size:           8
        .value_kind:     global_buffer
      - .actual_access:  read_only
        .address_space:  global
        .offset:         40
        .size:           8
        .value_kind:     global_buffer
      - .offset:         48
        .size:           4
        .value_kind:     by_value
      - .offset:         52
        .size:           4
        .value_kind:     by_value
      - .actual_access:  read_only
        .address_space:  global
        .offset:         56
        .size:           8
        .value_kind:     global_buffer
      - .actual_access:  read_only
        .address_space:  global
        .offset:         64
        .size:           8
        .value_kind:     global_buffer
      - .offset:         72
        .size:           4
        .value_kind:     by_value
      - .actual_access:  read_only
        .address_space:  global
        .offset:         80
        .size:           8
        .value_kind:     global_buffer
      - .offset:         88
        .size:           4
        .value_kind:     by_value
      - .offset:         92
        .size:           4
        .value_kind:     by_value
      - .offset:         96
        .size:           4
        .value_kind:     by_value
      - .address_space:  global
        .offset:         104
        .size:           8
        .value_kind:     global_buffer
      - .address_space:  global
        .offset:         112
        .size:           8
        .value_kind:     global_buffer
      - .offset:         120
        .size:           4
        .value_kind:     by_value
      - .offset:         124
        .size:           4
        .value_kind:     by_value
      - .offset:         128
        .size:           4
        .value_kind:     by_value
      - .offset:         132
        .size:           4
        .value_kind:     by_value
      - .offset:         136
        .size:           4
        .value_kind:     by_value
      - .offset:         144
        .size:           4
        .value_kind:     hidden_block_count_x
      - .offset:         148
        .size:           4
        .value_kind:     hidden_block_count_y
      - .offset:         152
        .size:           4
        .value_kind:     hidden_block_count_z
      - .offset:         156
        .size:           2
        .value_kind:     hidden_group_size_x
      - .offset:         158
        .size:           2
        .value_kind:     hidden_group_size_y
      - .offset:         160
        .size:           2
        .value_kind:     hidden_group_size_z
      - .offset:         162
        .size:           2
        .value_kind:     hidden_remainder_x
      - .offset:         164
        .size:           2
        .value_kind:     hidden_remainder_y
      - .offset:         166
        .size:           2
        .value_kind:     hidden_remainder_z
      - .offset:         184
        .size:           8
        .value_kind:     hidden_global_offset_x
      - .offset:         192
        .size:           8
        .value_kind:     hidden_global_offset_y
      - .offset:         200
        .size:           8
        .value_kind:     hidden_global_offset_z
      - .offset:         208
        .size:           2
        .value_kind:     hidden_grid_dims
      - .offset:         264
        .size:           4
        .value_kind:     hidden_dynamic_lds_size
    .group_segment_fixed_size: 144
    .kernarg_segment_align: 8
    .kernarg_segment_size: 400
    .language:       OpenCL C
    .language_version:
      - 2
      - 0
    .max_flat_workgroup_size: 1024
    .name:           _ZN4vllm25paged_attention_v2_kernelI14__hip_bfloat16S1_Li64ELi16ELi128ELNS_18Fp8KVCacheDataTypeE0ELb1ELi512EEEvPfS3_PT_PKS4_PKT0_SA_ifPKiSC_iPKfiiiSE_SE_iiiii
    .private_segment_fixed_size: 0
    .sgpr_count:     56
    .sgpr_spill_count: 0
    .symbol:         _ZN4vllm25paged_attention_v2_kernelI14__hip_bfloat16S1_Li64ELi16ELi128ELNS_18Fp8KVCacheDataTypeE0ELb1ELi512EEEvPfS3_PT_PKS4_PKT0_SA_ifPKiSC_iPKfiiiSE_SE_iiiii.kd
    .uniform_work_group_size: 1
    .uses_dynamic_stack: false
    .vgpr_count:     56
    .vgpr_spill_count: 0
    .wavefront_size: 64
  - .agpr_count:     0
    .args:
      - .actual_access:  write_only
        .address_space:  global
        .offset:         0
        .size:           8
        .value_kind:     global_buffer
      - .actual_access:  write_only
        .address_space:  global
        .offset:         8
        .size:           8
        .value_kind:     global_buffer
      - .actual_access:  write_only
        .address_space:  global
        .offset:         16
        .size:           8
        .value_kind:     global_buffer
      - .actual_access:  read_only
        .address_space:  global
        .offset:         24
        .size:           8
        .value_kind:     global_buffer
      - .actual_access:  read_only
        .address_space:  global
        .offset:         32
        .size:           8
        .value_kind:     global_buffer
      - .actual_access:  read_only
        .address_space:  global
        .offset:         40
        .size:           8
        .value_kind:     global_buffer
      - .offset:         48
        .size:           4
        .value_kind:     by_value
      - .offset:         52
        .size:           4
        .value_kind:     by_value
      - .actual_access:  read_only
        .address_space:  global
        .offset:         56
        .size:           8
        .value_kind:     global_buffer
      - .actual_access:  read_only
        .address_space:  global
        .offset:         64
        .size:           8
        .value_kind:     global_buffer
      - .offset:         72
        .size:           4
        .value_kind:     by_value
      - .actual_access:  read_only
        .address_space:  global
        .offset:         80
        .size:           8
        .value_kind:     global_buffer
      - .offset:         88
        .size:           4
        .value_kind:     by_value
      - .offset:         92
        .size:           4
        .value_kind:     by_value
      - .offset:         96
        .size:           4
        .value_kind:     by_value
      - .address_space:  global
        .offset:         104
        .size:           8
        .value_kind:     global_buffer
      - .address_space:  global
        .offset:         112
        .size:           8
        .value_kind:     global_buffer
      - .offset:         120
        .size:           4
        .value_kind:     by_value
      - .offset:         124
        .size:           4
        .value_kind:     by_value
      - .offset:         128
        .size:           4
        .value_kind:     by_value
      - .offset:         132
        .size:           4
        .value_kind:     by_value
      - .offset:         136
        .size:           4
        .value_kind:     by_value
      - .offset:         144
        .size:           4
        .value_kind:     hidden_block_count_x
      - .offset:         148
        .size:           4
        .value_kind:     hidden_block_count_y
      - .offset:         152
        .size:           4
        .value_kind:     hidden_block_count_z
      - .offset:         156
        .size:           2
        .value_kind:     hidden_group_size_x
      - .offset:         158
        .size:           2
        .value_kind:     hidden_group_size_y
      - .offset:         160
        .size:           2
        .value_kind:     hidden_group_size_z
      - .offset:         162
        .size:           2
        .value_kind:     hidden_remainder_x
      - .offset:         164
        .size:           2
        .value_kind:     hidden_remainder_y
      - .offset:         166
        .size:           2
        .value_kind:     hidden_remainder_z
      - .offset:         184
        .size:           8
        .value_kind:     hidden_global_offset_x
      - .offset:         192
        .size:           8
        .value_kind:     hidden_global_offset_y
      - .offset:         200
        .size:           8
        .value_kind:     hidden_global_offset_z
      - .offset:         208
        .size:           2
        .value_kind:     hidden_grid_dims
      - .offset:         264
        .size:           4
        .value_kind:     hidden_dynamic_lds_size
    .group_segment_fixed_size: 176
    .kernarg_segment_align: 8
    .kernarg_segment_size: 400
    .language:       OpenCL C
    .language_version:
      - 2
      - 0
    .max_flat_workgroup_size: 1024
    .name:           _ZN4vllm25paged_attention_v2_kernelI14__hip_bfloat16S1_Li80ELi16ELi128ELNS_18Fp8KVCacheDataTypeE0ELb1ELi512EEEvPfS3_PT_PKS4_PKT0_SA_ifPKiSC_iPKfiiiSE_SE_iiiii
    .private_segment_fixed_size: 0
    .sgpr_count:     56
    .sgpr_spill_count: 0
    .symbol:         _ZN4vllm25paged_attention_v2_kernelI14__hip_bfloat16S1_Li80ELi16ELi128ELNS_18Fp8KVCacheDataTypeE0ELb1ELi512EEEvPfS3_PT_PKS4_PKT0_SA_ifPKiSC_iPKfiiiSE_SE_iiiii.kd
    .uniform_work_group_size: 1
    .uses_dynamic_stack: false
    .vgpr_count:     63
    .vgpr_spill_count: 0
    .wavefront_size: 64
  - .agpr_count:     0
    .args:
      - .actual_access:  write_only
        .address_space:  global
        .offset:         0
        .size:           8
        .value_kind:     global_buffer
      - .actual_access:  write_only
        .address_space:  global
        .offset:         8
        .size:           8
        .value_kind:     global_buffer
      - .actual_access:  write_only
        .address_space:  global
        .offset:         16
        .size:           8
        .value_kind:     global_buffer
      - .actual_access:  read_only
        .address_space:  global
        .offset:         24
        .size:           8
        .value_kind:     global_buffer
      - .actual_access:  read_only
        .address_space:  global
        .offset:         32
        .size:           8
        .value_kind:     global_buffer
      - .actual_access:  read_only
        .address_space:  global
        .offset:         40
        .size:           8
        .value_kind:     global_buffer
      - .offset:         48
        .size:           4
        .value_kind:     by_value
      - .offset:         52
        .size:           4
        .value_kind:     by_value
      - .actual_access:  read_only
        .address_space:  global
        .offset:         56
        .size:           8
        .value_kind:     global_buffer
      - .actual_access:  read_only
        .address_space:  global
        .offset:         64
        .size:           8
        .value_kind:     global_buffer
      - .offset:         72
        .size:           4
        .value_kind:     by_value
      - .actual_access:  read_only
        .address_space:  global
        .offset:         80
        .size:           8
        .value_kind:     global_buffer
      - .offset:         88
        .size:           4
        .value_kind:     by_value
      - .offset:         92
        .size:           4
        .value_kind:     by_value
      - .offset:         96
        .size:           4
        .value_kind:     by_value
      - .address_space:  global
        .offset:         104
        .size:           8
        .value_kind:     global_buffer
      - .address_space:  global
        .offset:         112
        .size:           8
        .value_kind:     global_buffer
      - .offset:         120
        .size:           4
        .value_kind:     by_value
      - .offset:         124
        .size:           4
        .value_kind:     by_value
      - .offset:         128
        .size:           4
        .value_kind:     by_value
      - .offset:         132
        .size:           4
        .value_kind:     by_value
      - .offset:         136
        .size:           4
        .value_kind:     by_value
      - .offset:         144
        .size:           4
        .value_kind:     hidden_block_count_x
      - .offset:         148
        .size:           4
        .value_kind:     hidden_block_count_y
      - .offset:         152
        .size:           4
        .value_kind:     hidden_block_count_z
      - .offset:         156
        .size:           2
        .value_kind:     hidden_group_size_x
      - .offset:         158
        .size:           2
        .value_kind:     hidden_group_size_y
      - .offset:         160
        .size:           2
        .value_kind:     hidden_group_size_z
      - .offset:         162
        .size:           2
        .value_kind:     hidden_remainder_x
      - .offset:         164
        .size:           2
        .value_kind:     hidden_remainder_y
      - .offset:         166
        .size:           2
        .value_kind:     hidden_remainder_z
      - .offset:         184
        .size:           8
        .value_kind:     hidden_global_offset_x
      - .offset:         192
        .size:           8
        .value_kind:     hidden_global_offset_y
      - .offset:         200
        .size:           8
        .value_kind:     hidden_global_offset_z
      - .offset:         208
        .size:           2
        .value_kind:     hidden_grid_dims
      - .offset:         264
        .size:           4
        .value_kind:     hidden_dynamic_lds_size
    .group_segment_fixed_size: 208
    .kernarg_segment_align: 8
    .kernarg_segment_size: 400
    .language:       OpenCL C
    .language_version:
      - 2
      - 0
    .max_flat_workgroup_size: 1024
    .name:           _ZN4vllm25paged_attention_v2_kernelI14__hip_bfloat16S1_Li96ELi16ELi128ELNS_18Fp8KVCacheDataTypeE0ELb1ELi512EEEvPfS3_PT_PKS4_PKT0_SA_ifPKiSC_iPKfiiiSE_SE_iiiii
    .private_segment_fixed_size: 0
    .sgpr_count:     56
    .sgpr_spill_count: 0
    .symbol:         _ZN4vllm25paged_attention_v2_kernelI14__hip_bfloat16S1_Li96ELi16ELi128ELNS_18Fp8KVCacheDataTypeE0ELb1ELi512EEEvPfS3_PT_PKS4_PKT0_SA_ifPKiSC_iPKfiiiSE_SE_iiiii.kd
    .uniform_work_group_size: 1
    .uses_dynamic_stack: false
    .vgpr_count:     71
    .vgpr_spill_count: 0
    .wavefront_size: 64
  - .agpr_count:     0
    .args:
      - .actual_access:  write_only
        .address_space:  global
        .offset:         0
        .size:           8
        .value_kind:     global_buffer
      - .actual_access:  write_only
        .address_space:  global
        .offset:         8
        .size:           8
        .value_kind:     global_buffer
      - .actual_access:  write_only
        .address_space:  global
        .offset:         16
        .size:           8
        .value_kind:     global_buffer
      - .actual_access:  read_only
        .address_space:  global
        .offset:         24
        .size:           8
        .value_kind:     global_buffer
      - .actual_access:  read_only
        .address_space:  global
        .offset:         32
        .size:           8
        .value_kind:     global_buffer
      - .actual_access:  read_only
        .address_space:  global
        .offset:         40
        .size:           8
        .value_kind:     global_buffer
      - .offset:         48
        .size:           4
        .value_kind:     by_value
      - .offset:         52
        .size:           4
        .value_kind:     by_value
      - .actual_access:  read_only
        .address_space:  global
        .offset:         56
        .size:           8
        .value_kind:     global_buffer
      - .actual_access:  read_only
        .address_space:  global
        .offset:         64
        .size:           8
        .value_kind:     global_buffer
      - .offset:         72
        .size:           4
        .value_kind:     by_value
      - .actual_access:  read_only
        .address_space:  global
        .offset:         80
        .size:           8
        .value_kind:     global_buffer
      - .offset:         88
        .size:           4
        .value_kind:     by_value
      - .offset:         92
        .size:           4
        .value_kind:     by_value
      - .offset:         96
        .size:           4
        .value_kind:     by_value
      - .address_space:  global
        .offset:         104
        .size:           8
        .value_kind:     global_buffer
      - .address_space:  global
        .offset:         112
        .size:           8
        .value_kind:     global_buffer
      - .offset:         120
        .size:           4
        .value_kind:     by_value
      - .offset:         124
        .size:           4
        .value_kind:     by_value
      - .offset:         128
        .size:           4
        .value_kind:     by_value
      - .offset:         132
        .size:           4
        .value_kind:     by_value
      - .offset:         136
        .size:           4
        .value_kind:     by_value
      - .offset:         144
        .size:           4
        .value_kind:     hidden_block_count_x
      - .offset:         148
        .size:           4
        .value_kind:     hidden_block_count_y
      - .offset:         152
        .size:           4
        .value_kind:     hidden_block_count_z
      - .offset:         156
        .size:           2
        .value_kind:     hidden_group_size_x
      - .offset:         158
        .size:           2
        .value_kind:     hidden_group_size_y
      - .offset:         160
        .size:           2
        .value_kind:     hidden_group_size_z
      - .offset:         162
        .size:           2
        .value_kind:     hidden_remainder_x
      - .offset:         164
        .size:           2
        .value_kind:     hidden_remainder_y
      - .offset:         166
        .size:           2
        .value_kind:     hidden_remainder_z
      - .offset:         184
        .size:           8
        .value_kind:     hidden_global_offset_x
      - .offset:         192
        .size:           8
        .value_kind:     hidden_global_offset_y
      - .offset:         200
        .size:           8
        .value_kind:     hidden_global_offset_z
      - .offset:         208
        .size:           2
        .value_kind:     hidden_grid_dims
      - .offset:         264
        .size:           4
        .value_kind:     hidden_dynamic_lds_size
    .group_segment_fixed_size: 240
    .kernarg_segment_align: 8
    .kernarg_segment_size: 400
    .language:       OpenCL C
    .language_version:
      - 2
      - 0
    .max_flat_workgroup_size: 1024
    .name:           _ZN4vllm25paged_attention_v2_kernelI14__hip_bfloat16S1_Li112ELi16ELi128ELNS_18Fp8KVCacheDataTypeE0ELb1ELi512EEEvPfS3_PT_PKS4_PKT0_SA_ifPKiSC_iPKfiiiSE_SE_iiiii
    .private_segment_fixed_size: 0
    .sgpr_count:     56
    .sgpr_spill_count: 0
    .symbol:         _ZN4vllm25paged_attention_v2_kernelI14__hip_bfloat16S1_Li112ELi16ELi128ELNS_18Fp8KVCacheDataTypeE0ELb1ELi512EEEvPfS3_PT_PKS4_PKT0_SA_ifPKiSC_iPKfiiiSE_SE_iiiii.kd
    .uniform_work_group_size: 1
    .uses_dynamic_stack: false
    .vgpr_count:     79
    .vgpr_spill_count: 0
    .wavefront_size: 64
  - .agpr_count:     0
    .args:
      - .actual_access:  write_only
        .address_space:  global
        .offset:         0
        .size:           8
        .value_kind:     global_buffer
      - .actual_access:  write_only
        .address_space:  global
        .offset:         8
        .size:           8
        .value_kind:     global_buffer
      - .actual_access:  write_only
        .address_space:  global
        .offset:         16
        .size:           8
        .value_kind:     global_buffer
      - .actual_access:  read_only
        .address_space:  global
        .offset:         24
        .size:           8
        .value_kind:     global_buffer
      - .actual_access:  read_only
        .address_space:  global
        .offset:         32
        .size:           8
        .value_kind:     global_buffer
      - .actual_access:  read_only
        .address_space:  global
        .offset:         40
        .size:           8
        .value_kind:     global_buffer
      - .offset:         48
        .size:           4
        .value_kind:     by_value
      - .offset:         52
        .size:           4
        .value_kind:     by_value
      - .actual_access:  read_only
        .address_space:  global
        .offset:         56
        .size:           8
        .value_kind:     global_buffer
      - .actual_access:  read_only
        .address_space:  global
        .offset:         64
        .size:           8
        .value_kind:     global_buffer
      - .offset:         72
        .size:           4
        .value_kind:     by_value
      - .actual_access:  read_only
        .address_space:  global
        .offset:         80
        .size:           8
        .value_kind:     global_buffer
      - .offset:         88
        .size:           4
        .value_kind:     by_value
      - .offset:         92
        .size:           4
        .value_kind:     by_value
      - .offset:         96
        .size:           4
        .value_kind:     by_value
      - .address_space:  global
        .offset:         104
        .size:           8
        .value_kind:     global_buffer
      - .address_space:  global
        .offset:         112
        .size:           8
        .value_kind:     global_buffer
      - .offset:         120
        .size:           4
        .value_kind:     by_value
      - .offset:         124
        .size:           4
        .value_kind:     by_value
      - .offset:         128
        .size:           4
        .value_kind:     by_value
      - .offset:         132
        .size:           4
        .value_kind:     by_value
      - .offset:         136
        .size:           4
        .value_kind:     by_value
      - .offset:         144
        .size:           4
        .value_kind:     hidden_block_count_x
      - .offset:         148
        .size:           4
        .value_kind:     hidden_block_count_y
      - .offset:         152
        .size:           4
        .value_kind:     hidden_block_count_z
      - .offset:         156
        .size:           2
        .value_kind:     hidden_group_size_x
      - .offset:         158
        .size:           2
        .value_kind:     hidden_group_size_y
      - .offset:         160
        .size:           2
        .value_kind:     hidden_group_size_z
      - .offset:         162
        .size:           2
        .value_kind:     hidden_remainder_x
      - .offset:         164
        .size:           2
        .value_kind:     hidden_remainder_y
      - .offset:         166
        .size:           2
        .value_kind:     hidden_remainder_z
      - .offset:         184
        .size:           8
        .value_kind:     hidden_global_offset_x
      - .offset:         192
        .size:           8
        .value_kind:     hidden_global_offset_y
      - .offset:         200
        .size:           8
        .value_kind:     hidden_global_offset_z
      - .offset:         208
        .size:           2
        .value_kind:     hidden_grid_dims
      - .offset:         264
        .size:           4
        .value_kind:     hidden_dynamic_lds_size
    .group_segment_fixed_size: 256
    .kernarg_segment_align: 8
    .kernarg_segment_size: 400
    .language:       OpenCL C
    .language_version:
      - 2
      - 0
    .max_flat_workgroup_size: 1024
    .name:           _ZN4vllm25paged_attention_v2_kernelI14__hip_bfloat16S1_Li120ELi16ELi128ELNS_18Fp8KVCacheDataTypeE0ELb1ELi512EEEvPfS3_PT_PKS4_PKT0_SA_ifPKiSC_iPKfiiiSE_SE_iiiii
    .private_segment_fixed_size: 0
    .sgpr_count:     56
    .sgpr_spill_count: 0
    .symbol:         _ZN4vllm25paged_attention_v2_kernelI14__hip_bfloat16S1_Li120ELi16ELi128ELNS_18Fp8KVCacheDataTypeE0ELb1ELi512EEEvPfS3_PT_PKS4_PKT0_SA_ifPKiSC_iPKfiiiSE_SE_iiiii.kd
    .uniform_work_group_size: 1
    .uses_dynamic_stack: false
    .vgpr_count:     84
    .vgpr_spill_count: 0
    .wavefront_size: 64
  - .agpr_count:     0
    .args:
      - .actual_access:  write_only
        .address_space:  global
        .offset:         0
        .size:           8
        .value_kind:     global_buffer
      - .actual_access:  write_only
        .address_space:  global
        .offset:         8
        .size:           8
        .value_kind:     global_buffer
      - .actual_access:  write_only
        .address_space:  global
        .offset:         16
        .size:           8
        .value_kind:     global_buffer
      - .actual_access:  read_only
        .address_space:  global
        .offset:         24
        .size:           8
        .value_kind:     global_buffer
      - .actual_access:  read_only
        .address_space:  global
        .offset:         32
        .size:           8
        .value_kind:     global_buffer
      - .actual_access:  read_only
        .address_space:  global
        .offset:         40
        .size:           8
        .value_kind:     global_buffer
      - .offset:         48
        .size:           4
        .value_kind:     by_value
      - .offset:         52
        .size:           4
        .value_kind:     by_value
      - .actual_access:  read_only
        .address_space:  global
        .offset:         56
        .size:           8
        .value_kind:     global_buffer
      - .actual_access:  read_only
        .address_space:  global
        .offset:         64
        .size:           8
        .value_kind:     global_buffer
      - .offset:         72
        .size:           4
        .value_kind:     by_value
      - .actual_access:  read_only
        .address_space:  global
        .offset:         80
        .size:           8
        .value_kind:     global_buffer
      - .offset:         88
        .size:           4
        .value_kind:     by_value
      - .offset:         92
        .size:           4
        .value_kind:     by_value
      - .offset:         96
        .size:           4
        .value_kind:     by_value
      - .address_space:  global
        .offset:         104
        .size:           8
        .value_kind:     global_buffer
      - .address_space:  global
        .offset:         112
        .size:           8
        .value_kind:     global_buffer
      - .offset:         120
        .size:           4
        .value_kind:     by_value
      - .offset:         124
        .size:           4
        .value_kind:     by_value
      - .offset:         128
        .size:           4
        .value_kind:     by_value
      - .offset:         132
        .size:           4
        .value_kind:     by_value
      - .offset:         136
        .size:           4
        .value_kind:     by_value
      - .offset:         144
        .size:           4
        .value_kind:     hidden_block_count_x
      - .offset:         148
        .size:           4
        .value_kind:     hidden_block_count_y
      - .offset:         152
        .size:           4
        .value_kind:     hidden_block_count_z
      - .offset:         156
        .size:           2
        .value_kind:     hidden_group_size_x
      - .offset:         158
        .size:           2
        .value_kind:     hidden_group_size_y
      - .offset:         160
        .size:           2
        .value_kind:     hidden_group_size_z
      - .offset:         162
        .size:           2
        .value_kind:     hidden_remainder_x
      - .offset:         164
        .size:           2
        .value_kind:     hidden_remainder_y
      - .offset:         166
        .size:           2
        .value_kind:     hidden_remainder_z
      - .offset:         184
        .size:           8
        .value_kind:     hidden_global_offset_x
      - .offset:         192
        .size:           8
        .value_kind:     hidden_global_offset_y
      - .offset:         200
        .size:           8
        .value_kind:     hidden_global_offset_z
      - .offset:         208
        .size:           2
        .value_kind:     hidden_grid_dims
      - .offset:         264
        .size:           4
        .value_kind:     hidden_dynamic_lds_size
    .group_segment_fixed_size: 272
    .kernarg_segment_align: 8
    .kernarg_segment_size: 400
    .language:       OpenCL C
    .language_version:
      - 2
      - 0
    .max_flat_workgroup_size: 1024
    .name:           _ZN4vllm25paged_attention_v2_kernelI14__hip_bfloat16S1_Li128ELi16ELi128ELNS_18Fp8KVCacheDataTypeE0ELb1ELi512EEEvPfS3_PT_PKS4_PKT0_SA_ifPKiSC_iPKfiiiSE_SE_iiiii
    .private_segment_fixed_size: 0
    .sgpr_count:     58
    .sgpr_spill_count: 0
    .symbol:         _ZN4vllm25paged_attention_v2_kernelI14__hip_bfloat16S1_Li128ELi16ELi128ELNS_18Fp8KVCacheDataTypeE0ELb1ELi512EEEvPfS3_PT_PKS4_PKT0_SA_ifPKiSC_iPKfiiiSE_SE_iiiii.kd
    .uniform_work_group_size: 1
    .uses_dynamic_stack: false
    .vgpr_count:     88
    .vgpr_spill_count: 0
    .wavefront_size: 64
  - .agpr_count:     0
    .args:
      - .actual_access:  write_only
        .address_space:  global
        .offset:         0
        .size:           8
        .value_kind:     global_buffer
      - .actual_access:  write_only
        .address_space:  global
        .offset:         8
        .size:           8
        .value_kind:     global_buffer
      - .actual_access:  write_only
        .address_space:  global
        .offset:         16
        .size:           8
        .value_kind:     global_buffer
      - .actual_access:  read_only
        .address_space:  global
        .offset:         24
        .size:           8
        .value_kind:     global_buffer
      - .actual_access:  read_only
        .address_space:  global
        .offset:         32
        .size:           8
        .value_kind:     global_buffer
      - .actual_access:  read_only
        .address_space:  global
        .offset:         40
        .size:           8
        .value_kind:     global_buffer
      - .offset:         48
        .size:           4
        .value_kind:     by_value
      - .offset:         52
        .size:           4
        .value_kind:     by_value
      - .actual_access:  read_only
        .address_space:  global
        .offset:         56
        .size:           8
        .value_kind:     global_buffer
      - .actual_access:  read_only
        .address_space:  global
        .offset:         64
        .size:           8
        .value_kind:     global_buffer
      - .offset:         72
        .size:           4
        .value_kind:     by_value
      - .actual_access:  read_only
        .address_space:  global
        .offset:         80
        .size:           8
        .value_kind:     global_buffer
      - .offset:         88
        .size:           4
        .value_kind:     by_value
      - .offset:         92
        .size:           4
        .value_kind:     by_value
      - .offset:         96
        .size:           4
        .value_kind:     by_value
      - .address_space:  global
        .offset:         104
        .size:           8
        .value_kind:     global_buffer
      - .address_space:  global
        .offset:         112
        .size:           8
        .value_kind:     global_buffer
      - .offset:         120
        .size:           4
        .value_kind:     by_value
      - .offset:         124
        .size:           4
        .value_kind:     by_value
      - .offset:         128
        .size:           4
        .value_kind:     by_value
      - .offset:         132
        .size:           4
        .value_kind:     by_value
      - .offset:         136
        .size:           4
        .value_kind:     by_value
      - .offset:         144
        .size:           4
        .value_kind:     hidden_block_count_x
      - .offset:         148
        .size:           4
        .value_kind:     hidden_block_count_y
      - .offset:         152
        .size:           4
        .value_kind:     hidden_block_count_z
      - .offset:         156
        .size:           2
        .value_kind:     hidden_group_size_x
      - .offset:         158
        .size:           2
        .value_kind:     hidden_group_size_y
      - .offset:         160
        .size:           2
        .value_kind:     hidden_group_size_z
      - .offset:         162
        .size:           2
        .value_kind:     hidden_remainder_x
      - .offset:         164
        .size:           2
        .value_kind:     hidden_remainder_y
      - .offset:         166
        .size:           2
        .value_kind:     hidden_remainder_z
      - .offset:         184
        .size:           8
        .value_kind:     hidden_global_offset_x
      - .offset:         192
        .size:           8
        .value_kind:     hidden_global_offset_y
      - .offset:         200
        .size:           8
        .value_kind:     hidden_global_offset_z
      - .offset:         208
        .size:           2
        .value_kind:     hidden_grid_dims
      - .offset:         264
        .size:           4
        .value_kind:     hidden_dynamic_lds_size
    .group_segment_fixed_size: 400
    .kernarg_segment_align: 8
    .kernarg_segment_size: 400
    .language:       OpenCL C
    .language_version:
      - 2
      - 0
    .max_flat_workgroup_size: 1024
    .name:           _ZN4vllm25paged_attention_v2_kernelI14__hip_bfloat16S1_Li192ELi16ELi128ELNS_18Fp8KVCacheDataTypeE0ELb1ELi512EEEvPfS3_PT_PKS4_PKT0_SA_ifPKiSC_iPKfiiiSE_SE_iiiii
    .private_segment_fixed_size: 0
    .sgpr_count:     57
    .sgpr_spill_count: 0
    .symbol:         _ZN4vllm25paged_attention_v2_kernelI14__hip_bfloat16S1_Li192ELi16ELi128ELNS_18Fp8KVCacheDataTypeE0ELb1ELi512EEEvPfS3_PT_PKS4_PKT0_SA_ifPKiSC_iPKfiiiSE_SE_iiiii.kd
    .uniform_work_group_size: 1
    .uses_dynamic_stack: false
    .vgpr_count:     106
    .vgpr_spill_count: 0
    .wavefront_size: 64
  - .agpr_count:     0
    .args:
      - .actual_access:  write_only
        .address_space:  global
        .offset:         0
        .size:           8
        .value_kind:     global_buffer
      - .actual_access:  write_only
        .address_space:  global
        .offset:         8
        .size:           8
        .value_kind:     global_buffer
      - .actual_access:  write_only
        .address_space:  global
        .offset:         16
        .size:           8
        .value_kind:     global_buffer
      - .actual_access:  read_only
        .address_space:  global
        .offset:         24
        .size:           8
        .value_kind:     global_buffer
      - .actual_access:  read_only
        .address_space:  global
        .offset:         32
        .size:           8
        .value_kind:     global_buffer
      - .actual_access:  read_only
        .address_space:  global
        .offset:         40
        .size:           8
        .value_kind:     global_buffer
      - .offset:         48
        .size:           4
        .value_kind:     by_value
      - .offset:         52
        .size:           4
        .value_kind:     by_value
      - .actual_access:  read_only
        .address_space:  global
        .offset:         56
        .size:           8
        .value_kind:     global_buffer
      - .actual_access:  read_only
        .address_space:  global
        .offset:         64
        .size:           8
        .value_kind:     global_buffer
      - .offset:         72
        .size:           4
        .value_kind:     by_value
      - .actual_access:  read_only
        .address_space:  global
        .offset:         80
        .size:           8
        .value_kind:     global_buffer
      - .offset:         88
        .size:           4
        .value_kind:     by_value
      - .offset:         92
        .size:           4
        .value_kind:     by_value
      - .offset:         96
        .size:           4
        .value_kind:     by_value
      - .address_space:  global
        .offset:         104
        .size:           8
        .value_kind:     global_buffer
      - .address_space:  global
        .offset:         112
        .size:           8
        .value_kind:     global_buffer
      - .offset:         120
        .size:           4
        .value_kind:     by_value
      - .offset:         124
        .size:           4
        .value_kind:     by_value
      - .offset:         128
        .size:           4
        .value_kind:     by_value
      - .offset:         132
        .size:           4
        .value_kind:     by_value
      - .offset:         136
        .size:           4
        .value_kind:     by_value
      - .offset:         144
        .size:           4
        .value_kind:     hidden_block_count_x
      - .offset:         148
        .size:           4
        .value_kind:     hidden_block_count_y
      - .offset:         152
        .size:           4
        .value_kind:     hidden_block_count_z
      - .offset:         156
        .size:           2
        .value_kind:     hidden_group_size_x
      - .offset:         158
        .size:           2
        .value_kind:     hidden_group_size_y
      - .offset:         160
        .size:           2
        .value_kind:     hidden_group_size_z
      - .offset:         162
        .size:           2
        .value_kind:     hidden_remainder_x
      - .offset:         164
        .size:           2
        .value_kind:     hidden_remainder_y
      - .offset:         166
        .size:           2
        .value_kind:     hidden_remainder_z
      - .offset:         184
        .size:           8
        .value_kind:     hidden_global_offset_x
      - .offset:         192
        .size:           8
        .value_kind:     hidden_global_offset_y
      - .offset:         200
        .size:           8
        .value_kind:     hidden_global_offset_z
      - .offset:         208
        .size:           2
        .value_kind:     hidden_grid_dims
      - .offset:         264
        .size:           4
        .value_kind:     hidden_dynamic_lds_size
    .group_segment_fixed_size: 528
    .kernarg_segment_align: 8
    .kernarg_segment_size: 400
    .language:       OpenCL C
    .language_version:
      - 2
      - 0
    .max_flat_workgroup_size: 1024
    .name:           _ZN4vllm25paged_attention_v2_kernelI14__hip_bfloat16S1_Li256ELi16ELi128ELNS_18Fp8KVCacheDataTypeE0ELb1ELi512EEEvPfS3_PT_PKS4_PKT0_SA_ifPKiSC_iPKfiiiSE_SE_iiiii
    .private_segment_fixed_size: 0
    .sgpr_count:     57
    .sgpr_spill_count: 0
    .symbol:         _ZN4vllm25paged_attention_v2_kernelI14__hip_bfloat16S1_Li256ELi16ELi128ELNS_18Fp8KVCacheDataTypeE0ELb1ELi512EEEvPfS3_PT_PKS4_PKT0_SA_ifPKiSC_iPKfiiiSE_SE_iiiii.kd
    .uniform_work_group_size: 1
    .uses_dynamic_stack: false
    .vgpr_count:     105
    .vgpr_spill_count: 0
    .wavefront_size: 64
  - .agpr_count:     0
    .args:
      - .actual_access:  write_only
        .address_space:  global
        .offset:         0
        .size:           8
        .value_kind:     global_buffer
      - .actual_access:  write_only
        .address_space:  global
        .offset:         8
        .size:           8
        .value_kind:     global_buffer
      - .actual_access:  write_only
        .address_space:  global
        .offset:         16
        .size:           8
        .value_kind:     global_buffer
      - .actual_access:  read_only
        .address_space:  global
        .offset:         24
        .size:           8
        .value_kind:     global_buffer
      - .actual_access:  read_only
        .address_space:  global
        .offset:         32
        .size:           8
        .value_kind:     global_buffer
      - .actual_access:  read_only
        .address_space:  global
        .offset:         40
        .size:           8
        .value_kind:     global_buffer
      - .offset:         48
        .size:           4
        .value_kind:     by_value
      - .offset:         52
        .size:           4
        .value_kind:     by_value
      - .actual_access:  read_only
        .address_space:  global
        .offset:         56
        .size:           8
        .value_kind:     global_buffer
      - .actual_access:  read_only
        .address_space:  global
        .offset:         64
        .size:           8
        .value_kind:     global_buffer
      - .offset:         72
        .size:           4
        .value_kind:     by_value
      - .actual_access:  read_only
        .address_space:  global
        .offset:         80
        .size:           8
        .value_kind:     global_buffer
      - .offset:         88
        .size:           4
        .value_kind:     by_value
      - .offset:         92
        .size:           4
        .value_kind:     by_value
      - .offset:         96
        .size:           4
        .value_kind:     by_value
      - .address_space:  global
        .offset:         104
        .size:           8
        .value_kind:     global_buffer
      - .address_space:  global
        .offset:         112
        .size:           8
        .value_kind:     global_buffer
      - .offset:         120
        .size:           4
        .value_kind:     by_value
      - .offset:         124
        .size:           4
        .value_kind:     by_value
      - .offset:         128
        .size:           4
        .value_kind:     by_value
      - .offset:         132
        .size:           4
        .value_kind:     by_value
      - .offset:         136
        .size:           4
        .value_kind:     by_value
      - .offset:         144
        .size:           4
        .value_kind:     hidden_block_count_x
      - .offset:         148
        .size:           4
        .value_kind:     hidden_block_count_y
      - .offset:         152
        .size:           4
        .value_kind:     hidden_block_count_z
      - .offset:         156
        .size:           2
        .value_kind:     hidden_group_size_x
      - .offset:         158
        .size:           2
        .value_kind:     hidden_group_size_y
      - .offset:         160
        .size:           2
        .value_kind:     hidden_group_size_z
      - .offset:         162
        .size:           2
        .value_kind:     hidden_remainder_x
      - .offset:         164
        .size:           2
        .value_kind:     hidden_remainder_y
      - .offset:         166
        .size:           2
        .value_kind:     hidden_remainder_z
      - .offset:         184
        .size:           8
        .value_kind:     hidden_global_offset_x
      - .offset:         192
        .size:           8
        .value_kind:     hidden_global_offset_y
      - .offset:         200
        .size:           8
        .value_kind:     hidden_global_offset_z
      - .offset:         208
        .size:           2
        .value_kind:     hidden_grid_dims
      - .offset:         264
        .size:           4
        .value_kind:     hidden_dynamic_lds_size
    .group_segment_fixed_size: 80
    .kernarg_segment_align: 8
    .kernarg_segment_size: 400
    .language:       OpenCL C
    .language_version:
      - 2
      - 0
    .max_flat_workgroup_size: 1024
    .name:           _ZN4vllm25paged_attention_v2_kernelI14__hip_bfloat16S1_Li32ELi16ELi128ELNS_18Fp8KVCacheDataTypeE0ELb0ELi512EEEvPfS3_PT_PKS4_PKT0_SA_ifPKiSC_iPKfiiiSE_SE_iiiii
    .private_segment_fixed_size: 0
    .sgpr_count:     46
    .sgpr_spill_count: 0
    .symbol:         _ZN4vllm25paged_attention_v2_kernelI14__hip_bfloat16S1_Li32ELi16ELi128ELNS_18Fp8KVCacheDataTypeE0ELb0ELi512EEEvPfS3_PT_PKS4_PKT0_SA_ifPKiSC_iPKfiiiSE_SE_iiiii.kd
    .uniform_work_group_size: 1
    .uses_dynamic_stack: false
    .vgpr_count:     32
    .vgpr_spill_count: 0
    .wavefront_size: 64
  - .agpr_count:     0
    .args:
      - .actual_access:  write_only
        .address_space:  global
        .offset:         0
        .size:           8
        .value_kind:     global_buffer
      - .actual_access:  write_only
        .address_space:  global
        .offset:         8
        .size:           8
        .value_kind:     global_buffer
      - .actual_access:  write_only
        .address_space:  global
        .offset:         16
        .size:           8
        .value_kind:     global_buffer
      - .actual_access:  read_only
        .address_space:  global
        .offset:         24
        .size:           8
        .value_kind:     global_buffer
      - .actual_access:  read_only
        .address_space:  global
        .offset:         32
        .size:           8
        .value_kind:     global_buffer
      - .actual_access:  read_only
        .address_space:  global
        .offset:         40
        .size:           8
        .value_kind:     global_buffer
      - .offset:         48
        .size:           4
        .value_kind:     by_value
      - .offset:         52
        .size:           4
        .value_kind:     by_value
      - .actual_access:  read_only
        .address_space:  global
        .offset:         56
        .size:           8
        .value_kind:     global_buffer
      - .actual_access:  read_only
        .address_space:  global
        .offset:         64
        .size:           8
        .value_kind:     global_buffer
      - .offset:         72
        .size:           4
        .value_kind:     by_value
      - .actual_access:  read_only
        .address_space:  global
        .offset:         80
        .size:           8
        .value_kind:     global_buffer
      - .offset:         88
        .size:           4
        .value_kind:     by_value
      - .offset:         92
        .size:           4
        .value_kind:     by_value
      - .offset:         96
        .size:           4
        .value_kind:     by_value
      - .address_space:  global
        .offset:         104
        .size:           8
        .value_kind:     global_buffer
      - .address_space:  global
        .offset:         112
        .size:           8
        .value_kind:     global_buffer
      - .offset:         120
        .size:           4
        .value_kind:     by_value
      - .offset:         124
        .size:           4
        .value_kind:     by_value
      - .offset:         128
        .size:           4
        .value_kind:     by_value
      - .offset:         132
        .size:           4
        .value_kind:     by_value
      - .offset:         136
        .size:           4
        .value_kind:     by_value
      - .offset:         144
        .size:           4
        .value_kind:     hidden_block_count_x
      - .offset:         148
        .size:           4
        .value_kind:     hidden_block_count_y
      - .offset:         152
        .size:           4
        .value_kind:     hidden_block_count_z
      - .offset:         156
        .size:           2
        .value_kind:     hidden_group_size_x
      - .offset:         158
        .size:           2
        .value_kind:     hidden_group_size_y
      - .offset:         160
        .size:           2
        .value_kind:     hidden_group_size_z
      - .offset:         162
        .size:           2
        .value_kind:     hidden_remainder_x
      - .offset:         164
        .size:           2
        .value_kind:     hidden_remainder_y
      - .offset:         166
        .size:           2
        .value_kind:     hidden_remainder_z
      - .offset:         184
        .size:           8
        .value_kind:     hidden_global_offset_x
      - .offset:         192
        .size:           8
        .value_kind:     hidden_global_offset_y
      - .offset:         200
        .size:           8
        .value_kind:     hidden_global_offset_z
      - .offset:         208
        .size:           2
        .value_kind:     hidden_grid_dims
      - .offset:         264
        .size:           4
        .value_kind:     hidden_dynamic_lds_size
    .group_segment_fixed_size: 144
    .kernarg_segment_align: 8
    .kernarg_segment_size: 400
    .language:       OpenCL C
    .language_version:
      - 2
      - 0
    .max_flat_workgroup_size: 1024
    .name:           _ZN4vllm25paged_attention_v2_kernelI14__hip_bfloat16S1_Li64ELi16ELi128ELNS_18Fp8KVCacheDataTypeE0ELb0ELi512EEEvPfS3_PT_PKS4_PKT0_SA_ifPKiSC_iPKfiiiSE_SE_iiiii
    .private_segment_fixed_size: 0
    .sgpr_count:     46
    .sgpr_spill_count: 0
    .symbol:         _ZN4vllm25paged_attention_v2_kernelI14__hip_bfloat16S1_Li64ELi16ELi128ELNS_18Fp8KVCacheDataTypeE0ELb0ELi512EEEvPfS3_PT_PKS4_PKT0_SA_ifPKiSC_iPKfiiiSE_SE_iiiii.kd
    .uniform_work_group_size: 1
    .uses_dynamic_stack: false
    .vgpr_count:     48
    .vgpr_spill_count: 0
    .wavefront_size: 64
  - .agpr_count:     0
    .args:
      - .actual_access:  write_only
        .address_space:  global
        .offset:         0
        .size:           8
        .value_kind:     global_buffer
      - .actual_access:  write_only
        .address_space:  global
        .offset:         8
        .size:           8
        .value_kind:     global_buffer
      - .actual_access:  write_only
        .address_space:  global
        .offset:         16
        .size:           8
        .value_kind:     global_buffer
      - .actual_access:  read_only
        .address_space:  global
        .offset:         24
        .size:           8
        .value_kind:     global_buffer
      - .actual_access:  read_only
        .address_space:  global
        .offset:         32
        .size:           8
        .value_kind:     global_buffer
      - .actual_access:  read_only
        .address_space:  global
        .offset:         40
        .size:           8
        .value_kind:     global_buffer
      - .offset:         48
        .size:           4
        .value_kind:     by_value
      - .offset:         52
        .size:           4
        .value_kind:     by_value
      - .actual_access:  read_only
        .address_space:  global
        .offset:         56
        .size:           8
        .value_kind:     global_buffer
      - .actual_access:  read_only
        .address_space:  global
        .offset:         64
        .size:           8
        .value_kind:     global_buffer
      - .offset:         72
        .size:           4
        .value_kind:     by_value
      - .actual_access:  read_only
        .address_space:  global
        .offset:         80
        .size:           8
        .value_kind:     global_buffer
      - .offset:         88
        .size:           4
        .value_kind:     by_value
      - .offset:         92
        .size:           4
        .value_kind:     by_value
      - .offset:         96
        .size:           4
        .value_kind:     by_value
      - .address_space:  global
        .offset:         104
        .size:           8
        .value_kind:     global_buffer
      - .address_space:  global
        .offset:         112
        .size:           8
        .value_kind:     global_buffer
      - .offset:         120
        .size:           4
        .value_kind:     by_value
      - .offset:         124
        .size:           4
        .value_kind:     by_value
      - .offset:         128
        .size:           4
        .value_kind:     by_value
      - .offset:         132
        .size:           4
        .value_kind:     by_value
      - .offset:         136
        .size:           4
        .value_kind:     by_value
      - .offset:         144
        .size:           4
        .value_kind:     hidden_block_count_x
      - .offset:         148
        .size:           4
        .value_kind:     hidden_block_count_y
      - .offset:         152
        .size:           4
        .value_kind:     hidden_block_count_z
      - .offset:         156
        .size:           2
        .value_kind:     hidden_group_size_x
      - .offset:         158
        .size:           2
        .value_kind:     hidden_group_size_y
      - .offset:         160
        .size:           2
        .value_kind:     hidden_group_size_z
      - .offset:         162
        .size:           2
        .value_kind:     hidden_remainder_x
      - .offset:         164
        .size:           2
        .value_kind:     hidden_remainder_y
      - .offset:         166
        .size:           2
        .value_kind:     hidden_remainder_z
      - .offset:         184
        .size:           8
        .value_kind:     hidden_global_offset_x
      - .offset:         192
        .size:           8
        .value_kind:     hidden_global_offset_y
      - .offset:         200
        .size:           8
        .value_kind:     hidden_global_offset_z
      - .offset:         208
        .size:           2
        .value_kind:     hidden_grid_dims
      - .offset:         264
        .size:           4
        .value_kind:     hidden_dynamic_lds_size
    .group_segment_fixed_size: 176
    .kernarg_segment_align: 8
    .kernarg_segment_size: 400
    .language:       OpenCL C
    .language_version:
      - 2
      - 0
    .max_flat_workgroup_size: 1024
    .name:           _ZN4vllm25paged_attention_v2_kernelI14__hip_bfloat16S1_Li80ELi16ELi128ELNS_18Fp8KVCacheDataTypeE0ELb0ELi512EEEvPfS3_PT_PKS4_PKT0_SA_ifPKiSC_iPKfiiiSE_SE_iiiii
    .private_segment_fixed_size: 0
    .sgpr_count:     46
    .sgpr_spill_count: 0
    .symbol:         _ZN4vllm25paged_attention_v2_kernelI14__hip_bfloat16S1_Li80ELi16ELi128ELNS_18Fp8KVCacheDataTypeE0ELb0ELi512EEEvPfS3_PT_PKS4_PKT0_SA_ifPKiSC_iPKfiiiSE_SE_iiiii.kd
    .uniform_work_group_size: 1
    .uses_dynamic_stack: false
    .vgpr_count:     56
    .vgpr_spill_count: 0
    .wavefront_size: 64
  - .agpr_count:     0
    .args:
      - .actual_access:  write_only
        .address_space:  global
        .offset:         0
        .size:           8
        .value_kind:     global_buffer
      - .actual_access:  write_only
        .address_space:  global
        .offset:         8
        .size:           8
        .value_kind:     global_buffer
      - .actual_access:  write_only
        .address_space:  global
        .offset:         16
        .size:           8
        .value_kind:     global_buffer
      - .actual_access:  read_only
        .address_space:  global
        .offset:         24
        .size:           8
        .value_kind:     global_buffer
      - .actual_access:  read_only
        .address_space:  global
        .offset:         32
        .size:           8
        .value_kind:     global_buffer
      - .actual_access:  read_only
        .address_space:  global
        .offset:         40
        .size:           8
        .value_kind:     global_buffer
      - .offset:         48
        .size:           4
        .value_kind:     by_value
      - .offset:         52
        .size:           4
        .value_kind:     by_value
      - .actual_access:  read_only
        .address_space:  global
        .offset:         56
        .size:           8
        .value_kind:     global_buffer
      - .actual_access:  read_only
        .address_space:  global
        .offset:         64
        .size:           8
        .value_kind:     global_buffer
      - .offset:         72
        .size:           4
        .value_kind:     by_value
      - .actual_access:  read_only
        .address_space:  global
        .offset:         80
        .size:           8
        .value_kind:     global_buffer
      - .offset:         88
        .size:           4
        .value_kind:     by_value
      - .offset:         92
        .size:           4
        .value_kind:     by_value
      - .offset:         96
        .size:           4
        .value_kind:     by_value
      - .address_space:  global
        .offset:         104
        .size:           8
        .value_kind:     global_buffer
      - .address_space:  global
        .offset:         112
        .size:           8
        .value_kind:     global_buffer
      - .offset:         120
        .size:           4
        .value_kind:     by_value
      - .offset:         124
        .size:           4
        .value_kind:     by_value
      - .offset:         128
        .size:           4
        .value_kind:     by_value
      - .offset:         132
        .size:           4
        .value_kind:     by_value
      - .offset:         136
        .size:           4
        .value_kind:     by_value
      - .offset:         144
        .size:           4
        .value_kind:     hidden_block_count_x
      - .offset:         148
        .size:           4
        .value_kind:     hidden_block_count_y
      - .offset:         152
        .size:           4
        .value_kind:     hidden_block_count_z
      - .offset:         156
        .size:           2
        .value_kind:     hidden_group_size_x
      - .offset:         158
        .size:           2
        .value_kind:     hidden_group_size_y
      - .offset:         160
        .size:           2
        .value_kind:     hidden_group_size_z
      - .offset:         162
        .size:           2
        .value_kind:     hidden_remainder_x
      - .offset:         164
        .size:           2
        .value_kind:     hidden_remainder_y
      - .offset:         166
        .size:           2
        .value_kind:     hidden_remainder_z
      - .offset:         184
        .size:           8
        .value_kind:     hidden_global_offset_x
      - .offset:         192
        .size:           8
        .value_kind:     hidden_global_offset_y
      - .offset:         200
        .size:           8
        .value_kind:     hidden_global_offset_z
      - .offset:         208
        .size:           2
        .value_kind:     hidden_grid_dims
      - .offset:         264
        .size:           4
        .value_kind:     hidden_dynamic_lds_size
    .group_segment_fixed_size: 208
    .kernarg_segment_align: 8
    .kernarg_segment_size: 400
    .language:       OpenCL C
    .language_version:
      - 2
      - 0
    .max_flat_workgroup_size: 1024
    .name:           _ZN4vllm25paged_attention_v2_kernelI14__hip_bfloat16S1_Li96ELi16ELi128ELNS_18Fp8KVCacheDataTypeE0ELb0ELi512EEEvPfS3_PT_PKS4_PKT0_SA_ifPKiSC_iPKfiiiSE_SE_iiiii
    .private_segment_fixed_size: 0
    .sgpr_count:     46
    .sgpr_spill_count: 0
    .symbol:         _ZN4vllm25paged_attention_v2_kernelI14__hip_bfloat16S1_Li96ELi16ELi128ELNS_18Fp8KVCacheDataTypeE0ELb0ELi512EEEvPfS3_PT_PKS4_PKT0_SA_ifPKiSC_iPKfiiiSE_SE_iiiii.kd
    .uniform_work_group_size: 1
    .uses_dynamic_stack: false
    .vgpr_count:     64
    .vgpr_spill_count: 0
    .wavefront_size: 64
  - .agpr_count:     0
    .args:
      - .actual_access:  write_only
        .address_space:  global
        .offset:         0
        .size:           8
        .value_kind:     global_buffer
      - .actual_access:  write_only
        .address_space:  global
        .offset:         8
        .size:           8
        .value_kind:     global_buffer
      - .actual_access:  write_only
        .address_space:  global
        .offset:         16
        .size:           8
        .value_kind:     global_buffer
      - .actual_access:  read_only
        .address_space:  global
        .offset:         24
        .size:           8
        .value_kind:     global_buffer
      - .actual_access:  read_only
        .address_space:  global
        .offset:         32
        .size:           8
        .value_kind:     global_buffer
      - .actual_access:  read_only
        .address_space:  global
        .offset:         40
        .size:           8
        .value_kind:     global_buffer
      - .offset:         48
        .size:           4
        .value_kind:     by_value
      - .offset:         52
        .size:           4
        .value_kind:     by_value
      - .actual_access:  read_only
        .address_space:  global
        .offset:         56
        .size:           8
        .value_kind:     global_buffer
      - .actual_access:  read_only
        .address_space:  global
        .offset:         64
        .size:           8
        .value_kind:     global_buffer
      - .offset:         72
        .size:           4
        .value_kind:     by_value
      - .actual_access:  read_only
        .address_space:  global
        .offset:         80
        .size:           8
        .value_kind:     global_buffer
      - .offset:         88
        .size:           4
        .value_kind:     by_value
      - .offset:         92
        .size:           4
        .value_kind:     by_value
      - .offset:         96
        .size:           4
        .value_kind:     by_value
      - .address_space:  global
        .offset:         104
        .size:           8
        .value_kind:     global_buffer
      - .address_space:  global
        .offset:         112
        .size:           8
        .value_kind:     global_buffer
      - .offset:         120
        .size:           4
        .value_kind:     by_value
      - .offset:         124
        .size:           4
        .value_kind:     by_value
      - .offset:         128
        .size:           4
        .value_kind:     by_value
      - .offset:         132
        .size:           4
        .value_kind:     by_value
      - .offset:         136
        .size:           4
        .value_kind:     by_value
      - .offset:         144
        .size:           4
        .value_kind:     hidden_block_count_x
      - .offset:         148
        .size:           4
        .value_kind:     hidden_block_count_y
      - .offset:         152
        .size:           4
        .value_kind:     hidden_block_count_z
      - .offset:         156
        .size:           2
        .value_kind:     hidden_group_size_x
      - .offset:         158
        .size:           2
        .value_kind:     hidden_group_size_y
      - .offset:         160
        .size:           2
        .value_kind:     hidden_group_size_z
      - .offset:         162
        .size:           2
        .value_kind:     hidden_remainder_x
      - .offset:         164
        .size:           2
        .value_kind:     hidden_remainder_y
      - .offset:         166
        .size:           2
        .value_kind:     hidden_remainder_z
      - .offset:         184
        .size:           8
        .value_kind:     hidden_global_offset_x
      - .offset:         192
        .size:           8
        .value_kind:     hidden_global_offset_y
      - .offset:         200
        .size:           8
        .value_kind:     hidden_global_offset_z
      - .offset:         208
        .size:           2
        .value_kind:     hidden_grid_dims
      - .offset:         264
        .size:           4
        .value_kind:     hidden_dynamic_lds_size
    .group_segment_fixed_size: 240
    .kernarg_segment_align: 8
    .kernarg_segment_size: 400
    .language:       OpenCL C
    .language_version:
      - 2
      - 0
    .max_flat_workgroup_size: 1024
    .name:           _ZN4vllm25paged_attention_v2_kernelI14__hip_bfloat16S1_Li112ELi16ELi128ELNS_18Fp8KVCacheDataTypeE0ELb0ELi512EEEvPfS3_PT_PKS4_PKT0_SA_ifPKiSC_iPKfiiiSE_SE_iiiii
    .private_segment_fixed_size: 0
    .sgpr_count:     46
    .sgpr_spill_count: 0
    .symbol:         _ZN4vllm25paged_attention_v2_kernelI14__hip_bfloat16S1_Li112ELi16ELi128ELNS_18Fp8KVCacheDataTypeE0ELb0ELi512EEEvPfS3_PT_PKS4_PKT0_SA_ifPKiSC_iPKfiiiSE_SE_iiiii.kd
    .uniform_work_group_size: 1
    .uses_dynamic_stack: false
    .vgpr_count:     63
    .vgpr_spill_count: 0
    .wavefront_size: 64
  - .agpr_count:     0
    .args:
      - .actual_access:  write_only
        .address_space:  global
        .offset:         0
        .size:           8
        .value_kind:     global_buffer
      - .actual_access:  write_only
        .address_space:  global
        .offset:         8
        .size:           8
        .value_kind:     global_buffer
      - .actual_access:  write_only
        .address_space:  global
        .offset:         16
        .size:           8
        .value_kind:     global_buffer
      - .actual_access:  read_only
        .address_space:  global
        .offset:         24
        .size:           8
        .value_kind:     global_buffer
      - .actual_access:  read_only
        .address_space:  global
        .offset:         32
        .size:           8
        .value_kind:     global_buffer
      - .actual_access:  read_only
        .address_space:  global
        .offset:         40
        .size:           8
        .value_kind:     global_buffer
      - .offset:         48
        .size:           4
        .value_kind:     by_value
      - .offset:         52
        .size:           4
        .value_kind:     by_value
      - .actual_access:  read_only
        .address_space:  global
        .offset:         56
        .size:           8
        .value_kind:     global_buffer
      - .actual_access:  read_only
        .address_space:  global
        .offset:         64
        .size:           8
        .value_kind:     global_buffer
      - .offset:         72
        .size:           4
        .value_kind:     by_value
      - .actual_access:  read_only
        .address_space:  global
        .offset:         80
        .size:           8
        .value_kind:     global_buffer
      - .offset:         88
        .size:           4
        .value_kind:     by_value
      - .offset:         92
        .size:           4
        .value_kind:     by_value
      - .offset:         96
        .size:           4
        .value_kind:     by_value
      - .address_space:  global
        .offset:         104
        .size:           8
        .value_kind:     global_buffer
      - .address_space:  global
        .offset:         112
        .size:           8
        .value_kind:     global_buffer
      - .offset:         120
        .size:           4
        .value_kind:     by_value
      - .offset:         124
        .size:           4
        .value_kind:     by_value
      - .offset:         128
        .size:           4
        .value_kind:     by_value
      - .offset:         132
        .size:           4
        .value_kind:     by_value
      - .offset:         136
        .size:           4
        .value_kind:     by_value
      - .offset:         144
        .size:           4
        .value_kind:     hidden_block_count_x
      - .offset:         148
        .size:           4
        .value_kind:     hidden_block_count_y
      - .offset:         152
        .size:           4
        .value_kind:     hidden_block_count_z
      - .offset:         156
        .size:           2
        .value_kind:     hidden_group_size_x
      - .offset:         158
        .size:           2
        .value_kind:     hidden_group_size_y
      - .offset:         160
        .size:           2
        .value_kind:     hidden_group_size_z
      - .offset:         162
        .size:           2
        .value_kind:     hidden_remainder_x
      - .offset:         164
        .size:           2
        .value_kind:     hidden_remainder_y
      - .offset:         166
        .size:           2
        .value_kind:     hidden_remainder_z
      - .offset:         184
        .size:           8
        .value_kind:     hidden_global_offset_x
      - .offset:         192
        .size:           8
        .value_kind:     hidden_global_offset_y
      - .offset:         200
        .size:           8
        .value_kind:     hidden_global_offset_z
      - .offset:         208
        .size:           2
        .value_kind:     hidden_grid_dims
      - .offset:         264
        .size:           4
        .value_kind:     hidden_dynamic_lds_size
    .group_segment_fixed_size: 256
    .kernarg_segment_align: 8
    .kernarg_segment_size: 400
    .language:       OpenCL C
    .language_version:
      - 2
      - 0
    .max_flat_workgroup_size: 1024
    .name:           _ZN4vllm25paged_attention_v2_kernelI14__hip_bfloat16S1_Li120ELi16ELi128ELNS_18Fp8KVCacheDataTypeE0ELb0ELi512EEEvPfS3_PT_PKS4_PKT0_SA_ifPKiSC_iPKfiiiSE_SE_iiiii
    .private_segment_fixed_size: 0
    .sgpr_count:     46
    .sgpr_spill_count: 0
    .symbol:         _ZN4vllm25paged_attention_v2_kernelI14__hip_bfloat16S1_Li120ELi16ELi128ELNS_18Fp8KVCacheDataTypeE0ELb0ELi512EEEvPfS3_PT_PKS4_PKT0_SA_ifPKiSC_iPKfiiiSE_SE_iiiii.kd
    .uniform_work_group_size: 1
    .uses_dynamic_stack: false
    .vgpr_count:     63
    .vgpr_spill_count: 0
    .wavefront_size: 64
  - .agpr_count:     0
    .args:
      - .actual_access:  write_only
        .address_space:  global
        .offset:         0
        .size:           8
        .value_kind:     global_buffer
      - .actual_access:  write_only
        .address_space:  global
        .offset:         8
        .size:           8
        .value_kind:     global_buffer
      - .actual_access:  write_only
        .address_space:  global
        .offset:         16
        .size:           8
        .value_kind:     global_buffer
      - .actual_access:  read_only
        .address_space:  global
        .offset:         24
        .size:           8
        .value_kind:     global_buffer
      - .actual_access:  read_only
        .address_space:  global
        .offset:         32
        .size:           8
        .value_kind:     global_buffer
      - .actual_access:  read_only
        .address_space:  global
        .offset:         40
        .size:           8
        .value_kind:     global_buffer
      - .offset:         48
        .size:           4
        .value_kind:     by_value
      - .offset:         52
        .size:           4
        .value_kind:     by_value
      - .actual_access:  read_only
        .address_space:  global
        .offset:         56
        .size:           8
        .value_kind:     global_buffer
      - .actual_access:  read_only
        .address_space:  global
        .offset:         64
        .size:           8
        .value_kind:     global_buffer
      - .offset:         72
        .size:           4
        .value_kind:     by_value
      - .actual_access:  read_only
        .address_space:  global
        .offset:         80
        .size:           8
        .value_kind:     global_buffer
      - .offset:         88
        .size:           4
        .value_kind:     by_value
      - .offset:         92
        .size:           4
        .value_kind:     by_value
      - .offset:         96
        .size:           4
        .value_kind:     by_value
      - .address_space:  global
        .offset:         104
        .size:           8
        .value_kind:     global_buffer
      - .address_space:  global
        .offset:         112
        .size:           8
        .value_kind:     global_buffer
      - .offset:         120
        .size:           4
        .value_kind:     by_value
      - .offset:         124
        .size:           4
        .value_kind:     by_value
      - .offset:         128
        .size:           4
        .value_kind:     by_value
      - .offset:         132
        .size:           4
        .value_kind:     by_value
      - .offset:         136
        .size:           4
        .value_kind:     by_value
      - .offset:         144
        .size:           4
        .value_kind:     hidden_block_count_x
      - .offset:         148
        .size:           4
        .value_kind:     hidden_block_count_y
      - .offset:         152
        .size:           4
        .value_kind:     hidden_block_count_z
      - .offset:         156
        .size:           2
        .value_kind:     hidden_group_size_x
      - .offset:         158
        .size:           2
        .value_kind:     hidden_group_size_y
      - .offset:         160
        .size:           2
        .value_kind:     hidden_group_size_z
      - .offset:         162
        .size:           2
        .value_kind:     hidden_remainder_x
      - .offset:         164
        .size:           2
        .value_kind:     hidden_remainder_y
      - .offset:         166
        .size:           2
        .value_kind:     hidden_remainder_z
      - .offset:         184
        .size:           8
        .value_kind:     hidden_global_offset_x
      - .offset:         192
        .size:           8
        .value_kind:     hidden_global_offset_y
      - .offset:         200
        .size:           8
        .value_kind:     hidden_global_offset_z
      - .offset:         208
        .size:           2
        .value_kind:     hidden_grid_dims
      - .offset:         264
        .size:           4
        .value_kind:     hidden_dynamic_lds_size
    .group_segment_fixed_size: 272
    .kernarg_segment_align: 8
    .kernarg_segment_size: 400
    .language:       OpenCL C
    .language_version:
      - 2
      - 0
    .max_flat_workgroup_size: 1024
    .name:           _ZN4vllm25paged_attention_v2_kernelI14__hip_bfloat16S1_Li128ELi16ELi128ELNS_18Fp8KVCacheDataTypeE0ELb0ELi512EEEvPfS3_PT_PKS4_PKT0_SA_ifPKiSC_iPKfiiiSE_SE_iiiii
    .private_segment_fixed_size: 0
    .sgpr_count:     48
    .sgpr_spill_count: 0
    .symbol:         _ZN4vllm25paged_attention_v2_kernelI14__hip_bfloat16S1_Li128ELi16ELi128ELNS_18Fp8KVCacheDataTypeE0ELb0ELi512EEEvPfS3_PT_PKS4_PKT0_SA_ifPKiSC_iPKfiiiSE_SE_iiiii.kd
    .uniform_work_group_size: 1
    .uses_dynamic_stack: false
    .vgpr_count:     78
    .vgpr_spill_count: 0
    .wavefront_size: 64
  - .agpr_count:     0
    .args:
      - .actual_access:  write_only
        .address_space:  global
        .offset:         0
        .size:           8
        .value_kind:     global_buffer
      - .actual_access:  write_only
        .address_space:  global
        .offset:         8
        .size:           8
        .value_kind:     global_buffer
      - .actual_access:  write_only
        .address_space:  global
        .offset:         16
        .size:           8
        .value_kind:     global_buffer
      - .actual_access:  read_only
        .address_space:  global
        .offset:         24
        .size:           8
        .value_kind:     global_buffer
      - .actual_access:  read_only
        .address_space:  global
        .offset:         32
        .size:           8
        .value_kind:     global_buffer
      - .actual_access:  read_only
        .address_space:  global
        .offset:         40
        .size:           8
        .value_kind:     global_buffer
      - .offset:         48
        .size:           4
        .value_kind:     by_value
      - .offset:         52
        .size:           4
        .value_kind:     by_value
      - .actual_access:  read_only
        .address_space:  global
        .offset:         56
        .size:           8
        .value_kind:     global_buffer
      - .actual_access:  read_only
        .address_space:  global
        .offset:         64
        .size:           8
        .value_kind:     global_buffer
      - .offset:         72
        .size:           4
        .value_kind:     by_value
      - .actual_access:  read_only
        .address_space:  global
        .offset:         80
        .size:           8
        .value_kind:     global_buffer
      - .offset:         88
        .size:           4
        .value_kind:     by_value
      - .offset:         92
        .size:           4
        .value_kind:     by_value
      - .offset:         96
        .size:           4
        .value_kind:     by_value
      - .address_space:  global
        .offset:         104
        .size:           8
        .value_kind:     global_buffer
      - .address_space:  global
        .offset:         112
        .size:           8
        .value_kind:     global_buffer
      - .offset:         120
        .size:           4
        .value_kind:     by_value
      - .offset:         124
        .size:           4
        .value_kind:     by_value
      - .offset:         128
        .size:           4
        .value_kind:     by_value
      - .offset:         132
        .size:           4
        .value_kind:     by_value
      - .offset:         136
        .size:           4
        .value_kind:     by_value
      - .offset:         144
        .size:           4
        .value_kind:     hidden_block_count_x
      - .offset:         148
        .size:           4
        .value_kind:     hidden_block_count_y
      - .offset:         152
        .size:           4
        .value_kind:     hidden_block_count_z
      - .offset:         156
        .size:           2
        .value_kind:     hidden_group_size_x
      - .offset:         158
        .size:           2
        .value_kind:     hidden_group_size_y
      - .offset:         160
        .size:           2
        .value_kind:     hidden_group_size_z
      - .offset:         162
        .size:           2
        .value_kind:     hidden_remainder_x
      - .offset:         164
        .size:           2
        .value_kind:     hidden_remainder_y
      - .offset:         166
        .size:           2
        .value_kind:     hidden_remainder_z
      - .offset:         184
        .size:           8
        .value_kind:     hidden_global_offset_x
      - .offset:         192
        .size:           8
        .value_kind:     hidden_global_offset_y
      - .offset:         200
        .size:           8
        .value_kind:     hidden_global_offset_z
      - .offset:         208
        .size:           2
        .value_kind:     hidden_grid_dims
      - .offset:         264
        .size:           4
        .value_kind:     hidden_dynamic_lds_size
    .group_segment_fixed_size: 400
    .kernarg_segment_align: 8
    .kernarg_segment_size: 400
    .language:       OpenCL C
    .language_version:
      - 2
      - 0
    .max_flat_workgroup_size: 1024
    .name:           _ZN4vllm25paged_attention_v2_kernelI14__hip_bfloat16S1_Li192ELi16ELi128ELNS_18Fp8KVCacheDataTypeE0ELb0ELi512EEEvPfS3_PT_PKS4_PKT0_SA_ifPKiSC_iPKfiiiSE_SE_iiiii
    .private_segment_fixed_size: 0
    .sgpr_count:     47
    .sgpr_spill_count: 0
    .symbol:         _ZN4vllm25paged_attention_v2_kernelI14__hip_bfloat16S1_Li192ELi16ELi128ELNS_18Fp8KVCacheDataTypeE0ELb0ELi512EEEvPfS3_PT_PKS4_PKT0_SA_ifPKiSC_iPKfiiiSE_SE_iiiii.kd
    .uniform_work_group_size: 1
    .uses_dynamic_stack: false
    .vgpr_count:     102
    .vgpr_spill_count: 0
    .wavefront_size: 64
  - .agpr_count:     0
    .args:
      - .actual_access:  write_only
        .address_space:  global
        .offset:         0
        .size:           8
        .value_kind:     global_buffer
      - .actual_access:  write_only
        .address_space:  global
        .offset:         8
        .size:           8
        .value_kind:     global_buffer
      - .actual_access:  write_only
        .address_space:  global
        .offset:         16
        .size:           8
        .value_kind:     global_buffer
      - .actual_access:  read_only
        .address_space:  global
        .offset:         24
        .size:           8
        .value_kind:     global_buffer
      - .actual_access:  read_only
        .address_space:  global
        .offset:         32
        .size:           8
        .value_kind:     global_buffer
      - .actual_access:  read_only
        .address_space:  global
        .offset:         40
        .size:           8
        .value_kind:     global_buffer
      - .offset:         48
        .size:           4
        .value_kind:     by_value
      - .offset:         52
        .size:           4
        .value_kind:     by_value
      - .actual_access:  read_only
        .address_space:  global
        .offset:         56
        .size:           8
        .value_kind:     global_buffer
      - .actual_access:  read_only
        .address_space:  global
        .offset:         64
        .size:           8
        .value_kind:     global_buffer
      - .offset:         72
        .size:           4
        .value_kind:     by_value
      - .actual_access:  read_only
        .address_space:  global
        .offset:         80
        .size:           8
        .value_kind:     global_buffer
      - .offset:         88
        .size:           4
        .value_kind:     by_value
      - .offset:         92
        .size:           4
        .value_kind:     by_value
      - .offset:         96
        .size:           4
        .value_kind:     by_value
      - .address_space:  global
        .offset:         104
        .size:           8
        .value_kind:     global_buffer
      - .address_space:  global
        .offset:         112
        .size:           8
        .value_kind:     global_buffer
      - .offset:         120
        .size:           4
        .value_kind:     by_value
      - .offset:         124
        .size:           4
        .value_kind:     by_value
      - .offset:         128
        .size:           4
        .value_kind:     by_value
      - .offset:         132
        .size:           4
        .value_kind:     by_value
      - .offset:         136
        .size:           4
        .value_kind:     by_value
      - .offset:         144
        .size:           4
        .value_kind:     hidden_block_count_x
      - .offset:         148
        .size:           4
        .value_kind:     hidden_block_count_y
      - .offset:         152
        .size:           4
        .value_kind:     hidden_block_count_z
      - .offset:         156
        .size:           2
        .value_kind:     hidden_group_size_x
      - .offset:         158
        .size:           2
        .value_kind:     hidden_group_size_y
      - .offset:         160
        .size:           2
        .value_kind:     hidden_group_size_z
      - .offset:         162
        .size:           2
        .value_kind:     hidden_remainder_x
      - .offset:         164
        .size:           2
        .value_kind:     hidden_remainder_y
      - .offset:         166
        .size:           2
        .value_kind:     hidden_remainder_z
      - .offset:         184
        .size:           8
        .value_kind:     hidden_global_offset_x
      - .offset:         192
        .size:           8
        .value_kind:     hidden_global_offset_y
      - .offset:         200
        .size:           8
        .value_kind:     hidden_global_offset_z
      - .offset:         208
        .size:           2
        .value_kind:     hidden_grid_dims
      - .offset:         264
        .size:           4
        .value_kind:     hidden_dynamic_lds_size
    .group_segment_fixed_size: 528
    .kernarg_segment_align: 8
    .kernarg_segment_size: 400
    .language:       OpenCL C
    .language_version:
      - 2
      - 0
    .max_flat_workgroup_size: 1024
    .name:           _ZN4vllm25paged_attention_v2_kernelI14__hip_bfloat16S1_Li256ELi16ELi128ELNS_18Fp8KVCacheDataTypeE0ELb0ELi512EEEvPfS3_PT_PKS4_PKT0_SA_ifPKiSC_iPKfiiiSE_SE_iiiii
    .private_segment_fixed_size: 0
    .sgpr_count:     47
    .sgpr_spill_count: 0
    .symbol:         _ZN4vllm25paged_attention_v2_kernelI14__hip_bfloat16S1_Li256ELi16ELi128ELNS_18Fp8KVCacheDataTypeE0ELb0ELi512EEEvPfS3_PT_PKS4_PKT0_SA_ifPKiSC_iPKfiiiSE_SE_iiiii.kd
    .uniform_work_group_size: 1
    .uses_dynamic_stack: false
    .vgpr_count:     116
    .vgpr_spill_count: 0
    .wavefront_size: 64
  - .agpr_count:     0
    .args:
      - .actual_access:  write_only
        .address_space:  global
        .offset:         0
        .size:           8
        .value_kind:     global_buffer
      - .actual_access:  write_only
        .address_space:  global
        .offset:         8
        .size:           8
        .value_kind:     global_buffer
      - .actual_access:  write_only
        .address_space:  global
        .offset:         16
        .size:           8
        .value_kind:     global_buffer
      - .actual_access:  read_only
        .address_space:  global
        .offset:         24
        .size:           8
        .value_kind:     global_buffer
      - .actual_access:  read_only
        .address_space:  global
        .offset:         32
        .size:           8
        .value_kind:     global_buffer
      - .actual_access:  read_only
        .address_space:  global
        .offset:         40
        .size:           8
        .value_kind:     global_buffer
      - .offset:         48
        .size:           4
        .value_kind:     by_value
      - .offset:         52
        .size:           4
        .value_kind:     by_value
      - .actual_access:  read_only
        .address_space:  global
        .offset:         56
        .size:           8
        .value_kind:     global_buffer
      - .actual_access:  read_only
        .address_space:  global
        .offset:         64
        .size:           8
        .value_kind:     global_buffer
      - .offset:         72
        .size:           4
        .value_kind:     by_value
      - .actual_access:  read_only
        .address_space:  global
        .offset:         80
        .size:           8
        .value_kind:     global_buffer
      - .offset:         88
        .size:           4
        .value_kind:     by_value
      - .offset:         92
        .size:           4
        .value_kind:     by_value
      - .offset:         96
        .size:           4
        .value_kind:     by_value
      - .address_space:  global
        .offset:         104
        .size:           8
        .value_kind:     global_buffer
      - .address_space:  global
        .offset:         112
        .size:           8
        .value_kind:     global_buffer
      - .offset:         120
        .size:           4
        .value_kind:     by_value
      - .offset:         124
        .size:           4
        .value_kind:     by_value
      - .offset:         128
        .size:           4
        .value_kind:     by_value
      - .offset:         132
        .size:           4
        .value_kind:     by_value
      - .offset:         136
        .size:           4
        .value_kind:     by_value
      - .offset:         144
        .size:           4
        .value_kind:     hidden_block_count_x
      - .offset:         148
        .size:           4
        .value_kind:     hidden_block_count_y
      - .offset:         152
        .size:           4
        .value_kind:     hidden_block_count_z
      - .offset:         156
        .size:           2
        .value_kind:     hidden_group_size_x
      - .offset:         158
        .size:           2
        .value_kind:     hidden_group_size_y
      - .offset:         160
        .size:           2
        .value_kind:     hidden_group_size_z
      - .offset:         162
        .size:           2
        .value_kind:     hidden_remainder_x
      - .offset:         164
        .size:           2
        .value_kind:     hidden_remainder_y
      - .offset:         166
        .size:           2
        .value_kind:     hidden_remainder_z
      - .offset:         184
        .size:           8
        .value_kind:     hidden_global_offset_x
      - .offset:         192
        .size:           8
        .value_kind:     hidden_global_offset_y
      - .offset:         200
        .size:           8
        .value_kind:     hidden_global_offset_z
      - .offset:         208
        .size:           2
        .value_kind:     hidden_grid_dims
      - .offset:         264
        .size:           4
        .value_kind:     hidden_dynamic_lds_size
    .group_segment_fixed_size: 80
    .kernarg_segment_align: 8
    .kernarg_segment_size: 400
    .language:       OpenCL C
    .language_version:
      - 2
      - 0
    .max_flat_workgroup_size: 1024
    .name:           _ZN4vllm25paged_attention_v2_kernelI14__hip_bfloat16S1_Li32ELi32ELi128ELNS_18Fp8KVCacheDataTypeE0ELb1ELi512EEEvPfS3_PT_PKS4_PKT0_SA_ifPKiSC_iPKfiiiSE_SE_iiiii
    .private_segment_fixed_size: 0
    .sgpr_count:     56
    .sgpr_spill_count: 0
    .symbol:         _ZN4vllm25paged_attention_v2_kernelI14__hip_bfloat16S1_Li32ELi32ELi128ELNS_18Fp8KVCacheDataTypeE0ELb1ELi512EEEvPfS3_PT_PKS4_PKT0_SA_ifPKiSC_iPKfiiiSE_SE_iiiii.kd
    .uniform_work_group_size: 1
    .uses_dynamic_stack: false
    .vgpr_count:     56
    .vgpr_spill_count: 0
    .wavefront_size: 64
  - .agpr_count:     0
    .args:
      - .actual_access:  write_only
        .address_space:  global
        .offset:         0
        .size:           8
        .value_kind:     global_buffer
      - .actual_access:  write_only
        .address_space:  global
        .offset:         8
        .size:           8
        .value_kind:     global_buffer
      - .actual_access:  write_only
        .address_space:  global
        .offset:         16
        .size:           8
        .value_kind:     global_buffer
      - .actual_access:  read_only
        .address_space:  global
        .offset:         24
        .size:           8
        .value_kind:     global_buffer
      - .actual_access:  read_only
        .address_space:  global
        .offset:         32
        .size:           8
        .value_kind:     global_buffer
      - .actual_access:  read_only
        .address_space:  global
        .offset:         40
        .size:           8
        .value_kind:     global_buffer
      - .offset:         48
        .size:           4
        .value_kind:     by_value
      - .offset:         52
        .size:           4
        .value_kind:     by_value
      - .actual_access:  read_only
        .address_space:  global
        .offset:         56
        .size:           8
        .value_kind:     global_buffer
      - .actual_access:  read_only
        .address_space:  global
        .offset:         64
        .size:           8
        .value_kind:     global_buffer
      - .offset:         72
        .size:           4
        .value_kind:     by_value
      - .actual_access:  read_only
        .address_space:  global
        .offset:         80
        .size:           8
        .value_kind:     global_buffer
      - .offset:         88
        .size:           4
        .value_kind:     by_value
      - .offset:         92
        .size:           4
        .value_kind:     by_value
      - .offset:         96
        .size:           4
        .value_kind:     by_value
      - .address_space:  global
        .offset:         104
        .size:           8
        .value_kind:     global_buffer
      - .address_space:  global
        .offset:         112
        .size:           8
        .value_kind:     global_buffer
      - .offset:         120
        .size:           4
        .value_kind:     by_value
      - .offset:         124
        .size:           4
        .value_kind:     by_value
      - .offset:         128
        .size:           4
        .value_kind:     by_value
      - .offset:         132
        .size:           4
        .value_kind:     by_value
      - .offset:         136
        .size:           4
        .value_kind:     by_value
      - .offset:         144
        .size:           4
        .value_kind:     hidden_block_count_x
      - .offset:         148
        .size:           4
        .value_kind:     hidden_block_count_y
      - .offset:         152
        .size:           4
        .value_kind:     hidden_block_count_z
      - .offset:         156
        .size:           2
        .value_kind:     hidden_group_size_x
      - .offset:         158
        .size:           2
        .value_kind:     hidden_group_size_y
      - .offset:         160
        .size:           2
        .value_kind:     hidden_group_size_z
      - .offset:         162
        .size:           2
        .value_kind:     hidden_remainder_x
      - .offset:         164
        .size:           2
        .value_kind:     hidden_remainder_y
      - .offset:         166
        .size:           2
        .value_kind:     hidden_remainder_z
      - .offset:         184
        .size:           8
        .value_kind:     hidden_global_offset_x
      - .offset:         192
        .size:           8
        .value_kind:     hidden_global_offset_y
      - .offset:         200
        .size:           8
        .value_kind:     hidden_global_offset_z
      - .offset:         208
        .size:           2
        .value_kind:     hidden_grid_dims
      - .offset:         264
        .size:           4
        .value_kind:     hidden_dynamic_lds_size
    .group_segment_fixed_size: 144
    .kernarg_segment_align: 8
    .kernarg_segment_size: 400
    .language:       OpenCL C
    .language_version:
      - 2
      - 0
    .max_flat_workgroup_size: 1024
    .name:           _ZN4vllm25paged_attention_v2_kernelI14__hip_bfloat16S1_Li64ELi32ELi128ELNS_18Fp8KVCacheDataTypeE0ELb1ELi512EEEvPfS3_PT_PKS4_PKT0_SA_ifPKiSC_iPKfiiiSE_SE_iiiii
    .private_segment_fixed_size: 0
    .sgpr_count:     56
    .sgpr_spill_count: 0
    .symbol:         _ZN4vllm25paged_attention_v2_kernelI14__hip_bfloat16S1_Li64ELi32ELi128ELNS_18Fp8KVCacheDataTypeE0ELb1ELi512EEEvPfS3_PT_PKS4_PKT0_SA_ifPKiSC_iPKfiiiSE_SE_iiiii.kd
    .uniform_work_group_size: 1
    .uses_dynamic_stack: false
    .vgpr_count:     88
    .vgpr_spill_count: 0
    .wavefront_size: 64
  - .agpr_count:     0
    .args:
      - .actual_access:  write_only
        .address_space:  global
        .offset:         0
        .size:           8
        .value_kind:     global_buffer
      - .actual_access:  write_only
        .address_space:  global
        .offset:         8
        .size:           8
        .value_kind:     global_buffer
      - .actual_access:  write_only
        .address_space:  global
        .offset:         16
        .size:           8
        .value_kind:     global_buffer
      - .actual_access:  read_only
        .address_space:  global
        .offset:         24
        .size:           8
        .value_kind:     global_buffer
      - .actual_access:  read_only
        .address_space:  global
        .offset:         32
        .size:           8
        .value_kind:     global_buffer
      - .actual_access:  read_only
        .address_space:  global
        .offset:         40
        .size:           8
        .value_kind:     global_buffer
      - .offset:         48
        .size:           4
        .value_kind:     by_value
      - .offset:         52
        .size:           4
        .value_kind:     by_value
      - .actual_access:  read_only
        .address_space:  global
        .offset:         56
        .size:           8
        .value_kind:     global_buffer
      - .actual_access:  read_only
        .address_space:  global
        .offset:         64
        .size:           8
        .value_kind:     global_buffer
      - .offset:         72
        .size:           4
        .value_kind:     by_value
      - .actual_access:  read_only
        .address_space:  global
        .offset:         80
        .size:           8
        .value_kind:     global_buffer
      - .offset:         88
        .size:           4
        .value_kind:     by_value
      - .offset:         92
        .size:           4
        .value_kind:     by_value
      - .offset:         96
        .size:           4
        .value_kind:     by_value
      - .address_space:  global
        .offset:         104
        .size:           8
        .value_kind:     global_buffer
      - .address_space:  global
        .offset:         112
        .size:           8
        .value_kind:     global_buffer
      - .offset:         120
        .size:           4
        .value_kind:     by_value
      - .offset:         124
        .size:           4
        .value_kind:     by_value
      - .offset:         128
        .size:           4
        .value_kind:     by_value
      - .offset:         132
        .size:           4
        .value_kind:     by_value
      - .offset:         136
        .size:           4
        .value_kind:     by_value
      - .offset:         144
        .size:           4
        .value_kind:     hidden_block_count_x
      - .offset:         148
        .size:           4
        .value_kind:     hidden_block_count_y
      - .offset:         152
        .size:           4
        .value_kind:     hidden_block_count_z
      - .offset:         156
        .size:           2
        .value_kind:     hidden_group_size_x
      - .offset:         158
        .size:           2
        .value_kind:     hidden_group_size_y
      - .offset:         160
        .size:           2
        .value_kind:     hidden_group_size_z
      - .offset:         162
        .size:           2
        .value_kind:     hidden_remainder_x
      - .offset:         164
        .size:           2
        .value_kind:     hidden_remainder_y
      - .offset:         166
        .size:           2
        .value_kind:     hidden_remainder_z
      - .offset:         184
        .size:           8
        .value_kind:     hidden_global_offset_x
      - .offset:         192
        .size:           8
        .value_kind:     hidden_global_offset_y
      - .offset:         200
        .size:           8
        .value_kind:     hidden_global_offset_z
      - .offset:         208
        .size:           2
        .value_kind:     hidden_grid_dims
      - .offset:         264
        .size:           4
        .value_kind:     hidden_dynamic_lds_size
    .group_segment_fixed_size: 176
    .kernarg_segment_align: 8
    .kernarg_segment_size: 400
    .language:       OpenCL C
    .language_version:
      - 2
      - 0
    .max_flat_workgroup_size: 1024
    .name:           _ZN4vllm25paged_attention_v2_kernelI14__hip_bfloat16S1_Li80ELi32ELi128ELNS_18Fp8KVCacheDataTypeE0ELb1ELi512EEEvPfS3_PT_PKS4_PKT0_SA_ifPKiSC_iPKfiiiSE_SE_iiiii
    .private_segment_fixed_size: 0
    .sgpr_count:     57
    .sgpr_spill_count: 0
    .symbol:         _ZN4vllm25paged_attention_v2_kernelI14__hip_bfloat16S1_Li80ELi32ELi128ELNS_18Fp8KVCacheDataTypeE0ELb1ELi512EEEvPfS3_PT_PKS4_PKT0_SA_ifPKiSC_iPKfiiiSE_SE_iiiii.kd
    .uniform_work_group_size: 1
    .uses_dynamic_stack: false
    .vgpr_count:     94
    .vgpr_spill_count: 0
    .wavefront_size: 64
  - .agpr_count:     0
    .args:
      - .actual_access:  write_only
        .address_space:  global
        .offset:         0
        .size:           8
        .value_kind:     global_buffer
      - .actual_access:  write_only
        .address_space:  global
        .offset:         8
        .size:           8
        .value_kind:     global_buffer
      - .actual_access:  write_only
        .address_space:  global
        .offset:         16
        .size:           8
        .value_kind:     global_buffer
      - .actual_access:  read_only
        .address_space:  global
        .offset:         24
        .size:           8
        .value_kind:     global_buffer
      - .actual_access:  read_only
        .address_space:  global
        .offset:         32
        .size:           8
        .value_kind:     global_buffer
      - .actual_access:  read_only
        .address_space:  global
        .offset:         40
        .size:           8
        .value_kind:     global_buffer
      - .offset:         48
        .size:           4
        .value_kind:     by_value
      - .offset:         52
        .size:           4
        .value_kind:     by_value
      - .actual_access:  read_only
        .address_space:  global
        .offset:         56
        .size:           8
        .value_kind:     global_buffer
      - .actual_access:  read_only
        .address_space:  global
        .offset:         64
        .size:           8
        .value_kind:     global_buffer
      - .offset:         72
        .size:           4
        .value_kind:     by_value
      - .actual_access:  read_only
        .address_space:  global
        .offset:         80
        .size:           8
        .value_kind:     global_buffer
      - .offset:         88
        .size:           4
        .value_kind:     by_value
      - .offset:         92
        .size:           4
        .value_kind:     by_value
      - .offset:         96
        .size:           4
        .value_kind:     by_value
      - .address_space:  global
        .offset:         104
        .size:           8
        .value_kind:     global_buffer
      - .address_space:  global
        .offset:         112
        .size:           8
        .value_kind:     global_buffer
      - .offset:         120
        .size:           4
        .value_kind:     by_value
      - .offset:         124
        .size:           4
        .value_kind:     by_value
      - .offset:         128
        .size:           4
        .value_kind:     by_value
      - .offset:         132
        .size:           4
        .value_kind:     by_value
      - .offset:         136
        .size:           4
        .value_kind:     by_value
      - .offset:         144
        .size:           4
        .value_kind:     hidden_block_count_x
      - .offset:         148
        .size:           4
        .value_kind:     hidden_block_count_y
      - .offset:         152
        .size:           4
        .value_kind:     hidden_block_count_z
      - .offset:         156
        .size:           2
        .value_kind:     hidden_group_size_x
      - .offset:         158
        .size:           2
        .value_kind:     hidden_group_size_y
      - .offset:         160
        .size:           2
        .value_kind:     hidden_group_size_z
      - .offset:         162
        .size:           2
        .value_kind:     hidden_remainder_x
      - .offset:         164
        .size:           2
        .value_kind:     hidden_remainder_y
      - .offset:         166
        .size:           2
        .value_kind:     hidden_remainder_z
      - .offset:         184
        .size:           8
        .value_kind:     hidden_global_offset_x
      - .offset:         192
        .size:           8
        .value_kind:     hidden_global_offset_y
      - .offset:         200
        .size:           8
        .value_kind:     hidden_global_offset_z
      - .offset:         208
        .size:           2
        .value_kind:     hidden_grid_dims
      - .offset:         264
        .size:           4
        .value_kind:     hidden_dynamic_lds_size
    .group_segment_fixed_size: 208
    .kernarg_segment_align: 8
    .kernarg_segment_size: 400
    .language:       OpenCL C
    .language_version:
      - 2
      - 0
    .max_flat_workgroup_size: 1024
    .name:           _ZN4vllm25paged_attention_v2_kernelI14__hip_bfloat16S1_Li96ELi32ELi128ELNS_18Fp8KVCacheDataTypeE0ELb1ELi512EEEvPfS3_PT_PKS4_PKT0_SA_ifPKiSC_iPKfiiiSE_SE_iiiii
    .private_segment_fixed_size: 0
    .sgpr_count:     57
    .sgpr_spill_count: 0
    .symbol:         _ZN4vllm25paged_attention_v2_kernelI14__hip_bfloat16S1_Li96ELi32ELi128ELNS_18Fp8KVCacheDataTypeE0ELb1ELi512EEEvPfS3_PT_PKS4_PKT0_SA_ifPKiSC_iPKfiiiSE_SE_iiiii.kd
    .uniform_work_group_size: 1
    .uses_dynamic_stack: false
    .vgpr_count:     111
    .vgpr_spill_count: 0
    .wavefront_size: 64
  - .agpr_count:     0
    .args:
      - .actual_access:  write_only
        .address_space:  global
        .offset:         0
        .size:           8
        .value_kind:     global_buffer
      - .actual_access:  write_only
        .address_space:  global
        .offset:         8
        .size:           8
        .value_kind:     global_buffer
      - .actual_access:  write_only
        .address_space:  global
        .offset:         16
        .size:           8
        .value_kind:     global_buffer
      - .actual_access:  read_only
        .address_space:  global
        .offset:         24
        .size:           8
        .value_kind:     global_buffer
      - .actual_access:  read_only
        .address_space:  global
        .offset:         32
        .size:           8
        .value_kind:     global_buffer
      - .actual_access:  read_only
        .address_space:  global
        .offset:         40
        .size:           8
        .value_kind:     global_buffer
      - .offset:         48
        .size:           4
        .value_kind:     by_value
      - .offset:         52
        .size:           4
        .value_kind:     by_value
      - .actual_access:  read_only
        .address_space:  global
        .offset:         56
        .size:           8
        .value_kind:     global_buffer
      - .actual_access:  read_only
        .address_space:  global
        .offset:         64
        .size:           8
        .value_kind:     global_buffer
      - .offset:         72
        .size:           4
        .value_kind:     by_value
      - .actual_access:  read_only
        .address_space:  global
        .offset:         80
        .size:           8
        .value_kind:     global_buffer
      - .offset:         88
        .size:           4
        .value_kind:     by_value
      - .offset:         92
        .size:           4
        .value_kind:     by_value
      - .offset:         96
        .size:           4
        .value_kind:     by_value
      - .address_space:  global
        .offset:         104
        .size:           8
        .value_kind:     global_buffer
      - .address_space:  global
        .offset:         112
        .size:           8
        .value_kind:     global_buffer
      - .offset:         120
        .size:           4
        .value_kind:     by_value
      - .offset:         124
        .size:           4
        .value_kind:     by_value
      - .offset:         128
        .size:           4
        .value_kind:     by_value
      - .offset:         132
        .size:           4
        .value_kind:     by_value
      - .offset:         136
        .size:           4
        .value_kind:     by_value
      - .offset:         144
        .size:           4
        .value_kind:     hidden_block_count_x
      - .offset:         148
        .size:           4
        .value_kind:     hidden_block_count_y
      - .offset:         152
        .size:           4
        .value_kind:     hidden_block_count_z
      - .offset:         156
        .size:           2
        .value_kind:     hidden_group_size_x
      - .offset:         158
        .size:           2
        .value_kind:     hidden_group_size_y
      - .offset:         160
        .size:           2
        .value_kind:     hidden_group_size_z
      - .offset:         162
        .size:           2
        .value_kind:     hidden_remainder_x
      - .offset:         164
        .size:           2
        .value_kind:     hidden_remainder_y
      - .offset:         166
        .size:           2
        .value_kind:     hidden_remainder_z
      - .offset:         184
        .size:           8
        .value_kind:     hidden_global_offset_x
      - .offset:         192
        .size:           8
        .value_kind:     hidden_global_offset_y
      - .offset:         200
        .size:           8
        .value_kind:     hidden_global_offset_z
      - .offset:         208
        .size:           2
        .value_kind:     hidden_grid_dims
      - .offset:         264
        .size:           4
        .value_kind:     hidden_dynamic_lds_size
    .group_segment_fixed_size: 240
    .kernarg_segment_align: 8
    .kernarg_segment_size: 400
    .language:       OpenCL C
    .language_version:
      - 2
      - 0
    .max_flat_workgroup_size: 1024
    .name:           _ZN4vllm25paged_attention_v2_kernelI14__hip_bfloat16S1_Li112ELi32ELi128ELNS_18Fp8KVCacheDataTypeE0ELb1ELi512EEEvPfS3_PT_PKS4_PKT0_SA_ifPKiSC_iPKfiiiSE_SE_iiiii
    .private_segment_fixed_size: 0
    .sgpr_count:     57
    .sgpr_spill_count: 0
    .symbol:         _ZN4vllm25paged_attention_v2_kernelI14__hip_bfloat16S1_Li112ELi32ELi128ELNS_18Fp8KVCacheDataTypeE0ELb1ELi512EEEvPfS3_PT_PKS4_PKT0_SA_ifPKiSC_iPKfiiiSE_SE_iiiii.kd
    .uniform_work_group_size: 1
    .uses_dynamic_stack: false
    .vgpr_count:     109
    .vgpr_spill_count: 0
    .wavefront_size: 64
  - .agpr_count:     0
    .args:
      - .actual_access:  write_only
        .address_space:  global
        .offset:         0
        .size:           8
        .value_kind:     global_buffer
      - .actual_access:  write_only
        .address_space:  global
        .offset:         8
        .size:           8
        .value_kind:     global_buffer
      - .actual_access:  write_only
        .address_space:  global
        .offset:         16
        .size:           8
        .value_kind:     global_buffer
      - .actual_access:  read_only
        .address_space:  global
        .offset:         24
        .size:           8
        .value_kind:     global_buffer
      - .actual_access:  read_only
        .address_space:  global
        .offset:         32
        .size:           8
        .value_kind:     global_buffer
      - .actual_access:  read_only
        .address_space:  global
        .offset:         40
        .size:           8
        .value_kind:     global_buffer
      - .offset:         48
        .size:           4
        .value_kind:     by_value
      - .offset:         52
        .size:           4
        .value_kind:     by_value
      - .actual_access:  read_only
        .address_space:  global
        .offset:         56
        .size:           8
        .value_kind:     global_buffer
      - .actual_access:  read_only
        .address_space:  global
        .offset:         64
        .size:           8
        .value_kind:     global_buffer
      - .offset:         72
        .size:           4
        .value_kind:     by_value
      - .actual_access:  read_only
        .address_space:  global
        .offset:         80
        .size:           8
        .value_kind:     global_buffer
      - .offset:         88
        .size:           4
        .value_kind:     by_value
      - .offset:         92
        .size:           4
        .value_kind:     by_value
      - .offset:         96
        .size:           4
        .value_kind:     by_value
      - .address_space:  global
        .offset:         104
        .size:           8
        .value_kind:     global_buffer
      - .address_space:  global
        .offset:         112
        .size:           8
        .value_kind:     global_buffer
      - .offset:         120
        .size:           4
        .value_kind:     by_value
      - .offset:         124
        .size:           4
        .value_kind:     by_value
      - .offset:         128
        .size:           4
        .value_kind:     by_value
      - .offset:         132
        .size:           4
        .value_kind:     by_value
      - .offset:         136
        .size:           4
        .value_kind:     by_value
      - .offset:         144
        .size:           4
        .value_kind:     hidden_block_count_x
      - .offset:         148
        .size:           4
        .value_kind:     hidden_block_count_y
      - .offset:         152
        .size:           4
        .value_kind:     hidden_block_count_z
      - .offset:         156
        .size:           2
        .value_kind:     hidden_group_size_x
      - .offset:         158
        .size:           2
        .value_kind:     hidden_group_size_y
      - .offset:         160
        .size:           2
        .value_kind:     hidden_group_size_z
      - .offset:         162
        .size:           2
        .value_kind:     hidden_remainder_x
      - .offset:         164
        .size:           2
        .value_kind:     hidden_remainder_y
      - .offset:         166
        .size:           2
        .value_kind:     hidden_remainder_z
      - .offset:         184
        .size:           8
        .value_kind:     hidden_global_offset_x
      - .offset:         192
        .size:           8
        .value_kind:     hidden_global_offset_y
      - .offset:         200
        .size:           8
        .value_kind:     hidden_global_offset_z
      - .offset:         208
        .size:           2
        .value_kind:     hidden_grid_dims
      - .offset:         264
        .size:           4
        .value_kind:     hidden_dynamic_lds_size
    .group_segment_fixed_size: 256
    .kernarg_segment_align: 8
    .kernarg_segment_size: 400
    .language:       OpenCL C
    .language_version:
      - 2
      - 0
    .max_flat_workgroup_size: 1024
    .name:           _ZN4vllm25paged_attention_v2_kernelI14__hip_bfloat16S1_Li120ELi32ELi128ELNS_18Fp8KVCacheDataTypeE0ELb1ELi512EEEvPfS3_PT_PKS4_PKT0_SA_ifPKiSC_iPKfiiiSE_SE_iiiii
    .private_segment_fixed_size: 0
    .sgpr_count:     57
    .sgpr_spill_count: 0
    .symbol:         _ZN4vllm25paged_attention_v2_kernelI14__hip_bfloat16S1_Li120ELi32ELi128ELNS_18Fp8KVCacheDataTypeE0ELb1ELi512EEEvPfS3_PT_PKS4_PKT0_SA_ifPKiSC_iPKfiiiSE_SE_iiiii.kd
    .uniform_work_group_size: 1
    .uses_dynamic_stack: false
    .vgpr_count:     128
    .vgpr_spill_count: 0
    .wavefront_size: 64
  - .agpr_count:     0
    .args:
      - .actual_access:  write_only
        .address_space:  global
        .offset:         0
        .size:           8
        .value_kind:     global_buffer
      - .actual_access:  write_only
        .address_space:  global
        .offset:         8
        .size:           8
        .value_kind:     global_buffer
      - .actual_access:  write_only
        .address_space:  global
        .offset:         16
        .size:           8
        .value_kind:     global_buffer
      - .actual_access:  read_only
        .address_space:  global
        .offset:         24
        .size:           8
        .value_kind:     global_buffer
      - .actual_access:  read_only
        .address_space:  global
        .offset:         32
        .size:           8
        .value_kind:     global_buffer
      - .actual_access:  read_only
        .address_space:  global
        .offset:         40
        .size:           8
        .value_kind:     global_buffer
      - .offset:         48
        .size:           4
        .value_kind:     by_value
      - .offset:         52
        .size:           4
        .value_kind:     by_value
      - .actual_access:  read_only
        .address_space:  global
        .offset:         56
        .size:           8
        .value_kind:     global_buffer
      - .actual_access:  read_only
        .address_space:  global
        .offset:         64
        .size:           8
        .value_kind:     global_buffer
      - .offset:         72
        .size:           4
        .value_kind:     by_value
      - .actual_access:  read_only
        .address_space:  global
        .offset:         80
        .size:           8
        .value_kind:     global_buffer
      - .offset:         88
        .size:           4
        .value_kind:     by_value
      - .offset:         92
        .size:           4
        .value_kind:     by_value
      - .offset:         96
        .size:           4
        .value_kind:     by_value
      - .address_space:  global
        .offset:         104
        .size:           8
        .value_kind:     global_buffer
      - .address_space:  global
        .offset:         112
        .size:           8
        .value_kind:     global_buffer
      - .offset:         120
        .size:           4
        .value_kind:     by_value
      - .offset:         124
        .size:           4
        .value_kind:     by_value
      - .offset:         128
        .size:           4
        .value_kind:     by_value
      - .offset:         132
        .size:           4
        .value_kind:     by_value
      - .offset:         136
        .size:           4
        .value_kind:     by_value
      - .offset:         144
        .size:           4
        .value_kind:     hidden_block_count_x
      - .offset:         148
        .size:           4
        .value_kind:     hidden_block_count_y
      - .offset:         152
        .size:           4
        .value_kind:     hidden_block_count_z
      - .offset:         156
        .size:           2
        .value_kind:     hidden_group_size_x
      - .offset:         158
        .size:           2
        .value_kind:     hidden_group_size_y
      - .offset:         160
        .size:           2
        .value_kind:     hidden_group_size_z
      - .offset:         162
        .size:           2
        .value_kind:     hidden_remainder_x
      - .offset:         164
        .size:           2
        .value_kind:     hidden_remainder_y
      - .offset:         166
        .size:           2
        .value_kind:     hidden_remainder_z
      - .offset:         184
        .size:           8
        .value_kind:     hidden_global_offset_x
      - .offset:         192
        .size:           8
        .value_kind:     hidden_global_offset_y
      - .offset:         200
        .size:           8
        .value_kind:     hidden_global_offset_z
      - .offset:         208
        .size:           2
        .value_kind:     hidden_grid_dims
      - .offset:         264
        .size:           4
        .value_kind:     hidden_dynamic_lds_size
    .group_segment_fixed_size: 272
    .kernarg_segment_align: 8
    .kernarg_segment_size: 400
    .language:       OpenCL C
    .language_version:
      - 2
      - 0
    .max_flat_workgroup_size: 1024
    .name:           _ZN4vllm25paged_attention_v2_kernelI14__hip_bfloat16S1_Li128ELi32ELi128ELNS_18Fp8KVCacheDataTypeE0ELb1ELi512EEEvPfS3_PT_PKS4_PKT0_SA_ifPKiSC_iPKfiiiSE_SE_iiiii
    .private_segment_fixed_size: 0
    .sgpr_count:     57
    .sgpr_spill_count: 0
    .symbol:         _ZN4vllm25paged_attention_v2_kernelI14__hip_bfloat16S1_Li128ELi32ELi128ELNS_18Fp8KVCacheDataTypeE0ELb1ELi512EEEvPfS3_PT_PKS4_PKT0_SA_ifPKiSC_iPKfiiiSE_SE_iiiii.kd
    .uniform_work_group_size: 1
    .uses_dynamic_stack: false
    .vgpr_count:     106
    .vgpr_spill_count: 0
    .wavefront_size: 64
  - .agpr_count:     0
    .args:
      - .actual_access:  write_only
        .address_space:  global
        .offset:         0
        .size:           8
        .value_kind:     global_buffer
      - .actual_access:  write_only
        .address_space:  global
        .offset:         8
        .size:           8
        .value_kind:     global_buffer
      - .actual_access:  write_only
        .address_space:  global
        .offset:         16
        .size:           8
        .value_kind:     global_buffer
      - .actual_access:  read_only
        .address_space:  global
        .offset:         24
        .size:           8
        .value_kind:     global_buffer
      - .actual_access:  read_only
        .address_space:  global
        .offset:         32
        .size:           8
        .value_kind:     global_buffer
      - .actual_access:  read_only
        .address_space:  global
        .offset:         40
        .size:           8
        .value_kind:     global_buffer
      - .offset:         48
        .size:           4
        .value_kind:     by_value
      - .offset:         52
        .size:           4
        .value_kind:     by_value
      - .actual_access:  read_only
        .address_space:  global
        .offset:         56
        .size:           8
        .value_kind:     global_buffer
      - .actual_access:  read_only
        .address_space:  global
        .offset:         64
        .size:           8
        .value_kind:     global_buffer
      - .offset:         72
        .size:           4
        .value_kind:     by_value
      - .actual_access:  read_only
        .address_space:  global
        .offset:         80
        .size:           8
        .value_kind:     global_buffer
      - .offset:         88
        .size:           4
        .value_kind:     by_value
      - .offset:         92
        .size:           4
        .value_kind:     by_value
      - .offset:         96
        .size:           4
        .value_kind:     by_value
      - .address_space:  global
        .offset:         104
        .size:           8
        .value_kind:     global_buffer
      - .address_space:  global
        .offset:         112
        .size:           8
        .value_kind:     global_buffer
      - .offset:         120
        .size:           4
        .value_kind:     by_value
      - .offset:         124
        .size:           4
        .value_kind:     by_value
      - .offset:         128
        .size:           4
        .value_kind:     by_value
      - .offset:         132
        .size:           4
        .value_kind:     by_value
      - .offset:         136
        .size:           4
        .value_kind:     by_value
      - .offset:         144
        .size:           4
        .value_kind:     hidden_block_count_x
      - .offset:         148
        .size:           4
        .value_kind:     hidden_block_count_y
      - .offset:         152
        .size:           4
        .value_kind:     hidden_block_count_z
      - .offset:         156
        .size:           2
        .value_kind:     hidden_group_size_x
      - .offset:         158
        .size:           2
        .value_kind:     hidden_group_size_y
      - .offset:         160
        .size:           2
        .value_kind:     hidden_group_size_z
      - .offset:         162
        .size:           2
        .value_kind:     hidden_remainder_x
      - .offset:         164
        .size:           2
        .value_kind:     hidden_remainder_y
      - .offset:         166
        .size:           2
        .value_kind:     hidden_remainder_z
      - .offset:         184
        .size:           8
        .value_kind:     hidden_global_offset_x
      - .offset:         192
        .size:           8
        .value_kind:     hidden_global_offset_y
      - .offset:         200
        .size:           8
        .value_kind:     hidden_global_offset_z
      - .offset:         208
        .size:           2
        .value_kind:     hidden_grid_dims
      - .offset:         264
        .size:           4
        .value_kind:     hidden_dynamic_lds_size
    .group_segment_fixed_size: 400
    .kernarg_segment_align: 8
    .kernarg_segment_size: 400
    .language:       OpenCL C
    .language_version:
      - 2
      - 0
    .max_flat_workgroup_size: 1024
    .name:           _ZN4vllm25paged_attention_v2_kernelI14__hip_bfloat16S1_Li192ELi32ELi128ELNS_18Fp8KVCacheDataTypeE0ELb1ELi512EEEvPfS3_PT_PKS4_PKT0_SA_ifPKiSC_iPKfiiiSE_SE_iiiii
    .private_segment_fixed_size: 76
    .sgpr_count:     64
    .sgpr_spill_count: 0
    .symbol:         _ZN4vllm25paged_attention_v2_kernelI14__hip_bfloat16S1_Li192ELi32ELi128ELNS_18Fp8KVCacheDataTypeE0ELb1ELi512EEEvPfS3_PT_PKS4_PKT0_SA_ifPKiSC_iPKfiiiSE_SE_iiiii.kd
    .uniform_work_group_size: 1
    .uses_dynamic_stack: false
    .vgpr_count:     128
    .vgpr_spill_count: 20
    .wavefront_size: 64
  - .agpr_count:     64
    .args:
      - .actual_access:  write_only
        .address_space:  global
        .offset:         0
        .size:           8
        .value_kind:     global_buffer
      - .actual_access:  write_only
        .address_space:  global
        .offset:         8
        .size:           8
        .value_kind:     global_buffer
      - .actual_access:  write_only
        .address_space:  global
        .offset:         16
        .size:           8
        .value_kind:     global_buffer
      - .actual_access:  read_only
        .address_space:  global
        .offset:         24
        .size:           8
        .value_kind:     global_buffer
      - .actual_access:  read_only
        .address_space:  global
        .offset:         32
        .size:           8
        .value_kind:     global_buffer
      - .actual_access:  read_only
        .address_space:  global
        .offset:         40
        .size:           8
        .value_kind:     global_buffer
      - .offset:         48
        .size:           4
        .value_kind:     by_value
      - .offset:         52
        .size:           4
        .value_kind:     by_value
      - .actual_access:  read_only
        .address_space:  global
        .offset:         56
        .size:           8
        .value_kind:     global_buffer
      - .actual_access:  read_only
        .address_space:  global
        .offset:         64
        .size:           8
        .value_kind:     global_buffer
      - .offset:         72
        .size:           4
        .value_kind:     by_value
      - .address_space:  global
        .offset:         80
        .size:           8
        .value_kind:     global_buffer
      - .offset:         88
        .size:           4
        .value_kind:     by_value
      - .offset:         92
        .size:           4
        .value_kind:     by_value
      - .offset:         96
        .size:           4
        .value_kind:     by_value
      - .address_space:  global
        .offset:         104
        .size:           8
        .value_kind:     global_buffer
      - .address_space:  global
        .offset:         112
        .size:           8
        .value_kind:     global_buffer
      - .offset:         120
        .size:           4
        .value_kind:     by_value
      - .offset:         124
        .size:           4
        .value_kind:     by_value
      - .offset:         128
        .size:           4
        .value_kind:     by_value
      - .offset:         132
        .size:           4
        .value_kind:     by_value
      - .offset:         136
        .size:           4
        .value_kind:     by_value
      - .offset:         144
        .size:           4
        .value_kind:     hidden_block_count_x
      - .offset:         148
        .size:           4
        .value_kind:     hidden_block_count_y
      - .offset:         152
        .size:           4
        .value_kind:     hidden_block_count_z
      - .offset:         156
        .size:           2
        .value_kind:     hidden_group_size_x
      - .offset:         158
        .size:           2
        .value_kind:     hidden_group_size_y
      - .offset:         160
        .size:           2
        .value_kind:     hidden_group_size_z
      - .offset:         162
        .size:           2
        .value_kind:     hidden_remainder_x
      - .offset:         164
        .size:           2
        .value_kind:     hidden_remainder_y
      - .offset:         166
        .size:           2
        .value_kind:     hidden_remainder_z
      - .offset:         184
        .size:           8
        .value_kind:     hidden_global_offset_x
      - .offset:         192
        .size:           8
        .value_kind:     hidden_global_offset_y
      - .offset:         200
        .size:           8
        .value_kind:     hidden_global_offset_z
      - .offset:         208
        .size:           2
        .value_kind:     hidden_grid_dims
      - .offset:         264
        .size:           4
        .value_kind:     hidden_dynamic_lds_size
    .group_segment_fixed_size: 528
    .kernarg_segment_align: 8
    .kernarg_segment_size: 400
    .language:       OpenCL C
    .language_version:
      - 2
      - 0
    .max_flat_workgroup_size: 1024
    .name:           _ZN4vllm25paged_attention_v2_kernelI14__hip_bfloat16S1_Li256ELi32ELi128ELNS_18Fp8KVCacheDataTypeE0ELb1ELi512EEEvPfS3_PT_PKS4_PKT0_SA_ifPKiSC_iPKfiiiSE_SE_iiiii
    .private_segment_fixed_size: 496
    .sgpr_count:     50
    .sgpr_spill_count: 0
    .symbol:         _ZN4vllm25paged_attention_v2_kernelI14__hip_bfloat16S1_Li256ELi32ELi128ELNS_18Fp8KVCacheDataTypeE0ELb1ELi512EEEvPfS3_PT_PKS4_PKT0_SA_ifPKiSC_iPKfiiiSE_SE_iiiii.kd
    .uniform_work_group_size: 1
    .uses_dynamic_stack: false
    .vgpr_count:     128
    .vgpr_spill_count: 0
    .wavefront_size: 64
  - .agpr_count:     0
    .args:
      - .actual_access:  write_only
        .address_space:  global
        .offset:         0
        .size:           8
        .value_kind:     global_buffer
      - .actual_access:  write_only
        .address_space:  global
        .offset:         8
        .size:           8
        .value_kind:     global_buffer
      - .actual_access:  write_only
        .address_space:  global
        .offset:         16
        .size:           8
        .value_kind:     global_buffer
      - .actual_access:  read_only
        .address_space:  global
        .offset:         24
        .size:           8
        .value_kind:     global_buffer
      - .actual_access:  read_only
        .address_space:  global
        .offset:         32
        .size:           8
        .value_kind:     global_buffer
      - .actual_access:  read_only
        .address_space:  global
        .offset:         40
        .size:           8
        .value_kind:     global_buffer
      - .offset:         48
        .size:           4
        .value_kind:     by_value
      - .offset:         52
        .size:           4
        .value_kind:     by_value
      - .actual_access:  read_only
        .address_space:  global
        .offset:         56
        .size:           8
        .value_kind:     global_buffer
      - .actual_access:  read_only
        .address_space:  global
        .offset:         64
        .size:           8
        .value_kind:     global_buffer
      - .offset:         72
        .size:           4
        .value_kind:     by_value
      - .actual_access:  read_only
        .address_space:  global
        .offset:         80
        .size:           8
        .value_kind:     global_buffer
      - .offset:         88
        .size:           4
        .value_kind:     by_value
      - .offset:         92
        .size:           4
        .value_kind:     by_value
      - .offset:         96
        .size:           4
        .value_kind:     by_value
      - .address_space:  global
        .offset:         104
        .size:           8
        .value_kind:     global_buffer
      - .address_space:  global
        .offset:         112
        .size:           8
        .value_kind:     global_buffer
      - .offset:         120
        .size:           4
        .value_kind:     by_value
      - .offset:         124
        .size:           4
        .value_kind:     by_value
      - .offset:         128
        .size:           4
        .value_kind:     by_value
      - .offset:         132
        .size:           4
        .value_kind:     by_value
      - .offset:         136
        .size:           4
        .value_kind:     by_value
      - .offset:         144
        .size:           4
        .value_kind:     hidden_block_count_x
      - .offset:         148
        .size:           4
        .value_kind:     hidden_block_count_y
      - .offset:         152
        .size:           4
        .value_kind:     hidden_block_count_z
      - .offset:         156
        .size:           2
        .value_kind:     hidden_group_size_x
      - .offset:         158
        .size:           2
        .value_kind:     hidden_group_size_y
      - .offset:         160
        .size:           2
        .value_kind:     hidden_group_size_z
      - .offset:         162
        .size:           2
        .value_kind:     hidden_remainder_x
      - .offset:         164
        .size:           2
        .value_kind:     hidden_remainder_y
      - .offset:         166
        .size:           2
        .value_kind:     hidden_remainder_z
      - .offset:         184
        .size:           8
        .value_kind:     hidden_global_offset_x
      - .offset:         192
        .size:           8
        .value_kind:     hidden_global_offset_y
      - .offset:         200
        .size:           8
        .value_kind:     hidden_global_offset_z
      - .offset:         208
        .size:           2
        .value_kind:     hidden_grid_dims
      - .offset:         264
        .size:           4
        .value_kind:     hidden_dynamic_lds_size
    .group_segment_fixed_size: 80
    .kernarg_segment_align: 8
    .kernarg_segment_size: 400
    .language:       OpenCL C
    .language_version:
      - 2
      - 0
    .max_flat_workgroup_size: 1024
    .name:           _ZN4vllm25paged_attention_v2_kernelI14__hip_bfloat16S1_Li32ELi32ELi128ELNS_18Fp8KVCacheDataTypeE0ELb0ELi512EEEvPfS3_PT_PKS4_PKT0_SA_ifPKiSC_iPKfiiiSE_SE_iiiii
    .private_segment_fixed_size: 0
    .sgpr_count:     46
    .sgpr_spill_count: 0
    .symbol:         _ZN4vllm25paged_attention_v2_kernelI14__hip_bfloat16S1_Li32ELi32ELi128ELNS_18Fp8KVCacheDataTypeE0ELb0ELi512EEEvPfS3_PT_PKS4_PKT0_SA_ifPKiSC_iPKfiiiSE_SE_iiiii.kd
    .uniform_work_group_size: 1
    .uses_dynamic_stack: false
    .vgpr_count:     48
    .vgpr_spill_count: 0
    .wavefront_size: 64
  - .agpr_count:     0
    .args:
      - .actual_access:  write_only
        .address_space:  global
        .offset:         0
        .size:           8
        .value_kind:     global_buffer
      - .actual_access:  write_only
        .address_space:  global
        .offset:         8
        .size:           8
        .value_kind:     global_buffer
      - .actual_access:  write_only
        .address_space:  global
        .offset:         16
        .size:           8
        .value_kind:     global_buffer
      - .actual_access:  read_only
        .address_space:  global
        .offset:         24
        .size:           8
        .value_kind:     global_buffer
      - .actual_access:  read_only
        .address_space:  global
        .offset:         32
        .size:           8
        .value_kind:     global_buffer
      - .actual_access:  read_only
        .address_space:  global
        .offset:         40
        .size:           8
        .value_kind:     global_buffer
      - .offset:         48
        .size:           4
        .value_kind:     by_value
      - .offset:         52
        .size:           4
        .value_kind:     by_value
      - .actual_access:  read_only
        .address_space:  global
        .offset:         56
        .size:           8
        .value_kind:     global_buffer
      - .actual_access:  read_only
        .address_space:  global
        .offset:         64
        .size:           8
        .value_kind:     global_buffer
      - .offset:         72
        .size:           4
        .value_kind:     by_value
      - .actual_access:  read_only
        .address_space:  global
        .offset:         80
        .size:           8
        .value_kind:     global_buffer
      - .offset:         88
        .size:           4
        .value_kind:     by_value
      - .offset:         92
        .size:           4
        .value_kind:     by_value
      - .offset:         96
        .size:           4
        .value_kind:     by_value
      - .address_space:  global
        .offset:         104
        .size:           8
        .value_kind:     global_buffer
      - .address_space:  global
        .offset:         112
        .size:           8
        .value_kind:     global_buffer
      - .offset:         120
        .size:           4
        .value_kind:     by_value
      - .offset:         124
        .size:           4
        .value_kind:     by_value
      - .offset:         128
        .size:           4
        .value_kind:     by_value
      - .offset:         132
        .size:           4
        .value_kind:     by_value
      - .offset:         136
        .size:           4
        .value_kind:     by_value
      - .offset:         144
        .size:           4
        .value_kind:     hidden_block_count_x
      - .offset:         148
        .size:           4
        .value_kind:     hidden_block_count_y
      - .offset:         152
        .size:           4
        .value_kind:     hidden_block_count_z
      - .offset:         156
        .size:           2
        .value_kind:     hidden_group_size_x
      - .offset:         158
        .size:           2
        .value_kind:     hidden_group_size_y
      - .offset:         160
        .size:           2
        .value_kind:     hidden_group_size_z
      - .offset:         162
        .size:           2
        .value_kind:     hidden_remainder_x
      - .offset:         164
        .size:           2
        .value_kind:     hidden_remainder_y
      - .offset:         166
        .size:           2
        .value_kind:     hidden_remainder_z
      - .offset:         184
        .size:           8
        .value_kind:     hidden_global_offset_x
      - .offset:         192
        .size:           8
        .value_kind:     hidden_global_offset_y
      - .offset:         200
        .size:           8
        .value_kind:     hidden_global_offset_z
      - .offset:         208
        .size:           2
        .value_kind:     hidden_grid_dims
      - .offset:         264
        .size:           4
        .value_kind:     hidden_dynamic_lds_size
    .group_segment_fixed_size: 144
    .kernarg_segment_align: 8
    .kernarg_segment_size: 400
    .language:       OpenCL C
    .language_version:
      - 2
      - 0
    .max_flat_workgroup_size: 1024
    .name:           _ZN4vllm25paged_attention_v2_kernelI14__hip_bfloat16S1_Li64ELi32ELi128ELNS_18Fp8KVCacheDataTypeE0ELb0ELi512EEEvPfS3_PT_PKS4_PKT0_SA_ifPKiSC_iPKfiiiSE_SE_iiiii
    .private_segment_fixed_size: 0
    .sgpr_count:     46
    .sgpr_spill_count: 0
    .symbol:         _ZN4vllm25paged_attention_v2_kernelI14__hip_bfloat16S1_Li64ELi32ELi128ELNS_18Fp8KVCacheDataTypeE0ELb0ELi512EEEvPfS3_PT_PKS4_PKT0_SA_ifPKiSC_iPKfiiiSE_SE_iiiii.kd
    .uniform_work_group_size: 1
    .uses_dynamic_stack: false
    .vgpr_count:     80
    .vgpr_spill_count: 0
    .wavefront_size: 64
  - .agpr_count:     0
    .args:
      - .actual_access:  write_only
        .address_space:  global
        .offset:         0
        .size:           8
        .value_kind:     global_buffer
      - .actual_access:  write_only
        .address_space:  global
        .offset:         8
        .size:           8
        .value_kind:     global_buffer
      - .actual_access:  write_only
        .address_space:  global
        .offset:         16
        .size:           8
        .value_kind:     global_buffer
      - .actual_access:  read_only
        .address_space:  global
        .offset:         24
        .size:           8
        .value_kind:     global_buffer
      - .actual_access:  read_only
        .address_space:  global
        .offset:         32
        .size:           8
        .value_kind:     global_buffer
      - .actual_access:  read_only
        .address_space:  global
        .offset:         40
        .size:           8
        .value_kind:     global_buffer
      - .offset:         48
        .size:           4
        .value_kind:     by_value
      - .offset:         52
        .size:           4
        .value_kind:     by_value
      - .actual_access:  read_only
        .address_space:  global
        .offset:         56
        .size:           8
        .value_kind:     global_buffer
      - .actual_access:  read_only
        .address_space:  global
        .offset:         64
        .size:           8
        .value_kind:     global_buffer
      - .offset:         72
        .size:           4
        .value_kind:     by_value
      - .actual_access:  read_only
        .address_space:  global
        .offset:         80
        .size:           8
        .value_kind:     global_buffer
      - .offset:         88
        .size:           4
        .value_kind:     by_value
      - .offset:         92
        .size:           4
        .value_kind:     by_value
      - .offset:         96
        .size:           4
        .value_kind:     by_value
      - .address_space:  global
        .offset:         104
        .size:           8
        .value_kind:     global_buffer
      - .address_space:  global
        .offset:         112
        .size:           8
        .value_kind:     global_buffer
      - .offset:         120
        .size:           4
        .value_kind:     by_value
      - .offset:         124
        .size:           4
        .value_kind:     by_value
      - .offset:         128
        .size:           4
        .value_kind:     by_value
      - .offset:         132
        .size:           4
        .value_kind:     by_value
      - .offset:         136
        .size:           4
        .value_kind:     by_value
      - .offset:         144
        .size:           4
        .value_kind:     hidden_block_count_x
      - .offset:         148
        .size:           4
        .value_kind:     hidden_block_count_y
      - .offset:         152
        .size:           4
        .value_kind:     hidden_block_count_z
      - .offset:         156
        .size:           2
        .value_kind:     hidden_group_size_x
      - .offset:         158
        .size:           2
        .value_kind:     hidden_group_size_y
      - .offset:         160
        .size:           2
        .value_kind:     hidden_group_size_z
      - .offset:         162
        .size:           2
        .value_kind:     hidden_remainder_x
      - .offset:         164
        .size:           2
        .value_kind:     hidden_remainder_y
      - .offset:         166
        .size:           2
        .value_kind:     hidden_remainder_z
      - .offset:         184
        .size:           8
        .value_kind:     hidden_global_offset_x
      - .offset:         192
        .size:           8
        .value_kind:     hidden_global_offset_y
      - .offset:         200
        .size:           8
        .value_kind:     hidden_global_offset_z
      - .offset:         208
        .size:           2
        .value_kind:     hidden_grid_dims
      - .offset:         264
        .size:           4
        .value_kind:     hidden_dynamic_lds_size
    .group_segment_fixed_size: 176
    .kernarg_segment_align: 8
    .kernarg_segment_size: 400
    .language:       OpenCL C
    .language_version:
      - 2
      - 0
    .max_flat_workgroup_size: 1024
    .name:           _ZN4vllm25paged_attention_v2_kernelI14__hip_bfloat16S1_Li80ELi32ELi128ELNS_18Fp8KVCacheDataTypeE0ELb0ELi512EEEvPfS3_PT_PKS4_PKT0_SA_ifPKiSC_iPKfiiiSE_SE_iiiii
    .private_segment_fixed_size: 0
    .sgpr_count:     47
    .sgpr_spill_count: 0
    .symbol:         _ZN4vllm25paged_attention_v2_kernelI14__hip_bfloat16S1_Li80ELi32ELi128ELNS_18Fp8KVCacheDataTypeE0ELb0ELi512EEEvPfS3_PT_PKS4_PKT0_SA_ifPKiSC_iPKfiiiSE_SE_iiiii.kd
    .uniform_work_group_size: 1
    .uses_dynamic_stack: false
    .vgpr_count:     96
    .vgpr_spill_count: 0
    .wavefront_size: 64
  - .agpr_count:     0
    .args:
      - .actual_access:  write_only
        .address_space:  global
        .offset:         0
        .size:           8
        .value_kind:     global_buffer
      - .actual_access:  write_only
        .address_space:  global
        .offset:         8
        .size:           8
        .value_kind:     global_buffer
      - .actual_access:  write_only
        .address_space:  global
        .offset:         16
        .size:           8
        .value_kind:     global_buffer
      - .actual_access:  read_only
        .address_space:  global
        .offset:         24
        .size:           8
        .value_kind:     global_buffer
      - .actual_access:  read_only
        .address_space:  global
        .offset:         32
        .size:           8
        .value_kind:     global_buffer
      - .actual_access:  read_only
        .address_space:  global
        .offset:         40
        .size:           8
        .value_kind:     global_buffer
      - .offset:         48
        .size:           4
        .value_kind:     by_value
      - .offset:         52
        .size:           4
        .value_kind:     by_value
      - .actual_access:  read_only
        .address_space:  global
        .offset:         56
        .size:           8
        .value_kind:     global_buffer
      - .actual_access:  read_only
        .address_space:  global
        .offset:         64
        .size:           8
        .value_kind:     global_buffer
      - .offset:         72
        .size:           4
        .value_kind:     by_value
      - .actual_access:  read_only
        .address_space:  global
        .offset:         80
        .size:           8
        .value_kind:     global_buffer
      - .offset:         88
        .size:           4
        .value_kind:     by_value
      - .offset:         92
        .size:           4
        .value_kind:     by_value
      - .offset:         96
        .size:           4
        .value_kind:     by_value
      - .address_space:  global
        .offset:         104
        .size:           8
        .value_kind:     global_buffer
      - .address_space:  global
        .offset:         112
        .size:           8
        .value_kind:     global_buffer
      - .offset:         120
        .size:           4
        .value_kind:     by_value
      - .offset:         124
        .size:           4
        .value_kind:     by_value
      - .offset:         128
        .size:           4
        .value_kind:     by_value
      - .offset:         132
        .size:           4
        .value_kind:     by_value
      - .offset:         136
        .size:           4
        .value_kind:     by_value
      - .offset:         144
        .size:           4
        .value_kind:     hidden_block_count_x
      - .offset:         148
        .size:           4
        .value_kind:     hidden_block_count_y
      - .offset:         152
        .size:           4
        .value_kind:     hidden_block_count_z
      - .offset:         156
        .size:           2
        .value_kind:     hidden_group_size_x
      - .offset:         158
        .size:           2
        .value_kind:     hidden_group_size_y
      - .offset:         160
        .size:           2
        .value_kind:     hidden_group_size_z
      - .offset:         162
        .size:           2
        .value_kind:     hidden_remainder_x
      - .offset:         164
        .size:           2
        .value_kind:     hidden_remainder_y
      - .offset:         166
        .size:           2
        .value_kind:     hidden_remainder_z
      - .offset:         184
        .size:           8
        .value_kind:     hidden_global_offset_x
      - .offset:         192
        .size:           8
        .value_kind:     hidden_global_offset_y
      - .offset:         200
        .size:           8
        .value_kind:     hidden_global_offset_z
      - .offset:         208
        .size:           2
        .value_kind:     hidden_grid_dims
      - .offset:         264
        .size:           4
        .value_kind:     hidden_dynamic_lds_size
    .group_segment_fixed_size: 208
    .kernarg_segment_align: 8
    .kernarg_segment_size: 400
    .language:       OpenCL C
    .language_version:
      - 2
      - 0
    .max_flat_workgroup_size: 1024
    .name:           _ZN4vllm25paged_attention_v2_kernelI14__hip_bfloat16S1_Li96ELi32ELi128ELNS_18Fp8KVCacheDataTypeE0ELb0ELi512EEEvPfS3_PT_PKS4_PKT0_SA_ifPKiSC_iPKfiiiSE_SE_iiiii
    .private_segment_fixed_size: 0
    .sgpr_count:     47
    .sgpr_spill_count: 0
    .symbol:         _ZN4vllm25paged_attention_v2_kernelI14__hip_bfloat16S1_Li96ELi32ELi128ELNS_18Fp8KVCacheDataTypeE0ELb0ELi512EEEvPfS3_PT_PKS4_PKT0_SA_ifPKiSC_iPKfiiiSE_SE_iiiii.kd
    .uniform_work_group_size: 1
    .uses_dynamic_stack: false
    .vgpr_count:     112
    .vgpr_spill_count: 0
    .wavefront_size: 64
  - .agpr_count:     0
    .args:
      - .actual_access:  write_only
        .address_space:  global
        .offset:         0
        .size:           8
        .value_kind:     global_buffer
      - .actual_access:  write_only
        .address_space:  global
        .offset:         8
        .size:           8
        .value_kind:     global_buffer
      - .actual_access:  write_only
        .address_space:  global
        .offset:         16
        .size:           8
        .value_kind:     global_buffer
      - .actual_access:  read_only
        .address_space:  global
        .offset:         24
        .size:           8
        .value_kind:     global_buffer
      - .actual_access:  read_only
        .address_space:  global
        .offset:         32
        .size:           8
        .value_kind:     global_buffer
      - .actual_access:  read_only
        .address_space:  global
        .offset:         40
        .size:           8
        .value_kind:     global_buffer
      - .offset:         48
        .size:           4
        .value_kind:     by_value
      - .offset:         52
        .size:           4
        .value_kind:     by_value
      - .actual_access:  read_only
        .address_space:  global
        .offset:         56
        .size:           8
        .value_kind:     global_buffer
      - .actual_access:  read_only
        .address_space:  global
        .offset:         64
        .size:           8
        .value_kind:     global_buffer
      - .offset:         72
        .size:           4
        .value_kind:     by_value
      - .actual_access:  read_only
        .address_space:  global
        .offset:         80
        .size:           8
        .value_kind:     global_buffer
      - .offset:         88
        .size:           4
        .value_kind:     by_value
      - .offset:         92
        .size:           4
        .value_kind:     by_value
      - .offset:         96
        .size:           4
        .value_kind:     by_value
      - .address_space:  global
        .offset:         104
        .size:           8
        .value_kind:     global_buffer
      - .address_space:  global
        .offset:         112
        .size:           8
        .value_kind:     global_buffer
      - .offset:         120
        .size:           4
        .value_kind:     by_value
      - .offset:         124
        .size:           4
        .value_kind:     by_value
      - .offset:         128
        .size:           4
        .value_kind:     by_value
      - .offset:         132
        .size:           4
        .value_kind:     by_value
      - .offset:         136
        .size:           4
        .value_kind:     by_value
      - .offset:         144
        .size:           4
        .value_kind:     hidden_block_count_x
      - .offset:         148
        .size:           4
        .value_kind:     hidden_block_count_y
      - .offset:         152
        .size:           4
        .value_kind:     hidden_block_count_z
      - .offset:         156
        .size:           2
        .value_kind:     hidden_group_size_x
      - .offset:         158
        .size:           2
        .value_kind:     hidden_group_size_y
      - .offset:         160
        .size:           2
        .value_kind:     hidden_group_size_z
      - .offset:         162
        .size:           2
        .value_kind:     hidden_remainder_x
      - .offset:         164
        .size:           2
        .value_kind:     hidden_remainder_y
      - .offset:         166
        .size:           2
        .value_kind:     hidden_remainder_z
      - .offset:         184
        .size:           8
        .value_kind:     hidden_global_offset_x
      - .offset:         192
        .size:           8
        .value_kind:     hidden_global_offset_y
      - .offset:         200
        .size:           8
        .value_kind:     hidden_global_offset_z
      - .offset:         208
        .size:           2
        .value_kind:     hidden_grid_dims
      - .offset:         264
        .size:           4
        .value_kind:     hidden_dynamic_lds_size
    .group_segment_fixed_size: 240
    .kernarg_segment_align: 8
    .kernarg_segment_size: 400
    .language:       OpenCL C
    .language_version:
      - 2
      - 0
    .max_flat_workgroup_size: 1024
    .name:           _ZN4vllm25paged_attention_v2_kernelI14__hip_bfloat16S1_Li112ELi32ELi128ELNS_18Fp8KVCacheDataTypeE0ELb0ELi512EEEvPfS3_PT_PKS4_PKT0_SA_ifPKiSC_iPKfiiiSE_SE_iiiii
    .private_segment_fixed_size: 0
    .sgpr_count:     47
    .sgpr_spill_count: 0
    .symbol:         _ZN4vllm25paged_attention_v2_kernelI14__hip_bfloat16S1_Li112ELi32ELi128ELNS_18Fp8KVCacheDataTypeE0ELb0ELi512EEEvPfS3_PT_PKS4_PKT0_SA_ifPKiSC_iPKfiiiSE_SE_iiiii.kd
    .uniform_work_group_size: 1
    .uses_dynamic_stack: false
    .vgpr_count:     104
    .vgpr_spill_count: 0
    .wavefront_size: 64
  - .agpr_count:     0
    .args:
      - .actual_access:  write_only
        .address_space:  global
        .offset:         0
        .size:           8
        .value_kind:     global_buffer
      - .actual_access:  write_only
        .address_space:  global
        .offset:         8
        .size:           8
        .value_kind:     global_buffer
      - .actual_access:  write_only
        .address_space:  global
        .offset:         16
        .size:           8
        .value_kind:     global_buffer
      - .actual_access:  read_only
        .address_space:  global
        .offset:         24
        .size:           8
        .value_kind:     global_buffer
      - .actual_access:  read_only
        .address_space:  global
        .offset:         32
        .size:           8
        .value_kind:     global_buffer
      - .actual_access:  read_only
        .address_space:  global
        .offset:         40
        .size:           8
        .value_kind:     global_buffer
      - .offset:         48
        .size:           4
        .value_kind:     by_value
      - .offset:         52
        .size:           4
        .value_kind:     by_value
      - .actual_access:  read_only
        .address_space:  global
        .offset:         56
        .size:           8
        .value_kind:     global_buffer
      - .actual_access:  read_only
        .address_space:  global
        .offset:         64
        .size:           8
        .value_kind:     global_buffer
      - .offset:         72
        .size:           4
        .value_kind:     by_value
      - .actual_access:  read_only
        .address_space:  global
        .offset:         80
        .size:           8
        .value_kind:     global_buffer
      - .offset:         88
        .size:           4
        .value_kind:     by_value
      - .offset:         92
        .size:           4
        .value_kind:     by_value
      - .offset:         96
        .size:           4
        .value_kind:     by_value
      - .address_space:  global
        .offset:         104
        .size:           8
        .value_kind:     global_buffer
      - .address_space:  global
        .offset:         112
        .size:           8
        .value_kind:     global_buffer
      - .offset:         120
        .size:           4
        .value_kind:     by_value
      - .offset:         124
        .size:           4
        .value_kind:     by_value
      - .offset:         128
        .size:           4
        .value_kind:     by_value
      - .offset:         132
        .size:           4
        .value_kind:     by_value
      - .offset:         136
        .size:           4
        .value_kind:     by_value
      - .offset:         144
        .size:           4
        .value_kind:     hidden_block_count_x
      - .offset:         148
        .size:           4
        .value_kind:     hidden_block_count_y
      - .offset:         152
        .size:           4
        .value_kind:     hidden_block_count_z
      - .offset:         156
        .size:           2
        .value_kind:     hidden_group_size_x
      - .offset:         158
        .size:           2
        .value_kind:     hidden_group_size_y
      - .offset:         160
        .size:           2
        .value_kind:     hidden_group_size_z
      - .offset:         162
        .size:           2
        .value_kind:     hidden_remainder_x
      - .offset:         164
        .size:           2
        .value_kind:     hidden_remainder_y
      - .offset:         166
        .size:           2
        .value_kind:     hidden_remainder_z
      - .offset:         184
        .size:           8
        .value_kind:     hidden_global_offset_x
      - .offset:         192
        .size:           8
        .value_kind:     hidden_global_offset_y
      - .offset:         200
        .size:           8
        .value_kind:     hidden_global_offset_z
      - .offset:         208
        .size:           2
        .value_kind:     hidden_grid_dims
      - .offset:         264
        .size:           4
        .value_kind:     hidden_dynamic_lds_size
    .group_segment_fixed_size: 256
    .kernarg_segment_align: 8
    .kernarg_segment_size: 400
    .language:       OpenCL C
    .language_version:
      - 2
      - 0
    .max_flat_workgroup_size: 1024
    .name:           _ZN4vllm25paged_attention_v2_kernelI14__hip_bfloat16S1_Li120ELi32ELi128ELNS_18Fp8KVCacheDataTypeE0ELb0ELi512EEEvPfS3_PT_PKS4_PKT0_SA_ifPKiSC_iPKfiiiSE_SE_iiiii
    .private_segment_fixed_size: 0
    .sgpr_count:     47
    .sgpr_spill_count: 0
    .symbol:         _ZN4vllm25paged_attention_v2_kernelI14__hip_bfloat16S1_Li120ELi32ELi128ELNS_18Fp8KVCacheDataTypeE0ELb0ELi512EEEvPfS3_PT_PKS4_PKT0_SA_ifPKiSC_iPKfiiiSE_SE_iiiii.kd
    .uniform_work_group_size: 1
    .uses_dynamic_stack: false
    .vgpr_count:     110
    .vgpr_spill_count: 0
    .wavefront_size: 64
  - .agpr_count:     0
    .args:
      - .actual_access:  write_only
        .address_space:  global
        .offset:         0
        .size:           8
        .value_kind:     global_buffer
      - .actual_access:  write_only
        .address_space:  global
        .offset:         8
        .size:           8
        .value_kind:     global_buffer
      - .actual_access:  write_only
        .address_space:  global
        .offset:         16
        .size:           8
        .value_kind:     global_buffer
      - .actual_access:  read_only
        .address_space:  global
        .offset:         24
        .size:           8
        .value_kind:     global_buffer
      - .actual_access:  read_only
        .address_space:  global
        .offset:         32
        .size:           8
        .value_kind:     global_buffer
      - .actual_access:  read_only
        .address_space:  global
        .offset:         40
        .size:           8
        .value_kind:     global_buffer
      - .offset:         48
        .size:           4
        .value_kind:     by_value
      - .offset:         52
        .size:           4
        .value_kind:     by_value
      - .actual_access:  read_only
        .address_space:  global
        .offset:         56
        .size:           8
        .value_kind:     global_buffer
      - .actual_access:  read_only
        .address_space:  global
        .offset:         64
        .size:           8
        .value_kind:     global_buffer
      - .offset:         72
        .size:           4
        .value_kind:     by_value
      - .actual_access:  read_only
        .address_space:  global
        .offset:         80
        .size:           8
        .value_kind:     global_buffer
      - .offset:         88
        .size:           4
        .value_kind:     by_value
      - .offset:         92
        .size:           4
        .value_kind:     by_value
      - .offset:         96
        .size:           4
        .value_kind:     by_value
      - .address_space:  global
        .offset:         104
        .size:           8
        .value_kind:     global_buffer
      - .address_space:  global
        .offset:         112
        .size:           8
        .value_kind:     global_buffer
      - .offset:         120
        .size:           4
        .value_kind:     by_value
      - .offset:         124
        .size:           4
        .value_kind:     by_value
      - .offset:         128
        .size:           4
        .value_kind:     by_value
      - .offset:         132
        .size:           4
        .value_kind:     by_value
      - .offset:         136
        .size:           4
        .value_kind:     by_value
      - .offset:         144
        .size:           4
        .value_kind:     hidden_block_count_x
      - .offset:         148
        .size:           4
        .value_kind:     hidden_block_count_y
      - .offset:         152
        .size:           4
        .value_kind:     hidden_block_count_z
      - .offset:         156
        .size:           2
        .value_kind:     hidden_group_size_x
      - .offset:         158
        .size:           2
        .value_kind:     hidden_group_size_y
      - .offset:         160
        .size:           2
        .value_kind:     hidden_group_size_z
      - .offset:         162
        .size:           2
        .value_kind:     hidden_remainder_x
      - .offset:         164
        .size:           2
        .value_kind:     hidden_remainder_y
      - .offset:         166
        .size:           2
        .value_kind:     hidden_remainder_z
      - .offset:         184
        .size:           8
        .value_kind:     hidden_global_offset_x
      - .offset:         192
        .size:           8
        .value_kind:     hidden_global_offset_y
      - .offset:         200
        .size:           8
        .value_kind:     hidden_global_offset_z
      - .offset:         208
        .size:           2
        .value_kind:     hidden_grid_dims
      - .offset:         264
        .size:           4
        .value_kind:     hidden_dynamic_lds_size
    .group_segment_fixed_size: 272
    .kernarg_segment_align: 8
    .kernarg_segment_size: 400
    .language:       OpenCL C
    .language_version:
      - 2
      - 0
    .max_flat_workgroup_size: 1024
    .name:           _ZN4vllm25paged_attention_v2_kernelI14__hip_bfloat16S1_Li128ELi32ELi128ELNS_18Fp8KVCacheDataTypeE0ELb0ELi512EEEvPfS3_PT_PKS4_PKT0_SA_ifPKiSC_iPKfiiiSE_SE_iiiii
    .private_segment_fixed_size: 0
    .sgpr_count:     47
    .sgpr_spill_count: 0
    .symbol:         _ZN4vllm25paged_attention_v2_kernelI14__hip_bfloat16S1_Li128ELi32ELi128ELNS_18Fp8KVCacheDataTypeE0ELb0ELi512EEEvPfS3_PT_PKS4_PKT0_SA_ifPKiSC_iPKfiiiSE_SE_iiiii.kd
    .uniform_work_group_size: 1
    .uses_dynamic_stack: false
    .vgpr_count:     116
    .vgpr_spill_count: 0
    .wavefront_size: 64
  - .agpr_count:     0
    .args:
      - .actual_access:  write_only
        .address_space:  global
        .offset:         0
        .size:           8
        .value_kind:     global_buffer
      - .actual_access:  write_only
        .address_space:  global
        .offset:         8
        .size:           8
        .value_kind:     global_buffer
      - .actual_access:  write_only
        .address_space:  global
        .offset:         16
        .size:           8
        .value_kind:     global_buffer
      - .actual_access:  read_only
        .address_space:  global
        .offset:         24
        .size:           8
        .value_kind:     global_buffer
      - .actual_access:  read_only
        .address_space:  global
        .offset:         32
        .size:           8
        .value_kind:     global_buffer
      - .actual_access:  read_only
        .address_space:  global
        .offset:         40
        .size:           8
        .value_kind:     global_buffer
      - .offset:         48
        .size:           4
        .value_kind:     by_value
      - .offset:         52
        .size:           4
        .value_kind:     by_value
      - .actual_access:  read_only
        .address_space:  global
        .offset:         56
        .size:           8
        .value_kind:     global_buffer
      - .actual_access:  read_only
        .address_space:  global
        .offset:         64
        .size:           8
        .value_kind:     global_buffer
      - .offset:         72
        .size:           4
        .value_kind:     by_value
      - .actual_access:  read_only
        .address_space:  global
        .offset:         80
        .size:           8
        .value_kind:     global_buffer
      - .offset:         88
        .size:           4
        .value_kind:     by_value
      - .offset:         92
        .size:           4
        .value_kind:     by_value
      - .offset:         96
        .size:           4
        .value_kind:     by_value
      - .address_space:  global
        .offset:         104
        .size:           8
        .value_kind:     global_buffer
      - .address_space:  global
        .offset:         112
        .size:           8
        .value_kind:     global_buffer
      - .offset:         120
        .size:           4
        .value_kind:     by_value
      - .offset:         124
        .size:           4
        .value_kind:     by_value
      - .offset:         128
        .size:           4
        .value_kind:     by_value
      - .offset:         132
        .size:           4
        .value_kind:     by_value
      - .offset:         136
        .size:           4
        .value_kind:     by_value
      - .offset:         144
        .size:           4
        .value_kind:     hidden_block_count_x
      - .offset:         148
        .size:           4
        .value_kind:     hidden_block_count_y
      - .offset:         152
        .size:           4
        .value_kind:     hidden_block_count_z
      - .offset:         156
        .size:           2
        .value_kind:     hidden_group_size_x
      - .offset:         158
        .size:           2
        .value_kind:     hidden_group_size_y
      - .offset:         160
        .size:           2
        .value_kind:     hidden_group_size_z
      - .offset:         162
        .size:           2
        .value_kind:     hidden_remainder_x
      - .offset:         164
        .size:           2
        .value_kind:     hidden_remainder_y
      - .offset:         166
        .size:           2
        .value_kind:     hidden_remainder_z
      - .offset:         184
        .size:           8
        .value_kind:     hidden_global_offset_x
      - .offset:         192
        .size:           8
        .value_kind:     hidden_global_offset_y
      - .offset:         200
        .size:           8
        .value_kind:     hidden_global_offset_z
      - .offset:         208
        .size:           2
        .value_kind:     hidden_grid_dims
      - .offset:         264
        .size:           4
        .value_kind:     hidden_dynamic_lds_size
    .group_segment_fixed_size: 400
    .kernarg_segment_align: 8
    .kernarg_segment_size: 400
    .language:       OpenCL C
    .language_version:
      - 2
      - 0
    .max_flat_workgroup_size: 1024
    .name:           _ZN4vllm25paged_attention_v2_kernelI14__hip_bfloat16S1_Li192ELi32ELi128ELNS_18Fp8KVCacheDataTypeE0ELb0ELi512EEEvPfS3_PT_PKS4_PKT0_SA_ifPKiSC_iPKfiiiSE_SE_iiiii
    .private_segment_fixed_size: 152
    .sgpr_count:     52
    .sgpr_spill_count: 0
    .symbol:         _ZN4vllm25paged_attention_v2_kernelI14__hip_bfloat16S1_Li192ELi32ELi128ELNS_18Fp8KVCacheDataTypeE0ELb0ELi512EEEvPfS3_PT_PKS4_PKT0_SA_ifPKiSC_iPKfiiiSE_SE_iiiii.kd
    .uniform_work_group_size: 1
    .uses_dynamic_stack: false
    .vgpr_count:     128
    .vgpr_spill_count: 52
    .wavefront_size: 64
  - .agpr_count:     64
    .args:
      - .actual_access:  write_only
        .address_space:  global
        .offset:         0
        .size:           8
        .value_kind:     global_buffer
      - .actual_access:  write_only
        .address_space:  global
        .offset:         8
        .size:           8
        .value_kind:     global_buffer
      - .actual_access:  write_only
        .address_space:  global
        .offset:         16
        .size:           8
        .value_kind:     global_buffer
      - .actual_access:  read_only
        .address_space:  global
        .offset:         24
        .size:           8
        .value_kind:     global_buffer
      - .actual_access:  read_only
        .address_space:  global
        .offset:         32
        .size:           8
        .value_kind:     global_buffer
      - .actual_access:  read_only
        .address_space:  global
        .offset:         40
        .size:           8
        .value_kind:     global_buffer
      - .offset:         48
        .size:           4
        .value_kind:     by_value
      - .offset:         52
        .size:           4
        .value_kind:     by_value
      - .actual_access:  read_only
        .address_space:  global
        .offset:         56
        .size:           8
        .value_kind:     global_buffer
      - .actual_access:  read_only
        .address_space:  global
        .offset:         64
        .size:           8
        .value_kind:     global_buffer
      - .offset:         72
        .size:           4
        .value_kind:     by_value
      - .address_space:  global
        .offset:         80
        .size:           8
        .value_kind:     global_buffer
      - .offset:         88
        .size:           4
        .value_kind:     by_value
      - .offset:         92
        .size:           4
        .value_kind:     by_value
      - .offset:         96
        .size:           4
        .value_kind:     by_value
      - .address_space:  global
        .offset:         104
        .size:           8
        .value_kind:     global_buffer
      - .address_space:  global
        .offset:         112
        .size:           8
        .value_kind:     global_buffer
      - .offset:         120
        .size:           4
        .value_kind:     by_value
      - .offset:         124
        .size:           4
        .value_kind:     by_value
      - .offset:         128
        .size:           4
        .value_kind:     by_value
      - .offset:         132
        .size:           4
        .value_kind:     by_value
      - .offset:         136
        .size:           4
        .value_kind:     by_value
      - .offset:         144
        .size:           4
        .value_kind:     hidden_block_count_x
      - .offset:         148
        .size:           4
        .value_kind:     hidden_block_count_y
      - .offset:         152
        .size:           4
        .value_kind:     hidden_block_count_z
      - .offset:         156
        .size:           2
        .value_kind:     hidden_group_size_x
      - .offset:         158
        .size:           2
        .value_kind:     hidden_group_size_y
      - .offset:         160
        .size:           2
        .value_kind:     hidden_group_size_z
      - .offset:         162
        .size:           2
        .value_kind:     hidden_remainder_x
      - .offset:         164
        .size:           2
        .value_kind:     hidden_remainder_y
      - .offset:         166
        .size:           2
        .value_kind:     hidden_remainder_z
      - .offset:         184
        .size:           8
        .value_kind:     hidden_global_offset_x
      - .offset:         192
        .size:           8
        .value_kind:     hidden_global_offset_y
      - .offset:         200
        .size:           8
        .value_kind:     hidden_global_offset_z
      - .offset:         208
        .size:           2
        .value_kind:     hidden_grid_dims
      - .offset:         264
        .size:           4
        .value_kind:     hidden_dynamic_lds_size
    .group_segment_fixed_size: 528
    .kernarg_segment_align: 8
    .kernarg_segment_size: 400
    .language:       OpenCL C
    .language_version:
      - 2
      - 0
    .max_flat_workgroup_size: 1024
    .name:           _ZN4vllm25paged_attention_v2_kernelI14__hip_bfloat16S1_Li256ELi32ELi128ELNS_18Fp8KVCacheDataTypeE0ELb0ELi512EEEvPfS3_PT_PKS4_PKT0_SA_ifPKiSC_iPKfiiiSE_SE_iiiii
    .private_segment_fixed_size: 620
    .sgpr_count:     46
    .sgpr_spill_count: 0
    .symbol:         _ZN4vllm25paged_attention_v2_kernelI14__hip_bfloat16S1_Li256ELi32ELi128ELNS_18Fp8KVCacheDataTypeE0ELb0ELi512EEEvPfS3_PT_PKS4_PKT0_SA_ifPKiSC_iPKfiiiSE_SE_iiiii.kd
    .uniform_work_group_size: 1
    .uses_dynamic_stack: false
    .vgpr_count:     128
    .vgpr_spill_count: 0
    .wavefront_size: 64
  - .agpr_count:     0
    .args:
      - .actual_access:  write_only
        .address_space:  global
        .offset:         0
        .size:           8
        .value_kind:     global_buffer
      - .actual_access:  write_only
        .address_space:  global
        .offset:         8
        .size:           8
        .value_kind:     global_buffer
      - .actual_access:  write_only
        .address_space:  global
        .offset:         16
        .size:           8
        .value_kind:     global_buffer
      - .actual_access:  read_only
        .address_space:  global
        .offset:         24
        .size:           8
        .value_kind:     global_buffer
      - .actual_access:  read_only
        .address_space:  global
        .offset:         32
        .size:           8
        .value_kind:     global_buffer
      - .actual_access:  read_only
        .address_space:  global
        .offset:         40
        .size:           8
        .value_kind:     global_buffer
      - .offset:         48
        .size:           4
        .value_kind:     by_value
      - .offset:         52
        .size:           4
        .value_kind:     by_value
      - .actual_access:  read_only
        .address_space:  global
        .offset:         56
        .size:           8
        .value_kind:     global_buffer
      - .actual_access:  read_only
        .address_space:  global
        .offset:         64
        .size:           8
        .value_kind:     global_buffer
      - .offset:         72
        .size:           4
        .value_kind:     by_value
      - .actual_access:  read_only
        .address_space:  global
        .offset:         80
        .size:           8
        .value_kind:     global_buffer
      - .offset:         88
        .size:           4
        .value_kind:     by_value
      - .offset:         92
        .size:           4
        .value_kind:     by_value
      - .offset:         96
        .size:           4
        .value_kind:     by_value
      - .address_space:  global
        .offset:         104
        .size:           8
        .value_kind:     global_buffer
      - .address_space:  global
        .offset:         112
        .size:           8
        .value_kind:     global_buffer
      - .offset:         120
        .size:           4
        .value_kind:     by_value
      - .offset:         124
        .size:           4
        .value_kind:     by_value
      - .offset:         128
        .size:           4
        .value_kind:     by_value
      - .offset:         132
        .size:           4
        .value_kind:     by_value
      - .offset:         136
        .size:           4
        .value_kind:     by_value
      - .offset:         144
        .size:           4
        .value_kind:     hidden_block_count_x
      - .offset:         148
        .size:           4
        .value_kind:     hidden_block_count_y
      - .offset:         152
        .size:           4
        .value_kind:     hidden_block_count_z
      - .offset:         156
        .size:           2
        .value_kind:     hidden_group_size_x
      - .offset:         158
        .size:           2
        .value_kind:     hidden_group_size_y
      - .offset:         160
        .size:           2
        .value_kind:     hidden_group_size_z
      - .offset:         162
        .size:           2
        .value_kind:     hidden_remainder_x
      - .offset:         164
        .size:           2
        .value_kind:     hidden_remainder_y
      - .offset:         166
        .size:           2
        .value_kind:     hidden_remainder_z
      - .offset:         184
        .size:           8
        .value_kind:     hidden_global_offset_x
      - .offset:         192
        .size:           8
        .value_kind:     hidden_global_offset_y
      - .offset:         200
        .size:           8
        .value_kind:     hidden_global_offset_z
      - .offset:         208
        .size:           2
        .value_kind:     hidden_grid_dims
      - .offset:         264
        .size:           4
        .value_kind:     hidden_dynamic_lds_size
    .group_segment_fixed_size: 144
    .kernarg_segment_align: 8
    .kernarg_segment_size: 400
    .language:       OpenCL C
    .language_version:
      - 2
      - 0
    .max_flat_workgroup_size: 1024
    .name:           _ZN4vllm25paged_attention_v2_kernelIfhLi32ELi8ELi128ELNS_18Fp8KVCacheDataTypeE1ELb1ELi512EEEvPfS2_PT_PKS3_PKT0_S9_ifPKiSB_iPKfiiiSD_SD_iiiii
    .private_segment_fixed_size: 0
    .sgpr_count:     67
    .sgpr_spill_count: 0
    .symbol:         _ZN4vllm25paged_attention_v2_kernelIfhLi32ELi8ELi128ELNS_18Fp8KVCacheDataTypeE1ELb1ELi512EEEvPfS2_PT_PKS3_PKT0_S9_ifPKiSB_iPKfiiiSD_SD_iiiii.kd
    .uniform_work_group_size: 1
    .uses_dynamic_stack: false
    .vgpr_count:     40
    .vgpr_spill_count: 0
    .wavefront_size: 64
  - .agpr_count:     0
    .args:
      - .actual_access:  write_only
        .address_space:  global
        .offset:         0
        .size:           8
        .value_kind:     global_buffer
      - .actual_access:  write_only
        .address_space:  global
        .offset:         8
        .size:           8
        .value_kind:     global_buffer
      - .actual_access:  write_only
        .address_space:  global
        .offset:         16
        .size:           8
        .value_kind:     global_buffer
      - .actual_access:  read_only
        .address_space:  global
        .offset:         24
        .size:           8
        .value_kind:     global_buffer
      - .actual_access:  read_only
        .address_space:  global
        .offset:         32
        .size:           8
        .value_kind:     global_buffer
      - .actual_access:  read_only
        .address_space:  global
        .offset:         40
        .size:           8
        .value_kind:     global_buffer
      - .offset:         48
        .size:           4
        .value_kind:     by_value
      - .offset:         52
        .size:           4
        .value_kind:     by_value
      - .actual_access:  read_only
        .address_space:  global
        .offset:         56
        .size:           8
        .value_kind:     global_buffer
      - .actual_access:  read_only
        .address_space:  global
        .offset:         64
        .size:           8
        .value_kind:     global_buffer
      - .offset:         72
        .size:           4
        .value_kind:     by_value
      - .actual_access:  read_only
        .address_space:  global
        .offset:         80
        .size:           8
        .value_kind:     global_buffer
      - .offset:         88
        .size:           4
        .value_kind:     by_value
      - .offset:         92
        .size:           4
        .value_kind:     by_value
      - .offset:         96
        .size:           4
        .value_kind:     by_value
      - .address_space:  global
        .offset:         104
        .size:           8
        .value_kind:     global_buffer
      - .address_space:  global
        .offset:         112
        .size:           8
        .value_kind:     global_buffer
      - .offset:         120
        .size:           4
        .value_kind:     by_value
      - .offset:         124
        .size:           4
        .value_kind:     by_value
      - .offset:         128
        .size:           4
        .value_kind:     by_value
      - .offset:         132
        .size:           4
        .value_kind:     by_value
      - .offset:         136
        .size:           4
        .value_kind:     by_value
      - .offset:         144
        .size:           4
        .value_kind:     hidden_block_count_x
      - .offset:         148
        .size:           4
        .value_kind:     hidden_block_count_y
      - .offset:         152
        .size:           4
        .value_kind:     hidden_block_count_z
      - .offset:         156
        .size:           2
        .value_kind:     hidden_group_size_x
      - .offset:         158
        .size:           2
        .value_kind:     hidden_group_size_y
      - .offset:         160
        .size:           2
        .value_kind:     hidden_group_size_z
      - .offset:         162
        .size:           2
        .value_kind:     hidden_remainder_x
      - .offset:         164
        .size:           2
        .value_kind:     hidden_remainder_y
      - .offset:         166
        .size:           2
        .value_kind:     hidden_remainder_z
      - .offset:         184
        .size:           8
        .value_kind:     hidden_global_offset_x
      - .offset:         192
        .size:           8
        .value_kind:     hidden_global_offset_y
      - .offset:         200
        .size:           8
        .value_kind:     hidden_global_offset_z
      - .offset:         208
        .size:           2
        .value_kind:     hidden_grid_dims
      - .offset:         264
        .size:           4
        .value_kind:     hidden_dynamic_lds_size
    .group_segment_fixed_size: 272
    .kernarg_segment_align: 8
    .kernarg_segment_size: 400
    .language:       OpenCL C
    .language_version:
      - 2
      - 0
    .max_flat_workgroup_size: 1024
    .name:           _ZN4vllm25paged_attention_v2_kernelIfhLi64ELi8ELi128ELNS_18Fp8KVCacheDataTypeE1ELb1ELi512EEEvPfS2_PT_PKS3_PKT0_S9_ifPKiSB_iPKfiiiSD_SD_iiiii
    .private_segment_fixed_size: 0
    .sgpr_count:     69
    .sgpr_spill_count: 0
    .symbol:         _ZN4vllm25paged_attention_v2_kernelIfhLi64ELi8ELi128ELNS_18Fp8KVCacheDataTypeE1ELb1ELi512EEEvPfS2_PT_PKS3_PKT0_S9_ifPKiSB_iPKfiiiSD_SD_iiiii.kd
    .uniform_work_group_size: 1
    .uses_dynamic_stack: false
    .vgpr_count:     49
    .vgpr_spill_count: 0
    .wavefront_size: 64
  - .agpr_count:     0
    .args:
      - .actual_access:  write_only
        .address_space:  global
        .offset:         0
        .size:           8
        .value_kind:     global_buffer
      - .actual_access:  write_only
        .address_space:  global
        .offset:         8
        .size:           8
        .value_kind:     global_buffer
      - .actual_access:  write_only
        .address_space:  global
        .offset:         16
        .size:           8
        .value_kind:     global_buffer
      - .actual_access:  read_only
        .address_space:  global
        .offset:         24
        .size:           8
        .value_kind:     global_buffer
      - .actual_access:  read_only
        .address_space:  global
        .offset:         32
        .size:           8
        .value_kind:     global_buffer
      - .actual_access:  read_only
        .address_space:  global
        .offset:         40
        .size:           8
        .value_kind:     global_buffer
      - .offset:         48
        .size:           4
        .value_kind:     by_value
      - .offset:         52
        .size:           4
        .value_kind:     by_value
      - .actual_access:  read_only
        .address_space:  global
        .offset:         56
        .size:           8
        .value_kind:     global_buffer
      - .actual_access:  read_only
        .address_space:  global
        .offset:         64
        .size:           8
        .value_kind:     global_buffer
      - .offset:         72
        .size:           4
        .value_kind:     by_value
      - .actual_access:  read_only
        .address_space:  global
        .offset:         80
        .size:           8
        .value_kind:     global_buffer
      - .offset:         88
        .size:           4
        .value_kind:     by_value
      - .offset:         92
        .size:           4
        .value_kind:     by_value
      - .offset:         96
        .size:           4
        .value_kind:     by_value
      - .address_space:  global
        .offset:         104
        .size:           8
        .value_kind:     global_buffer
      - .address_space:  global
        .offset:         112
        .size:           8
        .value_kind:     global_buffer
      - .offset:         120
        .size:           4
        .value_kind:     by_value
      - .offset:         124
        .size:           4
        .value_kind:     by_value
      - .offset:         128
        .size:           4
        .value_kind:     by_value
      - .offset:         132
        .size:           4
        .value_kind:     by_value
      - .offset:         136
        .size:           4
        .value_kind:     by_value
      - .offset:         144
        .size:           4
        .value_kind:     hidden_block_count_x
      - .offset:         148
        .size:           4
        .value_kind:     hidden_block_count_y
      - .offset:         152
        .size:           4
        .value_kind:     hidden_block_count_z
      - .offset:         156
        .size:           2
        .value_kind:     hidden_group_size_x
      - .offset:         158
        .size:           2
        .value_kind:     hidden_group_size_y
      - .offset:         160
        .size:           2
        .value_kind:     hidden_group_size_z
      - .offset:         162
        .size:           2
        .value_kind:     hidden_remainder_x
      - .offset:         164
        .size:           2
        .value_kind:     hidden_remainder_y
      - .offset:         166
        .size:           2
        .value_kind:     hidden_remainder_z
      - .offset:         184
        .size:           8
        .value_kind:     hidden_global_offset_x
      - .offset:         192
        .size:           8
        .value_kind:     hidden_global_offset_y
      - .offset:         200
        .size:           8
        .value_kind:     hidden_global_offset_z
      - .offset:         208
        .size:           2
        .value_kind:     hidden_grid_dims
      - .offset:         264
        .size:           4
        .value_kind:     hidden_dynamic_lds_size
    .group_segment_fixed_size: 336
    .kernarg_segment_align: 8
    .kernarg_segment_size: 400
    .language:       OpenCL C
    .language_version:
      - 2
      - 0
    .max_flat_workgroup_size: 1024
    .name:           _ZN4vllm25paged_attention_v2_kernelIfhLi80ELi8ELi128ELNS_18Fp8KVCacheDataTypeE1ELb1ELi512EEEvPfS2_PT_PKS3_PKT0_S9_ifPKiSB_iPKfiiiSD_SD_iiiii
    .private_segment_fixed_size: 0
    .sgpr_count:     67
    .sgpr_spill_count: 0
    .symbol:         _ZN4vllm25paged_attention_v2_kernelIfhLi80ELi8ELi128ELNS_18Fp8KVCacheDataTypeE1ELb1ELi512EEEvPfS2_PT_PKS3_PKT0_S9_ifPKiSB_iPKfiiiSD_SD_iiiii.kd
    .uniform_work_group_size: 1
    .uses_dynamic_stack: false
    .vgpr_count:     53
    .vgpr_spill_count: 0
    .wavefront_size: 64
  - .agpr_count:     0
    .args:
      - .actual_access:  write_only
        .address_space:  global
        .offset:         0
        .size:           8
        .value_kind:     global_buffer
      - .actual_access:  write_only
        .address_space:  global
        .offset:         8
        .size:           8
        .value_kind:     global_buffer
      - .actual_access:  write_only
        .address_space:  global
        .offset:         16
        .size:           8
        .value_kind:     global_buffer
      - .actual_access:  read_only
        .address_space:  global
        .offset:         24
        .size:           8
        .value_kind:     global_buffer
      - .actual_access:  read_only
        .address_space:  global
        .offset:         32
        .size:           8
        .value_kind:     global_buffer
      - .actual_access:  read_only
        .address_space:  global
        .offset:         40
        .size:           8
        .value_kind:     global_buffer
      - .offset:         48
        .size:           4
        .value_kind:     by_value
      - .offset:         52
        .size:           4
        .value_kind:     by_value
      - .actual_access:  read_only
        .address_space:  global
        .offset:         56
        .size:           8
        .value_kind:     global_buffer
      - .actual_access:  read_only
        .address_space:  global
        .offset:         64
        .size:           8
        .value_kind:     global_buffer
      - .offset:         72
        .size:           4
        .value_kind:     by_value
      - .actual_access:  read_only
        .address_space:  global
        .offset:         80
        .size:           8
        .value_kind:     global_buffer
      - .offset:         88
        .size:           4
        .value_kind:     by_value
      - .offset:         92
        .size:           4
        .value_kind:     by_value
      - .offset:         96
        .size:           4
        .value_kind:     by_value
      - .address_space:  global
        .offset:         104
        .size:           8
        .value_kind:     global_buffer
      - .address_space:  global
        .offset:         112
        .size:           8
        .value_kind:     global_buffer
      - .offset:         120
        .size:           4
        .value_kind:     by_value
      - .offset:         124
        .size:           4
        .value_kind:     by_value
      - .offset:         128
        .size:           4
        .value_kind:     by_value
      - .offset:         132
        .size:           4
        .value_kind:     by_value
      - .offset:         136
        .size:           4
        .value_kind:     by_value
      - .offset:         144
        .size:           4
        .value_kind:     hidden_block_count_x
      - .offset:         148
        .size:           4
        .value_kind:     hidden_block_count_y
      - .offset:         152
        .size:           4
        .value_kind:     hidden_block_count_z
      - .offset:         156
        .size:           2
        .value_kind:     hidden_group_size_x
      - .offset:         158
        .size:           2
        .value_kind:     hidden_group_size_y
      - .offset:         160
        .size:           2
        .value_kind:     hidden_group_size_z
      - .offset:         162
        .size:           2
        .value_kind:     hidden_remainder_x
      - .offset:         164
        .size:           2
        .value_kind:     hidden_remainder_y
      - .offset:         166
        .size:           2
        .value_kind:     hidden_remainder_z
      - .offset:         184
        .size:           8
        .value_kind:     hidden_global_offset_x
      - .offset:         192
        .size:           8
        .value_kind:     hidden_global_offset_y
      - .offset:         200
        .size:           8
        .value_kind:     hidden_global_offset_z
      - .offset:         208
        .size:           2
        .value_kind:     hidden_grid_dims
      - .offset:         264
        .size:           4
        .value_kind:     hidden_dynamic_lds_size
    .group_segment_fixed_size: 400
    .kernarg_segment_align: 8
    .kernarg_segment_size: 400
    .language:       OpenCL C
    .language_version:
      - 2
      - 0
    .max_flat_workgroup_size: 1024
    .name:           _ZN4vllm25paged_attention_v2_kernelIfhLi96ELi8ELi128ELNS_18Fp8KVCacheDataTypeE1ELb1ELi512EEEvPfS2_PT_PKS3_PKT0_S9_ifPKiSB_iPKfiiiSD_SD_iiiii
    .private_segment_fixed_size: 0
    .sgpr_count:     67
    .sgpr_spill_count: 0
    .symbol:         _ZN4vllm25paged_attention_v2_kernelIfhLi96ELi8ELi128ELNS_18Fp8KVCacheDataTypeE1ELb1ELi512EEEvPfS2_PT_PKS3_PKT0_S9_ifPKiSB_iPKfiiiSD_SD_iiiii.kd
    .uniform_work_group_size: 1
    .uses_dynamic_stack: false
    .vgpr_count:     57
    .vgpr_spill_count: 0
    .wavefront_size: 64
  - .agpr_count:     0
    .args:
      - .actual_access:  write_only
        .address_space:  global
        .offset:         0
        .size:           8
        .value_kind:     global_buffer
      - .actual_access:  write_only
        .address_space:  global
        .offset:         8
        .size:           8
        .value_kind:     global_buffer
      - .actual_access:  write_only
        .address_space:  global
        .offset:         16
        .size:           8
        .value_kind:     global_buffer
      - .actual_access:  read_only
        .address_space:  global
        .offset:         24
        .size:           8
        .value_kind:     global_buffer
      - .actual_access:  read_only
        .address_space:  global
        .offset:         32
        .size:           8
        .value_kind:     global_buffer
      - .actual_access:  read_only
        .address_space:  global
        .offset:         40
        .size:           8
        .value_kind:     global_buffer
      - .offset:         48
        .size:           4
        .value_kind:     by_value
      - .offset:         52
        .size:           4
        .value_kind:     by_value
      - .actual_access:  read_only
        .address_space:  global
        .offset:         56
        .size:           8
        .value_kind:     global_buffer
      - .actual_access:  read_only
        .address_space:  global
        .offset:         64
        .size:           8
        .value_kind:     global_buffer
      - .offset:         72
        .size:           4
        .value_kind:     by_value
      - .actual_access:  read_only
        .address_space:  global
        .offset:         80
        .size:           8
        .value_kind:     global_buffer
      - .offset:         88
        .size:           4
        .value_kind:     by_value
      - .offset:         92
        .size:           4
        .value_kind:     by_value
      - .offset:         96
        .size:           4
        .value_kind:     by_value
      - .address_space:  global
        .offset:         104
        .size:           8
        .value_kind:     global_buffer
      - .address_space:  global
        .offset:         112
        .size:           8
        .value_kind:     global_buffer
      - .offset:         120
        .size:           4
        .value_kind:     by_value
      - .offset:         124
        .size:           4
        .value_kind:     by_value
      - .offset:         128
        .size:           4
        .value_kind:     by_value
      - .offset:         132
        .size:           4
        .value_kind:     by_value
      - .offset:         136
        .size:           4
        .value_kind:     by_value
      - .offset:         144
        .size:           4
        .value_kind:     hidden_block_count_x
      - .offset:         148
        .size:           4
        .value_kind:     hidden_block_count_y
      - .offset:         152
        .size:           4
        .value_kind:     hidden_block_count_z
      - .offset:         156
        .size:           2
        .value_kind:     hidden_group_size_x
      - .offset:         158
        .size:           2
        .value_kind:     hidden_group_size_y
      - .offset:         160
        .size:           2
        .value_kind:     hidden_group_size_z
      - .offset:         162
        .size:           2
        .value_kind:     hidden_remainder_x
      - .offset:         164
        .size:           2
        .value_kind:     hidden_remainder_y
      - .offset:         166
        .size:           2
        .value_kind:     hidden_remainder_z
      - .offset:         184
        .size:           8
        .value_kind:     hidden_global_offset_x
      - .offset:         192
        .size:           8
        .value_kind:     hidden_global_offset_y
      - .offset:         200
        .size:           8
        .value_kind:     hidden_global_offset_z
      - .offset:         208
        .size:           2
        .value_kind:     hidden_grid_dims
      - .offset:         264
        .size:           4
        .value_kind:     hidden_dynamic_lds_size
    .group_segment_fixed_size: 464
    .kernarg_segment_align: 8
    .kernarg_segment_size: 400
    .language:       OpenCL C
    .language_version:
      - 2
      - 0
    .max_flat_workgroup_size: 1024
    .name:           _ZN4vllm25paged_attention_v2_kernelIfhLi112ELi8ELi128ELNS_18Fp8KVCacheDataTypeE1ELb1ELi512EEEvPfS2_PT_PKS3_PKT0_S9_ifPKiSB_iPKfiiiSD_SD_iiiii
    .private_segment_fixed_size: 0
    .sgpr_count:     67
    .sgpr_spill_count: 0
    .symbol:         _ZN4vllm25paged_attention_v2_kernelIfhLi112ELi8ELi128ELNS_18Fp8KVCacheDataTypeE1ELb1ELi512EEEvPfS2_PT_PKS3_PKT0_S9_ifPKiSB_iPKfiiiSD_SD_iiiii.kd
    .uniform_work_group_size: 1
    .uses_dynamic_stack: false
    .vgpr_count:     61
    .vgpr_spill_count: 0
    .wavefront_size: 64
  - .agpr_count:     0
    .args:
      - .actual_access:  write_only
        .address_space:  global
        .offset:         0
        .size:           8
        .value_kind:     global_buffer
      - .actual_access:  write_only
        .address_space:  global
        .offset:         8
        .size:           8
        .value_kind:     global_buffer
      - .actual_access:  write_only
        .address_space:  global
        .offset:         16
        .size:           8
        .value_kind:     global_buffer
      - .actual_access:  read_only
        .address_space:  global
        .offset:         24
        .size:           8
        .value_kind:     global_buffer
      - .actual_access:  read_only
        .address_space:  global
        .offset:         32
        .size:           8
        .value_kind:     global_buffer
      - .actual_access:  read_only
        .address_space:  global
        .offset:         40
        .size:           8
        .value_kind:     global_buffer
      - .offset:         48
        .size:           4
        .value_kind:     by_value
      - .offset:         52
        .size:           4
        .value_kind:     by_value
      - .actual_access:  read_only
        .address_space:  global
        .offset:         56
        .size:           8
        .value_kind:     global_buffer
      - .actual_access:  read_only
        .address_space:  global
        .offset:         64
        .size:           8
        .value_kind:     global_buffer
      - .offset:         72
        .size:           4
        .value_kind:     by_value
      - .actual_access:  read_only
        .address_space:  global
        .offset:         80
        .size:           8
        .value_kind:     global_buffer
      - .offset:         88
        .size:           4
        .value_kind:     by_value
      - .offset:         92
        .size:           4
        .value_kind:     by_value
      - .offset:         96
        .size:           4
        .value_kind:     by_value
      - .address_space:  global
        .offset:         104
        .size:           8
        .value_kind:     global_buffer
      - .address_space:  global
        .offset:         112
        .size:           8
        .value_kind:     global_buffer
      - .offset:         120
        .size:           4
        .value_kind:     by_value
      - .offset:         124
        .size:           4
        .value_kind:     by_value
      - .offset:         128
        .size:           4
        .value_kind:     by_value
      - .offset:         132
        .size:           4
        .value_kind:     by_value
      - .offset:         136
        .size:           4
        .value_kind:     by_value
      - .offset:         144
        .size:           4
        .value_kind:     hidden_block_count_x
      - .offset:         148
        .size:           4
        .value_kind:     hidden_block_count_y
      - .offset:         152
        .size:           4
        .value_kind:     hidden_block_count_z
      - .offset:         156
        .size:           2
        .value_kind:     hidden_group_size_x
      - .offset:         158
        .size:           2
        .value_kind:     hidden_group_size_y
      - .offset:         160
        .size:           2
        .value_kind:     hidden_group_size_z
      - .offset:         162
        .size:           2
        .value_kind:     hidden_remainder_x
      - .offset:         164
        .size:           2
        .value_kind:     hidden_remainder_y
      - .offset:         166
        .size:           2
        .value_kind:     hidden_remainder_z
      - .offset:         184
        .size:           8
        .value_kind:     hidden_global_offset_x
      - .offset:         192
        .size:           8
        .value_kind:     hidden_global_offset_y
      - .offset:         200
        .size:           8
        .value_kind:     hidden_global_offset_z
      - .offset:         208
        .size:           2
        .value_kind:     hidden_grid_dims
      - .offset:         264
        .size:           4
        .value_kind:     hidden_dynamic_lds_size
    .group_segment_fixed_size: 496
    .kernarg_segment_align: 8
    .kernarg_segment_size: 400
    .language:       OpenCL C
    .language_version:
      - 2
      - 0
    .max_flat_workgroup_size: 1024
    .name:           _ZN4vllm25paged_attention_v2_kernelIfhLi120ELi8ELi128ELNS_18Fp8KVCacheDataTypeE1ELb1ELi512EEEvPfS2_PT_PKS3_PKT0_S9_ifPKiSB_iPKfiiiSD_SD_iiiii
    .private_segment_fixed_size: 0
    .sgpr_count:     67
    .sgpr_spill_count: 0
    .symbol:         _ZN4vllm25paged_attention_v2_kernelIfhLi120ELi8ELi128ELNS_18Fp8KVCacheDataTypeE1ELb1ELi512EEEvPfS2_PT_PKS3_PKT0_S9_ifPKiSB_iPKfiiiSD_SD_iiiii.kd
    .uniform_work_group_size: 1
    .uses_dynamic_stack: false
    .vgpr_count:     62
    .vgpr_spill_count: 0
    .wavefront_size: 64
  - .agpr_count:     0
    .args:
      - .actual_access:  write_only
        .address_space:  global
        .offset:         0
        .size:           8
        .value_kind:     global_buffer
      - .actual_access:  write_only
        .address_space:  global
        .offset:         8
        .size:           8
        .value_kind:     global_buffer
      - .actual_access:  write_only
        .address_space:  global
        .offset:         16
        .size:           8
        .value_kind:     global_buffer
      - .actual_access:  read_only
        .address_space:  global
        .offset:         24
        .size:           8
        .value_kind:     global_buffer
      - .actual_access:  read_only
        .address_space:  global
        .offset:         32
        .size:           8
        .value_kind:     global_buffer
      - .actual_access:  read_only
        .address_space:  global
        .offset:         40
        .size:           8
        .value_kind:     global_buffer
      - .offset:         48
        .size:           4
        .value_kind:     by_value
      - .offset:         52
        .size:           4
        .value_kind:     by_value
      - .actual_access:  read_only
        .address_space:  global
        .offset:         56
        .size:           8
        .value_kind:     global_buffer
      - .actual_access:  read_only
        .address_space:  global
        .offset:         64
        .size:           8
        .value_kind:     global_buffer
      - .offset:         72
        .size:           4
        .value_kind:     by_value
      - .actual_access:  read_only
        .address_space:  global
        .offset:         80
        .size:           8
        .value_kind:     global_buffer
      - .offset:         88
        .size:           4
        .value_kind:     by_value
      - .offset:         92
        .size:           4
        .value_kind:     by_value
      - .offset:         96
        .size:           4
        .value_kind:     by_value
      - .address_space:  global
        .offset:         104
        .size:           8
        .value_kind:     global_buffer
      - .address_space:  global
        .offset:         112
        .size:           8
        .value_kind:     global_buffer
      - .offset:         120
        .size:           4
        .value_kind:     by_value
      - .offset:         124
        .size:           4
        .value_kind:     by_value
      - .offset:         128
        .size:           4
        .value_kind:     by_value
      - .offset:         132
        .size:           4
        .value_kind:     by_value
      - .offset:         136
        .size:           4
        .value_kind:     by_value
      - .offset:         144
        .size:           4
        .value_kind:     hidden_block_count_x
      - .offset:         148
        .size:           4
        .value_kind:     hidden_block_count_y
      - .offset:         152
        .size:           4
        .value_kind:     hidden_block_count_z
      - .offset:         156
        .size:           2
        .value_kind:     hidden_group_size_x
      - .offset:         158
        .size:           2
        .value_kind:     hidden_group_size_y
      - .offset:         160
        .size:           2
        .value_kind:     hidden_group_size_z
      - .offset:         162
        .size:           2
        .value_kind:     hidden_remainder_x
      - .offset:         164
        .size:           2
        .value_kind:     hidden_remainder_y
      - .offset:         166
        .size:           2
        .value_kind:     hidden_remainder_z
      - .offset:         184
        .size:           8
        .value_kind:     hidden_global_offset_x
      - .offset:         192
        .size:           8
        .value_kind:     hidden_global_offset_y
      - .offset:         200
        .size:           8
        .value_kind:     hidden_global_offset_z
      - .offset:         208
        .size:           2
        .value_kind:     hidden_grid_dims
      - .offset:         264
        .size:           4
        .value_kind:     hidden_dynamic_lds_size
    .group_segment_fixed_size: 528
    .kernarg_segment_align: 8
    .kernarg_segment_size: 400
    .language:       OpenCL C
    .language_version:
      - 2
      - 0
    .max_flat_workgroup_size: 1024
    .name:           _ZN4vllm25paged_attention_v2_kernelIfhLi128ELi8ELi128ELNS_18Fp8KVCacheDataTypeE1ELb1ELi512EEEvPfS2_PT_PKS3_PKT0_S9_ifPKiSB_iPKfiiiSD_SD_iiiii
    .private_segment_fixed_size: 0
    .sgpr_count:     67
    .sgpr_spill_count: 0
    .symbol:         _ZN4vllm25paged_attention_v2_kernelIfhLi128ELi8ELi128ELNS_18Fp8KVCacheDataTypeE1ELb1ELi512EEEvPfS2_PT_PKS3_PKT0_S9_ifPKiSB_iPKfiiiSD_SD_iiiii.kd
    .uniform_work_group_size: 1
    .uses_dynamic_stack: false
    .vgpr_count:     65
    .vgpr_spill_count: 0
    .wavefront_size: 64
  - .agpr_count:     0
    .args:
      - .actual_access:  write_only
        .address_space:  global
        .offset:         0
        .size:           8
        .value_kind:     global_buffer
      - .actual_access:  write_only
        .address_space:  global
        .offset:         8
        .size:           8
        .value_kind:     global_buffer
      - .actual_access:  write_only
        .address_space:  global
        .offset:         16
        .size:           8
        .value_kind:     global_buffer
      - .actual_access:  read_only
        .address_space:  global
        .offset:         24
        .size:           8
        .value_kind:     global_buffer
      - .actual_access:  read_only
        .address_space:  global
        .offset:         32
        .size:           8
        .value_kind:     global_buffer
      - .actual_access:  read_only
        .address_space:  global
        .offset:         40
        .size:           8
        .value_kind:     global_buffer
      - .offset:         48
        .size:           4
        .value_kind:     by_value
      - .offset:         52
        .size:           4
        .value_kind:     by_value
      - .actual_access:  read_only
        .address_space:  global
        .offset:         56
        .size:           8
        .value_kind:     global_buffer
      - .actual_access:  read_only
        .address_space:  global
        .offset:         64
        .size:           8
        .value_kind:     global_buffer
      - .offset:         72
        .size:           4
        .value_kind:     by_value
      - .actual_access:  read_only
        .address_space:  global
        .offset:         80
        .size:           8
        .value_kind:     global_buffer
      - .offset:         88
        .size:           4
        .value_kind:     by_value
      - .offset:         92
        .size:           4
        .value_kind:     by_value
      - .offset:         96
        .size:           4
        .value_kind:     by_value
      - .address_space:  global
        .offset:         104
        .size:           8
        .value_kind:     global_buffer
      - .address_space:  global
        .offset:         112
        .size:           8
        .value_kind:     global_buffer
      - .offset:         120
        .size:           4
        .value_kind:     by_value
      - .offset:         124
        .size:           4
        .value_kind:     by_value
      - .offset:         128
        .size:           4
        .value_kind:     by_value
      - .offset:         132
        .size:           4
        .value_kind:     by_value
      - .offset:         136
        .size:           4
        .value_kind:     by_value
      - .offset:         144
        .size:           4
        .value_kind:     hidden_block_count_x
      - .offset:         148
        .size:           4
        .value_kind:     hidden_block_count_y
      - .offset:         152
        .size:           4
        .value_kind:     hidden_block_count_z
      - .offset:         156
        .size:           2
        .value_kind:     hidden_group_size_x
      - .offset:         158
        .size:           2
        .value_kind:     hidden_group_size_y
      - .offset:         160
        .size:           2
        .value_kind:     hidden_group_size_z
      - .offset:         162
        .size:           2
        .value_kind:     hidden_remainder_x
      - .offset:         164
        .size:           2
        .value_kind:     hidden_remainder_y
      - .offset:         166
        .size:           2
        .value_kind:     hidden_remainder_z
      - .offset:         184
        .size:           8
        .value_kind:     hidden_global_offset_x
      - .offset:         192
        .size:           8
        .value_kind:     hidden_global_offset_y
      - .offset:         200
        .size:           8
        .value_kind:     hidden_global_offset_z
      - .offset:         208
        .size:           2
        .value_kind:     hidden_grid_dims
      - .offset:         264
        .size:           4
        .value_kind:     hidden_dynamic_lds_size
    .group_segment_fixed_size: 784
    .kernarg_segment_align: 8
    .kernarg_segment_size: 400
    .language:       OpenCL C
    .language_version:
      - 2
      - 0
    .max_flat_workgroup_size: 1024
    .name:           _ZN4vllm25paged_attention_v2_kernelIfhLi192ELi8ELi128ELNS_18Fp8KVCacheDataTypeE1ELb1ELi512EEEvPfS2_PT_PKS3_PKT0_S9_ifPKiSB_iPKfiiiSD_SD_iiiii
    .private_segment_fixed_size: 0
    .sgpr_count:     67
    .sgpr_spill_count: 0
    .symbol:         _ZN4vllm25paged_attention_v2_kernelIfhLi192ELi8ELi128ELNS_18Fp8KVCacheDataTypeE1ELb1ELi512EEEvPfS2_PT_PKS3_PKT0_S9_ifPKiSB_iPKfiiiSD_SD_iiiii.kd
    .uniform_work_group_size: 1
    .uses_dynamic_stack: false
    .vgpr_count:     79
    .vgpr_spill_count: 0
    .wavefront_size: 64
  - .agpr_count:     0
    .args:
      - .actual_access:  write_only
        .address_space:  global
        .offset:         0
        .size:           8
        .value_kind:     global_buffer
      - .actual_access:  write_only
        .address_space:  global
        .offset:         8
        .size:           8
        .value_kind:     global_buffer
      - .actual_access:  write_only
        .address_space:  global
        .offset:         16
        .size:           8
        .value_kind:     global_buffer
      - .actual_access:  read_only
        .address_space:  global
        .offset:         24
        .size:           8
        .value_kind:     global_buffer
      - .actual_access:  read_only
        .address_space:  global
        .offset:         32
        .size:           8
        .value_kind:     global_buffer
      - .actual_access:  read_only
        .address_space:  global
        .offset:         40
        .size:           8
        .value_kind:     global_buffer
      - .offset:         48
        .size:           4
        .value_kind:     by_value
      - .offset:         52
        .size:           4
        .value_kind:     by_value
      - .actual_access:  read_only
        .address_space:  global
        .offset:         56
        .size:           8
        .value_kind:     global_buffer
      - .actual_access:  read_only
        .address_space:  global
        .offset:         64
        .size:           8
        .value_kind:     global_buffer
      - .offset:         72
        .size:           4
        .value_kind:     by_value
      - .actual_access:  read_only
        .address_space:  global
        .offset:         80
        .size:           8
        .value_kind:     global_buffer
      - .offset:         88
        .size:           4
        .value_kind:     by_value
      - .offset:         92
        .size:           4
        .value_kind:     by_value
      - .offset:         96
        .size:           4
        .value_kind:     by_value
      - .address_space:  global
        .offset:         104
        .size:           8
        .value_kind:     global_buffer
      - .address_space:  global
        .offset:         112
        .size:           8
        .value_kind:     global_buffer
      - .offset:         120
        .size:           4
        .value_kind:     by_value
      - .offset:         124
        .size:           4
        .value_kind:     by_value
      - .offset:         128
        .size:           4
        .value_kind:     by_value
      - .offset:         132
        .size:           4
        .value_kind:     by_value
      - .offset:         136
        .size:           4
        .value_kind:     by_value
      - .offset:         144
        .size:           4
        .value_kind:     hidden_block_count_x
      - .offset:         148
        .size:           4
        .value_kind:     hidden_block_count_y
      - .offset:         152
        .size:           4
        .value_kind:     hidden_block_count_z
      - .offset:         156
        .size:           2
        .value_kind:     hidden_group_size_x
      - .offset:         158
        .size:           2
        .value_kind:     hidden_group_size_y
      - .offset:         160
        .size:           2
        .value_kind:     hidden_group_size_z
      - .offset:         162
        .size:           2
        .value_kind:     hidden_remainder_x
      - .offset:         164
        .size:           2
        .value_kind:     hidden_remainder_y
      - .offset:         166
        .size:           2
        .value_kind:     hidden_remainder_z
      - .offset:         184
        .size:           8
        .value_kind:     hidden_global_offset_x
      - .offset:         192
        .size:           8
        .value_kind:     hidden_global_offset_y
      - .offset:         200
        .size:           8
        .value_kind:     hidden_global_offset_z
      - .offset:         208
        .size:           2
        .value_kind:     hidden_grid_dims
      - .offset:         264
        .size:           4
        .value_kind:     hidden_dynamic_lds_size
    .group_segment_fixed_size: 1040
    .kernarg_segment_align: 8
    .kernarg_segment_size: 400
    .language:       OpenCL C
    .language_version:
      - 2
      - 0
    .max_flat_workgroup_size: 1024
    .name:           _ZN4vllm25paged_attention_v2_kernelIfhLi256ELi8ELi128ELNS_18Fp8KVCacheDataTypeE1ELb1ELi512EEEvPfS2_PT_PKS3_PKT0_S9_ifPKiSB_iPKfiiiSD_SD_iiiii
    .private_segment_fixed_size: 0
    .sgpr_count:     67
    .sgpr_spill_count: 0
    .symbol:         _ZN4vllm25paged_attention_v2_kernelIfhLi256ELi8ELi128ELNS_18Fp8KVCacheDataTypeE1ELb1ELi512EEEvPfS2_PT_PKS3_PKT0_S9_ifPKiSB_iPKfiiiSD_SD_iiiii.kd
    .uniform_work_group_size: 1
    .uses_dynamic_stack: false
    .vgpr_count:     95
    .vgpr_spill_count: 0
    .wavefront_size: 64
  - .agpr_count:     0
    .args:
      - .actual_access:  write_only
        .address_space:  global
        .offset:         0
        .size:           8
        .value_kind:     global_buffer
      - .actual_access:  write_only
        .address_space:  global
        .offset:         8
        .size:           8
        .value_kind:     global_buffer
      - .actual_access:  write_only
        .address_space:  global
        .offset:         16
        .size:           8
        .value_kind:     global_buffer
      - .actual_access:  read_only
        .address_space:  global
        .offset:         24
        .size:           8
        .value_kind:     global_buffer
      - .actual_access:  read_only
        .address_space:  global
        .offset:         32
        .size:           8
        .value_kind:     global_buffer
      - .actual_access:  read_only
        .address_space:  global
        .offset:         40
        .size:           8
        .value_kind:     global_buffer
      - .offset:         48
        .size:           4
        .value_kind:     by_value
      - .offset:         52
        .size:           4
        .value_kind:     by_value
      - .actual_access:  read_only
        .address_space:  global
        .offset:         56
        .size:           8
        .value_kind:     global_buffer
      - .actual_access:  read_only
        .address_space:  global
        .offset:         64
        .size:           8
        .value_kind:     global_buffer
      - .offset:         72
        .size:           4
        .value_kind:     by_value
      - .actual_access:  read_only
        .address_space:  global
        .offset:         80
        .size:           8
        .value_kind:     global_buffer
      - .offset:         88
        .size:           4
        .value_kind:     by_value
      - .offset:         92
        .size:           4
        .value_kind:     by_value
      - .offset:         96
        .size:           4
        .value_kind:     by_value
      - .address_space:  global
        .offset:         104
        .size:           8
        .value_kind:     global_buffer
      - .address_space:  global
        .offset:         112
        .size:           8
        .value_kind:     global_buffer
      - .offset:         120
        .size:           4
        .value_kind:     by_value
      - .offset:         124
        .size:           4
        .value_kind:     by_value
      - .offset:         128
        .size:           4
        .value_kind:     by_value
      - .offset:         132
        .size:           4
        .value_kind:     by_value
      - .offset:         136
        .size:           4
        .value_kind:     by_value
      - .offset:         144
        .size:           4
        .value_kind:     hidden_block_count_x
      - .offset:         148
        .size:           4
        .value_kind:     hidden_block_count_y
      - .offset:         152
        .size:           4
        .value_kind:     hidden_block_count_z
      - .offset:         156
        .size:           2
        .value_kind:     hidden_group_size_x
      - .offset:         158
        .size:           2
        .value_kind:     hidden_group_size_y
      - .offset:         160
        .size:           2
        .value_kind:     hidden_group_size_z
      - .offset:         162
        .size:           2
        .value_kind:     hidden_remainder_x
      - .offset:         164
        .size:           2
        .value_kind:     hidden_remainder_y
      - .offset:         166
        .size:           2
        .value_kind:     hidden_remainder_z
      - .offset:         184
        .size:           8
        .value_kind:     hidden_global_offset_x
      - .offset:         192
        .size:           8
        .value_kind:     hidden_global_offset_y
      - .offset:         200
        .size:           8
        .value_kind:     hidden_global_offset_z
      - .offset:         208
        .size:           2
        .value_kind:     hidden_grid_dims
      - .offset:         264
        .size:           4
        .value_kind:     hidden_dynamic_lds_size
    .group_segment_fixed_size: 144
    .kernarg_segment_align: 8
    .kernarg_segment_size: 400
    .language:       OpenCL C
    .language_version:
      - 2
      - 0
    .max_flat_workgroup_size: 1024
    .name:           _ZN4vllm25paged_attention_v2_kernelIfhLi32ELi8ELi128ELNS_18Fp8KVCacheDataTypeE1ELb0ELi512EEEvPfS2_PT_PKS3_PKT0_S9_ifPKiSB_iPKfiiiSD_SD_iiiii
    .private_segment_fixed_size: 0
    .sgpr_count:     55
    .sgpr_spill_count: 0
    .symbol:         _ZN4vllm25paged_attention_v2_kernelIfhLi32ELi8ELi128ELNS_18Fp8KVCacheDataTypeE1ELb0ELi512EEEvPfS2_PT_PKS3_PKT0_S9_ifPKiSB_iPKfiiiSD_SD_iiiii.kd
    .uniform_work_group_size: 1
    .uses_dynamic_stack: false
    .vgpr_count:     37
    .vgpr_spill_count: 0
    .wavefront_size: 64
  - .agpr_count:     0
    .args:
      - .actual_access:  write_only
        .address_space:  global
        .offset:         0
        .size:           8
        .value_kind:     global_buffer
      - .actual_access:  write_only
        .address_space:  global
        .offset:         8
        .size:           8
        .value_kind:     global_buffer
      - .actual_access:  write_only
        .address_space:  global
        .offset:         16
        .size:           8
        .value_kind:     global_buffer
      - .actual_access:  read_only
        .address_space:  global
        .offset:         24
        .size:           8
        .value_kind:     global_buffer
      - .actual_access:  read_only
        .address_space:  global
        .offset:         32
        .size:           8
        .value_kind:     global_buffer
      - .actual_access:  read_only
        .address_space:  global
        .offset:         40
        .size:           8
        .value_kind:     global_buffer
      - .offset:         48
        .size:           4
        .value_kind:     by_value
      - .offset:         52
        .size:           4
        .value_kind:     by_value
      - .actual_access:  read_only
        .address_space:  global
        .offset:         56
        .size:           8
        .value_kind:     global_buffer
      - .actual_access:  read_only
        .address_space:  global
        .offset:         64
        .size:           8
        .value_kind:     global_buffer
      - .offset:         72
        .size:           4
        .value_kind:     by_value
      - .actual_access:  read_only
        .address_space:  global
        .offset:         80
        .size:           8
        .value_kind:     global_buffer
      - .offset:         88
        .size:           4
        .value_kind:     by_value
      - .offset:         92
        .size:           4
        .value_kind:     by_value
      - .offset:         96
        .size:           4
        .value_kind:     by_value
      - .address_space:  global
        .offset:         104
        .size:           8
        .value_kind:     global_buffer
      - .address_space:  global
        .offset:         112
        .size:           8
        .value_kind:     global_buffer
      - .offset:         120
        .size:           4
        .value_kind:     by_value
      - .offset:         124
        .size:           4
        .value_kind:     by_value
      - .offset:         128
        .size:           4
        .value_kind:     by_value
      - .offset:         132
        .size:           4
        .value_kind:     by_value
      - .offset:         136
        .size:           4
        .value_kind:     by_value
      - .offset:         144
        .size:           4
        .value_kind:     hidden_block_count_x
      - .offset:         148
        .size:           4
        .value_kind:     hidden_block_count_y
      - .offset:         152
        .size:           4
        .value_kind:     hidden_block_count_z
      - .offset:         156
        .size:           2
        .value_kind:     hidden_group_size_x
      - .offset:         158
        .size:           2
        .value_kind:     hidden_group_size_y
      - .offset:         160
        .size:           2
        .value_kind:     hidden_group_size_z
      - .offset:         162
        .size:           2
        .value_kind:     hidden_remainder_x
      - .offset:         164
        .size:           2
        .value_kind:     hidden_remainder_y
      - .offset:         166
        .size:           2
        .value_kind:     hidden_remainder_z
      - .offset:         184
        .size:           8
        .value_kind:     hidden_global_offset_x
      - .offset:         192
        .size:           8
        .value_kind:     hidden_global_offset_y
      - .offset:         200
        .size:           8
        .value_kind:     hidden_global_offset_z
      - .offset:         208
        .size:           2
        .value_kind:     hidden_grid_dims
      - .offset:         264
        .size:           4
        .value_kind:     hidden_dynamic_lds_size
    .group_segment_fixed_size: 272
    .kernarg_segment_align: 8
    .kernarg_segment_size: 400
    .language:       OpenCL C
    .language_version:
      - 2
      - 0
    .max_flat_workgroup_size: 1024
    .name:           _ZN4vllm25paged_attention_v2_kernelIfhLi64ELi8ELi128ELNS_18Fp8KVCacheDataTypeE1ELb0ELi512EEEvPfS2_PT_PKS3_PKT0_S9_ifPKiSB_iPKfiiiSD_SD_iiiii
    .private_segment_fixed_size: 0
    .sgpr_count:     57
    .sgpr_spill_count: 0
    .symbol:         _ZN4vllm25paged_attention_v2_kernelIfhLi64ELi8ELi128ELNS_18Fp8KVCacheDataTypeE1ELb0ELi512EEEvPfS2_PT_PKS3_PKT0_S9_ifPKiSB_iPKfiiiSD_SD_iiiii.kd
    .uniform_work_group_size: 1
    .uses_dynamic_stack: false
    .vgpr_count:     46
    .vgpr_spill_count: 0
    .wavefront_size: 64
  - .agpr_count:     0
    .args:
      - .actual_access:  write_only
        .address_space:  global
        .offset:         0
        .size:           8
        .value_kind:     global_buffer
      - .actual_access:  write_only
        .address_space:  global
        .offset:         8
        .size:           8
        .value_kind:     global_buffer
      - .actual_access:  write_only
        .address_space:  global
        .offset:         16
        .size:           8
        .value_kind:     global_buffer
      - .actual_access:  read_only
        .address_space:  global
        .offset:         24
        .size:           8
        .value_kind:     global_buffer
      - .actual_access:  read_only
        .address_space:  global
        .offset:         32
        .size:           8
        .value_kind:     global_buffer
      - .actual_access:  read_only
        .address_space:  global
        .offset:         40
        .size:           8
        .value_kind:     global_buffer
      - .offset:         48
        .size:           4
        .value_kind:     by_value
      - .offset:         52
        .size:           4
        .value_kind:     by_value
      - .actual_access:  read_only
        .address_space:  global
        .offset:         56
        .size:           8
        .value_kind:     global_buffer
      - .actual_access:  read_only
        .address_space:  global
        .offset:         64
        .size:           8
        .value_kind:     global_buffer
      - .offset:         72
        .size:           4
        .value_kind:     by_value
      - .actual_access:  read_only
        .address_space:  global
        .offset:         80
        .size:           8
        .value_kind:     global_buffer
      - .offset:         88
        .size:           4
        .value_kind:     by_value
      - .offset:         92
        .size:           4
        .value_kind:     by_value
      - .offset:         96
        .size:           4
        .value_kind:     by_value
      - .address_space:  global
        .offset:         104
        .size:           8
        .value_kind:     global_buffer
      - .address_space:  global
        .offset:         112
        .size:           8
        .value_kind:     global_buffer
      - .offset:         120
        .size:           4
        .value_kind:     by_value
      - .offset:         124
        .size:           4
        .value_kind:     by_value
      - .offset:         128
        .size:           4
        .value_kind:     by_value
      - .offset:         132
        .size:           4
        .value_kind:     by_value
      - .offset:         136
        .size:           4
        .value_kind:     by_value
      - .offset:         144
        .size:           4
        .value_kind:     hidden_block_count_x
      - .offset:         148
        .size:           4
        .value_kind:     hidden_block_count_y
      - .offset:         152
        .size:           4
        .value_kind:     hidden_block_count_z
      - .offset:         156
        .size:           2
        .value_kind:     hidden_group_size_x
      - .offset:         158
        .size:           2
        .value_kind:     hidden_group_size_y
      - .offset:         160
        .size:           2
        .value_kind:     hidden_group_size_z
      - .offset:         162
        .size:           2
        .value_kind:     hidden_remainder_x
      - .offset:         164
        .size:           2
        .value_kind:     hidden_remainder_y
      - .offset:         166
        .size:           2
        .value_kind:     hidden_remainder_z
      - .offset:         184
        .size:           8
        .value_kind:     hidden_global_offset_x
      - .offset:         192
        .size:           8
        .value_kind:     hidden_global_offset_y
      - .offset:         200
        .size:           8
        .value_kind:     hidden_global_offset_z
      - .offset:         208
        .size:           2
        .value_kind:     hidden_grid_dims
      - .offset:         264
        .size:           4
        .value_kind:     hidden_dynamic_lds_size
    .group_segment_fixed_size: 336
    .kernarg_segment_align: 8
    .kernarg_segment_size: 400
    .language:       OpenCL C
    .language_version:
      - 2
      - 0
    .max_flat_workgroup_size: 1024
    .name:           _ZN4vllm25paged_attention_v2_kernelIfhLi80ELi8ELi128ELNS_18Fp8KVCacheDataTypeE1ELb0ELi512EEEvPfS2_PT_PKS3_PKT0_S9_ifPKiSB_iPKfiiiSD_SD_iiiii
    .private_segment_fixed_size: 0
    .sgpr_count:     55
    .sgpr_spill_count: 0
    .symbol:         _ZN4vllm25paged_attention_v2_kernelIfhLi80ELi8ELi128ELNS_18Fp8KVCacheDataTypeE1ELb0ELi512EEEvPfS2_PT_PKS3_PKT0_S9_ifPKiSB_iPKfiiiSD_SD_iiiii.kd
    .uniform_work_group_size: 1
    .uses_dynamic_stack: false
    .vgpr_count:     50
    .vgpr_spill_count: 0
    .wavefront_size: 64
  - .agpr_count:     0
    .args:
      - .actual_access:  write_only
        .address_space:  global
        .offset:         0
        .size:           8
        .value_kind:     global_buffer
      - .actual_access:  write_only
        .address_space:  global
        .offset:         8
        .size:           8
        .value_kind:     global_buffer
      - .actual_access:  write_only
        .address_space:  global
        .offset:         16
        .size:           8
        .value_kind:     global_buffer
      - .actual_access:  read_only
        .address_space:  global
        .offset:         24
        .size:           8
        .value_kind:     global_buffer
      - .actual_access:  read_only
        .address_space:  global
        .offset:         32
        .size:           8
        .value_kind:     global_buffer
      - .actual_access:  read_only
        .address_space:  global
        .offset:         40
        .size:           8
        .value_kind:     global_buffer
      - .offset:         48
        .size:           4
        .value_kind:     by_value
      - .offset:         52
        .size:           4
        .value_kind:     by_value
      - .actual_access:  read_only
        .address_space:  global
        .offset:         56
        .size:           8
        .value_kind:     global_buffer
      - .actual_access:  read_only
        .address_space:  global
        .offset:         64
        .size:           8
        .value_kind:     global_buffer
      - .offset:         72
        .size:           4
        .value_kind:     by_value
      - .actual_access:  read_only
        .address_space:  global
        .offset:         80
        .size:           8
        .value_kind:     global_buffer
      - .offset:         88
        .size:           4
        .value_kind:     by_value
      - .offset:         92
        .size:           4
        .value_kind:     by_value
      - .offset:         96
        .size:           4
        .value_kind:     by_value
      - .address_space:  global
        .offset:         104
        .size:           8
        .value_kind:     global_buffer
      - .address_space:  global
        .offset:         112
        .size:           8
        .value_kind:     global_buffer
      - .offset:         120
        .size:           4
        .value_kind:     by_value
      - .offset:         124
        .size:           4
        .value_kind:     by_value
      - .offset:         128
        .size:           4
        .value_kind:     by_value
      - .offset:         132
        .size:           4
        .value_kind:     by_value
      - .offset:         136
        .size:           4
        .value_kind:     by_value
      - .offset:         144
        .size:           4
        .value_kind:     hidden_block_count_x
      - .offset:         148
        .size:           4
        .value_kind:     hidden_block_count_y
      - .offset:         152
        .size:           4
        .value_kind:     hidden_block_count_z
      - .offset:         156
        .size:           2
        .value_kind:     hidden_group_size_x
      - .offset:         158
        .size:           2
        .value_kind:     hidden_group_size_y
      - .offset:         160
        .size:           2
        .value_kind:     hidden_group_size_z
      - .offset:         162
        .size:           2
        .value_kind:     hidden_remainder_x
      - .offset:         164
        .size:           2
        .value_kind:     hidden_remainder_y
      - .offset:         166
        .size:           2
        .value_kind:     hidden_remainder_z
      - .offset:         184
        .size:           8
        .value_kind:     hidden_global_offset_x
      - .offset:         192
        .size:           8
        .value_kind:     hidden_global_offset_y
      - .offset:         200
        .size:           8
        .value_kind:     hidden_global_offset_z
      - .offset:         208
        .size:           2
        .value_kind:     hidden_grid_dims
      - .offset:         264
        .size:           4
        .value_kind:     hidden_dynamic_lds_size
    .group_segment_fixed_size: 400
    .kernarg_segment_align: 8
    .kernarg_segment_size: 400
    .language:       OpenCL C
    .language_version:
      - 2
      - 0
    .max_flat_workgroup_size: 1024
    .name:           _ZN4vllm25paged_attention_v2_kernelIfhLi96ELi8ELi128ELNS_18Fp8KVCacheDataTypeE1ELb0ELi512EEEvPfS2_PT_PKS3_PKT0_S9_ifPKiSB_iPKfiiiSD_SD_iiiii
    .private_segment_fixed_size: 0
    .sgpr_count:     55
    .sgpr_spill_count: 0
    .symbol:         _ZN4vllm25paged_attention_v2_kernelIfhLi96ELi8ELi128ELNS_18Fp8KVCacheDataTypeE1ELb0ELi512EEEvPfS2_PT_PKS3_PKT0_S9_ifPKiSB_iPKfiiiSD_SD_iiiii.kd
    .uniform_work_group_size: 1
    .uses_dynamic_stack: false
    .vgpr_count:     54
    .vgpr_spill_count: 0
    .wavefront_size: 64
  - .agpr_count:     0
    .args:
      - .actual_access:  write_only
        .address_space:  global
        .offset:         0
        .size:           8
        .value_kind:     global_buffer
      - .actual_access:  write_only
        .address_space:  global
        .offset:         8
        .size:           8
        .value_kind:     global_buffer
      - .actual_access:  write_only
        .address_space:  global
        .offset:         16
        .size:           8
        .value_kind:     global_buffer
      - .actual_access:  read_only
        .address_space:  global
        .offset:         24
        .size:           8
        .value_kind:     global_buffer
      - .actual_access:  read_only
        .address_space:  global
        .offset:         32
        .size:           8
        .value_kind:     global_buffer
      - .actual_access:  read_only
        .address_space:  global
        .offset:         40
        .size:           8
        .value_kind:     global_buffer
      - .offset:         48
        .size:           4
        .value_kind:     by_value
      - .offset:         52
        .size:           4
        .value_kind:     by_value
      - .actual_access:  read_only
        .address_space:  global
        .offset:         56
        .size:           8
        .value_kind:     global_buffer
      - .actual_access:  read_only
        .address_space:  global
        .offset:         64
        .size:           8
        .value_kind:     global_buffer
      - .offset:         72
        .size:           4
        .value_kind:     by_value
      - .actual_access:  read_only
        .address_space:  global
        .offset:         80
        .size:           8
        .value_kind:     global_buffer
      - .offset:         88
        .size:           4
        .value_kind:     by_value
      - .offset:         92
        .size:           4
        .value_kind:     by_value
      - .offset:         96
        .size:           4
        .value_kind:     by_value
      - .address_space:  global
        .offset:         104
        .size:           8
        .value_kind:     global_buffer
      - .address_space:  global
        .offset:         112
        .size:           8
        .value_kind:     global_buffer
      - .offset:         120
        .size:           4
        .value_kind:     by_value
      - .offset:         124
        .size:           4
        .value_kind:     by_value
      - .offset:         128
        .size:           4
        .value_kind:     by_value
      - .offset:         132
        .size:           4
        .value_kind:     by_value
      - .offset:         136
        .size:           4
        .value_kind:     by_value
      - .offset:         144
        .size:           4
        .value_kind:     hidden_block_count_x
      - .offset:         148
        .size:           4
        .value_kind:     hidden_block_count_y
      - .offset:         152
        .size:           4
        .value_kind:     hidden_block_count_z
      - .offset:         156
        .size:           2
        .value_kind:     hidden_group_size_x
      - .offset:         158
        .size:           2
        .value_kind:     hidden_group_size_y
      - .offset:         160
        .size:           2
        .value_kind:     hidden_group_size_z
      - .offset:         162
        .size:           2
        .value_kind:     hidden_remainder_x
      - .offset:         164
        .size:           2
        .value_kind:     hidden_remainder_y
      - .offset:         166
        .size:           2
        .value_kind:     hidden_remainder_z
      - .offset:         184
        .size:           8
        .value_kind:     hidden_global_offset_x
      - .offset:         192
        .size:           8
        .value_kind:     hidden_global_offset_y
      - .offset:         200
        .size:           8
        .value_kind:     hidden_global_offset_z
      - .offset:         208
        .size:           2
        .value_kind:     hidden_grid_dims
      - .offset:         264
        .size:           4
        .value_kind:     hidden_dynamic_lds_size
    .group_segment_fixed_size: 464
    .kernarg_segment_align: 8
    .kernarg_segment_size: 400
    .language:       OpenCL C
    .language_version:
      - 2
      - 0
    .max_flat_workgroup_size: 1024
    .name:           _ZN4vllm25paged_attention_v2_kernelIfhLi112ELi8ELi128ELNS_18Fp8KVCacheDataTypeE1ELb0ELi512EEEvPfS2_PT_PKS3_PKT0_S9_ifPKiSB_iPKfiiiSD_SD_iiiii
    .private_segment_fixed_size: 0
    .sgpr_count:     55
    .sgpr_spill_count: 0
    .symbol:         _ZN4vllm25paged_attention_v2_kernelIfhLi112ELi8ELi128ELNS_18Fp8KVCacheDataTypeE1ELb0ELi512EEEvPfS2_PT_PKS3_PKT0_S9_ifPKiSB_iPKfiiiSD_SD_iiiii.kd
    .uniform_work_group_size: 1
    .uses_dynamic_stack: false
    .vgpr_count:     58
    .vgpr_spill_count: 0
    .wavefront_size: 64
  - .agpr_count:     0
    .args:
      - .actual_access:  write_only
        .address_space:  global
        .offset:         0
        .size:           8
        .value_kind:     global_buffer
      - .actual_access:  write_only
        .address_space:  global
        .offset:         8
        .size:           8
        .value_kind:     global_buffer
      - .actual_access:  write_only
        .address_space:  global
        .offset:         16
        .size:           8
        .value_kind:     global_buffer
      - .actual_access:  read_only
        .address_space:  global
        .offset:         24
        .size:           8
        .value_kind:     global_buffer
      - .actual_access:  read_only
        .address_space:  global
        .offset:         32
        .size:           8
        .value_kind:     global_buffer
      - .actual_access:  read_only
        .address_space:  global
        .offset:         40
        .size:           8
        .value_kind:     global_buffer
      - .offset:         48
        .size:           4
        .value_kind:     by_value
      - .offset:         52
        .size:           4
        .value_kind:     by_value
      - .actual_access:  read_only
        .address_space:  global
        .offset:         56
        .size:           8
        .value_kind:     global_buffer
      - .actual_access:  read_only
        .address_space:  global
        .offset:         64
        .size:           8
        .value_kind:     global_buffer
      - .offset:         72
        .size:           4
        .value_kind:     by_value
      - .actual_access:  read_only
        .address_space:  global
        .offset:         80
        .size:           8
        .value_kind:     global_buffer
      - .offset:         88
        .size:           4
        .value_kind:     by_value
      - .offset:         92
        .size:           4
        .value_kind:     by_value
      - .offset:         96
        .size:           4
        .value_kind:     by_value
      - .address_space:  global
        .offset:         104
        .size:           8
        .value_kind:     global_buffer
      - .address_space:  global
        .offset:         112
        .size:           8
        .value_kind:     global_buffer
      - .offset:         120
        .size:           4
        .value_kind:     by_value
      - .offset:         124
        .size:           4
        .value_kind:     by_value
      - .offset:         128
        .size:           4
        .value_kind:     by_value
      - .offset:         132
        .size:           4
        .value_kind:     by_value
      - .offset:         136
        .size:           4
        .value_kind:     by_value
      - .offset:         144
        .size:           4
        .value_kind:     hidden_block_count_x
      - .offset:         148
        .size:           4
        .value_kind:     hidden_block_count_y
      - .offset:         152
        .size:           4
        .value_kind:     hidden_block_count_z
      - .offset:         156
        .size:           2
        .value_kind:     hidden_group_size_x
      - .offset:         158
        .size:           2
        .value_kind:     hidden_group_size_y
      - .offset:         160
        .size:           2
        .value_kind:     hidden_group_size_z
      - .offset:         162
        .size:           2
        .value_kind:     hidden_remainder_x
      - .offset:         164
        .size:           2
        .value_kind:     hidden_remainder_y
      - .offset:         166
        .size:           2
        .value_kind:     hidden_remainder_z
      - .offset:         184
        .size:           8
        .value_kind:     hidden_global_offset_x
      - .offset:         192
        .size:           8
        .value_kind:     hidden_global_offset_y
      - .offset:         200
        .size:           8
        .value_kind:     hidden_global_offset_z
      - .offset:         208
        .size:           2
        .value_kind:     hidden_grid_dims
      - .offset:         264
        .size:           4
        .value_kind:     hidden_dynamic_lds_size
    .group_segment_fixed_size: 496
    .kernarg_segment_align: 8
    .kernarg_segment_size: 400
    .language:       OpenCL C
    .language_version:
      - 2
      - 0
    .max_flat_workgroup_size: 1024
    .name:           _ZN4vllm25paged_attention_v2_kernelIfhLi120ELi8ELi128ELNS_18Fp8KVCacheDataTypeE1ELb0ELi512EEEvPfS2_PT_PKS3_PKT0_S9_ifPKiSB_iPKfiiiSD_SD_iiiii
    .private_segment_fixed_size: 0
    .sgpr_count:     55
    .sgpr_spill_count: 0
    .symbol:         _ZN4vllm25paged_attention_v2_kernelIfhLi120ELi8ELi128ELNS_18Fp8KVCacheDataTypeE1ELb0ELi512EEEvPfS2_PT_PKS3_PKT0_S9_ifPKiSB_iPKfiiiSD_SD_iiiii.kd
    .uniform_work_group_size: 1
    .uses_dynamic_stack: false
    .vgpr_count:     59
    .vgpr_spill_count: 0
    .wavefront_size: 64
  - .agpr_count:     0
    .args:
      - .actual_access:  write_only
        .address_space:  global
        .offset:         0
        .size:           8
        .value_kind:     global_buffer
      - .actual_access:  write_only
        .address_space:  global
        .offset:         8
        .size:           8
        .value_kind:     global_buffer
      - .actual_access:  write_only
        .address_space:  global
        .offset:         16
        .size:           8
        .value_kind:     global_buffer
      - .actual_access:  read_only
        .address_space:  global
        .offset:         24
        .size:           8
        .value_kind:     global_buffer
      - .actual_access:  read_only
        .address_space:  global
        .offset:         32
        .size:           8
        .value_kind:     global_buffer
      - .actual_access:  read_only
        .address_space:  global
        .offset:         40
        .size:           8
        .value_kind:     global_buffer
      - .offset:         48
        .size:           4
        .value_kind:     by_value
      - .offset:         52
        .size:           4
        .value_kind:     by_value
      - .actual_access:  read_only
        .address_space:  global
        .offset:         56
        .size:           8
        .value_kind:     global_buffer
      - .actual_access:  read_only
        .address_space:  global
        .offset:         64
        .size:           8
        .value_kind:     global_buffer
      - .offset:         72
        .size:           4
        .value_kind:     by_value
      - .actual_access:  read_only
        .address_space:  global
        .offset:         80
        .size:           8
        .value_kind:     global_buffer
      - .offset:         88
        .size:           4
        .value_kind:     by_value
      - .offset:         92
        .size:           4
        .value_kind:     by_value
      - .offset:         96
        .size:           4
        .value_kind:     by_value
      - .address_space:  global
        .offset:         104
        .size:           8
        .value_kind:     global_buffer
      - .address_space:  global
        .offset:         112
        .size:           8
        .value_kind:     global_buffer
      - .offset:         120
        .size:           4
        .value_kind:     by_value
      - .offset:         124
        .size:           4
        .value_kind:     by_value
      - .offset:         128
        .size:           4
        .value_kind:     by_value
      - .offset:         132
        .size:           4
        .value_kind:     by_value
      - .offset:         136
        .size:           4
        .value_kind:     by_value
      - .offset:         144
        .size:           4
        .value_kind:     hidden_block_count_x
      - .offset:         148
        .size:           4
        .value_kind:     hidden_block_count_y
      - .offset:         152
        .size:           4
        .value_kind:     hidden_block_count_z
      - .offset:         156
        .size:           2
        .value_kind:     hidden_group_size_x
      - .offset:         158
        .size:           2
        .value_kind:     hidden_group_size_y
      - .offset:         160
        .size:           2
        .value_kind:     hidden_group_size_z
      - .offset:         162
        .size:           2
        .value_kind:     hidden_remainder_x
      - .offset:         164
        .size:           2
        .value_kind:     hidden_remainder_y
      - .offset:         166
        .size:           2
        .value_kind:     hidden_remainder_z
      - .offset:         184
        .size:           8
        .value_kind:     hidden_global_offset_x
      - .offset:         192
        .size:           8
        .value_kind:     hidden_global_offset_y
      - .offset:         200
        .size:           8
        .value_kind:     hidden_global_offset_z
      - .offset:         208
        .size:           2
        .value_kind:     hidden_grid_dims
      - .offset:         264
        .size:           4
        .value_kind:     hidden_dynamic_lds_size
    .group_segment_fixed_size: 528
    .kernarg_segment_align: 8
    .kernarg_segment_size: 400
    .language:       OpenCL C
    .language_version:
      - 2
      - 0
    .max_flat_workgroup_size: 1024
    .name:           _ZN4vllm25paged_attention_v2_kernelIfhLi128ELi8ELi128ELNS_18Fp8KVCacheDataTypeE1ELb0ELi512EEEvPfS2_PT_PKS3_PKT0_S9_ifPKiSB_iPKfiiiSD_SD_iiiii
    .private_segment_fixed_size: 0
    .sgpr_count:     55
    .sgpr_spill_count: 0
    .symbol:         _ZN4vllm25paged_attention_v2_kernelIfhLi128ELi8ELi128ELNS_18Fp8KVCacheDataTypeE1ELb0ELi512EEEvPfS2_PT_PKS3_PKT0_S9_ifPKiSB_iPKfiiiSD_SD_iiiii.kd
    .uniform_work_group_size: 1
    .uses_dynamic_stack: false
    .vgpr_count:     62
    .vgpr_spill_count: 0
    .wavefront_size: 64
  - .agpr_count:     0
    .args:
      - .actual_access:  write_only
        .address_space:  global
        .offset:         0
        .size:           8
        .value_kind:     global_buffer
      - .actual_access:  write_only
        .address_space:  global
        .offset:         8
        .size:           8
        .value_kind:     global_buffer
      - .actual_access:  write_only
        .address_space:  global
        .offset:         16
        .size:           8
        .value_kind:     global_buffer
      - .actual_access:  read_only
        .address_space:  global
        .offset:         24
        .size:           8
        .value_kind:     global_buffer
      - .actual_access:  read_only
        .address_space:  global
        .offset:         32
        .size:           8
        .value_kind:     global_buffer
      - .actual_access:  read_only
        .address_space:  global
        .offset:         40
        .size:           8
        .value_kind:     global_buffer
      - .offset:         48
        .size:           4
        .value_kind:     by_value
      - .offset:         52
        .size:           4
        .value_kind:     by_value
      - .actual_access:  read_only
        .address_space:  global
        .offset:         56
        .size:           8
        .value_kind:     global_buffer
      - .actual_access:  read_only
        .address_space:  global
        .offset:         64
        .size:           8
        .value_kind:     global_buffer
      - .offset:         72
        .size:           4
        .value_kind:     by_value
      - .actual_access:  read_only
        .address_space:  global
        .offset:         80
        .size:           8
        .value_kind:     global_buffer
      - .offset:         88
        .size:           4
        .value_kind:     by_value
      - .offset:         92
        .size:           4
        .value_kind:     by_value
      - .offset:         96
        .size:           4
        .value_kind:     by_value
      - .address_space:  global
        .offset:         104
        .size:           8
        .value_kind:     global_buffer
      - .address_space:  global
        .offset:         112
        .size:           8
        .value_kind:     global_buffer
      - .offset:         120
        .size:           4
        .value_kind:     by_value
      - .offset:         124
        .size:           4
        .value_kind:     by_value
      - .offset:         128
        .size:           4
        .value_kind:     by_value
      - .offset:         132
        .size:           4
        .value_kind:     by_value
      - .offset:         136
        .size:           4
        .value_kind:     by_value
      - .offset:         144
        .size:           4
        .value_kind:     hidden_block_count_x
      - .offset:         148
        .size:           4
        .value_kind:     hidden_block_count_y
      - .offset:         152
        .size:           4
        .value_kind:     hidden_block_count_z
      - .offset:         156
        .size:           2
        .value_kind:     hidden_group_size_x
      - .offset:         158
        .size:           2
        .value_kind:     hidden_group_size_y
      - .offset:         160
        .size:           2
        .value_kind:     hidden_group_size_z
      - .offset:         162
        .size:           2
        .value_kind:     hidden_remainder_x
      - .offset:         164
        .size:           2
        .value_kind:     hidden_remainder_y
      - .offset:         166
        .size:           2
        .value_kind:     hidden_remainder_z
      - .offset:         184
        .size:           8
        .value_kind:     hidden_global_offset_x
      - .offset:         192
        .size:           8
        .value_kind:     hidden_global_offset_y
      - .offset:         200
        .size:           8
        .value_kind:     hidden_global_offset_z
      - .offset:         208
        .size:           2
        .value_kind:     hidden_grid_dims
      - .offset:         264
        .size:           4
        .value_kind:     hidden_dynamic_lds_size
    .group_segment_fixed_size: 784
    .kernarg_segment_align: 8
    .kernarg_segment_size: 400
    .language:       OpenCL C
    .language_version:
      - 2
      - 0
    .max_flat_workgroup_size: 1024
    .name:           _ZN4vllm25paged_attention_v2_kernelIfhLi192ELi8ELi128ELNS_18Fp8KVCacheDataTypeE1ELb0ELi512EEEvPfS2_PT_PKS3_PKT0_S9_ifPKiSB_iPKfiiiSD_SD_iiiii
    .private_segment_fixed_size: 0
    .sgpr_count:     55
    .sgpr_spill_count: 0
    .symbol:         _ZN4vllm25paged_attention_v2_kernelIfhLi192ELi8ELi128ELNS_18Fp8KVCacheDataTypeE1ELb0ELi512EEEvPfS2_PT_PKS3_PKT0_S9_ifPKiSB_iPKfiiiSD_SD_iiiii.kd
    .uniform_work_group_size: 1
    .uses_dynamic_stack: false
    .vgpr_count:     76
    .vgpr_spill_count: 0
    .wavefront_size: 64
  - .agpr_count:     0
    .args:
      - .actual_access:  write_only
        .address_space:  global
        .offset:         0
        .size:           8
        .value_kind:     global_buffer
      - .actual_access:  write_only
        .address_space:  global
        .offset:         8
        .size:           8
        .value_kind:     global_buffer
      - .actual_access:  write_only
        .address_space:  global
        .offset:         16
        .size:           8
        .value_kind:     global_buffer
      - .actual_access:  read_only
        .address_space:  global
        .offset:         24
        .size:           8
        .value_kind:     global_buffer
      - .actual_access:  read_only
        .address_space:  global
        .offset:         32
        .size:           8
        .value_kind:     global_buffer
      - .actual_access:  read_only
        .address_space:  global
        .offset:         40
        .size:           8
        .value_kind:     global_buffer
      - .offset:         48
        .size:           4
        .value_kind:     by_value
      - .offset:         52
        .size:           4
        .value_kind:     by_value
      - .actual_access:  read_only
        .address_space:  global
        .offset:         56
        .size:           8
        .value_kind:     global_buffer
      - .actual_access:  read_only
        .address_space:  global
        .offset:         64
        .size:           8
        .value_kind:     global_buffer
      - .offset:         72
        .size:           4
        .value_kind:     by_value
      - .actual_access:  read_only
        .address_space:  global
        .offset:         80
        .size:           8
        .value_kind:     global_buffer
      - .offset:         88
        .size:           4
        .value_kind:     by_value
      - .offset:         92
        .size:           4
        .value_kind:     by_value
      - .offset:         96
        .size:           4
        .value_kind:     by_value
      - .address_space:  global
        .offset:         104
        .size:           8
        .value_kind:     global_buffer
      - .address_space:  global
        .offset:         112
        .size:           8
        .value_kind:     global_buffer
      - .offset:         120
        .size:           4
        .value_kind:     by_value
      - .offset:         124
        .size:           4
        .value_kind:     by_value
      - .offset:         128
        .size:           4
        .value_kind:     by_value
      - .offset:         132
        .size:           4
        .value_kind:     by_value
      - .offset:         136
        .size:           4
        .value_kind:     by_value
      - .offset:         144
        .size:           4
        .value_kind:     hidden_block_count_x
      - .offset:         148
        .size:           4
        .value_kind:     hidden_block_count_y
      - .offset:         152
        .size:           4
        .value_kind:     hidden_block_count_z
      - .offset:         156
        .size:           2
        .value_kind:     hidden_group_size_x
      - .offset:         158
        .size:           2
        .value_kind:     hidden_group_size_y
      - .offset:         160
        .size:           2
        .value_kind:     hidden_group_size_z
      - .offset:         162
        .size:           2
        .value_kind:     hidden_remainder_x
      - .offset:         164
        .size:           2
        .value_kind:     hidden_remainder_y
      - .offset:         166
        .size:           2
        .value_kind:     hidden_remainder_z
      - .offset:         184
        .size:           8
        .value_kind:     hidden_global_offset_x
      - .offset:         192
        .size:           8
        .value_kind:     hidden_global_offset_y
      - .offset:         200
        .size:           8
        .value_kind:     hidden_global_offset_z
      - .offset:         208
        .size:           2
        .value_kind:     hidden_grid_dims
      - .offset:         264
        .size:           4
        .value_kind:     hidden_dynamic_lds_size
    .group_segment_fixed_size: 1040
    .kernarg_segment_align: 8
    .kernarg_segment_size: 400
    .language:       OpenCL C
    .language_version:
      - 2
      - 0
    .max_flat_workgroup_size: 1024
    .name:           _ZN4vllm25paged_attention_v2_kernelIfhLi256ELi8ELi128ELNS_18Fp8KVCacheDataTypeE1ELb0ELi512EEEvPfS2_PT_PKS3_PKT0_S9_ifPKiSB_iPKfiiiSD_SD_iiiii
    .private_segment_fixed_size: 0
    .sgpr_count:     55
    .sgpr_spill_count: 0
    .symbol:         _ZN4vllm25paged_attention_v2_kernelIfhLi256ELi8ELi128ELNS_18Fp8KVCacheDataTypeE1ELb0ELi512EEEvPfS2_PT_PKS3_PKT0_S9_ifPKiSB_iPKfiiiSD_SD_iiiii.kd
    .uniform_work_group_size: 1
    .uses_dynamic_stack: false
    .vgpr_count:     92
    .vgpr_spill_count: 0
    .wavefront_size: 64
  - .agpr_count:     0
    .args:
      - .actual_access:  write_only
        .address_space:  global
        .offset:         0
        .size:           8
        .value_kind:     global_buffer
      - .actual_access:  write_only
        .address_space:  global
        .offset:         8
        .size:           8
        .value_kind:     global_buffer
      - .actual_access:  write_only
        .address_space:  global
        .offset:         16
        .size:           8
        .value_kind:     global_buffer
      - .actual_access:  read_only
        .address_space:  global
        .offset:         24
        .size:           8
        .value_kind:     global_buffer
      - .actual_access:  read_only
        .address_space:  global
        .offset:         32
        .size:           8
        .value_kind:     global_buffer
      - .actual_access:  read_only
        .address_space:  global
        .offset:         40
        .size:           8
        .value_kind:     global_buffer
      - .offset:         48
        .size:           4
        .value_kind:     by_value
      - .offset:         52
        .size:           4
        .value_kind:     by_value
      - .actual_access:  read_only
        .address_space:  global
        .offset:         56
        .size:           8
        .value_kind:     global_buffer
      - .actual_access:  read_only
        .address_space:  global
        .offset:         64
        .size:           8
        .value_kind:     global_buffer
      - .offset:         72
        .size:           4
        .value_kind:     by_value
      - .actual_access:  read_only
        .address_space:  global
        .offset:         80
        .size:           8
        .value_kind:     global_buffer
      - .offset:         88
        .size:           4
        .value_kind:     by_value
      - .offset:         92
        .size:           4
        .value_kind:     by_value
      - .offset:         96
        .size:           4
        .value_kind:     by_value
      - .address_space:  global
        .offset:         104
        .size:           8
        .value_kind:     global_buffer
      - .address_space:  global
        .offset:         112
        .size:           8
        .value_kind:     global_buffer
      - .offset:         120
        .size:           4
        .value_kind:     by_value
      - .offset:         124
        .size:           4
        .value_kind:     by_value
      - .offset:         128
        .size:           4
        .value_kind:     by_value
      - .offset:         132
        .size:           4
        .value_kind:     by_value
      - .offset:         136
        .size:           4
        .value_kind:     by_value
      - .offset:         144
        .size:           4
        .value_kind:     hidden_block_count_x
      - .offset:         148
        .size:           4
        .value_kind:     hidden_block_count_y
      - .offset:         152
        .size:           4
        .value_kind:     hidden_block_count_z
      - .offset:         156
        .size:           2
        .value_kind:     hidden_group_size_x
      - .offset:         158
        .size:           2
        .value_kind:     hidden_group_size_y
      - .offset:         160
        .size:           2
        .value_kind:     hidden_group_size_z
      - .offset:         162
        .size:           2
        .value_kind:     hidden_remainder_x
      - .offset:         164
        .size:           2
        .value_kind:     hidden_remainder_y
      - .offset:         166
        .size:           2
        .value_kind:     hidden_remainder_z
      - .offset:         184
        .size:           8
        .value_kind:     hidden_global_offset_x
      - .offset:         192
        .size:           8
        .value_kind:     hidden_global_offset_y
      - .offset:         200
        .size:           8
        .value_kind:     hidden_global_offset_z
      - .offset:         208
        .size:           2
        .value_kind:     hidden_grid_dims
      - .offset:         264
        .size:           4
        .value_kind:     hidden_dynamic_lds_size
    .group_segment_fixed_size: 144
    .kernarg_segment_align: 8
    .kernarg_segment_size: 400
    .language:       OpenCL C
    .language_version:
      - 2
      - 0
    .max_flat_workgroup_size: 1024
    .name:           _ZN4vllm25paged_attention_v2_kernelIfhLi32ELi16ELi128ELNS_18Fp8KVCacheDataTypeE1ELb1ELi512EEEvPfS2_PT_PKS3_PKT0_S9_ifPKiSB_iPKfiiiSD_SD_iiiii
    .private_segment_fixed_size: 0
    .sgpr_count:     67
    .sgpr_spill_count: 0
    .symbol:         _ZN4vllm25paged_attention_v2_kernelIfhLi32ELi16ELi128ELNS_18Fp8KVCacheDataTypeE1ELb1ELi512EEEvPfS2_PT_PKS3_PKT0_S9_ifPKiSB_iPKfiiiSD_SD_iiiii.kd
    .uniform_work_group_size: 1
    .uses_dynamic_stack: false
    .vgpr_count:     50
    .vgpr_spill_count: 0
    .wavefront_size: 64
  - .agpr_count:     0
    .args:
      - .actual_access:  write_only
        .address_space:  global
        .offset:         0
        .size:           8
        .value_kind:     global_buffer
      - .actual_access:  write_only
        .address_space:  global
        .offset:         8
        .size:           8
        .value_kind:     global_buffer
      - .actual_access:  write_only
        .address_space:  global
        .offset:         16
        .size:           8
        .value_kind:     global_buffer
      - .actual_access:  read_only
        .address_space:  global
        .offset:         24
        .size:           8
        .value_kind:     global_buffer
      - .actual_access:  read_only
        .address_space:  global
        .offset:         32
        .size:           8
        .value_kind:     global_buffer
      - .actual_access:  read_only
        .address_space:  global
        .offset:         40
        .size:           8
        .value_kind:     global_buffer
      - .offset:         48
        .size:           4
        .value_kind:     by_value
      - .offset:         52
        .size:           4
        .value_kind:     by_value
      - .actual_access:  read_only
        .address_space:  global
        .offset:         56
        .size:           8
        .value_kind:     global_buffer
      - .actual_access:  read_only
        .address_space:  global
        .offset:         64
        .size:           8
        .value_kind:     global_buffer
      - .offset:         72
        .size:           4
        .value_kind:     by_value
      - .actual_access:  read_only
        .address_space:  global
        .offset:         80
        .size:           8
        .value_kind:     global_buffer
      - .offset:         88
        .size:           4
        .value_kind:     by_value
      - .offset:         92
        .size:           4
        .value_kind:     by_value
      - .offset:         96
        .size:           4
        .value_kind:     by_value
      - .address_space:  global
        .offset:         104
        .size:           8
        .value_kind:     global_buffer
      - .address_space:  global
        .offset:         112
        .size:           8
        .value_kind:     global_buffer
      - .offset:         120
        .size:           4
        .value_kind:     by_value
      - .offset:         124
        .size:           4
        .value_kind:     by_value
      - .offset:         128
        .size:           4
        .value_kind:     by_value
      - .offset:         132
        .size:           4
        .value_kind:     by_value
      - .offset:         136
        .size:           4
        .value_kind:     by_value
      - .offset:         144
        .size:           4
        .value_kind:     hidden_block_count_x
      - .offset:         148
        .size:           4
        .value_kind:     hidden_block_count_y
      - .offset:         152
        .size:           4
        .value_kind:     hidden_block_count_z
      - .offset:         156
        .size:           2
        .value_kind:     hidden_group_size_x
      - .offset:         158
        .size:           2
        .value_kind:     hidden_group_size_y
      - .offset:         160
        .size:           2
        .value_kind:     hidden_group_size_z
      - .offset:         162
        .size:           2
        .value_kind:     hidden_remainder_x
      - .offset:         164
        .size:           2
        .value_kind:     hidden_remainder_y
      - .offset:         166
        .size:           2
        .value_kind:     hidden_remainder_z
      - .offset:         184
        .size:           8
        .value_kind:     hidden_global_offset_x
      - .offset:         192
        .size:           8
        .value_kind:     hidden_global_offset_y
      - .offset:         200
        .size:           8
        .value_kind:     hidden_global_offset_z
      - .offset:         208
        .size:           2
        .value_kind:     hidden_grid_dims
      - .offset:         264
        .size:           4
        .value_kind:     hidden_dynamic_lds_size
    .group_segment_fixed_size: 272
    .kernarg_segment_align: 8
    .kernarg_segment_size: 400
    .language:       OpenCL C
    .language_version:
      - 2
      - 0
    .max_flat_workgroup_size: 1024
    .name:           _ZN4vllm25paged_attention_v2_kernelIfhLi64ELi16ELi128ELNS_18Fp8KVCacheDataTypeE1ELb1ELi512EEEvPfS2_PT_PKS3_PKT0_S9_ifPKiSB_iPKfiiiSD_SD_iiiii
    .private_segment_fixed_size: 0
    .sgpr_count:     69
    .sgpr_spill_count: 0
    .symbol:         _ZN4vllm25paged_attention_v2_kernelIfhLi64ELi16ELi128ELNS_18Fp8KVCacheDataTypeE1ELb1ELi512EEEvPfS2_PT_PKS3_PKT0_S9_ifPKiSB_iPKfiiiSD_SD_iiiii.kd
    .uniform_work_group_size: 1
    .uses_dynamic_stack: false
    .vgpr_count:     66
    .vgpr_spill_count: 0
    .wavefront_size: 64
  - .agpr_count:     0
    .args:
      - .actual_access:  write_only
        .address_space:  global
        .offset:         0
        .size:           8
        .value_kind:     global_buffer
      - .actual_access:  write_only
        .address_space:  global
        .offset:         8
        .size:           8
        .value_kind:     global_buffer
      - .actual_access:  write_only
        .address_space:  global
        .offset:         16
        .size:           8
        .value_kind:     global_buffer
      - .actual_access:  read_only
        .address_space:  global
        .offset:         24
        .size:           8
        .value_kind:     global_buffer
      - .actual_access:  read_only
        .address_space:  global
        .offset:         32
        .size:           8
        .value_kind:     global_buffer
      - .actual_access:  read_only
        .address_space:  global
        .offset:         40
        .size:           8
        .value_kind:     global_buffer
      - .offset:         48
        .size:           4
        .value_kind:     by_value
      - .offset:         52
        .size:           4
        .value_kind:     by_value
      - .actual_access:  read_only
        .address_space:  global
        .offset:         56
        .size:           8
        .value_kind:     global_buffer
      - .actual_access:  read_only
        .address_space:  global
        .offset:         64
        .size:           8
        .value_kind:     global_buffer
      - .offset:         72
        .size:           4
        .value_kind:     by_value
      - .actual_access:  read_only
        .address_space:  global
        .offset:         80
        .size:           8
        .value_kind:     global_buffer
      - .offset:         88
        .size:           4
        .value_kind:     by_value
      - .offset:         92
        .size:           4
        .value_kind:     by_value
      - .offset:         96
        .size:           4
        .value_kind:     by_value
      - .address_space:  global
        .offset:         104
        .size:           8
        .value_kind:     global_buffer
      - .address_space:  global
        .offset:         112
        .size:           8
        .value_kind:     global_buffer
      - .offset:         120
        .size:           4
        .value_kind:     by_value
      - .offset:         124
        .size:           4
        .value_kind:     by_value
      - .offset:         128
        .size:           4
        .value_kind:     by_value
      - .offset:         132
        .size:           4
        .value_kind:     by_value
      - .offset:         136
        .size:           4
        .value_kind:     by_value
      - .offset:         144
        .size:           4
        .value_kind:     hidden_block_count_x
      - .offset:         148
        .size:           4
        .value_kind:     hidden_block_count_y
      - .offset:         152
        .size:           4
        .value_kind:     hidden_block_count_z
      - .offset:         156
        .size:           2
        .value_kind:     hidden_group_size_x
      - .offset:         158
        .size:           2
        .value_kind:     hidden_group_size_y
      - .offset:         160
        .size:           2
        .value_kind:     hidden_group_size_z
      - .offset:         162
        .size:           2
        .value_kind:     hidden_remainder_x
      - .offset:         164
        .size:           2
        .value_kind:     hidden_remainder_y
      - .offset:         166
        .size:           2
        .value_kind:     hidden_remainder_z
      - .offset:         184
        .size:           8
        .value_kind:     hidden_global_offset_x
      - .offset:         192
        .size:           8
        .value_kind:     hidden_global_offset_y
      - .offset:         200
        .size:           8
        .value_kind:     hidden_global_offset_z
      - .offset:         208
        .size:           2
        .value_kind:     hidden_grid_dims
      - .offset:         264
        .size:           4
        .value_kind:     hidden_dynamic_lds_size
    .group_segment_fixed_size: 336
    .kernarg_segment_align: 8
    .kernarg_segment_size: 400
    .language:       OpenCL C
    .language_version:
      - 2
      - 0
    .max_flat_workgroup_size: 1024
    .name:           _ZN4vllm25paged_attention_v2_kernelIfhLi80ELi16ELi128ELNS_18Fp8KVCacheDataTypeE1ELb1ELi512EEEvPfS2_PT_PKS3_PKT0_S9_ifPKiSB_iPKfiiiSD_SD_iiiii
    .private_segment_fixed_size: 0
    .sgpr_count:     67
    .sgpr_spill_count: 0
    .symbol:         _ZN4vllm25paged_attention_v2_kernelIfhLi80ELi16ELi128ELNS_18Fp8KVCacheDataTypeE1ELb1ELi512EEEvPfS2_PT_PKS3_PKT0_S9_ifPKiSB_iPKfiiiSD_SD_iiiii.kd
    .uniform_work_group_size: 1
    .uses_dynamic_stack: false
    .vgpr_count:     74
    .vgpr_spill_count: 0
    .wavefront_size: 64
  - .agpr_count:     0
    .args:
      - .actual_access:  write_only
        .address_space:  global
        .offset:         0
        .size:           8
        .value_kind:     global_buffer
      - .actual_access:  write_only
        .address_space:  global
        .offset:         8
        .size:           8
        .value_kind:     global_buffer
      - .actual_access:  write_only
        .address_space:  global
        .offset:         16
        .size:           8
        .value_kind:     global_buffer
      - .actual_access:  read_only
        .address_space:  global
        .offset:         24
        .size:           8
        .value_kind:     global_buffer
      - .actual_access:  read_only
        .address_space:  global
        .offset:         32
        .size:           8
        .value_kind:     global_buffer
      - .actual_access:  read_only
        .address_space:  global
        .offset:         40
        .size:           8
        .value_kind:     global_buffer
      - .offset:         48
        .size:           4
        .value_kind:     by_value
      - .offset:         52
        .size:           4
        .value_kind:     by_value
      - .actual_access:  read_only
        .address_space:  global
        .offset:         56
        .size:           8
        .value_kind:     global_buffer
      - .actual_access:  read_only
        .address_space:  global
        .offset:         64
        .size:           8
        .value_kind:     global_buffer
      - .offset:         72
        .size:           4
        .value_kind:     by_value
      - .actual_access:  read_only
        .address_space:  global
        .offset:         80
        .size:           8
        .value_kind:     global_buffer
      - .offset:         88
        .size:           4
        .value_kind:     by_value
      - .offset:         92
        .size:           4
        .value_kind:     by_value
      - .offset:         96
        .size:           4
        .value_kind:     by_value
      - .address_space:  global
        .offset:         104
        .size:           8
        .value_kind:     global_buffer
      - .address_space:  global
        .offset:         112
        .size:           8
        .value_kind:     global_buffer
      - .offset:         120
        .size:           4
        .value_kind:     by_value
      - .offset:         124
        .size:           4
        .value_kind:     by_value
      - .offset:         128
        .size:           4
        .value_kind:     by_value
      - .offset:         132
        .size:           4
        .value_kind:     by_value
      - .offset:         136
        .size:           4
        .value_kind:     by_value
      - .offset:         144
        .size:           4
        .value_kind:     hidden_block_count_x
      - .offset:         148
        .size:           4
        .value_kind:     hidden_block_count_y
      - .offset:         152
        .size:           4
        .value_kind:     hidden_block_count_z
      - .offset:         156
        .size:           2
        .value_kind:     hidden_group_size_x
      - .offset:         158
        .size:           2
        .value_kind:     hidden_group_size_y
      - .offset:         160
        .size:           2
        .value_kind:     hidden_group_size_z
      - .offset:         162
        .size:           2
        .value_kind:     hidden_remainder_x
      - .offset:         164
        .size:           2
        .value_kind:     hidden_remainder_y
      - .offset:         166
        .size:           2
        .value_kind:     hidden_remainder_z
      - .offset:         184
        .size:           8
        .value_kind:     hidden_global_offset_x
      - .offset:         192
        .size:           8
        .value_kind:     hidden_global_offset_y
      - .offset:         200
        .size:           8
        .value_kind:     hidden_global_offset_z
      - .offset:         208
        .size:           2
        .value_kind:     hidden_grid_dims
      - .offset:         264
        .size:           4
        .value_kind:     hidden_dynamic_lds_size
    .group_segment_fixed_size: 400
    .kernarg_segment_align: 8
    .kernarg_segment_size: 400
    .language:       OpenCL C
    .language_version:
      - 2
      - 0
    .max_flat_workgroup_size: 1024
    .name:           _ZN4vllm25paged_attention_v2_kernelIfhLi96ELi16ELi128ELNS_18Fp8KVCacheDataTypeE1ELb1ELi512EEEvPfS2_PT_PKS3_PKT0_S9_ifPKiSB_iPKfiiiSD_SD_iiiii
    .private_segment_fixed_size: 0
    .sgpr_count:     67
    .sgpr_spill_count: 0
    .symbol:         _ZN4vllm25paged_attention_v2_kernelIfhLi96ELi16ELi128ELNS_18Fp8KVCacheDataTypeE1ELb1ELi512EEEvPfS2_PT_PKS3_PKT0_S9_ifPKiSB_iPKfiiiSD_SD_iiiii.kd
    .uniform_work_group_size: 1
    .uses_dynamic_stack: false
    .vgpr_count:     82
    .vgpr_spill_count: 0
    .wavefront_size: 64
  - .agpr_count:     0
    .args:
      - .actual_access:  write_only
        .address_space:  global
        .offset:         0
        .size:           8
        .value_kind:     global_buffer
      - .actual_access:  write_only
        .address_space:  global
        .offset:         8
        .size:           8
        .value_kind:     global_buffer
      - .actual_access:  write_only
        .address_space:  global
        .offset:         16
        .size:           8
        .value_kind:     global_buffer
      - .actual_access:  read_only
        .address_space:  global
        .offset:         24
        .size:           8
        .value_kind:     global_buffer
      - .actual_access:  read_only
        .address_space:  global
        .offset:         32
        .size:           8
        .value_kind:     global_buffer
      - .actual_access:  read_only
        .address_space:  global
        .offset:         40
        .size:           8
        .value_kind:     global_buffer
      - .offset:         48
        .size:           4
        .value_kind:     by_value
      - .offset:         52
        .size:           4
        .value_kind:     by_value
      - .actual_access:  read_only
        .address_space:  global
        .offset:         56
        .size:           8
        .value_kind:     global_buffer
      - .actual_access:  read_only
        .address_space:  global
        .offset:         64
        .size:           8
        .value_kind:     global_buffer
      - .offset:         72
        .size:           4
        .value_kind:     by_value
      - .actual_access:  read_only
        .address_space:  global
        .offset:         80
        .size:           8
        .value_kind:     global_buffer
      - .offset:         88
        .size:           4
        .value_kind:     by_value
      - .offset:         92
        .size:           4
        .value_kind:     by_value
      - .offset:         96
        .size:           4
        .value_kind:     by_value
      - .address_space:  global
        .offset:         104
        .size:           8
        .value_kind:     global_buffer
      - .address_space:  global
        .offset:         112
        .size:           8
        .value_kind:     global_buffer
      - .offset:         120
        .size:           4
        .value_kind:     by_value
      - .offset:         124
        .size:           4
        .value_kind:     by_value
      - .offset:         128
        .size:           4
        .value_kind:     by_value
      - .offset:         132
        .size:           4
        .value_kind:     by_value
      - .offset:         136
        .size:           4
        .value_kind:     by_value
      - .offset:         144
        .size:           4
        .value_kind:     hidden_block_count_x
      - .offset:         148
        .size:           4
        .value_kind:     hidden_block_count_y
      - .offset:         152
        .size:           4
        .value_kind:     hidden_block_count_z
      - .offset:         156
        .size:           2
        .value_kind:     hidden_group_size_x
      - .offset:         158
        .size:           2
        .value_kind:     hidden_group_size_y
      - .offset:         160
        .size:           2
        .value_kind:     hidden_group_size_z
      - .offset:         162
        .size:           2
        .value_kind:     hidden_remainder_x
      - .offset:         164
        .size:           2
        .value_kind:     hidden_remainder_y
      - .offset:         166
        .size:           2
        .value_kind:     hidden_remainder_z
      - .offset:         184
        .size:           8
        .value_kind:     hidden_global_offset_x
      - .offset:         192
        .size:           8
        .value_kind:     hidden_global_offset_y
      - .offset:         200
        .size:           8
        .value_kind:     hidden_global_offset_z
      - .offset:         208
        .size:           2
        .value_kind:     hidden_grid_dims
      - .offset:         264
        .size:           4
        .value_kind:     hidden_dynamic_lds_size
    .group_segment_fixed_size: 464
    .kernarg_segment_align: 8
    .kernarg_segment_size: 400
    .language:       OpenCL C
    .language_version:
      - 2
      - 0
    .max_flat_workgroup_size: 1024
    .name:           _ZN4vllm25paged_attention_v2_kernelIfhLi112ELi16ELi128ELNS_18Fp8KVCacheDataTypeE1ELb1ELi512EEEvPfS2_PT_PKS3_PKT0_S9_ifPKiSB_iPKfiiiSD_SD_iiiii
    .private_segment_fixed_size: 0
    .sgpr_count:     67
    .sgpr_spill_count: 0
    .symbol:         _ZN4vllm25paged_attention_v2_kernelIfhLi112ELi16ELi128ELNS_18Fp8KVCacheDataTypeE1ELb1ELi512EEEvPfS2_PT_PKS3_PKT0_S9_ifPKiSB_iPKfiiiSD_SD_iiiii.kd
    .uniform_work_group_size: 1
    .uses_dynamic_stack: false
    .vgpr_count:     90
    .vgpr_spill_count: 0
    .wavefront_size: 64
  - .agpr_count:     0
    .args:
      - .actual_access:  write_only
        .address_space:  global
        .offset:         0
        .size:           8
        .value_kind:     global_buffer
      - .actual_access:  write_only
        .address_space:  global
        .offset:         8
        .size:           8
        .value_kind:     global_buffer
      - .actual_access:  write_only
        .address_space:  global
        .offset:         16
        .size:           8
        .value_kind:     global_buffer
      - .actual_access:  read_only
        .address_space:  global
        .offset:         24
        .size:           8
        .value_kind:     global_buffer
      - .actual_access:  read_only
        .address_space:  global
        .offset:         32
        .size:           8
        .value_kind:     global_buffer
      - .actual_access:  read_only
        .address_space:  global
        .offset:         40
        .size:           8
        .value_kind:     global_buffer
      - .offset:         48
        .size:           4
        .value_kind:     by_value
      - .offset:         52
        .size:           4
        .value_kind:     by_value
      - .actual_access:  read_only
        .address_space:  global
        .offset:         56
        .size:           8
        .value_kind:     global_buffer
      - .actual_access:  read_only
        .address_space:  global
        .offset:         64
        .size:           8
        .value_kind:     global_buffer
      - .offset:         72
        .size:           4
        .value_kind:     by_value
      - .actual_access:  read_only
        .address_space:  global
        .offset:         80
        .size:           8
        .value_kind:     global_buffer
      - .offset:         88
        .size:           4
        .value_kind:     by_value
      - .offset:         92
        .size:           4
        .value_kind:     by_value
      - .offset:         96
        .size:           4
        .value_kind:     by_value
      - .address_space:  global
        .offset:         104
        .size:           8
        .value_kind:     global_buffer
      - .address_space:  global
        .offset:         112
        .size:           8
        .value_kind:     global_buffer
      - .offset:         120
        .size:           4
        .value_kind:     by_value
      - .offset:         124
        .size:           4
        .value_kind:     by_value
      - .offset:         128
        .size:           4
        .value_kind:     by_value
      - .offset:         132
        .size:           4
        .value_kind:     by_value
      - .offset:         136
        .size:           4
        .value_kind:     by_value
      - .offset:         144
        .size:           4
        .value_kind:     hidden_block_count_x
      - .offset:         148
        .size:           4
        .value_kind:     hidden_block_count_y
      - .offset:         152
        .size:           4
        .value_kind:     hidden_block_count_z
      - .offset:         156
        .size:           2
        .value_kind:     hidden_group_size_x
      - .offset:         158
        .size:           2
        .value_kind:     hidden_group_size_y
      - .offset:         160
        .size:           2
        .value_kind:     hidden_group_size_z
      - .offset:         162
        .size:           2
        .value_kind:     hidden_remainder_x
      - .offset:         164
        .size:           2
        .value_kind:     hidden_remainder_y
      - .offset:         166
        .size:           2
        .value_kind:     hidden_remainder_z
      - .offset:         184
        .size:           8
        .value_kind:     hidden_global_offset_x
      - .offset:         192
        .size:           8
        .value_kind:     hidden_global_offset_y
      - .offset:         200
        .size:           8
        .value_kind:     hidden_global_offset_z
      - .offset:         208
        .size:           2
        .value_kind:     hidden_grid_dims
      - .offset:         264
        .size:           4
        .value_kind:     hidden_dynamic_lds_size
    .group_segment_fixed_size: 496
    .kernarg_segment_align: 8
    .kernarg_segment_size: 400
    .language:       OpenCL C
    .language_version:
      - 2
      - 0
    .max_flat_workgroup_size: 1024
    .name:           _ZN4vllm25paged_attention_v2_kernelIfhLi120ELi16ELi128ELNS_18Fp8KVCacheDataTypeE1ELb1ELi512EEEvPfS2_PT_PKS3_PKT0_S9_ifPKiSB_iPKfiiiSD_SD_iiiii
    .private_segment_fixed_size: 0
    .sgpr_count:     67
    .sgpr_spill_count: 0
    .symbol:         _ZN4vllm25paged_attention_v2_kernelIfhLi120ELi16ELi128ELNS_18Fp8KVCacheDataTypeE1ELb1ELi512EEEvPfS2_PT_PKS3_PKT0_S9_ifPKiSB_iPKfiiiSD_SD_iiiii.kd
    .uniform_work_group_size: 1
    .uses_dynamic_stack: false
    .vgpr_count:     94
    .vgpr_spill_count: 0
    .wavefront_size: 64
  - .agpr_count:     0
    .args:
      - .actual_access:  write_only
        .address_space:  global
        .offset:         0
        .size:           8
        .value_kind:     global_buffer
      - .actual_access:  write_only
        .address_space:  global
        .offset:         8
        .size:           8
        .value_kind:     global_buffer
      - .actual_access:  write_only
        .address_space:  global
        .offset:         16
        .size:           8
        .value_kind:     global_buffer
      - .actual_access:  read_only
        .address_space:  global
        .offset:         24
        .size:           8
        .value_kind:     global_buffer
      - .actual_access:  read_only
        .address_space:  global
        .offset:         32
        .size:           8
        .value_kind:     global_buffer
      - .actual_access:  read_only
        .address_space:  global
        .offset:         40
        .size:           8
        .value_kind:     global_buffer
      - .offset:         48
        .size:           4
        .value_kind:     by_value
      - .offset:         52
        .size:           4
        .value_kind:     by_value
      - .actual_access:  read_only
        .address_space:  global
        .offset:         56
        .size:           8
        .value_kind:     global_buffer
      - .actual_access:  read_only
        .address_space:  global
        .offset:         64
        .size:           8
        .value_kind:     global_buffer
      - .offset:         72
        .size:           4
        .value_kind:     by_value
      - .actual_access:  read_only
        .address_space:  global
        .offset:         80
        .size:           8
        .value_kind:     global_buffer
      - .offset:         88
        .size:           4
        .value_kind:     by_value
      - .offset:         92
        .size:           4
        .value_kind:     by_value
      - .offset:         96
        .size:           4
        .value_kind:     by_value
      - .address_space:  global
        .offset:         104
        .size:           8
        .value_kind:     global_buffer
      - .address_space:  global
        .offset:         112
        .size:           8
        .value_kind:     global_buffer
      - .offset:         120
        .size:           4
        .value_kind:     by_value
      - .offset:         124
        .size:           4
        .value_kind:     by_value
      - .offset:         128
        .size:           4
        .value_kind:     by_value
      - .offset:         132
        .size:           4
        .value_kind:     by_value
      - .offset:         136
        .size:           4
        .value_kind:     by_value
      - .offset:         144
        .size:           4
        .value_kind:     hidden_block_count_x
      - .offset:         148
        .size:           4
        .value_kind:     hidden_block_count_y
      - .offset:         152
        .size:           4
        .value_kind:     hidden_block_count_z
      - .offset:         156
        .size:           2
        .value_kind:     hidden_group_size_x
      - .offset:         158
        .size:           2
        .value_kind:     hidden_group_size_y
      - .offset:         160
        .size:           2
        .value_kind:     hidden_group_size_z
      - .offset:         162
        .size:           2
        .value_kind:     hidden_remainder_x
      - .offset:         164
        .size:           2
        .value_kind:     hidden_remainder_y
      - .offset:         166
        .size:           2
        .value_kind:     hidden_remainder_z
      - .offset:         184
        .size:           8
        .value_kind:     hidden_global_offset_x
      - .offset:         192
        .size:           8
        .value_kind:     hidden_global_offset_y
      - .offset:         200
        .size:           8
        .value_kind:     hidden_global_offset_z
      - .offset:         208
        .size:           2
        .value_kind:     hidden_grid_dims
      - .offset:         264
        .size:           4
        .value_kind:     hidden_dynamic_lds_size
    .group_segment_fixed_size: 528
    .kernarg_segment_align: 8
    .kernarg_segment_size: 400
    .language:       OpenCL C
    .language_version:
      - 2
      - 0
    .max_flat_workgroup_size: 1024
    .name:           _ZN4vllm25paged_attention_v2_kernelIfhLi128ELi16ELi128ELNS_18Fp8KVCacheDataTypeE1ELb1ELi512EEEvPfS2_PT_PKS3_PKT0_S9_ifPKiSB_iPKfiiiSD_SD_iiiii
    .private_segment_fixed_size: 0
    .sgpr_count:     67
    .sgpr_spill_count: 0
    .symbol:         _ZN4vllm25paged_attention_v2_kernelIfhLi128ELi16ELi128ELNS_18Fp8KVCacheDataTypeE1ELb1ELi512EEEvPfS2_PT_PKS3_PKT0_S9_ifPKiSB_iPKfiiiSD_SD_iiiii.kd
    .uniform_work_group_size: 1
    .uses_dynamic_stack: false
    .vgpr_count:     98
    .vgpr_spill_count: 0
    .wavefront_size: 64
  - .agpr_count:     0
    .args:
      - .actual_access:  write_only
        .address_space:  global
        .offset:         0
        .size:           8
        .value_kind:     global_buffer
      - .actual_access:  write_only
        .address_space:  global
        .offset:         8
        .size:           8
        .value_kind:     global_buffer
      - .actual_access:  write_only
        .address_space:  global
        .offset:         16
        .size:           8
        .value_kind:     global_buffer
      - .actual_access:  read_only
        .address_space:  global
        .offset:         24
        .size:           8
        .value_kind:     global_buffer
      - .actual_access:  read_only
        .address_space:  global
        .offset:         32
        .size:           8
        .value_kind:     global_buffer
      - .actual_access:  read_only
        .address_space:  global
        .offset:         40
        .size:           8
        .value_kind:     global_buffer
      - .offset:         48
        .size:           4
        .value_kind:     by_value
      - .offset:         52
        .size:           4
        .value_kind:     by_value
      - .actual_access:  read_only
        .address_space:  global
        .offset:         56
        .size:           8
        .value_kind:     global_buffer
      - .actual_access:  read_only
        .address_space:  global
        .offset:         64
        .size:           8
        .value_kind:     global_buffer
      - .offset:         72
        .size:           4
        .value_kind:     by_value
      - .actual_access:  read_only
        .address_space:  global
        .offset:         80
        .size:           8
        .value_kind:     global_buffer
      - .offset:         88
        .size:           4
        .value_kind:     by_value
      - .offset:         92
        .size:           4
        .value_kind:     by_value
      - .offset:         96
        .size:           4
        .value_kind:     by_value
      - .address_space:  global
        .offset:         104
        .size:           8
        .value_kind:     global_buffer
      - .address_space:  global
        .offset:         112
        .size:           8
        .value_kind:     global_buffer
      - .offset:         120
        .size:           4
        .value_kind:     by_value
      - .offset:         124
        .size:           4
        .value_kind:     by_value
      - .offset:         128
        .size:           4
        .value_kind:     by_value
      - .offset:         132
        .size:           4
        .value_kind:     by_value
      - .offset:         136
        .size:           4
        .value_kind:     by_value
      - .offset:         144
        .size:           4
        .value_kind:     hidden_block_count_x
      - .offset:         148
        .size:           4
        .value_kind:     hidden_block_count_y
      - .offset:         152
        .size:           4
        .value_kind:     hidden_block_count_z
      - .offset:         156
        .size:           2
        .value_kind:     hidden_group_size_x
      - .offset:         158
        .size:           2
        .value_kind:     hidden_group_size_y
      - .offset:         160
        .size:           2
        .value_kind:     hidden_group_size_z
      - .offset:         162
        .size:           2
        .value_kind:     hidden_remainder_x
      - .offset:         164
        .size:           2
        .value_kind:     hidden_remainder_y
      - .offset:         166
        .size:           2
        .value_kind:     hidden_remainder_z
      - .offset:         184
        .size:           8
        .value_kind:     hidden_global_offset_x
      - .offset:         192
        .size:           8
        .value_kind:     hidden_global_offset_y
      - .offset:         200
        .size:           8
        .value_kind:     hidden_global_offset_z
      - .offset:         208
        .size:           2
        .value_kind:     hidden_grid_dims
      - .offset:         264
        .size:           4
        .value_kind:     hidden_dynamic_lds_size
    .group_segment_fixed_size: 784
    .kernarg_segment_align: 8
    .kernarg_segment_size: 400
    .language:       OpenCL C
    .language_version:
      - 2
      - 0
    .max_flat_workgroup_size: 1024
    .name:           _ZN4vllm25paged_attention_v2_kernelIfhLi192ELi16ELi128ELNS_18Fp8KVCacheDataTypeE1ELb1ELi512EEEvPfS2_PT_PKS3_PKT0_S9_ifPKiSB_iPKfiiiSD_SD_iiiii
    .private_segment_fixed_size: 0
    .sgpr_count:     67
    .sgpr_spill_count: 0
    .symbol:         _ZN4vllm25paged_attention_v2_kernelIfhLi192ELi16ELi128ELNS_18Fp8KVCacheDataTypeE1ELb1ELi512EEEvPfS2_PT_PKS3_PKT0_S9_ifPKiSB_iPKfiiiSD_SD_iiiii.kd
    .uniform_work_group_size: 1
    .uses_dynamic_stack: false
    .vgpr_count:     127
    .vgpr_spill_count: 0
    .wavefront_size: 64
  - .agpr_count:     64
    .args:
      - .actual_access:  write_only
        .address_space:  global
        .offset:         0
        .size:           8
        .value_kind:     global_buffer
      - .actual_access:  write_only
        .address_space:  global
        .offset:         8
        .size:           8
        .value_kind:     global_buffer
      - .actual_access:  write_only
        .address_space:  global
        .offset:         16
        .size:           8
        .value_kind:     global_buffer
      - .actual_access:  read_only
        .address_space:  global
        .offset:         24
        .size:           8
        .value_kind:     global_buffer
      - .actual_access:  read_only
        .address_space:  global
        .offset:         32
        .size:           8
        .value_kind:     global_buffer
      - .actual_access:  read_only
        .address_space:  global
        .offset:         40
        .size:           8
        .value_kind:     global_buffer
      - .offset:         48
        .size:           4
        .value_kind:     by_value
      - .offset:         52
        .size:           4
        .value_kind:     by_value
      - .actual_access:  read_only
        .address_space:  global
        .offset:         56
        .size:           8
        .value_kind:     global_buffer
      - .actual_access:  read_only
        .address_space:  global
        .offset:         64
        .size:           8
        .value_kind:     global_buffer
      - .offset:         72
        .size:           4
        .value_kind:     by_value
      - .address_space:  global
        .offset:         80
        .size:           8
        .value_kind:     global_buffer
      - .offset:         88
        .size:           4
        .value_kind:     by_value
      - .offset:         92
        .size:           4
        .value_kind:     by_value
      - .offset:         96
        .size:           4
        .value_kind:     by_value
      - .address_space:  global
        .offset:         104
        .size:           8
        .value_kind:     global_buffer
      - .address_space:  global
        .offset:         112
        .size:           8
        .value_kind:     global_buffer
      - .offset:         120
        .size:           4
        .value_kind:     by_value
      - .offset:         124
        .size:           4
        .value_kind:     by_value
      - .offset:         128
        .size:           4
        .value_kind:     by_value
      - .offset:         132
        .size:           4
        .value_kind:     by_value
      - .offset:         136
        .size:           4
        .value_kind:     by_value
      - .offset:         144
        .size:           4
        .value_kind:     hidden_block_count_x
      - .offset:         148
        .size:           4
        .value_kind:     hidden_block_count_y
      - .offset:         152
        .size:           4
        .value_kind:     hidden_block_count_z
      - .offset:         156
        .size:           2
        .value_kind:     hidden_group_size_x
      - .offset:         158
        .size:           2
        .value_kind:     hidden_group_size_y
      - .offset:         160
        .size:           2
        .value_kind:     hidden_group_size_z
      - .offset:         162
        .size:           2
        .value_kind:     hidden_remainder_x
      - .offset:         164
        .size:           2
        .value_kind:     hidden_remainder_y
      - .offset:         166
        .size:           2
        .value_kind:     hidden_remainder_z
      - .offset:         184
        .size:           8
        .value_kind:     hidden_global_offset_x
      - .offset:         192
        .size:           8
        .value_kind:     hidden_global_offset_y
      - .offset:         200
        .size:           8
        .value_kind:     hidden_global_offset_z
      - .offset:         208
        .size:           2
        .value_kind:     hidden_grid_dims
      - .offset:         264
        .size:           4
        .value_kind:     hidden_dynamic_lds_size
    .group_segment_fixed_size: 1040
    .kernarg_segment_align: 8
    .kernarg_segment_size: 400
    .language:       OpenCL C
    .language_version:
      - 2
      - 0
    .max_flat_workgroup_size: 1024
    .name:           _ZN4vllm25paged_attention_v2_kernelIfhLi256ELi16ELi128ELNS_18Fp8KVCacheDataTypeE1ELb1ELi512EEEvPfS2_PT_PKS3_PKT0_S9_ifPKiSB_iPKfiiiSD_SD_iiiii
    .private_segment_fixed_size: 412
    .sgpr_count:     54
    .sgpr_spill_count: 0
    .symbol:         _ZN4vllm25paged_attention_v2_kernelIfhLi256ELi16ELi128ELNS_18Fp8KVCacheDataTypeE1ELb1ELi512EEEvPfS2_PT_PKS3_PKT0_S9_ifPKiSB_iPKfiiiSD_SD_iiiii.kd
    .uniform_work_group_size: 1
    .uses_dynamic_stack: false
    .vgpr_count:     128
    .vgpr_spill_count: 0
    .wavefront_size: 64
  - .agpr_count:     0
    .args:
      - .actual_access:  write_only
        .address_space:  global
        .offset:         0
        .size:           8
        .value_kind:     global_buffer
      - .actual_access:  write_only
        .address_space:  global
        .offset:         8
        .size:           8
        .value_kind:     global_buffer
      - .actual_access:  write_only
        .address_space:  global
        .offset:         16
        .size:           8
        .value_kind:     global_buffer
      - .actual_access:  read_only
        .address_space:  global
        .offset:         24
        .size:           8
        .value_kind:     global_buffer
      - .actual_access:  read_only
        .address_space:  global
        .offset:         32
        .size:           8
        .value_kind:     global_buffer
      - .actual_access:  read_only
        .address_space:  global
        .offset:         40
        .size:           8
        .value_kind:     global_buffer
      - .offset:         48
        .size:           4
        .value_kind:     by_value
      - .offset:         52
        .size:           4
        .value_kind:     by_value
      - .actual_access:  read_only
        .address_space:  global
        .offset:         56
        .size:           8
        .value_kind:     global_buffer
      - .actual_access:  read_only
        .address_space:  global
        .offset:         64
        .size:           8
        .value_kind:     global_buffer
      - .offset:         72
        .size:           4
        .value_kind:     by_value
      - .actual_access:  read_only
        .address_space:  global
        .offset:         80
        .size:           8
        .value_kind:     global_buffer
      - .offset:         88
        .size:           4
        .value_kind:     by_value
      - .offset:         92
        .size:           4
        .value_kind:     by_value
      - .offset:         96
        .size:           4
        .value_kind:     by_value
      - .address_space:  global
        .offset:         104
        .size:           8
        .value_kind:     global_buffer
      - .address_space:  global
        .offset:         112
        .size:           8
        .value_kind:     global_buffer
      - .offset:         120
        .size:           4
        .value_kind:     by_value
      - .offset:         124
        .size:           4
        .value_kind:     by_value
      - .offset:         128
        .size:           4
        .value_kind:     by_value
      - .offset:         132
        .size:           4
        .value_kind:     by_value
      - .offset:         136
        .size:           4
        .value_kind:     by_value
      - .offset:         144
        .size:           4
        .value_kind:     hidden_block_count_x
      - .offset:         148
        .size:           4
        .value_kind:     hidden_block_count_y
      - .offset:         152
        .size:           4
        .value_kind:     hidden_block_count_z
      - .offset:         156
        .size:           2
        .value_kind:     hidden_group_size_x
      - .offset:         158
        .size:           2
        .value_kind:     hidden_group_size_y
      - .offset:         160
        .size:           2
        .value_kind:     hidden_group_size_z
      - .offset:         162
        .size:           2
        .value_kind:     hidden_remainder_x
      - .offset:         164
        .size:           2
        .value_kind:     hidden_remainder_y
      - .offset:         166
        .size:           2
        .value_kind:     hidden_remainder_z
      - .offset:         184
        .size:           8
        .value_kind:     hidden_global_offset_x
      - .offset:         192
        .size:           8
        .value_kind:     hidden_global_offset_y
      - .offset:         200
        .size:           8
        .value_kind:     hidden_global_offset_z
      - .offset:         208
        .size:           2
        .value_kind:     hidden_grid_dims
      - .offset:         264
        .size:           4
        .value_kind:     hidden_dynamic_lds_size
    .group_segment_fixed_size: 144
    .kernarg_segment_align: 8
    .kernarg_segment_size: 400
    .language:       OpenCL C
    .language_version:
      - 2
      - 0
    .max_flat_workgroup_size: 1024
    .name:           _ZN4vllm25paged_attention_v2_kernelIfhLi32ELi16ELi128ELNS_18Fp8KVCacheDataTypeE1ELb0ELi512EEEvPfS2_PT_PKS3_PKT0_S9_ifPKiSB_iPKfiiiSD_SD_iiiii
    .private_segment_fixed_size: 0
    .sgpr_count:     55
    .sgpr_spill_count: 0
    .symbol:         _ZN4vllm25paged_attention_v2_kernelIfhLi32ELi16ELi128ELNS_18Fp8KVCacheDataTypeE1ELb0ELi512EEEvPfS2_PT_PKS3_PKT0_S9_ifPKiSB_iPKfiiiSD_SD_iiiii.kd
    .uniform_work_group_size: 1
    .uses_dynamic_stack: false
    .vgpr_count:     46
    .vgpr_spill_count: 0
    .wavefront_size: 64
  - .agpr_count:     0
    .args:
      - .actual_access:  write_only
        .address_space:  global
        .offset:         0
        .size:           8
        .value_kind:     global_buffer
      - .actual_access:  write_only
        .address_space:  global
        .offset:         8
        .size:           8
        .value_kind:     global_buffer
      - .actual_access:  write_only
        .address_space:  global
        .offset:         16
        .size:           8
        .value_kind:     global_buffer
      - .actual_access:  read_only
        .address_space:  global
        .offset:         24
        .size:           8
        .value_kind:     global_buffer
      - .actual_access:  read_only
        .address_space:  global
        .offset:         32
        .size:           8
        .value_kind:     global_buffer
      - .actual_access:  read_only
        .address_space:  global
        .offset:         40
        .size:           8
        .value_kind:     global_buffer
      - .offset:         48
        .size:           4
        .value_kind:     by_value
      - .offset:         52
        .size:           4
        .value_kind:     by_value
      - .actual_access:  read_only
        .address_space:  global
        .offset:         56
        .size:           8
        .value_kind:     global_buffer
      - .actual_access:  read_only
        .address_space:  global
        .offset:         64
        .size:           8
        .value_kind:     global_buffer
      - .offset:         72
        .size:           4
        .value_kind:     by_value
      - .actual_access:  read_only
        .address_space:  global
        .offset:         80
        .size:           8
        .value_kind:     global_buffer
      - .offset:         88
        .size:           4
        .value_kind:     by_value
      - .offset:         92
        .size:           4
        .value_kind:     by_value
      - .offset:         96
        .size:           4
        .value_kind:     by_value
      - .address_space:  global
        .offset:         104
        .size:           8
        .value_kind:     global_buffer
      - .address_space:  global
        .offset:         112
        .size:           8
        .value_kind:     global_buffer
      - .offset:         120
        .size:           4
        .value_kind:     by_value
      - .offset:         124
        .size:           4
        .value_kind:     by_value
      - .offset:         128
        .size:           4
        .value_kind:     by_value
      - .offset:         132
        .size:           4
        .value_kind:     by_value
      - .offset:         136
        .size:           4
        .value_kind:     by_value
      - .offset:         144
        .size:           4
        .value_kind:     hidden_block_count_x
      - .offset:         148
        .size:           4
        .value_kind:     hidden_block_count_y
      - .offset:         152
        .size:           4
        .value_kind:     hidden_block_count_z
      - .offset:         156
        .size:           2
        .value_kind:     hidden_group_size_x
      - .offset:         158
        .size:           2
        .value_kind:     hidden_group_size_y
      - .offset:         160
        .size:           2
        .value_kind:     hidden_group_size_z
      - .offset:         162
        .size:           2
        .value_kind:     hidden_remainder_x
      - .offset:         164
        .size:           2
        .value_kind:     hidden_remainder_y
      - .offset:         166
        .size:           2
        .value_kind:     hidden_remainder_z
      - .offset:         184
        .size:           8
        .value_kind:     hidden_global_offset_x
      - .offset:         192
        .size:           8
        .value_kind:     hidden_global_offset_y
      - .offset:         200
        .size:           8
        .value_kind:     hidden_global_offset_z
      - .offset:         208
        .size:           2
        .value_kind:     hidden_grid_dims
      - .offset:         264
        .size:           4
        .value_kind:     hidden_dynamic_lds_size
    .group_segment_fixed_size: 272
    .kernarg_segment_align: 8
    .kernarg_segment_size: 400
    .language:       OpenCL C
    .language_version:
      - 2
      - 0
    .max_flat_workgroup_size: 1024
    .name:           _ZN4vllm25paged_attention_v2_kernelIfhLi64ELi16ELi128ELNS_18Fp8KVCacheDataTypeE1ELb0ELi512EEEvPfS2_PT_PKS3_PKT0_S9_ifPKiSB_iPKfiiiSD_SD_iiiii
    .private_segment_fixed_size: 0
    .sgpr_count:     57
    .sgpr_spill_count: 0
    .symbol:         _ZN4vllm25paged_attention_v2_kernelIfhLi64ELi16ELi128ELNS_18Fp8KVCacheDataTypeE1ELb0ELi512EEEvPfS2_PT_PKS3_PKT0_S9_ifPKiSB_iPKfiiiSD_SD_iiiii.kd
    .uniform_work_group_size: 1
    .uses_dynamic_stack: false
    .vgpr_count:     62
    .vgpr_spill_count: 0
    .wavefront_size: 64
  - .agpr_count:     0
    .args:
      - .actual_access:  write_only
        .address_space:  global
        .offset:         0
        .size:           8
        .value_kind:     global_buffer
      - .actual_access:  write_only
        .address_space:  global
        .offset:         8
        .size:           8
        .value_kind:     global_buffer
      - .actual_access:  write_only
        .address_space:  global
        .offset:         16
        .size:           8
        .value_kind:     global_buffer
      - .actual_access:  read_only
        .address_space:  global
        .offset:         24
        .size:           8
        .value_kind:     global_buffer
      - .actual_access:  read_only
        .address_space:  global
        .offset:         32
        .size:           8
        .value_kind:     global_buffer
      - .actual_access:  read_only
        .address_space:  global
        .offset:         40
        .size:           8
        .value_kind:     global_buffer
      - .offset:         48
        .size:           4
        .value_kind:     by_value
      - .offset:         52
        .size:           4
        .value_kind:     by_value
      - .actual_access:  read_only
        .address_space:  global
        .offset:         56
        .size:           8
        .value_kind:     global_buffer
      - .actual_access:  read_only
        .address_space:  global
        .offset:         64
        .size:           8
        .value_kind:     global_buffer
      - .offset:         72
        .size:           4
        .value_kind:     by_value
      - .actual_access:  read_only
        .address_space:  global
        .offset:         80
        .size:           8
        .value_kind:     global_buffer
      - .offset:         88
        .size:           4
        .value_kind:     by_value
      - .offset:         92
        .size:           4
        .value_kind:     by_value
      - .offset:         96
        .size:           4
        .value_kind:     by_value
      - .address_space:  global
        .offset:         104
        .size:           8
        .value_kind:     global_buffer
      - .address_space:  global
        .offset:         112
        .size:           8
        .value_kind:     global_buffer
      - .offset:         120
        .size:           4
        .value_kind:     by_value
      - .offset:         124
        .size:           4
        .value_kind:     by_value
      - .offset:         128
        .size:           4
        .value_kind:     by_value
      - .offset:         132
        .size:           4
        .value_kind:     by_value
      - .offset:         136
        .size:           4
        .value_kind:     by_value
      - .offset:         144
        .size:           4
        .value_kind:     hidden_block_count_x
      - .offset:         148
        .size:           4
        .value_kind:     hidden_block_count_y
      - .offset:         152
        .size:           4
        .value_kind:     hidden_block_count_z
      - .offset:         156
        .size:           2
        .value_kind:     hidden_group_size_x
      - .offset:         158
        .size:           2
        .value_kind:     hidden_group_size_y
      - .offset:         160
        .size:           2
        .value_kind:     hidden_group_size_z
      - .offset:         162
        .size:           2
        .value_kind:     hidden_remainder_x
      - .offset:         164
        .size:           2
        .value_kind:     hidden_remainder_y
      - .offset:         166
        .size:           2
        .value_kind:     hidden_remainder_z
      - .offset:         184
        .size:           8
        .value_kind:     hidden_global_offset_x
      - .offset:         192
        .size:           8
        .value_kind:     hidden_global_offset_y
      - .offset:         200
        .size:           8
        .value_kind:     hidden_global_offset_z
      - .offset:         208
        .size:           2
        .value_kind:     hidden_grid_dims
      - .offset:         264
        .size:           4
        .value_kind:     hidden_dynamic_lds_size
    .group_segment_fixed_size: 336
    .kernarg_segment_align: 8
    .kernarg_segment_size: 400
    .language:       OpenCL C
    .language_version:
      - 2
      - 0
    .max_flat_workgroup_size: 1024
    .name:           _ZN4vllm25paged_attention_v2_kernelIfhLi80ELi16ELi128ELNS_18Fp8KVCacheDataTypeE1ELb0ELi512EEEvPfS2_PT_PKS3_PKT0_S9_ifPKiSB_iPKfiiiSD_SD_iiiii
    .private_segment_fixed_size: 0
    .sgpr_count:     55
    .sgpr_spill_count: 0
    .symbol:         _ZN4vllm25paged_attention_v2_kernelIfhLi80ELi16ELi128ELNS_18Fp8KVCacheDataTypeE1ELb0ELi512EEEvPfS2_PT_PKS3_PKT0_S9_ifPKiSB_iPKfiiiSD_SD_iiiii.kd
    .uniform_work_group_size: 1
    .uses_dynamic_stack: false
    .vgpr_count:     70
    .vgpr_spill_count: 0
    .wavefront_size: 64
  - .agpr_count:     0
    .args:
      - .actual_access:  write_only
        .address_space:  global
        .offset:         0
        .size:           8
        .value_kind:     global_buffer
      - .actual_access:  write_only
        .address_space:  global
        .offset:         8
        .size:           8
        .value_kind:     global_buffer
      - .actual_access:  write_only
        .address_space:  global
        .offset:         16
        .size:           8
        .value_kind:     global_buffer
      - .actual_access:  read_only
        .address_space:  global
        .offset:         24
        .size:           8
        .value_kind:     global_buffer
      - .actual_access:  read_only
        .address_space:  global
        .offset:         32
        .size:           8
        .value_kind:     global_buffer
      - .actual_access:  read_only
        .address_space:  global
        .offset:         40
        .size:           8
        .value_kind:     global_buffer
      - .offset:         48
        .size:           4
        .value_kind:     by_value
      - .offset:         52
        .size:           4
        .value_kind:     by_value
      - .actual_access:  read_only
        .address_space:  global
        .offset:         56
        .size:           8
        .value_kind:     global_buffer
      - .actual_access:  read_only
        .address_space:  global
        .offset:         64
        .size:           8
        .value_kind:     global_buffer
      - .offset:         72
        .size:           4
        .value_kind:     by_value
      - .actual_access:  read_only
        .address_space:  global
        .offset:         80
        .size:           8
        .value_kind:     global_buffer
      - .offset:         88
        .size:           4
        .value_kind:     by_value
      - .offset:         92
        .size:           4
        .value_kind:     by_value
      - .offset:         96
        .size:           4
        .value_kind:     by_value
      - .address_space:  global
        .offset:         104
        .size:           8
        .value_kind:     global_buffer
      - .address_space:  global
        .offset:         112
        .size:           8
        .value_kind:     global_buffer
      - .offset:         120
        .size:           4
        .value_kind:     by_value
      - .offset:         124
        .size:           4
        .value_kind:     by_value
      - .offset:         128
        .size:           4
        .value_kind:     by_value
      - .offset:         132
        .size:           4
        .value_kind:     by_value
      - .offset:         136
        .size:           4
        .value_kind:     by_value
      - .offset:         144
        .size:           4
        .value_kind:     hidden_block_count_x
      - .offset:         148
        .size:           4
        .value_kind:     hidden_block_count_y
      - .offset:         152
        .size:           4
        .value_kind:     hidden_block_count_z
      - .offset:         156
        .size:           2
        .value_kind:     hidden_group_size_x
      - .offset:         158
        .size:           2
        .value_kind:     hidden_group_size_y
      - .offset:         160
        .size:           2
        .value_kind:     hidden_group_size_z
      - .offset:         162
        .size:           2
        .value_kind:     hidden_remainder_x
      - .offset:         164
        .size:           2
        .value_kind:     hidden_remainder_y
      - .offset:         166
        .size:           2
        .value_kind:     hidden_remainder_z
      - .offset:         184
        .size:           8
        .value_kind:     hidden_global_offset_x
      - .offset:         192
        .size:           8
        .value_kind:     hidden_global_offset_y
      - .offset:         200
        .size:           8
        .value_kind:     hidden_global_offset_z
      - .offset:         208
        .size:           2
        .value_kind:     hidden_grid_dims
      - .offset:         264
        .size:           4
        .value_kind:     hidden_dynamic_lds_size
    .group_segment_fixed_size: 400
    .kernarg_segment_align: 8
    .kernarg_segment_size: 400
    .language:       OpenCL C
    .language_version:
      - 2
      - 0
    .max_flat_workgroup_size: 1024
    .name:           _ZN4vllm25paged_attention_v2_kernelIfhLi96ELi16ELi128ELNS_18Fp8KVCacheDataTypeE1ELb0ELi512EEEvPfS2_PT_PKS3_PKT0_S9_ifPKiSB_iPKfiiiSD_SD_iiiii
    .private_segment_fixed_size: 0
    .sgpr_count:     55
    .sgpr_spill_count: 0
    .symbol:         _ZN4vllm25paged_attention_v2_kernelIfhLi96ELi16ELi128ELNS_18Fp8KVCacheDataTypeE1ELb0ELi512EEEvPfS2_PT_PKS3_PKT0_S9_ifPKiSB_iPKfiiiSD_SD_iiiii.kd
    .uniform_work_group_size: 1
    .uses_dynamic_stack: false
    .vgpr_count:     78
    .vgpr_spill_count: 0
    .wavefront_size: 64
  - .agpr_count:     0
    .args:
      - .actual_access:  write_only
        .address_space:  global
        .offset:         0
        .size:           8
        .value_kind:     global_buffer
      - .actual_access:  write_only
        .address_space:  global
        .offset:         8
        .size:           8
        .value_kind:     global_buffer
      - .actual_access:  write_only
        .address_space:  global
        .offset:         16
        .size:           8
        .value_kind:     global_buffer
      - .actual_access:  read_only
        .address_space:  global
        .offset:         24
        .size:           8
        .value_kind:     global_buffer
      - .actual_access:  read_only
        .address_space:  global
        .offset:         32
        .size:           8
        .value_kind:     global_buffer
      - .actual_access:  read_only
        .address_space:  global
        .offset:         40
        .size:           8
        .value_kind:     global_buffer
      - .offset:         48
        .size:           4
        .value_kind:     by_value
      - .offset:         52
        .size:           4
        .value_kind:     by_value
      - .actual_access:  read_only
        .address_space:  global
        .offset:         56
        .size:           8
        .value_kind:     global_buffer
      - .actual_access:  read_only
        .address_space:  global
        .offset:         64
        .size:           8
        .value_kind:     global_buffer
      - .offset:         72
        .size:           4
        .value_kind:     by_value
      - .actual_access:  read_only
        .address_space:  global
        .offset:         80
        .size:           8
        .value_kind:     global_buffer
      - .offset:         88
        .size:           4
        .value_kind:     by_value
      - .offset:         92
        .size:           4
        .value_kind:     by_value
      - .offset:         96
        .size:           4
        .value_kind:     by_value
      - .address_space:  global
        .offset:         104
        .size:           8
        .value_kind:     global_buffer
      - .address_space:  global
        .offset:         112
        .size:           8
        .value_kind:     global_buffer
      - .offset:         120
        .size:           4
        .value_kind:     by_value
      - .offset:         124
        .size:           4
        .value_kind:     by_value
      - .offset:         128
        .size:           4
        .value_kind:     by_value
      - .offset:         132
        .size:           4
        .value_kind:     by_value
      - .offset:         136
        .size:           4
        .value_kind:     by_value
      - .offset:         144
        .size:           4
        .value_kind:     hidden_block_count_x
      - .offset:         148
        .size:           4
        .value_kind:     hidden_block_count_y
      - .offset:         152
        .size:           4
        .value_kind:     hidden_block_count_z
      - .offset:         156
        .size:           2
        .value_kind:     hidden_group_size_x
      - .offset:         158
        .size:           2
        .value_kind:     hidden_group_size_y
      - .offset:         160
        .size:           2
        .value_kind:     hidden_group_size_z
      - .offset:         162
        .size:           2
        .value_kind:     hidden_remainder_x
      - .offset:         164
        .size:           2
        .value_kind:     hidden_remainder_y
      - .offset:         166
        .size:           2
        .value_kind:     hidden_remainder_z
      - .offset:         184
        .size:           8
        .value_kind:     hidden_global_offset_x
      - .offset:         192
        .size:           8
        .value_kind:     hidden_global_offset_y
      - .offset:         200
        .size:           8
        .value_kind:     hidden_global_offset_z
      - .offset:         208
        .size:           2
        .value_kind:     hidden_grid_dims
      - .offset:         264
        .size:           4
        .value_kind:     hidden_dynamic_lds_size
    .group_segment_fixed_size: 464
    .kernarg_segment_align: 8
    .kernarg_segment_size: 400
    .language:       OpenCL C
    .language_version:
      - 2
      - 0
    .max_flat_workgroup_size: 1024
    .name:           _ZN4vllm25paged_attention_v2_kernelIfhLi112ELi16ELi128ELNS_18Fp8KVCacheDataTypeE1ELb0ELi512EEEvPfS2_PT_PKS3_PKT0_S9_ifPKiSB_iPKfiiiSD_SD_iiiii
    .private_segment_fixed_size: 0
    .sgpr_count:     55
    .sgpr_spill_count: 0
    .symbol:         _ZN4vllm25paged_attention_v2_kernelIfhLi112ELi16ELi128ELNS_18Fp8KVCacheDataTypeE1ELb0ELi512EEEvPfS2_PT_PKS3_PKT0_S9_ifPKiSB_iPKfiiiSD_SD_iiiii.kd
    .uniform_work_group_size: 1
    .uses_dynamic_stack: false
    .vgpr_count:     86
    .vgpr_spill_count: 0
    .wavefront_size: 64
  - .agpr_count:     0
    .args:
      - .actual_access:  write_only
        .address_space:  global
        .offset:         0
        .size:           8
        .value_kind:     global_buffer
      - .actual_access:  write_only
        .address_space:  global
        .offset:         8
        .size:           8
        .value_kind:     global_buffer
      - .actual_access:  write_only
        .address_space:  global
        .offset:         16
        .size:           8
        .value_kind:     global_buffer
      - .actual_access:  read_only
        .address_space:  global
        .offset:         24
        .size:           8
        .value_kind:     global_buffer
      - .actual_access:  read_only
        .address_space:  global
        .offset:         32
        .size:           8
        .value_kind:     global_buffer
      - .actual_access:  read_only
        .address_space:  global
        .offset:         40
        .size:           8
        .value_kind:     global_buffer
      - .offset:         48
        .size:           4
        .value_kind:     by_value
      - .offset:         52
        .size:           4
        .value_kind:     by_value
      - .actual_access:  read_only
        .address_space:  global
        .offset:         56
        .size:           8
        .value_kind:     global_buffer
      - .actual_access:  read_only
        .address_space:  global
        .offset:         64
        .size:           8
        .value_kind:     global_buffer
      - .offset:         72
        .size:           4
        .value_kind:     by_value
      - .actual_access:  read_only
        .address_space:  global
        .offset:         80
        .size:           8
        .value_kind:     global_buffer
      - .offset:         88
        .size:           4
        .value_kind:     by_value
      - .offset:         92
        .size:           4
        .value_kind:     by_value
      - .offset:         96
        .size:           4
        .value_kind:     by_value
      - .address_space:  global
        .offset:         104
        .size:           8
        .value_kind:     global_buffer
      - .address_space:  global
        .offset:         112
        .size:           8
        .value_kind:     global_buffer
      - .offset:         120
        .size:           4
        .value_kind:     by_value
      - .offset:         124
        .size:           4
        .value_kind:     by_value
      - .offset:         128
        .size:           4
        .value_kind:     by_value
      - .offset:         132
        .size:           4
        .value_kind:     by_value
      - .offset:         136
        .size:           4
        .value_kind:     by_value
      - .offset:         144
        .size:           4
        .value_kind:     hidden_block_count_x
      - .offset:         148
        .size:           4
        .value_kind:     hidden_block_count_y
      - .offset:         152
        .size:           4
        .value_kind:     hidden_block_count_z
      - .offset:         156
        .size:           2
        .value_kind:     hidden_group_size_x
      - .offset:         158
        .size:           2
        .value_kind:     hidden_group_size_y
      - .offset:         160
        .size:           2
        .value_kind:     hidden_group_size_z
      - .offset:         162
        .size:           2
        .value_kind:     hidden_remainder_x
      - .offset:         164
        .size:           2
        .value_kind:     hidden_remainder_y
      - .offset:         166
        .size:           2
        .value_kind:     hidden_remainder_z
      - .offset:         184
        .size:           8
        .value_kind:     hidden_global_offset_x
      - .offset:         192
        .size:           8
        .value_kind:     hidden_global_offset_y
      - .offset:         200
        .size:           8
        .value_kind:     hidden_global_offset_z
      - .offset:         208
        .size:           2
        .value_kind:     hidden_grid_dims
      - .offset:         264
        .size:           4
        .value_kind:     hidden_dynamic_lds_size
    .group_segment_fixed_size: 496
    .kernarg_segment_align: 8
    .kernarg_segment_size: 400
    .language:       OpenCL C
    .language_version:
      - 2
      - 0
    .max_flat_workgroup_size: 1024
    .name:           _ZN4vllm25paged_attention_v2_kernelIfhLi120ELi16ELi128ELNS_18Fp8KVCacheDataTypeE1ELb0ELi512EEEvPfS2_PT_PKS3_PKT0_S9_ifPKiSB_iPKfiiiSD_SD_iiiii
    .private_segment_fixed_size: 0
    .sgpr_count:     55
    .sgpr_spill_count: 0
    .symbol:         _ZN4vllm25paged_attention_v2_kernelIfhLi120ELi16ELi128ELNS_18Fp8KVCacheDataTypeE1ELb0ELi512EEEvPfS2_PT_PKS3_PKT0_S9_ifPKiSB_iPKfiiiSD_SD_iiiii.kd
    .uniform_work_group_size: 1
    .uses_dynamic_stack: false
    .vgpr_count:     90
    .vgpr_spill_count: 0
    .wavefront_size: 64
  - .agpr_count:     0
    .args:
      - .actual_access:  write_only
        .address_space:  global
        .offset:         0
        .size:           8
        .value_kind:     global_buffer
      - .actual_access:  write_only
        .address_space:  global
        .offset:         8
        .size:           8
        .value_kind:     global_buffer
      - .actual_access:  write_only
        .address_space:  global
        .offset:         16
        .size:           8
        .value_kind:     global_buffer
      - .actual_access:  read_only
        .address_space:  global
        .offset:         24
        .size:           8
        .value_kind:     global_buffer
      - .actual_access:  read_only
        .address_space:  global
        .offset:         32
        .size:           8
        .value_kind:     global_buffer
      - .actual_access:  read_only
        .address_space:  global
        .offset:         40
        .size:           8
        .value_kind:     global_buffer
      - .offset:         48
        .size:           4
        .value_kind:     by_value
      - .offset:         52
        .size:           4
        .value_kind:     by_value
      - .actual_access:  read_only
        .address_space:  global
        .offset:         56
        .size:           8
        .value_kind:     global_buffer
      - .actual_access:  read_only
        .address_space:  global
        .offset:         64
        .size:           8
        .value_kind:     global_buffer
      - .offset:         72
        .size:           4
        .value_kind:     by_value
      - .actual_access:  read_only
        .address_space:  global
        .offset:         80
        .size:           8
        .value_kind:     global_buffer
      - .offset:         88
        .size:           4
        .value_kind:     by_value
      - .offset:         92
        .size:           4
        .value_kind:     by_value
      - .offset:         96
        .size:           4
        .value_kind:     by_value
      - .address_space:  global
        .offset:         104
        .size:           8
        .value_kind:     global_buffer
      - .address_space:  global
        .offset:         112
        .size:           8
        .value_kind:     global_buffer
      - .offset:         120
        .size:           4
        .value_kind:     by_value
      - .offset:         124
        .size:           4
        .value_kind:     by_value
      - .offset:         128
        .size:           4
        .value_kind:     by_value
      - .offset:         132
        .size:           4
        .value_kind:     by_value
      - .offset:         136
        .size:           4
        .value_kind:     by_value
      - .offset:         144
        .size:           4
        .value_kind:     hidden_block_count_x
      - .offset:         148
        .size:           4
        .value_kind:     hidden_block_count_y
      - .offset:         152
        .size:           4
        .value_kind:     hidden_block_count_z
      - .offset:         156
        .size:           2
        .value_kind:     hidden_group_size_x
      - .offset:         158
        .size:           2
        .value_kind:     hidden_group_size_y
      - .offset:         160
        .size:           2
        .value_kind:     hidden_group_size_z
      - .offset:         162
        .size:           2
        .value_kind:     hidden_remainder_x
      - .offset:         164
        .size:           2
        .value_kind:     hidden_remainder_y
      - .offset:         166
        .size:           2
        .value_kind:     hidden_remainder_z
      - .offset:         184
        .size:           8
        .value_kind:     hidden_global_offset_x
      - .offset:         192
        .size:           8
        .value_kind:     hidden_global_offset_y
      - .offset:         200
        .size:           8
        .value_kind:     hidden_global_offset_z
      - .offset:         208
        .size:           2
        .value_kind:     hidden_grid_dims
      - .offset:         264
        .size:           4
        .value_kind:     hidden_dynamic_lds_size
    .group_segment_fixed_size: 528
    .kernarg_segment_align: 8
    .kernarg_segment_size: 400
    .language:       OpenCL C
    .language_version:
      - 2
      - 0
    .max_flat_workgroup_size: 1024
    .name:           _ZN4vllm25paged_attention_v2_kernelIfhLi128ELi16ELi128ELNS_18Fp8KVCacheDataTypeE1ELb0ELi512EEEvPfS2_PT_PKS3_PKT0_S9_ifPKiSB_iPKfiiiSD_SD_iiiii
    .private_segment_fixed_size: 0
    .sgpr_count:     55
    .sgpr_spill_count: 0
    .symbol:         _ZN4vllm25paged_attention_v2_kernelIfhLi128ELi16ELi128ELNS_18Fp8KVCacheDataTypeE1ELb0ELi512EEEvPfS2_PT_PKS3_PKT0_S9_ifPKiSB_iPKfiiiSD_SD_iiiii.kd
    .uniform_work_group_size: 1
    .uses_dynamic_stack: false
    .vgpr_count:     94
    .vgpr_spill_count: 0
    .wavefront_size: 64
  - .agpr_count:     0
    .args:
      - .actual_access:  write_only
        .address_space:  global
        .offset:         0
        .size:           8
        .value_kind:     global_buffer
      - .actual_access:  write_only
        .address_space:  global
        .offset:         8
        .size:           8
        .value_kind:     global_buffer
      - .actual_access:  write_only
        .address_space:  global
        .offset:         16
        .size:           8
        .value_kind:     global_buffer
      - .actual_access:  read_only
        .address_space:  global
        .offset:         24
        .size:           8
        .value_kind:     global_buffer
      - .actual_access:  read_only
        .address_space:  global
        .offset:         32
        .size:           8
        .value_kind:     global_buffer
      - .actual_access:  read_only
        .address_space:  global
        .offset:         40
        .size:           8
        .value_kind:     global_buffer
      - .offset:         48
        .size:           4
        .value_kind:     by_value
      - .offset:         52
        .size:           4
        .value_kind:     by_value
      - .actual_access:  read_only
        .address_space:  global
        .offset:         56
        .size:           8
        .value_kind:     global_buffer
      - .actual_access:  read_only
        .address_space:  global
        .offset:         64
        .size:           8
        .value_kind:     global_buffer
      - .offset:         72
        .size:           4
        .value_kind:     by_value
      - .actual_access:  read_only
        .address_space:  global
        .offset:         80
        .size:           8
        .value_kind:     global_buffer
      - .offset:         88
        .size:           4
        .value_kind:     by_value
      - .offset:         92
        .size:           4
        .value_kind:     by_value
      - .offset:         96
        .size:           4
        .value_kind:     by_value
      - .address_space:  global
        .offset:         104
        .size:           8
        .value_kind:     global_buffer
      - .address_space:  global
        .offset:         112
        .size:           8
        .value_kind:     global_buffer
      - .offset:         120
        .size:           4
        .value_kind:     by_value
      - .offset:         124
        .size:           4
        .value_kind:     by_value
      - .offset:         128
        .size:           4
        .value_kind:     by_value
      - .offset:         132
        .size:           4
        .value_kind:     by_value
      - .offset:         136
        .size:           4
        .value_kind:     by_value
      - .offset:         144
        .size:           4
        .value_kind:     hidden_block_count_x
      - .offset:         148
        .size:           4
        .value_kind:     hidden_block_count_y
      - .offset:         152
        .size:           4
        .value_kind:     hidden_block_count_z
      - .offset:         156
        .size:           2
        .value_kind:     hidden_group_size_x
      - .offset:         158
        .size:           2
        .value_kind:     hidden_group_size_y
      - .offset:         160
        .size:           2
        .value_kind:     hidden_group_size_z
      - .offset:         162
        .size:           2
        .value_kind:     hidden_remainder_x
      - .offset:         164
        .size:           2
        .value_kind:     hidden_remainder_y
      - .offset:         166
        .size:           2
        .value_kind:     hidden_remainder_z
      - .offset:         184
        .size:           8
        .value_kind:     hidden_global_offset_x
      - .offset:         192
        .size:           8
        .value_kind:     hidden_global_offset_y
      - .offset:         200
        .size:           8
        .value_kind:     hidden_global_offset_z
      - .offset:         208
        .size:           2
        .value_kind:     hidden_grid_dims
      - .offset:         264
        .size:           4
        .value_kind:     hidden_dynamic_lds_size
    .group_segment_fixed_size: 784
    .kernarg_segment_align: 8
    .kernarg_segment_size: 400
    .language:       OpenCL C
    .language_version:
      - 2
      - 0
    .max_flat_workgroup_size: 1024
    .name:           _ZN4vllm25paged_attention_v2_kernelIfhLi192ELi16ELi128ELNS_18Fp8KVCacheDataTypeE1ELb0ELi512EEEvPfS2_PT_PKS3_PKT0_S9_ifPKiSB_iPKfiiiSD_SD_iiiii
    .private_segment_fixed_size: 0
    .sgpr_count:     55
    .sgpr_spill_count: 0
    .symbol:         _ZN4vllm25paged_attention_v2_kernelIfhLi192ELi16ELi128ELNS_18Fp8KVCacheDataTypeE1ELb0ELi512EEEvPfS2_PT_PKS3_PKT0_S9_ifPKiSB_iPKfiiiSD_SD_iiiii.kd
    .uniform_work_group_size: 1
    .uses_dynamic_stack: false
    .vgpr_count:     125
    .vgpr_spill_count: 0
    .wavefront_size: 64
  - .agpr_count:     64
    .args:
      - .actual_access:  write_only
        .address_space:  global
        .offset:         0
        .size:           8
        .value_kind:     global_buffer
      - .actual_access:  write_only
        .address_space:  global
        .offset:         8
        .size:           8
        .value_kind:     global_buffer
      - .actual_access:  write_only
        .address_space:  global
        .offset:         16
        .size:           8
        .value_kind:     global_buffer
      - .actual_access:  read_only
        .address_space:  global
        .offset:         24
        .size:           8
        .value_kind:     global_buffer
      - .actual_access:  read_only
        .address_space:  global
        .offset:         32
        .size:           8
        .value_kind:     global_buffer
      - .actual_access:  read_only
        .address_space:  global
        .offset:         40
        .size:           8
        .value_kind:     global_buffer
      - .offset:         48
        .size:           4
        .value_kind:     by_value
      - .offset:         52
        .size:           4
        .value_kind:     by_value
      - .actual_access:  read_only
        .address_space:  global
        .offset:         56
        .size:           8
        .value_kind:     global_buffer
      - .actual_access:  read_only
        .address_space:  global
        .offset:         64
        .size:           8
        .value_kind:     global_buffer
      - .offset:         72
        .size:           4
        .value_kind:     by_value
      - .address_space:  global
        .offset:         80
        .size:           8
        .value_kind:     global_buffer
      - .offset:         88
        .size:           4
        .value_kind:     by_value
      - .offset:         92
        .size:           4
        .value_kind:     by_value
      - .offset:         96
        .size:           4
        .value_kind:     by_value
      - .address_space:  global
        .offset:         104
        .size:           8
        .value_kind:     global_buffer
      - .address_space:  global
        .offset:         112
        .size:           8
        .value_kind:     global_buffer
      - .offset:         120
        .size:           4
        .value_kind:     by_value
      - .offset:         124
        .size:           4
        .value_kind:     by_value
      - .offset:         128
        .size:           4
        .value_kind:     by_value
      - .offset:         132
        .size:           4
        .value_kind:     by_value
      - .offset:         136
        .size:           4
        .value_kind:     by_value
      - .offset:         144
        .size:           4
        .value_kind:     hidden_block_count_x
      - .offset:         148
        .size:           4
        .value_kind:     hidden_block_count_y
      - .offset:         152
        .size:           4
        .value_kind:     hidden_block_count_z
      - .offset:         156
        .size:           2
        .value_kind:     hidden_group_size_x
      - .offset:         158
        .size:           2
        .value_kind:     hidden_group_size_y
      - .offset:         160
        .size:           2
        .value_kind:     hidden_group_size_z
      - .offset:         162
        .size:           2
        .value_kind:     hidden_remainder_x
      - .offset:         164
        .size:           2
        .value_kind:     hidden_remainder_y
      - .offset:         166
        .size:           2
        .value_kind:     hidden_remainder_z
      - .offset:         184
        .size:           8
        .value_kind:     hidden_global_offset_x
      - .offset:         192
        .size:           8
        .value_kind:     hidden_global_offset_y
      - .offset:         200
        .size:           8
        .value_kind:     hidden_global_offset_z
      - .offset:         208
        .size:           2
        .value_kind:     hidden_grid_dims
      - .offset:         264
        .size:           4
        .value_kind:     hidden_dynamic_lds_size
    .group_segment_fixed_size: 1040
    .kernarg_segment_align: 8
    .kernarg_segment_size: 400
    .language:       OpenCL C
    .language_version:
      - 2
      - 0
    .max_flat_workgroup_size: 1024
    .name:           _ZN4vllm25paged_attention_v2_kernelIfhLi256ELi16ELi128ELNS_18Fp8KVCacheDataTypeE1ELb0ELi512EEEvPfS2_PT_PKS3_PKT0_S9_ifPKiSB_iPKfiiiSD_SD_iiiii
    .private_segment_fixed_size: 524
    .sgpr_count:     50
    .sgpr_spill_count: 0
    .symbol:         _ZN4vllm25paged_attention_v2_kernelIfhLi256ELi16ELi128ELNS_18Fp8KVCacheDataTypeE1ELb0ELi512EEEvPfS2_PT_PKS3_PKT0_S9_ifPKiSB_iPKfiiiSD_SD_iiiii.kd
    .uniform_work_group_size: 1
    .uses_dynamic_stack: false
    .vgpr_count:     128
    .vgpr_spill_count: 0
    .wavefront_size: 64
  - .agpr_count:     0
    .args:
      - .actual_access:  write_only
        .address_space:  global
        .offset:         0
        .size:           8
        .value_kind:     global_buffer
      - .actual_access:  write_only
        .address_space:  global
        .offset:         8
        .size:           8
        .value_kind:     global_buffer
      - .actual_access:  write_only
        .address_space:  global
        .offset:         16
        .size:           8
        .value_kind:     global_buffer
      - .actual_access:  read_only
        .address_space:  global
        .offset:         24
        .size:           8
        .value_kind:     global_buffer
      - .actual_access:  read_only
        .address_space:  global
        .offset:         32
        .size:           8
        .value_kind:     global_buffer
      - .actual_access:  read_only
        .address_space:  global
        .offset:         40
        .size:           8
        .value_kind:     global_buffer
      - .offset:         48
        .size:           4
        .value_kind:     by_value
      - .offset:         52
        .size:           4
        .value_kind:     by_value
      - .actual_access:  read_only
        .address_space:  global
        .offset:         56
        .size:           8
        .value_kind:     global_buffer
      - .actual_access:  read_only
        .address_space:  global
        .offset:         64
        .size:           8
        .value_kind:     global_buffer
      - .offset:         72
        .size:           4
        .value_kind:     by_value
      - .actual_access:  read_only
        .address_space:  global
        .offset:         80
        .size:           8
        .value_kind:     global_buffer
      - .offset:         88
        .size:           4
        .value_kind:     by_value
      - .offset:         92
        .size:           4
        .value_kind:     by_value
      - .offset:         96
        .size:           4
        .value_kind:     by_value
      - .address_space:  global
        .offset:         104
        .size:           8
        .value_kind:     global_buffer
      - .address_space:  global
        .offset:         112
        .size:           8
        .value_kind:     global_buffer
      - .offset:         120
        .size:           4
        .value_kind:     by_value
      - .offset:         124
        .size:           4
        .value_kind:     by_value
      - .offset:         128
        .size:           4
        .value_kind:     by_value
      - .offset:         132
        .size:           4
        .value_kind:     by_value
      - .offset:         136
        .size:           4
        .value_kind:     by_value
      - .offset:         144
        .size:           4
        .value_kind:     hidden_block_count_x
      - .offset:         148
        .size:           4
        .value_kind:     hidden_block_count_y
      - .offset:         152
        .size:           4
        .value_kind:     hidden_block_count_z
      - .offset:         156
        .size:           2
        .value_kind:     hidden_group_size_x
      - .offset:         158
        .size:           2
        .value_kind:     hidden_group_size_y
      - .offset:         160
        .size:           2
        .value_kind:     hidden_group_size_z
      - .offset:         162
        .size:           2
        .value_kind:     hidden_remainder_x
      - .offset:         164
        .size:           2
        .value_kind:     hidden_remainder_y
      - .offset:         166
        .size:           2
        .value_kind:     hidden_remainder_z
      - .offset:         184
        .size:           8
        .value_kind:     hidden_global_offset_x
      - .offset:         192
        .size:           8
        .value_kind:     hidden_global_offset_y
      - .offset:         200
        .size:           8
        .value_kind:     hidden_global_offset_z
      - .offset:         208
        .size:           2
        .value_kind:     hidden_grid_dims
      - .offset:         264
        .size:           4
        .value_kind:     hidden_dynamic_lds_size
    .group_segment_fixed_size: 144
    .kernarg_segment_align: 8
    .kernarg_segment_size: 400
    .language:       OpenCL C
    .language_version:
      - 2
      - 0
    .max_flat_workgroup_size: 1024
    .name:           _ZN4vllm25paged_attention_v2_kernelIfhLi32ELi32ELi128ELNS_18Fp8KVCacheDataTypeE1ELb1ELi512EEEvPfS2_PT_PKS3_PKT0_S9_ifPKiSB_iPKfiiiSD_SD_iiiii
    .private_segment_fixed_size: 0
    .sgpr_count:     71
    .sgpr_spill_count: 0
    .symbol:         _ZN4vllm25paged_attention_v2_kernelIfhLi32ELi32ELi128ELNS_18Fp8KVCacheDataTypeE1ELb1ELi512EEEvPfS2_PT_PKS3_PKT0_S9_ifPKiSB_iPKfiiiSD_SD_iiiii.kd
    .uniform_work_group_size: 1
    .uses_dynamic_stack: false
    .vgpr_count:     78
    .vgpr_spill_count: 0
    .wavefront_size: 64
  - .agpr_count:     0
    .args:
      - .actual_access:  write_only
        .address_space:  global
        .offset:         0
        .size:           8
        .value_kind:     global_buffer
      - .actual_access:  write_only
        .address_space:  global
        .offset:         8
        .size:           8
        .value_kind:     global_buffer
      - .actual_access:  write_only
        .address_space:  global
        .offset:         16
        .size:           8
        .value_kind:     global_buffer
      - .actual_access:  read_only
        .address_space:  global
        .offset:         24
        .size:           8
        .value_kind:     global_buffer
      - .actual_access:  read_only
        .address_space:  global
        .offset:         32
        .size:           8
        .value_kind:     global_buffer
      - .actual_access:  read_only
        .address_space:  global
        .offset:         40
        .size:           8
        .value_kind:     global_buffer
      - .offset:         48
        .size:           4
        .value_kind:     by_value
      - .offset:         52
        .size:           4
        .value_kind:     by_value
      - .actual_access:  read_only
        .address_space:  global
        .offset:         56
        .size:           8
        .value_kind:     global_buffer
      - .actual_access:  read_only
        .address_space:  global
        .offset:         64
        .size:           8
        .value_kind:     global_buffer
      - .offset:         72
        .size:           4
        .value_kind:     by_value
      - .actual_access:  read_only
        .address_space:  global
        .offset:         80
        .size:           8
        .value_kind:     global_buffer
      - .offset:         88
        .size:           4
        .value_kind:     by_value
      - .offset:         92
        .size:           4
        .value_kind:     by_value
      - .offset:         96
        .size:           4
        .value_kind:     by_value
      - .address_space:  global
        .offset:         104
        .size:           8
        .value_kind:     global_buffer
      - .address_space:  global
        .offset:         112
        .size:           8
        .value_kind:     global_buffer
      - .offset:         120
        .size:           4
        .value_kind:     by_value
      - .offset:         124
        .size:           4
        .value_kind:     by_value
      - .offset:         128
        .size:           4
        .value_kind:     by_value
      - .offset:         132
        .size:           4
        .value_kind:     by_value
      - .offset:         136
        .size:           4
        .value_kind:     by_value
      - .offset:         144
        .size:           4
        .value_kind:     hidden_block_count_x
      - .offset:         148
        .size:           4
        .value_kind:     hidden_block_count_y
      - .offset:         152
        .size:           4
        .value_kind:     hidden_block_count_z
      - .offset:         156
        .size:           2
        .value_kind:     hidden_group_size_x
      - .offset:         158
        .size:           2
        .value_kind:     hidden_group_size_y
      - .offset:         160
        .size:           2
        .value_kind:     hidden_group_size_z
      - .offset:         162
        .size:           2
        .value_kind:     hidden_remainder_x
      - .offset:         164
        .size:           2
        .value_kind:     hidden_remainder_y
      - .offset:         166
        .size:           2
        .value_kind:     hidden_remainder_z
      - .offset:         184
        .size:           8
        .value_kind:     hidden_global_offset_x
      - .offset:         192
        .size:           8
        .value_kind:     hidden_global_offset_y
      - .offset:         200
        .size:           8
        .value_kind:     hidden_global_offset_z
      - .offset:         208
        .size:           2
        .value_kind:     hidden_grid_dims
      - .offset:         264
        .size:           4
        .value_kind:     hidden_dynamic_lds_size
    .group_segment_fixed_size: 272
    .kernarg_segment_align: 8
    .kernarg_segment_size: 400
    .language:       OpenCL C
    .language_version:
      - 2
      - 0
    .max_flat_workgroup_size: 1024
    .name:           _ZN4vllm25paged_attention_v2_kernelIfhLi64ELi32ELi128ELNS_18Fp8KVCacheDataTypeE1ELb1ELi512EEEvPfS2_PT_PKS3_PKT0_S9_ifPKiSB_iPKfiiiSD_SD_iiiii
    .private_segment_fixed_size: 0
    .sgpr_count:     71
    .sgpr_spill_count: 0
    .symbol:         _ZN4vllm25paged_attention_v2_kernelIfhLi64ELi32ELi128ELNS_18Fp8KVCacheDataTypeE1ELb1ELi512EEEvPfS2_PT_PKS3_PKT0_S9_ifPKiSB_iPKfiiiSD_SD_iiiii.kd
    .uniform_work_group_size: 1
    .uses_dynamic_stack: false
    .vgpr_count:     126
    .vgpr_spill_count: 0
    .wavefront_size: 64
  - .agpr_count:     0
    .args:
      - .actual_access:  write_only
        .address_space:  global
        .offset:         0
        .size:           8
        .value_kind:     global_buffer
      - .actual_access:  write_only
        .address_space:  global
        .offset:         8
        .size:           8
        .value_kind:     global_buffer
      - .actual_access:  write_only
        .address_space:  global
        .offset:         16
        .size:           8
        .value_kind:     global_buffer
      - .actual_access:  read_only
        .address_space:  global
        .offset:         24
        .size:           8
        .value_kind:     global_buffer
      - .actual_access:  read_only
        .address_space:  global
        .offset:         32
        .size:           8
        .value_kind:     global_buffer
      - .actual_access:  read_only
        .address_space:  global
        .offset:         40
        .size:           8
        .value_kind:     global_buffer
      - .offset:         48
        .size:           4
        .value_kind:     by_value
      - .offset:         52
        .size:           4
        .value_kind:     by_value
      - .actual_access:  read_only
        .address_space:  global
        .offset:         56
        .size:           8
        .value_kind:     global_buffer
      - .actual_access:  read_only
        .address_space:  global
        .offset:         64
        .size:           8
        .value_kind:     global_buffer
      - .offset:         72
        .size:           4
        .value_kind:     by_value
      - .actual_access:  read_only
        .address_space:  global
        .offset:         80
        .size:           8
        .value_kind:     global_buffer
      - .offset:         88
        .size:           4
        .value_kind:     by_value
      - .offset:         92
        .size:           4
        .value_kind:     by_value
      - .offset:         96
        .size:           4
        .value_kind:     by_value
      - .address_space:  global
        .offset:         104
        .size:           8
        .value_kind:     global_buffer
      - .address_space:  global
        .offset:         112
        .size:           8
        .value_kind:     global_buffer
      - .offset:         120
        .size:           4
        .value_kind:     by_value
      - .offset:         124
        .size:           4
        .value_kind:     by_value
      - .offset:         128
        .size:           4
        .value_kind:     by_value
      - .offset:         132
        .size:           4
        .value_kind:     by_value
      - .offset:         136
        .size:           4
        .value_kind:     by_value
      - .offset:         144
        .size:           4
        .value_kind:     hidden_block_count_x
      - .offset:         148
        .size:           4
        .value_kind:     hidden_block_count_y
      - .offset:         152
        .size:           4
        .value_kind:     hidden_block_count_z
      - .offset:         156
        .size:           2
        .value_kind:     hidden_group_size_x
      - .offset:         158
        .size:           2
        .value_kind:     hidden_group_size_y
      - .offset:         160
        .size:           2
        .value_kind:     hidden_group_size_z
      - .offset:         162
        .size:           2
        .value_kind:     hidden_remainder_x
      - .offset:         164
        .size:           2
        .value_kind:     hidden_remainder_y
      - .offset:         166
        .size:           2
        .value_kind:     hidden_remainder_z
      - .offset:         184
        .size:           8
        .value_kind:     hidden_global_offset_x
      - .offset:         192
        .size:           8
        .value_kind:     hidden_global_offset_y
      - .offset:         200
        .size:           8
        .value_kind:     hidden_global_offset_z
      - .offset:         208
        .size:           2
        .value_kind:     hidden_grid_dims
      - .offset:         264
        .size:           4
        .value_kind:     hidden_dynamic_lds_size
    .group_segment_fixed_size: 336
    .kernarg_segment_align: 8
    .kernarg_segment_size: 400
    .language:       OpenCL C
    .language_version:
      - 2
      - 0
    .max_flat_workgroup_size: 1024
    .name:           _ZN4vllm25paged_attention_v2_kernelIfhLi80ELi32ELi128ELNS_18Fp8KVCacheDataTypeE1ELb1ELi512EEEvPfS2_PT_PKS3_PKT0_S9_ifPKiSB_iPKfiiiSD_SD_iiiii
    .private_segment_fixed_size: 76
    .sgpr_count:     76
    .sgpr_spill_count: 0
    .symbol:         _ZN4vllm25paged_attention_v2_kernelIfhLi80ELi32ELi128ELNS_18Fp8KVCacheDataTypeE1ELb1ELi512EEEvPfS2_PT_PKS3_PKT0_S9_ifPKiSB_iPKfiiiSD_SD_iiiii.kd
    .uniform_work_group_size: 1
    .uses_dynamic_stack: false
    .vgpr_count:     128
    .vgpr_spill_count: 25
    .wavefront_size: 64
  - .agpr_count:     0
    .args:
      - .actual_access:  write_only
        .address_space:  global
        .offset:         0
        .size:           8
        .value_kind:     global_buffer
      - .actual_access:  write_only
        .address_space:  global
        .offset:         8
        .size:           8
        .value_kind:     global_buffer
      - .actual_access:  write_only
        .address_space:  global
        .offset:         16
        .size:           8
        .value_kind:     global_buffer
      - .actual_access:  read_only
        .address_space:  global
        .offset:         24
        .size:           8
        .value_kind:     global_buffer
      - .actual_access:  read_only
        .address_space:  global
        .offset:         32
        .size:           8
        .value_kind:     global_buffer
      - .actual_access:  read_only
        .address_space:  global
        .offset:         40
        .size:           8
        .value_kind:     global_buffer
      - .offset:         48
        .size:           4
        .value_kind:     by_value
      - .offset:         52
        .size:           4
        .value_kind:     by_value
      - .actual_access:  read_only
        .address_space:  global
        .offset:         56
        .size:           8
        .value_kind:     global_buffer
      - .actual_access:  read_only
        .address_space:  global
        .offset:         64
        .size:           8
        .value_kind:     global_buffer
      - .offset:         72
        .size:           4
        .value_kind:     by_value
      - .actual_access:  read_only
        .address_space:  global
        .offset:         80
        .size:           8
        .value_kind:     global_buffer
      - .offset:         88
        .size:           4
        .value_kind:     by_value
      - .offset:         92
        .size:           4
        .value_kind:     by_value
      - .offset:         96
        .size:           4
        .value_kind:     by_value
      - .address_space:  global
        .offset:         104
        .size:           8
        .value_kind:     global_buffer
      - .address_space:  global
        .offset:         112
        .size:           8
        .value_kind:     global_buffer
      - .offset:         120
        .size:           4
        .value_kind:     by_value
      - .offset:         124
        .size:           4
        .value_kind:     by_value
      - .offset:         128
        .size:           4
        .value_kind:     by_value
      - .offset:         132
        .size:           4
        .value_kind:     by_value
      - .offset:         136
        .size:           4
        .value_kind:     by_value
      - .offset:         144
        .size:           4
        .value_kind:     hidden_block_count_x
      - .offset:         148
        .size:           4
        .value_kind:     hidden_block_count_y
      - .offset:         152
        .size:           4
        .value_kind:     hidden_block_count_z
      - .offset:         156
        .size:           2
        .value_kind:     hidden_group_size_x
      - .offset:         158
        .size:           2
        .value_kind:     hidden_group_size_y
      - .offset:         160
        .size:           2
        .value_kind:     hidden_group_size_z
      - .offset:         162
        .size:           2
        .value_kind:     hidden_remainder_x
      - .offset:         164
        .size:           2
        .value_kind:     hidden_remainder_y
      - .offset:         166
        .size:           2
        .value_kind:     hidden_remainder_z
      - .offset:         184
        .size:           8
        .value_kind:     hidden_global_offset_x
      - .offset:         192
        .size:           8
        .value_kind:     hidden_global_offset_y
      - .offset:         200
        .size:           8
        .value_kind:     hidden_global_offset_z
      - .offset:         208
        .size:           2
        .value_kind:     hidden_grid_dims
      - .offset:         264
        .size:           4
        .value_kind:     hidden_dynamic_lds_size
    .group_segment_fixed_size: 400
    .kernarg_segment_align: 8
    .kernarg_segment_size: 400
    .language:       OpenCL C
    .language_version:
      - 2
      - 0
    .max_flat_workgroup_size: 1024
    .name:           _ZN4vllm25paged_attention_v2_kernelIfhLi96ELi32ELi128ELNS_18Fp8KVCacheDataTypeE1ELb1ELi512EEEvPfS2_PT_PKS3_PKT0_S9_ifPKiSB_iPKfiiiSD_SD_iiiii
    .private_segment_fixed_size: 172
    .sgpr_count:     76
    .sgpr_spill_count: 0
    .symbol:         _ZN4vllm25paged_attention_v2_kernelIfhLi96ELi32ELi128ELNS_18Fp8KVCacheDataTypeE1ELb1ELi512EEEvPfS2_PT_PKS3_PKT0_S9_ifPKiSB_iPKfiiiSD_SD_iiiii.kd
    .uniform_work_group_size: 1
    .uses_dynamic_stack: false
    .vgpr_count:     128
    .vgpr_spill_count: 73
    .wavefront_size: 64
  - .agpr_count:     64
    .args:
      - .actual_access:  write_only
        .address_space:  global
        .offset:         0
        .size:           8
        .value_kind:     global_buffer
      - .actual_access:  write_only
        .address_space:  global
        .offset:         8
        .size:           8
        .value_kind:     global_buffer
      - .actual_access:  write_only
        .address_space:  global
        .offset:         16
        .size:           8
        .value_kind:     global_buffer
      - .actual_access:  read_only
        .address_space:  global
        .offset:         24
        .size:           8
        .value_kind:     global_buffer
      - .actual_access:  read_only
        .address_space:  global
        .offset:         32
        .size:           8
        .value_kind:     global_buffer
      - .actual_access:  read_only
        .address_space:  global
        .offset:         40
        .size:           8
        .value_kind:     global_buffer
      - .offset:         48
        .size:           4
        .value_kind:     by_value
      - .offset:         52
        .size:           4
        .value_kind:     by_value
      - .actual_access:  read_only
        .address_space:  global
        .offset:         56
        .size:           8
        .value_kind:     global_buffer
      - .actual_access:  read_only
        .address_space:  global
        .offset:         64
        .size:           8
        .value_kind:     global_buffer
      - .offset:         72
        .size:           4
        .value_kind:     by_value
      - .address_space:  global
        .offset:         80
        .size:           8
        .value_kind:     global_buffer
      - .offset:         88
        .size:           4
        .value_kind:     by_value
      - .offset:         92
        .size:           4
        .value_kind:     by_value
      - .offset:         96
        .size:           4
        .value_kind:     by_value
      - .address_space:  global
        .offset:         104
        .size:           8
        .value_kind:     global_buffer
      - .address_space:  global
        .offset:         112
        .size:           8
        .value_kind:     global_buffer
      - .offset:         120
        .size:           4
        .value_kind:     by_value
      - .offset:         124
        .size:           4
        .value_kind:     by_value
      - .offset:         128
        .size:           4
        .value_kind:     by_value
      - .offset:         132
        .size:           4
        .value_kind:     by_value
      - .offset:         136
        .size:           4
        .value_kind:     by_value
      - .offset:         144
        .size:           4
        .value_kind:     hidden_block_count_x
      - .offset:         148
        .size:           4
        .value_kind:     hidden_block_count_y
      - .offset:         152
        .size:           4
        .value_kind:     hidden_block_count_z
      - .offset:         156
        .size:           2
        .value_kind:     hidden_group_size_x
      - .offset:         158
        .size:           2
        .value_kind:     hidden_group_size_y
      - .offset:         160
        .size:           2
        .value_kind:     hidden_group_size_z
      - .offset:         162
        .size:           2
        .value_kind:     hidden_remainder_x
      - .offset:         164
        .size:           2
        .value_kind:     hidden_remainder_y
      - .offset:         166
        .size:           2
        .value_kind:     hidden_remainder_z
      - .offset:         184
        .size:           8
        .value_kind:     hidden_global_offset_x
      - .offset:         192
        .size:           8
        .value_kind:     hidden_global_offset_y
      - .offset:         200
        .size:           8
        .value_kind:     hidden_global_offset_z
      - .offset:         208
        .size:           2
        .value_kind:     hidden_grid_dims
      - .offset:         264
        .size:           4
        .value_kind:     hidden_dynamic_lds_size
    .group_segment_fixed_size: 464
    .kernarg_segment_align: 8
    .kernarg_segment_size: 400
    .language:       OpenCL C
    .language_version:
      - 2
      - 0
    .max_flat_workgroup_size: 1024
    .name:           _ZN4vllm25paged_attention_v2_kernelIfhLi112ELi32ELi128ELNS_18Fp8KVCacheDataTypeE1ELb1ELi512EEEvPfS2_PT_PKS3_PKT0_S9_ifPKiSB_iPKfiiiSD_SD_iiiii
    .private_segment_fixed_size: 596
    .sgpr_count:     54
    .sgpr_spill_count: 0
    .symbol:         _ZN4vllm25paged_attention_v2_kernelIfhLi112ELi32ELi128ELNS_18Fp8KVCacheDataTypeE1ELb1ELi512EEEvPfS2_PT_PKS3_PKT0_S9_ifPKiSB_iPKfiiiSD_SD_iiiii.kd
    .uniform_work_group_size: 1
    .uses_dynamic_stack: false
    .vgpr_count:     128
    .vgpr_spill_count: 0
    .wavefront_size: 64
  - .agpr_count:     64
    .args:
      - .actual_access:  write_only
        .address_space:  global
        .offset:         0
        .size:           8
        .value_kind:     global_buffer
      - .actual_access:  write_only
        .address_space:  global
        .offset:         8
        .size:           8
        .value_kind:     global_buffer
      - .actual_access:  write_only
        .address_space:  global
        .offset:         16
        .size:           8
        .value_kind:     global_buffer
      - .actual_access:  read_only
        .address_space:  global
        .offset:         24
        .size:           8
        .value_kind:     global_buffer
      - .actual_access:  read_only
        .address_space:  global
        .offset:         32
        .size:           8
        .value_kind:     global_buffer
      - .actual_access:  read_only
        .address_space:  global
        .offset:         40
        .size:           8
        .value_kind:     global_buffer
      - .offset:         48
        .size:           4
        .value_kind:     by_value
      - .offset:         52
        .size:           4
        .value_kind:     by_value
      - .actual_access:  read_only
        .address_space:  global
        .offset:         56
        .size:           8
        .value_kind:     global_buffer
      - .actual_access:  read_only
        .address_space:  global
        .offset:         64
        .size:           8
        .value_kind:     global_buffer
      - .offset:         72
        .size:           4
        .value_kind:     by_value
      - .address_space:  global
        .offset:         80
        .size:           8
        .value_kind:     global_buffer
      - .offset:         88
        .size:           4
        .value_kind:     by_value
      - .offset:         92
        .size:           4
        .value_kind:     by_value
      - .offset:         96
        .size:           4
        .value_kind:     by_value
      - .address_space:  global
        .offset:         104
        .size:           8
        .value_kind:     global_buffer
      - .address_space:  global
        .offset:         112
        .size:           8
        .value_kind:     global_buffer
      - .offset:         120
        .size:           4
        .value_kind:     by_value
      - .offset:         124
        .size:           4
        .value_kind:     by_value
      - .offset:         128
        .size:           4
        .value_kind:     by_value
      - .offset:         132
        .size:           4
        .value_kind:     by_value
      - .offset:         136
        .size:           4
        .value_kind:     by_value
      - .offset:         144
        .size:           4
        .value_kind:     hidden_block_count_x
      - .offset:         148
        .size:           4
        .value_kind:     hidden_block_count_y
      - .offset:         152
        .size:           4
        .value_kind:     hidden_block_count_z
      - .offset:         156
        .size:           2
        .value_kind:     hidden_group_size_x
      - .offset:         158
        .size:           2
        .value_kind:     hidden_group_size_y
      - .offset:         160
        .size:           2
        .value_kind:     hidden_group_size_z
      - .offset:         162
        .size:           2
        .value_kind:     hidden_remainder_x
      - .offset:         164
        .size:           2
        .value_kind:     hidden_remainder_y
      - .offset:         166
        .size:           2
        .value_kind:     hidden_remainder_z
      - .offset:         184
        .size:           8
        .value_kind:     hidden_global_offset_x
      - .offset:         192
        .size:           8
        .value_kind:     hidden_global_offset_y
      - .offset:         200
        .size:           8
        .value_kind:     hidden_global_offset_z
      - .offset:         208
        .size:           2
        .value_kind:     hidden_grid_dims
      - .offset:         264
        .size:           4
        .value_kind:     hidden_dynamic_lds_size
    .group_segment_fixed_size: 496
    .kernarg_segment_align: 8
    .kernarg_segment_size: 400
    .language:       OpenCL C
    .language_version:
      - 2
      - 0
    .max_flat_workgroup_size: 1024
    .name:           _ZN4vllm25paged_attention_v2_kernelIfhLi120ELi32ELi128ELNS_18Fp8KVCacheDataTypeE1ELb1ELi512EEEvPfS2_PT_PKS3_PKT0_S9_ifPKiSB_iPKfiiiSD_SD_iiiii
    .private_segment_fixed_size: 632
    .sgpr_count:     54
    .sgpr_spill_count: 0
    .symbol:         _ZN4vllm25paged_attention_v2_kernelIfhLi120ELi32ELi128ELNS_18Fp8KVCacheDataTypeE1ELb1ELi512EEEvPfS2_PT_PKS3_PKT0_S9_ifPKiSB_iPKfiiiSD_SD_iiiii.kd
    .uniform_work_group_size: 1
    .uses_dynamic_stack: false
    .vgpr_count:     128
    .vgpr_spill_count: 0
    .wavefront_size: 64
  - .agpr_count:     64
    .args:
      - .actual_access:  write_only
        .address_space:  global
        .offset:         0
        .size:           8
        .value_kind:     global_buffer
      - .actual_access:  write_only
        .address_space:  global
        .offset:         8
        .size:           8
        .value_kind:     global_buffer
      - .actual_access:  write_only
        .address_space:  global
        .offset:         16
        .size:           8
        .value_kind:     global_buffer
      - .actual_access:  read_only
        .address_space:  global
        .offset:         24
        .size:           8
        .value_kind:     global_buffer
      - .actual_access:  read_only
        .address_space:  global
        .offset:         32
        .size:           8
        .value_kind:     global_buffer
      - .actual_access:  read_only
        .address_space:  global
        .offset:         40
        .size:           8
        .value_kind:     global_buffer
      - .offset:         48
        .size:           4
        .value_kind:     by_value
      - .offset:         52
        .size:           4
        .value_kind:     by_value
      - .actual_access:  read_only
        .address_space:  global
        .offset:         56
        .size:           8
        .value_kind:     global_buffer
      - .actual_access:  read_only
        .address_space:  global
        .offset:         64
        .size:           8
        .value_kind:     global_buffer
      - .offset:         72
        .size:           4
        .value_kind:     by_value
      - .address_space:  global
        .offset:         80
        .size:           8
        .value_kind:     global_buffer
      - .offset:         88
        .size:           4
        .value_kind:     by_value
      - .offset:         92
        .size:           4
        .value_kind:     by_value
      - .offset:         96
        .size:           4
        .value_kind:     by_value
      - .address_space:  global
        .offset:         104
        .size:           8
        .value_kind:     global_buffer
      - .address_space:  global
        .offset:         112
        .size:           8
        .value_kind:     global_buffer
      - .offset:         120
        .size:           4
        .value_kind:     by_value
      - .offset:         124
        .size:           4
        .value_kind:     by_value
      - .offset:         128
        .size:           4
        .value_kind:     by_value
      - .offset:         132
        .size:           4
        .value_kind:     by_value
      - .offset:         136
        .size:           4
        .value_kind:     by_value
      - .offset:         144
        .size:           4
        .value_kind:     hidden_block_count_x
      - .offset:         148
        .size:           4
        .value_kind:     hidden_block_count_y
      - .offset:         152
        .size:           4
        .value_kind:     hidden_block_count_z
      - .offset:         156
        .size:           2
        .value_kind:     hidden_group_size_x
      - .offset:         158
        .size:           2
        .value_kind:     hidden_group_size_y
      - .offset:         160
        .size:           2
        .value_kind:     hidden_group_size_z
      - .offset:         162
        .size:           2
        .value_kind:     hidden_remainder_x
      - .offset:         164
        .size:           2
        .value_kind:     hidden_remainder_y
      - .offset:         166
        .size:           2
        .value_kind:     hidden_remainder_z
      - .offset:         184
        .size:           8
        .value_kind:     hidden_global_offset_x
      - .offset:         192
        .size:           8
        .value_kind:     hidden_global_offset_y
      - .offset:         200
        .size:           8
        .value_kind:     hidden_global_offset_z
      - .offset:         208
        .size:           2
        .value_kind:     hidden_grid_dims
      - .offset:         264
        .size:           4
        .value_kind:     hidden_dynamic_lds_size
    .group_segment_fixed_size: 528
    .kernarg_segment_align: 8
    .kernarg_segment_size: 400
    .language:       OpenCL C
    .language_version:
      - 2
      - 0
    .max_flat_workgroup_size: 1024
    .name:           _ZN4vllm25paged_attention_v2_kernelIfhLi128ELi32ELi128ELNS_18Fp8KVCacheDataTypeE1ELb1ELi512EEEvPfS2_PT_PKS3_PKT0_S9_ifPKiSB_iPKfiiiSD_SD_iiiii
    .private_segment_fixed_size: 660
    .sgpr_count:     54
    .sgpr_spill_count: 0
    .symbol:         _ZN4vllm25paged_attention_v2_kernelIfhLi128ELi32ELi128ELNS_18Fp8KVCacheDataTypeE1ELb1ELi512EEEvPfS2_PT_PKS3_PKT0_S9_ifPKiSB_iPKfiiiSD_SD_iiiii.kd
    .uniform_work_group_size: 1
    .uses_dynamic_stack: false
    .vgpr_count:     128
    .vgpr_spill_count: 0
    .wavefront_size: 64
  - .agpr_count:     64
    .args:
      - .actual_access:  write_only
        .address_space:  global
        .offset:         0
        .size:           8
        .value_kind:     global_buffer
      - .actual_access:  write_only
        .address_space:  global
        .offset:         8
        .size:           8
        .value_kind:     global_buffer
      - .actual_access:  write_only
        .address_space:  global
        .offset:         16
        .size:           8
        .value_kind:     global_buffer
      - .actual_access:  read_only
        .address_space:  global
        .offset:         24
        .size:           8
        .value_kind:     global_buffer
      - .actual_access:  read_only
        .address_space:  global
        .offset:         32
        .size:           8
        .value_kind:     global_buffer
      - .actual_access:  read_only
        .address_space:  global
        .offset:         40
        .size:           8
        .value_kind:     global_buffer
      - .offset:         48
        .size:           4
        .value_kind:     by_value
      - .offset:         52
        .size:           4
        .value_kind:     by_value
      - .actual_access:  read_only
        .address_space:  global
        .offset:         56
        .size:           8
        .value_kind:     global_buffer
      - .actual_access:  read_only
        .address_space:  global
        .offset:         64
        .size:           8
        .value_kind:     global_buffer
      - .offset:         72
        .size:           4
        .value_kind:     by_value
      - .address_space:  global
        .offset:         80
        .size:           8
        .value_kind:     global_buffer
      - .offset:         88
        .size:           4
        .value_kind:     by_value
      - .offset:         92
        .size:           4
        .value_kind:     by_value
      - .offset:         96
        .size:           4
        .value_kind:     by_value
      - .address_space:  global
        .offset:         104
        .size:           8
        .value_kind:     global_buffer
      - .address_space:  global
        .offset:         112
        .size:           8
        .value_kind:     global_buffer
      - .offset:         120
        .size:           4
        .value_kind:     by_value
      - .offset:         124
        .size:           4
        .value_kind:     by_value
      - .offset:         128
        .size:           4
        .value_kind:     by_value
      - .offset:         132
        .size:           4
        .value_kind:     by_value
      - .offset:         136
        .size:           4
        .value_kind:     by_value
      - .offset:         144
        .size:           4
        .value_kind:     hidden_block_count_x
      - .offset:         148
        .size:           4
        .value_kind:     hidden_block_count_y
      - .offset:         152
        .size:           4
        .value_kind:     hidden_block_count_z
      - .offset:         156
        .size:           2
        .value_kind:     hidden_group_size_x
      - .offset:         158
        .size:           2
        .value_kind:     hidden_group_size_y
      - .offset:         160
        .size:           2
        .value_kind:     hidden_group_size_z
      - .offset:         162
        .size:           2
        .value_kind:     hidden_remainder_x
      - .offset:         164
        .size:           2
        .value_kind:     hidden_remainder_y
      - .offset:         166
        .size:           2
        .value_kind:     hidden_remainder_z
      - .offset:         184
        .size:           8
        .value_kind:     hidden_global_offset_x
      - .offset:         192
        .size:           8
        .value_kind:     hidden_global_offset_y
      - .offset:         200
        .size:           8
        .value_kind:     hidden_global_offset_z
      - .offset:         208
        .size:           2
        .value_kind:     hidden_grid_dims
      - .offset:         264
        .size:           4
        .value_kind:     hidden_dynamic_lds_size
    .group_segment_fixed_size: 784
    .kernarg_segment_align: 8
    .kernarg_segment_size: 400
    .language:       OpenCL C
    .language_version:
      - 2
      - 0
    .max_flat_workgroup_size: 1024
    .name:           _ZN4vllm25paged_attention_v2_kernelIfhLi192ELi32ELi128ELNS_18Fp8KVCacheDataTypeE1ELb1ELi512EEEvPfS2_PT_PKS3_PKT0_S9_ifPKiSB_iPKfiiiSD_SD_iiiii
    .private_segment_fixed_size: 944
    .sgpr_count:     54
    .sgpr_spill_count: 0
    .symbol:         _ZN4vllm25paged_attention_v2_kernelIfhLi192ELi32ELi128ELNS_18Fp8KVCacheDataTypeE1ELb1ELi512EEEvPfS2_PT_PKS3_PKT0_S9_ifPKiSB_iPKfiiiSD_SD_iiiii.kd
    .uniform_work_group_size: 1
    .uses_dynamic_stack: false
    .vgpr_count:     128
    .vgpr_spill_count: 0
    .wavefront_size: 64
  - .agpr_count:     64
    .args:
      - .actual_access:  write_only
        .address_space:  global
        .offset:         0
        .size:           8
        .value_kind:     global_buffer
      - .actual_access:  write_only
        .address_space:  global
        .offset:         8
        .size:           8
        .value_kind:     global_buffer
      - .actual_access:  write_only
        .address_space:  global
        .offset:         16
        .size:           8
        .value_kind:     global_buffer
      - .actual_access:  read_only
        .address_space:  global
        .offset:         24
        .size:           8
        .value_kind:     global_buffer
      - .actual_access:  read_only
        .address_space:  global
        .offset:         32
        .size:           8
        .value_kind:     global_buffer
      - .actual_access:  read_only
        .address_space:  global
        .offset:         40
        .size:           8
        .value_kind:     global_buffer
      - .offset:         48
        .size:           4
        .value_kind:     by_value
      - .offset:         52
        .size:           4
        .value_kind:     by_value
      - .actual_access:  read_only
        .address_space:  global
        .offset:         56
        .size:           8
        .value_kind:     global_buffer
      - .actual_access:  read_only
        .address_space:  global
        .offset:         64
        .size:           8
        .value_kind:     global_buffer
      - .offset:         72
        .size:           4
        .value_kind:     by_value
      - .address_space:  global
        .offset:         80
        .size:           8
        .value_kind:     global_buffer
      - .offset:         88
        .size:           4
        .value_kind:     by_value
      - .offset:         92
        .size:           4
        .value_kind:     by_value
      - .offset:         96
        .size:           4
        .value_kind:     by_value
      - .address_space:  global
        .offset:         104
        .size:           8
        .value_kind:     global_buffer
      - .address_space:  global
        .offset:         112
        .size:           8
        .value_kind:     global_buffer
      - .offset:         120
        .size:           4
        .value_kind:     by_value
      - .offset:         124
        .size:           4
        .value_kind:     by_value
      - .offset:         128
        .size:           4
        .value_kind:     by_value
      - .offset:         132
        .size:           4
        .value_kind:     by_value
      - .offset:         136
        .size:           4
        .value_kind:     by_value
      - .offset:         144
        .size:           4
        .value_kind:     hidden_block_count_x
      - .offset:         148
        .size:           4
        .value_kind:     hidden_block_count_y
      - .offset:         152
        .size:           4
        .value_kind:     hidden_block_count_z
      - .offset:         156
        .size:           2
        .value_kind:     hidden_group_size_x
      - .offset:         158
        .size:           2
        .value_kind:     hidden_group_size_y
      - .offset:         160
        .size:           2
        .value_kind:     hidden_group_size_z
      - .offset:         162
        .size:           2
        .value_kind:     hidden_remainder_x
      - .offset:         164
        .size:           2
        .value_kind:     hidden_remainder_y
      - .offset:         166
        .size:           2
        .value_kind:     hidden_remainder_z
      - .offset:         184
        .size:           8
        .value_kind:     hidden_global_offset_x
      - .offset:         192
        .size:           8
        .value_kind:     hidden_global_offset_y
      - .offset:         200
        .size:           8
        .value_kind:     hidden_global_offset_z
      - .offset:         208
        .size:           2
        .value_kind:     hidden_grid_dims
      - .offset:         264
        .size:           4
        .value_kind:     hidden_dynamic_lds_size
    .group_segment_fixed_size: 1040
    .kernarg_segment_align: 8
    .kernarg_segment_size: 400
    .language:       OpenCL C
    .language_version:
      - 2
      - 0
    .max_flat_workgroup_size: 1024
    .name:           _ZN4vllm25paged_attention_v2_kernelIfhLi256ELi32ELi128ELNS_18Fp8KVCacheDataTypeE1ELb1ELi512EEEvPfS2_PT_PKS3_PKT0_S9_ifPKiSB_iPKfiiiSD_SD_iiiii
    .private_segment_fixed_size: 1200
    .sgpr_count:     54
    .sgpr_spill_count: 0
    .symbol:         _ZN4vllm25paged_attention_v2_kernelIfhLi256ELi32ELi128ELNS_18Fp8KVCacheDataTypeE1ELb1ELi512EEEvPfS2_PT_PKS3_PKT0_S9_ifPKiSB_iPKfiiiSD_SD_iiiii.kd
    .uniform_work_group_size: 1
    .uses_dynamic_stack: false
    .vgpr_count:     128
    .vgpr_spill_count: 0
    .wavefront_size: 64
  - .agpr_count:     0
    .args:
      - .actual_access:  write_only
        .address_space:  global
        .offset:         0
        .size:           8
        .value_kind:     global_buffer
      - .actual_access:  write_only
        .address_space:  global
        .offset:         8
        .size:           8
        .value_kind:     global_buffer
      - .actual_access:  write_only
        .address_space:  global
        .offset:         16
        .size:           8
        .value_kind:     global_buffer
      - .actual_access:  read_only
        .address_space:  global
        .offset:         24
        .size:           8
        .value_kind:     global_buffer
      - .actual_access:  read_only
        .address_space:  global
        .offset:         32
        .size:           8
        .value_kind:     global_buffer
      - .actual_access:  read_only
        .address_space:  global
        .offset:         40
        .size:           8
        .value_kind:     global_buffer
      - .offset:         48
        .size:           4
        .value_kind:     by_value
      - .offset:         52
        .size:           4
        .value_kind:     by_value
      - .actual_access:  read_only
        .address_space:  global
        .offset:         56
        .size:           8
        .value_kind:     global_buffer
      - .actual_access:  read_only
        .address_space:  global
        .offset:         64
        .size:           8
        .value_kind:     global_buffer
      - .offset:         72
        .size:           4
        .value_kind:     by_value
      - .actual_access:  read_only
        .address_space:  global
        .offset:         80
        .size:           8
        .value_kind:     global_buffer
      - .offset:         88
        .size:           4
        .value_kind:     by_value
      - .offset:         92
        .size:           4
        .value_kind:     by_value
      - .offset:         96
        .size:           4
        .value_kind:     by_value
      - .address_space:  global
        .offset:         104
        .size:           8
        .value_kind:     global_buffer
      - .address_space:  global
        .offset:         112
        .size:           8
        .value_kind:     global_buffer
      - .offset:         120
        .size:           4
        .value_kind:     by_value
      - .offset:         124
        .size:           4
        .value_kind:     by_value
      - .offset:         128
        .size:           4
        .value_kind:     by_value
      - .offset:         132
        .size:           4
        .value_kind:     by_value
      - .offset:         136
        .size:           4
        .value_kind:     by_value
      - .offset:         144
        .size:           4
        .value_kind:     hidden_block_count_x
      - .offset:         148
        .size:           4
        .value_kind:     hidden_block_count_y
      - .offset:         152
        .size:           4
        .value_kind:     hidden_block_count_z
      - .offset:         156
        .size:           2
        .value_kind:     hidden_group_size_x
      - .offset:         158
        .size:           2
        .value_kind:     hidden_group_size_y
      - .offset:         160
        .size:           2
        .value_kind:     hidden_group_size_z
      - .offset:         162
        .size:           2
        .value_kind:     hidden_remainder_x
      - .offset:         164
        .size:           2
        .value_kind:     hidden_remainder_y
      - .offset:         166
        .size:           2
        .value_kind:     hidden_remainder_z
      - .offset:         184
        .size:           8
        .value_kind:     hidden_global_offset_x
      - .offset:         192
        .size:           8
        .value_kind:     hidden_global_offset_y
      - .offset:         200
        .size:           8
        .value_kind:     hidden_global_offset_z
      - .offset:         208
        .size:           2
        .value_kind:     hidden_grid_dims
      - .offset:         264
        .size:           4
        .value_kind:     hidden_dynamic_lds_size
    .group_segment_fixed_size: 144
    .kernarg_segment_align: 8
    .kernarg_segment_size: 400
    .language:       OpenCL C
    .language_version:
      - 2
      - 0
    .max_flat_workgroup_size: 1024
    .name:           _ZN4vllm25paged_attention_v2_kernelIfhLi32ELi32ELi128ELNS_18Fp8KVCacheDataTypeE1ELb0ELi512EEEvPfS2_PT_PKS3_PKT0_S9_ifPKiSB_iPKfiiiSD_SD_iiiii
    .private_segment_fixed_size: 0
    .sgpr_count:     60
    .sgpr_spill_count: 0
    .symbol:         _ZN4vllm25paged_attention_v2_kernelIfhLi32ELi32ELi128ELNS_18Fp8KVCacheDataTypeE1ELb0ELi512EEEvPfS2_PT_PKS3_PKT0_S9_ifPKiSB_iPKfiiiSD_SD_iiiii.kd
    .uniform_work_group_size: 1
    .uses_dynamic_stack: false
    .vgpr_count:     73
    .vgpr_spill_count: 0
    .wavefront_size: 64
  - .agpr_count:     0
    .args:
      - .actual_access:  write_only
        .address_space:  global
        .offset:         0
        .size:           8
        .value_kind:     global_buffer
      - .actual_access:  write_only
        .address_space:  global
        .offset:         8
        .size:           8
        .value_kind:     global_buffer
      - .actual_access:  write_only
        .address_space:  global
        .offset:         16
        .size:           8
        .value_kind:     global_buffer
      - .actual_access:  read_only
        .address_space:  global
        .offset:         24
        .size:           8
        .value_kind:     global_buffer
      - .actual_access:  read_only
        .address_space:  global
        .offset:         32
        .size:           8
        .value_kind:     global_buffer
      - .actual_access:  read_only
        .address_space:  global
        .offset:         40
        .size:           8
        .value_kind:     global_buffer
      - .offset:         48
        .size:           4
        .value_kind:     by_value
      - .offset:         52
        .size:           4
        .value_kind:     by_value
      - .actual_access:  read_only
        .address_space:  global
        .offset:         56
        .size:           8
        .value_kind:     global_buffer
      - .actual_access:  read_only
        .address_space:  global
        .offset:         64
        .size:           8
        .value_kind:     global_buffer
      - .offset:         72
        .size:           4
        .value_kind:     by_value
      - .actual_access:  read_only
        .address_space:  global
        .offset:         80
        .size:           8
        .value_kind:     global_buffer
      - .offset:         88
        .size:           4
        .value_kind:     by_value
      - .offset:         92
        .size:           4
        .value_kind:     by_value
      - .offset:         96
        .size:           4
        .value_kind:     by_value
      - .address_space:  global
        .offset:         104
        .size:           8
        .value_kind:     global_buffer
      - .address_space:  global
        .offset:         112
        .size:           8
        .value_kind:     global_buffer
      - .offset:         120
        .size:           4
        .value_kind:     by_value
      - .offset:         124
        .size:           4
        .value_kind:     by_value
      - .offset:         128
        .size:           4
        .value_kind:     by_value
      - .offset:         132
        .size:           4
        .value_kind:     by_value
      - .offset:         136
        .size:           4
        .value_kind:     by_value
      - .offset:         144
        .size:           4
        .value_kind:     hidden_block_count_x
      - .offset:         148
        .size:           4
        .value_kind:     hidden_block_count_y
      - .offset:         152
        .size:           4
        .value_kind:     hidden_block_count_z
      - .offset:         156
        .size:           2
        .value_kind:     hidden_group_size_x
      - .offset:         158
        .size:           2
        .value_kind:     hidden_group_size_y
      - .offset:         160
        .size:           2
        .value_kind:     hidden_group_size_z
      - .offset:         162
        .size:           2
        .value_kind:     hidden_remainder_x
      - .offset:         164
        .size:           2
        .value_kind:     hidden_remainder_y
      - .offset:         166
        .size:           2
        .value_kind:     hidden_remainder_z
      - .offset:         184
        .size:           8
        .value_kind:     hidden_global_offset_x
      - .offset:         192
        .size:           8
        .value_kind:     hidden_global_offset_y
      - .offset:         200
        .size:           8
        .value_kind:     hidden_global_offset_z
      - .offset:         208
        .size:           2
        .value_kind:     hidden_grid_dims
      - .offset:         264
        .size:           4
        .value_kind:     hidden_dynamic_lds_size
    .group_segment_fixed_size: 272
    .kernarg_segment_align: 8
    .kernarg_segment_size: 400
    .language:       OpenCL C
    .language_version:
      - 2
      - 0
    .max_flat_workgroup_size: 1024
    .name:           _ZN4vllm25paged_attention_v2_kernelIfhLi64ELi32ELi128ELNS_18Fp8KVCacheDataTypeE1ELb0ELi512EEEvPfS2_PT_PKS3_PKT0_S9_ifPKiSB_iPKfiiiSD_SD_iiiii
    .private_segment_fixed_size: 0
    .sgpr_count:     60
    .sgpr_spill_count: 0
    .symbol:         _ZN4vllm25paged_attention_v2_kernelIfhLi64ELi32ELi128ELNS_18Fp8KVCacheDataTypeE1ELb0ELi512EEEvPfS2_PT_PKS3_PKT0_S9_ifPKiSB_iPKfiiiSD_SD_iiiii.kd
    .uniform_work_group_size: 1
    .uses_dynamic_stack: false
    .vgpr_count:     121
    .vgpr_spill_count: 0
    .wavefront_size: 64
  - .agpr_count:     0
    .args:
      - .actual_access:  write_only
        .address_space:  global
        .offset:         0
        .size:           8
        .value_kind:     global_buffer
      - .actual_access:  write_only
        .address_space:  global
        .offset:         8
        .size:           8
        .value_kind:     global_buffer
      - .actual_access:  write_only
        .address_space:  global
        .offset:         16
        .size:           8
        .value_kind:     global_buffer
      - .actual_access:  read_only
        .address_space:  global
        .offset:         24
        .size:           8
        .value_kind:     global_buffer
      - .actual_access:  read_only
        .address_space:  global
        .offset:         32
        .size:           8
        .value_kind:     global_buffer
      - .actual_access:  read_only
        .address_space:  global
        .offset:         40
        .size:           8
        .value_kind:     global_buffer
      - .offset:         48
        .size:           4
        .value_kind:     by_value
      - .offset:         52
        .size:           4
        .value_kind:     by_value
      - .actual_access:  read_only
        .address_space:  global
        .offset:         56
        .size:           8
        .value_kind:     global_buffer
      - .actual_access:  read_only
        .address_space:  global
        .offset:         64
        .size:           8
        .value_kind:     global_buffer
      - .offset:         72
        .size:           4
        .value_kind:     by_value
      - .actual_access:  read_only
        .address_space:  global
        .offset:         80
        .size:           8
        .value_kind:     global_buffer
      - .offset:         88
        .size:           4
        .value_kind:     by_value
      - .offset:         92
        .size:           4
        .value_kind:     by_value
      - .offset:         96
        .size:           4
        .value_kind:     by_value
      - .address_space:  global
        .offset:         104
        .size:           8
        .value_kind:     global_buffer
      - .address_space:  global
        .offset:         112
        .size:           8
        .value_kind:     global_buffer
      - .offset:         120
        .size:           4
        .value_kind:     by_value
      - .offset:         124
        .size:           4
        .value_kind:     by_value
      - .offset:         128
        .size:           4
        .value_kind:     by_value
      - .offset:         132
        .size:           4
        .value_kind:     by_value
      - .offset:         136
        .size:           4
        .value_kind:     by_value
      - .offset:         144
        .size:           4
        .value_kind:     hidden_block_count_x
      - .offset:         148
        .size:           4
        .value_kind:     hidden_block_count_y
      - .offset:         152
        .size:           4
        .value_kind:     hidden_block_count_z
      - .offset:         156
        .size:           2
        .value_kind:     hidden_group_size_x
      - .offset:         158
        .size:           2
        .value_kind:     hidden_group_size_y
      - .offset:         160
        .size:           2
        .value_kind:     hidden_group_size_z
      - .offset:         162
        .size:           2
        .value_kind:     hidden_remainder_x
      - .offset:         164
        .size:           2
        .value_kind:     hidden_remainder_y
      - .offset:         166
        .size:           2
        .value_kind:     hidden_remainder_z
      - .offset:         184
        .size:           8
        .value_kind:     hidden_global_offset_x
      - .offset:         192
        .size:           8
        .value_kind:     hidden_global_offset_y
      - .offset:         200
        .size:           8
        .value_kind:     hidden_global_offset_z
      - .offset:         208
        .size:           2
        .value_kind:     hidden_grid_dims
      - .offset:         264
        .size:           4
        .value_kind:     hidden_dynamic_lds_size
    .group_segment_fixed_size: 336
    .kernarg_segment_align: 8
    .kernarg_segment_size: 400
    .language:       OpenCL C
    .language_version:
      - 2
      - 0
    .max_flat_workgroup_size: 1024
    .name:           _ZN4vllm25paged_attention_v2_kernelIfhLi80ELi32ELi128ELNS_18Fp8KVCacheDataTypeE1ELb0ELi512EEEvPfS2_PT_PKS3_PKT0_S9_ifPKiSB_iPKfiiiSD_SD_iiiii
    .private_segment_fixed_size: 72
    .sgpr_count:     64
    .sgpr_spill_count: 0
    .symbol:         _ZN4vllm25paged_attention_v2_kernelIfhLi80ELi32ELi128ELNS_18Fp8KVCacheDataTypeE1ELb0ELi512EEEvPfS2_PT_PKS3_PKT0_S9_ifPKiSB_iPKfiiiSD_SD_iiiii.kd
    .uniform_work_group_size: 1
    .uses_dynamic_stack: false
    .vgpr_count:     128
    .vgpr_spill_count: 20
    .wavefront_size: 64
  - .agpr_count:     0
    .args:
      - .actual_access:  write_only
        .address_space:  global
        .offset:         0
        .size:           8
        .value_kind:     global_buffer
      - .actual_access:  write_only
        .address_space:  global
        .offset:         8
        .size:           8
        .value_kind:     global_buffer
      - .actual_access:  write_only
        .address_space:  global
        .offset:         16
        .size:           8
        .value_kind:     global_buffer
      - .actual_access:  read_only
        .address_space:  global
        .offset:         24
        .size:           8
        .value_kind:     global_buffer
      - .actual_access:  read_only
        .address_space:  global
        .offset:         32
        .size:           8
        .value_kind:     global_buffer
      - .actual_access:  read_only
        .address_space:  global
        .offset:         40
        .size:           8
        .value_kind:     global_buffer
      - .offset:         48
        .size:           4
        .value_kind:     by_value
      - .offset:         52
        .size:           4
        .value_kind:     by_value
      - .actual_access:  read_only
        .address_space:  global
        .offset:         56
        .size:           8
        .value_kind:     global_buffer
      - .actual_access:  read_only
        .address_space:  global
        .offset:         64
        .size:           8
        .value_kind:     global_buffer
      - .offset:         72
        .size:           4
        .value_kind:     by_value
      - .actual_access:  read_only
        .address_space:  global
        .offset:         80
        .size:           8
        .value_kind:     global_buffer
      - .offset:         88
        .size:           4
        .value_kind:     by_value
      - .offset:         92
        .size:           4
        .value_kind:     by_value
      - .offset:         96
        .size:           4
        .value_kind:     by_value
      - .address_space:  global
        .offset:         104
        .size:           8
        .value_kind:     global_buffer
      - .address_space:  global
        .offset:         112
        .size:           8
        .value_kind:     global_buffer
      - .offset:         120
        .size:           4
        .value_kind:     by_value
      - .offset:         124
        .size:           4
        .value_kind:     by_value
      - .offset:         128
        .size:           4
        .value_kind:     by_value
      - .offset:         132
        .size:           4
        .value_kind:     by_value
      - .offset:         136
        .size:           4
        .value_kind:     by_value
      - .offset:         144
        .size:           4
        .value_kind:     hidden_block_count_x
      - .offset:         148
        .size:           4
        .value_kind:     hidden_block_count_y
      - .offset:         152
        .size:           4
        .value_kind:     hidden_block_count_z
      - .offset:         156
        .size:           2
        .value_kind:     hidden_group_size_x
      - .offset:         158
        .size:           2
        .value_kind:     hidden_group_size_y
      - .offset:         160
        .size:           2
        .value_kind:     hidden_group_size_z
      - .offset:         162
        .size:           2
        .value_kind:     hidden_remainder_x
      - .offset:         164
        .size:           2
        .value_kind:     hidden_remainder_y
      - .offset:         166
        .size:           2
        .value_kind:     hidden_remainder_z
      - .offset:         184
        .size:           8
        .value_kind:     hidden_global_offset_x
      - .offset:         192
        .size:           8
        .value_kind:     hidden_global_offset_y
      - .offset:         200
        .size:           8
        .value_kind:     hidden_global_offset_z
      - .offset:         208
        .size:           2
        .value_kind:     hidden_grid_dims
      - .offset:         264
        .size:           4
        .value_kind:     hidden_dynamic_lds_size
    .group_segment_fixed_size: 400
    .kernarg_segment_align: 8
    .kernarg_segment_size: 400
    .language:       OpenCL C
    .language_version:
      - 2
      - 0
    .max_flat_workgroup_size: 1024
    .name:           _ZN4vllm25paged_attention_v2_kernelIfhLi96ELi32ELi128ELNS_18Fp8KVCacheDataTypeE1ELb0ELi512EEEvPfS2_PT_PKS3_PKT0_S9_ifPKiSB_iPKfiiiSD_SD_iiiii
    .private_segment_fixed_size: 168
    .sgpr_count:     64
    .sgpr_spill_count: 0
    .symbol:         _ZN4vllm25paged_attention_v2_kernelIfhLi96ELi32ELi128ELNS_18Fp8KVCacheDataTypeE1ELb0ELi512EEEvPfS2_PT_PKS3_PKT0_S9_ifPKiSB_iPKfiiiSD_SD_iiiii.kd
    .uniform_work_group_size: 1
    .uses_dynamic_stack: false
    .vgpr_count:     128
    .vgpr_spill_count: 44
    .wavefront_size: 64
  - .agpr_count:     64
    .args:
      - .actual_access:  write_only
        .address_space:  global
        .offset:         0
        .size:           8
        .value_kind:     global_buffer
      - .actual_access:  write_only
        .address_space:  global
        .offset:         8
        .size:           8
        .value_kind:     global_buffer
      - .actual_access:  write_only
        .address_space:  global
        .offset:         16
        .size:           8
        .value_kind:     global_buffer
      - .actual_access:  read_only
        .address_space:  global
        .offset:         24
        .size:           8
        .value_kind:     global_buffer
      - .actual_access:  read_only
        .address_space:  global
        .offset:         32
        .size:           8
        .value_kind:     global_buffer
      - .actual_access:  read_only
        .address_space:  global
        .offset:         40
        .size:           8
        .value_kind:     global_buffer
      - .offset:         48
        .size:           4
        .value_kind:     by_value
      - .offset:         52
        .size:           4
        .value_kind:     by_value
      - .actual_access:  read_only
        .address_space:  global
        .offset:         56
        .size:           8
        .value_kind:     global_buffer
      - .actual_access:  read_only
        .address_space:  global
        .offset:         64
        .size:           8
        .value_kind:     global_buffer
      - .offset:         72
        .size:           4
        .value_kind:     by_value
      - .address_space:  global
        .offset:         80
        .size:           8
        .value_kind:     global_buffer
      - .offset:         88
        .size:           4
        .value_kind:     by_value
      - .offset:         92
        .size:           4
        .value_kind:     by_value
      - .offset:         96
        .size:           4
        .value_kind:     by_value
      - .address_space:  global
        .offset:         104
        .size:           8
        .value_kind:     global_buffer
      - .address_space:  global
        .offset:         112
        .size:           8
        .value_kind:     global_buffer
      - .offset:         120
        .size:           4
        .value_kind:     by_value
      - .offset:         124
        .size:           4
        .value_kind:     by_value
      - .offset:         128
        .size:           4
        .value_kind:     by_value
      - .offset:         132
        .size:           4
        .value_kind:     by_value
      - .offset:         136
        .size:           4
        .value_kind:     by_value
      - .offset:         144
        .size:           4
        .value_kind:     hidden_block_count_x
      - .offset:         148
        .size:           4
        .value_kind:     hidden_block_count_y
      - .offset:         152
        .size:           4
        .value_kind:     hidden_block_count_z
      - .offset:         156
        .size:           2
        .value_kind:     hidden_group_size_x
      - .offset:         158
        .size:           2
        .value_kind:     hidden_group_size_y
      - .offset:         160
        .size:           2
        .value_kind:     hidden_group_size_z
      - .offset:         162
        .size:           2
        .value_kind:     hidden_remainder_x
      - .offset:         164
        .size:           2
        .value_kind:     hidden_remainder_y
      - .offset:         166
        .size:           2
        .value_kind:     hidden_remainder_z
      - .offset:         184
        .size:           8
        .value_kind:     hidden_global_offset_x
      - .offset:         192
        .size:           8
        .value_kind:     hidden_global_offset_y
      - .offset:         200
        .size:           8
        .value_kind:     hidden_global_offset_z
      - .offset:         208
        .size:           2
        .value_kind:     hidden_grid_dims
      - .offset:         264
        .size:           4
        .value_kind:     hidden_dynamic_lds_size
    .group_segment_fixed_size: 464
    .kernarg_segment_align: 8
    .kernarg_segment_size: 400
    .language:       OpenCL C
    .language_version:
      - 2
      - 0
    .max_flat_workgroup_size: 1024
    .name:           _ZN4vllm25paged_attention_v2_kernelIfhLi112ELi32ELi128ELNS_18Fp8KVCacheDataTypeE1ELb0ELi512EEEvPfS2_PT_PKS3_PKT0_S9_ifPKiSB_iPKfiiiSD_SD_iiiii
    .private_segment_fixed_size: 572
    .sgpr_count:     50
    .sgpr_spill_count: 0
    .symbol:         _ZN4vllm25paged_attention_v2_kernelIfhLi112ELi32ELi128ELNS_18Fp8KVCacheDataTypeE1ELb0ELi512EEEvPfS2_PT_PKS3_PKT0_S9_ifPKiSB_iPKfiiiSD_SD_iiiii.kd
    .uniform_work_group_size: 1
    .uses_dynamic_stack: false
    .vgpr_count:     128
    .vgpr_spill_count: 0
    .wavefront_size: 64
  - .agpr_count:     64
    .args:
      - .actual_access:  write_only
        .address_space:  global
        .offset:         0
        .size:           8
        .value_kind:     global_buffer
      - .actual_access:  write_only
        .address_space:  global
        .offset:         8
        .size:           8
        .value_kind:     global_buffer
      - .actual_access:  write_only
        .address_space:  global
        .offset:         16
        .size:           8
        .value_kind:     global_buffer
      - .actual_access:  read_only
        .address_space:  global
        .offset:         24
        .size:           8
        .value_kind:     global_buffer
      - .actual_access:  read_only
        .address_space:  global
        .offset:         32
        .size:           8
        .value_kind:     global_buffer
      - .actual_access:  read_only
        .address_space:  global
        .offset:         40
        .size:           8
        .value_kind:     global_buffer
      - .offset:         48
        .size:           4
        .value_kind:     by_value
      - .offset:         52
        .size:           4
        .value_kind:     by_value
      - .actual_access:  read_only
        .address_space:  global
        .offset:         56
        .size:           8
        .value_kind:     global_buffer
      - .actual_access:  read_only
        .address_space:  global
        .offset:         64
        .size:           8
        .value_kind:     global_buffer
      - .offset:         72
        .size:           4
        .value_kind:     by_value
      - .address_space:  global
        .offset:         80
        .size:           8
        .value_kind:     global_buffer
      - .offset:         88
        .size:           4
        .value_kind:     by_value
      - .offset:         92
        .size:           4
        .value_kind:     by_value
      - .offset:         96
        .size:           4
        .value_kind:     by_value
      - .address_space:  global
        .offset:         104
        .size:           8
        .value_kind:     global_buffer
      - .address_space:  global
        .offset:         112
        .size:           8
        .value_kind:     global_buffer
      - .offset:         120
        .size:           4
        .value_kind:     by_value
      - .offset:         124
        .size:           4
        .value_kind:     by_value
      - .offset:         128
        .size:           4
        .value_kind:     by_value
      - .offset:         132
        .size:           4
        .value_kind:     by_value
      - .offset:         136
        .size:           4
        .value_kind:     by_value
      - .offset:         144
        .size:           4
        .value_kind:     hidden_block_count_x
      - .offset:         148
        .size:           4
        .value_kind:     hidden_block_count_y
      - .offset:         152
        .size:           4
        .value_kind:     hidden_block_count_z
      - .offset:         156
        .size:           2
        .value_kind:     hidden_group_size_x
      - .offset:         158
        .size:           2
        .value_kind:     hidden_group_size_y
      - .offset:         160
        .size:           2
        .value_kind:     hidden_group_size_z
      - .offset:         162
        .size:           2
        .value_kind:     hidden_remainder_x
      - .offset:         164
        .size:           2
        .value_kind:     hidden_remainder_y
      - .offset:         166
        .size:           2
        .value_kind:     hidden_remainder_z
      - .offset:         184
        .size:           8
        .value_kind:     hidden_global_offset_x
      - .offset:         192
        .size:           8
        .value_kind:     hidden_global_offset_y
      - .offset:         200
        .size:           8
        .value_kind:     hidden_global_offset_z
      - .offset:         208
        .size:           2
        .value_kind:     hidden_grid_dims
      - .offset:         264
        .size:           4
        .value_kind:     hidden_dynamic_lds_size
    .group_segment_fixed_size: 496
    .kernarg_segment_align: 8
    .kernarg_segment_size: 400
    .language:       OpenCL C
    .language_version:
      - 2
      - 0
    .max_flat_workgroup_size: 1024
    .name:           _ZN4vllm25paged_attention_v2_kernelIfhLi120ELi32ELi128ELNS_18Fp8KVCacheDataTypeE1ELb0ELi512EEEvPfS2_PT_PKS3_PKT0_S9_ifPKiSB_iPKfiiiSD_SD_iiiii
    .private_segment_fixed_size: 648
    .sgpr_count:     50
    .sgpr_spill_count: 0
    .symbol:         _ZN4vllm25paged_attention_v2_kernelIfhLi120ELi32ELi128ELNS_18Fp8KVCacheDataTypeE1ELb0ELi512EEEvPfS2_PT_PKS3_PKT0_S9_ifPKiSB_iPKfiiiSD_SD_iiiii.kd
    .uniform_work_group_size: 1
    .uses_dynamic_stack: false
    .vgpr_count:     128
    .vgpr_spill_count: 0
    .wavefront_size: 64
  - .agpr_count:     64
    .args:
      - .actual_access:  write_only
        .address_space:  global
        .offset:         0
        .size:           8
        .value_kind:     global_buffer
      - .actual_access:  write_only
        .address_space:  global
        .offset:         8
        .size:           8
        .value_kind:     global_buffer
      - .actual_access:  write_only
        .address_space:  global
        .offset:         16
        .size:           8
        .value_kind:     global_buffer
      - .actual_access:  read_only
        .address_space:  global
        .offset:         24
        .size:           8
        .value_kind:     global_buffer
      - .actual_access:  read_only
        .address_space:  global
        .offset:         32
        .size:           8
        .value_kind:     global_buffer
      - .actual_access:  read_only
        .address_space:  global
        .offset:         40
        .size:           8
        .value_kind:     global_buffer
      - .offset:         48
        .size:           4
        .value_kind:     by_value
      - .offset:         52
        .size:           4
        .value_kind:     by_value
      - .actual_access:  read_only
        .address_space:  global
        .offset:         56
        .size:           8
        .value_kind:     global_buffer
      - .actual_access:  read_only
        .address_space:  global
        .offset:         64
        .size:           8
        .value_kind:     global_buffer
      - .offset:         72
        .size:           4
        .value_kind:     by_value
      - .address_space:  global
        .offset:         80
        .size:           8
        .value_kind:     global_buffer
      - .offset:         88
        .size:           4
        .value_kind:     by_value
      - .offset:         92
        .size:           4
        .value_kind:     by_value
      - .offset:         96
        .size:           4
        .value_kind:     by_value
      - .address_space:  global
        .offset:         104
        .size:           8
        .value_kind:     global_buffer
      - .address_space:  global
        .offset:         112
        .size:           8
        .value_kind:     global_buffer
      - .offset:         120
        .size:           4
        .value_kind:     by_value
      - .offset:         124
        .size:           4
        .value_kind:     by_value
      - .offset:         128
        .size:           4
        .value_kind:     by_value
      - .offset:         132
        .size:           4
        .value_kind:     by_value
      - .offset:         136
        .size:           4
        .value_kind:     by_value
      - .offset:         144
        .size:           4
        .value_kind:     hidden_block_count_x
      - .offset:         148
        .size:           4
        .value_kind:     hidden_block_count_y
      - .offset:         152
        .size:           4
        .value_kind:     hidden_block_count_z
      - .offset:         156
        .size:           2
        .value_kind:     hidden_group_size_x
      - .offset:         158
        .size:           2
        .value_kind:     hidden_group_size_y
      - .offset:         160
        .size:           2
        .value_kind:     hidden_group_size_z
      - .offset:         162
        .size:           2
        .value_kind:     hidden_remainder_x
      - .offset:         164
        .size:           2
        .value_kind:     hidden_remainder_y
      - .offset:         166
        .size:           2
        .value_kind:     hidden_remainder_z
      - .offset:         184
        .size:           8
        .value_kind:     hidden_global_offset_x
      - .offset:         192
        .size:           8
        .value_kind:     hidden_global_offset_y
      - .offset:         200
        .size:           8
        .value_kind:     hidden_global_offset_z
      - .offset:         208
        .size:           2
        .value_kind:     hidden_grid_dims
      - .offset:         264
        .size:           4
        .value_kind:     hidden_dynamic_lds_size
    .group_segment_fixed_size: 528
    .kernarg_segment_align: 8
    .kernarg_segment_size: 400
    .language:       OpenCL C
    .language_version:
      - 2
      - 0
    .max_flat_workgroup_size: 1024
    .name:           _ZN4vllm25paged_attention_v2_kernelIfhLi128ELi32ELi128ELNS_18Fp8KVCacheDataTypeE1ELb0ELi512EEEvPfS2_PT_PKS3_PKT0_S9_ifPKiSB_iPKfiiiSD_SD_iiiii
    .private_segment_fixed_size: 720
    .sgpr_count:     50
    .sgpr_spill_count: 0
    .symbol:         _ZN4vllm25paged_attention_v2_kernelIfhLi128ELi32ELi128ELNS_18Fp8KVCacheDataTypeE1ELb0ELi512EEEvPfS2_PT_PKS3_PKT0_S9_ifPKiSB_iPKfiiiSD_SD_iiiii.kd
    .uniform_work_group_size: 1
    .uses_dynamic_stack: false
    .vgpr_count:     128
    .vgpr_spill_count: 0
    .wavefront_size: 64
  - .agpr_count:     64
    .args:
      - .actual_access:  write_only
        .address_space:  global
        .offset:         0
        .size:           8
        .value_kind:     global_buffer
      - .actual_access:  write_only
        .address_space:  global
        .offset:         8
        .size:           8
        .value_kind:     global_buffer
      - .actual_access:  write_only
        .address_space:  global
        .offset:         16
        .size:           8
        .value_kind:     global_buffer
      - .actual_access:  read_only
        .address_space:  global
        .offset:         24
        .size:           8
        .value_kind:     global_buffer
      - .actual_access:  read_only
        .address_space:  global
        .offset:         32
        .size:           8
        .value_kind:     global_buffer
      - .actual_access:  read_only
        .address_space:  global
        .offset:         40
        .size:           8
        .value_kind:     global_buffer
      - .offset:         48
        .size:           4
        .value_kind:     by_value
      - .offset:         52
        .size:           4
        .value_kind:     by_value
      - .actual_access:  read_only
        .address_space:  global
        .offset:         56
        .size:           8
        .value_kind:     global_buffer
      - .actual_access:  read_only
        .address_space:  global
        .offset:         64
        .size:           8
        .value_kind:     global_buffer
      - .offset:         72
        .size:           4
        .value_kind:     by_value
      - .address_space:  global
        .offset:         80
        .size:           8
        .value_kind:     global_buffer
      - .offset:         88
        .size:           4
        .value_kind:     by_value
      - .offset:         92
        .size:           4
        .value_kind:     by_value
      - .offset:         96
        .size:           4
        .value_kind:     by_value
      - .address_space:  global
        .offset:         104
        .size:           8
        .value_kind:     global_buffer
      - .address_space:  global
        .offset:         112
        .size:           8
        .value_kind:     global_buffer
      - .offset:         120
        .size:           4
        .value_kind:     by_value
      - .offset:         124
        .size:           4
        .value_kind:     by_value
      - .offset:         128
        .size:           4
        .value_kind:     by_value
      - .offset:         132
        .size:           4
        .value_kind:     by_value
      - .offset:         136
        .size:           4
        .value_kind:     by_value
      - .offset:         144
        .size:           4
        .value_kind:     hidden_block_count_x
      - .offset:         148
        .size:           4
        .value_kind:     hidden_block_count_y
      - .offset:         152
        .size:           4
        .value_kind:     hidden_block_count_z
      - .offset:         156
        .size:           2
        .value_kind:     hidden_group_size_x
      - .offset:         158
        .size:           2
        .value_kind:     hidden_group_size_y
      - .offset:         160
        .size:           2
        .value_kind:     hidden_group_size_z
      - .offset:         162
        .size:           2
        .value_kind:     hidden_remainder_x
      - .offset:         164
        .size:           2
        .value_kind:     hidden_remainder_y
      - .offset:         166
        .size:           2
        .value_kind:     hidden_remainder_z
      - .offset:         184
        .size:           8
        .value_kind:     hidden_global_offset_x
      - .offset:         192
        .size:           8
        .value_kind:     hidden_global_offset_y
      - .offset:         200
        .size:           8
        .value_kind:     hidden_global_offset_z
      - .offset:         208
        .size:           2
        .value_kind:     hidden_grid_dims
      - .offset:         264
        .size:           4
        .value_kind:     hidden_dynamic_lds_size
    .group_segment_fixed_size: 784
    .kernarg_segment_align: 8
    .kernarg_segment_size: 400
    .language:       OpenCL C
    .language_version:
      - 2
      - 0
    .max_flat_workgroup_size: 1024
    .name:           _ZN4vllm25paged_attention_v2_kernelIfhLi192ELi32ELi128ELNS_18Fp8KVCacheDataTypeE1ELb0ELi512EEEvPfS2_PT_PKS3_PKT0_S9_ifPKiSB_iPKfiiiSD_SD_iiiii
    .private_segment_fixed_size: 1176
    .sgpr_count:     50
    .sgpr_spill_count: 0
    .symbol:         _ZN4vllm25paged_attention_v2_kernelIfhLi192ELi32ELi128ELNS_18Fp8KVCacheDataTypeE1ELb0ELi512EEEvPfS2_PT_PKS3_PKT0_S9_ifPKiSB_iPKfiiiSD_SD_iiiii.kd
    .uniform_work_group_size: 1
    .uses_dynamic_stack: false
    .vgpr_count:     128
    .vgpr_spill_count: 0
    .wavefront_size: 64
  - .agpr_count:     64
    .args:
      - .actual_access:  write_only
        .address_space:  global
        .offset:         0
        .size:           8
        .value_kind:     global_buffer
      - .actual_access:  write_only
        .address_space:  global
        .offset:         8
        .size:           8
        .value_kind:     global_buffer
      - .actual_access:  write_only
        .address_space:  global
        .offset:         16
        .size:           8
        .value_kind:     global_buffer
      - .actual_access:  read_only
        .address_space:  global
        .offset:         24
        .size:           8
        .value_kind:     global_buffer
      - .actual_access:  read_only
        .address_space:  global
        .offset:         32
        .size:           8
        .value_kind:     global_buffer
      - .actual_access:  read_only
        .address_space:  global
        .offset:         40
        .size:           8
        .value_kind:     global_buffer
      - .offset:         48
        .size:           4
        .value_kind:     by_value
      - .offset:         52
        .size:           4
        .value_kind:     by_value
      - .actual_access:  read_only
        .address_space:  global
        .offset:         56
        .size:           8
        .value_kind:     global_buffer
      - .actual_access:  read_only
        .address_space:  global
        .offset:         64
        .size:           8
        .value_kind:     global_buffer
      - .offset:         72
        .size:           4
        .value_kind:     by_value
      - .address_space:  global
        .offset:         80
        .size:           8
        .value_kind:     global_buffer
      - .offset:         88
        .size:           4
        .value_kind:     by_value
      - .offset:         92
        .size:           4
        .value_kind:     by_value
      - .offset:         96
        .size:           4
        .value_kind:     by_value
      - .address_space:  global
        .offset:         104
        .size:           8
        .value_kind:     global_buffer
      - .address_space:  global
        .offset:         112
        .size:           8
        .value_kind:     global_buffer
      - .offset:         120
        .size:           4
        .value_kind:     by_value
      - .offset:         124
        .size:           4
        .value_kind:     by_value
      - .offset:         128
        .size:           4
        .value_kind:     by_value
      - .offset:         132
        .size:           4
        .value_kind:     by_value
      - .offset:         136
        .size:           4
        .value_kind:     by_value
      - .offset:         144
        .size:           4
        .value_kind:     hidden_block_count_x
      - .offset:         148
        .size:           4
        .value_kind:     hidden_block_count_y
      - .offset:         152
        .size:           4
        .value_kind:     hidden_block_count_z
      - .offset:         156
        .size:           2
        .value_kind:     hidden_group_size_x
      - .offset:         158
        .size:           2
        .value_kind:     hidden_group_size_y
      - .offset:         160
        .size:           2
        .value_kind:     hidden_group_size_z
      - .offset:         162
        .size:           2
        .value_kind:     hidden_remainder_x
      - .offset:         164
        .size:           2
        .value_kind:     hidden_remainder_y
      - .offset:         166
        .size:           2
        .value_kind:     hidden_remainder_z
      - .offset:         184
        .size:           8
        .value_kind:     hidden_global_offset_x
      - .offset:         192
        .size:           8
        .value_kind:     hidden_global_offset_y
      - .offset:         200
        .size:           8
        .value_kind:     hidden_global_offset_z
      - .offset:         208
        .size:           2
        .value_kind:     hidden_grid_dims
      - .offset:         264
        .size:           4
        .value_kind:     hidden_dynamic_lds_size
    .group_segment_fixed_size: 1040
    .kernarg_segment_align: 8
    .kernarg_segment_size: 400
    .language:       OpenCL C
    .language_version:
      - 2
      - 0
    .max_flat_workgroup_size: 1024
    .name:           _ZN4vllm25paged_attention_v2_kernelIfhLi256ELi32ELi128ELNS_18Fp8KVCacheDataTypeE1ELb0ELi512EEEvPfS2_PT_PKS3_PKT0_S9_ifPKiSB_iPKfiiiSD_SD_iiiii
    .private_segment_fixed_size: 1576
    .sgpr_count:     50
    .sgpr_spill_count: 0
    .symbol:         _ZN4vllm25paged_attention_v2_kernelIfhLi256ELi32ELi128ELNS_18Fp8KVCacheDataTypeE1ELb0ELi512EEEvPfS2_PT_PKS3_PKT0_S9_ifPKiSB_iPKfiiiSD_SD_iiiii.kd
    .uniform_work_group_size: 1
    .uses_dynamic_stack: false
    .vgpr_count:     128
    .vgpr_spill_count: 0
    .wavefront_size: 64
  - .agpr_count:     0
    .args:
      - .actual_access:  write_only
        .address_space:  global
        .offset:         0
        .size:           8
        .value_kind:     global_buffer
      - .actual_access:  write_only
        .address_space:  global
        .offset:         8
        .size:           8
        .value_kind:     global_buffer
      - .actual_access:  write_only
        .address_space:  global
        .offset:         16
        .size:           8
        .value_kind:     global_buffer
      - .actual_access:  read_only
        .address_space:  global
        .offset:         24
        .size:           8
        .value_kind:     global_buffer
      - .actual_access:  read_only
        .address_space:  global
        .offset:         32
        .size:           8
        .value_kind:     global_buffer
      - .actual_access:  read_only
        .address_space:  global
        .offset:         40
        .size:           8
        .value_kind:     global_buffer
      - .offset:         48
        .size:           4
        .value_kind:     by_value
      - .offset:         52
        .size:           4
        .value_kind:     by_value
      - .actual_access:  read_only
        .address_space:  global
        .offset:         56
        .size:           8
        .value_kind:     global_buffer
      - .actual_access:  read_only
        .address_space:  global
        .offset:         64
        .size:           8
        .value_kind:     global_buffer
      - .offset:         72
        .size:           4
        .value_kind:     by_value
      - .actual_access:  read_only
        .address_space:  global
        .offset:         80
        .size:           8
        .value_kind:     global_buffer
      - .offset:         88
        .size:           4
        .value_kind:     by_value
      - .offset:         92
        .size:           4
        .value_kind:     by_value
      - .offset:         96
        .size:           4
        .value_kind:     by_value
      - .address_space:  global
        .offset:         104
        .size:           8
        .value_kind:     global_buffer
      - .address_space:  global
        .offset:         112
        .size:           8
        .value_kind:     global_buffer
      - .offset:         120
        .size:           4
        .value_kind:     by_value
      - .offset:         124
        .size:           4
        .value_kind:     by_value
      - .offset:         128
        .size:           4
        .value_kind:     by_value
      - .offset:         132
        .size:           4
        .value_kind:     by_value
      - .offset:         136
        .size:           4
        .value_kind:     by_value
      - .offset:         144
        .size:           4
        .value_kind:     hidden_block_count_x
      - .offset:         148
        .size:           4
        .value_kind:     hidden_block_count_y
      - .offset:         152
        .size:           4
        .value_kind:     hidden_block_count_z
      - .offset:         156
        .size:           2
        .value_kind:     hidden_group_size_x
      - .offset:         158
        .size:           2
        .value_kind:     hidden_group_size_y
      - .offset:         160
        .size:           2
        .value_kind:     hidden_group_size_z
      - .offset:         162
        .size:           2
        .value_kind:     hidden_remainder_x
      - .offset:         164
        .size:           2
        .value_kind:     hidden_remainder_y
      - .offset:         166
        .size:           2
        .value_kind:     hidden_remainder_z
      - .offset:         184
        .size:           8
        .value_kind:     hidden_global_offset_x
      - .offset:         192
        .size:           8
        .value_kind:     hidden_global_offset_y
      - .offset:         200
        .size:           8
        .value_kind:     hidden_global_offset_z
      - .offset:         208
        .size:           2
        .value_kind:     hidden_grid_dims
      - .offset:         264
        .size:           4
        .value_kind:     hidden_dynamic_lds_size
    .group_segment_fixed_size: 80
    .kernarg_segment_align: 8
    .kernarg_segment_size: 400
    .language:       OpenCL C
    .language_version:
      - 2
      - 0
    .max_flat_workgroup_size: 1024
    .name:           _ZN4vllm25paged_attention_v2_kernelIthLi32ELi8ELi128ELNS_18Fp8KVCacheDataTypeE1ELb1ELi512EEEvPfS2_PT_PKS3_PKT0_S9_ifPKiSB_iPKfiiiSD_SD_iiiii
    .private_segment_fixed_size: 0
    .sgpr_count:     66
    .sgpr_spill_count: 0
    .symbol:         _ZN4vllm25paged_attention_v2_kernelIthLi32ELi8ELi128ELNS_18Fp8KVCacheDataTypeE1ELb1ELi512EEEvPfS2_PT_PKS3_PKT0_S9_ifPKiSB_iPKfiiiSD_SD_iiiii.kd
    .uniform_work_group_size: 1
    .uses_dynamic_stack: false
    .vgpr_count:     38
    .vgpr_spill_count: 0
    .wavefront_size: 64
  - .agpr_count:     0
    .args:
      - .actual_access:  write_only
        .address_space:  global
        .offset:         0
        .size:           8
        .value_kind:     global_buffer
      - .actual_access:  write_only
        .address_space:  global
        .offset:         8
        .size:           8
        .value_kind:     global_buffer
      - .actual_access:  write_only
        .address_space:  global
        .offset:         16
        .size:           8
        .value_kind:     global_buffer
      - .actual_access:  read_only
        .address_space:  global
        .offset:         24
        .size:           8
        .value_kind:     global_buffer
      - .actual_access:  read_only
        .address_space:  global
        .offset:         32
        .size:           8
        .value_kind:     global_buffer
      - .actual_access:  read_only
        .address_space:  global
        .offset:         40
        .size:           8
        .value_kind:     global_buffer
      - .offset:         48
        .size:           4
        .value_kind:     by_value
      - .offset:         52
        .size:           4
        .value_kind:     by_value
      - .actual_access:  read_only
        .address_space:  global
        .offset:         56
        .size:           8
        .value_kind:     global_buffer
      - .actual_access:  read_only
        .address_space:  global
        .offset:         64
        .size:           8
        .value_kind:     global_buffer
      - .offset:         72
        .size:           4
        .value_kind:     by_value
      - .actual_access:  read_only
        .address_space:  global
        .offset:         80
        .size:           8
        .value_kind:     global_buffer
      - .offset:         88
        .size:           4
        .value_kind:     by_value
      - .offset:         92
        .size:           4
        .value_kind:     by_value
      - .offset:         96
        .size:           4
        .value_kind:     by_value
      - .address_space:  global
        .offset:         104
        .size:           8
        .value_kind:     global_buffer
      - .address_space:  global
        .offset:         112
        .size:           8
        .value_kind:     global_buffer
      - .offset:         120
        .size:           4
        .value_kind:     by_value
      - .offset:         124
        .size:           4
        .value_kind:     by_value
      - .offset:         128
        .size:           4
        .value_kind:     by_value
      - .offset:         132
        .size:           4
        .value_kind:     by_value
      - .offset:         136
        .size:           4
        .value_kind:     by_value
      - .offset:         144
        .size:           4
        .value_kind:     hidden_block_count_x
      - .offset:         148
        .size:           4
        .value_kind:     hidden_block_count_y
      - .offset:         152
        .size:           4
        .value_kind:     hidden_block_count_z
      - .offset:         156
        .size:           2
        .value_kind:     hidden_group_size_x
      - .offset:         158
        .size:           2
        .value_kind:     hidden_group_size_y
      - .offset:         160
        .size:           2
        .value_kind:     hidden_group_size_z
      - .offset:         162
        .size:           2
        .value_kind:     hidden_remainder_x
      - .offset:         164
        .size:           2
        .value_kind:     hidden_remainder_y
      - .offset:         166
        .size:           2
        .value_kind:     hidden_remainder_z
      - .offset:         184
        .size:           8
        .value_kind:     hidden_global_offset_x
      - .offset:         192
        .size:           8
        .value_kind:     hidden_global_offset_y
      - .offset:         200
        .size:           8
        .value_kind:     hidden_global_offset_z
      - .offset:         208
        .size:           2
        .value_kind:     hidden_grid_dims
      - .offset:         264
        .size:           4
        .value_kind:     hidden_dynamic_lds_size
    .group_segment_fixed_size: 144
    .kernarg_segment_align: 8
    .kernarg_segment_size: 400
    .language:       OpenCL C
    .language_version:
      - 2
      - 0
    .max_flat_workgroup_size: 1024
    .name:           _ZN4vllm25paged_attention_v2_kernelIthLi64ELi8ELi128ELNS_18Fp8KVCacheDataTypeE1ELb1ELi512EEEvPfS2_PT_PKS3_PKT0_S9_ifPKiSB_iPKfiiiSD_SD_iiiii
    .private_segment_fixed_size: 0
    .sgpr_count:     68
    .sgpr_spill_count: 0
    .symbol:         _ZN4vllm25paged_attention_v2_kernelIthLi64ELi8ELi128ELNS_18Fp8KVCacheDataTypeE1ELb1ELi512EEEvPfS2_PT_PKS3_PKT0_S9_ifPKiSB_iPKfiiiSD_SD_iiiii.kd
    .uniform_work_group_size: 1
    .uses_dynamic_stack: false
    .vgpr_count:     41
    .vgpr_spill_count: 0
    .wavefront_size: 64
  - .agpr_count:     0
    .args:
      - .actual_access:  write_only
        .address_space:  global
        .offset:         0
        .size:           8
        .value_kind:     global_buffer
      - .actual_access:  write_only
        .address_space:  global
        .offset:         8
        .size:           8
        .value_kind:     global_buffer
      - .actual_access:  write_only
        .address_space:  global
        .offset:         16
        .size:           8
        .value_kind:     global_buffer
      - .actual_access:  read_only
        .address_space:  global
        .offset:         24
        .size:           8
        .value_kind:     global_buffer
      - .actual_access:  read_only
        .address_space:  global
        .offset:         32
        .size:           8
        .value_kind:     global_buffer
      - .actual_access:  read_only
        .address_space:  global
        .offset:         40
        .size:           8
        .value_kind:     global_buffer
      - .offset:         48
        .size:           4
        .value_kind:     by_value
      - .offset:         52
        .size:           4
        .value_kind:     by_value
      - .actual_access:  read_only
        .address_space:  global
        .offset:         56
        .size:           8
        .value_kind:     global_buffer
      - .actual_access:  read_only
        .address_space:  global
        .offset:         64
        .size:           8
        .value_kind:     global_buffer
      - .offset:         72
        .size:           4
        .value_kind:     by_value
      - .actual_access:  read_only
        .address_space:  global
        .offset:         80
        .size:           8
        .value_kind:     global_buffer
      - .offset:         88
        .size:           4
        .value_kind:     by_value
      - .offset:         92
        .size:           4
        .value_kind:     by_value
      - .offset:         96
        .size:           4
        .value_kind:     by_value
      - .address_space:  global
        .offset:         104
        .size:           8
        .value_kind:     global_buffer
      - .address_space:  global
        .offset:         112
        .size:           8
        .value_kind:     global_buffer
      - .offset:         120
        .size:           4
        .value_kind:     by_value
      - .offset:         124
        .size:           4
        .value_kind:     by_value
      - .offset:         128
        .size:           4
        .value_kind:     by_value
      - .offset:         132
        .size:           4
        .value_kind:     by_value
      - .offset:         136
        .size:           4
        .value_kind:     by_value
      - .offset:         144
        .size:           4
        .value_kind:     hidden_block_count_x
      - .offset:         148
        .size:           4
        .value_kind:     hidden_block_count_y
      - .offset:         152
        .size:           4
        .value_kind:     hidden_block_count_z
      - .offset:         156
        .size:           2
        .value_kind:     hidden_group_size_x
      - .offset:         158
        .size:           2
        .value_kind:     hidden_group_size_y
      - .offset:         160
        .size:           2
        .value_kind:     hidden_group_size_z
      - .offset:         162
        .size:           2
        .value_kind:     hidden_remainder_x
      - .offset:         164
        .size:           2
        .value_kind:     hidden_remainder_y
      - .offset:         166
        .size:           2
        .value_kind:     hidden_remainder_z
      - .offset:         184
        .size:           8
        .value_kind:     hidden_global_offset_x
      - .offset:         192
        .size:           8
        .value_kind:     hidden_global_offset_y
      - .offset:         200
        .size:           8
        .value_kind:     hidden_global_offset_z
      - .offset:         208
        .size:           2
        .value_kind:     hidden_grid_dims
      - .offset:         264
        .size:           4
        .value_kind:     hidden_dynamic_lds_size
    .group_segment_fixed_size: 176
    .kernarg_segment_align: 8
    .kernarg_segment_size: 400
    .language:       OpenCL C
    .language_version:
      - 2
      - 0
    .max_flat_workgroup_size: 1024
    .name:           _ZN4vllm25paged_attention_v2_kernelIthLi80ELi8ELi128ELNS_18Fp8KVCacheDataTypeE1ELb1ELi512EEEvPfS2_PT_PKS3_PKT0_S9_ifPKiSB_iPKfiiiSD_SD_iiiii
    .private_segment_fixed_size: 0
    .sgpr_count:     68
    .sgpr_spill_count: 0
    .symbol:         _ZN4vllm25paged_attention_v2_kernelIthLi80ELi8ELi128ELNS_18Fp8KVCacheDataTypeE1ELb1ELi512EEEvPfS2_PT_PKS3_PKT0_S9_ifPKiSB_iPKfiiiSD_SD_iiiii.kd
    .uniform_work_group_size: 1
    .uses_dynamic_stack: false
    .vgpr_count:     44
    .vgpr_spill_count: 0
    .wavefront_size: 64
  - .agpr_count:     0
    .args:
      - .actual_access:  write_only
        .address_space:  global
        .offset:         0
        .size:           8
        .value_kind:     global_buffer
      - .actual_access:  write_only
        .address_space:  global
        .offset:         8
        .size:           8
        .value_kind:     global_buffer
      - .actual_access:  write_only
        .address_space:  global
        .offset:         16
        .size:           8
        .value_kind:     global_buffer
      - .actual_access:  read_only
        .address_space:  global
        .offset:         24
        .size:           8
        .value_kind:     global_buffer
      - .actual_access:  read_only
        .address_space:  global
        .offset:         32
        .size:           8
        .value_kind:     global_buffer
      - .actual_access:  read_only
        .address_space:  global
        .offset:         40
        .size:           8
        .value_kind:     global_buffer
      - .offset:         48
        .size:           4
        .value_kind:     by_value
      - .offset:         52
        .size:           4
        .value_kind:     by_value
      - .actual_access:  read_only
        .address_space:  global
        .offset:         56
        .size:           8
        .value_kind:     global_buffer
      - .actual_access:  read_only
        .address_space:  global
        .offset:         64
        .size:           8
        .value_kind:     global_buffer
      - .offset:         72
        .size:           4
        .value_kind:     by_value
      - .actual_access:  read_only
        .address_space:  global
        .offset:         80
        .size:           8
        .value_kind:     global_buffer
      - .offset:         88
        .size:           4
        .value_kind:     by_value
      - .offset:         92
        .size:           4
        .value_kind:     by_value
      - .offset:         96
        .size:           4
        .value_kind:     by_value
      - .address_space:  global
        .offset:         104
        .size:           8
        .value_kind:     global_buffer
      - .address_space:  global
        .offset:         112
        .size:           8
        .value_kind:     global_buffer
      - .offset:         120
        .size:           4
        .value_kind:     by_value
      - .offset:         124
        .size:           4
        .value_kind:     by_value
      - .offset:         128
        .size:           4
        .value_kind:     by_value
      - .offset:         132
        .size:           4
        .value_kind:     by_value
      - .offset:         136
        .size:           4
        .value_kind:     by_value
      - .offset:         144
        .size:           4
        .value_kind:     hidden_block_count_x
      - .offset:         148
        .size:           4
        .value_kind:     hidden_block_count_y
      - .offset:         152
        .size:           4
        .value_kind:     hidden_block_count_z
      - .offset:         156
        .size:           2
        .value_kind:     hidden_group_size_x
      - .offset:         158
        .size:           2
        .value_kind:     hidden_group_size_y
      - .offset:         160
        .size:           2
        .value_kind:     hidden_group_size_z
      - .offset:         162
        .size:           2
        .value_kind:     hidden_remainder_x
      - .offset:         164
        .size:           2
        .value_kind:     hidden_remainder_y
      - .offset:         166
        .size:           2
        .value_kind:     hidden_remainder_z
      - .offset:         184
        .size:           8
        .value_kind:     hidden_global_offset_x
      - .offset:         192
        .size:           8
        .value_kind:     hidden_global_offset_y
      - .offset:         200
        .size:           8
        .value_kind:     hidden_global_offset_z
      - .offset:         208
        .size:           2
        .value_kind:     hidden_grid_dims
      - .offset:         264
        .size:           4
        .value_kind:     hidden_dynamic_lds_size
    .group_segment_fixed_size: 208
    .kernarg_segment_align: 8
    .kernarg_segment_size: 400
    .language:       OpenCL C
    .language_version:
      - 2
      - 0
    .max_flat_workgroup_size: 1024
    .name:           _ZN4vllm25paged_attention_v2_kernelIthLi96ELi8ELi128ELNS_18Fp8KVCacheDataTypeE1ELb1ELi512EEEvPfS2_PT_PKS3_PKT0_S9_ifPKiSB_iPKfiiiSD_SD_iiiii
    .private_segment_fixed_size: 0
    .sgpr_count:     68
    .sgpr_spill_count: 0
    .symbol:         _ZN4vllm25paged_attention_v2_kernelIthLi96ELi8ELi128ELNS_18Fp8KVCacheDataTypeE1ELb1ELi512EEEvPfS2_PT_PKS3_PKT0_S9_ifPKiSB_iPKfiiiSD_SD_iiiii.kd
    .uniform_work_group_size: 1
    .uses_dynamic_stack: false
    .vgpr_count:     47
    .vgpr_spill_count: 0
    .wavefront_size: 64
  - .agpr_count:     0
    .args:
      - .actual_access:  write_only
        .address_space:  global
        .offset:         0
        .size:           8
        .value_kind:     global_buffer
      - .actual_access:  write_only
        .address_space:  global
        .offset:         8
        .size:           8
        .value_kind:     global_buffer
      - .actual_access:  write_only
        .address_space:  global
        .offset:         16
        .size:           8
        .value_kind:     global_buffer
      - .actual_access:  read_only
        .address_space:  global
        .offset:         24
        .size:           8
        .value_kind:     global_buffer
      - .actual_access:  read_only
        .address_space:  global
        .offset:         32
        .size:           8
        .value_kind:     global_buffer
      - .actual_access:  read_only
        .address_space:  global
        .offset:         40
        .size:           8
        .value_kind:     global_buffer
      - .offset:         48
        .size:           4
        .value_kind:     by_value
      - .offset:         52
        .size:           4
        .value_kind:     by_value
      - .actual_access:  read_only
        .address_space:  global
        .offset:         56
        .size:           8
        .value_kind:     global_buffer
      - .actual_access:  read_only
        .address_space:  global
        .offset:         64
        .size:           8
        .value_kind:     global_buffer
      - .offset:         72
        .size:           4
        .value_kind:     by_value
      - .actual_access:  read_only
        .address_space:  global
        .offset:         80
        .size:           8
        .value_kind:     global_buffer
      - .offset:         88
        .size:           4
        .value_kind:     by_value
      - .offset:         92
        .size:           4
        .value_kind:     by_value
      - .offset:         96
        .size:           4
        .value_kind:     by_value
      - .address_space:  global
        .offset:         104
        .size:           8
        .value_kind:     global_buffer
      - .address_space:  global
        .offset:         112
        .size:           8
        .value_kind:     global_buffer
      - .offset:         120
        .size:           4
        .value_kind:     by_value
      - .offset:         124
        .size:           4
        .value_kind:     by_value
      - .offset:         128
        .size:           4
        .value_kind:     by_value
      - .offset:         132
        .size:           4
        .value_kind:     by_value
      - .offset:         136
        .size:           4
        .value_kind:     by_value
      - .offset:         144
        .size:           4
        .value_kind:     hidden_block_count_x
      - .offset:         148
        .size:           4
        .value_kind:     hidden_block_count_y
      - .offset:         152
        .size:           4
        .value_kind:     hidden_block_count_z
      - .offset:         156
        .size:           2
        .value_kind:     hidden_group_size_x
      - .offset:         158
        .size:           2
        .value_kind:     hidden_group_size_y
      - .offset:         160
        .size:           2
        .value_kind:     hidden_group_size_z
      - .offset:         162
        .size:           2
        .value_kind:     hidden_remainder_x
      - .offset:         164
        .size:           2
        .value_kind:     hidden_remainder_y
      - .offset:         166
        .size:           2
        .value_kind:     hidden_remainder_z
      - .offset:         184
        .size:           8
        .value_kind:     hidden_global_offset_x
      - .offset:         192
        .size:           8
        .value_kind:     hidden_global_offset_y
      - .offset:         200
        .size:           8
        .value_kind:     hidden_global_offset_z
      - .offset:         208
        .size:           2
        .value_kind:     hidden_grid_dims
      - .offset:         264
        .size:           4
        .value_kind:     hidden_dynamic_lds_size
    .group_segment_fixed_size: 240
    .kernarg_segment_align: 8
    .kernarg_segment_size: 400
    .language:       OpenCL C
    .language_version:
      - 2
      - 0
    .max_flat_workgroup_size: 1024
    .name:           _ZN4vllm25paged_attention_v2_kernelIthLi112ELi8ELi128ELNS_18Fp8KVCacheDataTypeE1ELb1ELi512EEEvPfS2_PT_PKS3_PKT0_S9_ifPKiSB_iPKfiiiSD_SD_iiiii
    .private_segment_fixed_size: 0
    .sgpr_count:     68
    .sgpr_spill_count: 0
    .symbol:         _ZN4vllm25paged_attention_v2_kernelIthLi112ELi8ELi128ELNS_18Fp8KVCacheDataTypeE1ELb1ELi512EEEvPfS2_PT_PKS3_PKT0_S9_ifPKiSB_iPKfiiiSD_SD_iiiii.kd
    .uniform_work_group_size: 1
    .uses_dynamic_stack: false
    .vgpr_count:     50
    .vgpr_spill_count: 0
    .wavefront_size: 64
  - .agpr_count:     0
    .args:
      - .actual_access:  write_only
        .address_space:  global
        .offset:         0
        .size:           8
        .value_kind:     global_buffer
      - .actual_access:  write_only
        .address_space:  global
        .offset:         8
        .size:           8
        .value_kind:     global_buffer
      - .actual_access:  write_only
        .address_space:  global
        .offset:         16
        .size:           8
        .value_kind:     global_buffer
      - .actual_access:  read_only
        .address_space:  global
        .offset:         24
        .size:           8
        .value_kind:     global_buffer
      - .actual_access:  read_only
        .address_space:  global
        .offset:         32
        .size:           8
        .value_kind:     global_buffer
      - .actual_access:  read_only
        .address_space:  global
        .offset:         40
        .size:           8
        .value_kind:     global_buffer
      - .offset:         48
        .size:           4
        .value_kind:     by_value
      - .offset:         52
        .size:           4
        .value_kind:     by_value
      - .actual_access:  read_only
        .address_space:  global
        .offset:         56
        .size:           8
        .value_kind:     global_buffer
      - .actual_access:  read_only
        .address_space:  global
        .offset:         64
        .size:           8
        .value_kind:     global_buffer
      - .offset:         72
        .size:           4
        .value_kind:     by_value
      - .actual_access:  read_only
        .address_space:  global
        .offset:         80
        .size:           8
        .value_kind:     global_buffer
      - .offset:         88
        .size:           4
        .value_kind:     by_value
      - .offset:         92
        .size:           4
        .value_kind:     by_value
      - .offset:         96
        .size:           4
        .value_kind:     by_value
      - .address_space:  global
        .offset:         104
        .size:           8
        .value_kind:     global_buffer
      - .address_space:  global
        .offset:         112
        .size:           8
        .value_kind:     global_buffer
      - .offset:         120
        .size:           4
        .value_kind:     by_value
      - .offset:         124
        .size:           4
        .value_kind:     by_value
      - .offset:         128
        .size:           4
        .value_kind:     by_value
      - .offset:         132
        .size:           4
        .value_kind:     by_value
      - .offset:         136
        .size:           4
        .value_kind:     by_value
      - .offset:         144
        .size:           4
        .value_kind:     hidden_block_count_x
      - .offset:         148
        .size:           4
        .value_kind:     hidden_block_count_y
      - .offset:         152
        .size:           4
        .value_kind:     hidden_block_count_z
      - .offset:         156
        .size:           2
        .value_kind:     hidden_group_size_x
      - .offset:         158
        .size:           2
        .value_kind:     hidden_group_size_y
      - .offset:         160
        .size:           2
        .value_kind:     hidden_group_size_z
      - .offset:         162
        .size:           2
        .value_kind:     hidden_remainder_x
      - .offset:         164
        .size:           2
        .value_kind:     hidden_remainder_y
      - .offset:         166
        .size:           2
        .value_kind:     hidden_remainder_z
      - .offset:         184
        .size:           8
        .value_kind:     hidden_global_offset_x
      - .offset:         192
        .size:           8
        .value_kind:     hidden_global_offset_y
      - .offset:         200
        .size:           8
        .value_kind:     hidden_global_offset_z
      - .offset:         208
        .size:           2
        .value_kind:     hidden_grid_dims
      - .offset:         264
        .size:           4
        .value_kind:     hidden_dynamic_lds_size
    .group_segment_fixed_size: 256
    .kernarg_segment_align: 8
    .kernarg_segment_size: 400
    .language:       OpenCL C
    .language_version:
      - 2
      - 0
    .max_flat_workgroup_size: 1024
    .name:           _ZN4vllm25paged_attention_v2_kernelIthLi120ELi8ELi128ELNS_18Fp8KVCacheDataTypeE1ELb1ELi512EEEvPfS2_PT_PKS3_PKT0_S9_ifPKiSB_iPKfiiiSD_SD_iiiii
    .private_segment_fixed_size: 0
    .sgpr_count:     68
    .sgpr_spill_count: 0
    .symbol:         _ZN4vllm25paged_attention_v2_kernelIthLi120ELi8ELi128ELNS_18Fp8KVCacheDataTypeE1ELb1ELi512EEEvPfS2_PT_PKS3_PKT0_S9_ifPKiSB_iPKfiiiSD_SD_iiiii.kd
    .uniform_work_group_size: 1
    .uses_dynamic_stack: false
    .vgpr_count:     52
    .vgpr_spill_count: 0
    .wavefront_size: 64
  - .agpr_count:     0
    .args:
      - .actual_access:  write_only
        .address_space:  global
        .offset:         0
        .size:           8
        .value_kind:     global_buffer
      - .actual_access:  write_only
        .address_space:  global
        .offset:         8
        .size:           8
        .value_kind:     global_buffer
      - .actual_access:  write_only
        .address_space:  global
        .offset:         16
        .size:           8
        .value_kind:     global_buffer
      - .actual_access:  read_only
        .address_space:  global
        .offset:         24
        .size:           8
        .value_kind:     global_buffer
      - .actual_access:  read_only
        .address_space:  global
        .offset:         32
        .size:           8
        .value_kind:     global_buffer
      - .actual_access:  read_only
        .address_space:  global
        .offset:         40
        .size:           8
        .value_kind:     global_buffer
      - .offset:         48
        .size:           4
        .value_kind:     by_value
      - .offset:         52
        .size:           4
        .value_kind:     by_value
      - .actual_access:  read_only
        .address_space:  global
        .offset:         56
        .size:           8
        .value_kind:     global_buffer
      - .actual_access:  read_only
        .address_space:  global
        .offset:         64
        .size:           8
        .value_kind:     global_buffer
      - .offset:         72
        .size:           4
        .value_kind:     by_value
      - .actual_access:  read_only
        .address_space:  global
        .offset:         80
        .size:           8
        .value_kind:     global_buffer
      - .offset:         88
        .size:           4
        .value_kind:     by_value
      - .offset:         92
        .size:           4
        .value_kind:     by_value
      - .offset:         96
        .size:           4
        .value_kind:     by_value
      - .address_space:  global
        .offset:         104
        .size:           8
        .value_kind:     global_buffer
      - .address_space:  global
        .offset:         112
        .size:           8
        .value_kind:     global_buffer
      - .offset:         120
        .size:           4
        .value_kind:     by_value
      - .offset:         124
        .size:           4
        .value_kind:     by_value
      - .offset:         128
        .size:           4
        .value_kind:     by_value
      - .offset:         132
        .size:           4
        .value_kind:     by_value
      - .offset:         136
        .size:           4
        .value_kind:     by_value
      - .offset:         144
        .size:           4
        .value_kind:     hidden_block_count_x
      - .offset:         148
        .size:           4
        .value_kind:     hidden_block_count_y
      - .offset:         152
        .size:           4
        .value_kind:     hidden_block_count_z
      - .offset:         156
        .size:           2
        .value_kind:     hidden_group_size_x
      - .offset:         158
        .size:           2
        .value_kind:     hidden_group_size_y
      - .offset:         160
        .size:           2
        .value_kind:     hidden_group_size_z
      - .offset:         162
        .size:           2
        .value_kind:     hidden_remainder_x
      - .offset:         164
        .size:           2
        .value_kind:     hidden_remainder_y
      - .offset:         166
        .size:           2
        .value_kind:     hidden_remainder_z
      - .offset:         184
        .size:           8
        .value_kind:     hidden_global_offset_x
      - .offset:         192
        .size:           8
        .value_kind:     hidden_global_offset_y
      - .offset:         200
        .size:           8
        .value_kind:     hidden_global_offset_z
      - .offset:         208
        .size:           2
        .value_kind:     hidden_grid_dims
      - .offset:         264
        .size:           4
        .value_kind:     hidden_dynamic_lds_size
    .group_segment_fixed_size: 272
    .kernarg_segment_align: 8
    .kernarg_segment_size: 400
    .language:       OpenCL C
    .language_version:
      - 2
      - 0
    .max_flat_workgroup_size: 1024
    .name:           _ZN4vllm25paged_attention_v2_kernelIthLi128ELi8ELi128ELNS_18Fp8KVCacheDataTypeE1ELb1ELi512EEEvPfS2_PT_PKS3_PKT0_S9_ifPKiSB_iPKfiiiSD_SD_iiiii
    .private_segment_fixed_size: 0
    .sgpr_count:     66
    .sgpr_spill_count: 0
    .symbol:         _ZN4vllm25paged_attention_v2_kernelIthLi128ELi8ELi128ELNS_18Fp8KVCacheDataTypeE1ELb1ELi512EEEvPfS2_PT_PKS3_PKT0_S9_ifPKiSB_iPKfiiiSD_SD_iiiii.kd
    .uniform_work_group_size: 1
    .uses_dynamic_stack: false
    .vgpr_count:     54
    .vgpr_spill_count: 0
    .wavefront_size: 64
  - .agpr_count:     0
    .args:
      - .actual_access:  write_only
        .address_space:  global
        .offset:         0
        .size:           8
        .value_kind:     global_buffer
      - .actual_access:  write_only
        .address_space:  global
        .offset:         8
        .size:           8
        .value_kind:     global_buffer
      - .actual_access:  write_only
        .address_space:  global
        .offset:         16
        .size:           8
        .value_kind:     global_buffer
      - .actual_access:  read_only
        .address_space:  global
        .offset:         24
        .size:           8
        .value_kind:     global_buffer
      - .actual_access:  read_only
        .address_space:  global
        .offset:         32
        .size:           8
        .value_kind:     global_buffer
      - .actual_access:  read_only
        .address_space:  global
        .offset:         40
        .size:           8
        .value_kind:     global_buffer
      - .offset:         48
        .size:           4
        .value_kind:     by_value
      - .offset:         52
        .size:           4
        .value_kind:     by_value
      - .actual_access:  read_only
        .address_space:  global
        .offset:         56
        .size:           8
        .value_kind:     global_buffer
      - .actual_access:  read_only
        .address_space:  global
        .offset:         64
        .size:           8
        .value_kind:     global_buffer
      - .offset:         72
        .size:           4
        .value_kind:     by_value
      - .actual_access:  read_only
        .address_space:  global
        .offset:         80
        .size:           8
        .value_kind:     global_buffer
      - .offset:         88
        .size:           4
        .value_kind:     by_value
      - .offset:         92
        .size:           4
        .value_kind:     by_value
      - .offset:         96
        .size:           4
        .value_kind:     by_value
      - .address_space:  global
        .offset:         104
        .size:           8
        .value_kind:     global_buffer
      - .address_space:  global
        .offset:         112
        .size:           8
        .value_kind:     global_buffer
      - .offset:         120
        .size:           4
        .value_kind:     by_value
      - .offset:         124
        .size:           4
        .value_kind:     by_value
      - .offset:         128
        .size:           4
        .value_kind:     by_value
      - .offset:         132
        .size:           4
        .value_kind:     by_value
      - .offset:         136
        .size:           4
        .value_kind:     by_value
      - .offset:         144
        .size:           4
        .value_kind:     hidden_block_count_x
      - .offset:         148
        .size:           4
        .value_kind:     hidden_block_count_y
      - .offset:         152
        .size:           4
        .value_kind:     hidden_block_count_z
      - .offset:         156
        .size:           2
        .value_kind:     hidden_group_size_x
      - .offset:         158
        .size:           2
        .value_kind:     hidden_group_size_y
      - .offset:         160
        .size:           2
        .value_kind:     hidden_group_size_z
      - .offset:         162
        .size:           2
        .value_kind:     hidden_remainder_x
      - .offset:         164
        .size:           2
        .value_kind:     hidden_remainder_y
      - .offset:         166
        .size:           2
        .value_kind:     hidden_remainder_z
      - .offset:         184
        .size:           8
        .value_kind:     hidden_global_offset_x
      - .offset:         192
        .size:           8
        .value_kind:     hidden_global_offset_y
      - .offset:         200
        .size:           8
        .value_kind:     hidden_global_offset_z
      - .offset:         208
        .size:           2
        .value_kind:     hidden_grid_dims
      - .offset:         264
        .size:           4
        .value_kind:     hidden_dynamic_lds_size
    .group_segment_fixed_size: 400
    .kernarg_segment_align: 8
    .kernarg_segment_size: 400
    .language:       OpenCL C
    .language_version:
      - 2
      - 0
    .max_flat_workgroup_size: 1024
    .name:           _ZN4vllm25paged_attention_v2_kernelIthLi192ELi8ELi128ELNS_18Fp8KVCacheDataTypeE1ELb1ELi512EEEvPfS2_PT_PKS3_PKT0_S9_ifPKiSB_iPKfiiiSD_SD_iiiii
    .private_segment_fixed_size: 0
    .sgpr_count:     66
    .sgpr_spill_count: 0
    .symbol:         _ZN4vllm25paged_attention_v2_kernelIthLi192ELi8ELi128ELNS_18Fp8KVCacheDataTypeE1ELb1ELi512EEEvPfS2_PT_PKS3_PKT0_S9_ifPKiSB_iPKfiiiSD_SD_iiiii.kd
    .uniform_work_group_size: 1
    .uses_dynamic_stack: false
    .vgpr_count:     67
    .vgpr_spill_count: 0
    .wavefront_size: 64
  - .agpr_count:     0
    .args:
      - .actual_access:  write_only
        .address_space:  global
        .offset:         0
        .size:           8
        .value_kind:     global_buffer
      - .actual_access:  write_only
        .address_space:  global
        .offset:         8
        .size:           8
        .value_kind:     global_buffer
      - .actual_access:  write_only
        .address_space:  global
        .offset:         16
        .size:           8
        .value_kind:     global_buffer
      - .actual_access:  read_only
        .address_space:  global
        .offset:         24
        .size:           8
        .value_kind:     global_buffer
      - .actual_access:  read_only
        .address_space:  global
        .offset:         32
        .size:           8
        .value_kind:     global_buffer
      - .actual_access:  read_only
        .address_space:  global
        .offset:         40
        .size:           8
        .value_kind:     global_buffer
      - .offset:         48
        .size:           4
        .value_kind:     by_value
      - .offset:         52
        .size:           4
        .value_kind:     by_value
      - .actual_access:  read_only
        .address_space:  global
        .offset:         56
        .size:           8
        .value_kind:     global_buffer
      - .actual_access:  read_only
        .address_space:  global
        .offset:         64
        .size:           8
        .value_kind:     global_buffer
      - .offset:         72
        .size:           4
        .value_kind:     by_value
      - .actual_access:  read_only
        .address_space:  global
        .offset:         80
        .size:           8
        .value_kind:     global_buffer
      - .offset:         88
        .size:           4
        .value_kind:     by_value
      - .offset:         92
        .size:           4
        .value_kind:     by_value
      - .offset:         96
        .size:           4
        .value_kind:     by_value
      - .address_space:  global
        .offset:         104
        .size:           8
        .value_kind:     global_buffer
      - .address_space:  global
        .offset:         112
        .size:           8
        .value_kind:     global_buffer
      - .offset:         120
        .size:           4
        .value_kind:     by_value
      - .offset:         124
        .size:           4
        .value_kind:     by_value
      - .offset:         128
        .size:           4
        .value_kind:     by_value
      - .offset:         132
        .size:           4
        .value_kind:     by_value
      - .offset:         136
        .size:           4
        .value_kind:     by_value
      - .offset:         144
        .size:           4
        .value_kind:     hidden_block_count_x
      - .offset:         148
        .size:           4
        .value_kind:     hidden_block_count_y
      - .offset:         152
        .size:           4
        .value_kind:     hidden_block_count_z
      - .offset:         156
        .size:           2
        .value_kind:     hidden_group_size_x
      - .offset:         158
        .size:           2
        .value_kind:     hidden_group_size_y
      - .offset:         160
        .size:           2
        .value_kind:     hidden_group_size_z
      - .offset:         162
        .size:           2
        .value_kind:     hidden_remainder_x
      - .offset:         164
        .size:           2
        .value_kind:     hidden_remainder_y
      - .offset:         166
        .size:           2
        .value_kind:     hidden_remainder_z
      - .offset:         184
        .size:           8
        .value_kind:     hidden_global_offset_x
      - .offset:         192
        .size:           8
        .value_kind:     hidden_global_offset_y
      - .offset:         200
        .size:           8
        .value_kind:     hidden_global_offset_z
      - .offset:         208
        .size:           2
        .value_kind:     hidden_grid_dims
      - .offset:         264
        .size:           4
        .value_kind:     hidden_dynamic_lds_size
    .group_segment_fixed_size: 528
    .kernarg_segment_align: 8
    .kernarg_segment_size: 400
    .language:       OpenCL C
    .language_version:
      - 2
      - 0
    .max_flat_workgroup_size: 1024
    .name:           _ZN4vllm25paged_attention_v2_kernelIthLi256ELi8ELi128ELNS_18Fp8KVCacheDataTypeE1ELb1ELi512EEEvPfS2_PT_PKS3_PKT0_S9_ifPKiSB_iPKfiiiSD_SD_iiiii
    .private_segment_fixed_size: 0
    .sgpr_count:     66
    .sgpr_spill_count: 0
    .symbol:         _ZN4vllm25paged_attention_v2_kernelIthLi256ELi8ELi128ELNS_18Fp8KVCacheDataTypeE1ELb1ELi512EEEvPfS2_PT_PKS3_PKT0_S9_ifPKiSB_iPKfiiiSD_SD_iiiii.kd
    .uniform_work_group_size: 1
    .uses_dynamic_stack: false
    .vgpr_count:     79
    .vgpr_spill_count: 0
    .wavefront_size: 64
  - .agpr_count:     0
    .args:
      - .actual_access:  write_only
        .address_space:  global
        .offset:         0
        .size:           8
        .value_kind:     global_buffer
      - .actual_access:  write_only
        .address_space:  global
        .offset:         8
        .size:           8
        .value_kind:     global_buffer
      - .actual_access:  write_only
        .address_space:  global
        .offset:         16
        .size:           8
        .value_kind:     global_buffer
      - .actual_access:  read_only
        .address_space:  global
        .offset:         24
        .size:           8
        .value_kind:     global_buffer
      - .actual_access:  read_only
        .address_space:  global
        .offset:         32
        .size:           8
        .value_kind:     global_buffer
      - .actual_access:  read_only
        .address_space:  global
        .offset:         40
        .size:           8
        .value_kind:     global_buffer
      - .offset:         48
        .size:           4
        .value_kind:     by_value
      - .offset:         52
        .size:           4
        .value_kind:     by_value
      - .actual_access:  read_only
        .address_space:  global
        .offset:         56
        .size:           8
        .value_kind:     global_buffer
      - .actual_access:  read_only
        .address_space:  global
        .offset:         64
        .size:           8
        .value_kind:     global_buffer
      - .offset:         72
        .size:           4
        .value_kind:     by_value
      - .actual_access:  read_only
        .address_space:  global
        .offset:         80
        .size:           8
        .value_kind:     global_buffer
      - .offset:         88
        .size:           4
        .value_kind:     by_value
      - .offset:         92
        .size:           4
        .value_kind:     by_value
      - .offset:         96
        .size:           4
        .value_kind:     by_value
      - .address_space:  global
        .offset:         104
        .size:           8
        .value_kind:     global_buffer
      - .address_space:  global
        .offset:         112
        .size:           8
        .value_kind:     global_buffer
      - .offset:         120
        .size:           4
        .value_kind:     by_value
      - .offset:         124
        .size:           4
        .value_kind:     by_value
      - .offset:         128
        .size:           4
        .value_kind:     by_value
      - .offset:         132
        .size:           4
        .value_kind:     by_value
      - .offset:         136
        .size:           4
        .value_kind:     by_value
      - .offset:         144
        .size:           4
        .value_kind:     hidden_block_count_x
      - .offset:         148
        .size:           4
        .value_kind:     hidden_block_count_y
      - .offset:         152
        .size:           4
        .value_kind:     hidden_block_count_z
      - .offset:         156
        .size:           2
        .value_kind:     hidden_group_size_x
      - .offset:         158
        .size:           2
        .value_kind:     hidden_group_size_y
      - .offset:         160
        .size:           2
        .value_kind:     hidden_group_size_z
      - .offset:         162
        .size:           2
        .value_kind:     hidden_remainder_x
      - .offset:         164
        .size:           2
        .value_kind:     hidden_remainder_y
      - .offset:         166
        .size:           2
        .value_kind:     hidden_remainder_z
      - .offset:         184
        .size:           8
        .value_kind:     hidden_global_offset_x
      - .offset:         192
        .size:           8
        .value_kind:     hidden_global_offset_y
      - .offset:         200
        .size:           8
        .value_kind:     hidden_global_offset_z
      - .offset:         208
        .size:           2
        .value_kind:     hidden_grid_dims
      - .offset:         264
        .size:           4
        .value_kind:     hidden_dynamic_lds_size
    .group_segment_fixed_size: 80
    .kernarg_segment_align: 8
    .kernarg_segment_size: 400
    .language:       OpenCL C
    .language_version:
      - 2
      - 0
    .max_flat_workgroup_size: 1024
    .name:           _ZN4vllm25paged_attention_v2_kernelIthLi32ELi8ELi128ELNS_18Fp8KVCacheDataTypeE1ELb0ELi512EEEvPfS2_PT_PKS3_PKT0_S9_ifPKiSB_iPKfiiiSD_SD_iiiii
    .private_segment_fixed_size: 0
    .sgpr_count:     56
    .sgpr_spill_count: 0
    .symbol:         _ZN4vllm25paged_attention_v2_kernelIthLi32ELi8ELi128ELNS_18Fp8KVCacheDataTypeE1ELb0ELi512EEEvPfS2_PT_PKS3_PKT0_S9_ifPKiSB_iPKfiiiSD_SD_iiiii.kd
    .uniform_work_group_size: 1
    .uses_dynamic_stack: false
    .vgpr_count:     37
    .vgpr_spill_count: 0
    .wavefront_size: 64
  - .agpr_count:     0
    .args:
      - .actual_access:  write_only
        .address_space:  global
        .offset:         0
        .size:           8
        .value_kind:     global_buffer
      - .actual_access:  write_only
        .address_space:  global
        .offset:         8
        .size:           8
        .value_kind:     global_buffer
      - .actual_access:  write_only
        .address_space:  global
        .offset:         16
        .size:           8
        .value_kind:     global_buffer
      - .actual_access:  read_only
        .address_space:  global
        .offset:         24
        .size:           8
        .value_kind:     global_buffer
      - .actual_access:  read_only
        .address_space:  global
        .offset:         32
        .size:           8
        .value_kind:     global_buffer
      - .actual_access:  read_only
        .address_space:  global
        .offset:         40
        .size:           8
        .value_kind:     global_buffer
      - .offset:         48
        .size:           4
        .value_kind:     by_value
      - .offset:         52
        .size:           4
        .value_kind:     by_value
      - .actual_access:  read_only
        .address_space:  global
        .offset:         56
        .size:           8
        .value_kind:     global_buffer
      - .actual_access:  read_only
        .address_space:  global
        .offset:         64
        .size:           8
        .value_kind:     global_buffer
      - .offset:         72
        .size:           4
        .value_kind:     by_value
      - .actual_access:  read_only
        .address_space:  global
        .offset:         80
        .size:           8
        .value_kind:     global_buffer
      - .offset:         88
        .size:           4
        .value_kind:     by_value
      - .offset:         92
        .size:           4
        .value_kind:     by_value
      - .offset:         96
        .size:           4
        .value_kind:     by_value
      - .address_space:  global
        .offset:         104
        .size:           8
        .value_kind:     global_buffer
      - .address_space:  global
        .offset:         112
        .size:           8
        .value_kind:     global_buffer
      - .offset:         120
        .size:           4
        .value_kind:     by_value
      - .offset:         124
        .size:           4
        .value_kind:     by_value
      - .offset:         128
        .size:           4
        .value_kind:     by_value
      - .offset:         132
        .size:           4
        .value_kind:     by_value
      - .offset:         136
        .size:           4
        .value_kind:     by_value
      - .offset:         144
        .size:           4
        .value_kind:     hidden_block_count_x
      - .offset:         148
        .size:           4
        .value_kind:     hidden_block_count_y
      - .offset:         152
        .size:           4
        .value_kind:     hidden_block_count_z
      - .offset:         156
        .size:           2
        .value_kind:     hidden_group_size_x
      - .offset:         158
        .size:           2
        .value_kind:     hidden_group_size_y
      - .offset:         160
        .size:           2
        .value_kind:     hidden_group_size_z
      - .offset:         162
        .size:           2
        .value_kind:     hidden_remainder_x
      - .offset:         164
        .size:           2
        .value_kind:     hidden_remainder_y
      - .offset:         166
        .size:           2
        .value_kind:     hidden_remainder_z
      - .offset:         184
        .size:           8
        .value_kind:     hidden_global_offset_x
      - .offset:         192
        .size:           8
        .value_kind:     hidden_global_offset_y
      - .offset:         200
        .size:           8
        .value_kind:     hidden_global_offset_z
      - .offset:         208
        .size:           2
        .value_kind:     hidden_grid_dims
      - .offset:         264
        .size:           4
        .value_kind:     hidden_dynamic_lds_size
    .group_segment_fixed_size: 144
    .kernarg_segment_align: 8
    .kernarg_segment_size: 400
    .language:       OpenCL C
    .language_version:
      - 2
      - 0
    .max_flat_workgroup_size: 1024
    .name:           _ZN4vllm25paged_attention_v2_kernelIthLi64ELi8ELi128ELNS_18Fp8KVCacheDataTypeE1ELb0ELi512EEEvPfS2_PT_PKS3_PKT0_S9_ifPKiSB_iPKfiiiSD_SD_iiiii
    .private_segment_fixed_size: 0
    .sgpr_count:     58
    .sgpr_spill_count: 0
    .symbol:         _ZN4vllm25paged_attention_v2_kernelIthLi64ELi8ELi128ELNS_18Fp8KVCacheDataTypeE1ELb0ELi512EEEvPfS2_PT_PKS3_PKT0_S9_ifPKiSB_iPKfiiiSD_SD_iiiii.kd
    .uniform_work_group_size: 1
    .uses_dynamic_stack: false
    .vgpr_count:     36
    .vgpr_spill_count: 0
    .wavefront_size: 64
  - .agpr_count:     0
    .args:
      - .actual_access:  write_only
        .address_space:  global
        .offset:         0
        .size:           8
        .value_kind:     global_buffer
      - .actual_access:  write_only
        .address_space:  global
        .offset:         8
        .size:           8
        .value_kind:     global_buffer
      - .actual_access:  write_only
        .address_space:  global
        .offset:         16
        .size:           8
        .value_kind:     global_buffer
      - .actual_access:  read_only
        .address_space:  global
        .offset:         24
        .size:           8
        .value_kind:     global_buffer
      - .actual_access:  read_only
        .address_space:  global
        .offset:         32
        .size:           8
        .value_kind:     global_buffer
      - .actual_access:  read_only
        .address_space:  global
        .offset:         40
        .size:           8
        .value_kind:     global_buffer
      - .offset:         48
        .size:           4
        .value_kind:     by_value
      - .offset:         52
        .size:           4
        .value_kind:     by_value
      - .actual_access:  read_only
        .address_space:  global
        .offset:         56
        .size:           8
        .value_kind:     global_buffer
      - .actual_access:  read_only
        .address_space:  global
        .offset:         64
        .size:           8
        .value_kind:     global_buffer
      - .offset:         72
        .size:           4
        .value_kind:     by_value
      - .actual_access:  read_only
        .address_space:  global
        .offset:         80
        .size:           8
        .value_kind:     global_buffer
      - .offset:         88
        .size:           4
        .value_kind:     by_value
      - .offset:         92
        .size:           4
        .value_kind:     by_value
      - .offset:         96
        .size:           4
        .value_kind:     by_value
      - .address_space:  global
        .offset:         104
        .size:           8
        .value_kind:     global_buffer
      - .address_space:  global
        .offset:         112
        .size:           8
        .value_kind:     global_buffer
      - .offset:         120
        .size:           4
        .value_kind:     by_value
      - .offset:         124
        .size:           4
        .value_kind:     by_value
      - .offset:         128
        .size:           4
        .value_kind:     by_value
      - .offset:         132
        .size:           4
        .value_kind:     by_value
      - .offset:         136
        .size:           4
        .value_kind:     by_value
      - .offset:         144
        .size:           4
        .value_kind:     hidden_block_count_x
      - .offset:         148
        .size:           4
        .value_kind:     hidden_block_count_y
      - .offset:         152
        .size:           4
        .value_kind:     hidden_block_count_z
      - .offset:         156
        .size:           2
        .value_kind:     hidden_group_size_x
      - .offset:         158
        .size:           2
        .value_kind:     hidden_group_size_y
      - .offset:         160
        .size:           2
        .value_kind:     hidden_group_size_z
      - .offset:         162
        .size:           2
        .value_kind:     hidden_remainder_x
      - .offset:         164
        .size:           2
        .value_kind:     hidden_remainder_y
      - .offset:         166
        .size:           2
        .value_kind:     hidden_remainder_z
      - .offset:         184
        .size:           8
        .value_kind:     hidden_global_offset_x
      - .offset:         192
        .size:           8
        .value_kind:     hidden_global_offset_y
      - .offset:         200
        .size:           8
        .value_kind:     hidden_global_offset_z
      - .offset:         208
        .size:           2
        .value_kind:     hidden_grid_dims
      - .offset:         264
        .size:           4
        .value_kind:     hidden_dynamic_lds_size
    .group_segment_fixed_size: 176
    .kernarg_segment_align: 8
    .kernarg_segment_size: 400
    .language:       OpenCL C
    .language_version:
      - 2
      - 0
    .max_flat_workgroup_size: 1024
    .name:           _ZN4vllm25paged_attention_v2_kernelIthLi80ELi8ELi128ELNS_18Fp8KVCacheDataTypeE1ELb0ELi512EEEvPfS2_PT_PKS3_PKT0_S9_ifPKiSB_iPKfiiiSD_SD_iiiii
    .private_segment_fixed_size: 0
    .sgpr_count:     58
    .sgpr_spill_count: 0
    .symbol:         _ZN4vllm25paged_attention_v2_kernelIthLi80ELi8ELi128ELNS_18Fp8KVCacheDataTypeE1ELb0ELi512EEEvPfS2_PT_PKS3_PKT0_S9_ifPKiSB_iPKfiiiSD_SD_iiiii.kd
    .uniform_work_group_size: 1
    .uses_dynamic_stack: false
    .vgpr_count:     42
    .vgpr_spill_count: 0
    .wavefront_size: 64
  - .agpr_count:     0
    .args:
      - .actual_access:  write_only
        .address_space:  global
        .offset:         0
        .size:           8
        .value_kind:     global_buffer
      - .actual_access:  write_only
        .address_space:  global
        .offset:         8
        .size:           8
        .value_kind:     global_buffer
      - .actual_access:  write_only
        .address_space:  global
        .offset:         16
        .size:           8
        .value_kind:     global_buffer
      - .actual_access:  read_only
        .address_space:  global
        .offset:         24
        .size:           8
        .value_kind:     global_buffer
      - .actual_access:  read_only
        .address_space:  global
        .offset:         32
        .size:           8
        .value_kind:     global_buffer
      - .actual_access:  read_only
        .address_space:  global
        .offset:         40
        .size:           8
        .value_kind:     global_buffer
      - .offset:         48
        .size:           4
        .value_kind:     by_value
      - .offset:         52
        .size:           4
        .value_kind:     by_value
      - .actual_access:  read_only
        .address_space:  global
        .offset:         56
        .size:           8
        .value_kind:     global_buffer
      - .actual_access:  read_only
        .address_space:  global
        .offset:         64
        .size:           8
        .value_kind:     global_buffer
      - .offset:         72
        .size:           4
        .value_kind:     by_value
      - .actual_access:  read_only
        .address_space:  global
        .offset:         80
        .size:           8
        .value_kind:     global_buffer
      - .offset:         88
        .size:           4
        .value_kind:     by_value
      - .offset:         92
        .size:           4
        .value_kind:     by_value
      - .offset:         96
        .size:           4
        .value_kind:     by_value
      - .address_space:  global
        .offset:         104
        .size:           8
        .value_kind:     global_buffer
      - .address_space:  global
        .offset:         112
        .size:           8
        .value_kind:     global_buffer
      - .offset:         120
        .size:           4
        .value_kind:     by_value
      - .offset:         124
        .size:           4
        .value_kind:     by_value
      - .offset:         128
        .size:           4
        .value_kind:     by_value
      - .offset:         132
        .size:           4
        .value_kind:     by_value
      - .offset:         136
        .size:           4
        .value_kind:     by_value
      - .offset:         144
        .size:           4
        .value_kind:     hidden_block_count_x
      - .offset:         148
        .size:           4
        .value_kind:     hidden_block_count_y
      - .offset:         152
        .size:           4
        .value_kind:     hidden_block_count_z
      - .offset:         156
        .size:           2
        .value_kind:     hidden_group_size_x
      - .offset:         158
        .size:           2
        .value_kind:     hidden_group_size_y
      - .offset:         160
        .size:           2
        .value_kind:     hidden_group_size_z
      - .offset:         162
        .size:           2
        .value_kind:     hidden_remainder_x
      - .offset:         164
        .size:           2
        .value_kind:     hidden_remainder_y
      - .offset:         166
        .size:           2
        .value_kind:     hidden_remainder_z
      - .offset:         184
        .size:           8
        .value_kind:     hidden_global_offset_x
      - .offset:         192
        .size:           8
        .value_kind:     hidden_global_offset_y
      - .offset:         200
        .size:           8
        .value_kind:     hidden_global_offset_z
      - .offset:         208
        .size:           2
        .value_kind:     hidden_grid_dims
      - .offset:         264
        .size:           4
        .value_kind:     hidden_dynamic_lds_size
    .group_segment_fixed_size: 208
    .kernarg_segment_align: 8
    .kernarg_segment_size: 400
    .language:       OpenCL C
    .language_version:
      - 2
      - 0
    .max_flat_workgroup_size: 1024
    .name:           _ZN4vllm25paged_attention_v2_kernelIthLi96ELi8ELi128ELNS_18Fp8KVCacheDataTypeE1ELb0ELi512EEEvPfS2_PT_PKS3_PKT0_S9_ifPKiSB_iPKfiiiSD_SD_iiiii
    .private_segment_fixed_size: 0
    .sgpr_count:     58
    .sgpr_spill_count: 0
    .symbol:         _ZN4vllm25paged_attention_v2_kernelIthLi96ELi8ELi128ELNS_18Fp8KVCacheDataTypeE1ELb0ELi512EEEvPfS2_PT_PKS3_PKT0_S9_ifPKiSB_iPKfiiiSD_SD_iiiii.kd
    .uniform_work_group_size: 1
    .uses_dynamic_stack: false
    .vgpr_count:     42
    .vgpr_spill_count: 0
    .wavefront_size: 64
  - .agpr_count:     0
    .args:
      - .actual_access:  write_only
        .address_space:  global
        .offset:         0
        .size:           8
        .value_kind:     global_buffer
      - .actual_access:  write_only
        .address_space:  global
        .offset:         8
        .size:           8
        .value_kind:     global_buffer
      - .actual_access:  write_only
        .address_space:  global
        .offset:         16
        .size:           8
        .value_kind:     global_buffer
      - .actual_access:  read_only
        .address_space:  global
        .offset:         24
        .size:           8
        .value_kind:     global_buffer
      - .actual_access:  read_only
        .address_space:  global
        .offset:         32
        .size:           8
        .value_kind:     global_buffer
      - .actual_access:  read_only
        .address_space:  global
        .offset:         40
        .size:           8
        .value_kind:     global_buffer
      - .offset:         48
        .size:           4
        .value_kind:     by_value
      - .offset:         52
        .size:           4
        .value_kind:     by_value
      - .actual_access:  read_only
        .address_space:  global
        .offset:         56
        .size:           8
        .value_kind:     global_buffer
      - .actual_access:  read_only
        .address_space:  global
        .offset:         64
        .size:           8
        .value_kind:     global_buffer
      - .offset:         72
        .size:           4
        .value_kind:     by_value
      - .actual_access:  read_only
        .address_space:  global
        .offset:         80
        .size:           8
        .value_kind:     global_buffer
      - .offset:         88
        .size:           4
        .value_kind:     by_value
      - .offset:         92
        .size:           4
        .value_kind:     by_value
      - .offset:         96
        .size:           4
        .value_kind:     by_value
      - .address_space:  global
        .offset:         104
        .size:           8
        .value_kind:     global_buffer
      - .address_space:  global
        .offset:         112
        .size:           8
        .value_kind:     global_buffer
      - .offset:         120
        .size:           4
        .value_kind:     by_value
      - .offset:         124
        .size:           4
        .value_kind:     by_value
      - .offset:         128
        .size:           4
        .value_kind:     by_value
      - .offset:         132
        .size:           4
        .value_kind:     by_value
      - .offset:         136
        .size:           4
        .value_kind:     by_value
      - .offset:         144
        .size:           4
        .value_kind:     hidden_block_count_x
      - .offset:         148
        .size:           4
        .value_kind:     hidden_block_count_y
      - .offset:         152
        .size:           4
        .value_kind:     hidden_block_count_z
      - .offset:         156
        .size:           2
        .value_kind:     hidden_group_size_x
      - .offset:         158
        .size:           2
        .value_kind:     hidden_group_size_y
      - .offset:         160
        .size:           2
        .value_kind:     hidden_group_size_z
      - .offset:         162
        .size:           2
        .value_kind:     hidden_remainder_x
      - .offset:         164
        .size:           2
        .value_kind:     hidden_remainder_y
      - .offset:         166
        .size:           2
        .value_kind:     hidden_remainder_z
      - .offset:         184
        .size:           8
        .value_kind:     hidden_global_offset_x
      - .offset:         192
        .size:           8
        .value_kind:     hidden_global_offset_y
      - .offset:         200
        .size:           8
        .value_kind:     hidden_global_offset_z
      - .offset:         208
        .size:           2
        .value_kind:     hidden_grid_dims
      - .offset:         264
        .size:           4
        .value_kind:     hidden_dynamic_lds_size
    .group_segment_fixed_size: 240
    .kernarg_segment_align: 8
    .kernarg_segment_size: 400
    .language:       OpenCL C
    .language_version:
      - 2
      - 0
    .max_flat_workgroup_size: 1024
    .name:           _ZN4vllm25paged_attention_v2_kernelIthLi112ELi8ELi128ELNS_18Fp8KVCacheDataTypeE1ELb0ELi512EEEvPfS2_PT_PKS3_PKT0_S9_ifPKiSB_iPKfiiiSD_SD_iiiii
    .private_segment_fixed_size: 0
    .sgpr_count:     58
    .sgpr_spill_count: 0
    .symbol:         _ZN4vllm25paged_attention_v2_kernelIthLi112ELi8ELi128ELNS_18Fp8KVCacheDataTypeE1ELb0ELi512EEEvPfS2_PT_PKS3_PKT0_S9_ifPKiSB_iPKfiiiSD_SD_iiiii.kd
    .uniform_work_group_size: 1
    .uses_dynamic_stack: false
    .vgpr_count:     44
    .vgpr_spill_count: 0
    .wavefront_size: 64
  - .agpr_count:     0
    .args:
      - .actual_access:  write_only
        .address_space:  global
        .offset:         0
        .size:           8
        .value_kind:     global_buffer
      - .actual_access:  write_only
        .address_space:  global
        .offset:         8
        .size:           8
        .value_kind:     global_buffer
      - .actual_access:  write_only
        .address_space:  global
        .offset:         16
        .size:           8
        .value_kind:     global_buffer
      - .actual_access:  read_only
        .address_space:  global
        .offset:         24
        .size:           8
        .value_kind:     global_buffer
      - .actual_access:  read_only
        .address_space:  global
        .offset:         32
        .size:           8
        .value_kind:     global_buffer
      - .actual_access:  read_only
        .address_space:  global
        .offset:         40
        .size:           8
        .value_kind:     global_buffer
      - .offset:         48
        .size:           4
        .value_kind:     by_value
      - .offset:         52
        .size:           4
        .value_kind:     by_value
      - .actual_access:  read_only
        .address_space:  global
        .offset:         56
        .size:           8
        .value_kind:     global_buffer
      - .actual_access:  read_only
        .address_space:  global
        .offset:         64
        .size:           8
        .value_kind:     global_buffer
      - .offset:         72
        .size:           4
        .value_kind:     by_value
      - .actual_access:  read_only
        .address_space:  global
        .offset:         80
        .size:           8
        .value_kind:     global_buffer
      - .offset:         88
        .size:           4
        .value_kind:     by_value
      - .offset:         92
        .size:           4
        .value_kind:     by_value
      - .offset:         96
        .size:           4
        .value_kind:     by_value
      - .address_space:  global
        .offset:         104
        .size:           8
        .value_kind:     global_buffer
      - .address_space:  global
        .offset:         112
        .size:           8
        .value_kind:     global_buffer
      - .offset:         120
        .size:           4
        .value_kind:     by_value
      - .offset:         124
        .size:           4
        .value_kind:     by_value
      - .offset:         128
        .size:           4
        .value_kind:     by_value
      - .offset:         132
        .size:           4
        .value_kind:     by_value
      - .offset:         136
        .size:           4
        .value_kind:     by_value
      - .offset:         144
        .size:           4
        .value_kind:     hidden_block_count_x
      - .offset:         148
        .size:           4
        .value_kind:     hidden_block_count_y
      - .offset:         152
        .size:           4
        .value_kind:     hidden_block_count_z
      - .offset:         156
        .size:           2
        .value_kind:     hidden_group_size_x
      - .offset:         158
        .size:           2
        .value_kind:     hidden_group_size_y
      - .offset:         160
        .size:           2
        .value_kind:     hidden_group_size_z
      - .offset:         162
        .size:           2
        .value_kind:     hidden_remainder_x
      - .offset:         164
        .size:           2
        .value_kind:     hidden_remainder_y
      - .offset:         166
        .size:           2
        .value_kind:     hidden_remainder_z
      - .offset:         184
        .size:           8
        .value_kind:     hidden_global_offset_x
      - .offset:         192
        .size:           8
        .value_kind:     hidden_global_offset_y
      - .offset:         200
        .size:           8
        .value_kind:     hidden_global_offset_z
      - .offset:         208
        .size:           2
        .value_kind:     hidden_grid_dims
      - .offset:         264
        .size:           4
        .value_kind:     hidden_dynamic_lds_size
    .group_segment_fixed_size: 256
    .kernarg_segment_align: 8
    .kernarg_segment_size: 400
    .language:       OpenCL C
    .language_version:
      - 2
      - 0
    .max_flat_workgroup_size: 1024
    .name:           _ZN4vllm25paged_attention_v2_kernelIthLi120ELi8ELi128ELNS_18Fp8KVCacheDataTypeE1ELb0ELi512EEEvPfS2_PT_PKS3_PKT0_S9_ifPKiSB_iPKfiiiSD_SD_iiiii
    .private_segment_fixed_size: 0
    .sgpr_count:     58
    .sgpr_spill_count: 0
    .symbol:         _ZN4vllm25paged_attention_v2_kernelIthLi120ELi8ELi128ELNS_18Fp8KVCacheDataTypeE1ELb0ELi512EEEvPfS2_PT_PKS3_PKT0_S9_ifPKiSB_iPKfiiiSD_SD_iiiii.kd
    .uniform_work_group_size: 1
    .uses_dynamic_stack: false
    .vgpr_count:     46
    .vgpr_spill_count: 0
    .wavefront_size: 64
  - .agpr_count:     0
    .args:
      - .actual_access:  write_only
        .address_space:  global
        .offset:         0
        .size:           8
        .value_kind:     global_buffer
      - .actual_access:  write_only
        .address_space:  global
        .offset:         8
        .size:           8
        .value_kind:     global_buffer
      - .actual_access:  write_only
        .address_space:  global
        .offset:         16
        .size:           8
        .value_kind:     global_buffer
      - .actual_access:  read_only
        .address_space:  global
        .offset:         24
        .size:           8
        .value_kind:     global_buffer
      - .actual_access:  read_only
        .address_space:  global
        .offset:         32
        .size:           8
        .value_kind:     global_buffer
      - .actual_access:  read_only
        .address_space:  global
        .offset:         40
        .size:           8
        .value_kind:     global_buffer
      - .offset:         48
        .size:           4
        .value_kind:     by_value
      - .offset:         52
        .size:           4
        .value_kind:     by_value
      - .actual_access:  read_only
        .address_space:  global
        .offset:         56
        .size:           8
        .value_kind:     global_buffer
      - .actual_access:  read_only
        .address_space:  global
        .offset:         64
        .size:           8
        .value_kind:     global_buffer
      - .offset:         72
        .size:           4
        .value_kind:     by_value
      - .actual_access:  read_only
        .address_space:  global
        .offset:         80
        .size:           8
        .value_kind:     global_buffer
      - .offset:         88
        .size:           4
        .value_kind:     by_value
      - .offset:         92
        .size:           4
        .value_kind:     by_value
      - .offset:         96
        .size:           4
        .value_kind:     by_value
      - .address_space:  global
        .offset:         104
        .size:           8
        .value_kind:     global_buffer
      - .address_space:  global
        .offset:         112
        .size:           8
        .value_kind:     global_buffer
      - .offset:         120
        .size:           4
        .value_kind:     by_value
      - .offset:         124
        .size:           4
        .value_kind:     by_value
      - .offset:         128
        .size:           4
        .value_kind:     by_value
      - .offset:         132
        .size:           4
        .value_kind:     by_value
      - .offset:         136
        .size:           4
        .value_kind:     by_value
      - .offset:         144
        .size:           4
        .value_kind:     hidden_block_count_x
      - .offset:         148
        .size:           4
        .value_kind:     hidden_block_count_y
      - .offset:         152
        .size:           4
        .value_kind:     hidden_block_count_z
      - .offset:         156
        .size:           2
        .value_kind:     hidden_group_size_x
      - .offset:         158
        .size:           2
        .value_kind:     hidden_group_size_y
      - .offset:         160
        .size:           2
        .value_kind:     hidden_group_size_z
      - .offset:         162
        .size:           2
        .value_kind:     hidden_remainder_x
      - .offset:         164
        .size:           2
        .value_kind:     hidden_remainder_y
      - .offset:         166
        .size:           2
        .value_kind:     hidden_remainder_z
      - .offset:         184
        .size:           8
        .value_kind:     hidden_global_offset_x
      - .offset:         192
        .size:           8
        .value_kind:     hidden_global_offset_y
      - .offset:         200
        .size:           8
        .value_kind:     hidden_global_offset_z
      - .offset:         208
        .size:           2
        .value_kind:     hidden_grid_dims
      - .offset:         264
        .size:           4
        .value_kind:     hidden_dynamic_lds_size
    .group_segment_fixed_size: 272
    .kernarg_segment_align: 8
    .kernarg_segment_size: 400
    .language:       OpenCL C
    .language_version:
      - 2
      - 0
    .max_flat_workgroup_size: 1024
    .name:           _ZN4vllm25paged_attention_v2_kernelIthLi128ELi8ELi128ELNS_18Fp8KVCacheDataTypeE1ELb0ELi512EEEvPfS2_PT_PKS3_PKT0_S9_ifPKiSB_iPKfiiiSD_SD_iiiii
    .private_segment_fixed_size: 0
    .sgpr_count:     56
    .sgpr_spill_count: 0
    .symbol:         _ZN4vllm25paged_attention_v2_kernelIthLi128ELi8ELi128ELNS_18Fp8KVCacheDataTypeE1ELb0ELi512EEEvPfS2_PT_PKS3_PKT0_S9_ifPKiSB_iPKfiiiSD_SD_iiiii.kd
    .uniform_work_group_size: 1
    .uses_dynamic_stack: false
    .vgpr_count:     48
    .vgpr_spill_count: 0
    .wavefront_size: 64
  - .agpr_count:     0
    .args:
      - .actual_access:  write_only
        .address_space:  global
        .offset:         0
        .size:           8
        .value_kind:     global_buffer
      - .actual_access:  write_only
        .address_space:  global
        .offset:         8
        .size:           8
        .value_kind:     global_buffer
      - .actual_access:  write_only
        .address_space:  global
        .offset:         16
        .size:           8
        .value_kind:     global_buffer
      - .actual_access:  read_only
        .address_space:  global
        .offset:         24
        .size:           8
        .value_kind:     global_buffer
      - .actual_access:  read_only
        .address_space:  global
        .offset:         32
        .size:           8
        .value_kind:     global_buffer
      - .actual_access:  read_only
        .address_space:  global
        .offset:         40
        .size:           8
        .value_kind:     global_buffer
      - .offset:         48
        .size:           4
        .value_kind:     by_value
      - .offset:         52
        .size:           4
        .value_kind:     by_value
      - .actual_access:  read_only
        .address_space:  global
        .offset:         56
        .size:           8
        .value_kind:     global_buffer
      - .actual_access:  read_only
        .address_space:  global
        .offset:         64
        .size:           8
        .value_kind:     global_buffer
      - .offset:         72
        .size:           4
        .value_kind:     by_value
      - .actual_access:  read_only
        .address_space:  global
        .offset:         80
        .size:           8
        .value_kind:     global_buffer
      - .offset:         88
        .size:           4
        .value_kind:     by_value
      - .offset:         92
        .size:           4
        .value_kind:     by_value
      - .offset:         96
        .size:           4
        .value_kind:     by_value
      - .address_space:  global
        .offset:         104
        .size:           8
        .value_kind:     global_buffer
      - .address_space:  global
        .offset:         112
        .size:           8
        .value_kind:     global_buffer
      - .offset:         120
        .size:           4
        .value_kind:     by_value
      - .offset:         124
        .size:           4
        .value_kind:     by_value
      - .offset:         128
        .size:           4
        .value_kind:     by_value
      - .offset:         132
        .size:           4
        .value_kind:     by_value
      - .offset:         136
        .size:           4
        .value_kind:     by_value
      - .offset:         144
        .size:           4
        .value_kind:     hidden_block_count_x
      - .offset:         148
        .size:           4
        .value_kind:     hidden_block_count_y
      - .offset:         152
        .size:           4
        .value_kind:     hidden_block_count_z
      - .offset:         156
        .size:           2
        .value_kind:     hidden_group_size_x
      - .offset:         158
        .size:           2
        .value_kind:     hidden_group_size_y
      - .offset:         160
        .size:           2
        .value_kind:     hidden_group_size_z
      - .offset:         162
        .size:           2
        .value_kind:     hidden_remainder_x
      - .offset:         164
        .size:           2
        .value_kind:     hidden_remainder_y
      - .offset:         166
        .size:           2
        .value_kind:     hidden_remainder_z
      - .offset:         184
        .size:           8
        .value_kind:     hidden_global_offset_x
      - .offset:         192
        .size:           8
        .value_kind:     hidden_global_offset_y
      - .offset:         200
        .size:           8
        .value_kind:     hidden_global_offset_z
      - .offset:         208
        .size:           2
        .value_kind:     hidden_grid_dims
      - .offset:         264
        .size:           4
        .value_kind:     hidden_dynamic_lds_size
    .group_segment_fixed_size: 400
    .kernarg_segment_align: 8
    .kernarg_segment_size: 400
    .language:       OpenCL C
    .language_version:
      - 2
      - 0
    .max_flat_workgroup_size: 1024
    .name:           _ZN4vllm25paged_attention_v2_kernelIthLi192ELi8ELi128ELNS_18Fp8KVCacheDataTypeE1ELb0ELi512EEEvPfS2_PT_PKS3_PKT0_S9_ifPKiSB_iPKfiiiSD_SD_iiiii
    .private_segment_fixed_size: 0
    .sgpr_count:     56
    .sgpr_spill_count: 0
    .symbol:         _ZN4vllm25paged_attention_v2_kernelIthLi192ELi8ELi128ELNS_18Fp8KVCacheDataTypeE1ELb0ELi512EEEvPfS2_PT_PKS3_PKT0_S9_ifPKiSB_iPKfiiiSD_SD_iiiii.kd
    .uniform_work_group_size: 1
    .uses_dynamic_stack: false
    .vgpr_count:     61
    .vgpr_spill_count: 0
    .wavefront_size: 64
  - .agpr_count:     0
    .args:
      - .actual_access:  write_only
        .address_space:  global
        .offset:         0
        .size:           8
        .value_kind:     global_buffer
      - .actual_access:  write_only
        .address_space:  global
        .offset:         8
        .size:           8
        .value_kind:     global_buffer
      - .actual_access:  write_only
        .address_space:  global
        .offset:         16
        .size:           8
        .value_kind:     global_buffer
      - .actual_access:  read_only
        .address_space:  global
        .offset:         24
        .size:           8
        .value_kind:     global_buffer
      - .actual_access:  read_only
        .address_space:  global
        .offset:         32
        .size:           8
        .value_kind:     global_buffer
      - .actual_access:  read_only
        .address_space:  global
        .offset:         40
        .size:           8
        .value_kind:     global_buffer
      - .offset:         48
        .size:           4
        .value_kind:     by_value
      - .offset:         52
        .size:           4
        .value_kind:     by_value
      - .actual_access:  read_only
        .address_space:  global
        .offset:         56
        .size:           8
        .value_kind:     global_buffer
      - .actual_access:  read_only
        .address_space:  global
        .offset:         64
        .size:           8
        .value_kind:     global_buffer
      - .offset:         72
        .size:           4
        .value_kind:     by_value
      - .actual_access:  read_only
        .address_space:  global
        .offset:         80
        .size:           8
        .value_kind:     global_buffer
      - .offset:         88
        .size:           4
        .value_kind:     by_value
      - .offset:         92
        .size:           4
        .value_kind:     by_value
      - .offset:         96
        .size:           4
        .value_kind:     by_value
      - .address_space:  global
        .offset:         104
        .size:           8
        .value_kind:     global_buffer
      - .address_space:  global
        .offset:         112
        .size:           8
        .value_kind:     global_buffer
      - .offset:         120
        .size:           4
        .value_kind:     by_value
      - .offset:         124
        .size:           4
        .value_kind:     by_value
      - .offset:         128
        .size:           4
        .value_kind:     by_value
      - .offset:         132
        .size:           4
        .value_kind:     by_value
      - .offset:         136
        .size:           4
        .value_kind:     by_value
      - .offset:         144
        .size:           4
        .value_kind:     hidden_block_count_x
      - .offset:         148
        .size:           4
        .value_kind:     hidden_block_count_y
      - .offset:         152
        .size:           4
        .value_kind:     hidden_block_count_z
      - .offset:         156
        .size:           2
        .value_kind:     hidden_group_size_x
      - .offset:         158
        .size:           2
        .value_kind:     hidden_group_size_y
      - .offset:         160
        .size:           2
        .value_kind:     hidden_group_size_z
      - .offset:         162
        .size:           2
        .value_kind:     hidden_remainder_x
      - .offset:         164
        .size:           2
        .value_kind:     hidden_remainder_y
      - .offset:         166
        .size:           2
        .value_kind:     hidden_remainder_z
      - .offset:         184
        .size:           8
        .value_kind:     hidden_global_offset_x
      - .offset:         192
        .size:           8
        .value_kind:     hidden_global_offset_y
      - .offset:         200
        .size:           8
        .value_kind:     hidden_global_offset_z
      - .offset:         208
        .size:           2
        .value_kind:     hidden_grid_dims
      - .offset:         264
        .size:           4
        .value_kind:     hidden_dynamic_lds_size
    .group_segment_fixed_size: 528
    .kernarg_segment_align: 8
    .kernarg_segment_size: 400
    .language:       OpenCL C
    .language_version:
      - 2
      - 0
    .max_flat_workgroup_size: 1024
    .name:           _ZN4vllm25paged_attention_v2_kernelIthLi256ELi8ELi128ELNS_18Fp8KVCacheDataTypeE1ELb0ELi512EEEvPfS2_PT_PKS3_PKT0_S9_ifPKiSB_iPKfiiiSD_SD_iiiii
    .private_segment_fixed_size: 0
    .sgpr_count:     56
    .sgpr_spill_count: 0
    .symbol:         _ZN4vllm25paged_attention_v2_kernelIthLi256ELi8ELi128ELNS_18Fp8KVCacheDataTypeE1ELb0ELi512EEEvPfS2_PT_PKS3_PKT0_S9_ifPKiSB_iPKfiiiSD_SD_iiiii.kd
    .uniform_work_group_size: 1
    .uses_dynamic_stack: false
    .vgpr_count:     75
    .vgpr_spill_count: 0
    .wavefront_size: 64
  - .agpr_count:     0
    .args:
      - .actual_access:  write_only
        .address_space:  global
        .offset:         0
        .size:           8
        .value_kind:     global_buffer
      - .actual_access:  write_only
        .address_space:  global
        .offset:         8
        .size:           8
        .value_kind:     global_buffer
      - .actual_access:  write_only
        .address_space:  global
        .offset:         16
        .size:           8
        .value_kind:     global_buffer
      - .actual_access:  read_only
        .address_space:  global
        .offset:         24
        .size:           8
        .value_kind:     global_buffer
      - .actual_access:  read_only
        .address_space:  global
        .offset:         32
        .size:           8
        .value_kind:     global_buffer
      - .actual_access:  read_only
        .address_space:  global
        .offset:         40
        .size:           8
        .value_kind:     global_buffer
      - .offset:         48
        .size:           4
        .value_kind:     by_value
      - .offset:         52
        .size:           4
        .value_kind:     by_value
      - .actual_access:  read_only
        .address_space:  global
        .offset:         56
        .size:           8
        .value_kind:     global_buffer
      - .actual_access:  read_only
        .address_space:  global
        .offset:         64
        .size:           8
        .value_kind:     global_buffer
      - .offset:         72
        .size:           4
        .value_kind:     by_value
      - .actual_access:  read_only
        .address_space:  global
        .offset:         80
        .size:           8
        .value_kind:     global_buffer
      - .offset:         88
        .size:           4
        .value_kind:     by_value
      - .offset:         92
        .size:           4
        .value_kind:     by_value
      - .offset:         96
        .size:           4
        .value_kind:     by_value
      - .address_space:  global
        .offset:         104
        .size:           8
        .value_kind:     global_buffer
      - .address_space:  global
        .offset:         112
        .size:           8
        .value_kind:     global_buffer
      - .offset:         120
        .size:           4
        .value_kind:     by_value
      - .offset:         124
        .size:           4
        .value_kind:     by_value
      - .offset:         128
        .size:           4
        .value_kind:     by_value
      - .offset:         132
        .size:           4
        .value_kind:     by_value
      - .offset:         136
        .size:           4
        .value_kind:     by_value
      - .offset:         144
        .size:           4
        .value_kind:     hidden_block_count_x
      - .offset:         148
        .size:           4
        .value_kind:     hidden_block_count_y
      - .offset:         152
        .size:           4
        .value_kind:     hidden_block_count_z
      - .offset:         156
        .size:           2
        .value_kind:     hidden_group_size_x
      - .offset:         158
        .size:           2
        .value_kind:     hidden_group_size_y
      - .offset:         160
        .size:           2
        .value_kind:     hidden_group_size_z
      - .offset:         162
        .size:           2
        .value_kind:     hidden_remainder_x
      - .offset:         164
        .size:           2
        .value_kind:     hidden_remainder_y
      - .offset:         166
        .size:           2
        .value_kind:     hidden_remainder_z
      - .offset:         184
        .size:           8
        .value_kind:     hidden_global_offset_x
      - .offset:         192
        .size:           8
        .value_kind:     hidden_global_offset_y
      - .offset:         200
        .size:           8
        .value_kind:     hidden_global_offset_z
      - .offset:         208
        .size:           2
        .value_kind:     hidden_grid_dims
      - .offset:         264
        .size:           4
        .value_kind:     hidden_dynamic_lds_size
    .group_segment_fixed_size: 80
    .kernarg_segment_align: 8
    .kernarg_segment_size: 400
    .language:       OpenCL C
    .language_version:
      - 2
      - 0
    .max_flat_workgroup_size: 1024
    .name:           _ZN4vllm25paged_attention_v2_kernelIthLi32ELi16ELi128ELNS_18Fp8KVCacheDataTypeE1ELb1ELi512EEEvPfS2_PT_PKS3_PKT0_S9_ifPKiSB_iPKfiiiSD_SD_iiiii
    .private_segment_fixed_size: 0
    .sgpr_count:     67
    .sgpr_spill_count: 0
    .symbol:         _ZN4vllm25paged_attention_v2_kernelIthLi32ELi16ELi128ELNS_18Fp8KVCacheDataTypeE1ELb1ELi512EEEvPfS2_PT_PKS3_PKT0_S9_ifPKiSB_iPKfiiiSD_SD_iiiii.kd
    .uniform_work_group_size: 1
    .uses_dynamic_stack: false
    .vgpr_count:     40
    .vgpr_spill_count: 0
    .wavefront_size: 64
  - .agpr_count:     0
    .args:
      - .actual_access:  write_only
        .address_space:  global
        .offset:         0
        .size:           8
        .value_kind:     global_buffer
      - .actual_access:  write_only
        .address_space:  global
        .offset:         8
        .size:           8
        .value_kind:     global_buffer
      - .actual_access:  write_only
        .address_space:  global
        .offset:         16
        .size:           8
        .value_kind:     global_buffer
      - .actual_access:  read_only
        .address_space:  global
        .offset:         24
        .size:           8
        .value_kind:     global_buffer
      - .actual_access:  read_only
        .address_space:  global
        .offset:         32
        .size:           8
        .value_kind:     global_buffer
      - .actual_access:  read_only
        .address_space:  global
        .offset:         40
        .size:           8
        .value_kind:     global_buffer
      - .offset:         48
        .size:           4
        .value_kind:     by_value
      - .offset:         52
        .size:           4
        .value_kind:     by_value
      - .actual_access:  read_only
        .address_space:  global
        .offset:         56
        .size:           8
        .value_kind:     global_buffer
      - .actual_access:  read_only
        .address_space:  global
        .offset:         64
        .size:           8
        .value_kind:     global_buffer
      - .offset:         72
        .size:           4
        .value_kind:     by_value
      - .actual_access:  read_only
        .address_space:  global
        .offset:         80
        .size:           8
        .value_kind:     global_buffer
      - .offset:         88
        .size:           4
        .value_kind:     by_value
      - .offset:         92
        .size:           4
        .value_kind:     by_value
      - .offset:         96
        .size:           4
        .value_kind:     by_value
      - .address_space:  global
        .offset:         104
        .size:           8
        .value_kind:     global_buffer
      - .address_space:  global
        .offset:         112
        .size:           8
        .value_kind:     global_buffer
      - .offset:         120
        .size:           4
        .value_kind:     by_value
      - .offset:         124
        .size:           4
        .value_kind:     by_value
      - .offset:         128
        .size:           4
        .value_kind:     by_value
      - .offset:         132
        .size:           4
        .value_kind:     by_value
      - .offset:         136
        .size:           4
        .value_kind:     by_value
      - .offset:         144
        .size:           4
        .value_kind:     hidden_block_count_x
      - .offset:         148
        .size:           4
        .value_kind:     hidden_block_count_y
      - .offset:         152
        .size:           4
        .value_kind:     hidden_block_count_z
      - .offset:         156
        .size:           2
        .value_kind:     hidden_group_size_x
      - .offset:         158
        .size:           2
        .value_kind:     hidden_group_size_y
      - .offset:         160
        .size:           2
        .value_kind:     hidden_group_size_z
      - .offset:         162
        .size:           2
        .value_kind:     hidden_remainder_x
      - .offset:         164
        .size:           2
        .value_kind:     hidden_remainder_y
      - .offset:         166
        .size:           2
        .value_kind:     hidden_remainder_z
      - .offset:         184
        .size:           8
        .value_kind:     hidden_global_offset_x
      - .offset:         192
        .size:           8
        .value_kind:     hidden_global_offset_y
      - .offset:         200
        .size:           8
        .value_kind:     hidden_global_offset_z
      - .offset:         208
        .size:           2
        .value_kind:     hidden_grid_dims
      - .offset:         264
        .size:           4
        .value_kind:     hidden_dynamic_lds_size
    .group_segment_fixed_size: 144
    .kernarg_segment_align: 8
    .kernarg_segment_size: 400
    .language:       OpenCL C
    .language_version:
      - 2
      - 0
    .max_flat_workgroup_size: 1024
    .name:           _ZN4vllm25paged_attention_v2_kernelIthLi64ELi16ELi128ELNS_18Fp8KVCacheDataTypeE1ELb1ELi512EEEvPfS2_PT_PKS3_PKT0_S9_ifPKiSB_iPKfiiiSD_SD_iiiii
    .private_segment_fixed_size: 0
    .sgpr_count:     67
    .sgpr_spill_count: 0
    .symbol:         _ZN4vllm25paged_attention_v2_kernelIthLi64ELi16ELi128ELNS_18Fp8KVCacheDataTypeE1ELb1ELi512EEEvPfS2_PT_PKS3_PKT0_S9_ifPKiSB_iPKfiiiSD_SD_iiiii.kd
    .uniform_work_group_size: 1
    .uses_dynamic_stack: false
    .vgpr_count:     49
    .vgpr_spill_count: 0
    .wavefront_size: 64
  - .agpr_count:     0
    .args:
      - .actual_access:  write_only
        .address_space:  global
        .offset:         0
        .size:           8
        .value_kind:     global_buffer
      - .actual_access:  write_only
        .address_space:  global
        .offset:         8
        .size:           8
        .value_kind:     global_buffer
      - .actual_access:  write_only
        .address_space:  global
        .offset:         16
        .size:           8
        .value_kind:     global_buffer
      - .actual_access:  read_only
        .address_space:  global
        .offset:         24
        .size:           8
        .value_kind:     global_buffer
      - .actual_access:  read_only
        .address_space:  global
        .offset:         32
        .size:           8
        .value_kind:     global_buffer
      - .actual_access:  read_only
        .address_space:  global
        .offset:         40
        .size:           8
        .value_kind:     global_buffer
      - .offset:         48
        .size:           4
        .value_kind:     by_value
      - .offset:         52
        .size:           4
        .value_kind:     by_value
      - .actual_access:  read_only
        .address_space:  global
        .offset:         56
        .size:           8
        .value_kind:     global_buffer
      - .actual_access:  read_only
        .address_space:  global
        .offset:         64
        .size:           8
        .value_kind:     global_buffer
      - .offset:         72
        .size:           4
        .value_kind:     by_value
      - .actual_access:  read_only
        .address_space:  global
        .offset:         80
        .size:           8
        .value_kind:     global_buffer
      - .offset:         88
        .size:           4
        .value_kind:     by_value
      - .offset:         92
        .size:           4
        .value_kind:     by_value
      - .offset:         96
        .size:           4
        .value_kind:     by_value
      - .address_space:  global
        .offset:         104
        .size:           8
        .value_kind:     global_buffer
      - .address_space:  global
        .offset:         112
        .size:           8
        .value_kind:     global_buffer
      - .offset:         120
        .size:           4
        .value_kind:     by_value
      - .offset:         124
        .size:           4
        .value_kind:     by_value
      - .offset:         128
        .size:           4
        .value_kind:     by_value
      - .offset:         132
        .size:           4
        .value_kind:     by_value
      - .offset:         136
        .size:           4
        .value_kind:     by_value
      - .offset:         144
        .size:           4
        .value_kind:     hidden_block_count_x
      - .offset:         148
        .size:           4
        .value_kind:     hidden_block_count_y
      - .offset:         152
        .size:           4
        .value_kind:     hidden_block_count_z
      - .offset:         156
        .size:           2
        .value_kind:     hidden_group_size_x
      - .offset:         158
        .size:           2
        .value_kind:     hidden_group_size_y
      - .offset:         160
        .size:           2
        .value_kind:     hidden_group_size_z
      - .offset:         162
        .size:           2
        .value_kind:     hidden_remainder_x
      - .offset:         164
        .size:           2
        .value_kind:     hidden_remainder_y
      - .offset:         166
        .size:           2
        .value_kind:     hidden_remainder_z
      - .offset:         184
        .size:           8
        .value_kind:     hidden_global_offset_x
      - .offset:         192
        .size:           8
        .value_kind:     hidden_global_offset_y
      - .offset:         200
        .size:           8
        .value_kind:     hidden_global_offset_z
      - .offset:         208
        .size:           2
        .value_kind:     hidden_grid_dims
      - .offset:         264
        .size:           4
        .value_kind:     hidden_dynamic_lds_size
    .group_segment_fixed_size: 176
    .kernarg_segment_align: 8
    .kernarg_segment_size: 400
    .language:       OpenCL C
    .language_version:
      - 2
      - 0
    .max_flat_workgroup_size: 1024
    .name:           _ZN4vllm25paged_attention_v2_kernelIthLi80ELi16ELi128ELNS_18Fp8KVCacheDataTypeE1ELb1ELi512EEEvPfS2_PT_PKS3_PKT0_S9_ifPKiSB_iPKfiiiSD_SD_iiiii
    .private_segment_fixed_size: 0
    .sgpr_count:     67
    .sgpr_spill_count: 0
    .symbol:         _ZN4vllm25paged_attention_v2_kernelIthLi80ELi16ELi128ELNS_18Fp8KVCacheDataTypeE1ELb1ELi512EEEvPfS2_PT_PKS3_PKT0_S9_ifPKiSB_iPKfiiiSD_SD_iiiii.kd
    .uniform_work_group_size: 1
    .uses_dynamic_stack: false
    .vgpr_count:     55
    .vgpr_spill_count: 0
    .wavefront_size: 64
  - .agpr_count:     0
    .args:
      - .actual_access:  write_only
        .address_space:  global
        .offset:         0
        .size:           8
        .value_kind:     global_buffer
      - .actual_access:  write_only
        .address_space:  global
        .offset:         8
        .size:           8
        .value_kind:     global_buffer
      - .actual_access:  write_only
        .address_space:  global
        .offset:         16
        .size:           8
        .value_kind:     global_buffer
      - .actual_access:  read_only
        .address_space:  global
        .offset:         24
        .size:           8
        .value_kind:     global_buffer
      - .actual_access:  read_only
        .address_space:  global
        .offset:         32
        .size:           8
        .value_kind:     global_buffer
      - .actual_access:  read_only
        .address_space:  global
        .offset:         40
        .size:           8
        .value_kind:     global_buffer
      - .offset:         48
        .size:           4
        .value_kind:     by_value
      - .offset:         52
        .size:           4
        .value_kind:     by_value
      - .actual_access:  read_only
        .address_space:  global
        .offset:         56
        .size:           8
        .value_kind:     global_buffer
      - .actual_access:  read_only
        .address_space:  global
        .offset:         64
        .size:           8
        .value_kind:     global_buffer
      - .offset:         72
        .size:           4
        .value_kind:     by_value
      - .actual_access:  read_only
        .address_space:  global
        .offset:         80
        .size:           8
        .value_kind:     global_buffer
      - .offset:         88
        .size:           4
        .value_kind:     by_value
      - .offset:         92
        .size:           4
        .value_kind:     by_value
      - .offset:         96
        .size:           4
        .value_kind:     by_value
      - .address_space:  global
        .offset:         104
        .size:           8
        .value_kind:     global_buffer
      - .address_space:  global
        .offset:         112
        .size:           8
        .value_kind:     global_buffer
      - .offset:         120
        .size:           4
        .value_kind:     by_value
      - .offset:         124
        .size:           4
        .value_kind:     by_value
      - .offset:         128
        .size:           4
        .value_kind:     by_value
      - .offset:         132
        .size:           4
        .value_kind:     by_value
      - .offset:         136
        .size:           4
        .value_kind:     by_value
      - .offset:         144
        .size:           4
        .value_kind:     hidden_block_count_x
      - .offset:         148
        .size:           4
        .value_kind:     hidden_block_count_y
      - .offset:         152
        .size:           4
        .value_kind:     hidden_block_count_z
      - .offset:         156
        .size:           2
        .value_kind:     hidden_group_size_x
      - .offset:         158
        .size:           2
        .value_kind:     hidden_group_size_y
      - .offset:         160
        .size:           2
        .value_kind:     hidden_group_size_z
      - .offset:         162
        .size:           2
        .value_kind:     hidden_remainder_x
      - .offset:         164
        .size:           2
        .value_kind:     hidden_remainder_y
      - .offset:         166
        .size:           2
        .value_kind:     hidden_remainder_z
      - .offset:         184
        .size:           8
        .value_kind:     hidden_global_offset_x
      - .offset:         192
        .size:           8
        .value_kind:     hidden_global_offset_y
      - .offset:         200
        .size:           8
        .value_kind:     hidden_global_offset_z
      - .offset:         208
        .size:           2
        .value_kind:     hidden_grid_dims
      - .offset:         264
        .size:           4
        .value_kind:     hidden_dynamic_lds_size
    .group_segment_fixed_size: 208
    .kernarg_segment_align: 8
    .kernarg_segment_size: 400
    .language:       OpenCL C
    .language_version:
      - 2
      - 0
    .max_flat_workgroup_size: 1024
    .name:           _ZN4vllm25paged_attention_v2_kernelIthLi96ELi16ELi128ELNS_18Fp8KVCacheDataTypeE1ELb1ELi512EEEvPfS2_PT_PKS3_PKT0_S9_ifPKiSB_iPKfiiiSD_SD_iiiii
    .private_segment_fixed_size: 0
    .sgpr_count:     67
    .sgpr_spill_count: 0
    .symbol:         _ZN4vllm25paged_attention_v2_kernelIthLi96ELi16ELi128ELNS_18Fp8KVCacheDataTypeE1ELb1ELi512EEEvPfS2_PT_PKS3_PKT0_S9_ifPKiSB_iPKfiiiSD_SD_iiiii.kd
    .uniform_work_group_size: 1
    .uses_dynamic_stack: false
    .vgpr_count:     61
    .vgpr_spill_count: 0
    .wavefront_size: 64
  - .agpr_count:     0
    .args:
      - .actual_access:  write_only
        .address_space:  global
        .offset:         0
        .size:           8
        .value_kind:     global_buffer
      - .actual_access:  write_only
        .address_space:  global
        .offset:         8
        .size:           8
        .value_kind:     global_buffer
      - .actual_access:  write_only
        .address_space:  global
        .offset:         16
        .size:           8
        .value_kind:     global_buffer
      - .actual_access:  read_only
        .address_space:  global
        .offset:         24
        .size:           8
        .value_kind:     global_buffer
      - .actual_access:  read_only
        .address_space:  global
        .offset:         32
        .size:           8
        .value_kind:     global_buffer
      - .actual_access:  read_only
        .address_space:  global
        .offset:         40
        .size:           8
        .value_kind:     global_buffer
      - .offset:         48
        .size:           4
        .value_kind:     by_value
      - .offset:         52
        .size:           4
        .value_kind:     by_value
      - .actual_access:  read_only
        .address_space:  global
        .offset:         56
        .size:           8
        .value_kind:     global_buffer
      - .actual_access:  read_only
        .address_space:  global
        .offset:         64
        .size:           8
        .value_kind:     global_buffer
      - .offset:         72
        .size:           4
        .value_kind:     by_value
      - .actual_access:  read_only
        .address_space:  global
        .offset:         80
        .size:           8
        .value_kind:     global_buffer
      - .offset:         88
        .size:           4
        .value_kind:     by_value
      - .offset:         92
        .size:           4
        .value_kind:     by_value
      - .offset:         96
        .size:           4
        .value_kind:     by_value
      - .address_space:  global
        .offset:         104
        .size:           8
        .value_kind:     global_buffer
      - .address_space:  global
        .offset:         112
        .size:           8
        .value_kind:     global_buffer
      - .offset:         120
        .size:           4
        .value_kind:     by_value
      - .offset:         124
        .size:           4
        .value_kind:     by_value
      - .offset:         128
        .size:           4
        .value_kind:     by_value
      - .offset:         132
        .size:           4
        .value_kind:     by_value
      - .offset:         136
        .size:           4
        .value_kind:     by_value
      - .offset:         144
        .size:           4
        .value_kind:     hidden_block_count_x
      - .offset:         148
        .size:           4
        .value_kind:     hidden_block_count_y
      - .offset:         152
        .size:           4
        .value_kind:     hidden_block_count_z
      - .offset:         156
        .size:           2
        .value_kind:     hidden_group_size_x
      - .offset:         158
        .size:           2
        .value_kind:     hidden_group_size_y
      - .offset:         160
        .size:           2
        .value_kind:     hidden_group_size_z
      - .offset:         162
        .size:           2
        .value_kind:     hidden_remainder_x
      - .offset:         164
        .size:           2
        .value_kind:     hidden_remainder_y
      - .offset:         166
        .size:           2
        .value_kind:     hidden_remainder_z
      - .offset:         184
        .size:           8
        .value_kind:     hidden_global_offset_x
      - .offset:         192
        .size:           8
        .value_kind:     hidden_global_offset_y
      - .offset:         200
        .size:           8
        .value_kind:     hidden_global_offset_z
      - .offset:         208
        .size:           2
        .value_kind:     hidden_grid_dims
      - .offset:         264
        .size:           4
        .value_kind:     hidden_dynamic_lds_size
    .group_segment_fixed_size: 240
    .kernarg_segment_align: 8
    .kernarg_segment_size: 400
    .language:       OpenCL C
    .language_version:
      - 2
      - 0
    .max_flat_workgroup_size: 1024
    .name:           _ZN4vllm25paged_attention_v2_kernelIthLi112ELi16ELi128ELNS_18Fp8KVCacheDataTypeE1ELb1ELi512EEEvPfS2_PT_PKS3_PKT0_S9_ifPKiSB_iPKfiiiSD_SD_iiiii
    .private_segment_fixed_size: 0
    .sgpr_count:     67
    .sgpr_spill_count: 0
    .symbol:         _ZN4vllm25paged_attention_v2_kernelIthLi112ELi16ELi128ELNS_18Fp8KVCacheDataTypeE1ELb1ELi512EEEvPfS2_PT_PKS3_PKT0_S9_ifPKiSB_iPKfiiiSD_SD_iiiii.kd
    .uniform_work_group_size: 1
    .uses_dynamic_stack: false
    .vgpr_count:     67
    .vgpr_spill_count: 0
    .wavefront_size: 64
  - .agpr_count:     0
    .args:
      - .actual_access:  write_only
        .address_space:  global
        .offset:         0
        .size:           8
        .value_kind:     global_buffer
      - .actual_access:  write_only
        .address_space:  global
        .offset:         8
        .size:           8
        .value_kind:     global_buffer
      - .actual_access:  write_only
        .address_space:  global
        .offset:         16
        .size:           8
        .value_kind:     global_buffer
      - .actual_access:  read_only
        .address_space:  global
        .offset:         24
        .size:           8
        .value_kind:     global_buffer
      - .actual_access:  read_only
        .address_space:  global
        .offset:         32
        .size:           8
        .value_kind:     global_buffer
      - .actual_access:  read_only
        .address_space:  global
        .offset:         40
        .size:           8
        .value_kind:     global_buffer
      - .offset:         48
        .size:           4
        .value_kind:     by_value
      - .offset:         52
        .size:           4
        .value_kind:     by_value
      - .actual_access:  read_only
        .address_space:  global
        .offset:         56
        .size:           8
        .value_kind:     global_buffer
      - .actual_access:  read_only
        .address_space:  global
        .offset:         64
        .size:           8
        .value_kind:     global_buffer
      - .offset:         72
        .size:           4
        .value_kind:     by_value
      - .actual_access:  read_only
        .address_space:  global
        .offset:         80
        .size:           8
        .value_kind:     global_buffer
      - .offset:         88
        .size:           4
        .value_kind:     by_value
      - .offset:         92
        .size:           4
        .value_kind:     by_value
      - .offset:         96
        .size:           4
        .value_kind:     by_value
      - .address_space:  global
        .offset:         104
        .size:           8
        .value_kind:     global_buffer
      - .address_space:  global
        .offset:         112
        .size:           8
        .value_kind:     global_buffer
      - .offset:         120
        .size:           4
        .value_kind:     by_value
      - .offset:         124
        .size:           4
        .value_kind:     by_value
      - .offset:         128
        .size:           4
        .value_kind:     by_value
      - .offset:         132
        .size:           4
        .value_kind:     by_value
      - .offset:         136
        .size:           4
        .value_kind:     by_value
      - .offset:         144
        .size:           4
        .value_kind:     hidden_block_count_x
      - .offset:         148
        .size:           4
        .value_kind:     hidden_block_count_y
      - .offset:         152
        .size:           4
        .value_kind:     hidden_block_count_z
      - .offset:         156
        .size:           2
        .value_kind:     hidden_group_size_x
      - .offset:         158
        .size:           2
        .value_kind:     hidden_group_size_y
      - .offset:         160
        .size:           2
        .value_kind:     hidden_group_size_z
      - .offset:         162
        .size:           2
        .value_kind:     hidden_remainder_x
      - .offset:         164
        .size:           2
        .value_kind:     hidden_remainder_y
      - .offset:         166
        .size:           2
        .value_kind:     hidden_remainder_z
      - .offset:         184
        .size:           8
        .value_kind:     hidden_global_offset_x
      - .offset:         192
        .size:           8
        .value_kind:     hidden_global_offset_y
      - .offset:         200
        .size:           8
        .value_kind:     hidden_global_offset_z
      - .offset:         208
        .size:           2
        .value_kind:     hidden_grid_dims
      - .offset:         264
        .size:           4
        .value_kind:     hidden_dynamic_lds_size
    .group_segment_fixed_size: 256
    .kernarg_segment_align: 8
    .kernarg_segment_size: 400
    .language:       OpenCL C
    .language_version:
      - 2
      - 0
    .max_flat_workgroup_size: 1024
    .name:           _ZN4vllm25paged_attention_v2_kernelIthLi120ELi16ELi128ELNS_18Fp8KVCacheDataTypeE1ELb1ELi512EEEvPfS2_PT_PKS3_PKT0_S9_ifPKiSB_iPKfiiiSD_SD_iiiii
    .private_segment_fixed_size: 0
    .sgpr_count:     67
    .sgpr_spill_count: 0
    .symbol:         _ZN4vllm25paged_attention_v2_kernelIthLi120ELi16ELi128ELNS_18Fp8KVCacheDataTypeE1ELb1ELi512EEEvPfS2_PT_PKS3_PKT0_S9_ifPKiSB_iPKfiiiSD_SD_iiiii.kd
    .uniform_work_group_size: 1
    .uses_dynamic_stack: false
    .vgpr_count:     70
    .vgpr_spill_count: 0
    .wavefront_size: 64
  - .agpr_count:     0
    .args:
      - .actual_access:  write_only
        .address_space:  global
        .offset:         0
        .size:           8
        .value_kind:     global_buffer
      - .actual_access:  write_only
        .address_space:  global
        .offset:         8
        .size:           8
        .value_kind:     global_buffer
      - .actual_access:  write_only
        .address_space:  global
        .offset:         16
        .size:           8
        .value_kind:     global_buffer
      - .actual_access:  read_only
        .address_space:  global
        .offset:         24
        .size:           8
        .value_kind:     global_buffer
      - .actual_access:  read_only
        .address_space:  global
        .offset:         32
        .size:           8
        .value_kind:     global_buffer
      - .actual_access:  read_only
        .address_space:  global
        .offset:         40
        .size:           8
        .value_kind:     global_buffer
      - .offset:         48
        .size:           4
        .value_kind:     by_value
      - .offset:         52
        .size:           4
        .value_kind:     by_value
      - .actual_access:  read_only
        .address_space:  global
        .offset:         56
        .size:           8
        .value_kind:     global_buffer
      - .actual_access:  read_only
        .address_space:  global
        .offset:         64
        .size:           8
        .value_kind:     global_buffer
      - .offset:         72
        .size:           4
        .value_kind:     by_value
      - .actual_access:  read_only
        .address_space:  global
        .offset:         80
        .size:           8
        .value_kind:     global_buffer
      - .offset:         88
        .size:           4
        .value_kind:     by_value
      - .offset:         92
        .size:           4
        .value_kind:     by_value
      - .offset:         96
        .size:           4
        .value_kind:     by_value
      - .address_space:  global
        .offset:         104
        .size:           8
        .value_kind:     global_buffer
      - .address_space:  global
        .offset:         112
        .size:           8
        .value_kind:     global_buffer
      - .offset:         120
        .size:           4
        .value_kind:     by_value
      - .offset:         124
        .size:           4
        .value_kind:     by_value
      - .offset:         128
        .size:           4
        .value_kind:     by_value
      - .offset:         132
        .size:           4
        .value_kind:     by_value
      - .offset:         136
        .size:           4
        .value_kind:     by_value
      - .offset:         144
        .size:           4
        .value_kind:     hidden_block_count_x
      - .offset:         148
        .size:           4
        .value_kind:     hidden_block_count_y
      - .offset:         152
        .size:           4
        .value_kind:     hidden_block_count_z
      - .offset:         156
        .size:           2
        .value_kind:     hidden_group_size_x
      - .offset:         158
        .size:           2
        .value_kind:     hidden_group_size_y
      - .offset:         160
        .size:           2
        .value_kind:     hidden_group_size_z
      - .offset:         162
        .size:           2
        .value_kind:     hidden_remainder_x
      - .offset:         164
        .size:           2
        .value_kind:     hidden_remainder_y
      - .offset:         166
        .size:           2
        .value_kind:     hidden_remainder_z
      - .offset:         184
        .size:           8
        .value_kind:     hidden_global_offset_x
      - .offset:         192
        .size:           8
        .value_kind:     hidden_global_offset_y
      - .offset:         200
        .size:           8
        .value_kind:     hidden_global_offset_z
      - .offset:         208
        .size:           2
        .value_kind:     hidden_grid_dims
      - .offset:         264
        .size:           4
        .value_kind:     hidden_dynamic_lds_size
    .group_segment_fixed_size: 272
    .kernarg_segment_align: 8
    .kernarg_segment_size: 400
    .language:       OpenCL C
    .language_version:
      - 2
      - 0
    .max_flat_workgroup_size: 1024
    .name:           _ZN4vllm25paged_attention_v2_kernelIthLi128ELi16ELi128ELNS_18Fp8KVCacheDataTypeE1ELb1ELi512EEEvPfS2_PT_PKS3_PKT0_S9_ifPKiSB_iPKfiiiSD_SD_iiiii
    .private_segment_fixed_size: 0
    .sgpr_count:     69
    .sgpr_spill_count: 0
    .symbol:         _ZN4vllm25paged_attention_v2_kernelIthLi128ELi16ELi128ELNS_18Fp8KVCacheDataTypeE1ELb1ELi512EEEvPfS2_PT_PKS3_PKT0_S9_ifPKiSB_iPKfiiiSD_SD_iiiii.kd
    .uniform_work_group_size: 1
    .uses_dynamic_stack: false
    .vgpr_count:     73
    .vgpr_spill_count: 0
    .wavefront_size: 64
  - .agpr_count:     56
    .args:
      - .actual_access:  write_only
        .address_space:  global
        .offset:         0
        .size:           8
        .value_kind:     global_buffer
      - .actual_access:  write_only
        .address_space:  global
        .offset:         8
        .size:           8
        .value_kind:     global_buffer
      - .actual_access:  write_only
        .address_space:  global
        .offset:         16
        .size:           8
        .value_kind:     global_buffer
      - .actual_access:  read_only
        .address_space:  global
        .offset:         24
        .size:           8
        .value_kind:     global_buffer
      - .actual_access:  read_only
        .address_space:  global
        .offset:         32
        .size:           8
        .value_kind:     global_buffer
      - .actual_access:  read_only
        .address_space:  global
        .offset:         40
        .size:           8
        .value_kind:     global_buffer
      - .offset:         48
        .size:           4
        .value_kind:     by_value
      - .offset:         52
        .size:           4
        .value_kind:     by_value
      - .actual_access:  read_only
        .address_space:  global
        .offset:         56
        .size:           8
        .value_kind:     global_buffer
      - .actual_access:  read_only
        .address_space:  global
        .offset:         64
        .size:           8
        .value_kind:     global_buffer
      - .offset:         72
        .size:           4
        .value_kind:     by_value
      - .address_space:  global
        .offset:         80
        .size:           8
        .value_kind:     global_buffer
      - .offset:         88
        .size:           4
        .value_kind:     by_value
      - .offset:         92
        .size:           4
        .value_kind:     by_value
      - .offset:         96
        .size:           4
        .value_kind:     by_value
      - .address_space:  global
        .offset:         104
        .size:           8
        .value_kind:     global_buffer
      - .address_space:  global
        .offset:         112
        .size:           8
        .value_kind:     global_buffer
      - .offset:         120
        .size:           4
        .value_kind:     by_value
      - .offset:         124
        .size:           4
        .value_kind:     by_value
      - .offset:         128
        .size:           4
        .value_kind:     by_value
      - .offset:         132
        .size:           4
        .value_kind:     by_value
      - .offset:         136
        .size:           4
        .value_kind:     by_value
      - .offset:         144
        .size:           4
        .value_kind:     hidden_block_count_x
      - .offset:         148
        .size:           4
        .value_kind:     hidden_block_count_y
      - .offset:         152
        .size:           4
        .value_kind:     hidden_block_count_z
      - .offset:         156
        .size:           2
        .value_kind:     hidden_group_size_x
      - .offset:         158
        .size:           2
        .value_kind:     hidden_group_size_y
      - .offset:         160
        .size:           2
        .value_kind:     hidden_group_size_z
      - .offset:         162
        .size:           2
        .value_kind:     hidden_remainder_x
      - .offset:         164
        .size:           2
        .value_kind:     hidden_remainder_y
      - .offset:         166
        .size:           2
        .value_kind:     hidden_remainder_z
      - .offset:         184
        .size:           8
        .value_kind:     hidden_global_offset_x
      - .offset:         192
        .size:           8
        .value_kind:     hidden_global_offset_y
      - .offset:         200
        .size:           8
        .value_kind:     hidden_global_offset_z
      - .offset:         208
        .size:           2
        .value_kind:     hidden_grid_dims
      - .offset:         264
        .size:           4
        .value_kind:     hidden_dynamic_lds_size
    .group_segment_fixed_size: 400
    .kernarg_segment_align: 8
    .kernarg_segment_size: 400
    .language:       OpenCL C
    .language_version:
      - 2
      - 0
    .max_flat_workgroup_size: 1024
    .name:           _ZN4vllm25paged_attention_v2_kernelIthLi192ELi16ELi128ELNS_18Fp8KVCacheDataTypeE1ELb1ELi512EEEvPfS2_PT_PKS3_PKT0_S9_ifPKiSB_iPKfiiiSD_SD_iiiii
    .private_segment_fixed_size: 180
    .sgpr_count:     54
    .sgpr_spill_count: 0
    .symbol:         _ZN4vllm25paged_attention_v2_kernelIthLi192ELi16ELi128ELNS_18Fp8KVCacheDataTypeE1ELb1ELi512EEEvPfS2_PT_PKS3_PKT0_S9_ifPKiSB_iPKfiiiSD_SD_iiiii.kd
    .uniform_work_group_size: 1
    .uses_dynamic_stack: false
    .vgpr_count:     120
    .vgpr_spill_count: 0
    .wavefront_size: 64
  - .agpr_count:     55
    .args:
      - .actual_access:  write_only
        .address_space:  global
        .offset:         0
        .size:           8
        .value_kind:     global_buffer
      - .actual_access:  write_only
        .address_space:  global
        .offset:         8
        .size:           8
        .value_kind:     global_buffer
      - .actual_access:  write_only
        .address_space:  global
        .offset:         16
        .size:           8
        .value_kind:     global_buffer
      - .actual_access:  read_only
        .address_space:  global
        .offset:         24
        .size:           8
        .value_kind:     global_buffer
      - .actual_access:  read_only
        .address_space:  global
        .offset:         32
        .size:           8
        .value_kind:     global_buffer
      - .actual_access:  read_only
        .address_space:  global
        .offset:         40
        .size:           8
        .value_kind:     global_buffer
      - .offset:         48
        .size:           4
        .value_kind:     by_value
      - .offset:         52
        .size:           4
        .value_kind:     by_value
      - .actual_access:  read_only
        .address_space:  global
        .offset:         56
        .size:           8
        .value_kind:     global_buffer
      - .actual_access:  read_only
        .address_space:  global
        .offset:         64
        .size:           8
        .value_kind:     global_buffer
      - .offset:         72
        .size:           4
        .value_kind:     by_value
      - .address_space:  global
        .offset:         80
        .size:           8
        .value_kind:     global_buffer
      - .offset:         88
        .size:           4
        .value_kind:     by_value
      - .offset:         92
        .size:           4
        .value_kind:     by_value
      - .offset:         96
        .size:           4
        .value_kind:     by_value
      - .address_space:  global
        .offset:         104
        .size:           8
        .value_kind:     global_buffer
      - .address_space:  global
        .offset:         112
        .size:           8
        .value_kind:     global_buffer
      - .offset:         120
        .size:           4
        .value_kind:     by_value
      - .offset:         124
        .size:           4
        .value_kind:     by_value
      - .offset:         128
        .size:           4
        .value_kind:     by_value
      - .offset:         132
        .size:           4
        .value_kind:     by_value
      - .offset:         136
        .size:           4
        .value_kind:     by_value
      - .offset:         144
        .size:           4
        .value_kind:     hidden_block_count_x
      - .offset:         148
        .size:           4
        .value_kind:     hidden_block_count_y
      - .offset:         152
        .size:           4
        .value_kind:     hidden_block_count_z
      - .offset:         156
        .size:           2
        .value_kind:     hidden_group_size_x
      - .offset:         158
        .size:           2
        .value_kind:     hidden_group_size_y
      - .offset:         160
        .size:           2
        .value_kind:     hidden_group_size_z
      - .offset:         162
        .size:           2
        .value_kind:     hidden_remainder_x
      - .offset:         164
        .size:           2
        .value_kind:     hidden_remainder_y
      - .offset:         166
        .size:           2
        .value_kind:     hidden_remainder_z
      - .offset:         184
        .size:           8
        .value_kind:     hidden_global_offset_x
      - .offset:         192
        .size:           8
        .value_kind:     hidden_global_offset_y
      - .offset:         200
        .size:           8
        .value_kind:     hidden_global_offset_z
      - .offset:         208
        .size:           2
        .value_kind:     hidden_grid_dims
      - .offset:         264
        .size:           4
        .value_kind:     hidden_dynamic_lds_size
    .group_segment_fixed_size: 528
    .kernarg_segment_align: 8
    .kernarg_segment_size: 400
    .language:       OpenCL C
    .language_version:
      - 2
      - 0
    .max_flat_workgroup_size: 1024
    .name:           _ZN4vllm25paged_attention_v2_kernelIthLi256ELi16ELi128ELNS_18Fp8KVCacheDataTypeE1ELb1ELi512EEEvPfS2_PT_PKS3_PKT0_S9_ifPKiSB_iPKfiiiSD_SD_iiiii
    .private_segment_fixed_size: 208
    .sgpr_count:     54
    .sgpr_spill_count: 0
    .symbol:         _ZN4vllm25paged_attention_v2_kernelIthLi256ELi16ELi128ELNS_18Fp8KVCacheDataTypeE1ELb1ELi512EEEvPfS2_PT_PKS3_PKT0_S9_ifPKiSB_iPKfiiiSD_SD_iiiii.kd
    .uniform_work_group_size: 1
    .uses_dynamic_stack: false
    .vgpr_count:     119
    .vgpr_spill_count: 0
    .wavefront_size: 64
  - .agpr_count:     0
    .args:
      - .actual_access:  write_only
        .address_space:  global
        .offset:         0
        .size:           8
        .value_kind:     global_buffer
      - .actual_access:  write_only
        .address_space:  global
        .offset:         8
        .size:           8
        .value_kind:     global_buffer
      - .actual_access:  write_only
        .address_space:  global
        .offset:         16
        .size:           8
        .value_kind:     global_buffer
      - .actual_access:  read_only
        .address_space:  global
        .offset:         24
        .size:           8
        .value_kind:     global_buffer
      - .actual_access:  read_only
        .address_space:  global
        .offset:         32
        .size:           8
        .value_kind:     global_buffer
      - .actual_access:  read_only
        .address_space:  global
        .offset:         40
        .size:           8
        .value_kind:     global_buffer
      - .offset:         48
        .size:           4
        .value_kind:     by_value
      - .offset:         52
        .size:           4
        .value_kind:     by_value
      - .actual_access:  read_only
        .address_space:  global
        .offset:         56
        .size:           8
        .value_kind:     global_buffer
      - .actual_access:  read_only
        .address_space:  global
        .offset:         64
        .size:           8
        .value_kind:     global_buffer
      - .offset:         72
        .size:           4
        .value_kind:     by_value
      - .actual_access:  read_only
        .address_space:  global
        .offset:         80
        .size:           8
        .value_kind:     global_buffer
      - .offset:         88
        .size:           4
        .value_kind:     by_value
      - .offset:         92
        .size:           4
        .value_kind:     by_value
      - .offset:         96
        .size:           4
        .value_kind:     by_value
      - .address_space:  global
        .offset:         104
        .size:           8
        .value_kind:     global_buffer
      - .address_space:  global
        .offset:         112
        .size:           8
        .value_kind:     global_buffer
      - .offset:         120
        .size:           4
        .value_kind:     by_value
      - .offset:         124
        .size:           4
        .value_kind:     by_value
      - .offset:         128
        .size:           4
        .value_kind:     by_value
      - .offset:         132
        .size:           4
        .value_kind:     by_value
      - .offset:         136
        .size:           4
        .value_kind:     by_value
      - .offset:         144
        .size:           4
        .value_kind:     hidden_block_count_x
      - .offset:         148
        .size:           4
        .value_kind:     hidden_block_count_y
      - .offset:         152
        .size:           4
        .value_kind:     hidden_block_count_z
      - .offset:         156
        .size:           2
        .value_kind:     hidden_group_size_x
      - .offset:         158
        .size:           2
        .value_kind:     hidden_group_size_y
      - .offset:         160
        .size:           2
        .value_kind:     hidden_group_size_z
      - .offset:         162
        .size:           2
        .value_kind:     hidden_remainder_x
      - .offset:         164
        .size:           2
        .value_kind:     hidden_remainder_y
      - .offset:         166
        .size:           2
        .value_kind:     hidden_remainder_z
      - .offset:         184
        .size:           8
        .value_kind:     hidden_global_offset_x
      - .offset:         192
        .size:           8
        .value_kind:     hidden_global_offset_y
      - .offset:         200
        .size:           8
        .value_kind:     hidden_global_offset_z
      - .offset:         208
        .size:           2
        .value_kind:     hidden_grid_dims
      - .offset:         264
        .size:           4
        .value_kind:     hidden_dynamic_lds_size
    .group_segment_fixed_size: 80
    .kernarg_segment_align: 8
    .kernarg_segment_size: 400
    .language:       OpenCL C
    .language_version:
      - 2
      - 0
    .max_flat_workgroup_size: 1024
    .name:           _ZN4vllm25paged_attention_v2_kernelIthLi32ELi16ELi128ELNS_18Fp8KVCacheDataTypeE1ELb0ELi512EEEvPfS2_PT_PKS3_PKT0_S9_ifPKiSB_iPKfiiiSD_SD_iiiii
    .private_segment_fixed_size: 0
    .sgpr_count:     57
    .sgpr_spill_count: 0
    .symbol:         _ZN4vllm25paged_attention_v2_kernelIthLi32ELi16ELi128ELNS_18Fp8KVCacheDataTypeE1ELb0ELi512EEEvPfS2_PT_PKS3_PKT0_S9_ifPKiSB_iPKfiiiSD_SD_iiiii.kd
    .uniform_work_group_size: 1
    .uses_dynamic_stack: false
    .vgpr_count:     37
    .vgpr_spill_count: 0
    .wavefront_size: 64
  - .agpr_count:     0
    .args:
      - .actual_access:  write_only
        .address_space:  global
        .offset:         0
        .size:           8
        .value_kind:     global_buffer
      - .actual_access:  write_only
        .address_space:  global
        .offset:         8
        .size:           8
        .value_kind:     global_buffer
      - .actual_access:  write_only
        .address_space:  global
        .offset:         16
        .size:           8
        .value_kind:     global_buffer
      - .actual_access:  read_only
        .address_space:  global
        .offset:         24
        .size:           8
        .value_kind:     global_buffer
      - .actual_access:  read_only
        .address_space:  global
        .offset:         32
        .size:           8
        .value_kind:     global_buffer
      - .actual_access:  read_only
        .address_space:  global
        .offset:         40
        .size:           8
        .value_kind:     global_buffer
      - .offset:         48
        .size:           4
        .value_kind:     by_value
      - .offset:         52
        .size:           4
        .value_kind:     by_value
      - .actual_access:  read_only
        .address_space:  global
        .offset:         56
        .size:           8
        .value_kind:     global_buffer
      - .actual_access:  read_only
        .address_space:  global
        .offset:         64
        .size:           8
        .value_kind:     global_buffer
      - .offset:         72
        .size:           4
        .value_kind:     by_value
      - .actual_access:  read_only
        .address_space:  global
        .offset:         80
        .size:           8
        .value_kind:     global_buffer
      - .offset:         88
        .size:           4
        .value_kind:     by_value
      - .offset:         92
        .size:           4
        .value_kind:     by_value
      - .offset:         96
        .size:           4
        .value_kind:     by_value
      - .address_space:  global
        .offset:         104
        .size:           8
        .value_kind:     global_buffer
      - .address_space:  global
        .offset:         112
        .size:           8
        .value_kind:     global_buffer
      - .offset:         120
        .size:           4
        .value_kind:     by_value
      - .offset:         124
        .size:           4
        .value_kind:     by_value
      - .offset:         128
        .size:           4
        .value_kind:     by_value
      - .offset:         132
        .size:           4
        .value_kind:     by_value
      - .offset:         136
        .size:           4
        .value_kind:     by_value
      - .offset:         144
        .size:           4
        .value_kind:     hidden_block_count_x
      - .offset:         148
        .size:           4
        .value_kind:     hidden_block_count_y
      - .offset:         152
        .size:           4
        .value_kind:     hidden_block_count_z
      - .offset:         156
        .size:           2
        .value_kind:     hidden_group_size_x
      - .offset:         158
        .size:           2
        .value_kind:     hidden_group_size_y
      - .offset:         160
        .size:           2
        .value_kind:     hidden_group_size_z
      - .offset:         162
        .size:           2
        .value_kind:     hidden_remainder_x
      - .offset:         164
        .size:           2
        .value_kind:     hidden_remainder_y
      - .offset:         166
        .size:           2
        .value_kind:     hidden_remainder_z
      - .offset:         184
        .size:           8
        .value_kind:     hidden_global_offset_x
      - .offset:         192
        .size:           8
        .value_kind:     hidden_global_offset_y
      - .offset:         200
        .size:           8
        .value_kind:     hidden_global_offset_z
      - .offset:         208
        .size:           2
        .value_kind:     hidden_grid_dims
      - .offset:         264
        .size:           4
        .value_kind:     hidden_dynamic_lds_size
    .group_segment_fixed_size: 144
    .kernarg_segment_align: 8
    .kernarg_segment_size: 400
    .language:       OpenCL C
    .language_version:
      - 2
      - 0
    .max_flat_workgroup_size: 1024
    .name:           _ZN4vllm25paged_attention_v2_kernelIthLi64ELi16ELi128ELNS_18Fp8KVCacheDataTypeE1ELb0ELi512EEEvPfS2_PT_PKS3_PKT0_S9_ifPKiSB_iPKfiiiSD_SD_iiiii
    .private_segment_fixed_size: 0
    .sgpr_count:     57
    .sgpr_spill_count: 0
    .symbol:         _ZN4vllm25paged_attention_v2_kernelIthLi64ELi16ELi128ELNS_18Fp8KVCacheDataTypeE1ELb0ELi512EEEvPfS2_PT_PKS3_PKT0_S9_ifPKiSB_iPKfiiiSD_SD_iiiii.kd
    .uniform_work_group_size: 1
    .uses_dynamic_stack: false
    .vgpr_count:     45
    .vgpr_spill_count: 0
    .wavefront_size: 64
  - .agpr_count:     0
    .args:
      - .actual_access:  write_only
        .address_space:  global
        .offset:         0
        .size:           8
        .value_kind:     global_buffer
      - .actual_access:  write_only
        .address_space:  global
        .offset:         8
        .size:           8
        .value_kind:     global_buffer
      - .actual_access:  write_only
        .address_space:  global
        .offset:         16
        .size:           8
        .value_kind:     global_buffer
      - .actual_access:  read_only
        .address_space:  global
        .offset:         24
        .size:           8
        .value_kind:     global_buffer
      - .actual_access:  read_only
        .address_space:  global
        .offset:         32
        .size:           8
        .value_kind:     global_buffer
      - .actual_access:  read_only
        .address_space:  global
        .offset:         40
        .size:           8
        .value_kind:     global_buffer
      - .offset:         48
        .size:           4
        .value_kind:     by_value
      - .offset:         52
        .size:           4
        .value_kind:     by_value
      - .actual_access:  read_only
        .address_space:  global
        .offset:         56
        .size:           8
        .value_kind:     global_buffer
      - .actual_access:  read_only
        .address_space:  global
        .offset:         64
        .size:           8
        .value_kind:     global_buffer
      - .offset:         72
        .size:           4
        .value_kind:     by_value
      - .actual_access:  read_only
        .address_space:  global
        .offset:         80
        .size:           8
        .value_kind:     global_buffer
      - .offset:         88
        .size:           4
        .value_kind:     by_value
      - .offset:         92
        .size:           4
        .value_kind:     by_value
      - .offset:         96
        .size:           4
        .value_kind:     by_value
      - .address_space:  global
        .offset:         104
        .size:           8
        .value_kind:     global_buffer
      - .address_space:  global
        .offset:         112
        .size:           8
        .value_kind:     global_buffer
      - .offset:         120
        .size:           4
        .value_kind:     by_value
      - .offset:         124
        .size:           4
        .value_kind:     by_value
      - .offset:         128
        .size:           4
        .value_kind:     by_value
      - .offset:         132
        .size:           4
        .value_kind:     by_value
      - .offset:         136
        .size:           4
        .value_kind:     by_value
      - .offset:         144
        .size:           4
        .value_kind:     hidden_block_count_x
      - .offset:         148
        .size:           4
        .value_kind:     hidden_block_count_y
      - .offset:         152
        .size:           4
        .value_kind:     hidden_block_count_z
      - .offset:         156
        .size:           2
        .value_kind:     hidden_group_size_x
      - .offset:         158
        .size:           2
        .value_kind:     hidden_group_size_y
      - .offset:         160
        .size:           2
        .value_kind:     hidden_group_size_z
      - .offset:         162
        .size:           2
        .value_kind:     hidden_remainder_x
      - .offset:         164
        .size:           2
        .value_kind:     hidden_remainder_y
      - .offset:         166
        .size:           2
        .value_kind:     hidden_remainder_z
      - .offset:         184
        .size:           8
        .value_kind:     hidden_global_offset_x
      - .offset:         192
        .size:           8
        .value_kind:     hidden_global_offset_y
      - .offset:         200
        .size:           8
        .value_kind:     hidden_global_offset_z
      - .offset:         208
        .size:           2
        .value_kind:     hidden_grid_dims
      - .offset:         264
        .size:           4
        .value_kind:     hidden_dynamic_lds_size
    .group_segment_fixed_size: 176
    .kernarg_segment_align: 8
    .kernarg_segment_size: 400
    .language:       OpenCL C
    .language_version:
      - 2
      - 0
    .max_flat_workgroup_size: 1024
    .name:           _ZN4vllm25paged_attention_v2_kernelIthLi80ELi16ELi128ELNS_18Fp8KVCacheDataTypeE1ELb0ELi512EEEvPfS2_PT_PKS3_PKT0_S9_ifPKiSB_iPKfiiiSD_SD_iiiii
    .private_segment_fixed_size: 0
    .sgpr_count:     57
    .sgpr_spill_count: 0
    .symbol:         _ZN4vllm25paged_attention_v2_kernelIthLi80ELi16ELi128ELNS_18Fp8KVCacheDataTypeE1ELb0ELi512EEEvPfS2_PT_PKS3_PKT0_S9_ifPKiSB_iPKfiiiSD_SD_iiiii.kd
    .uniform_work_group_size: 1
    .uses_dynamic_stack: false
    .vgpr_count:     50
    .vgpr_spill_count: 0
    .wavefront_size: 64
  - .agpr_count:     0
    .args:
      - .actual_access:  write_only
        .address_space:  global
        .offset:         0
        .size:           8
        .value_kind:     global_buffer
      - .actual_access:  write_only
        .address_space:  global
        .offset:         8
        .size:           8
        .value_kind:     global_buffer
      - .actual_access:  write_only
        .address_space:  global
        .offset:         16
        .size:           8
        .value_kind:     global_buffer
      - .actual_access:  read_only
        .address_space:  global
        .offset:         24
        .size:           8
        .value_kind:     global_buffer
      - .actual_access:  read_only
        .address_space:  global
        .offset:         32
        .size:           8
        .value_kind:     global_buffer
      - .actual_access:  read_only
        .address_space:  global
        .offset:         40
        .size:           8
        .value_kind:     global_buffer
      - .offset:         48
        .size:           4
        .value_kind:     by_value
      - .offset:         52
        .size:           4
        .value_kind:     by_value
      - .actual_access:  read_only
        .address_space:  global
        .offset:         56
        .size:           8
        .value_kind:     global_buffer
      - .actual_access:  read_only
        .address_space:  global
        .offset:         64
        .size:           8
        .value_kind:     global_buffer
      - .offset:         72
        .size:           4
        .value_kind:     by_value
      - .actual_access:  read_only
        .address_space:  global
        .offset:         80
        .size:           8
        .value_kind:     global_buffer
      - .offset:         88
        .size:           4
        .value_kind:     by_value
      - .offset:         92
        .size:           4
        .value_kind:     by_value
      - .offset:         96
        .size:           4
        .value_kind:     by_value
      - .address_space:  global
        .offset:         104
        .size:           8
        .value_kind:     global_buffer
      - .address_space:  global
        .offset:         112
        .size:           8
        .value_kind:     global_buffer
      - .offset:         120
        .size:           4
        .value_kind:     by_value
      - .offset:         124
        .size:           4
        .value_kind:     by_value
      - .offset:         128
        .size:           4
        .value_kind:     by_value
      - .offset:         132
        .size:           4
        .value_kind:     by_value
      - .offset:         136
        .size:           4
        .value_kind:     by_value
      - .offset:         144
        .size:           4
        .value_kind:     hidden_block_count_x
      - .offset:         148
        .size:           4
        .value_kind:     hidden_block_count_y
      - .offset:         152
        .size:           4
        .value_kind:     hidden_block_count_z
      - .offset:         156
        .size:           2
        .value_kind:     hidden_group_size_x
      - .offset:         158
        .size:           2
        .value_kind:     hidden_group_size_y
      - .offset:         160
        .size:           2
        .value_kind:     hidden_group_size_z
      - .offset:         162
        .size:           2
        .value_kind:     hidden_remainder_x
      - .offset:         164
        .size:           2
        .value_kind:     hidden_remainder_y
      - .offset:         166
        .size:           2
        .value_kind:     hidden_remainder_z
      - .offset:         184
        .size:           8
        .value_kind:     hidden_global_offset_x
      - .offset:         192
        .size:           8
        .value_kind:     hidden_global_offset_y
      - .offset:         200
        .size:           8
        .value_kind:     hidden_global_offset_z
      - .offset:         208
        .size:           2
        .value_kind:     hidden_grid_dims
      - .offset:         264
        .size:           4
        .value_kind:     hidden_dynamic_lds_size
    .group_segment_fixed_size: 208
    .kernarg_segment_align: 8
    .kernarg_segment_size: 400
    .language:       OpenCL C
    .language_version:
      - 2
      - 0
    .max_flat_workgroup_size: 1024
    .name:           _ZN4vllm25paged_attention_v2_kernelIthLi96ELi16ELi128ELNS_18Fp8KVCacheDataTypeE1ELb0ELi512EEEvPfS2_PT_PKS3_PKT0_S9_ifPKiSB_iPKfiiiSD_SD_iiiii
    .private_segment_fixed_size: 0
    .sgpr_count:     57
    .sgpr_spill_count: 0
    .symbol:         _ZN4vllm25paged_attention_v2_kernelIthLi96ELi16ELi128ELNS_18Fp8KVCacheDataTypeE1ELb0ELi512EEEvPfS2_PT_PKS3_PKT0_S9_ifPKiSB_iPKfiiiSD_SD_iiiii.kd
    .uniform_work_group_size: 1
    .uses_dynamic_stack: false
    .vgpr_count:     56
    .vgpr_spill_count: 0
    .wavefront_size: 64
  - .agpr_count:     0
    .args:
      - .actual_access:  write_only
        .address_space:  global
        .offset:         0
        .size:           8
        .value_kind:     global_buffer
      - .actual_access:  write_only
        .address_space:  global
        .offset:         8
        .size:           8
        .value_kind:     global_buffer
      - .actual_access:  write_only
        .address_space:  global
        .offset:         16
        .size:           8
        .value_kind:     global_buffer
      - .actual_access:  read_only
        .address_space:  global
        .offset:         24
        .size:           8
        .value_kind:     global_buffer
      - .actual_access:  read_only
        .address_space:  global
        .offset:         32
        .size:           8
        .value_kind:     global_buffer
      - .actual_access:  read_only
        .address_space:  global
        .offset:         40
        .size:           8
        .value_kind:     global_buffer
      - .offset:         48
        .size:           4
        .value_kind:     by_value
      - .offset:         52
        .size:           4
        .value_kind:     by_value
      - .actual_access:  read_only
        .address_space:  global
        .offset:         56
        .size:           8
        .value_kind:     global_buffer
      - .actual_access:  read_only
        .address_space:  global
        .offset:         64
        .size:           8
        .value_kind:     global_buffer
      - .offset:         72
        .size:           4
        .value_kind:     by_value
      - .actual_access:  read_only
        .address_space:  global
        .offset:         80
        .size:           8
        .value_kind:     global_buffer
      - .offset:         88
        .size:           4
        .value_kind:     by_value
      - .offset:         92
        .size:           4
        .value_kind:     by_value
      - .offset:         96
        .size:           4
        .value_kind:     by_value
      - .address_space:  global
        .offset:         104
        .size:           8
        .value_kind:     global_buffer
      - .address_space:  global
        .offset:         112
        .size:           8
        .value_kind:     global_buffer
      - .offset:         120
        .size:           4
        .value_kind:     by_value
      - .offset:         124
        .size:           4
        .value_kind:     by_value
      - .offset:         128
        .size:           4
        .value_kind:     by_value
      - .offset:         132
        .size:           4
        .value_kind:     by_value
      - .offset:         136
        .size:           4
        .value_kind:     by_value
      - .offset:         144
        .size:           4
        .value_kind:     hidden_block_count_x
      - .offset:         148
        .size:           4
        .value_kind:     hidden_block_count_y
      - .offset:         152
        .size:           4
        .value_kind:     hidden_block_count_z
      - .offset:         156
        .size:           2
        .value_kind:     hidden_group_size_x
      - .offset:         158
        .size:           2
        .value_kind:     hidden_group_size_y
      - .offset:         160
        .size:           2
        .value_kind:     hidden_group_size_z
      - .offset:         162
        .size:           2
        .value_kind:     hidden_remainder_x
      - .offset:         164
        .size:           2
        .value_kind:     hidden_remainder_y
      - .offset:         166
        .size:           2
        .value_kind:     hidden_remainder_z
      - .offset:         184
        .size:           8
        .value_kind:     hidden_global_offset_x
      - .offset:         192
        .size:           8
        .value_kind:     hidden_global_offset_y
      - .offset:         200
        .size:           8
        .value_kind:     hidden_global_offset_z
      - .offset:         208
        .size:           2
        .value_kind:     hidden_grid_dims
      - .offset:         264
        .size:           4
        .value_kind:     hidden_dynamic_lds_size
    .group_segment_fixed_size: 240
    .kernarg_segment_align: 8
    .kernarg_segment_size: 400
    .language:       OpenCL C
    .language_version:
      - 2
      - 0
    .max_flat_workgroup_size: 1024
    .name:           _ZN4vllm25paged_attention_v2_kernelIthLi112ELi16ELi128ELNS_18Fp8KVCacheDataTypeE1ELb0ELi512EEEvPfS2_PT_PKS3_PKT0_S9_ifPKiSB_iPKfiiiSD_SD_iiiii
    .private_segment_fixed_size: 0
    .sgpr_count:     57
    .sgpr_spill_count: 0
    .symbol:         _ZN4vllm25paged_attention_v2_kernelIthLi112ELi16ELi128ELNS_18Fp8KVCacheDataTypeE1ELb0ELi512EEEvPfS2_PT_PKS3_PKT0_S9_ifPKiSB_iPKfiiiSD_SD_iiiii.kd
    .uniform_work_group_size: 1
    .uses_dynamic_stack: false
    .vgpr_count:     62
    .vgpr_spill_count: 0
    .wavefront_size: 64
  - .agpr_count:     0
    .args:
      - .actual_access:  write_only
        .address_space:  global
        .offset:         0
        .size:           8
        .value_kind:     global_buffer
      - .actual_access:  write_only
        .address_space:  global
        .offset:         8
        .size:           8
        .value_kind:     global_buffer
      - .actual_access:  write_only
        .address_space:  global
        .offset:         16
        .size:           8
        .value_kind:     global_buffer
      - .actual_access:  read_only
        .address_space:  global
        .offset:         24
        .size:           8
        .value_kind:     global_buffer
      - .actual_access:  read_only
        .address_space:  global
        .offset:         32
        .size:           8
        .value_kind:     global_buffer
      - .actual_access:  read_only
        .address_space:  global
        .offset:         40
        .size:           8
        .value_kind:     global_buffer
      - .offset:         48
        .size:           4
        .value_kind:     by_value
      - .offset:         52
        .size:           4
        .value_kind:     by_value
      - .actual_access:  read_only
        .address_space:  global
        .offset:         56
        .size:           8
        .value_kind:     global_buffer
      - .actual_access:  read_only
        .address_space:  global
        .offset:         64
        .size:           8
        .value_kind:     global_buffer
      - .offset:         72
        .size:           4
        .value_kind:     by_value
      - .actual_access:  read_only
        .address_space:  global
        .offset:         80
        .size:           8
        .value_kind:     global_buffer
      - .offset:         88
        .size:           4
        .value_kind:     by_value
      - .offset:         92
        .size:           4
        .value_kind:     by_value
      - .offset:         96
        .size:           4
        .value_kind:     by_value
      - .address_space:  global
        .offset:         104
        .size:           8
        .value_kind:     global_buffer
      - .address_space:  global
        .offset:         112
        .size:           8
        .value_kind:     global_buffer
      - .offset:         120
        .size:           4
        .value_kind:     by_value
      - .offset:         124
        .size:           4
        .value_kind:     by_value
      - .offset:         128
        .size:           4
        .value_kind:     by_value
      - .offset:         132
        .size:           4
        .value_kind:     by_value
      - .offset:         136
        .size:           4
        .value_kind:     by_value
      - .offset:         144
        .size:           4
        .value_kind:     hidden_block_count_x
      - .offset:         148
        .size:           4
        .value_kind:     hidden_block_count_y
      - .offset:         152
        .size:           4
        .value_kind:     hidden_block_count_z
      - .offset:         156
        .size:           2
        .value_kind:     hidden_group_size_x
      - .offset:         158
        .size:           2
        .value_kind:     hidden_group_size_y
      - .offset:         160
        .size:           2
        .value_kind:     hidden_group_size_z
      - .offset:         162
        .size:           2
        .value_kind:     hidden_remainder_x
      - .offset:         164
        .size:           2
        .value_kind:     hidden_remainder_y
      - .offset:         166
        .size:           2
        .value_kind:     hidden_remainder_z
      - .offset:         184
        .size:           8
        .value_kind:     hidden_global_offset_x
      - .offset:         192
        .size:           8
        .value_kind:     hidden_global_offset_y
      - .offset:         200
        .size:           8
        .value_kind:     hidden_global_offset_z
      - .offset:         208
        .size:           2
        .value_kind:     hidden_grid_dims
      - .offset:         264
        .size:           4
        .value_kind:     hidden_dynamic_lds_size
    .group_segment_fixed_size: 256
    .kernarg_segment_align: 8
    .kernarg_segment_size: 400
    .language:       OpenCL C
    .language_version:
      - 2
      - 0
    .max_flat_workgroup_size: 1024
    .name:           _ZN4vllm25paged_attention_v2_kernelIthLi120ELi16ELi128ELNS_18Fp8KVCacheDataTypeE1ELb0ELi512EEEvPfS2_PT_PKS3_PKT0_S9_ifPKiSB_iPKfiiiSD_SD_iiiii
    .private_segment_fixed_size: 0
    .sgpr_count:     57
    .sgpr_spill_count: 0
    .symbol:         _ZN4vllm25paged_attention_v2_kernelIthLi120ELi16ELi128ELNS_18Fp8KVCacheDataTypeE1ELb0ELi512EEEvPfS2_PT_PKS3_PKT0_S9_ifPKiSB_iPKfiiiSD_SD_iiiii.kd
    .uniform_work_group_size: 1
    .uses_dynamic_stack: false
    .vgpr_count:     65
    .vgpr_spill_count: 0
    .wavefront_size: 64
  - .agpr_count:     0
    .args:
      - .actual_access:  write_only
        .address_space:  global
        .offset:         0
        .size:           8
        .value_kind:     global_buffer
      - .actual_access:  write_only
        .address_space:  global
        .offset:         8
        .size:           8
        .value_kind:     global_buffer
      - .actual_access:  write_only
        .address_space:  global
        .offset:         16
        .size:           8
        .value_kind:     global_buffer
      - .actual_access:  read_only
        .address_space:  global
        .offset:         24
        .size:           8
        .value_kind:     global_buffer
      - .actual_access:  read_only
        .address_space:  global
        .offset:         32
        .size:           8
        .value_kind:     global_buffer
      - .actual_access:  read_only
        .address_space:  global
        .offset:         40
        .size:           8
        .value_kind:     global_buffer
      - .offset:         48
        .size:           4
        .value_kind:     by_value
      - .offset:         52
        .size:           4
        .value_kind:     by_value
      - .actual_access:  read_only
        .address_space:  global
        .offset:         56
        .size:           8
        .value_kind:     global_buffer
      - .actual_access:  read_only
        .address_space:  global
        .offset:         64
        .size:           8
        .value_kind:     global_buffer
      - .offset:         72
        .size:           4
        .value_kind:     by_value
      - .actual_access:  read_only
        .address_space:  global
        .offset:         80
        .size:           8
        .value_kind:     global_buffer
      - .offset:         88
        .size:           4
        .value_kind:     by_value
      - .offset:         92
        .size:           4
        .value_kind:     by_value
      - .offset:         96
        .size:           4
        .value_kind:     by_value
      - .address_space:  global
        .offset:         104
        .size:           8
        .value_kind:     global_buffer
      - .address_space:  global
        .offset:         112
        .size:           8
        .value_kind:     global_buffer
      - .offset:         120
        .size:           4
        .value_kind:     by_value
      - .offset:         124
        .size:           4
        .value_kind:     by_value
      - .offset:         128
        .size:           4
        .value_kind:     by_value
      - .offset:         132
        .size:           4
        .value_kind:     by_value
      - .offset:         136
        .size:           4
        .value_kind:     by_value
      - .offset:         144
        .size:           4
        .value_kind:     hidden_block_count_x
      - .offset:         148
        .size:           4
        .value_kind:     hidden_block_count_y
      - .offset:         152
        .size:           4
        .value_kind:     hidden_block_count_z
      - .offset:         156
        .size:           2
        .value_kind:     hidden_group_size_x
      - .offset:         158
        .size:           2
        .value_kind:     hidden_group_size_y
      - .offset:         160
        .size:           2
        .value_kind:     hidden_group_size_z
      - .offset:         162
        .size:           2
        .value_kind:     hidden_remainder_x
      - .offset:         164
        .size:           2
        .value_kind:     hidden_remainder_y
      - .offset:         166
        .size:           2
        .value_kind:     hidden_remainder_z
      - .offset:         184
        .size:           8
        .value_kind:     hidden_global_offset_x
      - .offset:         192
        .size:           8
        .value_kind:     hidden_global_offset_y
      - .offset:         200
        .size:           8
        .value_kind:     hidden_global_offset_z
      - .offset:         208
        .size:           2
        .value_kind:     hidden_grid_dims
      - .offset:         264
        .size:           4
        .value_kind:     hidden_dynamic_lds_size
    .group_segment_fixed_size: 272
    .kernarg_segment_align: 8
    .kernarg_segment_size: 400
    .language:       OpenCL C
    .language_version:
      - 2
      - 0
    .max_flat_workgroup_size: 1024
    .name:           _ZN4vllm25paged_attention_v2_kernelIthLi128ELi16ELi128ELNS_18Fp8KVCacheDataTypeE1ELb0ELi512EEEvPfS2_PT_PKS3_PKT0_S9_ifPKiSB_iPKfiiiSD_SD_iiiii
    .private_segment_fixed_size: 0
    .sgpr_count:     59
    .sgpr_spill_count: 0
    .symbol:         _ZN4vllm25paged_attention_v2_kernelIthLi128ELi16ELi128ELNS_18Fp8KVCacheDataTypeE1ELb0ELi512EEEvPfS2_PT_PKS3_PKT0_S9_ifPKiSB_iPKfiiiSD_SD_iiiii.kd
    .uniform_work_group_size: 1
    .uses_dynamic_stack: false
    .vgpr_count:     68
    .vgpr_spill_count: 0
    .wavefront_size: 64
  - .agpr_count:     42
    .args:
      - .actual_access:  write_only
        .address_space:  global
        .offset:         0
        .size:           8
        .value_kind:     global_buffer
      - .actual_access:  write_only
        .address_space:  global
        .offset:         8
        .size:           8
        .value_kind:     global_buffer
      - .actual_access:  write_only
        .address_space:  global
        .offset:         16
        .size:           8
        .value_kind:     global_buffer
      - .actual_access:  read_only
        .address_space:  global
        .offset:         24
        .size:           8
        .value_kind:     global_buffer
      - .actual_access:  read_only
        .address_space:  global
        .offset:         32
        .size:           8
        .value_kind:     global_buffer
      - .actual_access:  read_only
        .address_space:  global
        .offset:         40
        .size:           8
        .value_kind:     global_buffer
      - .offset:         48
        .size:           4
        .value_kind:     by_value
      - .offset:         52
        .size:           4
        .value_kind:     by_value
      - .actual_access:  read_only
        .address_space:  global
        .offset:         56
        .size:           8
        .value_kind:     global_buffer
      - .actual_access:  read_only
        .address_space:  global
        .offset:         64
        .size:           8
        .value_kind:     global_buffer
      - .offset:         72
        .size:           4
        .value_kind:     by_value
      - .address_space:  global
        .offset:         80
        .size:           8
        .value_kind:     global_buffer
      - .offset:         88
        .size:           4
        .value_kind:     by_value
      - .offset:         92
        .size:           4
        .value_kind:     by_value
      - .offset:         96
        .size:           4
        .value_kind:     by_value
      - .address_space:  global
        .offset:         104
        .size:           8
        .value_kind:     global_buffer
      - .address_space:  global
        .offset:         112
        .size:           8
        .value_kind:     global_buffer
      - .offset:         120
        .size:           4
        .value_kind:     by_value
      - .offset:         124
        .size:           4
        .value_kind:     by_value
      - .offset:         128
        .size:           4
        .value_kind:     by_value
      - .offset:         132
        .size:           4
        .value_kind:     by_value
      - .offset:         136
        .size:           4
        .value_kind:     by_value
      - .offset:         144
        .size:           4
        .value_kind:     hidden_block_count_x
      - .offset:         148
        .size:           4
        .value_kind:     hidden_block_count_y
      - .offset:         152
        .size:           4
        .value_kind:     hidden_block_count_z
      - .offset:         156
        .size:           2
        .value_kind:     hidden_group_size_x
      - .offset:         158
        .size:           2
        .value_kind:     hidden_group_size_y
      - .offset:         160
        .size:           2
        .value_kind:     hidden_group_size_z
      - .offset:         162
        .size:           2
        .value_kind:     hidden_remainder_x
      - .offset:         164
        .size:           2
        .value_kind:     hidden_remainder_y
      - .offset:         166
        .size:           2
        .value_kind:     hidden_remainder_z
      - .offset:         184
        .size:           8
        .value_kind:     hidden_global_offset_x
      - .offset:         192
        .size:           8
        .value_kind:     hidden_global_offset_y
      - .offset:         200
        .size:           8
        .value_kind:     hidden_global_offset_z
      - .offset:         208
        .size:           2
        .value_kind:     hidden_grid_dims
      - .offset:         264
        .size:           4
        .value_kind:     hidden_dynamic_lds_size
    .group_segment_fixed_size: 400
    .kernarg_segment_align: 8
    .kernarg_segment_size: 400
    .language:       OpenCL C
    .language_version:
      - 2
      - 0
    .max_flat_workgroup_size: 1024
    .name:           _ZN4vllm25paged_attention_v2_kernelIthLi192ELi16ELi128ELNS_18Fp8KVCacheDataTypeE1ELb0ELi512EEEvPfS2_PT_PKS3_PKT0_S9_ifPKiSB_iPKfiiiSD_SD_iiiii
    .private_segment_fixed_size: 116
    .sgpr_count:     50
    .sgpr_spill_count: 0
    .symbol:         _ZN4vllm25paged_attention_v2_kernelIthLi192ELi16ELi128ELNS_18Fp8KVCacheDataTypeE1ELb0ELi512EEEvPfS2_PT_PKS3_PKT0_S9_ifPKiSB_iPKfiiiSD_SD_iiiii.kd
    .uniform_work_group_size: 1
    .uses_dynamic_stack: false
    .vgpr_count:     106
    .vgpr_spill_count: 0
    .wavefront_size: 64
  - .agpr_count:     41
    .args:
      - .actual_access:  write_only
        .address_space:  global
        .offset:         0
        .size:           8
        .value_kind:     global_buffer
      - .actual_access:  write_only
        .address_space:  global
        .offset:         8
        .size:           8
        .value_kind:     global_buffer
      - .actual_access:  write_only
        .address_space:  global
        .offset:         16
        .size:           8
        .value_kind:     global_buffer
      - .actual_access:  read_only
        .address_space:  global
        .offset:         24
        .size:           8
        .value_kind:     global_buffer
      - .actual_access:  read_only
        .address_space:  global
        .offset:         32
        .size:           8
        .value_kind:     global_buffer
      - .actual_access:  read_only
        .address_space:  global
        .offset:         40
        .size:           8
        .value_kind:     global_buffer
      - .offset:         48
        .size:           4
        .value_kind:     by_value
      - .offset:         52
        .size:           4
        .value_kind:     by_value
      - .actual_access:  read_only
        .address_space:  global
        .offset:         56
        .size:           8
        .value_kind:     global_buffer
      - .actual_access:  read_only
        .address_space:  global
        .offset:         64
        .size:           8
        .value_kind:     global_buffer
      - .offset:         72
        .size:           4
        .value_kind:     by_value
      - .address_space:  global
        .offset:         80
        .size:           8
        .value_kind:     global_buffer
      - .offset:         88
        .size:           4
        .value_kind:     by_value
      - .offset:         92
        .size:           4
        .value_kind:     by_value
      - .offset:         96
        .size:           4
        .value_kind:     by_value
      - .address_space:  global
        .offset:         104
        .size:           8
        .value_kind:     global_buffer
      - .address_space:  global
        .offset:         112
        .size:           8
        .value_kind:     global_buffer
      - .offset:         120
        .size:           4
        .value_kind:     by_value
      - .offset:         124
        .size:           4
        .value_kind:     by_value
      - .offset:         128
        .size:           4
        .value_kind:     by_value
      - .offset:         132
        .size:           4
        .value_kind:     by_value
      - .offset:         136
        .size:           4
        .value_kind:     by_value
      - .offset:         144
        .size:           4
        .value_kind:     hidden_block_count_x
      - .offset:         148
        .size:           4
        .value_kind:     hidden_block_count_y
      - .offset:         152
        .size:           4
        .value_kind:     hidden_block_count_z
      - .offset:         156
        .size:           2
        .value_kind:     hidden_group_size_x
      - .offset:         158
        .size:           2
        .value_kind:     hidden_group_size_y
      - .offset:         160
        .size:           2
        .value_kind:     hidden_group_size_z
      - .offset:         162
        .size:           2
        .value_kind:     hidden_remainder_x
      - .offset:         164
        .size:           2
        .value_kind:     hidden_remainder_y
      - .offset:         166
        .size:           2
        .value_kind:     hidden_remainder_z
      - .offset:         184
        .size:           8
        .value_kind:     hidden_global_offset_x
      - .offset:         192
        .size:           8
        .value_kind:     hidden_global_offset_y
      - .offset:         200
        .size:           8
        .value_kind:     hidden_global_offset_z
      - .offset:         208
        .size:           2
        .value_kind:     hidden_grid_dims
      - .offset:         264
        .size:           4
        .value_kind:     hidden_dynamic_lds_size
    .group_segment_fixed_size: 528
    .kernarg_segment_align: 8
    .kernarg_segment_size: 400
    .language:       OpenCL C
    .language_version:
      - 2
      - 0
    .max_flat_workgroup_size: 1024
    .name:           _ZN4vllm25paged_attention_v2_kernelIthLi256ELi16ELi128ELNS_18Fp8KVCacheDataTypeE1ELb0ELi512EEEvPfS2_PT_PKS3_PKT0_S9_ifPKiSB_iPKfiiiSD_SD_iiiii
    .private_segment_fixed_size: 148
    .sgpr_count:     50
    .sgpr_spill_count: 0
    .symbol:         _ZN4vllm25paged_attention_v2_kernelIthLi256ELi16ELi128ELNS_18Fp8KVCacheDataTypeE1ELb0ELi512EEEvPfS2_PT_PKS3_PKT0_S9_ifPKiSB_iPKfiiiSD_SD_iiiii.kd
    .uniform_work_group_size: 1
    .uses_dynamic_stack: false
    .vgpr_count:     105
    .vgpr_spill_count: 0
    .wavefront_size: 64
  - .agpr_count:     0
    .args:
      - .actual_access:  write_only
        .address_space:  global
        .offset:         0
        .size:           8
        .value_kind:     global_buffer
      - .actual_access:  write_only
        .address_space:  global
        .offset:         8
        .size:           8
        .value_kind:     global_buffer
      - .actual_access:  write_only
        .address_space:  global
        .offset:         16
        .size:           8
        .value_kind:     global_buffer
      - .actual_access:  read_only
        .address_space:  global
        .offset:         24
        .size:           8
        .value_kind:     global_buffer
      - .actual_access:  read_only
        .address_space:  global
        .offset:         32
        .size:           8
        .value_kind:     global_buffer
      - .actual_access:  read_only
        .address_space:  global
        .offset:         40
        .size:           8
        .value_kind:     global_buffer
      - .offset:         48
        .size:           4
        .value_kind:     by_value
      - .offset:         52
        .size:           4
        .value_kind:     by_value
      - .actual_access:  read_only
        .address_space:  global
        .offset:         56
        .size:           8
        .value_kind:     global_buffer
      - .actual_access:  read_only
        .address_space:  global
        .offset:         64
        .size:           8
        .value_kind:     global_buffer
      - .offset:         72
        .size:           4
        .value_kind:     by_value
      - .actual_access:  read_only
        .address_space:  global
        .offset:         80
        .size:           8
        .value_kind:     global_buffer
      - .offset:         88
        .size:           4
        .value_kind:     by_value
      - .offset:         92
        .size:           4
        .value_kind:     by_value
      - .offset:         96
        .size:           4
        .value_kind:     by_value
      - .address_space:  global
        .offset:         104
        .size:           8
        .value_kind:     global_buffer
      - .address_space:  global
        .offset:         112
        .size:           8
        .value_kind:     global_buffer
      - .offset:         120
        .size:           4
        .value_kind:     by_value
      - .offset:         124
        .size:           4
        .value_kind:     by_value
      - .offset:         128
        .size:           4
        .value_kind:     by_value
      - .offset:         132
        .size:           4
        .value_kind:     by_value
      - .offset:         136
        .size:           4
        .value_kind:     by_value
      - .offset:         144
        .size:           4
        .value_kind:     hidden_block_count_x
      - .offset:         148
        .size:           4
        .value_kind:     hidden_block_count_y
      - .offset:         152
        .size:           4
        .value_kind:     hidden_block_count_z
      - .offset:         156
        .size:           2
        .value_kind:     hidden_group_size_x
      - .offset:         158
        .size:           2
        .value_kind:     hidden_group_size_y
      - .offset:         160
        .size:           2
        .value_kind:     hidden_group_size_z
      - .offset:         162
        .size:           2
        .value_kind:     hidden_remainder_x
      - .offset:         164
        .size:           2
        .value_kind:     hidden_remainder_y
      - .offset:         166
        .size:           2
        .value_kind:     hidden_remainder_z
      - .offset:         184
        .size:           8
        .value_kind:     hidden_global_offset_x
      - .offset:         192
        .size:           8
        .value_kind:     hidden_global_offset_y
      - .offset:         200
        .size:           8
        .value_kind:     hidden_global_offset_z
      - .offset:         208
        .size:           2
        .value_kind:     hidden_grid_dims
      - .offset:         264
        .size:           4
        .value_kind:     hidden_dynamic_lds_size
    .group_segment_fixed_size: 80
    .kernarg_segment_align: 8
    .kernarg_segment_size: 400
    .language:       OpenCL C
    .language_version:
      - 2
      - 0
    .max_flat_workgroup_size: 1024
    .name:           _ZN4vllm25paged_attention_v2_kernelIthLi32ELi32ELi128ELNS_18Fp8KVCacheDataTypeE1ELb1ELi512EEEvPfS2_PT_PKS3_PKT0_S9_ifPKiSB_iPKfiiiSD_SD_iiiii
    .private_segment_fixed_size: 0
    .sgpr_count:     68
    .sgpr_spill_count: 0
    .symbol:         _ZN4vllm25paged_attention_v2_kernelIthLi32ELi32ELi128ELNS_18Fp8KVCacheDataTypeE1ELb1ELi512EEEvPfS2_PT_PKS3_PKT0_S9_ifPKiSB_iPKfiiiSD_SD_iiiii.kd
    .uniform_work_group_size: 1
    .uses_dynamic_stack: false
    .vgpr_count:     49
    .vgpr_spill_count: 0
    .wavefront_size: 64
  - .agpr_count:     0
    .args:
      - .actual_access:  write_only
        .address_space:  global
        .offset:         0
        .size:           8
        .value_kind:     global_buffer
      - .actual_access:  write_only
        .address_space:  global
        .offset:         8
        .size:           8
        .value_kind:     global_buffer
      - .actual_access:  write_only
        .address_space:  global
        .offset:         16
        .size:           8
        .value_kind:     global_buffer
      - .actual_access:  read_only
        .address_space:  global
        .offset:         24
        .size:           8
        .value_kind:     global_buffer
      - .actual_access:  read_only
        .address_space:  global
        .offset:         32
        .size:           8
        .value_kind:     global_buffer
      - .actual_access:  read_only
        .address_space:  global
        .offset:         40
        .size:           8
        .value_kind:     global_buffer
      - .offset:         48
        .size:           4
        .value_kind:     by_value
      - .offset:         52
        .size:           4
        .value_kind:     by_value
      - .actual_access:  read_only
        .address_space:  global
        .offset:         56
        .size:           8
        .value_kind:     global_buffer
      - .actual_access:  read_only
        .address_space:  global
        .offset:         64
        .size:           8
        .value_kind:     global_buffer
      - .offset:         72
        .size:           4
        .value_kind:     by_value
      - .actual_access:  read_only
        .address_space:  global
        .offset:         80
        .size:           8
        .value_kind:     global_buffer
      - .offset:         88
        .size:           4
        .value_kind:     by_value
      - .offset:         92
        .size:           4
        .value_kind:     by_value
      - .offset:         96
        .size:           4
        .value_kind:     by_value
      - .address_space:  global
        .offset:         104
        .size:           8
        .value_kind:     global_buffer
      - .address_space:  global
        .offset:         112
        .size:           8
        .value_kind:     global_buffer
      - .offset:         120
        .size:           4
        .value_kind:     by_value
      - .offset:         124
        .size:           4
        .value_kind:     by_value
      - .offset:         128
        .size:           4
        .value_kind:     by_value
      - .offset:         132
        .size:           4
        .value_kind:     by_value
      - .offset:         136
        .size:           4
        .value_kind:     by_value
      - .offset:         144
        .size:           4
        .value_kind:     hidden_block_count_x
      - .offset:         148
        .size:           4
        .value_kind:     hidden_block_count_y
      - .offset:         152
        .size:           4
        .value_kind:     hidden_block_count_z
      - .offset:         156
        .size:           2
        .value_kind:     hidden_group_size_x
      - .offset:         158
        .size:           2
        .value_kind:     hidden_group_size_y
      - .offset:         160
        .size:           2
        .value_kind:     hidden_group_size_z
      - .offset:         162
        .size:           2
        .value_kind:     hidden_remainder_x
      - .offset:         164
        .size:           2
        .value_kind:     hidden_remainder_y
      - .offset:         166
        .size:           2
        .value_kind:     hidden_remainder_z
      - .offset:         184
        .size:           8
        .value_kind:     hidden_global_offset_x
      - .offset:         192
        .size:           8
        .value_kind:     hidden_global_offset_y
      - .offset:         200
        .size:           8
        .value_kind:     hidden_global_offset_z
      - .offset:         208
        .size:           2
        .value_kind:     hidden_grid_dims
      - .offset:         264
        .size:           4
        .value_kind:     hidden_dynamic_lds_size
    .group_segment_fixed_size: 144
    .kernarg_segment_align: 8
    .kernarg_segment_size: 400
    .language:       OpenCL C
    .language_version:
      - 2
      - 0
    .max_flat_workgroup_size: 1024
    .name:           _ZN4vllm25paged_attention_v2_kernelIthLi64ELi32ELi128ELNS_18Fp8KVCacheDataTypeE1ELb1ELi512EEEvPfS2_PT_PKS3_PKT0_S9_ifPKiSB_iPKfiiiSD_SD_iiiii
    .private_segment_fixed_size: 0
    .sgpr_count:     68
    .sgpr_spill_count: 0
    .symbol:         _ZN4vllm25paged_attention_v2_kernelIthLi64ELi32ELi128ELNS_18Fp8KVCacheDataTypeE1ELb1ELi512EEEvPfS2_PT_PKS3_PKT0_S9_ifPKiSB_iPKfiiiSD_SD_iiiii.kd
    .uniform_work_group_size: 1
    .uses_dynamic_stack: false
    .vgpr_count:     63
    .vgpr_spill_count: 0
    .wavefront_size: 64
  - .agpr_count:     0
    .args:
      - .actual_access:  write_only
        .address_space:  global
        .offset:         0
        .size:           8
        .value_kind:     global_buffer
      - .actual_access:  write_only
        .address_space:  global
        .offset:         8
        .size:           8
        .value_kind:     global_buffer
      - .actual_access:  write_only
        .address_space:  global
        .offset:         16
        .size:           8
        .value_kind:     global_buffer
      - .actual_access:  read_only
        .address_space:  global
        .offset:         24
        .size:           8
        .value_kind:     global_buffer
      - .actual_access:  read_only
        .address_space:  global
        .offset:         32
        .size:           8
        .value_kind:     global_buffer
      - .actual_access:  read_only
        .address_space:  global
        .offset:         40
        .size:           8
        .value_kind:     global_buffer
      - .offset:         48
        .size:           4
        .value_kind:     by_value
      - .offset:         52
        .size:           4
        .value_kind:     by_value
      - .actual_access:  read_only
        .address_space:  global
        .offset:         56
        .size:           8
        .value_kind:     global_buffer
      - .actual_access:  read_only
        .address_space:  global
        .offset:         64
        .size:           8
        .value_kind:     global_buffer
      - .offset:         72
        .size:           4
        .value_kind:     by_value
      - .actual_access:  read_only
        .address_space:  global
        .offset:         80
        .size:           8
        .value_kind:     global_buffer
      - .offset:         88
        .size:           4
        .value_kind:     by_value
      - .offset:         92
        .size:           4
        .value_kind:     by_value
      - .offset:         96
        .size:           4
        .value_kind:     by_value
      - .address_space:  global
        .offset:         104
        .size:           8
        .value_kind:     global_buffer
      - .address_space:  global
        .offset:         112
        .size:           8
        .value_kind:     global_buffer
      - .offset:         120
        .size:           4
        .value_kind:     by_value
      - .offset:         124
        .size:           4
        .value_kind:     by_value
      - .offset:         128
        .size:           4
        .value_kind:     by_value
      - .offset:         132
        .size:           4
        .value_kind:     by_value
      - .offset:         136
        .size:           4
        .value_kind:     by_value
      - .offset:         144
        .size:           4
        .value_kind:     hidden_block_count_x
      - .offset:         148
        .size:           4
        .value_kind:     hidden_block_count_y
      - .offset:         152
        .size:           4
        .value_kind:     hidden_block_count_z
      - .offset:         156
        .size:           2
        .value_kind:     hidden_group_size_x
      - .offset:         158
        .size:           2
        .value_kind:     hidden_group_size_y
      - .offset:         160
        .size:           2
        .value_kind:     hidden_group_size_z
      - .offset:         162
        .size:           2
        .value_kind:     hidden_remainder_x
      - .offset:         164
        .size:           2
        .value_kind:     hidden_remainder_y
      - .offset:         166
        .size:           2
        .value_kind:     hidden_remainder_z
      - .offset:         184
        .size:           8
        .value_kind:     hidden_global_offset_x
      - .offset:         192
        .size:           8
        .value_kind:     hidden_global_offset_y
      - .offset:         200
        .size:           8
        .value_kind:     hidden_global_offset_z
      - .offset:         208
        .size:           2
        .value_kind:     hidden_grid_dims
      - .offset:         264
        .size:           4
        .value_kind:     hidden_dynamic_lds_size
    .group_segment_fixed_size: 176
    .kernarg_segment_align: 8
    .kernarg_segment_size: 400
    .language:       OpenCL C
    .language_version:
      - 2
      - 0
    .max_flat_workgroup_size: 1024
    .name:           _ZN4vllm25paged_attention_v2_kernelIthLi80ELi32ELi128ELNS_18Fp8KVCacheDataTypeE1ELb1ELi512EEEvPfS2_PT_PKS3_PKT0_S9_ifPKiSB_iPKfiiiSD_SD_iiiii
    .private_segment_fixed_size: 0
    .sgpr_count:     68
    .sgpr_spill_count: 0
    .symbol:         _ZN4vllm25paged_attention_v2_kernelIthLi80ELi32ELi128ELNS_18Fp8KVCacheDataTypeE1ELb1ELi512EEEvPfS2_PT_PKS3_PKT0_S9_ifPKiSB_iPKfiiiSD_SD_iiiii.kd
    .uniform_work_group_size: 1
    .uses_dynamic_stack: false
    .vgpr_count:     71
    .vgpr_spill_count: 0
    .wavefront_size: 64
  - .agpr_count:     48
    .args:
      - .actual_access:  write_only
        .address_space:  global
        .offset:         0
        .size:           8
        .value_kind:     global_buffer
      - .actual_access:  write_only
        .address_space:  global
        .offset:         8
        .size:           8
        .value_kind:     global_buffer
      - .actual_access:  write_only
        .address_space:  global
        .offset:         16
        .size:           8
        .value_kind:     global_buffer
      - .actual_access:  read_only
        .address_space:  global
        .offset:         24
        .size:           8
        .value_kind:     global_buffer
      - .actual_access:  read_only
        .address_space:  global
        .offset:         32
        .size:           8
        .value_kind:     global_buffer
      - .actual_access:  read_only
        .address_space:  global
        .offset:         40
        .size:           8
        .value_kind:     global_buffer
      - .offset:         48
        .size:           4
        .value_kind:     by_value
      - .offset:         52
        .size:           4
        .value_kind:     by_value
      - .actual_access:  read_only
        .address_space:  global
        .offset:         56
        .size:           8
        .value_kind:     global_buffer
      - .actual_access:  read_only
        .address_space:  global
        .offset:         64
        .size:           8
        .value_kind:     global_buffer
      - .offset:         72
        .size:           4
        .value_kind:     by_value
      - .address_space:  global
        .offset:         80
        .size:           8
        .value_kind:     global_buffer
      - .offset:         88
        .size:           4
        .value_kind:     by_value
      - .offset:         92
        .size:           4
        .value_kind:     by_value
      - .offset:         96
        .size:           4
        .value_kind:     by_value
      - .address_space:  global
        .offset:         104
        .size:           8
        .value_kind:     global_buffer
      - .address_space:  global
        .offset:         112
        .size:           8
        .value_kind:     global_buffer
      - .offset:         120
        .size:           4
        .value_kind:     by_value
      - .offset:         124
        .size:           4
        .value_kind:     by_value
      - .offset:         128
        .size:           4
        .value_kind:     by_value
      - .offset:         132
        .size:           4
        .value_kind:     by_value
      - .offset:         136
        .size:           4
        .value_kind:     by_value
      - .offset:         144
        .size:           4
        .value_kind:     hidden_block_count_x
      - .offset:         148
        .size:           4
        .value_kind:     hidden_block_count_y
      - .offset:         152
        .size:           4
        .value_kind:     hidden_block_count_z
      - .offset:         156
        .size:           2
        .value_kind:     hidden_group_size_x
      - .offset:         158
        .size:           2
        .value_kind:     hidden_group_size_y
      - .offset:         160
        .size:           2
        .value_kind:     hidden_group_size_z
      - .offset:         162
        .size:           2
        .value_kind:     hidden_remainder_x
      - .offset:         164
        .size:           2
        .value_kind:     hidden_remainder_y
      - .offset:         166
        .size:           2
        .value_kind:     hidden_remainder_z
      - .offset:         184
        .size:           8
        .value_kind:     hidden_global_offset_x
      - .offset:         192
        .size:           8
        .value_kind:     hidden_global_offset_y
      - .offset:         200
        .size:           8
        .value_kind:     hidden_global_offset_z
      - .offset:         208
        .size:           2
        .value_kind:     hidden_grid_dims
      - .offset:         264
        .size:           4
        .value_kind:     hidden_dynamic_lds_size
    .group_segment_fixed_size: 208
    .kernarg_segment_align: 8
    .kernarg_segment_size: 400
    .language:       OpenCL C
    .language_version:
      - 2
      - 0
    .max_flat_workgroup_size: 1024
    .name:           _ZN4vllm25paged_attention_v2_kernelIthLi96ELi32ELi128ELNS_18Fp8KVCacheDataTypeE1ELb1ELi512EEEvPfS2_PT_PKS3_PKT0_S9_ifPKiSB_iPKfiiiSD_SD_iiiii
    .private_segment_fixed_size: 148
    .sgpr_count:     54
    .sgpr_spill_count: 0
    .symbol:         _ZN4vllm25paged_attention_v2_kernelIthLi96ELi32ELi128ELNS_18Fp8KVCacheDataTypeE1ELb1ELi512EEEvPfS2_PT_PKS3_PKT0_S9_ifPKiSB_iPKfiiiSD_SD_iiiii.kd
    .uniform_work_group_size: 1
    .uses_dynamic_stack: false
    .vgpr_count:     112
    .vgpr_spill_count: 0
    .wavefront_size: 64
  - .agpr_count:     59
    .args:
      - .actual_access:  write_only
        .address_space:  global
        .offset:         0
        .size:           8
        .value_kind:     global_buffer
      - .actual_access:  write_only
        .address_space:  global
        .offset:         8
        .size:           8
        .value_kind:     global_buffer
      - .actual_access:  write_only
        .address_space:  global
        .offset:         16
        .size:           8
        .value_kind:     global_buffer
      - .actual_access:  read_only
        .address_space:  global
        .offset:         24
        .size:           8
        .value_kind:     global_buffer
      - .actual_access:  read_only
        .address_space:  global
        .offset:         32
        .size:           8
        .value_kind:     global_buffer
      - .actual_access:  read_only
        .address_space:  global
        .offset:         40
        .size:           8
        .value_kind:     global_buffer
      - .offset:         48
        .size:           4
        .value_kind:     by_value
      - .offset:         52
        .size:           4
        .value_kind:     by_value
      - .actual_access:  read_only
        .address_space:  global
        .offset:         56
        .size:           8
        .value_kind:     global_buffer
      - .actual_access:  read_only
        .address_space:  global
        .offset:         64
        .size:           8
        .value_kind:     global_buffer
      - .offset:         72
        .size:           4
        .value_kind:     by_value
      - .address_space:  global
        .offset:         80
        .size:           8
        .value_kind:     global_buffer
      - .offset:         88
        .size:           4
        .value_kind:     by_value
      - .offset:         92
        .size:           4
        .value_kind:     by_value
      - .offset:         96
        .size:           4
        .value_kind:     by_value
      - .address_space:  global
        .offset:         104
        .size:           8
        .value_kind:     global_buffer
      - .address_space:  global
        .offset:         112
        .size:           8
        .value_kind:     global_buffer
      - .offset:         120
        .size:           4
        .value_kind:     by_value
      - .offset:         124
        .size:           4
        .value_kind:     by_value
      - .offset:         128
        .size:           4
        .value_kind:     by_value
      - .offset:         132
        .size:           4
        .value_kind:     by_value
      - .offset:         136
        .size:           4
        .value_kind:     by_value
      - .offset:         144
        .size:           4
        .value_kind:     hidden_block_count_x
      - .offset:         148
        .size:           4
        .value_kind:     hidden_block_count_y
      - .offset:         152
        .size:           4
        .value_kind:     hidden_block_count_z
      - .offset:         156
        .size:           2
        .value_kind:     hidden_group_size_x
      - .offset:         158
        .size:           2
        .value_kind:     hidden_group_size_y
      - .offset:         160
        .size:           2
        .value_kind:     hidden_group_size_z
      - .offset:         162
        .size:           2
        .value_kind:     hidden_remainder_x
      - .offset:         164
        .size:           2
        .value_kind:     hidden_remainder_y
      - .offset:         166
        .size:           2
        .value_kind:     hidden_remainder_z
      - .offset:         184
        .size:           8
        .value_kind:     hidden_global_offset_x
      - .offset:         192
        .size:           8
        .value_kind:     hidden_global_offset_y
      - .offset:         200
        .size:           8
        .value_kind:     hidden_global_offset_z
      - .offset:         208
        .size:           2
        .value_kind:     hidden_grid_dims
      - .offset:         264
        .size:           4
        .value_kind:     hidden_dynamic_lds_size
    .group_segment_fixed_size: 240
    .kernarg_segment_align: 8
    .kernarg_segment_size: 400
    .language:       OpenCL C
    .language_version:
      - 2
      - 0
    .max_flat_workgroup_size: 1024
    .name:           _ZN4vllm25paged_attention_v2_kernelIthLi112ELi32ELi128ELNS_18Fp8KVCacheDataTypeE1ELb1ELi512EEEvPfS2_PT_PKS3_PKT0_S9_ifPKiSB_iPKfiiiSD_SD_iiiii
    .private_segment_fixed_size: 200
    .sgpr_count:     54
    .sgpr_spill_count: 0
    .symbol:         _ZN4vllm25paged_attention_v2_kernelIthLi112ELi32ELi128ELNS_18Fp8KVCacheDataTypeE1ELb1ELi512EEEvPfS2_PT_PKS3_PKT0_S9_ifPKiSB_iPKfiiiSD_SD_iiiii.kd
    .uniform_work_group_size: 1
    .uses_dynamic_stack: false
    .vgpr_count:     123
    .vgpr_spill_count: 0
    .wavefront_size: 64
  - .agpr_count:     53
    .args:
      - .actual_access:  write_only
        .address_space:  global
        .offset:         0
        .size:           8
        .value_kind:     global_buffer
      - .actual_access:  write_only
        .address_space:  global
        .offset:         8
        .size:           8
        .value_kind:     global_buffer
      - .actual_access:  write_only
        .address_space:  global
        .offset:         16
        .size:           8
        .value_kind:     global_buffer
      - .actual_access:  read_only
        .address_space:  global
        .offset:         24
        .size:           8
        .value_kind:     global_buffer
      - .actual_access:  read_only
        .address_space:  global
        .offset:         32
        .size:           8
        .value_kind:     global_buffer
      - .actual_access:  read_only
        .address_space:  global
        .offset:         40
        .size:           8
        .value_kind:     global_buffer
      - .offset:         48
        .size:           4
        .value_kind:     by_value
      - .offset:         52
        .size:           4
        .value_kind:     by_value
      - .actual_access:  read_only
        .address_space:  global
        .offset:         56
        .size:           8
        .value_kind:     global_buffer
      - .actual_access:  read_only
        .address_space:  global
        .offset:         64
        .size:           8
        .value_kind:     global_buffer
      - .offset:         72
        .size:           4
        .value_kind:     by_value
      - .address_space:  global
        .offset:         80
        .size:           8
        .value_kind:     global_buffer
      - .offset:         88
        .size:           4
        .value_kind:     by_value
      - .offset:         92
        .size:           4
        .value_kind:     by_value
      - .offset:         96
        .size:           4
        .value_kind:     by_value
      - .address_space:  global
        .offset:         104
        .size:           8
        .value_kind:     global_buffer
      - .address_space:  global
        .offset:         112
        .size:           8
        .value_kind:     global_buffer
      - .offset:         120
        .size:           4
        .value_kind:     by_value
      - .offset:         124
        .size:           4
        .value_kind:     by_value
      - .offset:         128
        .size:           4
        .value_kind:     by_value
      - .offset:         132
        .size:           4
        .value_kind:     by_value
      - .offset:         136
        .size:           4
        .value_kind:     by_value
      - .offset:         144
        .size:           4
        .value_kind:     hidden_block_count_x
      - .offset:         148
        .size:           4
        .value_kind:     hidden_block_count_y
      - .offset:         152
        .size:           4
        .value_kind:     hidden_block_count_z
      - .offset:         156
        .size:           2
        .value_kind:     hidden_group_size_x
      - .offset:         158
        .size:           2
        .value_kind:     hidden_group_size_y
      - .offset:         160
        .size:           2
        .value_kind:     hidden_group_size_z
      - .offset:         162
        .size:           2
        .value_kind:     hidden_remainder_x
      - .offset:         164
        .size:           2
        .value_kind:     hidden_remainder_y
      - .offset:         166
        .size:           2
        .value_kind:     hidden_remainder_z
      - .offset:         184
        .size:           8
        .value_kind:     hidden_global_offset_x
      - .offset:         192
        .size:           8
        .value_kind:     hidden_global_offset_y
      - .offset:         200
        .size:           8
        .value_kind:     hidden_global_offset_z
      - .offset:         208
        .size:           2
        .value_kind:     hidden_grid_dims
      - .offset:         264
        .size:           4
        .value_kind:     hidden_dynamic_lds_size
    .group_segment_fixed_size: 256
    .kernarg_segment_align: 8
    .kernarg_segment_size: 400
    .language:       OpenCL C
    .language_version:
      - 2
      - 0
    .max_flat_workgroup_size: 1024
    .name:           _ZN4vllm25paged_attention_v2_kernelIthLi120ELi32ELi128ELNS_18Fp8KVCacheDataTypeE1ELb1ELi512EEEvPfS2_PT_PKS3_PKT0_S9_ifPKiSB_iPKfiiiSD_SD_iiiii
    .private_segment_fixed_size: 200
    .sgpr_count:     54
    .sgpr_spill_count: 0
    .symbol:         _ZN4vllm25paged_attention_v2_kernelIthLi120ELi32ELi128ELNS_18Fp8KVCacheDataTypeE1ELb1ELi512EEEvPfS2_PT_PKS3_PKT0_S9_ifPKiSB_iPKfiiiSD_SD_iiiii.kd
    .uniform_work_group_size: 1
    .uses_dynamic_stack: false
    .vgpr_count:     117
    .vgpr_spill_count: 0
    .wavefront_size: 64
  - .agpr_count:     62
    .args:
      - .actual_access:  write_only
        .address_space:  global
        .offset:         0
        .size:           8
        .value_kind:     global_buffer
      - .actual_access:  write_only
        .address_space:  global
        .offset:         8
        .size:           8
        .value_kind:     global_buffer
      - .actual_access:  write_only
        .address_space:  global
        .offset:         16
        .size:           8
        .value_kind:     global_buffer
      - .actual_access:  read_only
        .address_space:  global
        .offset:         24
        .size:           8
        .value_kind:     global_buffer
      - .actual_access:  read_only
        .address_space:  global
        .offset:         32
        .size:           8
        .value_kind:     global_buffer
      - .actual_access:  read_only
        .address_space:  global
        .offset:         40
        .size:           8
        .value_kind:     global_buffer
      - .offset:         48
        .size:           4
        .value_kind:     by_value
      - .offset:         52
        .size:           4
        .value_kind:     by_value
      - .actual_access:  read_only
        .address_space:  global
        .offset:         56
        .size:           8
        .value_kind:     global_buffer
      - .actual_access:  read_only
        .address_space:  global
        .offset:         64
        .size:           8
        .value_kind:     global_buffer
      - .offset:         72
        .size:           4
        .value_kind:     by_value
      - .address_space:  global
        .offset:         80
        .size:           8
        .value_kind:     global_buffer
      - .offset:         88
        .size:           4
        .value_kind:     by_value
      - .offset:         92
        .size:           4
        .value_kind:     by_value
      - .offset:         96
        .size:           4
        .value_kind:     by_value
      - .address_space:  global
        .offset:         104
        .size:           8
        .value_kind:     global_buffer
      - .address_space:  global
        .offset:         112
        .size:           8
        .value_kind:     global_buffer
      - .offset:         120
        .size:           4
        .value_kind:     by_value
      - .offset:         124
        .size:           4
        .value_kind:     by_value
      - .offset:         128
        .size:           4
        .value_kind:     by_value
      - .offset:         132
        .size:           4
        .value_kind:     by_value
      - .offset:         136
        .size:           4
        .value_kind:     by_value
      - .offset:         144
        .size:           4
        .value_kind:     hidden_block_count_x
      - .offset:         148
        .size:           4
        .value_kind:     hidden_block_count_y
      - .offset:         152
        .size:           4
        .value_kind:     hidden_block_count_z
      - .offset:         156
        .size:           2
        .value_kind:     hidden_group_size_x
      - .offset:         158
        .size:           2
        .value_kind:     hidden_group_size_y
      - .offset:         160
        .size:           2
        .value_kind:     hidden_group_size_z
      - .offset:         162
        .size:           2
        .value_kind:     hidden_remainder_x
      - .offset:         164
        .size:           2
        .value_kind:     hidden_remainder_y
      - .offset:         166
        .size:           2
        .value_kind:     hidden_remainder_z
      - .offset:         184
        .size:           8
        .value_kind:     hidden_global_offset_x
      - .offset:         192
        .size:           8
        .value_kind:     hidden_global_offset_y
      - .offset:         200
        .size:           8
        .value_kind:     hidden_global_offset_z
      - .offset:         208
        .size:           2
        .value_kind:     hidden_grid_dims
      - .offset:         264
        .size:           4
        .value_kind:     hidden_dynamic_lds_size
    .group_segment_fixed_size: 272
    .kernarg_segment_align: 8
    .kernarg_segment_size: 400
    .language:       OpenCL C
    .language_version:
      - 2
      - 0
    .max_flat_workgroup_size: 1024
    .name:           _ZN4vllm25paged_attention_v2_kernelIthLi128ELi32ELi128ELNS_18Fp8KVCacheDataTypeE1ELb1ELi512EEEvPfS2_PT_PKS3_PKT0_S9_ifPKiSB_iPKfiiiSD_SD_iiiii
    .private_segment_fixed_size: 260
    .sgpr_count:     54
    .sgpr_spill_count: 0
    .symbol:         _ZN4vllm25paged_attention_v2_kernelIthLi128ELi32ELi128ELNS_18Fp8KVCacheDataTypeE1ELb1ELi512EEEvPfS2_PT_PKS3_PKT0_S9_ifPKiSB_iPKfiiiSD_SD_iiiii.kd
    .uniform_work_group_size: 1
    .uses_dynamic_stack: false
    .vgpr_count:     126
    .vgpr_spill_count: 0
    .wavefront_size: 64
  - .agpr_count:     64
    .args:
      - .actual_access:  write_only
        .address_space:  global
        .offset:         0
        .size:           8
        .value_kind:     global_buffer
      - .actual_access:  write_only
        .address_space:  global
        .offset:         8
        .size:           8
        .value_kind:     global_buffer
      - .actual_access:  write_only
        .address_space:  global
        .offset:         16
        .size:           8
        .value_kind:     global_buffer
      - .actual_access:  read_only
        .address_space:  global
        .offset:         24
        .size:           8
        .value_kind:     global_buffer
      - .actual_access:  read_only
        .address_space:  global
        .offset:         32
        .size:           8
        .value_kind:     global_buffer
      - .actual_access:  read_only
        .address_space:  global
        .offset:         40
        .size:           8
        .value_kind:     global_buffer
      - .offset:         48
        .size:           4
        .value_kind:     by_value
      - .offset:         52
        .size:           4
        .value_kind:     by_value
      - .actual_access:  read_only
        .address_space:  global
        .offset:         56
        .size:           8
        .value_kind:     global_buffer
      - .actual_access:  read_only
        .address_space:  global
        .offset:         64
        .size:           8
        .value_kind:     global_buffer
      - .offset:         72
        .size:           4
        .value_kind:     by_value
      - .address_space:  global
        .offset:         80
        .size:           8
        .value_kind:     global_buffer
      - .offset:         88
        .size:           4
        .value_kind:     by_value
      - .offset:         92
        .size:           4
        .value_kind:     by_value
      - .offset:         96
        .size:           4
        .value_kind:     by_value
      - .address_space:  global
        .offset:         104
        .size:           8
        .value_kind:     global_buffer
      - .address_space:  global
        .offset:         112
        .size:           8
        .value_kind:     global_buffer
      - .offset:         120
        .size:           4
        .value_kind:     by_value
      - .offset:         124
        .size:           4
        .value_kind:     by_value
      - .offset:         128
        .size:           4
        .value_kind:     by_value
      - .offset:         132
        .size:           4
        .value_kind:     by_value
      - .offset:         136
        .size:           4
        .value_kind:     by_value
      - .offset:         144
        .size:           4
        .value_kind:     hidden_block_count_x
      - .offset:         148
        .size:           4
        .value_kind:     hidden_block_count_y
      - .offset:         152
        .size:           4
        .value_kind:     hidden_block_count_z
      - .offset:         156
        .size:           2
        .value_kind:     hidden_group_size_x
      - .offset:         158
        .size:           2
        .value_kind:     hidden_group_size_y
      - .offset:         160
        .size:           2
        .value_kind:     hidden_group_size_z
      - .offset:         162
        .size:           2
        .value_kind:     hidden_remainder_x
      - .offset:         164
        .size:           2
        .value_kind:     hidden_remainder_y
      - .offset:         166
        .size:           2
        .value_kind:     hidden_remainder_z
      - .offset:         184
        .size:           8
        .value_kind:     hidden_global_offset_x
      - .offset:         192
        .size:           8
        .value_kind:     hidden_global_offset_y
      - .offset:         200
        .size:           8
        .value_kind:     hidden_global_offset_z
      - .offset:         208
        .size:           2
        .value_kind:     hidden_grid_dims
      - .offset:         264
        .size:           4
        .value_kind:     hidden_dynamic_lds_size
    .group_segment_fixed_size: 400
    .kernarg_segment_align: 8
    .kernarg_segment_size: 400
    .language:       OpenCL C
    .language_version:
      - 2
      - 0
    .max_flat_workgroup_size: 1024
    .name:           _ZN4vllm25paged_attention_v2_kernelIthLi192ELi32ELi128ELNS_18Fp8KVCacheDataTypeE1ELb1ELi512EEEvPfS2_PT_PKS3_PKT0_S9_ifPKiSB_iPKfiiiSD_SD_iiiii
    .private_segment_fixed_size: 500
    .sgpr_count:     54
    .sgpr_spill_count: 0
    .symbol:         _ZN4vllm25paged_attention_v2_kernelIthLi192ELi32ELi128ELNS_18Fp8KVCacheDataTypeE1ELb1ELi512EEEvPfS2_PT_PKS3_PKT0_S9_ifPKiSB_iPKfiiiSD_SD_iiiii.kd
    .uniform_work_group_size: 1
    .uses_dynamic_stack: false
    .vgpr_count:     128
    .vgpr_spill_count: 0
    .wavefront_size: 64
  - .agpr_count:     64
    .args:
      - .actual_access:  write_only
        .address_space:  global
        .offset:         0
        .size:           8
        .value_kind:     global_buffer
      - .actual_access:  write_only
        .address_space:  global
        .offset:         8
        .size:           8
        .value_kind:     global_buffer
      - .actual_access:  write_only
        .address_space:  global
        .offset:         16
        .size:           8
        .value_kind:     global_buffer
      - .actual_access:  read_only
        .address_space:  global
        .offset:         24
        .size:           8
        .value_kind:     global_buffer
      - .actual_access:  read_only
        .address_space:  global
        .offset:         32
        .size:           8
        .value_kind:     global_buffer
      - .actual_access:  read_only
        .address_space:  global
        .offset:         40
        .size:           8
        .value_kind:     global_buffer
      - .offset:         48
        .size:           4
        .value_kind:     by_value
      - .offset:         52
        .size:           4
        .value_kind:     by_value
      - .actual_access:  read_only
        .address_space:  global
        .offset:         56
        .size:           8
        .value_kind:     global_buffer
      - .actual_access:  read_only
        .address_space:  global
        .offset:         64
        .size:           8
        .value_kind:     global_buffer
      - .offset:         72
        .size:           4
        .value_kind:     by_value
      - .address_space:  global
        .offset:         80
        .size:           8
        .value_kind:     global_buffer
      - .offset:         88
        .size:           4
        .value_kind:     by_value
      - .offset:         92
        .size:           4
        .value_kind:     by_value
      - .offset:         96
        .size:           4
        .value_kind:     by_value
      - .address_space:  global
        .offset:         104
        .size:           8
        .value_kind:     global_buffer
      - .address_space:  global
        .offset:         112
        .size:           8
        .value_kind:     global_buffer
      - .offset:         120
        .size:           4
        .value_kind:     by_value
      - .offset:         124
        .size:           4
        .value_kind:     by_value
      - .offset:         128
        .size:           4
        .value_kind:     by_value
      - .offset:         132
        .size:           4
        .value_kind:     by_value
      - .offset:         136
        .size:           4
        .value_kind:     by_value
      - .offset:         144
        .size:           4
        .value_kind:     hidden_block_count_x
      - .offset:         148
        .size:           4
        .value_kind:     hidden_block_count_y
      - .offset:         152
        .size:           4
        .value_kind:     hidden_block_count_z
      - .offset:         156
        .size:           2
        .value_kind:     hidden_group_size_x
      - .offset:         158
        .size:           2
        .value_kind:     hidden_group_size_y
      - .offset:         160
        .size:           2
        .value_kind:     hidden_group_size_z
      - .offset:         162
        .size:           2
        .value_kind:     hidden_remainder_x
      - .offset:         164
        .size:           2
        .value_kind:     hidden_remainder_y
      - .offset:         166
        .size:           2
        .value_kind:     hidden_remainder_z
      - .offset:         184
        .size:           8
        .value_kind:     hidden_global_offset_x
      - .offset:         192
        .size:           8
        .value_kind:     hidden_global_offset_y
      - .offset:         200
        .size:           8
        .value_kind:     hidden_global_offset_z
      - .offset:         208
        .size:           2
        .value_kind:     hidden_grid_dims
      - .offset:         264
        .size:           4
        .value_kind:     hidden_dynamic_lds_size
    .group_segment_fixed_size: 528
    .kernarg_segment_align: 8
    .kernarg_segment_size: 400
    .language:       OpenCL C
    .language_version:
      - 2
      - 0
    .max_flat_workgroup_size: 1024
    .name:           _ZN4vllm25paged_attention_v2_kernelIthLi256ELi32ELi128ELNS_18Fp8KVCacheDataTypeE1ELb1ELi512EEEvPfS2_PT_PKS3_PKT0_S9_ifPKiSB_iPKfiiiSD_SD_iiiii
    .private_segment_fixed_size: 760
    .sgpr_count:     54
    .sgpr_spill_count: 0
    .symbol:         _ZN4vllm25paged_attention_v2_kernelIthLi256ELi32ELi128ELNS_18Fp8KVCacheDataTypeE1ELb1ELi512EEEvPfS2_PT_PKS3_PKT0_S9_ifPKiSB_iPKfiiiSD_SD_iiiii.kd
    .uniform_work_group_size: 1
    .uses_dynamic_stack: false
    .vgpr_count:     128
    .vgpr_spill_count: 0
    .wavefront_size: 64
  - .agpr_count:     0
    .args:
      - .actual_access:  write_only
        .address_space:  global
        .offset:         0
        .size:           8
        .value_kind:     global_buffer
      - .actual_access:  write_only
        .address_space:  global
        .offset:         8
        .size:           8
        .value_kind:     global_buffer
      - .actual_access:  write_only
        .address_space:  global
        .offset:         16
        .size:           8
        .value_kind:     global_buffer
      - .actual_access:  read_only
        .address_space:  global
        .offset:         24
        .size:           8
        .value_kind:     global_buffer
      - .actual_access:  read_only
        .address_space:  global
        .offset:         32
        .size:           8
        .value_kind:     global_buffer
      - .actual_access:  read_only
        .address_space:  global
        .offset:         40
        .size:           8
        .value_kind:     global_buffer
      - .offset:         48
        .size:           4
        .value_kind:     by_value
      - .offset:         52
        .size:           4
        .value_kind:     by_value
      - .actual_access:  read_only
        .address_space:  global
        .offset:         56
        .size:           8
        .value_kind:     global_buffer
      - .actual_access:  read_only
        .address_space:  global
        .offset:         64
        .size:           8
        .value_kind:     global_buffer
      - .offset:         72
        .size:           4
        .value_kind:     by_value
      - .actual_access:  read_only
        .address_space:  global
        .offset:         80
        .size:           8
        .value_kind:     global_buffer
      - .offset:         88
        .size:           4
        .value_kind:     by_value
      - .offset:         92
        .size:           4
        .value_kind:     by_value
      - .offset:         96
        .size:           4
        .value_kind:     by_value
      - .address_space:  global
        .offset:         104
        .size:           8
        .value_kind:     global_buffer
      - .address_space:  global
        .offset:         112
        .size:           8
        .value_kind:     global_buffer
      - .offset:         120
        .size:           4
        .value_kind:     by_value
      - .offset:         124
        .size:           4
        .value_kind:     by_value
      - .offset:         128
        .size:           4
        .value_kind:     by_value
      - .offset:         132
        .size:           4
        .value_kind:     by_value
      - .offset:         136
        .size:           4
        .value_kind:     by_value
      - .offset:         144
        .size:           4
        .value_kind:     hidden_block_count_x
      - .offset:         148
        .size:           4
        .value_kind:     hidden_block_count_y
      - .offset:         152
        .size:           4
        .value_kind:     hidden_block_count_z
      - .offset:         156
        .size:           2
        .value_kind:     hidden_group_size_x
      - .offset:         158
        .size:           2
        .value_kind:     hidden_group_size_y
      - .offset:         160
        .size:           2
        .value_kind:     hidden_group_size_z
      - .offset:         162
        .size:           2
        .value_kind:     hidden_remainder_x
      - .offset:         164
        .size:           2
        .value_kind:     hidden_remainder_y
      - .offset:         166
        .size:           2
        .value_kind:     hidden_remainder_z
      - .offset:         184
        .size:           8
        .value_kind:     hidden_global_offset_x
      - .offset:         192
        .size:           8
        .value_kind:     hidden_global_offset_y
      - .offset:         200
        .size:           8
        .value_kind:     hidden_global_offset_z
      - .offset:         208
        .size:           2
        .value_kind:     hidden_grid_dims
      - .offset:         264
        .size:           4
        .value_kind:     hidden_dynamic_lds_size
    .group_segment_fixed_size: 80
    .kernarg_segment_align: 8
    .kernarg_segment_size: 400
    .language:       OpenCL C
    .language_version:
      - 2
      - 0
    .max_flat_workgroup_size: 1024
    .name:           _ZN4vllm25paged_attention_v2_kernelIthLi32ELi32ELi128ELNS_18Fp8KVCacheDataTypeE1ELb0ELi512EEEvPfS2_PT_PKS3_PKT0_S9_ifPKiSB_iPKfiiiSD_SD_iiiii
    .private_segment_fixed_size: 0
    .sgpr_count:     58
    .sgpr_spill_count: 0
    .symbol:         _ZN4vllm25paged_attention_v2_kernelIthLi32ELi32ELi128ELNS_18Fp8KVCacheDataTypeE1ELb0ELi512EEEvPfS2_PT_PKS3_PKT0_S9_ifPKiSB_iPKfiiiSD_SD_iiiii.kd
    .uniform_work_group_size: 1
    .uses_dynamic_stack: false
    .vgpr_count:     46
    .vgpr_spill_count: 0
    .wavefront_size: 64
  - .agpr_count:     0
    .args:
      - .actual_access:  write_only
        .address_space:  global
        .offset:         0
        .size:           8
        .value_kind:     global_buffer
      - .actual_access:  write_only
        .address_space:  global
        .offset:         8
        .size:           8
        .value_kind:     global_buffer
      - .actual_access:  write_only
        .address_space:  global
        .offset:         16
        .size:           8
        .value_kind:     global_buffer
      - .actual_access:  read_only
        .address_space:  global
        .offset:         24
        .size:           8
        .value_kind:     global_buffer
      - .actual_access:  read_only
        .address_space:  global
        .offset:         32
        .size:           8
        .value_kind:     global_buffer
      - .actual_access:  read_only
        .address_space:  global
        .offset:         40
        .size:           8
        .value_kind:     global_buffer
      - .offset:         48
        .size:           4
        .value_kind:     by_value
      - .offset:         52
        .size:           4
        .value_kind:     by_value
      - .actual_access:  read_only
        .address_space:  global
        .offset:         56
        .size:           8
        .value_kind:     global_buffer
      - .actual_access:  read_only
        .address_space:  global
        .offset:         64
        .size:           8
        .value_kind:     global_buffer
      - .offset:         72
        .size:           4
        .value_kind:     by_value
      - .actual_access:  read_only
        .address_space:  global
        .offset:         80
        .size:           8
        .value_kind:     global_buffer
      - .offset:         88
        .size:           4
        .value_kind:     by_value
      - .offset:         92
        .size:           4
        .value_kind:     by_value
      - .offset:         96
        .size:           4
        .value_kind:     by_value
      - .address_space:  global
        .offset:         104
        .size:           8
        .value_kind:     global_buffer
      - .address_space:  global
        .offset:         112
        .size:           8
        .value_kind:     global_buffer
      - .offset:         120
        .size:           4
        .value_kind:     by_value
      - .offset:         124
        .size:           4
        .value_kind:     by_value
      - .offset:         128
        .size:           4
        .value_kind:     by_value
      - .offset:         132
        .size:           4
        .value_kind:     by_value
      - .offset:         136
        .size:           4
        .value_kind:     by_value
      - .offset:         144
        .size:           4
        .value_kind:     hidden_block_count_x
      - .offset:         148
        .size:           4
        .value_kind:     hidden_block_count_y
      - .offset:         152
        .size:           4
        .value_kind:     hidden_block_count_z
      - .offset:         156
        .size:           2
        .value_kind:     hidden_group_size_x
      - .offset:         158
        .size:           2
        .value_kind:     hidden_group_size_y
      - .offset:         160
        .size:           2
        .value_kind:     hidden_group_size_z
      - .offset:         162
        .size:           2
        .value_kind:     hidden_remainder_x
      - .offset:         164
        .size:           2
        .value_kind:     hidden_remainder_y
      - .offset:         166
        .size:           2
        .value_kind:     hidden_remainder_z
      - .offset:         184
        .size:           8
        .value_kind:     hidden_global_offset_x
      - .offset:         192
        .size:           8
        .value_kind:     hidden_global_offset_y
      - .offset:         200
        .size:           8
        .value_kind:     hidden_global_offset_z
      - .offset:         208
        .size:           2
        .value_kind:     hidden_grid_dims
      - .offset:         264
        .size:           4
        .value_kind:     hidden_dynamic_lds_size
    .group_segment_fixed_size: 144
    .kernarg_segment_align: 8
    .kernarg_segment_size: 400
    .language:       OpenCL C
    .language_version:
      - 2
      - 0
    .max_flat_workgroup_size: 1024
    .name:           _ZN4vllm25paged_attention_v2_kernelIthLi64ELi32ELi128ELNS_18Fp8KVCacheDataTypeE1ELb0ELi512EEEvPfS2_PT_PKS3_PKT0_S9_ifPKiSB_iPKfiiiSD_SD_iiiii
    .private_segment_fixed_size: 0
    .sgpr_count:     58
    .sgpr_spill_count: 0
    .symbol:         _ZN4vllm25paged_attention_v2_kernelIthLi64ELi32ELi128ELNS_18Fp8KVCacheDataTypeE1ELb0ELi512EEEvPfS2_PT_PKS3_PKT0_S9_ifPKiSB_iPKfiiiSD_SD_iiiii.kd
    .uniform_work_group_size: 1
    .uses_dynamic_stack: false
    .vgpr_count:     59
    .vgpr_spill_count: 0
    .wavefront_size: 64
  - .agpr_count:     0
    .args:
      - .actual_access:  write_only
        .address_space:  global
        .offset:         0
        .size:           8
        .value_kind:     global_buffer
      - .actual_access:  write_only
        .address_space:  global
        .offset:         8
        .size:           8
        .value_kind:     global_buffer
      - .actual_access:  write_only
        .address_space:  global
        .offset:         16
        .size:           8
        .value_kind:     global_buffer
      - .actual_access:  read_only
        .address_space:  global
        .offset:         24
        .size:           8
        .value_kind:     global_buffer
      - .actual_access:  read_only
        .address_space:  global
        .offset:         32
        .size:           8
        .value_kind:     global_buffer
      - .actual_access:  read_only
        .address_space:  global
        .offset:         40
        .size:           8
        .value_kind:     global_buffer
      - .offset:         48
        .size:           4
        .value_kind:     by_value
      - .offset:         52
        .size:           4
        .value_kind:     by_value
      - .actual_access:  read_only
        .address_space:  global
        .offset:         56
        .size:           8
        .value_kind:     global_buffer
      - .actual_access:  read_only
        .address_space:  global
        .offset:         64
        .size:           8
        .value_kind:     global_buffer
      - .offset:         72
        .size:           4
        .value_kind:     by_value
      - .actual_access:  read_only
        .address_space:  global
        .offset:         80
        .size:           8
        .value_kind:     global_buffer
      - .offset:         88
        .size:           4
        .value_kind:     by_value
      - .offset:         92
        .size:           4
        .value_kind:     by_value
      - .offset:         96
        .size:           4
        .value_kind:     by_value
      - .address_space:  global
        .offset:         104
        .size:           8
        .value_kind:     global_buffer
      - .address_space:  global
        .offset:         112
        .size:           8
        .value_kind:     global_buffer
      - .offset:         120
        .size:           4
        .value_kind:     by_value
      - .offset:         124
        .size:           4
        .value_kind:     by_value
      - .offset:         128
        .size:           4
        .value_kind:     by_value
      - .offset:         132
        .size:           4
        .value_kind:     by_value
      - .offset:         136
        .size:           4
        .value_kind:     by_value
      - .offset:         144
        .size:           4
        .value_kind:     hidden_block_count_x
      - .offset:         148
        .size:           4
        .value_kind:     hidden_block_count_y
      - .offset:         152
        .size:           4
        .value_kind:     hidden_block_count_z
      - .offset:         156
        .size:           2
        .value_kind:     hidden_group_size_x
      - .offset:         158
        .size:           2
        .value_kind:     hidden_group_size_y
      - .offset:         160
        .size:           2
        .value_kind:     hidden_group_size_z
      - .offset:         162
        .size:           2
        .value_kind:     hidden_remainder_x
      - .offset:         164
        .size:           2
        .value_kind:     hidden_remainder_y
      - .offset:         166
        .size:           2
        .value_kind:     hidden_remainder_z
      - .offset:         184
        .size:           8
        .value_kind:     hidden_global_offset_x
      - .offset:         192
        .size:           8
        .value_kind:     hidden_global_offset_y
      - .offset:         200
        .size:           8
        .value_kind:     hidden_global_offset_z
      - .offset:         208
        .size:           2
        .value_kind:     hidden_grid_dims
      - .offset:         264
        .size:           4
        .value_kind:     hidden_dynamic_lds_size
    .group_segment_fixed_size: 176
    .kernarg_segment_align: 8
    .kernarg_segment_size: 400
    .language:       OpenCL C
    .language_version:
      - 2
      - 0
    .max_flat_workgroup_size: 1024
    .name:           _ZN4vllm25paged_attention_v2_kernelIthLi80ELi32ELi128ELNS_18Fp8KVCacheDataTypeE1ELb0ELi512EEEvPfS2_PT_PKS3_PKT0_S9_ifPKiSB_iPKfiiiSD_SD_iiiii
    .private_segment_fixed_size: 0
    .sgpr_count:     58
    .sgpr_spill_count: 0
    .symbol:         _ZN4vllm25paged_attention_v2_kernelIthLi80ELi32ELi128ELNS_18Fp8KVCacheDataTypeE1ELb0ELi512EEEvPfS2_PT_PKS3_PKT0_S9_ifPKiSB_iPKfiiiSD_SD_iiiii.kd
    .uniform_work_group_size: 1
    .uses_dynamic_stack: false
    .vgpr_count:     66
    .vgpr_spill_count: 0
    .wavefront_size: 64
  - .agpr_count:     38
    .args:
      - .actual_access:  write_only
        .address_space:  global
        .offset:         0
        .size:           8
        .value_kind:     global_buffer
      - .actual_access:  write_only
        .address_space:  global
        .offset:         8
        .size:           8
        .value_kind:     global_buffer
      - .actual_access:  write_only
        .address_space:  global
        .offset:         16
        .size:           8
        .value_kind:     global_buffer
      - .actual_access:  read_only
        .address_space:  global
        .offset:         24
        .size:           8
        .value_kind:     global_buffer
      - .actual_access:  read_only
        .address_space:  global
        .offset:         32
        .size:           8
        .value_kind:     global_buffer
      - .actual_access:  read_only
        .address_space:  global
        .offset:         40
        .size:           8
        .value_kind:     global_buffer
      - .offset:         48
        .size:           4
        .value_kind:     by_value
      - .offset:         52
        .size:           4
        .value_kind:     by_value
      - .actual_access:  read_only
        .address_space:  global
        .offset:         56
        .size:           8
        .value_kind:     global_buffer
      - .actual_access:  read_only
        .address_space:  global
        .offset:         64
        .size:           8
        .value_kind:     global_buffer
      - .offset:         72
        .size:           4
        .value_kind:     by_value
      - .address_space:  global
        .offset:         80
        .size:           8
        .value_kind:     global_buffer
      - .offset:         88
        .size:           4
        .value_kind:     by_value
      - .offset:         92
        .size:           4
        .value_kind:     by_value
      - .offset:         96
        .size:           4
        .value_kind:     by_value
      - .address_space:  global
        .offset:         104
        .size:           8
        .value_kind:     global_buffer
      - .address_space:  global
        .offset:         112
        .size:           8
        .value_kind:     global_buffer
      - .offset:         120
        .size:           4
        .value_kind:     by_value
      - .offset:         124
        .size:           4
        .value_kind:     by_value
      - .offset:         128
        .size:           4
        .value_kind:     by_value
      - .offset:         132
        .size:           4
        .value_kind:     by_value
      - .offset:         136
        .size:           4
        .value_kind:     by_value
      - .offset:         144
        .size:           4
        .value_kind:     hidden_block_count_x
      - .offset:         148
        .size:           4
        .value_kind:     hidden_block_count_y
      - .offset:         152
        .size:           4
        .value_kind:     hidden_block_count_z
      - .offset:         156
        .size:           2
        .value_kind:     hidden_group_size_x
      - .offset:         158
        .size:           2
        .value_kind:     hidden_group_size_y
      - .offset:         160
        .size:           2
        .value_kind:     hidden_group_size_z
      - .offset:         162
        .size:           2
        .value_kind:     hidden_remainder_x
      - .offset:         164
        .size:           2
        .value_kind:     hidden_remainder_y
      - .offset:         166
        .size:           2
        .value_kind:     hidden_remainder_z
      - .offset:         184
        .size:           8
        .value_kind:     hidden_global_offset_x
      - .offset:         192
        .size:           8
        .value_kind:     hidden_global_offset_y
      - .offset:         200
        .size:           8
        .value_kind:     hidden_global_offset_z
      - .offset:         208
        .size:           2
        .value_kind:     hidden_grid_dims
      - .offset:         264
        .size:           4
        .value_kind:     hidden_dynamic_lds_size
    .group_segment_fixed_size: 208
    .kernarg_segment_align: 8
    .kernarg_segment_size: 400
    .language:       OpenCL C
    .language_version:
      - 2
      - 0
    .max_flat_workgroup_size: 1024
    .name:           _ZN4vllm25paged_attention_v2_kernelIthLi96ELi32ELi128ELNS_18Fp8KVCacheDataTypeE1ELb0ELi512EEEvPfS2_PT_PKS3_PKT0_S9_ifPKiSB_iPKfiiiSD_SD_iiiii
    .private_segment_fixed_size: 100
    .sgpr_count:     50
    .sgpr_spill_count: 0
    .symbol:         _ZN4vllm25paged_attention_v2_kernelIthLi96ELi32ELi128ELNS_18Fp8KVCacheDataTypeE1ELb0ELi512EEEvPfS2_PT_PKS3_PKT0_S9_ifPKiSB_iPKfiiiSD_SD_iiiii.kd
    .uniform_work_group_size: 1
    .uses_dynamic_stack: false
    .vgpr_count:     102
    .vgpr_spill_count: 0
    .wavefront_size: 64
  - .agpr_count:     48
    .args:
      - .actual_access:  write_only
        .address_space:  global
        .offset:         0
        .size:           8
        .value_kind:     global_buffer
      - .actual_access:  write_only
        .address_space:  global
        .offset:         8
        .size:           8
        .value_kind:     global_buffer
      - .actual_access:  write_only
        .address_space:  global
        .offset:         16
        .size:           8
        .value_kind:     global_buffer
      - .actual_access:  read_only
        .address_space:  global
        .offset:         24
        .size:           8
        .value_kind:     global_buffer
      - .actual_access:  read_only
        .address_space:  global
        .offset:         32
        .size:           8
        .value_kind:     global_buffer
      - .actual_access:  read_only
        .address_space:  global
        .offset:         40
        .size:           8
        .value_kind:     global_buffer
      - .offset:         48
        .size:           4
        .value_kind:     by_value
      - .offset:         52
        .size:           4
        .value_kind:     by_value
      - .actual_access:  read_only
        .address_space:  global
        .offset:         56
        .size:           8
        .value_kind:     global_buffer
      - .actual_access:  read_only
        .address_space:  global
        .offset:         64
        .size:           8
        .value_kind:     global_buffer
      - .offset:         72
        .size:           4
        .value_kind:     by_value
      - .address_space:  global
        .offset:         80
        .size:           8
        .value_kind:     global_buffer
      - .offset:         88
        .size:           4
        .value_kind:     by_value
      - .offset:         92
        .size:           4
        .value_kind:     by_value
      - .offset:         96
        .size:           4
        .value_kind:     by_value
      - .address_space:  global
        .offset:         104
        .size:           8
        .value_kind:     global_buffer
      - .address_space:  global
        .offset:         112
        .size:           8
        .value_kind:     global_buffer
      - .offset:         120
        .size:           4
        .value_kind:     by_value
      - .offset:         124
        .size:           4
        .value_kind:     by_value
      - .offset:         128
        .size:           4
        .value_kind:     by_value
      - .offset:         132
        .size:           4
        .value_kind:     by_value
      - .offset:         136
        .size:           4
        .value_kind:     by_value
      - .offset:         144
        .size:           4
        .value_kind:     hidden_block_count_x
      - .offset:         148
        .size:           4
        .value_kind:     hidden_block_count_y
      - .offset:         152
        .size:           4
        .value_kind:     hidden_block_count_z
      - .offset:         156
        .size:           2
        .value_kind:     hidden_group_size_x
      - .offset:         158
        .size:           2
        .value_kind:     hidden_group_size_y
      - .offset:         160
        .size:           2
        .value_kind:     hidden_group_size_z
      - .offset:         162
        .size:           2
        .value_kind:     hidden_remainder_x
      - .offset:         164
        .size:           2
        .value_kind:     hidden_remainder_y
      - .offset:         166
        .size:           2
        .value_kind:     hidden_remainder_z
      - .offset:         184
        .size:           8
        .value_kind:     hidden_global_offset_x
      - .offset:         192
        .size:           8
        .value_kind:     hidden_global_offset_y
      - .offset:         200
        .size:           8
        .value_kind:     hidden_global_offset_z
      - .offset:         208
        .size:           2
        .value_kind:     hidden_grid_dims
      - .offset:         264
        .size:           4
        .value_kind:     hidden_dynamic_lds_size
    .group_segment_fixed_size: 240
    .kernarg_segment_align: 8
    .kernarg_segment_size: 400
    .language:       OpenCL C
    .language_version:
      - 2
      - 0
    .max_flat_workgroup_size: 1024
    .name:           _ZN4vllm25paged_attention_v2_kernelIthLi112ELi32ELi128ELNS_18Fp8KVCacheDataTypeE1ELb0ELi512EEEvPfS2_PT_PKS3_PKT0_S9_ifPKiSB_iPKfiiiSD_SD_iiiii
    .private_segment_fixed_size: 144
    .sgpr_count:     50
    .sgpr_spill_count: 0
    .symbol:         _ZN4vllm25paged_attention_v2_kernelIthLi112ELi32ELi128ELNS_18Fp8KVCacheDataTypeE1ELb0ELi512EEEvPfS2_PT_PKS3_PKT0_S9_ifPKiSB_iPKfiiiSD_SD_iiiii.kd
    .uniform_work_group_size: 1
    .uses_dynamic_stack: false
    .vgpr_count:     112
    .vgpr_spill_count: 0
    .wavefront_size: 64
  - .agpr_count:     45
    .args:
      - .actual_access:  write_only
        .address_space:  global
        .offset:         0
        .size:           8
        .value_kind:     global_buffer
      - .actual_access:  write_only
        .address_space:  global
        .offset:         8
        .size:           8
        .value_kind:     global_buffer
      - .actual_access:  write_only
        .address_space:  global
        .offset:         16
        .size:           8
        .value_kind:     global_buffer
      - .actual_access:  read_only
        .address_space:  global
        .offset:         24
        .size:           8
        .value_kind:     global_buffer
      - .actual_access:  read_only
        .address_space:  global
        .offset:         32
        .size:           8
        .value_kind:     global_buffer
      - .actual_access:  read_only
        .address_space:  global
        .offset:         40
        .size:           8
        .value_kind:     global_buffer
      - .offset:         48
        .size:           4
        .value_kind:     by_value
      - .offset:         52
        .size:           4
        .value_kind:     by_value
      - .actual_access:  read_only
        .address_space:  global
        .offset:         56
        .size:           8
        .value_kind:     global_buffer
      - .actual_access:  read_only
        .address_space:  global
        .offset:         64
        .size:           8
        .value_kind:     global_buffer
      - .offset:         72
        .size:           4
        .value_kind:     by_value
      - .address_space:  global
        .offset:         80
        .size:           8
        .value_kind:     global_buffer
      - .offset:         88
        .size:           4
        .value_kind:     by_value
      - .offset:         92
        .size:           4
        .value_kind:     by_value
      - .offset:         96
        .size:           4
        .value_kind:     by_value
      - .address_space:  global
        .offset:         104
        .size:           8
        .value_kind:     global_buffer
      - .address_space:  global
        .offset:         112
        .size:           8
        .value_kind:     global_buffer
      - .offset:         120
        .size:           4
        .value_kind:     by_value
      - .offset:         124
        .size:           4
        .value_kind:     by_value
      - .offset:         128
        .size:           4
        .value_kind:     by_value
      - .offset:         132
        .size:           4
        .value_kind:     by_value
      - .offset:         136
        .size:           4
        .value_kind:     by_value
      - .offset:         144
        .size:           4
        .value_kind:     hidden_block_count_x
      - .offset:         148
        .size:           4
        .value_kind:     hidden_block_count_y
      - .offset:         152
        .size:           4
        .value_kind:     hidden_block_count_z
      - .offset:         156
        .size:           2
        .value_kind:     hidden_group_size_x
      - .offset:         158
        .size:           2
        .value_kind:     hidden_group_size_y
      - .offset:         160
        .size:           2
        .value_kind:     hidden_group_size_z
      - .offset:         162
        .size:           2
        .value_kind:     hidden_remainder_x
      - .offset:         164
        .size:           2
        .value_kind:     hidden_remainder_y
      - .offset:         166
        .size:           2
        .value_kind:     hidden_remainder_z
      - .offset:         184
        .size:           8
        .value_kind:     hidden_global_offset_x
      - .offset:         192
        .size:           8
        .value_kind:     hidden_global_offset_y
      - .offset:         200
        .size:           8
        .value_kind:     hidden_global_offset_z
      - .offset:         208
        .size:           2
        .value_kind:     hidden_grid_dims
      - .offset:         264
        .size:           4
        .value_kind:     hidden_dynamic_lds_size
    .group_segment_fixed_size: 256
    .kernarg_segment_align: 8
    .kernarg_segment_size: 400
    .language:       OpenCL C
    .language_version:
      - 2
      - 0
    .max_flat_workgroup_size: 1024
    .name:           _ZN4vllm25paged_attention_v2_kernelIthLi120ELi32ELi128ELNS_18Fp8KVCacheDataTypeE1ELb0ELi512EEEvPfS2_PT_PKS3_PKT0_S9_ifPKiSB_iPKfiiiSD_SD_iiiii
    .private_segment_fixed_size: 148
    .sgpr_count:     50
    .sgpr_spill_count: 0
    .symbol:         _ZN4vllm25paged_attention_v2_kernelIthLi120ELi32ELi128ELNS_18Fp8KVCacheDataTypeE1ELb0ELi512EEEvPfS2_PT_PKS3_PKT0_S9_ifPKiSB_iPKfiiiSD_SD_iiiii.kd
    .uniform_work_group_size: 1
    .uses_dynamic_stack: false
    .vgpr_count:     109
    .vgpr_spill_count: 0
    .wavefront_size: 64
  - .agpr_count:     51
    .args:
      - .actual_access:  write_only
        .address_space:  global
        .offset:         0
        .size:           8
        .value_kind:     global_buffer
      - .actual_access:  write_only
        .address_space:  global
        .offset:         8
        .size:           8
        .value_kind:     global_buffer
      - .actual_access:  write_only
        .address_space:  global
        .offset:         16
        .size:           8
        .value_kind:     global_buffer
      - .actual_access:  read_only
        .address_space:  global
        .offset:         24
        .size:           8
        .value_kind:     global_buffer
      - .actual_access:  read_only
        .address_space:  global
        .offset:         32
        .size:           8
        .value_kind:     global_buffer
      - .actual_access:  read_only
        .address_space:  global
        .offset:         40
        .size:           8
        .value_kind:     global_buffer
      - .offset:         48
        .size:           4
        .value_kind:     by_value
      - .offset:         52
        .size:           4
        .value_kind:     by_value
      - .actual_access:  read_only
        .address_space:  global
        .offset:         56
        .size:           8
        .value_kind:     global_buffer
      - .actual_access:  read_only
        .address_space:  global
        .offset:         64
        .size:           8
        .value_kind:     global_buffer
      - .offset:         72
        .size:           4
        .value_kind:     by_value
      - .address_space:  global
        .offset:         80
        .size:           8
        .value_kind:     global_buffer
      - .offset:         88
        .size:           4
        .value_kind:     by_value
      - .offset:         92
        .size:           4
        .value_kind:     by_value
      - .offset:         96
        .size:           4
        .value_kind:     by_value
      - .address_space:  global
        .offset:         104
        .size:           8
        .value_kind:     global_buffer
      - .address_space:  global
        .offset:         112
        .size:           8
        .value_kind:     global_buffer
      - .offset:         120
        .size:           4
        .value_kind:     by_value
      - .offset:         124
        .size:           4
        .value_kind:     by_value
      - .offset:         128
        .size:           4
        .value_kind:     by_value
      - .offset:         132
        .size:           4
        .value_kind:     by_value
      - .offset:         136
        .size:           4
        .value_kind:     by_value
      - .offset:         144
        .size:           4
        .value_kind:     hidden_block_count_x
      - .offset:         148
        .size:           4
        .value_kind:     hidden_block_count_y
      - .offset:         152
        .size:           4
        .value_kind:     hidden_block_count_z
      - .offset:         156
        .size:           2
        .value_kind:     hidden_group_size_x
      - .offset:         158
        .size:           2
        .value_kind:     hidden_group_size_y
      - .offset:         160
        .size:           2
        .value_kind:     hidden_group_size_z
      - .offset:         162
        .size:           2
        .value_kind:     hidden_remainder_x
      - .offset:         164
        .size:           2
        .value_kind:     hidden_remainder_y
      - .offset:         166
        .size:           2
        .value_kind:     hidden_remainder_z
      - .offset:         184
        .size:           8
        .value_kind:     hidden_global_offset_x
      - .offset:         192
        .size:           8
        .value_kind:     hidden_global_offset_y
      - .offset:         200
        .size:           8
        .value_kind:     hidden_global_offset_z
      - .offset:         208
        .size:           2
        .value_kind:     hidden_grid_dims
      - .offset:         264
        .size:           4
        .value_kind:     hidden_dynamic_lds_size
    .group_segment_fixed_size: 272
    .kernarg_segment_align: 8
    .kernarg_segment_size: 400
    .language:       OpenCL C
    .language_version:
      - 2
      - 0
    .max_flat_workgroup_size: 1024
    .name:           _ZN4vllm25paged_attention_v2_kernelIthLi128ELi32ELi128ELNS_18Fp8KVCacheDataTypeE1ELb0ELi512EEEvPfS2_PT_PKS3_PKT0_S9_ifPKiSB_iPKfiiiSD_SD_iiiii
    .private_segment_fixed_size: 164
    .sgpr_count:     50
    .sgpr_spill_count: 0
    .symbol:         _ZN4vllm25paged_attention_v2_kernelIthLi128ELi32ELi128ELNS_18Fp8KVCacheDataTypeE1ELb0ELi512EEEvPfS2_PT_PKS3_PKT0_S9_ifPKiSB_iPKfiiiSD_SD_iiiii.kd
    .uniform_work_group_size: 1
    .uses_dynamic_stack: false
    .vgpr_count:     115
    .vgpr_spill_count: 0
    .wavefront_size: 64
  - .agpr_count:     64
    .args:
      - .actual_access:  write_only
        .address_space:  global
        .offset:         0
        .size:           8
        .value_kind:     global_buffer
      - .actual_access:  write_only
        .address_space:  global
        .offset:         8
        .size:           8
        .value_kind:     global_buffer
      - .actual_access:  write_only
        .address_space:  global
        .offset:         16
        .size:           8
        .value_kind:     global_buffer
      - .actual_access:  read_only
        .address_space:  global
        .offset:         24
        .size:           8
        .value_kind:     global_buffer
      - .actual_access:  read_only
        .address_space:  global
        .offset:         32
        .size:           8
        .value_kind:     global_buffer
      - .actual_access:  read_only
        .address_space:  global
        .offset:         40
        .size:           8
        .value_kind:     global_buffer
      - .offset:         48
        .size:           4
        .value_kind:     by_value
      - .offset:         52
        .size:           4
        .value_kind:     by_value
      - .actual_access:  read_only
        .address_space:  global
        .offset:         56
        .size:           8
        .value_kind:     global_buffer
      - .actual_access:  read_only
        .address_space:  global
        .offset:         64
        .size:           8
        .value_kind:     global_buffer
      - .offset:         72
        .size:           4
        .value_kind:     by_value
      - .address_space:  global
        .offset:         80
        .size:           8
        .value_kind:     global_buffer
      - .offset:         88
        .size:           4
        .value_kind:     by_value
      - .offset:         92
        .size:           4
        .value_kind:     by_value
      - .offset:         96
        .size:           4
        .value_kind:     by_value
      - .address_space:  global
        .offset:         104
        .size:           8
        .value_kind:     global_buffer
      - .address_space:  global
        .offset:         112
        .size:           8
        .value_kind:     global_buffer
      - .offset:         120
        .size:           4
        .value_kind:     by_value
      - .offset:         124
        .size:           4
        .value_kind:     by_value
      - .offset:         128
        .size:           4
        .value_kind:     by_value
      - .offset:         132
        .size:           4
        .value_kind:     by_value
      - .offset:         136
        .size:           4
        .value_kind:     by_value
      - .offset:         144
        .size:           4
        .value_kind:     hidden_block_count_x
      - .offset:         148
        .size:           4
        .value_kind:     hidden_block_count_y
      - .offset:         152
        .size:           4
        .value_kind:     hidden_block_count_z
      - .offset:         156
        .size:           2
        .value_kind:     hidden_group_size_x
      - .offset:         158
        .size:           2
        .value_kind:     hidden_group_size_y
      - .offset:         160
        .size:           2
        .value_kind:     hidden_group_size_z
      - .offset:         162
        .size:           2
        .value_kind:     hidden_remainder_x
      - .offset:         164
        .size:           2
        .value_kind:     hidden_remainder_y
      - .offset:         166
        .size:           2
        .value_kind:     hidden_remainder_z
      - .offset:         184
        .size:           8
        .value_kind:     hidden_global_offset_x
      - .offset:         192
        .size:           8
        .value_kind:     hidden_global_offset_y
      - .offset:         200
        .size:           8
        .value_kind:     hidden_global_offset_z
      - .offset:         208
        .size:           2
        .value_kind:     hidden_grid_dims
      - .offset:         264
        .size:           4
        .value_kind:     hidden_dynamic_lds_size
    .group_segment_fixed_size: 400
    .kernarg_segment_align: 8
    .kernarg_segment_size: 400
    .language:       OpenCL C
    .language_version:
      - 2
      - 0
    .max_flat_workgroup_size: 1024
    .name:           _ZN4vllm25paged_attention_v2_kernelIthLi192ELi32ELi128ELNS_18Fp8KVCacheDataTypeE1ELb0ELi512EEEvPfS2_PT_PKS3_PKT0_S9_ifPKiSB_iPKfiiiSD_SD_iiiii
    .private_segment_fixed_size: 428
    .sgpr_count:     50
    .sgpr_spill_count: 0
    .symbol:         _ZN4vllm25paged_attention_v2_kernelIthLi192ELi32ELi128ELNS_18Fp8KVCacheDataTypeE1ELb0ELi512EEEvPfS2_PT_PKS3_PKT0_S9_ifPKiSB_iPKfiiiSD_SD_iiiii.kd
    .uniform_work_group_size: 1
    .uses_dynamic_stack: false
    .vgpr_count:     128
    .vgpr_spill_count: 0
    .wavefront_size: 64
  - .agpr_count:     64
    .args:
      - .actual_access:  write_only
        .address_space:  global
        .offset:         0
        .size:           8
        .value_kind:     global_buffer
      - .actual_access:  write_only
        .address_space:  global
        .offset:         8
        .size:           8
        .value_kind:     global_buffer
      - .actual_access:  write_only
        .address_space:  global
        .offset:         16
        .size:           8
        .value_kind:     global_buffer
      - .actual_access:  read_only
        .address_space:  global
        .offset:         24
        .size:           8
        .value_kind:     global_buffer
      - .actual_access:  read_only
        .address_space:  global
        .offset:         32
        .size:           8
        .value_kind:     global_buffer
      - .actual_access:  read_only
        .address_space:  global
        .offset:         40
        .size:           8
        .value_kind:     global_buffer
      - .offset:         48
        .size:           4
        .value_kind:     by_value
      - .offset:         52
        .size:           4
        .value_kind:     by_value
      - .actual_access:  read_only
        .address_space:  global
        .offset:         56
        .size:           8
        .value_kind:     global_buffer
      - .actual_access:  read_only
        .address_space:  global
        .offset:         64
        .size:           8
        .value_kind:     global_buffer
      - .offset:         72
        .size:           4
        .value_kind:     by_value
      - .address_space:  global
        .offset:         80
        .size:           8
        .value_kind:     global_buffer
      - .offset:         88
        .size:           4
        .value_kind:     by_value
      - .offset:         92
        .size:           4
        .value_kind:     by_value
      - .offset:         96
        .size:           4
        .value_kind:     by_value
      - .address_space:  global
        .offset:         104
        .size:           8
        .value_kind:     global_buffer
      - .address_space:  global
        .offset:         112
        .size:           8
        .value_kind:     global_buffer
      - .offset:         120
        .size:           4
        .value_kind:     by_value
      - .offset:         124
        .size:           4
        .value_kind:     by_value
      - .offset:         128
        .size:           4
        .value_kind:     by_value
      - .offset:         132
        .size:           4
        .value_kind:     by_value
      - .offset:         136
        .size:           4
        .value_kind:     by_value
      - .offset:         144
        .size:           4
        .value_kind:     hidden_block_count_x
      - .offset:         148
        .size:           4
        .value_kind:     hidden_block_count_y
      - .offset:         152
        .size:           4
        .value_kind:     hidden_block_count_z
      - .offset:         156
        .size:           2
        .value_kind:     hidden_group_size_x
      - .offset:         158
        .size:           2
        .value_kind:     hidden_group_size_y
      - .offset:         160
        .size:           2
        .value_kind:     hidden_group_size_z
      - .offset:         162
        .size:           2
        .value_kind:     hidden_remainder_x
      - .offset:         164
        .size:           2
        .value_kind:     hidden_remainder_y
      - .offset:         166
        .size:           2
        .value_kind:     hidden_remainder_z
      - .offset:         184
        .size:           8
        .value_kind:     hidden_global_offset_x
      - .offset:         192
        .size:           8
        .value_kind:     hidden_global_offset_y
      - .offset:         200
        .size:           8
        .value_kind:     hidden_global_offset_z
      - .offset:         208
        .size:           2
        .value_kind:     hidden_grid_dims
      - .offset:         264
        .size:           4
        .value_kind:     hidden_dynamic_lds_size
    .group_segment_fixed_size: 528
    .kernarg_segment_align: 8
    .kernarg_segment_size: 400
    .language:       OpenCL C
    .language_version:
      - 2
      - 0
    .max_flat_workgroup_size: 1024
    .name:           _ZN4vllm25paged_attention_v2_kernelIthLi256ELi32ELi128ELNS_18Fp8KVCacheDataTypeE1ELb0ELi512EEEvPfS2_PT_PKS3_PKT0_S9_ifPKiSB_iPKfiiiSD_SD_iiiii
    .private_segment_fixed_size: 700
    .sgpr_count:     50
    .sgpr_spill_count: 0
    .symbol:         _ZN4vllm25paged_attention_v2_kernelIthLi256ELi32ELi128ELNS_18Fp8KVCacheDataTypeE1ELb0ELi512EEEvPfS2_PT_PKS3_PKT0_S9_ifPKiSB_iPKfiiiSD_SD_iiiii.kd
    .uniform_work_group_size: 1
    .uses_dynamic_stack: false
    .vgpr_count:     128
    .vgpr_spill_count: 0
    .wavefront_size: 64
  - .agpr_count:     0
    .args:
      - .actual_access:  write_only
        .address_space:  global
        .offset:         0
        .size:           8
        .value_kind:     global_buffer
      - .actual_access:  write_only
        .address_space:  global
        .offset:         8
        .size:           8
        .value_kind:     global_buffer
      - .actual_access:  write_only
        .address_space:  global
        .offset:         16
        .size:           8
        .value_kind:     global_buffer
      - .actual_access:  read_only
        .address_space:  global
        .offset:         24
        .size:           8
        .value_kind:     global_buffer
      - .actual_access:  read_only
        .address_space:  global
        .offset:         32
        .size:           8
        .value_kind:     global_buffer
      - .actual_access:  read_only
        .address_space:  global
        .offset:         40
        .size:           8
        .value_kind:     global_buffer
      - .offset:         48
        .size:           4
        .value_kind:     by_value
      - .offset:         52
        .size:           4
        .value_kind:     by_value
      - .actual_access:  read_only
        .address_space:  global
        .offset:         56
        .size:           8
        .value_kind:     global_buffer
      - .actual_access:  read_only
        .address_space:  global
        .offset:         64
        .size:           8
        .value_kind:     global_buffer
      - .offset:         72
        .size:           4
        .value_kind:     by_value
      - .actual_access:  read_only
        .address_space:  global
        .offset:         80
        .size:           8
        .value_kind:     global_buffer
      - .offset:         88
        .size:           4
        .value_kind:     by_value
      - .offset:         92
        .size:           4
        .value_kind:     by_value
      - .offset:         96
        .size:           4
        .value_kind:     by_value
      - .address_space:  global
        .offset:         104
        .size:           8
        .value_kind:     global_buffer
      - .address_space:  global
        .offset:         112
        .size:           8
        .value_kind:     global_buffer
      - .offset:         120
        .size:           4
        .value_kind:     by_value
      - .offset:         124
        .size:           4
        .value_kind:     by_value
      - .offset:         128
        .size:           4
        .value_kind:     by_value
      - .offset:         132
        .size:           4
        .value_kind:     by_value
      - .offset:         136
        .size:           4
        .value_kind:     by_value
      - .offset:         144
        .size:           4
        .value_kind:     hidden_block_count_x
      - .offset:         148
        .size:           4
        .value_kind:     hidden_block_count_y
      - .offset:         152
        .size:           4
        .value_kind:     hidden_block_count_z
      - .offset:         156
        .size:           2
        .value_kind:     hidden_group_size_x
      - .offset:         158
        .size:           2
        .value_kind:     hidden_group_size_y
      - .offset:         160
        .size:           2
        .value_kind:     hidden_group_size_z
      - .offset:         162
        .size:           2
        .value_kind:     hidden_remainder_x
      - .offset:         164
        .size:           2
        .value_kind:     hidden_remainder_y
      - .offset:         166
        .size:           2
        .value_kind:     hidden_remainder_z
      - .offset:         184
        .size:           8
        .value_kind:     hidden_global_offset_x
      - .offset:         192
        .size:           8
        .value_kind:     hidden_global_offset_y
      - .offset:         200
        .size:           8
        .value_kind:     hidden_global_offset_z
      - .offset:         208
        .size:           2
        .value_kind:     hidden_grid_dims
      - .offset:         264
        .size:           4
        .value_kind:     hidden_dynamic_lds_size
    .group_segment_fixed_size: 80
    .kernarg_segment_align: 8
    .kernarg_segment_size: 400
    .language:       OpenCL C
    .language_version:
      - 2
      - 0
    .max_flat_workgroup_size: 1024
    .name:           _ZN4vllm25paged_attention_v2_kernelI14__hip_bfloat16hLi32ELi8ELi128ELNS_18Fp8KVCacheDataTypeE1ELb1ELi512EEEvPfS3_PT_PKS4_PKT0_SA_ifPKiSC_iPKfiiiSE_SE_iiiii
    .private_segment_fixed_size: 0
    .sgpr_count:     69
    .sgpr_spill_count: 0
    .symbol:         _ZN4vllm25paged_attention_v2_kernelI14__hip_bfloat16hLi32ELi8ELi128ELNS_18Fp8KVCacheDataTypeE1ELb1ELi512EEEvPfS3_PT_PKS4_PKT0_SA_ifPKiSC_iPKfiiiSE_SE_iiiii.kd
    .uniform_work_group_size: 1
    .uses_dynamic_stack: false
    .vgpr_count:     37
    .vgpr_spill_count: 0
    .wavefront_size: 64
  - .agpr_count:     0
    .args:
      - .actual_access:  write_only
        .address_space:  global
        .offset:         0
        .size:           8
        .value_kind:     global_buffer
      - .actual_access:  write_only
        .address_space:  global
        .offset:         8
        .size:           8
        .value_kind:     global_buffer
      - .actual_access:  write_only
        .address_space:  global
        .offset:         16
        .size:           8
        .value_kind:     global_buffer
      - .actual_access:  read_only
        .address_space:  global
        .offset:         24
        .size:           8
        .value_kind:     global_buffer
      - .actual_access:  read_only
        .address_space:  global
        .offset:         32
        .size:           8
        .value_kind:     global_buffer
      - .actual_access:  read_only
        .address_space:  global
        .offset:         40
        .size:           8
        .value_kind:     global_buffer
      - .offset:         48
        .size:           4
        .value_kind:     by_value
      - .offset:         52
        .size:           4
        .value_kind:     by_value
      - .actual_access:  read_only
        .address_space:  global
        .offset:         56
        .size:           8
        .value_kind:     global_buffer
      - .actual_access:  read_only
        .address_space:  global
        .offset:         64
        .size:           8
        .value_kind:     global_buffer
      - .offset:         72
        .size:           4
        .value_kind:     by_value
      - .actual_access:  read_only
        .address_space:  global
        .offset:         80
        .size:           8
        .value_kind:     global_buffer
      - .offset:         88
        .size:           4
        .value_kind:     by_value
      - .offset:         92
        .size:           4
        .value_kind:     by_value
      - .offset:         96
        .size:           4
        .value_kind:     by_value
      - .address_space:  global
        .offset:         104
        .size:           8
        .value_kind:     global_buffer
      - .address_space:  global
        .offset:         112
        .size:           8
        .value_kind:     global_buffer
      - .offset:         120
        .size:           4
        .value_kind:     by_value
      - .offset:         124
        .size:           4
        .value_kind:     by_value
      - .offset:         128
        .size:           4
        .value_kind:     by_value
      - .offset:         132
        .size:           4
        .value_kind:     by_value
      - .offset:         136
        .size:           4
        .value_kind:     by_value
      - .offset:         144
        .size:           4
        .value_kind:     hidden_block_count_x
      - .offset:         148
        .size:           4
        .value_kind:     hidden_block_count_y
      - .offset:         152
        .size:           4
        .value_kind:     hidden_block_count_z
      - .offset:         156
        .size:           2
        .value_kind:     hidden_group_size_x
      - .offset:         158
        .size:           2
        .value_kind:     hidden_group_size_y
      - .offset:         160
        .size:           2
        .value_kind:     hidden_group_size_z
      - .offset:         162
        .size:           2
        .value_kind:     hidden_remainder_x
      - .offset:         164
        .size:           2
        .value_kind:     hidden_remainder_y
      - .offset:         166
        .size:           2
        .value_kind:     hidden_remainder_z
      - .offset:         184
        .size:           8
        .value_kind:     hidden_global_offset_x
      - .offset:         192
        .size:           8
        .value_kind:     hidden_global_offset_y
      - .offset:         200
        .size:           8
        .value_kind:     hidden_global_offset_z
      - .offset:         208
        .size:           2
        .value_kind:     hidden_grid_dims
      - .offset:         264
        .size:           4
        .value_kind:     hidden_dynamic_lds_size
    .group_segment_fixed_size: 144
    .kernarg_segment_align: 8
    .kernarg_segment_size: 400
    .language:       OpenCL C
    .language_version:
      - 2
      - 0
    .max_flat_workgroup_size: 1024
    .name:           _ZN4vllm25paged_attention_v2_kernelI14__hip_bfloat16hLi64ELi8ELi128ELNS_18Fp8KVCacheDataTypeE1ELb1ELi512EEEvPfS3_PT_PKS4_PKT0_SA_ifPKiSC_iPKfiiiSE_SE_iiiii
    .private_segment_fixed_size: 0
    .sgpr_count:     71
    .sgpr_spill_count: 0
    .symbol:         _ZN4vllm25paged_attention_v2_kernelI14__hip_bfloat16hLi64ELi8ELi128ELNS_18Fp8KVCacheDataTypeE1ELb1ELi512EEEvPfS3_PT_PKS4_PKT0_SA_ifPKiSC_iPKfiiiSE_SE_iiiii.kd
    .uniform_work_group_size: 1
    .uses_dynamic_stack: false
    .vgpr_count:     43
    .vgpr_spill_count: 0
    .wavefront_size: 64
  - .agpr_count:     0
    .args:
      - .actual_access:  write_only
        .address_space:  global
        .offset:         0
        .size:           8
        .value_kind:     global_buffer
      - .actual_access:  write_only
        .address_space:  global
        .offset:         8
        .size:           8
        .value_kind:     global_buffer
      - .actual_access:  write_only
        .address_space:  global
        .offset:         16
        .size:           8
        .value_kind:     global_buffer
      - .actual_access:  read_only
        .address_space:  global
        .offset:         24
        .size:           8
        .value_kind:     global_buffer
      - .actual_access:  read_only
        .address_space:  global
        .offset:         32
        .size:           8
        .value_kind:     global_buffer
      - .actual_access:  read_only
        .address_space:  global
        .offset:         40
        .size:           8
        .value_kind:     global_buffer
      - .offset:         48
        .size:           4
        .value_kind:     by_value
      - .offset:         52
        .size:           4
        .value_kind:     by_value
      - .actual_access:  read_only
        .address_space:  global
        .offset:         56
        .size:           8
        .value_kind:     global_buffer
      - .actual_access:  read_only
        .address_space:  global
        .offset:         64
        .size:           8
        .value_kind:     global_buffer
      - .offset:         72
        .size:           4
        .value_kind:     by_value
      - .actual_access:  read_only
        .address_space:  global
        .offset:         80
        .size:           8
        .value_kind:     global_buffer
      - .offset:         88
        .size:           4
        .value_kind:     by_value
      - .offset:         92
        .size:           4
        .value_kind:     by_value
      - .offset:         96
        .size:           4
        .value_kind:     by_value
      - .address_space:  global
        .offset:         104
        .size:           8
        .value_kind:     global_buffer
      - .address_space:  global
        .offset:         112
        .size:           8
        .value_kind:     global_buffer
      - .offset:         120
        .size:           4
        .value_kind:     by_value
      - .offset:         124
        .size:           4
        .value_kind:     by_value
      - .offset:         128
        .size:           4
        .value_kind:     by_value
      - .offset:         132
        .size:           4
        .value_kind:     by_value
      - .offset:         136
        .size:           4
        .value_kind:     by_value
      - .offset:         144
        .size:           4
        .value_kind:     hidden_block_count_x
      - .offset:         148
        .size:           4
        .value_kind:     hidden_block_count_y
      - .offset:         152
        .size:           4
        .value_kind:     hidden_block_count_z
      - .offset:         156
        .size:           2
        .value_kind:     hidden_group_size_x
      - .offset:         158
        .size:           2
        .value_kind:     hidden_group_size_y
      - .offset:         160
        .size:           2
        .value_kind:     hidden_group_size_z
      - .offset:         162
        .size:           2
        .value_kind:     hidden_remainder_x
      - .offset:         164
        .size:           2
        .value_kind:     hidden_remainder_y
      - .offset:         166
        .size:           2
        .value_kind:     hidden_remainder_z
      - .offset:         184
        .size:           8
        .value_kind:     hidden_global_offset_x
      - .offset:         192
        .size:           8
        .value_kind:     hidden_global_offset_y
      - .offset:         200
        .size:           8
        .value_kind:     hidden_global_offset_z
      - .offset:         208
        .size:           2
        .value_kind:     hidden_grid_dims
      - .offset:         264
        .size:           4
        .value_kind:     hidden_dynamic_lds_size
    .group_segment_fixed_size: 176
    .kernarg_segment_align: 8
    .kernarg_segment_size: 400
    .language:       OpenCL C
    .language_version:
      - 2
      - 0
    .max_flat_workgroup_size: 1024
    .name:           _ZN4vllm25paged_attention_v2_kernelI14__hip_bfloat16hLi80ELi8ELi128ELNS_18Fp8KVCacheDataTypeE1ELb1ELi512EEEvPfS3_PT_PKS4_PKT0_SA_ifPKiSC_iPKfiiiSE_SE_iiiii
    .private_segment_fixed_size: 0
    .sgpr_count:     71
    .sgpr_spill_count: 0
    .symbol:         _ZN4vllm25paged_attention_v2_kernelI14__hip_bfloat16hLi80ELi8ELi128ELNS_18Fp8KVCacheDataTypeE1ELb1ELi512EEEvPfS3_PT_PKS4_PKT0_SA_ifPKiSC_iPKfiiiSE_SE_iiiii.kd
    .uniform_work_group_size: 1
    .uses_dynamic_stack: false
    .vgpr_count:     47
    .vgpr_spill_count: 0
    .wavefront_size: 64
  - .agpr_count:     0
    .args:
      - .actual_access:  write_only
        .address_space:  global
        .offset:         0
        .size:           8
        .value_kind:     global_buffer
      - .actual_access:  write_only
        .address_space:  global
        .offset:         8
        .size:           8
        .value_kind:     global_buffer
      - .actual_access:  write_only
        .address_space:  global
        .offset:         16
        .size:           8
        .value_kind:     global_buffer
      - .actual_access:  read_only
        .address_space:  global
        .offset:         24
        .size:           8
        .value_kind:     global_buffer
      - .actual_access:  read_only
        .address_space:  global
        .offset:         32
        .size:           8
        .value_kind:     global_buffer
      - .actual_access:  read_only
        .address_space:  global
        .offset:         40
        .size:           8
        .value_kind:     global_buffer
      - .offset:         48
        .size:           4
        .value_kind:     by_value
      - .offset:         52
        .size:           4
        .value_kind:     by_value
      - .actual_access:  read_only
        .address_space:  global
        .offset:         56
        .size:           8
        .value_kind:     global_buffer
      - .actual_access:  read_only
        .address_space:  global
        .offset:         64
        .size:           8
        .value_kind:     global_buffer
      - .offset:         72
        .size:           4
        .value_kind:     by_value
      - .actual_access:  read_only
        .address_space:  global
        .offset:         80
        .size:           8
        .value_kind:     global_buffer
      - .offset:         88
        .size:           4
        .value_kind:     by_value
      - .offset:         92
        .size:           4
        .value_kind:     by_value
      - .offset:         96
        .size:           4
        .value_kind:     by_value
      - .address_space:  global
        .offset:         104
        .size:           8
        .value_kind:     global_buffer
      - .address_space:  global
        .offset:         112
        .size:           8
        .value_kind:     global_buffer
      - .offset:         120
        .size:           4
        .value_kind:     by_value
      - .offset:         124
        .size:           4
        .value_kind:     by_value
      - .offset:         128
        .size:           4
        .value_kind:     by_value
      - .offset:         132
        .size:           4
        .value_kind:     by_value
      - .offset:         136
        .size:           4
        .value_kind:     by_value
      - .offset:         144
        .size:           4
        .value_kind:     hidden_block_count_x
      - .offset:         148
        .size:           4
        .value_kind:     hidden_block_count_y
      - .offset:         152
        .size:           4
        .value_kind:     hidden_block_count_z
      - .offset:         156
        .size:           2
        .value_kind:     hidden_group_size_x
      - .offset:         158
        .size:           2
        .value_kind:     hidden_group_size_y
      - .offset:         160
        .size:           2
        .value_kind:     hidden_group_size_z
      - .offset:         162
        .size:           2
        .value_kind:     hidden_remainder_x
      - .offset:         164
        .size:           2
        .value_kind:     hidden_remainder_y
      - .offset:         166
        .size:           2
        .value_kind:     hidden_remainder_z
      - .offset:         184
        .size:           8
        .value_kind:     hidden_global_offset_x
      - .offset:         192
        .size:           8
        .value_kind:     hidden_global_offset_y
      - .offset:         200
        .size:           8
        .value_kind:     hidden_global_offset_z
      - .offset:         208
        .size:           2
        .value_kind:     hidden_grid_dims
      - .offset:         264
        .size:           4
        .value_kind:     hidden_dynamic_lds_size
    .group_segment_fixed_size: 208
    .kernarg_segment_align: 8
    .kernarg_segment_size: 400
    .language:       OpenCL C
    .language_version:
      - 2
      - 0
    .max_flat_workgroup_size: 1024
    .name:           _ZN4vllm25paged_attention_v2_kernelI14__hip_bfloat16hLi96ELi8ELi128ELNS_18Fp8KVCacheDataTypeE1ELb1ELi512EEEvPfS3_PT_PKS4_PKT0_SA_ifPKiSC_iPKfiiiSE_SE_iiiii
    .private_segment_fixed_size: 0
    .sgpr_count:     71
    .sgpr_spill_count: 0
    .symbol:         _ZN4vllm25paged_attention_v2_kernelI14__hip_bfloat16hLi96ELi8ELi128ELNS_18Fp8KVCacheDataTypeE1ELb1ELi512EEEvPfS3_PT_PKS4_PKT0_SA_ifPKiSC_iPKfiiiSE_SE_iiiii.kd
    .uniform_work_group_size: 1
    .uses_dynamic_stack: false
    .vgpr_count:     50
    .vgpr_spill_count: 0
    .wavefront_size: 64
  - .agpr_count:     0
    .args:
      - .actual_access:  write_only
        .address_space:  global
        .offset:         0
        .size:           8
        .value_kind:     global_buffer
      - .actual_access:  write_only
        .address_space:  global
        .offset:         8
        .size:           8
        .value_kind:     global_buffer
      - .actual_access:  write_only
        .address_space:  global
        .offset:         16
        .size:           8
        .value_kind:     global_buffer
      - .actual_access:  read_only
        .address_space:  global
        .offset:         24
        .size:           8
        .value_kind:     global_buffer
      - .actual_access:  read_only
        .address_space:  global
        .offset:         32
        .size:           8
        .value_kind:     global_buffer
      - .actual_access:  read_only
        .address_space:  global
        .offset:         40
        .size:           8
        .value_kind:     global_buffer
      - .offset:         48
        .size:           4
        .value_kind:     by_value
      - .offset:         52
        .size:           4
        .value_kind:     by_value
      - .actual_access:  read_only
        .address_space:  global
        .offset:         56
        .size:           8
        .value_kind:     global_buffer
      - .actual_access:  read_only
        .address_space:  global
        .offset:         64
        .size:           8
        .value_kind:     global_buffer
      - .offset:         72
        .size:           4
        .value_kind:     by_value
      - .actual_access:  read_only
        .address_space:  global
        .offset:         80
        .size:           8
        .value_kind:     global_buffer
      - .offset:         88
        .size:           4
        .value_kind:     by_value
      - .offset:         92
        .size:           4
        .value_kind:     by_value
      - .offset:         96
        .size:           4
        .value_kind:     by_value
      - .address_space:  global
        .offset:         104
        .size:           8
        .value_kind:     global_buffer
      - .address_space:  global
        .offset:         112
        .size:           8
        .value_kind:     global_buffer
      - .offset:         120
        .size:           4
        .value_kind:     by_value
      - .offset:         124
        .size:           4
        .value_kind:     by_value
      - .offset:         128
        .size:           4
        .value_kind:     by_value
      - .offset:         132
        .size:           4
        .value_kind:     by_value
      - .offset:         136
        .size:           4
        .value_kind:     by_value
      - .offset:         144
        .size:           4
        .value_kind:     hidden_block_count_x
      - .offset:         148
        .size:           4
        .value_kind:     hidden_block_count_y
      - .offset:         152
        .size:           4
        .value_kind:     hidden_block_count_z
      - .offset:         156
        .size:           2
        .value_kind:     hidden_group_size_x
      - .offset:         158
        .size:           2
        .value_kind:     hidden_group_size_y
      - .offset:         160
        .size:           2
        .value_kind:     hidden_group_size_z
      - .offset:         162
        .size:           2
        .value_kind:     hidden_remainder_x
      - .offset:         164
        .size:           2
        .value_kind:     hidden_remainder_y
      - .offset:         166
        .size:           2
        .value_kind:     hidden_remainder_z
      - .offset:         184
        .size:           8
        .value_kind:     hidden_global_offset_x
      - .offset:         192
        .size:           8
        .value_kind:     hidden_global_offset_y
      - .offset:         200
        .size:           8
        .value_kind:     hidden_global_offset_z
      - .offset:         208
        .size:           2
        .value_kind:     hidden_grid_dims
      - .offset:         264
        .size:           4
        .value_kind:     hidden_dynamic_lds_size
    .group_segment_fixed_size: 240
    .kernarg_segment_align: 8
    .kernarg_segment_size: 400
    .language:       OpenCL C
    .language_version:
      - 2
      - 0
    .max_flat_workgroup_size: 1024
    .name:           _ZN4vllm25paged_attention_v2_kernelI14__hip_bfloat16hLi112ELi8ELi128ELNS_18Fp8KVCacheDataTypeE1ELb1ELi512EEEvPfS3_PT_PKS4_PKT0_SA_ifPKiSC_iPKfiiiSE_SE_iiiii
    .private_segment_fixed_size: 0
    .sgpr_count:     71
    .sgpr_spill_count: 0
    .symbol:         _ZN4vllm25paged_attention_v2_kernelI14__hip_bfloat16hLi112ELi8ELi128ELNS_18Fp8KVCacheDataTypeE1ELb1ELi512EEEvPfS3_PT_PKS4_PKT0_SA_ifPKiSC_iPKfiiiSE_SE_iiiii.kd
    .uniform_work_group_size: 1
    .uses_dynamic_stack: false
    .vgpr_count:     54
    .vgpr_spill_count: 0
    .wavefront_size: 64
  - .agpr_count:     0
    .args:
      - .actual_access:  write_only
        .address_space:  global
        .offset:         0
        .size:           8
        .value_kind:     global_buffer
      - .actual_access:  write_only
        .address_space:  global
        .offset:         8
        .size:           8
        .value_kind:     global_buffer
      - .actual_access:  write_only
        .address_space:  global
        .offset:         16
        .size:           8
        .value_kind:     global_buffer
      - .actual_access:  read_only
        .address_space:  global
        .offset:         24
        .size:           8
        .value_kind:     global_buffer
      - .actual_access:  read_only
        .address_space:  global
        .offset:         32
        .size:           8
        .value_kind:     global_buffer
      - .actual_access:  read_only
        .address_space:  global
        .offset:         40
        .size:           8
        .value_kind:     global_buffer
      - .offset:         48
        .size:           4
        .value_kind:     by_value
      - .offset:         52
        .size:           4
        .value_kind:     by_value
      - .actual_access:  read_only
        .address_space:  global
        .offset:         56
        .size:           8
        .value_kind:     global_buffer
      - .actual_access:  read_only
        .address_space:  global
        .offset:         64
        .size:           8
        .value_kind:     global_buffer
      - .offset:         72
        .size:           4
        .value_kind:     by_value
      - .actual_access:  read_only
        .address_space:  global
        .offset:         80
        .size:           8
        .value_kind:     global_buffer
      - .offset:         88
        .size:           4
        .value_kind:     by_value
      - .offset:         92
        .size:           4
        .value_kind:     by_value
      - .offset:         96
        .size:           4
        .value_kind:     by_value
      - .address_space:  global
        .offset:         104
        .size:           8
        .value_kind:     global_buffer
      - .address_space:  global
        .offset:         112
        .size:           8
        .value_kind:     global_buffer
      - .offset:         120
        .size:           4
        .value_kind:     by_value
      - .offset:         124
        .size:           4
        .value_kind:     by_value
      - .offset:         128
        .size:           4
        .value_kind:     by_value
      - .offset:         132
        .size:           4
        .value_kind:     by_value
      - .offset:         136
        .size:           4
        .value_kind:     by_value
      - .offset:         144
        .size:           4
        .value_kind:     hidden_block_count_x
      - .offset:         148
        .size:           4
        .value_kind:     hidden_block_count_y
      - .offset:         152
        .size:           4
        .value_kind:     hidden_block_count_z
      - .offset:         156
        .size:           2
        .value_kind:     hidden_group_size_x
      - .offset:         158
        .size:           2
        .value_kind:     hidden_group_size_y
      - .offset:         160
        .size:           2
        .value_kind:     hidden_group_size_z
      - .offset:         162
        .size:           2
        .value_kind:     hidden_remainder_x
      - .offset:         164
        .size:           2
        .value_kind:     hidden_remainder_y
      - .offset:         166
        .size:           2
        .value_kind:     hidden_remainder_z
      - .offset:         184
        .size:           8
        .value_kind:     hidden_global_offset_x
      - .offset:         192
        .size:           8
        .value_kind:     hidden_global_offset_y
      - .offset:         200
        .size:           8
        .value_kind:     hidden_global_offset_z
      - .offset:         208
        .size:           2
        .value_kind:     hidden_grid_dims
      - .offset:         264
        .size:           4
        .value_kind:     hidden_dynamic_lds_size
    .group_segment_fixed_size: 256
    .kernarg_segment_align: 8
    .kernarg_segment_size: 400
    .language:       OpenCL C
    .language_version:
      - 2
      - 0
    .max_flat_workgroup_size: 1024
    .name:           _ZN4vllm25paged_attention_v2_kernelI14__hip_bfloat16hLi120ELi8ELi128ELNS_18Fp8KVCacheDataTypeE1ELb1ELi512EEEvPfS3_PT_PKS4_PKT0_SA_ifPKiSC_iPKfiiiSE_SE_iiiii
    .private_segment_fixed_size: 0
    .sgpr_count:     71
    .sgpr_spill_count: 0
    .symbol:         _ZN4vllm25paged_attention_v2_kernelI14__hip_bfloat16hLi120ELi8ELi128ELNS_18Fp8KVCacheDataTypeE1ELb1ELi512EEEvPfS3_PT_PKS4_PKT0_SA_ifPKiSC_iPKfiiiSE_SE_iiiii.kd
    .uniform_work_group_size: 1
    .uses_dynamic_stack: false
    .vgpr_count:     56
    .vgpr_spill_count: 0
    .wavefront_size: 64
  - .agpr_count:     0
    .args:
      - .actual_access:  write_only
        .address_space:  global
        .offset:         0
        .size:           8
        .value_kind:     global_buffer
      - .actual_access:  write_only
        .address_space:  global
        .offset:         8
        .size:           8
        .value_kind:     global_buffer
      - .actual_access:  write_only
        .address_space:  global
        .offset:         16
        .size:           8
        .value_kind:     global_buffer
      - .actual_access:  read_only
        .address_space:  global
        .offset:         24
        .size:           8
        .value_kind:     global_buffer
      - .actual_access:  read_only
        .address_space:  global
        .offset:         32
        .size:           8
        .value_kind:     global_buffer
      - .actual_access:  read_only
        .address_space:  global
        .offset:         40
        .size:           8
        .value_kind:     global_buffer
      - .offset:         48
        .size:           4
        .value_kind:     by_value
      - .offset:         52
        .size:           4
        .value_kind:     by_value
      - .actual_access:  read_only
        .address_space:  global
        .offset:         56
        .size:           8
        .value_kind:     global_buffer
      - .actual_access:  read_only
        .address_space:  global
        .offset:         64
        .size:           8
        .value_kind:     global_buffer
      - .offset:         72
        .size:           4
        .value_kind:     by_value
      - .actual_access:  read_only
        .address_space:  global
        .offset:         80
        .size:           8
        .value_kind:     global_buffer
      - .offset:         88
        .size:           4
        .value_kind:     by_value
      - .offset:         92
        .size:           4
        .value_kind:     by_value
      - .offset:         96
        .size:           4
        .value_kind:     by_value
      - .address_space:  global
        .offset:         104
        .size:           8
        .value_kind:     global_buffer
      - .address_space:  global
        .offset:         112
        .size:           8
        .value_kind:     global_buffer
      - .offset:         120
        .size:           4
        .value_kind:     by_value
      - .offset:         124
        .size:           4
        .value_kind:     by_value
      - .offset:         128
        .size:           4
        .value_kind:     by_value
      - .offset:         132
        .size:           4
        .value_kind:     by_value
      - .offset:         136
        .size:           4
        .value_kind:     by_value
      - .offset:         144
        .size:           4
        .value_kind:     hidden_block_count_x
      - .offset:         148
        .size:           4
        .value_kind:     hidden_block_count_y
      - .offset:         152
        .size:           4
        .value_kind:     hidden_block_count_z
      - .offset:         156
        .size:           2
        .value_kind:     hidden_group_size_x
      - .offset:         158
        .size:           2
        .value_kind:     hidden_group_size_y
      - .offset:         160
        .size:           2
        .value_kind:     hidden_group_size_z
      - .offset:         162
        .size:           2
        .value_kind:     hidden_remainder_x
      - .offset:         164
        .size:           2
        .value_kind:     hidden_remainder_y
      - .offset:         166
        .size:           2
        .value_kind:     hidden_remainder_z
      - .offset:         184
        .size:           8
        .value_kind:     hidden_global_offset_x
      - .offset:         192
        .size:           8
        .value_kind:     hidden_global_offset_y
      - .offset:         200
        .size:           8
        .value_kind:     hidden_global_offset_z
      - .offset:         208
        .size:           2
        .value_kind:     hidden_grid_dims
      - .offset:         264
        .size:           4
        .value_kind:     hidden_dynamic_lds_size
    .group_segment_fixed_size: 272
    .kernarg_segment_align: 8
    .kernarg_segment_size: 400
    .language:       OpenCL C
    .language_version:
      - 2
      - 0
    .max_flat_workgroup_size: 1024
    .name:           _ZN4vllm25paged_attention_v2_kernelI14__hip_bfloat16hLi128ELi8ELi128ELNS_18Fp8KVCacheDataTypeE1ELb1ELi512EEEvPfS3_PT_PKS4_PKT0_SA_ifPKiSC_iPKfiiiSE_SE_iiiii
    .private_segment_fixed_size: 0
    .sgpr_count:     69
    .sgpr_spill_count: 0
    .symbol:         _ZN4vllm25paged_attention_v2_kernelI14__hip_bfloat16hLi128ELi8ELi128ELNS_18Fp8KVCacheDataTypeE1ELb1ELi512EEEvPfS3_PT_PKS4_PKT0_SA_ifPKiSC_iPKfiiiSE_SE_iiiii.kd
    .uniform_work_group_size: 1
    .uses_dynamic_stack: false
    .vgpr_count:     58
    .vgpr_spill_count: 0
    .wavefront_size: 64
  - .agpr_count:     0
    .args:
      - .actual_access:  write_only
        .address_space:  global
        .offset:         0
        .size:           8
        .value_kind:     global_buffer
      - .actual_access:  write_only
        .address_space:  global
        .offset:         8
        .size:           8
        .value_kind:     global_buffer
      - .actual_access:  write_only
        .address_space:  global
        .offset:         16
        .size:           8
        .value_kind:     global_buffer
      - .actual_access:  read_only
        .address_space:  global
        .offset:         24
        .size:           8
        .value_kind:     global_buffer
      - .actual_access:  read_only
        .address_space:  global
        .offset:         32
        .size:           8
        .value_kind:     global_buffer
      - .actual_access:  read_only
        .address_space:  global
        .offset:         40
        .size:           8
        .value_kind:     global_buffer
      - .offset:         48
        .size:           4
        .value_kind:     by_value
      - .offset:         52
        .size:           4
        .value_kind:     by_value
      - .actual_access:  read_only
        .address_space:  global
        .offset:         56
        .size:           8
        .value_kind:     global_buffer
      - .actual_access:  read_only
        .address_space:  global
        .offset:         64
        .size:           8
        .value_kind:     global_buffer
      - .offset:         72
        .size:           4
        .value_kind:     by_value
      - .actual_access:  read_only
        .address_space:  global
        .offset:         80
        .size:           8
        .value_kind:     global_buffer
      - .offset:         88
        .size:           4
        .value_kind:     by_value
      - .offset:         92
        .size:           4
        .value_kind:     by_value
      - .offset:         96
        .size:           4
        .value_kind:     by_value
      - .address_space:  global
        .offset:         104
        .size:           8
        .value_kind:     global_buffer
      - .address_space:  global
        .offset:         112
        .size:           8
        .value_kind:     global_buffer
      - .offset:         120
        .size:           4
        .value_kind:     by_value
      - .offset:         124
        .size:           4
        .value_kind:     by_value
      - .offset:         128
        .size:           4
        .value_kind:     by_value
      - .offset:         132
        .size:           4
        .value_kind:     by_value
      - .offset:         136
        .size:           4
        .value_kind:     by_value
      - .offset:         144
        .size:           4
        .value_kind:     hidden_block_count_x
      - .offset:         148
        .size:           4
        .value_kind:     hidden_block_count_y
      - .offset:         152
        .size:           4
        .value_kind:     hidden_block_count_z
      - .offset:         156
        .size:           2
        .value_kind:     hidden_group_size_x
      - .offset:         158
        .size:           2
        .value_kind:     hidden_group_size_y
      - .offset:         160
        .size:           2
        .value_kind:     hidden_group_size_z
      - .offset:         162
        .size:           2
        .value_kind:     hidden_remainder_x
      - .offset:         164
        .size:           2
        .value_kind:     hidden_remainder_y
      - .offset:         166
        .size:           2
        .value_kind:     hidden_remainder_z
      - .offset:         184
        .size:           8
        .value_kind:     hidden_global_offset_x
      - .offset:         192
        .size:           8
        .value_kind:     hidden_global_offset_y
      - .offset:         200
        .size:           8
        .value_kind:     hidden_global_offset_z
      - .offset:         208
        .size:           2
        .value_kind:     hidden_grid_dims
      - .offset:         264
        .size:           4
        .value_kind:     hidden_dynamic_lds_size
    .group_segment_fixed_size: 400
    .kernarg_segment_align: 8
    .kernarg_segment_size: 400
    .language:       OpenCL C
    .language_version:
      - 2
      - 0
    .max_flat_workgroup_size: 1024
    .name:           _ZN4vllm25paged_attention_v2_kernelI14__hip_bfloat16hLi192ELi8ELi128ELNS_18Fp8KVCacheDataTypeE1ELb1ELi512EEEvPfS3_PT_PKS4_PKT0_SA_ifPKiSC_iPKfiiiSE_SE_iiiii
    .private_segment_fixed_size: 0
    .sgpr_count:     69
    .sgpr_spill_count: 0
    .symbol:         _ZN4vllm25paged_attention_v2_kernelI14__hip_bfloat16hLi192ELi8ELi128ELNS_18Fp8KVCacheDataTypeE1ELb1ELi512EEEvPfS3_PT_PKS4_PKT0_SA_ifPKiSC_iPKfiiiSE_SE_iiiii.kd
    .uniform_work_group_size: 1
    .uses_dynamic_stack: false
    .vgpr_count:     73
    .vgpr_spill_count: 0
    .wavefront_size: 64
  - .agpr_count:     52
    .args:
      - .actual_access:  write_only
        .address_space:  global
        .offset:         0
        .size:           8
        .value_kind:     global_buffer
      - .actual_access:  write_only
        .address_space:  global
        .offset:         8
        .size:           8
        .value_kind:     global_buffer
      - .actual_access:  write_only
        .address_space:  global
        .offset:         16
        .size:           8
        .value_kind:     global_buffer
      - .actual_access:  read_only
        .address_space:  global
        .offset:         24
        .size:           8
        .value_kind:     global_buffer
      - .actual_access:  read_only
        .address_space:  global
        .offset:         32
        .size:           8
        .value_kind:     global_buffer
      - .actual_access:  read_only
        .address_space:  global
        .offset:         40
        .size:           8
        .value_kind:     global_buffer
      - .offset:         48
        .size:           4
        .value_kind:     by_value
      - .offset:         52
        .size:           4
        .value_kind:     by_value
      - .actual_access:  read_only
        .address_space:  global
        .offset:         56
        .size:           8
        .value_kind:     global_buffer
      - .actual_access:  read_only
        .address_space:  global
        .offset:         64
        .size:           8
        .value_kind:     global_buffer
      - .offset:         72
        .size:           4
        .value_kind:     by_value
      - .address_space:  global
        .offset:         80
        .size:           8
        .value_kind:     global_buffer
      - .offset:         88
        .size:           4
        .value_kind:     by_value
      - .offset:         92
        .size:           4
        .value_kind:     by_value
      - .offset:         96
        .size:           4
        .value_kind:     by_value
      - .address_space:  global
        .offset:         104
        .size:           8
        .value_kind:     global_buffer
      - .address_space:  global
        .offset:         112
        .size:           8
        .value_kind:     global_buffer
      - .offset:         120
        .size:           4
        .value_kind:     by_value
      - .offset:         124
        .size:           4
        .value_kind:     by_value
      - .offset:         128
        .size:           4
        .value_kind:     by_value
      - .offset:         132
        .size:           4
        .value_kind:     by_value
      - .offset:         136
        .size:           4
        .value_kind:     by_value
      - .offset:         144
        .size:           4
        .value_kind:     hidden_block_count_x
      - .offset:         148
        .size:           4
        .value_kind:     hidden_block_count_y
      - .offset:         152
        .size:           4
        .value_kind:     hidden_block_count_z
      - .offset:         156
        .size:           2
        .value_kind:     hidden_group_size_x
      - .offset:         158
        .size:           2
        .value_kind:     hidden_group_size_y
      - .offset:         160
        .size:           2
        .value_kind:     hidden_group_size_z
      - .offset:         162
        .size:           2
        .value_kind:     hidden_remainder_x
      - .offset:         164
        .size:           2
        .value_kind:     hidden_remainder_y
      - .offset:         166
        .size:           2
        .value_kind:     hidden_remainder_z
      - .offset:         184
        .size:           8
        .value_kind:     hidden_global_offset_x
      - .offset:         192
        .size:           8
        .value_kind:     hidden_global_offset_y
      - .offset:         200
        .size:           8
        .value_kind:     hidden_global_offset_z
      - .offset:         208
        .size:           2
        .value_kind:     hidden_grid_dims
      - .offset:         264
        .size:           4
        .value_kind:     hidden_dynamic_lds_size
    .group_segment_fixed_size: 528
    .kernarg_segment_align: 8
    .kernarg_segment_size: 400
    .language:       OpenCL C
    .language_version:
      - 2
      - 0
    .max_flat_workgroup_size: 1024
    .name:           _ZN4vllm25paged_attention_v2_kernelI14__hip_bfloat16hLi256ELi8ELi128ELNS_18Fp8KVCacheDataTypeE1ELb1ELi512EEEvPfS3_PT_PKS4_PKT0_SA_ifPKiSC_iPKfiiiSE_SE_iiiii
    .private_segment_fixed_size: 164
    .sgpr_count:     54
    .sgpr_spill_count: 0
    .symbol:         _ZN4vllm25paged_attention_v2_kernelI14__hip_bfloat16hLi256ELi8ELi128ELNS_18Fp8KVCacheDataTypeE1ELb1ELi512EEEvPfS3_PT_PKS4_PKT0_SA_ifPKiSC_iPKfiiiSE_SE_iiiii.kd
    .uniform_work_group_size: 1
    .uses_dynamic_stack: false
    .vgpr_count:     116
    .vgpr_spill_count: 0
    .wavefront_size: 64
  - .agpr_count:     0
    .args:
      - .actual_access:  write_only
        .address_space:  global
        .offset:         0
        .size:           8
        .value_kind:     global_buffer
      - .actual_access:  write_only
        .address_space:  global
        .offset:         8
        .size:           8
        .value_kind:     global_buffer
      - .actual_access:  write_only
        .address_space:  global
        .offset:         16
        .size:           8
        .value_kind:     global_buffer
      - .actual_access:  read_only
        .address_space:  global
        .offset:         24
        .size:           8
        .value_kind:     global_buffer
      - .actual_access:  read_only
        .address_space:  global
        .offset:         32
        .size:           8
        .value_kind:     global_buffer
      - .actual_access:  read_only
        .address_space:  global
        .offset:         40
        .size:           8
        .value_kind:     global_buffer
      - .offset:         48
        .size:           4
        .value_kind:     by_value
      - .offset:         52
        .size:           4
        .value_kind:     by_value
      - .actual_access:  read_only
        .address_space:  global
        .offset:         56
        .size:           8
        .value_kind:     global_buffer
      - .actual_access:  read_only
        .address_space:  global
        .offset:         64
        .size:           8
        .value_kind:     global_buffer
      - .offset:         72
        .size:           4
        .value_kind:     by_value
      - .actual_access:  read_only
        .address_space:  global
        .offset:         80
        .size:           8
        .value_kind:     global_buffer
      - .offset:         88
        .size:           4
        .value_kind:     by_value
      - .offset:         92
        .size:           4
        .value_kind:     by_value
      - .offset:         96
        .size:           4
        .value_kind:     by_value
      - .address_space:  global
        .offset:         104
        .size:           8
        .value_kind:     global_buffer
      - .address_space:  global
        .offset:         112
        .size:           8
        .value_kind:     global_buffer
      - .offset:         120
        .size:           4
        .value_kind:     by_value
      - .offset:         124
        .size:           4
        .value_kind:     by_value
      - .offset:         128
        .size:           4
        .value_kind:     by_value
      - .offset:         132
        .size:           4
        .value_kind:     by_value
      - .offset:         136
        .size:           4
        .value_kind:     by_value
      - .offset:         144
        .size:           4
        .value_kind:     hidden_block_count_x
      - .offset:         148
        .size:           4
        .value_kind:     hidden_block_count_y
      - .offset:         152
        .size:           4
        .value_kind:     hidden_block_count_z
      - .offset:         156
        .size:           2
        .value_kind:     hidden_group_size_x
      - .offset:         158
        .size:           2
        .value_kind:     hidden_group_size_y
      - .offset:         160
        .size:           2
        .value_kind:     hidden_group_size_z
      - .offset:         162
        .size:           2
        .value_kind:     hidden_remainder_x
      - .offset:         164
        .size:           2
        .value_kind:     hidden_remainder_y
      - .offset:         166
        .size:           2
        .value_kind:     hidden_remainder_z
      - .offset:         184
        .size:           8
        .value_kind:     hidden_global_offset_x
      - .offset:         192
        .size:           8
        .value_kind:     hidden_global_offset_y
      - .offset:         200
        .size:           8
        .value_kind:     hidden_global_offset_z
      - .offset:         208
        .size:           2
        .value_kind:     hidden_grid_dims
      - .offset:         264
        .size:           4
        .value_kind:     hidden_dynamic_lds_size
    .group_segment_fixed_size: 80
    .kernarg_segment_align: 8
    .kernarg_segment_size: 400
    .language:       OpenCL C
    .language_version:
      - 2
      - 0
    .max_flat_workgroup_size: 1024
    .name:           _ZN4vllm25paged_attention_v2_kernelI14__hip_bfloat16hLi32ELi8ELi128ELNS_18Fp8KVCacheDataTypeE1ELb0ELi512EEEvPfS3_PT_PKS4_PKT0_SA_ifPKiSC_iPKfiiiSE_SE_iiiii
    .private_segment_fixed_size: 0
    .sgpr_count:     57
    .sgpr_spill_count: 0
    .symbol:         _ZN4vllm25paged_attention_v2_kernelI14__hip_bfloat16hLi32ELi8ELi128ELNS_18Fp8KVCacheDataTypeE1ELb0ELi512EEEvPfS3_PT_PKS4_PKT0_SA_ifPKiSC_iPKfiiiSE_SE_iiiii.kd
    .uniform_work_group_size: 1
    .uses_dynamic_stack: false
    .vgpr_count:     37
    .vgpr_spill_count: 0
    .wavefront_size: 64
  - .agpr_count:     0
    .args:
      - .actual_access:  write_only
        .address_space:  global
        .offset:         0
        .size:           8
        .value_kind:     global_buffer
      - .actual_access:  write_only
        .address_space:  global
        .offset:         8
        .size:           8
        .value_kind:     global_buffer
      - .actual_access:  write_only
        .address_space:  global
        .offset:         16
        .size:           8
        .value_kind:     global_buffer
      - .actual_access:  read_only
        .address_space:  global
        .offset:         24
        .size:           8
        .value_kind:     global_buffer
      - .actual_access:  read_only
        .address_space:  global
        .offset:         32
        .size:           8
        .value_kind:     global_buffer
      - .actual_access:  read_only
        .address_space:  global
        .offset:         40
        .size:           8
        .value_kind:     global_buffer
      - .offset:         48
        .size:           4
        .value_kind:     by_value
      - .offset:         52
        .size:           4
        .value_kind:     by_value
      - .actual_access:  read_only
        .address_space:  global
        .offset:         56
        .size:           8
        .value_kind:     global_buffer
      - .actual_access:  read_only
        .address_space:  global
        .offset:         64
        .size:           8
        .value_kind:     global_buffer
      - .offset:         72
        .size:           4
        .value_kind:     by_value
      - .actual_access:  read_only
        .address_space:  global
        .offset:         80
        .size:           8
        .value_kind:     global_buffer
      - .offset:         88
        .size:           4
        .value_kind:     by_value
      - .offset:         92
        .size:           4
        .value_kind:     by_value
      - .offset:         96
        .size:           4
        .value_kind:     by_value
      - .address_space:  global
        .offset:         104
        .size:           8
        .value_kind:     global_buffer
      - .address_space:  global
        .offset:         112
        .size:           8
        .value_kind:     global_buffer
      - .offset:         120
        .size:           4
        .value_kind:     by_value
      - .offset:         124
        .size:           4
        .value_kind:     by_value
      - .offset:         128
        .size:           4
        .value_kind:     by_value
      - .offset:         132
        .size:           4
        .value_kind:     by_value
      - .offset:         136
        .size:           4
        .value_kind:     by_value
      - .offset:         144
        .size:           4
        .value_kind:     hidden_block_count_x
      - .offset:         148
        .size:           4
        .value_kind:     hidden_block_count_y
      - .offset:         152
        .size:           4
        .value_kind:     hidden_block_count_z
      - .offset:         156
        .size:           2
        .value_kind:     hidden_group_size_x
      - .offset:         158
        .size:           2
        .value_kind:     hidden_group_size_y
      - .offset:         160
        .size:           2
        .value_kind:     hidden_group_size_z
      - .offset:         162
        .size:           2
        .value_kind:     hidden_remainder_x
      - .offset:         164
        .size:           2
        .value_kind:     hidden_remainder_y
      - .offset:         166
        .size:           2
        .value_kind:     hidden_remainder_z
      - .offset:         184
        .size:           8
        .value_kind:     hidden_global_offset_x
      - .offset:         192
        .size:           8
        .value_kind:     hidden_global_offset_y
      - .offset:         200
        .size:           8
        .value_kind:     hidden_global_offset_z
      - .offset:         208
        .size:           2
        .value_kind:     hidden_grid_dims
      - .offset:         264
        .size:           4
        .value_kind:     hidden_dynamic_lds_size
    .group_segment_fixed_size: 144
    .kernarg_segment_align: 8
    .kernarg_segment_size: 400
    .language:       OpenCL C
    .language_version:
      - 2
      - 0
    .max_flat_workgroup_size: 1024
    .name:           _ZN4vllm25paged_attention_v2_kernelI14__hip_bfloat16hLi64ELi8ELi128ELNS_18Fp8KVCacheDataTypeE1ELb0ELi512EEEvPfS3_PT_PKS4_PKT0_SA_ifPKiSC_iPKfiiiSE_SE_iiiii
    .private_segment_fixed_size: 0
    .sgpr_count:     59
    .sgpr_spill_count: 0
    .symbol:         _ZN4vllm25paged_attention_v2_kernelI14__hip_bfloat16hLi64ELi8ELi128ELNS_18Fp8KVCacheDataTypeE1ELb0ELi512EEEvPfS3_PT_PKS4_PKT0_SA_ifPKiSC_iPKfiiiSE_SE_iiiii.kd
    .uniform_work_group_size: 1
    .uses_dynamic_stack: false
    .vgpr_count:     45
    .vgpr_spill_count: 0
    .wavefront_size: 64
  - .agpr_count:     0
    .args:
      - .actual_access:  write_only
        .address_space:  global
        .offset:         0
        .size:           8
        .value_kind:     global_buffer
      - .actual_access:  write_only
        .address_space:  global
        .offset:         8
        .size:           8
        .value_kind:     global_buffer
      - .actual_access:  write_only
        .address_space:  global
        .offset:         16
        .size:           8
        .value_kind:     global_buffer
      - .actual_access:  read_only
        .address_space:  global
        .offset:         24
        .size:           8
        .value_kind:     global_buffer
      - .actual_access:  read_only
        .address_space:  global
        .offset:         32
        .size:           8
        .value_kind:     global_buffer
      - .actual_access:  read_only
        .address_space:  global
        .offset:         40
        .size:           8
        .value_kind:     global_buffer
      - .offset:         48
        .size:           4
        .value_kind:     by_value
      - .offset:         52
        .size:           4
        .value_kind:     by_value
      - .actual_access:  read_only
        .address_space:  global
        .offset:         56
        .size:           8
        .value_kind:     global_buffer
      - .actual_access:  read_only
        .address_space:  global
        .offset:         64
        .size:           8
        .value_kind:     global_buffer
      - .offset:         72
        .size:           4
        .value_kind:     by_value
      - .actual_access:  read_only
        .address_space:  global
        .offset:         80
        .size:           8
        .value_kind:     global_buffer
      - .offset:         88
        .size:           4
        .value_kind:     by_value
      - .offset:         92
        .size:           4
        .value_kind:     by_value
      - .offset:         96
        .size:           4
        .value_kind:     by_value
      - .address_space:  global
        .offset:         104
        .size:           8
        .value_kind:     global_buffer
      - .address_space:  global
        .offset:         112
        .size:           8
        .value_kind:     global_buffer
      - .offset:         120
        .size:           4
        .value_kind:     by_value
      - .offset:         124
        .size:           4
        .value_kind:     by_value
      - .offset:         128
        .size:           4
        .value_kind:     by_value
      - .offset:         132
        .size:           4
        .value_kind:     by_value
      - .offset:         136
        .size:           4
        .value_kind:     by_value
      - .offset:         144
        .size:           4
        .value_kind:     hidden_block_count_x
      - .offset:         148
        .size:           4
        .value_kind:     hidden_block_count_y
      - .offset:         152
        .size:           4
        .value_kind:     hidden_block_count_z
      - .offset:         156
        .size:           2
        .value_kind:     hidden_group_size_x
      - .offset:         158
        .size:           2
        .value_kind:     hidden_group_size_y
      - .offset:         160
        .size:           2
        .value_kind:     hidden_group_size_z
      - .offset:         162
        .size:           2
        .value_kind:     hidden_remainder_x
      - .offset:         164
        .size:           2
        .value_kind:     hidden_remainder_y
      - .offset:         166
        .size:           2
        .value_kind:     hidden_remainder_z
      - .offset:         184
        .size:           8
        .value_kind:     hidden_global_offset_x
      - .offset:         192
        .size:           8
        .value_kind:     hidden_global_offset_y
      - .offset:         200
        .size:           8
        .value_kind:     hidden_global_offset_z
      - .offset:         208
        .size:           2
        .value_kind:     hidden_grid_dims
      - .offset:         264
        .size:           4
        .value_kind:     hidden_dynamic_lds_size
    .group_segment_fixed_size: 176
    .kernarg_segment_align: 8
    .kernarg_segment_size: 400
    .language:       OpenCL C
    .language_version:
      - 2
      - 0
    .max_flat_workgroup_size: 1024
    .name:           _ZN4vllm25paged_attention_v2_kernelI14__hip_bfloat16hLi80ELi8ELi128ELNS_18Fp8KVCacheDataTypeE1ELb0ELi512EEEvPfS3_PT_PKS4_PKT0_SA_ifPKiSC_iPKfiiiSE_SE_iiiii
    .private_segment_fixed_size: 0
    .sgpr_count:     59
    .sgpr_spill_count: 0
    .symbol:         _ZN4vllm25paged_attention_v2_kernelI14__hip_bfloat16hLi80ELi8ELi128ELNS_18Fp8KVCacheDataTypeE1ELb0ELi512EEEvPfS3_PT_PKS4_PKT0_SA_ifPKiSC_iPKfiiiSE_SE_iiiii.kd
    .uniform_work_group_size: 1
    .uses_dynamic_stack: false
    .vgpr_count:     50
    .vgpr_spill_count: 0
    .wavefront_size: 64
  - .agpr_count:     0
    .args:
      - .actual_access:  write_only
        .address_space:  global
        .offset:         0
        .size:           8
        .value_kind:     global_buffer
      - .actual_access:  write_only
        .address_space:  global
        .offset:         8
        .size:           8
        .value_kind:     global_buffer
      - .actual_access:  write_only
        .address_space:  global
        .offset:         16
        .size:           8
        .value_kind:     global_buffer
      - .actual_access:  read_only
        .address_space:  global
        .offset:         24
        .size:           8
        .value_kind:     global_buffer
      - .actual_access:  read_only
        .address_space:  global
        .offset:         32
        .size:           8
        .value_kind:     global_buffer
      - .actual_access:  read_only
        .address_space:  global
        .offset:         40
        .size:           8
        .value_kind:     global_buffer
      - .offset:         48
        .size:           4
        .value_kind:     by_value
      - .offset:         52
        .size:           4
        .value_kind:     by_value
      - .actual_access:  read_only
        .address_space:  global
        .offset:         56
        .size:           8
        .value_kind:     global_buffer
      - .actual_access:  read_only
        .address_space:  global
        .offset:         64
        .size:           8
        .value_kind:     global_buffer
      - .offset:         72
        .size:           4
        .value_kind:     by_value
      - .actual_access:  read_only
        .address_space:  global
        .offset:         80
        .size:           8
        .value_kind:     global_buffer
      - .offset:         88
        .size:           4
        .value_kind:     by_value
      - .offset:         92
        .size:           4
        .value_kind:     by_value
      - .offset:         96
        .size:           4
        .value_kind:     by_value
      - .address_space:  global
        .offset:         104
        .size:           8
        .value_kind:     global_buffer
      - .address_space:  global
        .offset:         112
        .size:           8
        .value_kind:     global_buffer
      - .offset:         120
        .size:           4
        .value_kind:     by_value
      - .offset:         124
        .size:           4
        .value_kind:     by_value
      - .offset:         128
        .size:           4
        .value_kind:     by_value
      - .offset:         132
        .size:           4
        .value_kind:     by_value
      - .offset:         136
        .size:           4
        .value_kind:     by_value
      - .offset:         144
        .size:           4
        .value_kind:     hidden_block_count_x
      - .offset:         148
        .size:           4
        .value_kind:     hidden_block_count_y
      - .offset:         152
        .size:           4
        .value_kind:     hidden_block_count_z
      - .offset:         156
        .size:           2
        .value_kind:     hidden_group_size_x
      - .offset:         158
        .size:           2
        .value_kind:     hidden_group_size_y
      - .offset:         160
        .size:           2
        .value_kind:     hidden_group_size_z
      - .offset:         162
        .size:           2
        .value_kind:     hidden_remainder_x
      - .offset:         164
        .size:           2
        .value_kind:     hidden_remainder_y
      - .offset:         166
        .size:           2
        .value_kind:     hidden_remainder_z
      - .offset:         184
        .size:           8
        .value_kind:     hidden_global_offset_x
      - .offset:         192
        .size:           8
        .value_kind:     hidden_global_offset_y
      - .offset:         200
        .size:           8
        .value_kind:     hidden_global_offset_z
      - .offset:         208
        .size:           2
        .value_kind:     hidden_grid_dims
      - .offset:         264
        .size:           4
        .value_kind:     hidden_dynamic_lds_size
    .group_segment_fixed_size: 208
    .kernarg_segment_align: 8
    .kernarg_segment_size: 400
    .language:       OpenCL C
    .language_version:
      - 2
      - 0
    .max_flat_workgroup_size: 1024
    .name:           _ZN4vllm25paged_attention_v2_kernelI14__hip_bfloat16hLi96ELi8ELi128ELNS_18Fp8KVCacheDataTypeE1ELb0ELi512EEEvPfS3_PT_PKS4_PKT0_SA_ifPKiSC_iPKfiiiSE_SE_iiiii
    .private_segment_fixed_size: 0
    .sgpr_count:     59
    .sgpr_spill_count: 0
    .symbol:         _ZN4vllm25paged_attention_v2_kernelI14__hip_bfloat16hLi96ELi8ELi128ELNS_18Fp8KVCacheDataTypeE1ELb0ELi512EEEvPfS3_PT_PKS4_PKT0_SA_ifPKiSC_iPKfiiiSE_SE_iiiii.kd
    .uniform_work_group_size: 1
    .uses_dynamic_stack: false
    .vgpr_count:     54
    .vgpr_spill_count: 0
    .wavefront_size: 64
  - .agpr_count:     0
    .args:
      - .actual_access:  write_only
        .address_space:  global
        .offset:         0
        .size:           8
        .value_kind:     global_buffer
      - .actual_access:  write_only
        .address_space:  global
        .offset:         8
        .size:           8
        .value_kind:     global_buffer
      - .actual_access:  write_only
        .address_space:  global
        .offset:         16
        .size:           8
        .value_kind:     global_buffer
      - .actual_access:  read_only
        .address_space:  global
        .offset:         24
        .size:           8
        .value_kind:     global_buffer
      - .actual_access:  read_only
        .address_space:  global
        .offset:         32
        .size:           8
        .value_kind:     global_buffer
      - .actual_access:  read_only
        .address_space:  global
        .offset:         40
        .size:           8
        .value_kind:     global_buffer
      - .offset:         48
        .size:           4
        .value_kind:     by_value
      - .offset:         52
        .size:           4
        .value_kind:     by_value
      - .actual_access:  read_only
        .address_space:  global
        .offset:         56
        .size:           8
        .value_kind:     global_buffer
      - .actual_access:  read_only
        .address_space:  global
        .offset:         64
        .size:           8
        .value_kind:     global_buffer
      - .offset:         72
        .size:           4
        .value_kind:     by_value
      - .actual_access:  read_only
        .address_space:  global
        .offset:         80
        .size:           8
        .value_kind:     global_buffer
      - .offset:         88
        .size:           4
        .value_kind:     by_value
      - .offset:         92
        .size:           4
        .value_kind:     by_value
      - .offset:         96
        .size:           4
        .value_kind:     by_value
      - .address_space:  global
        .offset:         104
        .size:           8
        .value_kind:     global_buffer
      - .address_space:  global
        .offset:         112
        .size:           8
        .value_kind:     global_buffer
      - .offset:         120
        .size:           4
        .value_kind:     by_value
      - .offset:         124
        .size:           4
        .value_kind:     by_value
      - .offset:         128
        .size:           4
        .value_kind:     by_value
      - .offset:         132
        .size:           4
        .value_kind:     by_value
      - .offset:         136
        .size:           4
        .value_kind:     by_value
      - .offset:         144
        .size:           4
        .value_kind:     hidden_block_count_x
      - .offset:         148
        .size:           4
        .value_kind:     hidden_block_count_y
      - .offset:         152
        .size:           4
        .value_kind:     hidden_block_count_z
      - .offset:         156
        .size:           2
        .value_kind:     hidden_group_size_x
      - .offset:         158
        .size:           2
        .value_kind:     hidden_group_size_y
      - .offset:         160
        .size:           2
        .value_kind:     hidden_group_size_z
      - .offset:         162
        .size:           2
        .value_kind:     hidden_remainder_x
      - .offset:         164
        .size:           2
        .value_kind:     hidden_remainder_y
      - .offset:         166
        .size:           2
        .value_kind:     hidden_remainder_z
      - .offset:         184
        .size:           8
        .value_kind:     hidden_global_offset_x
      - .offset:         192
        .size:           8
        .value_kind:     hidden_global_offset_y
      - .offset:         200
        .size:           8
        .value_kind:     hidden_global_offset_z
      - .offset:         208
        .size:           2
        .value_kind:     hidden_grid_dims
      - .offset:         264
        .size:           4
        .value_kind:     hidden_dynamic_lds_size
    .group_segment_fixed_size: 240
    .kernarg_segment_align: 8
    .kernarg_segment_size: 400
    .language:       OpenCL C
    .language_version:
      - 2
      - 0
    .max_flat_workgroup_size: 1024
    .name:           _ZN4vllm25paged_attention_v2_kernelI14__hip_bfloat16hLi112ELi8ELi128ELNS_18Fp8KVCacheDataTypeE1ELb0ELi512EEEvPfS3_PT_PKS4_PKT0_SA_ifPKiSC_iPKfiiiSE_SE_iiiii
    .private_segment_fixed_size: 0
    .sgpr_count:     59
    .sgpr_spill_count: 0
    .symbol:         _ZN4vllm25paged_attention_v2_kernelI14__hip_bfloat16hLi112ELi8ELi128ELNS_18Fp8KVCacheDataTypeE1ELb0ELi512EEEvPfS3_PT_PKS4_PKT0_SA_ifPKiSC_iPKfiiiSE_SE_iiiii.kd
    .uniform_work_group_size: 1
    .uses_dynamic_stack: false
    .vgpr_count:     58
    .vgpr_spill_count: 0
    .wavefront_size: 64
  - .agpr_count:     0
    .args:
      - .actual_access:  write_only
        .address_space:  global
        .offset:         0
        .size:           8
        .value_kind:     global_buffer
      - .actual_access:  write_only
        .address_space:  global
        .offset:         8
        .size:           8
        .value_kind:     global_buffer
      - .actual_access:  write_only
        .address_space:  global
        .offset:         16
        .size:           8
        .value_kind:     global_buffer
      - .actual_access:  read_only
        .address_space:  global
        .offset:         24
        .size:           8
        .value_kind:     global_buffer
      - .actual_access:  read_only
        .address_space:  global
        .offset:         32
        .size:           8
        .value_kind:     global_buffer
      - .actual_access:  read_only
        .address_space:  global
        .offset:         40
        .size:           8
        .value_kind:     global_buffer
      - .offset:         48
        .size:           4
        .value_kind:     by_value
      - .offset:         52
        .size:           4
        .value_kind:     by_value
      - .actual_access:  read_only
        .address_space:  global
        .offset:         56
        .size:           8
        .value_kind:     global_buffer
      - .actual_access:  read_only
        .address_space:  global
        .offset:         64
        .size:           8
        .value_kind:     global_buffer
      - .offset:         72
        .size:           4
        .value_kind:     by_value
      - .actual_access:  read_only
        .address_space:  global
        .offset:         80
        .size:           8
        .value_kind:     global_buffer
      - .offset:         88
        .size:           4
        .value_kind:     by_value
      - .offset:         92
        .size:           4
        .value_kind:     by_value
      - .offset:         96
        .size:           4
        .value_kind:     by_value
      - .address_space:  global
        .offset:         104
        .size:           8
        .value_kind:     global_buffer
      - .address_space:  global
        .offset:         112
        .size:           8
        .value_kind:     global_buffer
      - .offset:         120
        .size:           4
        .value_kind:     by_value
      - .offset:         124
        .size:           4
        .value_kind:     by_value
      - .offset:         128
        .size:           4
        .value_kind:     by_value
      - .offset:         132
        .size:           4
        .value_kind:     by_value
      - .offset:         136
        .size:           4
        .value_kind:     by_value
      - .offset:         144
        .size:           4
        .value_kind:     hidden_block_count_x
      - .offset:         148
        .size:           4
        .value_kind:     hidden_block_count_y
      - .offset:         152
        .size:           4
        .value_kind:     hidden_block_count_z
      - .offset:         156
        .size:           2
        .value_kind:     hidden_group_size_x
      - .offset:         158
        .size:           2
        .value_kind:     hidden_group_size_y
      - .offset:         160
        .size:           2
        .value_kind:     hidden_group_size_z
      - .offset:         162
        .size:           2
        .value_kind:     hidden_remainder_x
      - .offset:         164
        .size:           2
        .value_kind:     hidden_remainder_y
      - .offset:         166
        .size:           2
        .value_kind:     hidden_remainder_z
      - .offset:         184
        .size:           8
        .value_kind:     hidden_global_offset_x
      - .offset:         192
        .size:           8
        .value_kind:     hidden_global_offset_y
      - .offset:         200
        .size:           8
        .value_kind:     hidden_global_offset_z
      - .offset:         208
        .size:           2
        .value_kind:     hidden_grid_dims
      - .offset:         264
        .size:           4
        .value_kind:     hidden_dynamic_lds_size
    .group_segment_fixed_size: 256
    .kernarg_segment_align: 8
    .kernarg_segment_size: 400
    .language:       OpenCL C
    .language_version:
      - 2
      - 0
    .max_flat_workgroup_size: 1024
    .name:           _ZN4vllm25paged_attention_v2_kernelI14__hip_bfloat16hLi120ELi8ELi128ELNS_18Fp8KVCacheDataTypeE1ELb0ELi512EEEvPfS3_PT_PKS4_PKT0_SA_ifPKiSC_iPKfiiiSE_SE_iiiii
    .private_segment_fixed_size: 0
    .sgpr_count:     59
    .sgpr_spill_count: 0
    .symbol:         _ZN4vllm25paged_attention_v2_kernelI14__hip_bfloat16hLi120ELi8ELi128ELNS_18Fp8KVCacheDataTypeE1ELb0ELi512EEEvPfS3_PT_PKS4_PKT0_SA_ifPKiSC_iPKfiiiSE_SE_iiiii.kd
    .uniform_work_group_size: 1
    .uses_dynamic_stack: false
    .vgpr_count:     60
    .vgpr_spill_count: 0
    .wavefront_size: 64
  - .agpr_count:     0
    .args:
      - .actual_access:  write_only
        .address_space:  global
        .offset:         0
        .size:           8
        .value_kind:     global_buffer
      - .actual_access:  write_only
        .address_space:  global
        .offset:         8
        .size:           8
        .value_kind:     global_buffer
      - .actual_access:  write_only
        .address_space:  global
        .offset:         16
        .size:           8
        .value_kind:     global_buffer
      - .actual_access:  read_only
        .address_space:  global
        .offset:         24
        .size:           8
        .value_kind:     global_buffer
      - .actual_access:  read_only
        .address_space:  global
        .offset:         32
        .size:           8
        .value_kind:     global_buffer
      - .actual_access:  read_only
        .address_space:  global
        .offset:         40
        .size:           8
        .value_kind:     global_buffer
      - .offset:         48
        .size:           4
        .value_kind:     by_value
      - .offset:         52
        .size:           4
        .value_kind:     by_value
      - .actual_access:  read_only
        .address_space:  global
        .offset:         56
        .size:           8
        .value_kind:     global_buffer
      - .actual_access:  read_only
        .address_space:  global
        .offset:         64
        .size:           8
        .value_kind:     global_buffer
      - .offset:         72
        .size:           4
        .value_kind:     by_value
      - .actual_access:  read_only
        .address_space:  global
        .offset:         80
        .size:           8
        .value_kind:     global_buffer
      - .offset:         88
        .size:           4
        .value_kind:     by_value
      - .offset:         92
        .size:           4
        .value_kind:     by_value
      - .offset:         96
        .size:           4
        .value_kind:     by_value
      - .address_space:  global
        .offset:         104
        .size:           8
        .value_kind:     global_buffer
      - .address_space:  global
        .offset:         112
        .size:           8
        .value_kind:     global_buffer
      - .offset:         120
        .size:           4
        .value_kind:     by_value
      - .offset:         124
        .size:           4
        .value_kind:     by_value
      - .offset:         128
        .size:           4
        .value_kind:     by_value
      - .offset:         132
        .size:           4
        .value_kind:     by_value
      - .offset:         136
        .size:           4
        .value_kind:     by_value
      - .offset:         144
        .size:           4
        .value_kind:     hidden_block_count_x
      - .offset:         148
        .size:           4
        .value_kind:     hidden_block_count_y
      - .offset:         152
        .size:           4
        .value_kind:     hidden_block_count_z
      - .offset:         156
        .size:           2
        .value_kind:     hidden_group_size_x
      - .offset:         158
        .size:           2
        .value_kind:     hidden_group_size_y
      - .offset:         160
        .size:           2
        .value_kind:     hidden_group_size_z
      - .offset:         162
        .size:           2
        .value_kind:     hidden_remainder_x
      - .offset:         164
        .size:           2
        .value_kind:     hidden_remainder_y
      - .offset:         166
        .size:           2
        .value_kind:     hidden_remainder_z
      - .offset:         184
        .size:           8
        .value_kind:     hidden_global_offset_x
      - .offset:         192
        .size:           8
        .value_kind:     hidden_global_offset_y
      - .offset:         200
        .size:           8
        .value_kind:     hidden_global_offset_z
      - .offset:         208
        .size:           2
        .value_kind:     hidden_grid_dims
      - .offset:         264
        .size:           4
        .value_kind:     hidden_dynamic_lds_size
    .group_segment_fixed_size: 272
    .kernarg_segment_align: 8
    .kernarg_segment_size: 400
    .language:       OpenCL C
    .language_version:
      - 2
      - 0
    .max_flat_workgroup_size: 1024
    .name:           _ZN4vllm25paged_attention_v2_kernelI14__hip_bfloat16hLi128ELi8ELi128ELNS_18Fp8KVCacheDataTypeE1ELb0ELi512EEEvPfS3_PT_PKS4_PKT0_SA_ifPKiSC_iPKfiiiSE_SE_iiiii
    .private_segment_fixed_size: 0
    .sgpr_count:     57
    .sgpr_spill_count: 0
    .symbol:         _ZN4vllm25paged_attention_v2_kernelI14__hip_bfloat16hLi128ELi8ELi128ELNS_18Fp8KVCacheDataTypeE1ELb0ELi512EEEvPfS3_PT_PKS4_PKT0_SA_ifPKiSC_iPKfiiiSE_SE_iiiii.kd
    .uniform_work_group_size: 1
    .uses_dynamic_stack: false
    .vgpr_count:     62
    .vgpr_spill_count: 0
    .wavefront_size: 64
  - .agpr_count:     0
    .args:
      - .actual_access:  write_only
        .address_space:  global
        .offset:         0
        .size:           8
        .value_kind:     global_buffer
      - .actual_access:  write_only
        .address_space:  global
        .offset:         8
        .size:           8
        .value_kind:     global_buffer
      - .actual_access:  write_only
        .address_space:  global
        .offset:         16
        .size:           8
        .value_kind:     global_buffer
      - .actual_access:  read_only
        .address_space:  global
        .offset:         24
        .size:           8
        .value_kind:     global_buffer
      - .actual_access:  read_only
        .address_space:  global
        .offset:         32
        .size:           8
        .value_kind:     global_buffer
      - .actual_access:  read_only
        .address_space:  global
        .offset:         40
        .size:           8
        .value_kind:     global_buffer
      - .offset:         48
        .size:           4
        .value_kind:     by_value
      - .offset:         52
        .size:           4
        .value_kind:     by_value
      - .actual_access:  read_only
        .address_space:  global
        .offset:         56
        .size:           8
        .value_kind:     global_buffer
      - .actual_access:  read_only
        .address_space:  global
        .offset:         64
        .size:           8
        .value_kind:     global_buffer
      - .offset:         72
        .size:           4
        .value_kind:     by_value
      - .actual_access:  read_only
        .address_space:  global
        .offset:         80
        .size:           8
        .value_kind:     global_buffer
      - .offset:         88
        .size:           4
        .value_kind:     by_value
      - .offset:         92
        .size:           4
        .value_kind:     by_value
      - .offset:         96
        .size:           4
        .value_kind:     by_value
      - .address_space:  global
        .offset:         104
        .size:           8
        .value_kind:     global_buffer
      - .address_space:  global
        .offset:         112
        .size:           8
        .value_kind:     global_buffer
      - .offset:         120
        .size:           4
        .value_kind:     by_value
      - .offset:         124
        .size:           4
        .value_kind:     by_value
      - .offset:         128
        .size:           4
        .value_kind:     by_value
      - .offset:         132
        .size:           4
        .value_kind:     by_value
      - .offset:         136
        .size:           4
        .value_kind:     by_value
      - .offset:         144
        .size:           4
        .value_kind:     hidden_block_count_x
      - .offset:         148
        .size:           4
        .value_kind:     hidden_block_count_y
      - .offset:         152
        .size:           4
        .value_kind:     hidden_block_count_z
      - .offset:         156
        .size:           2
        .value_kind:     hidden_group_size_x
      - .offset:         158
        .size:           2
        .value_kind:     hidden_group_size_y
      - .offset:         160
        .size:           2
        .value_kind:     hidden_group_size_z
      - .offset:         162
        .size:           2
        .value_kind:     hidden_remainder_x
      - .offset:         164
        .size:           2
        .value_kind:     hidden_remainder_y
      - .offset:         166
        .size:           2
        .value_kind:     hidden_remainder_z
      - .offset:         184
        .size:           8
        .value_kind:     hidden_global_offset_x
      - .offset:         192
        .size:           8
        .value_kind:     hidden_global_offset_y
      - .offset:         200
        .size:           8
        .value_kind:     hidden_global_offset_z
      - .offset:         208
        .size:           2
        .value_kind:     hidden_grid_dims
      - .offset:         264
        .size:           4
        .value_kind:     hidden_dynamic_lds_size
    .group_segment_fixed_size: 400
    .kernarg_segment_align: 8
    .kernarg_segment_size: 400
    .language:       OpenCL C
    .language_version:
      - 2
      - 0
    .max_flat_workgroup_size: 1024
    .name:           _ZN4vllm25paged_attention_v2_kernelI14__hip_bfloat16hLi192ELi8ELi128ELNS_18Fp8KVCacheDataTypeE1ELb0ELi512EEEvPfS3_PT_PKS4_PKT0_SA_ifPKiSC_iPKfiiiSE_SE_iiiii
    .private_segment_fixed_size: 0
    .sgpr_count:     57
    .sgpr_spill_count: 0
    .symbol:         _ZN4vllm25paged_attention_v2_kernelI14__hip_bfloat16hLi192ELi8ELi128ELNS_18Fp8KVCacheDataTypeE1ELb0ELi512EEEvPfS3_PT_PKS4_PKT0_SA_ifPKiSC_iPKfiiiSE_SE_iiiii.kd
    .uniform_work_group_size: 1
    .uses_dynamic_stack: false
    .vgpr_count:     77
    .vgpr_spill_count: 0
    .wavefront_size: 64
  - .agpr_count:     56
    .args:
      - .actual_access:  write_only
        .address_space:  global
        .offset:         0
        .size:           8
        .value_kind:     global_buffer
      - .actual_access:  write_only
        .address_space:  global
        .offset:         8
        .size:           8
        .value_kind:     global_buffer
      - .actual_access:  write_only
        .address_space:  global
        .offset:         16
        .size:           8
        .value_kind:     global_buffer
      - .actual_access:  read_only
        .address_space:  global
        .offset:         24
        .size:           8
        .value_kind:     global_buffer
      - .actual_access:  read_only
        .address_space:  global
        .offset:         32
        .size:           8
        .value_kind:     global_buffer
      - .actual_access:  read_only
        .address_space:  global
        .offset:         40
        .size:           8
        .value_kind:     global_buffer
      - .offset:         48
        .size:           4
        .value_kind:     by_value
      - .offset:         52
        .size:           4
        .value_kind:     by_value
      - .actual_access:  read_only
        .address_space:  global
        .offset:         56
        .size:           8
        .value_kind:     global_buffer
      - .actual_access:  read_only
        .address_space:  global
        .offset:         64
        .size:           8
        .value_kind:     global_buffer
      - .offset:         72
        .size:           4
        .value_kind:     by_value
      - .address_space:  global
        .offset:         80
        .size:           8
        .value_kind:     global_buffer
      - .offset:         88
        .size:           4
        .value_kind:     by_value
      - .offset:         92
        .size:           4
        .value_kind:     by_value
      - .offset:         96
        .size:           4
        .value_kind:     by_value
      - .address_space:  global
        .offset:         104
        .size:           8
        .value_kind:     global_buffer
      - .address_space:  global
        .offset:         112
        .size:           8
        .value_kind:     global_buffer
      - .offset:         120
        .size:           4
        .value_kind:     by_value
      - .offset:         124
        .size:           4
        .value_kind:     by_value
      - .offset:         128
        .size:           4
        .value_kind:     by_value
      - .offset:         132
        .size:           4
        .value_kind:     by_value
      - .offset:         136
        .size:           4
        .value_kind:     by_value
      - .offset:         144
        .size:           4
        .value_kind:     hidden_block_count_x
      - .offset:         148
        .size:           4
        .value_kind:     hidden_block_count_y
      - .offset:         152
        .size:           4
        .value_kind:     hidden_block_count_z
      - .offset:         156
        .size:           2
        .value_kind:     hidden_group_size_x
      - .offset:         158
        .size:           2
        .value_kind:     hidden_group_size_y
      - .offset:         160
        .size:           2
        .value_kind:     hidden_group_size_z
      - .offset:         162
        .size:           2
        .value_kind:     hidden_remainder_x
      - .offset:         164
        .size:           2
        .value_kind:     hidden_remainder_y
      - .offset:         166
        .size:           2
        .value_kind:     hidden_remainder_z
      - .offset:         184
        .size:           8
        .value_kind:     hidden_global_offset_x
      - .offset:         192
        .size:           8
        .value_kind:     hidden_global_offset_y
      - .offset:         200
        .size:           8
        .value_kind:     hidden_global_offset_z
      - .offset:         208
        .size:           2
        .value_kind:     hidden_grid_dims
      - .offset:         264
        .size:           4
        .value_kind:     hidden_dynamic_lds_size
    .group_segment_fixed_size: 528
    .kernarg_segment_align: 8
    .kernarg_segment_size: 400
    .language:       OpenCL C
    .language_version:
      - 2
      - 0
    .max_flat_workgroup_size: 1024
    .name:           _ZN4vllm25paged_attention_v2_kernelI14__hip_bfloat16hLi256ELi8ELi128ELNS_18Fp8KVCacheDataTypeE1ELb0ELi512EEEvPfS3_PT_PKS4_PKT0_SA_ifPKiSC_iPKfiiiSE_SE_iiiii
    .private_segment_fixed_size: 164
    .sgpr_count:     50
    .sgpr_spill_count: 0
    .symbol:         _ZN4vllm25paged_attention_v2_kernelI14__hip_bfloat16hLi256ELi8ELi128ELNS_18Fp8KVCacheDataTypeE1ELb0ELi512EEEvPfS3_PT_PKS4_PKT0_SA_ifPKiSC_iPKfiiiSE_SE_iiiii.kd
    .uniform_work_group_size: 1
    .uses_dynamic_stack: false
    .vgpr_count:     120
    .vgpr_spill_count: 0
    .wavefront_size: 64
  - .agpr_count:     0
    .args:
      - .actual_access:  write_only
        .address_space:  global
        .offset:         0
        .size:           8
        .value_kind:     global_buffer
      - .actual_access:  write_only
        .address_space:  global
        .offset:         8
        .size:           8
        .value_kind:     global_buffer
      - .actual_access:  write_only
        .address_space:  global
        .offset:         16
        .size:           8
        .value_kind:     global_buffer
      - .actual_access:  read_only
        .address_space:  global
        .offset:         24
        .size:           8
        .value_kind:     global_buffer
      - .actual_access:  read_only
        .address_space:  global
        .offset:         32
        .size:           8
        .value_kind:     global_buffer
      - .actual_access:  read_only
        .address_space:  global
        .offset:         40
        .size:           8
        .value_kind:     global_buffer
      - .offset:         48
        .size:           4
        .value_kind:     by_value
      - .offset:         52
        .size:           4
        .value_kind:     by_value
      - .actual_access:  read_only
        .address_space:  global
        .offset:         56
        .size:           8
        .value_kind:     global_buffer
      - .actual_access:  read_only
        .address_space:  global
        .offset:         64
        .size:           8
        .value_kind:     global_buffer
      - .offset:         72
        .size:           4
        .value_kind:     by_value
      - .actual_access:  read_only
        .address_space:  global
        .offset:         80
        .size:           8
        .value_kind:     global_buffer
      - .offset:         88
        .size:           4
        .value_kind:     by_value
      - .offset:         92
        .size:           4
        .value_kind:     by_value
      - .offset:         96
        .size:           4
        .value_kind:     by_value
      - .address_space:  global
        .offset:         104
        .size:           8
        .value_kind:     global_buffer
      - .address_space:  global
        .offset:         112
        .size:           8
        .value_kind:     global_buffer
      - .offset:         120
        .size:           4
        .value_kind:     by_value
      - .offset:         124
        .size:           4
        .value_kind:     by_value
      - .offset:         128
        .size:           4
        .value_kind:     by_value
      - .offset:         132
        .size:           4
        .value_kind:     by_value
      - .offset:         136
        .size:           4
        .value_kind:     by_value
      - .offset:         144
        .size:           4
        .value_kind:     hidden_block_count_x
      - .offset:         148
        .size:           4
        .value_kind:     hidden_block_count_y
      - .offset:         152
        .size:           4
        .value_kind:     hidden_block_count_z
      - .offset:         156
        .size:           2
        .value_kind:     hidden_group_size_x
      - .offset:         158
        .size:           2
        .value_kind:     hidden_group_size_y
      - .offset:         160
        .size:           2
        .value_kind:     hidden_group_size_z
      - .offset:         162
        .size:           2
        .value_kind:     hidden_remainder_x
      - .offset:         164
        .size:           2
        .value_kind:     hidden_remainder_y
      - .offset:         166
        .size:           2
        .value_kind:     hidden_remainder_z
      - .offset:         184
        .size:           8
        .value_kind:     hidden_global_offset_x
      - .offset:         192
        .size:           8
        .value_kind:     hidden_global_offset_y
      - .offset:         200
        .size:           8
        .value_kind:     hidden_global_offset_z
      - .offset:         208
        .size:           2
        .value_kind:     hidden_grid_dims
      - .offset:         264
        .size:           4
        .value_kind:     hidden_dynamic_lds_size
    .group_segment_fixed_size: 80
    .kernarg_segment_align: 8
    .kernarg_segment_size: 400
    .language:       OpenCL C
    .language_version:
      - 2
      - 0
    .max_flat_workgroup_size: 1024
    .name:           _ZN4vllm25paged_attention_v2_kernelI14__hip_bfloat16hLi32ELi16ELi128ELNS_18Fp8KVCacheDataTypeE1ELb1ELi512EEEvPfS3_PT_PKS4_PKT0_SA_ifPKiSC_iPKfiiiSE_SE_iiiii
    .private_segment_fixed_size: 0
    .sgpr_count:     69
    .sgpr_spill_count: 0
    .symbol:         _ZN4vllm25paged_attention_v2_kernelI14__hip_bfloat16hLi32ELi16ELi128ELNS_18Fp8KVCacheDataTypeE1ELb1ELi512EEEvPfS3_PT_PKS4_PKT0_SA_ifPKiSC_iPKfiiiSE_SE_iiiii.kd
    .uniform_work_group_size: 1
    .uses_dynamic_stack: false
    .vgpr_count:     42
    .vgpr_spill_count: 0
    .wavefront_size: 64
  - .agpr_count:     0
    .args:
      - .actual_access:  write_only
        .address_space:  global
        .offset:         0
        .size:           8
        .value_kind:     global_buffer
      - .actual_access:  write_only
        .address_space:  global
        .offset:         8
        .size:           8
        .value_kind:     global_buffer
      - .actual_access:  write_only
        .address_space:  global
        .offset:         16
        .size:           8
        .value_kind:     global_buffer
      - .actual_access:  read_only
        .address_space:  global
        .offset:         24
        .size:           8
        .value_kind:     global_buffer
      - .actual_access:  read_only
        .address_space:  global
        .offset:         32
        .size:           8
        .value_kind:     global_buffer
      - .actual_access:  read_only
        .address_space:  global
        .offset:         40
        .size:           8
        .value_kind:     global_buffer
      - .offset:         48
        .size:           4
        .value_kind:     by_value
      - .offset:         52
        .size:           4
        .value_kind:     by_value
      - .actual_access:  read_only
        .address_space:  global
        .offset:         56
        .size:           8
        .value_kind:     global_buffer
      - .actual_access:  read_only
        .address_space:  global
        .offset:         64
        .size:           8
        .value_kind:     global_buffer
      - .offset:         72
        .size:           4
        .value_kind:     by_value
      - .actual_access:  read_only
        .address_space:  global
        .offset:         80
        .size:           8
        .value_kind:     global_buffer
      - .offset:         88
        .size:           4
        .value_kind:     by_value
      - .offset:         92
        .size:           4
        .value_kind:     by_value
      - .offset:         96
        .size:           4
        .value_kind:     by_value
      - .address_space:  global
        .offset:         104
        .size:           8
        .value_kind:     global_buffer
      - .address_space:  global
        .offset:         112
        .size:           8
        .value_kind:     global_buffer
      - .offset:         120
        .size:           4
        .value_kind:     by_value
      - .offset:         124
        .size:           4
        .value_kind:     by_value
      - .offset:         128
        .size:           4
        .value_kind:     by_value
      - .offset:         132
        .size:           4
        .value_kind:     by_value
      - .offset:         136
        .size:           4
        .value_kind:     by_value
      - .offset:         144
        .size:           4
        .value_kind:     hidden_block_count_x
      - .offset:         148
        .size:           4
        .value_kind:     hidden_block_count_y
      - .offset:         152
        .size:           4
        .value_kind:     hidden_block_count_z
      - .offset:         156
        .size:           2
        .value_kind:     hidden_group_size_x
      - .offset:         158
        .size:           2
        .value_kind:     hidden_group_size_y
      - .offset:         160
        .size:           2
        .value_kind:     hidden_group_size_z
      - .offset:         162
        .size:           2
        .value_kind:     hidden_remainder_x
      - .offset:         164
        .size:           2
        .value_kind:     hidden_remainder_y
      - .offset:         166
        .size:           2
        .value_kind:     hidden_remainder_z
      - .offset:         184
        .size:           8
        .value_kind:     hidden_global_offset_x
      - .offset:         192
        .size:           8
        .value_kind:     hidden_global_offset_y
      - .offset:         200
        .size:           8
        .value_kind:     hidden_global_offset_z
      - .offset:         208
        .size:           2
        .value_kind:     hidden_grid_dims
      - .offset:         264
        .size:           4
        .value_kind:     hidden_dynamic_lds_size
    .group_segment_fixed_size: 144
    .kernarg_segment_align: 8
    .kernarg_segment_size: 400
    .language:       OpenCL C
    .language_version:
      - 2
      - 0
    .max_flat_workgroup_size: 1024
    .name:           _ZN4vllm25paged_attention_v2_kernelI14__hip_bfloat16hLi64ELi16ELi128ELNS_18Fp8KVCacheDataTypeE1ELb1ELi512EEEvPfS3_PT_PKS4_PKT0_SA_ifPKiSC_iPKfiiiSE_SE_iiiii
    .private_segment_fixed_size: 0
    .sgpr_count:     69
    .sgpr_spill_count: 0
    .symbol:         _ZN4vllm25paged_attention_v2_kernelI14__hip_bfloat16hLi64ELi16ELi128ELNS_18Fp8KVCacheDataTypeE1ELb1ELi512EEEvPfS3_PT_PKS4_PKT0_SA_ifPKiSC_iPKfiiiSE_SE_iiiii.kd
    .uniform_work_group_size: 1
    .uses_dynamic_stack: false
    .vgpr_count:     57
    .vgpr_spill_count: 0
    .wavefront_size: 64
  - .agpr_count:     0
    .args:
      - .actual_access:  write_only
        .address_space:  global
        .offset:         0
        .size:           8
        .value_kind:     global_buffer
      - .actual_access:  write_only
        .address_space:  global
        .offset:         8
        .size:           8
        .value_kind:     global_buffer
      - .actual_access:  write_only
        .address_space:  global
        .offset:         16
        .size:           8
        .value_kind:     global_buffer
      - .actual_access:  read_only
        .address_space:  global
        .offset:         24
        .size:           8
        .value_kind:     global_buffer
      - .actual_access:  read_only
        .address_space:  global
        .offset:         32
        .size:           8
        .value_kind:     global_buffer
      - .actual_access:  read_only
        .address_space:  global
        .offset:         40
        .size:           8
        .value_kind:     global_buffer
      - .offset:         48
        .size:           4
        .value_kind:     by_value
      - .offset:         52
        .size:           4
        .value_kind:     by_value
      - .actual_access:  read_only
        .address_space:  global
        .offset:         56
        .size:           8
        .value_kind:     global_buffer
      - .actual_access:  read_only
        .address_space:  global
        .offset:         64
        .size:           8
        .value_kind:     global_buffer
      - .offset:         72
        .size:           4
        .value_kind:     by_value
      - .actual_access:  read_only
        .address_space:  global
        .offset:         80
        .size:           8
        .value_kind:     global_buffer
      - .offset:         88
        .size:           4
        .value_kind:     by_value
      - .offset:         92
        .size:           4
        .value_kind:     by_value
      - .offset:         96
        .size:           4
        .value_kind:     by_value
      - .address_space:  global
        .offset:         104
        .size:           8
        .value_kind:     global_buffer
      - .address_space:  global
        .offset:         112
        .size:           8
        .value_kind:     global_buffer
      - .offset:         120
        .size:           4
        .value_kind:     by_value
      - .offset:         124
        .size:           4
        .value_kind:     by_value
      - .offset:         128
        .size:           4
        .value_kind:     by_value
      - .offset:         132
        .size:           4
        .value_kind:     by_value
      - .offset:         136
        .size:           4
        .value_kind:     by_value
      - .offset:         144
        .size:           4
        .value_kind:     hidden_block_count_x
      - .offset:         148
        .size:           4
        .value_kind:     hidden_block_count_y
      - .offset:         152
        .size:           4
        .value_kind:     hidden_block_count_z
      - .offset:         156
        .size:           2
        .value_kind:     hidden_group_size_x
      - .offset:         158
        .size:           2
        .value_kind:     hidden_group_size_y
      - .offset:         160
        .size:           2
        .value_kind:     hidden_group_size_z
      - .offset:         162
        .size:           2
        .value_kind:     hidden_remainder_x
      - .offset:         164
        .size:           2
        .value_kind:     hidden_remainder_y
      - .offset:         166
        .size:           2
        .value_kind:     hidden_remainder_z
      - .offset:         184
        .size:           8
        .value_kind:     hidden_global_offset_x
      - .offset:         192
        .size:           8
        .value_kind:     hidden_global_offset_y
      - .offset:         200
        .size:           8
        .value_kind:     hidden_global_offset_z
      - .offset:         208
        .size:           2
        .value_kind:     hidden_grid_dims
      - .offset:         264
        .size:           4
        .value_kind:     hidden_dynamic_lds_size
    .group_segment_fixed_size: 176
    .kernarg_segment_align: 8
    .kernarg_segment_size: 400
    .language:       OpenCL C
    .language_version:
      - 2
      - 0
    .max_flat_workgroup_size: 1024
    .name:           _ZN4vllm25paged_attention_v2_kernelI14__hip_bfloat16hLi80ELi16ELi128ELNS_18Fp8KVCacheDataTypeE1ELb1ELi512EEEvPfS3_PT_PKS4_PKT0_SA_ifPKiSC_iPKfiiiSE_SE_iiiii
    .private_segment_fixed_size: 0
    .sgpr_count:     69
    .sgpr_spill_count: 0
    .symbol:         _ZN4vllm25paged_attention_v2_kernelI14__hip_bfloat16hLi80ELi16ELi128ELNS_18Fp8KVCacheDataTypeE1ELb1ELi512EEEvPfS3_PT_PKS4_PKT0_SA_ifPKiSC_iPKfiiiSE_SE_iiiii.kd
    .uniform_work_group_size: 1
    .uses_dynamic_stack: false
    .vgpr_count:     65
    .vgpr_spill_count: 0
    .wavefront_size: 64
  - .agpr_count:     0
    .args:
      - .actual_access:  write_only
        .address_space:  global
        .offset:         0
        .size:           8
        .value_kind:     global_buffer
      - .actual_access:  write_only
        .address_space:  global
        .offset:         8
        .size:           8
        .value_kind:     global_buffer
      - .actual_access:  write_only
        .address_space:  global
        .offset:         16
        .size:           8
        .value_kind:     global_buffer
      - .actual_access:  read_only
        .address_space:  global
        .offset:         24
        .size:           8
        .value_kind:     global_buffer
      - .actual_access:  read_only
        .address_space:  global
        .offset:         32
        .size:           8
        .value_kind:     global_buffer
      - .actual_access:  read_only
        .address_space:  global
        .offset:         40
        .size:           8
        .value_kind:     global_buffer
      - .offset:         48
        .size:           4
        .value_kind:     by_value
      - .offset:         52
        .size:           4
        .value_kind:     by_value
      - .actual_access:  read_only
        .address_space:  global
        .offset:         56
        .size:           8
        .value_kind:     global_buffer
      - .actual_access:  read_only
        .address_space:  global
        .offset:         64
        .size:           8
        .value_kind:     global_buffer
      - .offset:         72
        .size:           4
        .value_kind:     by_value
      - .actual_access:  read_only
        .address_space:  global
        .offset:         80
        .size:           8
        .value_kind:     global_buffer
      - .offset:         88
        .size:           4
        .value_kind:     by_value
      - .offset:         92
        .size:           4
        .value_kind:     by_value
      - .offset:         96
        .size:           4
        .value_kind:     by_value
      - .address_space:  global
        .offset:         104
        .size:           8
        .value_kind:     global_buffer
      - .address_space:  global
        .offset:         112
        .size:           8
        .value_kind:     global_buffer
      - .offset:         120
        .size:           4
        .value_kind:     by_value
      - .offset:         124
        .size:           4
        .value_kind:     by_value
      - .offset:         128
        .size:           4
        .value_kind:     by_value
      - .offset:         132
        .size:           4
        .value_kind:     by_value
      - .offset:         136
        .size:           4
        .value_kind:     by_value
      - .offset:         144
        .size:           4
        .value_kind:     hidden_block_count_x
      - .offset:         148
        .size:           4
        .value_kind:     hidden_block_count_y
      - .offset:         152
        .size:           4
        .value_kind:     hidden_block_count_z
      - .offset:         156
        .size:           2
        .value_kind:     hidden_group_size_x
      - .offset:         158
        .size:           2
        .value_kind:     hidden_group_size_y
      - .offset:         160
        .size:           2
        .value_kind:     hidden_group_size_z
      - .offset:         162
        .size:           2
        .value_kind:     hidden_remainder_x
      - .offset:         164
        .size:           2
        .value_kind:     hidden_remainder_y
      - .offset:         166
        .size:           2
        .value_kind:     hidden_remainder_z
      - .offset:         184
        .size:           8
        .value_kind:     hidden_global_offset_x
      - .offset:         192
        .size:           8
        .value_kind:     hidden_global_offset_y
      - .offset:         200
        .size:           8
        .value_kind:     hidden_global_offset_z
      - .offset:         208
        .size:           2
        .value_kind:     hidden_grid_dims
      - .offset:         264
        .size:           4
        .value_kind:     hidden_dynamic_lds_size
    .group_segment_fixed_size: 208
    .kernarg_segment_align: 8
    .kernarg_segment_size: 400
    .language:       OpenCL C
    .language_version:
      - 2
      - 0
    .max_flat_workgroup_size: 1024
    .name:           _ZN4vllm25paged_attention_v2_kernelI14__hip_bfloat16hLi96ELi16ELi128ELNS_18Fp8KVCacheDataTypeE1ELb1ELi512EEEvPfS3_PT_PKS4_PKT0_SA_ifPKiSC_iPKfiiiSE_SE_iiiii
    .private_segment_fixed_size: 0
    .sgpr_count:     69
    .sgpr_spill_count: 0
    .symbol:         _ZN4vllm25paged_attention_v2_kernelI14__hip_bfloat16hLi96ELi16ELi128ELNS_18Fp8KVCacheDataTypeE1ELb1ELi512EEEvPfS3_PT_PKS4_PKT0_SA_ifPKiSC_iPKfiiiSE_SE_iiiii.kd
    .uniform_work_group_size: 1
    .uses_dynamic_stack: false
    .vgpr_count:     73
    .vgpr_spill_count: 0
    .wavefront_size: 64
  - .agpr_count:     0
    .args:
      - .actual_access:  write_only
        .address_space:  global
        .offset:         0
        .size:           8
        .value_kind:     global_buffer
      - .actual_access:  write_only
        .address_space:  global
        .offset:         8
        .size:           8
        .value_kind:     global_buffer
      - .actual_access:  write_only
        .address_space:  global
        .offset:         16
        .size:           8
        .value_kind:     global_buffer
      - .actual_access:  read_only
        .address_space:  global
        .offset:         24
        .size:           8
        .value_kind:     global_buffer
      - .actual_access:  read_only
        .address_space:  global
        .offset:         32
        .size:           8
        .value_kind:     global_buffer
      - .actual_access:  read_only
        .address_space:  global
        .offset:         40
        .size:           8
        .value_kind:     global_buffer
      - .offset:         48
        .size:           4
        .value_kind:     by_value
      - .offset:         52
        .size:           4
        .value_kind:     by_value
      - .actual_access:  read_only
        .address_space:  global
        .offset:         56
        .size:           8
        .value_kind:     global_buffer
      - .actual_access:  read_only
        .address_space:  global
        .offset:         64
        .size:           8
        .value_kind:     global_buffer
      - .offset:         72
        .size:           4
        .value_kind:     by_value
      - .actual_access:  read_only
        .address_space:  global
        .offset:         80
        .size:           8
        .value_kind:     global_buffer
      - .offset:         88
        .size:           4
        .value_kind:     by_value
      - .offset:         92
        .size:           4
        .value_kind:     by_value
      - .offset:         96
        .size:           4
        .value_kind:     by_value
      - .address_space:  global
        .offset:         104
        .size:           8
        .value_kind:     global_buffer
      - .address_space:  global
        .offset:         112
        .size:           8
        .value_kind:     global_buffer
      - .offset:         120
        .size:           4
        .value_kind:     by_value
      - .offset:         124
        .size:           4
        .value_kind:     by_value
      - .offset:         128
        .size:           4
        .value_kind:     by_value
      - .offset:         132
        .size:           4
        .value_kind:     by_value
      - .offset:         136
        .size:           4
        .value_kind:     by_value
      - .offset:         144
        .size:           4
        .value_kind:     hidden_block_count_x
      - .offset:         148
        .size:           4
        .value_kind:     hidden_block_count_y
      - .offset:         152
        .size:           4
        .value_kind:     hidden_block_count_z
      - .offset:         156
        .size:           2
        .value_kind:     hidden_group_size_x
      - .offset:         158
        .size:           2
        .value_kind:     hidden_group_size_y
      - .offset:         160
        .size:           2
        .value_kind:     hidden_group_size_z
      - .offset:         162
        .size:           2
        .value_kind:     hidden_remainder_x
      - .offset:         164
        .size:           2
        .value_kind:     hidden_remainder_y
      - .offset:         166
        .size:           2
        .value_kind:     hidden_remainder_z
      - .offset:         184
        .size:           8
        .value_kind:     hidden_global_offset_x
      - .offset:         192
        .size:           8
        .value_kind:     hidden_global_offset_y
      - .offset:         200
        .size:           8
        .value_kind:     hidden_global_offset_z
      - .offset:         208
        .size:           2
        .value_kind:     hidden_grid_dims
      - .offset:         264
        .size:           4
        .value_kind:     hidden_dynamic_lds_size
    .group_segment_fixed_size: 240
    .kernarg_segment_align: 8
    .kernarg_segment_size: 400
    .language:       OpenCL C
    .language_version:
      - 2
      - 0
    .max_flat_workgroup_size: 1024
    .name:           _ZN4vllm25paged_attention_v2_kernelI14__hip_bfloat16hLi112ELi16ELi128ELNS_18Fp8KVCacheDataTypeE1ELb1ELi512EEEvPfS3_PT_PKS4_PKT0_SA_ifPKiSC_iPKfiiiSE_SE_iiiii
    .private_segment_fixed_size: 0
    .sgpr_count:     69
    .sgpr_spill_count: 0
    .symbol:         _ZN4vllm25paged_attention_v2_kernelI14__hip_bfloat16hLi112ELi16ELi128ELNS_18Fp8KVCacheDataTypeE1ELb1ELi512EEEvPfS3_PT_PKS4_PKT0_SA_ifPKiSC_iPKfiiiSE_SE_iiiii.kd
    .uniform_work_group_size: 1
    .uses_dynamic_stack: false
    .vgpr_count:     81
    .vgpr_spill_count: 0
    .wavefront_size: 64
  - .agpr_count:     52
    .args:
      - .actual_access:  write_only
        .address_space:  global
        .offset:         0
        .size:           8
        .value_kind:     global_buffer
      - .actual_access:  write_only
        .address_space:  global
        .offset:         8
        .size:           8
        .value_kind:     global_buffer
      - .actual_access:  write_only
        .address_space:  global
        .offset:         16
        .size:           8
        .value_kind:     global_buffer
      - .actual_access:  read_only
        .address_space:  global
        .offset:         24
        .size:           8
        .value_kind:     global_buffer
      - .actual_access:  read_only
        .address_space:  global
        .offset:         32
        .size:           8
        .value_kind:     global_buffer
      - .actual_access:  read_only
        .address_space:  global
        .offset:         40
        .size:           8
        .value_kind:     global_buffer
      - .offset:         48
        .size:           4
        .value_kind:     by_value
      - .offset:         52
        .size:           4
        .value_kind:     by_value
      - .actual_access:  read_only
        .address_space:  global
        .offset:         56
        .size:           8
        .value_kind:     global_buffer
      - .actual_access:  read_only
        .address_space:  global
        .offset:         64
        .size:           8
        .value_kind:     global_buffer
      - .offset:         72
        .size:           4
        .value_kind:     by_value
      - .address_space:  global
        .offset:         80
        .size:           8
        .value_kind:     global_buffer
      - .offset:         88
        .size:           4
        .value_kind:     by_value
      - .offset:         92
        .size:           4
        .value_kind:     by_value
      - .offset:         96
        .size:           4
        .value_kind:     by_value
      - .address_space:  global
        .offset:         104
        .size:           8
        .value_kind:     global_buffer
      - .address_space:  global
        .offset:         112
        .size:           8
        .value_kind:     global_buffer
      - .offset:         120
        .size:           4
        .value_kind:     by_value
      - .offset:         124
        .size:           4
        .value_kind:     by_value
      - .offset:         128
        .size:           4
        .value_kind:     by_value
      - .offset:         132
        .size:           4
        .value_kind:     by_value
      - .offset:         136
        .size:           4
        .value_kind:     by_value
      - .offset:         144
        .size:           4
        .value_kind:     hidden_block_count_x
      - .offset:         148
        .size:           4
        .value_kind:     hidden_block_count_y
      - .offset:         152
        .size:           4
        .value_kind:     hidden_block_count_z
      - .offset:         156
        .size:           2
        .value_kind:     hidden_group_size_x
      - .offset:         158
        .size:           2
        .value_kind:     hidden_group_size_y
      - .offset:         160
        .size:           2
        .value_kind:     hidden_group_size_z
      - .offset:         162
        .size:           2
        .value_kind:     hidden_remainder_x
      - .offset:         164
        .size:           2
        .value_kind:     hidden_remainder_y
      - .offset:         166
        .size:           2
        .value_kind:     hidden_remainder_z
      - .offset:         184
        .size:           8
        .value_kind:     hidden_global_offset_x
      - .offset:         192
        .size:           8
        .value_kind:     hidden_global_offset_y
      - .offset:         200
        .size:           8
        .value_kind:     hidden_global_offset_z
      - .offset:         208
        .size:           2
        .value_kind:     hidden_grid_dims
      - .offset:         264
        .size:           4
        .value_kind:     hidden_dynamic_lds_size
    .group_segment_fixed_size: 256
    .kernarg_segment_align: 8
    .kernarg_segment_size: 400
    .language:       OpenCL C
    .language_version:
      - 2
      - 0
    .max_flat_workgroup_size: 1024
    .name:           _ZN4vllm25paged_attention_v2_kernelI14__hip_bfloat16hLi120ELi16ELi128ELNS_18Fp8KVCacheDataTypeE1ELb1ELi512EEEvPfS3_PT_PKS4_PKT0_SA_ifPKiSC_iPKfiiiSE_SE_iiiii
    .private_segment_fixed_size: 164
    .sgpr_count:     54
    .sgpr_spill_count: 0
    .symbol:         _ZN4vllm25paged_attention_v2_kernelI14__hip_bfloat16hLi120ELi16ELi128ELNS_18Fp8KVCacheDataTypeE1ELb1ELi512EEEvPfS3_PT_PKS4_PKT0_SA_ifPKiSC_iPKfiiiSE_SE_iiiii.kd
    .uniform_work_group_size: 1
    .uses_dynamic_stack: false
    .vgpr_count:     116
    .vgpr_spill_count: 0
    .wavefront_size: 64
  - .agpr_count:     53
    .args:
      - .actual_access:  write_only
        .address_space:  global
        .offset:         0
        .size:           8
        .value_kind:     global_buffer
      - .actual_access:  write_only
        .address_space:  global
        .offset:         8
        .size:           8
        .value_kind:     global_buffer
      - .actual_access:  write_only
        .address_space:  global
        .offset:         16
        .size:           8
        .value_kind:     global_buffer
      - .actual_access:  read_only
        .address_space:  global
        .offset:         24
        .size:           8
        .value_kind:     global_buffer
      - .actual_access:  read_only
        .address_space:  global
        .offset:         32
        .size:           8
        .value_kind:     global_buffer
      - .actual_access:  read_only
        .address_space:  global
        .offset:         40
        .size:           8
        .value_kind:     global_buffer
      - .offset:         48
        .size:           4
        .value_kind:     by_value
      - .offset:         52
        .size:           4
        .value_kind:     by_value
      - .actual_access:  read_only
        .address_space:  global
        .offset:         56
        .size:           8
        .value_kind:     global_buffer
      - .actual_access:  read_only
        .address_space:  global
        .offset:         64
        .size:           8
        .value_kind:     global_buffer
      - .offset:         72
        .size:           4
        .value_kind:     by_value
      - .address_space:  global
        .offset:         80
        .size:           8
        .value_kind:     global_buffer
      - .offset:         88
        .size:           4
        .value_kind:     by_value
      - .offset:         92
        .size:           4
        .value_kind:     by_value
      - .offset:         96
        .size:           4
        .value_kind:     by_value
      - .address_space:  global
        .offset:         104
        .size:           8
        .value_kind:     global_buffer
      - .address_space:  global
        .offset:         112
        .size:           8
        .value_kind:     global_buffer
      - .offset:         120
        .size:           4
        .value_kind:     by_value
      - .offset:         124
        .size:           4
        .value_kind:     by_value
      - .offset:         128
        .size:           4
        .value_kind:     by_value
      - .offset:         132
        .size:           4
        .value_kind:     by_value
      - .offset:         136
        .size:           4
        .value_kind:     by_value
      - .offset:         144
        .size:           4
        .value_kind:     hidden_block_count_x
      - .offset:         148
        .size:           4
        .value_kind:     hidden_block_count_y
      - .offset:         152
        .size:           4
        .value_kind:     hidden_block_count_z
      - .offset:         156
        .size:           2
        .value_kind:     hidden_group_size_x
      - .offset:         158
        .size:           2
        .value_kind:     hidden_group_size_y
      - .offset:         160
        .size:           2
        .value_kind:     hidden_group_size_z
      - .offset:         162
        .size:           2
        .value_kind:     hidden_remainder_x
      - .offset:         164
        .size:           2
        .value_kind:     hidden_remainder_y
      - .offset:         166
        .size:           2
        .value_kind:     hidden_remainder_z
      - .offset:         184
        .size:           8
        .value_kind:     hidden_global_offset_x
      - .offset:         192
        .size:           8
        .value_kind:     hidden_global_offset_y
      - .offset:         200
        .size:           8
        .value_kind:     hidden_global_offset_z
      - .offset:         208
        .size:           2
        .value_kind:     hidden_grid_dims
      - .offset:         264
        .size:           4
        .value_kind:     hidden_dynamic_lds_size
    .group_segment_fixed_size: 272
    .kernarg_segment_align: 8
    .kernarg_segment_size: 400
    .language:       OpenCL C
    .language_version:
      - 2
      - 0
    .max_flat_workgroup_size: 1024
    .name:           _ZN4vllm25paged_attention_v2_kernelI14__hip_bfloat16hLi128ELi16ELi128ELNS_18Fp8KVCacheDataTypeE1ELb1ELi512EEEvPfS3_PT_PKS4_PKT0_SA_ifPKiSC_iPKfiiiSE_SE_iiiii
    .private_segment_fixed_size: 168
    .sgpr_count:     54
    .sgpr_spill_count: 0
    .symbol:         _ZN4vllm25paged_attention_v2_kernelI14__hip_bfloat16hLi128ELi16ELi128ELNS_18Fp8KVCacheDataTypeE1ELb1ELi512EEEvPfS3_PT_PKS4_PKT0_SA_ifPKiSC_iPKfiiiSE_SE_iiiii.kd
    .uniform_work_group_size: 1
    .uses_dynamic_stack: false
    .vgpr_count:     117
    .vgpr_spill_count: 0
    .wavefront_size: 64
  - .agpr_count:     64
    .args:
      - .actual_access:  write_only
        .address_space:  global
        .offset:         0
        .size:           8
        .value_kind:     global_buffer
      - .actual_access:  write_only
        .address_space:  global
        .offset:         8
        .size:           8
        .value_kind:     global_buffer
      - .actual_access:  write_only
        .address_space:  global
        .offset:         16
        .size:           8
        .value_kind:     global_buffer
      - .actual_access:  read_only
        .address_space:  global
        .offset:         24
        .size:           8
        .value_kind:     global_buffer
      - .actual_access:  read_only
        .address_space:  global
        .offset:         32
        .size:           8
        .value_kind:     global_buffer
      - .actual_access:  read_only
        .address_space:  global
        .offset:         40
        .size:           8
        .value_kind:     global_buffer
      - .offset:         48
        .size:           4
        .value_kind:     by_value
      - .offset:         52
        .size:           4
        .value_kind:     by_value
      - .actual_access:  read_only
        .address_space:  global
        .offset:         56
        .size:           8
        .value_kind:     global_buffer
      - .actual_access:  read_only
        .address_space:  global
        .offset:         64
        .size:           8
        .value_kind:     global_buffer
      - .offset:         72
        .size:           4
        .value_kind:     by_value
      - .address_space:  global
        .offset:         80
        .size:           8
        .value_kind:     global_buffer
      - .offset:         88
        .size:           4
        .value_kind:     by_value
      - .offset:         92
        .size:           4
        .value_kind:     by_value
      - .offset:         96
        .size:           4
        .value_kind:     by_value
      - .address_space:  global
        .offset:         104
        .size:           8
        .value_kind:     global_buffer
      - .address_space:  global
        .offset:         112
        .size:           8
        .value_kind:     global_buffer
      - .offset:         120
        .size:           4
        .value_kind:     by_value
      - .offset:         124
        .size:           4
        .value_kind:     by_value
      - .offset:         128
        .size:           4
        .value_kind:     by_value
      - .offset:         132
        .size:           4
        .value_kind:     by_value
      - .offset:         136
        .size:           4
        .value_kind:     by_value
      - .offset:         144
        .size:           4
        .value_kind:     hidden_block_count_x
      - .offset:         148
        .size:           4
        .value_kind:     hidden_block_count_y
      - .offset:         152
        .size:           4
        .value_kind:     hidden_block_count_z
      - .offset:         156
        .size:           2
        .value_kind:     hidden_group_size_x
      - .offset:         158
        .size:           2
        .value_kind:     hidden_group_size_y
      - .offset:         160
        .size:           2
        .value_kind:     hidden_group_size_z
      - .offset:         162
        .size:           2
        .value_kind:     hidden_remainder_x
      - .offset:         164
        .size:           2
        .value_kind:     hidden_remainder_y
      - .offset:         166
        .size:           2
        .value_kind:     hidden_remainder_z
      - .offset:         184
        .size:           8
        .value_kind:     hidden_global_offset_x
      - .offset:         192
        .size:           8
        .value_kind:     hidden_global_offset_y
      - .offset:         200
        .size:           8
        .value_kind:     hidden_global_offset_z
      - .offset:         208
        .size:           2
        .value_kind:     hidden_grid_dims
      - .offset:         264
        .size:           4
        .value_kind:     hidden_dynamic_lds_size
    .group_segment_fixed_size: 400
    .kernarg_segment_align: 8
    .kernarg_segment_size: 400
    .language:       OpenCL C
    .language_version:
      - 2
      - 0
    .max_flat_workgroup_size: 1024
    .name:           _ZN4vllm25paged_attention_v2_kernelI14__hip_bfloat16hLi192ELi16ELi128ELNS_18Fp8KVCacheDataTypeE1ELb1ELi512EEEvPfS3_PT_PKS4_PKT0_SA_ifPKiSC_iPKfiiiSE_SE_iiiii
    .private_segment_fixed_size: 300
    .sgpr_count:     54
    .sgpr_spill_count: 0
    .symbol:         _ZN4vllm25paged_attention_v2_kernelI14__hip_bfloat16hLi192ELi16ELi128ELNS_18Fp8KVCacheDataTypeE1ELb1ELi512EEEvPfS3_PT_PKS4_PKT0_SA_ifPKiSC_iPKfiiiSE_SE_iiiii.kd
    .uniform_work_group_size: 1
    .uses_dynamic_stack: false
    .vgpr_count:     128
    .vgpr_spill_count: 0
    .wavefront_size: 64
  - .agpr_count:     64
    .args:
      - .actual_access:  write_only
        .address_space:  global
        .offset:         0
        .size:           8
        .value_kind:     global_buffer
      - .actual_access:  write_only
        .address_space:  global
        .offset:         8
        .size:           8
        .value_kind:     global_buffer
      - .actual_access:  write_only
        .address_space:  global
        .offset:         16
        .size:           8
        .value_kind:     global_buffer
      - .actual_access:  read_only
        .address_space:  global
        .offset:         24
        .size:           8
        .value_kind:     global_buffer
      - .actual_access:  read_only
        .address_space:  global
        .offset:         32
        .size:           8
        .value_kind:     global_buffer
      - .actual_access:  read_only
        .address_space:  global
        .offset:         40
        .size:           8
        .value_kind:     global_buffer
      - .offset:         48
        .size:           4
        .value_kind:     by_value
      - .offset:         52
        .size:           4
        .value_kind:     by_value
      - .actual_access:  read_only
        .address_space:  global
        .offset:         56
        .size:           8
        .value_kind:     global_buffer
      - .actual_access:  read_only
        .address_space:  global
        .offset:         64
        .size:           8
        .value_kind:     global_buffer
      - .offset:         72
        .size:           4
        .value_kind:     by_value
      - .address_space:  global
        .offset:         80
        .size:           8
        .value_kind:     global_buffer
      - .offset:         88
        .size:           4
        .value_kind:     by_value
      - .offset:         92
        .size:           4
        .value_kind:     by_value
      - .offset:         96
        .size:           4
        .value_kind:     by_value
      - .address_space:  global
        .offset:         104
        .size:           8
        .value_kind:     global_buffer
      - .address_space:  global
        .offset:         112
        .size:           8
        .value_kind:     global_buffer
      - .offset:         120
        .size:           4
        .value_kind:     by_value
      - .offset:         124
        .size:           4
        .value_kind:     by_value
      - .offset:         128
        .size:           4
        .value_kind:     by_value
      - .offset:         132
        .size:           4
        .value_kind:     by_value
      - .offset:         136
        .size:           4
        .value_kind:     by_value
      - .offset:         144
        .size:           4
        .value_kind:     hidden_block_count_x
      - .offset:         148
        .size:           4
        .value_kind:     hidden_block_count_y
      - .offset:         152
        .size:           4
        .value_kind:     hidden_block_count_z
      - .offset:         156
        .size:           2
        .value_kind:     hidden_group_size_x
      - .offset:         158
        .size:           2
        .value_kind:     hidden_group_size_y
      - .offset:         160
        .size:           2
        .value_kind:     hidden_group_size_z
      - .offset:         162
        .size:           2
        .value_kind:     hidden_remainder_x
      - .offset:         164
        .size:           2
        .value_kind:     hidden_remainder_y
      - .offset:         166
        .size:           2
        .value_kind:     hidden_remainder_z
      - .offset:         184
        .size:           8
        .value_kind:     hidden_global_offset_x
      - .offset:         192
        .size:           8
        .value_kind:     hidden_global_offset_y
      - .offset:         200
        .size:           8
        .value_kind:     hidden_global_offset_z
      - .offset:         208
        .size:           2
        .value_kind:     hidden_grid_dims
      - .offset:         264
        .size:           4
        .value_kind:     hidden_dynamic_lds_size
    .group_segment_fixed_size: 528
    .kernarg_segment_align: 8
    .kernarg_segment_size: 400
    .language:       OpenCL C
    .language_version:
      - 2
      - 0
    .max_flat_workgroup_size: 1024
    .name:           _ZN4vllm25paged_attention_v2_kernelI14__hip_bfloat16hLi256ELi16ELi128ELNS_18Fp8KVCacheDataTypeE1ELb1ELi512EEEvPfS3_PT_PKS4_PKT0_SA_ifPKiSC_iPKfiiiSE_SE_iiiii
    .private_segment_fixed_size: 412
    .sgpr_count:     54
    .sgpr_spill_count: 0
    .symbol:         _ZN4vllm25paged_attention_v2_kernelI14__hip_bfloat16hLi256ELi16ELi128ELNS_18Fp8KVCacheDataTypeE1ELb1ELi512EEEvPfS3_PT_PKS4_PKT0_SA_ifPKiSC_iPKfiiiSE_SE_iiiii.kd
    .uniform_work_group_size: 1
    .uses_dynamic_stack: false
    .vgpr_count:     128
    .vgpr_spill_count: 0
    .wavefront_size: 64
  - .agpr_count:     0
    .args:
      - .actual_access:  write_only
        .address_space:  global
        .offset:         0
        .size:           8
        .value_kind:     global_buffer
      - .actual_access:  write_only
        .address_space:  global
        .offset:         8
        .size:           8
        .value_kind:     global_buffer
      - .actual_access:  write_only
        .address_space:  global
        .offset:         16
        .size:           8
        .value_kind:     global_buffer
      - .actual_access:  read_only
        .address_space:  global
        .offset:         24
        .size:           8
        .value_kind:     global_buffer
      - .actual_access:  read_only
        .address_space:  global
        .offset:         32
        .size:           8
        .value_kind:     global_buffer
      - .actual_access:  read_only
        .address_space:  global
        .offset:         40
        .size:           8
        .value_kind:     global_buffer
      - .offset:         48
        .size:           4
        .value_kind:     by_value
      - .offset:         52
        .size:           4
        .value_kind:     by_value
      - .actual_access:  read_only
        .address_space:  global
        .offset:         56
        .size:           8
        .value_kind:     global_buffer
      - .actual_access:  read_only
        .address_space:  global
        .offset:         64
        .size:           8
        .value_kind:     global_buffer
      - .offset:         72
        .size:           4
        .value_kind:     by_value
      - .actual_access:  read_only
        .address_space:  global
        .offset:         80
        .size:           8
        .value_kind:     global_buffer
      - .offset:         88
        .size:           4
        .value_kind:     by_value
      - .offset:         92
        .size:           4
        .value_kind:     by_value
      - .offset:         96
        .size:           4
        .value_kind:     by_value
      - .address_space:  global
        .offset:         104
        .size:           8
        .value_kind:     global_buffer
      - .address_space:  global
        .offset:         112
        .size:           8
        .value_kind:     global_buffer
      - .offset:         120
        .size:           4
        .value_kind:     by_value
      - .offset:         124
        .size:           4
        .value_kind:     by_value
      - .offset:         128
        .size:           4
        .value_kind:     by_value
      - .offset:         132
        .size:           4
        .value_kind:     by_value
      - .offset:         136
        .size:           4
        .value_kind:     by_value
      - .offset:         144
        .size:           4
        .value_kind:     hidden_block_count_x
      - .offset:         148
        .size:           4
        .value_kind:     hidden_block_count_y
      - .offset:         152
        .size:           4
        .value_kind:     hidden_block_count_z
      - .offset:         156
        .size:           2
        .value_kind:     hidden_group_size_x
      - .offset:         158
        .size:           2
        .value_kind:     hidden_group_size_y
      - .offset:         160
        .size:           2
        .value_kind:     hidden_group_size_z
      - .offset:         162
        .size:           2
        .value_kind:     hidden_remainder_x
      - .offset:         164
        .size:           2
        .value_kind:     hidden_remainder_y
      - .offset:         166
        .size:           2
        .value_kind:     hidden_remainder_z
      - .offset:         184
        .size:           8
        .value_kind:     hidden_global_offset_x
      - .offset:         192
        .size:           8
        .value_kind:     hidden_global_offset_y
      - .offset:         200
        .size:           8
        .value_kind:     hidden_global_offset_z
      - .offset:         208
        .size:           2
        .value_kind:     hidden_grid_dims
      - .offset:         264
        .size:           4
        .value_kind:     hidden_dynamic_lds_size
    .group_segment_fixed_size: 80
    .kernarg_segment_align: 8
    .kernarg_segment_size: 400
    .language:       OpenCL C
    .language_version:
      - 2
      - 0
    .max_flat_workgroup_size: 1024
    .name:           _ZN4vllm25paged_attention_v2_kernelI14__hip_bfloat16hLi32ELi16ELi128ELNS_18Fp8KVCacheDataTypeE1ELb0ELi512EEEvPfS3_PT_PKS4_PKT0_SA_ifPKiSC_iPKfiiiSE_SE_iiiii
    .private_segment_fixed_size: 0
    .sgpr_count:     57
    .sgpr_spill_count: 0
    .symbol:         _ZN4vllm25paged_attention_v2_kernelI14__hip_bfloat16hLi32ELi16ELi128ELNS_18Fp8KVCacheDataTypeE1ELb0ELi512EEEvPfS3_PT_PKS4_PKT0_SA_ifPKiSC_iPKfiiiSE_SE_iiiii.kd
    .uniform_work_group_size: 1
    .uses_dynamic_stack: false
    .vgpr_count:     42
    .vgpr_spill_count: 0
    .wavefront_size: 64
  - .agpr_count:     0
    .args:
      - .actual_access:  write_only
        .address_space:  global
        .offset:         0
        .size:           8
        .value_kind:     global_buffer
      - .actual_access:  write_only
        .address_space:  global
        .offset:         8
        .size:           8
        .value_kind:     global_buffer
      - .actual_access:  write_only
        .address_space:  global
        .offset:         16
        .size:           8
        .value_kind:     global_buffer
      - .actual_access:  read_only
        .address_space:  global
        .offset:         24
        .size:           8
        .value_kind:     global_buffer
      - .actual_access:  read_only
        .address_space:  global
        .offset:         32
        .size:           8
        .value_kind:     global_buffer
      - .actual_access:  read_only
        .address_space:  global
        .offset:         40
        .size:           8
        .value_kind:     global_buffer
      - .offset:         48
        .size:           4
        .value_kind:     by_value
      - .offset:         52
        .size:           4
        .value_kind:     by_value
      - .actual_access:  read_only
        .address_space:  global
        .offset:         56
        .size:           8
        .value_kind:     global_buffer
      - .actual_access:  read_only
        .address_space:  global
        .offset:         64
        .size:           8
        .value_kind:     global_buffer
      - .offset:         72
        .size:           4
        .value_kind:     by_value
      - .actual_access:  read_only
        .address_space:  global
        .offset:         80
        .size:           8
        .value_kind:     global_buffer
      - .offset:         88
        .size:           4
        .value_kind:     by_value
      - .offset:         92
        .size:           4
        .value_kind:     by_value
      - .offset:         96
        .size:           4
        .value_kind:     by_value
      - .address_space:  global
        .offset:         104
        .size:           8
        .value_kind:     global_buffer
      - .address_space:  global
        .offset:         112
        .size:           8
        .value_kind:     global_buffer
      - .offset:         120
        .size:           4
        .value_kind:     by_value
      - .offset:         124
        .size:           4
        .value_kind:     by_value
      - .offset:         128
        .size:           4
        .value_kind:     by_value
      - .offset:         132
        .size:           4
        .value_kind:     by_value
      - .offset:         136
        .size:           4
        .value_kind:     by_value
      - .offset:         144
        .size:           4
        .value_kind:     hidden_block_count_x
      - .offset:         148
        .size:           4
        .value_kind:     hidden_block_count_y
      - .offset:         152
        .size:           4
        .value_kind:     hidden_block_count_z
      - .offset:         156
        .size:           2
        .value_kind:     hidden_group_size_x
      - .offset:         158
        .size:           2
        .value_kind:     hidden_group_size_y
      - .offset:         160
        .size:           2
        .value_kind:     hidden_group_size_z
      - .offset:         162
        .size:           2
        .value_kind:     hidden_remainder_x
      - .offset:         164
        .size:           2
        .value_kind:     hidden_remainder_y
      - .offset:         166
        .size:           2
        .value_kind:     hidden_remainder_z
      - .offset:         184
        .size:           8
        .value_kind:     hidden_global_offset_x
      - .offset:         192
        .size:           8
        .value_kind:     hidden_global_offset_y
      - .offset:         200
        .size:           8
        .value_kind:     hidden_global_offset_z
      - .offset:         208
        .size:           2
        .value_kind:     hidden_grid_dims
      - .offset:         264
        .size:           4
        .value_kind:     hidden_dynamic_lds_size
    .group_segment_fixed_size: 144
    .kernarg_segment_align: 8
    .kernarg_segment_size: 400
    .language:       OpenCL C
    .language_version:
      - 2
      - 0
    .max_flat_workgroup_size: 1024
    .name:           _ZN4vllm25paged_attention_v2_kernelI14__hip_bfloat16hLi64ELi16ELi128ELNS_18Fp8KVCacheDataTypeE1ELb0ELi512EEEvPfS3_PT_PKS4_PKT0_SA_ifPKiSC_iPKfiiiSE_SE_iiiii
    .private_segment_fixed_size: 0
    .sgpr_count:     57
    .sgpr_spill_count: 0
    .symbol:         _ZN4vllm25paged_attention_v2_kernelI14__hip_bfloat16hLi64ELi16ELi128ELNS_18Fp8KVCacheDataTypeE1ELb0ELi512EEEvPfS3_PT_PKS4_PKT0_SA_ifPKiSC_iPKfiiiSE_SE_iiiii.kd
    .uniform_work_group_size: 1
    .uses_dynamic_stack: false
    .vgpr_count:     58
    .vgpr_spill_count: 0
    .wavefront_size: 64
  - .agpr_count:     0
    .args:
      - .actual_access:  write_only
        .address_space:  global
        .offset:         0
        .size:           8
        .value_kind:     global_buffer
      - .actual_access:  write_only
        .address_space:  global
        .offset:         8
        .size:           8
        .value_kind:     global_buffer
      - .actual_access:  write_only
        .address_space:  global
        .offset:         16
        .size:           8
        .value_kind:     global_buffer
      - .actual_access:  read_only
        .address_space:  global
        .offset:         24
        .size:           8
        .value_kind:     global_buffer
      - .actual_access:  read_only
        .address_space:  global
        .offset:         32
        .size:           8
        .value_kind:     global_buffer
      - .actual_access:  read_only
        .address_space:  global
        .offset:         40
        .size:           8
        .value_kind:     global_buffer
      - .offset:         48
        .size:           4
        .value_kind:     by_value
      - .offset:         52
        .size:           4
        .value_kind:     by_value
      - .actual_access:  read_only
        .address_space:  global
        .offset:         56
        .size:           8
        .value_kind:     global_buffer
      - .actual_access:  read_only
        .address_space:  global
        .offset:         64
        .size:           8
        .value_kind:     global_buffer
      - .offset:         72
        .size:           4
        .value_kind:     by_value
      - .actual_access:  read_only
        .address_space:  global
        .offset:         80
        .size:           8
        .value_kind:     global_buffer
      - .offset:         88
        .size:           4
        .value_kind:     by_value
      - .offset:         92
        .size:           4
        .value_kind:     by_value
      - .offset:         96
        .size:           4
        .value_kind:     by_value
      - .address_space:  global
        .offset:         104
        .size:           8
        .value_kind:     global_buffer
      - .address_space:  global
        .offset:         112
        .size:           8
        .value_kind:     global_buffer
      - .offset:         120
        .size:           4
        .value_kind:     by_value
      - .offset:         124
        .size:           4
        .value_kind:     by_value
      - .offset:         128
        .size:           4
        .value_kind:     by_value
      - .offset:         132
        .size:           4
        .value_kind:     by_value
      - .offset:         136
        .size:           4
        .value_kind:     by_value
      - .offset:         144
        .size:           4
        .value_kind:     hidden_block_count_x
      - .offset:         148
        .size:           4
        .value_kind:     hidden_block_count_y
      - .offset:         152
        .size:           4
        .value_kind:     hidden_block_count_z
      - .offset:         156
        .size:           2
        .value_kind:     hidden_group_size_x
      - .offset:         158
        .size:           2
        .value_kind:     hidden_group_size_y
      - .offset:         160
        .size:           2
        .value_kind:     hidden_group_size_z
      - .offset:         162
        .size:           2
        .value_kind:     hidden_remainder_x
      - .offset:         164
        .size:           2
        .value_kind:     hidden_remainder_y
      - .offset:         166
        .size:           2
        .value_kind:     hidden_remainder_z
      - .offset:         184
        .size:           8
        .value_kind:     hidden_global_offset_x
      - .offset:         192
        .size:           8
        .value_kind:     hidden_global_offset_y
      - .offset:         200
        .size:           8
        .value_kind:     hidden_global_offset_z
      - .offset:         208
        .size:           2
        .value_kind:     hidden_grid_dims
      - .offset:         264
        .size:           4
        .value_kind:     hidden_dynamic_lds_size
    .group_segment_fixed_size: 176
    .kernarg_segment_align: 8
    .kernarg_segment_size: 400
    .language:       OpenCL C
    .language_version:
      - 2
      - 0
    .max_flat_workgroup_size: 1024
    .name:           _ZN4vllm25paged_attention_v2_kernelI14__hip_bfloat16hLi80ELi16ELi128ELNS_18Fp8KVCacheDataTypeE1ELb0ELi512EEEvPfS3_PT_PKS4_PKT0_SA_ifPKiSC_iPKfiiiSE_SE_iiiii
    .private_segment_fixed_size: 0
    .sgpr_count:     57
    .sgpr_spill_count: 0
    .symbol:         _ZN4vllm25paged_attention_v2_kernelI14__hip_bfloat16hLi80ELi16ELi128ELNS_18Fp8KVCacheDataTypeE1ELb0ELi512EEEvPfS3_PT_PKS4_PKT0_SA_ifPKiSC_iPKfiiiSE_SE_iiiii.kd
    .uniform_work_group_size: 1
    .uses_dynamic_stack: false
    .vgpr_count:     66
    .vgpr_spill_count: 0
    .wavefront_size: 64
  - .agpr_count:     0
    .args:
      - .actual_access:  write_only
        .address_space:  global
        .offset:         0
        .size:           8
        .value_kind:     global_buffer
      - .actual_access:  write_only
        .address_space:  global
        .offset:         8
        .size:           8
        .value_kind:     global_buffer
      - .actual_access:  write_only
        .address_space:  global
        .offset:         16
        .size:           8
        .value_kind:     global_buffer
      - .actual_access:  read_only
        .address_space:  global
        .offset:         24
        .size:           8
        .value_kind:     global_buffer
      - .actual_access:  read_only
        .address_space:  global
        .offset:         32
        .size:           8
        .value_kind:     global_buffer
      - .actual_access:  read_only
        .address_space:  global
        .offset:         40
        .size:           8
        .value_kind:     global_buffer
      - .offset:         48
        .size:           4
        .value_kind:     by_value
      - .offset:         52
        .size:           4
        .value_kind:     by_value
      - .actual_access:  read_only
        .address_space:  global
        .offset:         56
        .size:           8
        .value_kind:     global_buffer
      - .actual_access:  read_only
        .address_space:  global
        .offset:         64
        .size:           8
        .value_kind:     global_buffer
      - .offset:         72
        .size:           4
        .value_kind:     by_value
      - .actual_access:  read_only
        .address_space:  global
        .offset:         80
        .size:           8
        .value_kind:     global_buffer
      - .offset:         88
        .size:           4
        .value_kind:     by_value
      - .offset:         92
        .size:           4
        .value_kind:     by_value
      - .offset:         96
        .size:           4
        .value_kind:     by_value
      - .address_space:  global
        .offset:         104
        .size:           8
        .value_kind:     global_buffer
      - .address_space:  global
        .offset:         112
        .size:           8
        .value_kind:     global_buffer
      - .offset:         120
        .size:           4
        .value_kind:     by_value
      - .offset:         124
        .size:           4
        .value_kind:     by_value
      - .offset:         128
        .size:           4
        .value_kind:     by_value
      - .offset:         132
        .size:           4
        .value_kind:     by_value
      - .offset:         136
        .size:           4
        .value_kind:     by_value
      - .offset:         144
        .size:           4
        .value_kind:     hidden_block_count_x
      - .offset:         148
        .size:           4
        .value_kind:     hidden_block_count_y
      - .offset:         152
        .size:           4
        .value_kind:     hidden_block_count_z
      - .offset:         156
        .size:           2
        .value_kind:     hidden_group_size_x
      - .offset:         158
        .size:           2
        .value_kind:     hidden_group_size_y
      - .offset:         160
        .size:           2
        .value_kind:     hidden_group_size_z
      - .offset:         162
        .size:           2
        .value_kind:     hidden_remainder_x
      - .offset:         164
        .size:           2
        .value_kind:     hidden_remainder_y
      - .offset:         166
        .size:           2
        .value_kind:     hidden_remainder_z
      - .offset:         184
        .size:           8
        .value_kind:     hidden_global_offset_x
      - .offset:         192
        .size:           8
        .value_kind:     hidden_global_offset_y
      - .offset:         200
        .size:           8
        .value_kind:     hidden_global_offset_z
      - .offset:         208
        .size:           2
        .value_kind:     hidden_grid_dims
      - .offset:         264
        .size:           4
        .value_kind:     hidden_dynamic_lds_size
    .group_segment_fixed_size: 208
    .kernarg_segment_align: 8
    .kernarg_segment_size: 400
    .language:       OpenCL C
    .language_version:
      - 2
      - 0
    .max_flat_workgroup_size: 1024
    .name:           _ZN4vllm25paged_attention_v2_kernelI14__hip_bfloat16hLi96ELi16ELi128ELNS_18Fp8KVCacheDataTypeE1ELb0ELi512EEEvPfS3_PT_PKS4_PKT0_SA_ifPKiSC_iPKfiiiSE_SE_iiiii
    .private_segment_fixed_size: 0
    .sgpr_count:     57
    .sgpr_spill_count: 0
    .symbol:         _ZN4vllm25paged_attention_v2_kernelI14__hip_bfloat16hLi96ELi16ELi128ELNS_18Fp8KVCacheDataTypeE1ELb0ELi512EEEvPfS3_PT_PKS4_PKT0_SA_ifPKiSC_iPKfiiiSE_SE_iiiii.kd
    .uniform_work_group_size: 1
    .uses_dynamic_stack: false
    .vgpr_count:     74
    .vgpr_spill_count: 0
    .wavefront_size: 64
  - .agpr_count:     0
    .args:
      - .actual_access:  write_only
        .address_space:  global
        .offset:         0
        .size:           8
        .value_kind:     global_buffer
      - .actual_access:  write_only
        .address_space:  global
        .offset:         8
        .size:           8
        .value_kind:     global_buffer
      - .actual_access:  write_only
        .address_space:  global
        .offset:         16
        .size:           8
        .value_kind:     global_buffer
      - .actual_access:  read_only
        .address_space:  global
        .offset:         24
        .size:           8
        .value_kind:     global_buffer
      - .actual_access:  read_only
        .address_space:  global
        .offset:         32
        .size:           8
        .value_kind:     global_buffer
      - .actual_access:  read_only
        .address_space:  global
        .offset:         40
        .size:           8
        .value_kind:     global_buffer
      - .offset:         48
        .size:           4
        .value_kind:     by_value
      - .offset:         52
        .size:           4
        .value_kind:     by_value
      - .actual_access:  read_only
        .address_space:  global
        .offset:         56
        .size:           8
        .value_kind:     global_buffer
      - .actual_access:  read_only
        .address_space:  global
        .offset:         64
        .size:           8
        .value_kind:     global_buffer
      - .offset:         72
        .size:           4
        .value_kind:     by_value
      - .actual_access:  read_only
        .address_space:  global
        .offset:         80
        .size:           8
        .value_kind:     global_buffer
      - .offset:         88
        .size:           4
        .value_kind:     by_value
      - .offset:         92
        .size:           4
        .value_kind:     by_value
      - .offset:         96
        .size:           4
        .value_kind:     by_value
      - .address_space:  global
        .offset:         104
        .size:           8
        .value_kind:     global_buffer
      - .address_space:  global
        .offset:         112
        .size:           8
        .value_kind:     global_buffer
      - .offset:         120
        .size:           4
        .value_kind:     by_value
      - .offset:         124
        .size:           4
        .value_kind:     by_value
      - .offset:         128
        .size:           4
        .value_kind:     by_value
      - .offset:         132
        .size:           4
        .value_kind:     by_value
      - .offset:         136
        .size:           4
        .value_kind:     by_value
      - .offset:         144
        .size:           4
        .value_kind:     hidden_block_count_x
      - .offset:         148
        .size:           4
        .value_kind:     hidden_block_count_y
      - .offset:         152
        .size:           4
        .value_kind:     hidden_block_count_z
      - .offset:         156
        .size:           2
        .value_kind:     hidden_group_size_x
      - .offset:         158
        .size:           2
        .value_kind:     hidden_group_size_y
      - .offset:         160
        .size:           2
        .value_kind:     hidden_group_size_z
      - .offset:         162
        .size:           2
        .value_kind:     hidden_remainder_x
      - .offset:         164
        .size:           2
        .value_kind:     hidden_remainder_y
      - .offset:         166
        .size:           2
        .value_kind:     hidden_remainder_z
      - .offset:         184
        .size:           8
        .value_kind:     hidden_global_offset_x
      - .offset:         192
        .size:           8
        .value_kind:     hidden_global_offset_y
      - .offset:         200
        .size:           8
        .value_kind:     hidden_global_offset_z
      - .offset:         208
        .size:           2
        .value_kind:     hidden_grid_dims
      - .offset:         264
        .size:           4
        .value_kind:     hidden_dynamic_lds_size
    .group_segment_fixed_size: 240
    .kernarg_segment_align: 8
    .kernarg_segment_size: 400
    .language:       OpenCL C
    .language_version:
      - 2
      - 0
    .max_flat_workgroup_size: 1024
    .name:           _ZN4vllm25paged_attention_v2_kernelI14__hip_bfloat16hLi112ELi16ELi128ELNS_18Fp8KVCacheDataTypeE1ELb0ELi512EEEvPfS3_PT_PKS4_PKT0_SA_ifPKiSC_iPKfiiiSE_SE_iiiii
    .private_segment_fixed_size: 0
    .sgpr_count:     57
    .sgpr_spill_count: 0
    .symbol:         _ZN4vllm25paged_attention_v2_kernelI14__hip_bfloat16hLi112ELi16ELi128ELNS_18Fp8KVCacheDataTypeE1ELb0ELi512EEEvPfS3_PT_PKS4_PKT0_SA_ifPKiSC_iPKfiiiSE_SE_iiiii.kd
    .uniform_work_group_size: 1
    .uses_dynamic_stack: false
    .vgpr_count:     82
    .vgpr_spill_count: 0
    .wavefront_size: 64
  - .agpr_count:     49
    .args:
      - .actual_access:  write_only
        .address_space:  global
        .offset:         0
        .size:           8
        .value_kind:     global_buffer
      - .actual_access:  write_only
        .address_space:  global
        .offset:         8
        .size:           8
        .value_kind:     global_buffer
      - .actual_access:  write_only
        .address_space:  global
        .offset:         16
        .size:           8
        .value_kind:     global_buffer
      - .actual_access:  read_only
        .address_space:  global
        .offset:         24
        .size:           8
        .value_kind:     global_buffer
      - .actual_access:  read_only
        .address_space:  global
        .offset:         32
        .size:           8
        .value_kind:     global_buffer
      - .actual_access:  read_only
        .address_space:  global
        .offset:         40
        .size:           8
        .value_kind:     global_buffer
      - .offset:         48
        .size:           4
        .value_kind:     by_value
      - .offset:         52
        .size:           4
        .value_kind:     by_value
      - .actual_access:  read_only
        .address_space:  global
        .offset:         56
        .size:           8
        .value_kind:     global_buffer
      - .actual_access:  read_only
        .address_space:  global
        .offset:         64
        .size:           8
        .value_kind:     global_buffer
      - .offset:         72
        .size:           4
        .value_kind:     by_value
      - .address_space:  global
        .offset:         80
        .size:           8
        .value_kind:     global_buffer
      - .offset:         88
        .size:           4
        .value_kind:     by_value
      - .offset:         92
        .size:           4
        .value_kind:     by_value
      - .offset:         96
        .size:           4
        .value_kind:     by_value
      - .address_space:  global
        .offset:         104
        .size:           8
        .value_kind:     global_buffer
      - .address_space:  global
        .offset:         112
        .size:           8
        .value_kind:     global_buffer
      - .offset:         120
        .size:           4
        .value_kind:     by_value
      - .offset:         124
        .size:           4
        .value_kind:     by_value
      - .offset:         128
        .size:           4
        .value_kind:     by_value
      - .offset:         132
        .size:           4
        .value_kind:     by_value
      - .offset:         136
        .size:           4
        .value_kind:     by_value
      - .offset:         144
        .size:           4
        .value_kind:     hidden_block_count_x
      - .offset:         148
        .size:           4
        .value_kind:     hidden_block_count_y
      - .offset:         152
        .size:           4
        .value_kind:     hidden_block_count_z
      - .offset:         156
        .size:           2
        .value_kind:     hidden_group_size_x
      - .offset:         158
        .size:           2
        .value_kind:     hidden_group_size_y
      - .offset:         160
        .size:           2
        .value_kind:     hidden_group_size_z
      - .offset:         162
        .size:           2
        .value_kind:     hidden_remainder_x
      - .offset:         164
        .size:           2
        .value_kind:     hidden_remainder_y
      - .offset:         166
        .size:           2
        .value_kind:     hidden_remainder_z
      - .offset:         184
        .size:           8
        .value_kind:     hidden_global_offset_x
      - .offset:         192
        .size:           8
        .value_kind:     hidden_global_offset_y
      - .offset:         200
        .size:           8
        .value_kind:     hidden_global_offset_z
      - .offset:         208
        .size:           2
        .value_kind:     hidden_grid_dims
      - .offset:         264
        .size:           4
        .value_kind:     hidden_dynamic_lds_size
    .group_segment_fixed_size: 256
    .kernarg_segment_align: 8
    .kernarg_segment_size: 400
    .language:       OpenCL C
    .language_version:
      - 2
      - 0
    .max_flat_workgroup_size: 1024
    .name:           _ZN4vllm25paged_attention_v2_kernelI14__hip_bfloat16hLi120ELi16ELi128ELNS_18Fp8KVCacheDataTypeE1ELb0ELi512EEEvPfS3_PT_PKS4_PKT0_SA_ifPKiSC_iPKfiiiSE_SE_iiiii
    .private_segment_fixed_size: 136
    .sgpr_count:     50
    .sgpr_spill_count: 0
    .symbol:         _ZN4vllm25paged_attention_v2_kernelI14__hip_bfloat16hLi120ELi16ELi128ELNS_18Fp8KVCacheDataTypeE1ELb0ELi512EEEvPfS3_PT_PKS4_PKT0_SA_ifPKiSC_iPKfiiiSE_SE_iiiii.kd
    .uniform_work_group_size: 1
    .uses_dynamic_stack: false
    .vgpr_count:     113
    .vgpr_spill_count: 0
    .wavefront_size: 64
  - .agpr_count:     53
    .args:
      - .actual_access:  write_only
        .address_space:  global
        .offset:         0
        .size:           8
        .value_kind:     global_buffer
      - .actual_access:  write_only
        .address_space:  global
        .offset:         8
        .size:           8
        .value_kind:     global_buffer
      - .actual_access:  write_only
        .address_space:  global
        .offset:         16
        .size:           8
        .value_kind:     global_buffer
      - .actual_access:  read_only
        .address_space:  global
        .offset:         24
        .size:           8
        .value_kind:     global_buffer
      - .actual_access:  read_only
        .address_space:  global
        .offset:         32
        .size:           8
        .value_kind:     global_buffer
      - .actual_access:  read_only
        .address_space:  global
        .offset:         40
        .size:           8
        .value_kind:     global_buffer
      - .offset:         48
        .size:           4
        .value_kind:     by_value
      - .offset:         52
        .size:           4
        .value_kind:     by_value
      - .actual_access:  read_only
        .address_space:  global
        .offset:         56
        .size:           8
        .value_kind:     global_buffer
      - .actual_access:  read_only
        .address_space:  global
        .offset:         64
        .size:           8
        .value_kind:     global_buffer
      - .offset:         72
        .size:           4
        .value_kind:     by_value
      - .address_space:  global
        .offset:         80
        .size:           8
        .value_kind:     global_buffer
      - .offset:         88
        .size:           4
        .value_kind:     by_value
      - .offset:         92
        .size:           4
        .value_kind:     by_value
      - .offset:         96
        .size:           4
        .value_kind:     by_value
      - .address_space:  global
        .offset:         104
        .size:           8
        .value_kind:     global_buffer
      - .address_space:  global
        .offset:         112
        .size:           8
        .value_kind:     global_buffer
      - .offset:         120
        .size:           4
        .value_kind:     by_value
      - .offset:         124
        .size:           4
        .value_kind:     by_value
      - .offset:         128
        .size:           4
        .value_kind:     by_value
      - .offset:         132
        .size:           4
        .value_kind:     by_value
      - .offset:         136
        .size:           4
        .value_kind:     by_value
      - .offset:         144
        .size:           4
        .value_kind:     hidden_block_count_x
      - .offset:         148
        .size:           4
        .value_kind:     hidden_block_count_y
      - .offset:         152
        .size:           4
        .value_kind:     hidden_block_count_z
      - .offset:         156
        .size:           2
        .value_kind:     hidden_group_size_x
      - .offset:         158
        .size:           2
        .value_kind:     hidden_group_size_y
      - .offset:         160
        .size:           2
        .value_kind:     hidden_group_size_z
      - .offset:         162
        .size:           2
        .value_kind:     hidden_remainder_x
      - .offset:         164
        .size:           2
        .value_kind:     hidden_remainder_y
      - .offset:         166
        .size:           2
        .value_kind:     hidden_remainder_z
      - .offset:         184
        .size:           8
        .value_kind:     hidden_global_offset_x
      - .offset:         192
        .size:           8
        .value_kind:     hidden_global_offset_y
      - .offset:         200
        .size:           8
        .value_kind:     hidden_global_offset_z
      - .offset:         208
        .size:           2
        .value_kind:     hidden_grid_dims
      - .offset:         264
        .size:           4
        .value_kind:     hidden_dynamic_lds_size
    .group_segment_fixed_size: 272
    .kernarg_segment_align: 8
    .kernarg_segment_size: 400
    .language:       OpenCL C
    .language_version:
      - 2
      - 0
    .max_flat_workgroup_size: 1024
    .name:           _ZN4vllm25paged_attention_v2_kernelI14__hip_bfloat16hLi128ELi16ELi128ELNS_18Fp8KVCacheDataTypeE1ELb0ELi512EEEvPfS3_PT_PKS4_PKT0_SA_ifPKiSC_iPKfiiiSE_SE_iiiii
    .private_segment_fixed_size: 152
    .sgpr_count:     50
    .sgpr_spill_count: 0
    .symbol:         _ZN4vllm25paged_attention_v2_kernelI14__hip_bfloat16hLi128ELi16ELi128ELNS_18Fp8KVCacheDataTypeE1ELb0ELi512EEEvPfS3_PT_PKS4_PKT0_SA_ifPKiSC_iPKfiiiSE_SE_iiiii.kd
    .uniform_work_group_size: 1
    .uses_dynamic_stack: false
    .vgpr_count:     117
    .vgpr_spill_count: 0
    .wavefront_size: 64
  - .agpr_count:     64
    .args:
      - .actual_access:  write_only
        .address_space:  global
        .offset:         0
        .size:           8
        .value_kind:     global_buffer
      - .actual_access:  write_only
        .address_space:  global
        .offset:         8
        .size:           8
        .value_kind:     global_buffer
      - .actual_access:  write_only
        .address_space:  global
        .offset:         16
        .size:           8
        .value_kind:     global_buffer
      - .actual_access:  read_only
        .address_space:  global
        .offset:         24
        .size:           8
        .value_kind:     global_buffer
      - .actual_access:  read_only
        .address_space:  global
        .offset:         32
        .size:           8
        .value_kind:     global_buffer
      - .actual_access:  read_only
        .address_space:  global
        .offset:         40
        .size:           8
        .value_kind:     global_buffer
      - .offset:         48
        .size:           4
        .value_kind:     by_value
      - .offset:         52
        .size:           4
        .value_kind:     by_value
      - .actual_access:  read_only
        .address_space:  global
        .offset:         56
        .size:           8
        .value_kind:     global_buffer
      - .actual_access:  read_only
        .address_space:  global
        .offset:         64
        .size:           8
        .value_kind:     global_buffer
      - .offset:         72
        .size:           4
        .value_kind:     by_value
      - .address_space:  global
        .offset:         80
        .size:           8
        .value_kind:     global_buffer
      - .offset:         88
        .size:           4
        .value_kind:     by_value
      - .offset:         92
        .size:           4
        .value_kind:     by_value
      - .offset:         96
        .size:           4
        .value_kind:     by_value
      - .address_space:  global
        .offset:         104
        .size:           8
        .value_kind:     global_buffer
      - .address_space:  global
        .offset:         112
        .size:           8
        .value_kind:     global_buffer
      - .offset:         120
        .size:           4
        .value_kind:     by_value
      - .offset:         124
        .size:           4
        .value_kind:     by_value
      - .offset:         128
        .size:           4
        .value_kind:     by_value
      - .offset:         132
        .size:           4
        .value_kind:     by_value
      - .offset:         136
        .size:           4
        .value_kind:     by_value
      - .offset:         144
        .size:           4
        .value_kind:     hidden_block_count_x
      - .offset:         148
        .size:           4
        .value_kind:     hidden_block_count_y
      - .offset:         152
        .size:           4
        .value_kind:     hidden_block_count_z
      - .offset:         156
        .size:           2
        .value_kind:     hidden_group_size_x
      - .offset:         158
        .size:           2
        .value_kind:     hidden_group_size_y
      - .offset:         160
        .size:           2
        .value_kind:     hidden_group_size_z
      - .offset:         162
        .size:           2
        .value_kind:     hidden_remainder_x
      - .offset:         164
        .size:           2
        .value_kind:     hidden_remainder_y
      - .offset:         166
        .size:           2
        .value_kind:     hidden_remainder_z
      - .offset:         184
        .size:           8
        .value_kind:     hidden_global_offset_x
      - .offset:         192
        .size:           8
        .value_kind:     hidden_global_offset_y
      - .offset:         200
        .size:           8
        .value_kind:     hidden_global_offset_z
      - .offset:         208
        .size:           2
        .value_kind:     hidden_grid_dims
      - .offset:         264
        .size:           4
        .value_kind:     hidden_dynamic_lds_size
    .group_segment_fixed_size: 400
    .kernarg_segment_align: 8
    .kernarg_segment_size: 400
    .language:       OpenCL C
    .language_version:
      - 2
      - 0
    .max_flat_workgroup_size: 1024
    .name:           _ZN4vllm25paged_attention_v2_kernelI14__hip_bfloat16hLi192ELi16ELi128ELNS_18Fp8KVCacheDataTypeE1ELb0ELi512EEEvPfS3_PT_PKS4_PKT0_SA_ifPKiSC_iPKfiiiSE_SE_iiiii
    .private_segment_fixed_size: 272
    .sgpr_count:     50
    .sgpr_spill_count: 0
    .symbol:         _ZN4vllm25paged_attention_v2_kernelI14__hip_bfloat16hLi192ELi16ELi128ELNS_18Fp8KVCacheDataTypeE1ELb0ELi512EEEvPfS3_PT_PKS4_PKT0_SA_ifPKiSC_iPKfiiiSE_SE_iiiii.kd
    .uniform_work_group_size: 1
    .uses_dynamic_stack: false
    .vgpr_count:     128
    .vgpr_spill_count: 0
    .wavefront_size: 64
  - .agpr_count:     64
    .args:
      - .actual_access:  write_only
        .address_space:  global
        .offset:         0
        .size:           8
        .value_kind:     global_buffer
      - .actual_access:  write_only
        .address_space:  global
        .offset:         8
        .size:           8
        .value_kind:     global_buffer
      - .actual_access:  write_only
        .address_space:  global
        .offset:         16
        .size:           8
        .value_kind:     global_buffer
      - .actual_access:  read_only
        .address_space:  global
        .offset:         24
        .size:           8
        .value_kind:     global_buffer
      - .actual_access:  read_only
        .address_space:  global
        .offset:         32
        .size:           8
        .value_kind:     global_buffer
      - .actual_access:  read_only
        .address_space:  global
        .offset:         40
        .size:           8
        .value_kind:     global_buffer
      - .offset:         48
        .size:           4
        .value_kind:     by_value
      - .offset:         52
        .size:           4
        .value_kind:     by_value
      - .actual_access:  read_only
        .address_space:  global
        .offset:         56
        .size:           8
        .value_kind:     global_buffer
      - .actual_access:  read_only
        .address_space:  global
        .offset:         64
        .size:           8
        .value_kind:     global_buffer
      - .offset:         72
        .size:           4
        .value_kind:     by_value
      - .address_space:  global
        .offset:         80
        .size:           8
        .value_kind:     global_buffer
      - .offset:         88
        .size:           4
        .value_kind:     by_value
      - .offset:         92
        .size:           4
        .value_kind:     by_value
      - .offset:         96
        .size:           4
        .value_kind:     by_value
      - .address_space:  global
        .offset:         104
        .size:           8
        .value_kind:     global_buffer
      - .address_space:  global
        .offset:         112
        .size:           8
        .value_kind:     global_buffer
      - .offset:         120
        .size:           4
        .value_kind:     by_value
      - .offset:         124
        .size:           4
        .value_kind:     by_value
      - .offset:         128
        .size:           4
        .value_kind:     by_value
      - .offset:         132
        .size:           4
        .value_kind:     by_value
      - .offset:         136
        .size:           4
        .value_kind:     by_value
      - .offset:         144
        .size:           4
        .value_kind:     hidden_block_count_x
      - .offset:         148
        .size:           4
        .value_kind:     hidden_block_count_y
      - .offset:         152
        .size:           4
        .value_kind:     hidden_block_count_z
      - .offset:         156
        .size:           2
        .value_kind:     hidden_group_size_x
      - .offset:         158
        .size:           2
        .value_kind:     hidden_group_size_y
      - .offset:         160
        .size:           2
        .value_kind:     hidden_group_size_z
      - .offset:         162
        .size:           2
        .value_kind:     hidden_remainder_x
      - .offset:         164
        .size:           2
        .value_kind:     hidden_remainder_y
      - .offset:         166
        .size:           2
        .value_kind:     hidden_remainder_z
      - .offset:         184
        .size:           8
        .value_kind:     hidden_global_offset_x
      - .offset:         192
        .size:           8
        .value_kind:     hidden_global_offset_y
      - .offset:         200
        .size:           8
        .value_kind:     hidden_global_offset_z
      - .offset:         208
        .size:           2
        .value_kind:     hidden_grid_dims
      - .offset:         264
        .size:           4
        .value_kind:     hidden_dynamic_lds_size
    .group_segment_fixed_size: 528
    .kernarg_segment_align: 8
    .kernarg_segment_size: 400
    .language:       OpenCL C
    .language_version:
      - 2
      - 0
    .max_flat_workgroup_size: 1024
    .name:           _ZN4vllm25paged_attention_v2_kernelI14__hip_bfloat16hLi256ELi16ELi128ELNS_18Fp8KVCacheDataTypeE1ELb0ELi512EEEvPfS3_PT_PKS4_PKT0_SA_ifPKiSC_iPKfiiiSE_SE_iiiii
    .private_segment_fixed_size: 400
    .sgpr_count:     50
    .sgpr_spill_count: 0
    .symbol:         _ZN4vllm25paged_attention_v2_kernelI14__hip_bfloat16hLi256ELi16ELi128ELNS_18Fp8KVCacheDataTypeE1ELb0ELi512EEEvPfS3_PT_PKS4_PKT0_SA_ifPKiSC_iPKfiiiSE_SE_iiiii.kd
    .uniform_work_group_size: 1
    .uses_dynamic_stack: false
    .vgpr_count:     128
    .vgpr_spill_count: 0
    .wavefront_size: 64
  - .agpr_count:     0
    .args:
      - .actual_access:  write_only
        .address_space:  global
        .offset:         0
        .size:           8
        .value_kind:     global_buffer
      - .actual_access:  write_only
        .address_space:  global
        .offset:         8
        .size:           8
        .value_kind:     global_buffer
      - .actual_access:  write_only
        .address_space:  global
        .offset:         16
        .size:           8
        .value_kind:     global_buffer
      - .actual_access:  read_only
        .address_space:  global
        .offset:         24
        .size:           8
        .value_kind:     global_buffer
      - .actual_access:  read_only
        .address_space:  global
        .offset:         32
        .size:           8
        .value_kind:     global_buffer
      - .actual_access:  read_only
        .address_space:  global
        .offset:         40
        .size:           8
        .value_kind:     global_buffer
      - .offset:         48
        .size:           4
        .value_kind:     by_value
      - .offset:         52
        .size:           4
        .value_kind:     by_value
      - .actual_access:  read_only
        .address_space:  global
        .offset:         56
        .size:           8
        .value_kind:     global_buffer
      - .actual_access:  read_only
        .address_space:  global
        .offset:         64
        .size:           8
        .value_kind:     global_buffer
      - .offset:         72
        .size:           4
        .value_kind:     by_value
      - .actual_access:  read_only
        .address_space:  global
        .offset:         80
        .size:           8
        .value_kind:     global_buffer
      - .offset:         88
        .size:           4
        .value_kind:     by_value
      - .offset:         92
        .size:           4
        .value_kind:     by_value
      - .offset:         96
        .size:           4
        .value_kind:     by_value
      - .address_space:  global
        .offset:         104
        .size:           8
        .value_kind:     global_buffer
      - .address_space:  global
        .offset:         112
        .size:           8
        .value_kind:     global_buffer
      - .offset:         120
        .size:           4
        .value_kind:     by_value
      - .offset:         124
        .size:           4
        .value_kind:     by_value
      - .offset:         128
        .size:           4
        .value_kind:     by_value
      - .offset:         132
        .size:           4
        .value_kind:     by_value
      - .offset:         136
        .size:           4
        .value_kind:     by_value
      - .offset:         144
        .size:           4
        .value_kind:     hidden_block_count_x
      - .offset:         148
        .size:           4
        .value_kind:     hidden_block_count_y
      - .offset:         152
        .size:           4
        .value_kind:     hidden_block_count_z
      - .offset:         156
        .size:           2
        .value_kind:     hidden_group_size_x
      - .offset:         158
        .size:           2
        .value_kind:     hidden_group_size_y
      - .offset:         160
        .size:           2
        .value_kind:     hidden_group_size_z
      - .offset:         162
        .size:           2
        .value_kind:     hidden_remainder_x
      - .offset:         164
        .size:           2
        .value_kind:     hidden_remainder_y
      - .offset:         166
        .size:           2
        .value_kind:     hidden_remainder_z
      - .offset:         184
        .size:           8
        .value_kind:     hidden_global_offset_x
      - .offset:         192
        .size:           8
        .value_kind:     hidden_global_offset_y
      - .offset:         200
        .size:           8
        .value_kind:     hidden_global_offset_z
      - .offset:         208
        .size:           2
        .value_kind:     hidden_grid_dims
      - .offset:         264
        .size:           4
        .value_kind:     hidden_dynamic_lds_size
    .group_segment_fixed_size: 80
    .kernarg_segment_align: 8
    .kernarg_segment_size: 400
    .language:       OpenCL C
    .language_version:
      - 2
      - 0
    .max_flat_workgroup_size: 1024
    .name:           _ZN4vllm25paged_attention_v2_kernelI14__hip_bfloat16hLi32ELi32ELi128ELNS_18Fp8KVCacheDataTypeE1ELb1ELi512EEEvPfS3_PT_PKS4_PKT0_SA_ifPKiSC_iPKfiiiSE_SE_iiiii
    .private_segment_fixed_size: 0
    .sgpr_count:     70
    .sgpr_spill_count: 0
    .symbol:         _ZN4vllm25paged_attention_v2_kernelI14__hip_bfloat16hLi32ELi32ELi128ELNS_18Fp8KVCacheDataTypeE1ELb1ELi512EEEvPfS3_PT_PKS4_PKT0_SA_ifPKiSC_iPKfiiiSE_SE_iiiii.kd
    .uniform_work_group_size: 1
    .uses_dynamic_stack: false
    .vgpr_count:     58
    .vgpr_spill_count: 0
    .wavefront_size: 64
  - .agpr_count:     53
    .args:
      - .actual_access:  write_only
        .address_space:  global
        .offset:         0
        .size:           8
        .value_kind:     global_buffer
      - .actual_access:  write_only
        .address_space:  global
        .offset:         8
        .size:           8
        .value_kind:     global_buffer
      - .actual_access:  write_only
        .address_space:  global
        .offset:         16
        .size:           8
        .value_kind:     global_buffer
      - .actual_access:  read_only
        .address_space:  global
        .offset:         24
        .size:           8
        .value_kind:     global_buffer
      - .actual_access:  read_only
        .address_space:  global
        .offset:         32
        .size:           8
        .value_kind:     global_buffer
      - .actual_access:  read_only
        .address_space:  global
        .offset:         40
        .size:           8
        .value_kind:     global_buffer
      - .offset:         48
        .size:           4
        .value_kind:     by_value
      - .offset:         52
        .size:           4
        .value_kind:     by_value
      - .actual_access:  read_only
        .address_space:  global
        .offset:         56
        .size:           8
        .value_kind:     global_buffer
      - .actual_access:  read_only
        .address_space:  global
        .offset:         64
        .size:           8
        .value_kind:     global_buffer
      - .offset:         72
        .size:           4
        .value_kind:     by_value
      - .address_space:  global
        .offset:         80
        .size:           8
        .value_kind:     global_buffer
      - .offset:         88
        .size:           4
        .value_kind:     by_value
      - .offset:         92
        .size:           4
        .value_kind:     by_value
      - .offset:         96
        .size:           4
        .value_kind:     by_value
      - .address_space:  global
        .offset:         104
        .size:           8
        .value_kind:     global_buffer
      - .address_space:  global
        .offset:         112
        .size:           8
        .value_kind:     global_buffer
      - .offset:         120
        .size:           4
        .value_kind:     by_value
      - .offset:         124
        .size:           4
        .value_kind:     by_value
      - .offset:         128
        .size:           4
        .value_kind:     by_value
      - .offset:         132
        .size:           4
        .value_kind:     by_value
      - .offset:         136
        .size:           4
        .value_kind:     by_value
      - .offset:         144
        .size:           4
        .value_kind:     hidden_block_count_x
      - .offset:         148
        .size:           4
        .value_kind:     hidden_block_count_y
      - .offset:         152
        .size:           4
        .value_kind:     hidden_block_count_z
      - .offset:         156
        .size:           2
        .value_kind:     hidden_group_size_x
      - .offset:         158
        .size:           2
        .value_kind:     hidden_group_size_y
      - .offset:         160
        .size:           2
        .value_kind:     hidden_group_size_z
      - .offset:         162
        .size:           2
        .value_kind:     hidden_remainder_x
      - .offset:         164
        .size:           2
        .value_kind:     hidden_remainder_y
      - .offset:         166
        .size:           2
        .value_kind:     hidden_remainder_z
      - .offset:         184
        .size:           8
        .value_kind:     hidden_global_offset_x
      - .offset:         192
        .size:           8
        .value_kind:     hidden_global_offset_y
      - .offset:         200
        .size:           8
        .value_kind:     hidden_global_offset_z
      - .offset:         208
        .size:           2
        .value_kind:     hidden_grid_dims
      - .offset:         264
        .size:           4
        .value_kind:     hidden_dynamic_lds_size
    .group_segment_fixed_size: 144
    .kernarg_segment_align: 8
    .kernarg_segment_size: 400
    .language:       OpenCL C
    .language_version:
      - 2
      - 0
    .max_flat_workgroup_size: 1024
    .name:           _ZN4vllm25paged_attention_v2_kernelI14__hip_bfloat16hLi64ELi32ELi128ELNS_18Fp8KVCacheDataTypeE1ELb1ELi512EEEvPfS3_PT_PKS4_PKT0_SA_ifPKiSC_iPKfiiiSE_SE_iiiii
    .private_segment_fixed_size: 168
    .sgpr_count:     54
    .sgpr_spill_count: 0
    .symbol:         _ZN4vllm25paged_attention_v2_kernelI14__hip_bfloat16hLi64ELi32ELi128ELNS_18Fp8KVCacheDataTypeE1ELb1ELi512EEEvPfS3_PT_PKS4_PKT0_SA_ifPKiSC_iPKfiiiSE_SE_iiiii.kd
    .uniform_work_group_size: 1
    .uses_dynamic_stack: false
    .vgpr_count:     117
    .vgpr_spill_count: 0
    .wavefront_size: 64
  - .agpr_count:     64
    .args:
      - .actual_access:  write_only
        .address_space:  global
        .offset:         0
        .size:           8
        .value_kind:     global_buffer
      - .actual_access:  write_only
        .address_space:  global
        .offset:         8
        .size:           8
        .value_kind:     global_buffer
      - .actual_access:  write_only
        .address_space:  global
        .offset:         16
        .size:           8
        .value_kind:     global_buffer
      - .actual_access:  read_only
        .address_space:  global
        .offset:         24
        .size:           8
        .value_kind:     global_buffer
      - .actual_access:  read_only
        .address_space:  global
        .offset:         32
        .size:           8
        .value_kind:     global_buffer
      - .actual_access:  read_only
        .address_space:  global
        .offset:         40
        .size:           8
        .value_kind:     global_buffer
      - .offset:         48
        .size:           4
        .value_kind:     by_value
      - .offset:         52
        .size:           4
        .value_kind:     by_value
      - .actual_access:  read_only
        .address_space:  global
        .offset:         56
        .size:           8
        .value_kind:     global_buffer
      - .actual_access:  read_only
        .address_space:  global
        .offset:         64
        .size:           8
        .value_kind:     global_buffer
      - .offset:         72
        .size:           4
        .value_kind:     by_value
      - .address_space:  global
        .offset:         80
        .size:           8
        .value_kind:     global_buffer
      - .offset:         88
        .size:           4
        .value_kind:     by_value
      - .offset:         92
        .size:           4
        .value_kind:     by_value
      - .offset:         96
        .size:           4
        .value_kind:     by_value
      - .address_space:  global
        .offset:         104
        .size:           8
        .value_kind:     global_buffer
      - .address_space:  global
        .offset:         112
        .size:           8
        .value_kind:     global_buffer
      - .offset:         120
        .size:           4
        .value_kind:     by_value
      - .offset:         124
        .size:           4
        .value_kind:     by_value
      - .offset:         128
        .size:           4
        .value_kind:     by_value
      - .offset:         132
        .size:           4
        .value_kind:     by_value
      - .offset:         136
        .size:           4
        .value_kind:     by_value
      - .offset:         144
        .size:           4
        .value_kind:     hidden_block_count_x
      - .offset:         148
        .size:           4
        .value_kind:     hidden_block_count_y
      - .offset:         152
        .size:           4
        .value_kind:     hidden_block_count_z
      - .offset:         156
        .size:           2
        .value_kind:     hidden_group_size_x
      - .offset:         158
        .size:           2
        .value_kind:     hidden_group_size_y
      - .offset:         160
        .size:           2
        .value_kind:     hidden_group_size_z
      - .offset:         162
        .size:           2
        .value_kind:     hidden_remainder_x
      - .offset:         164
        .size:           2
        .value_kind:     hidden_remainder_y
      - .offset:         166
        .size:           2
        .value_kind:     hidden_remainder_z
      - .offset:         184
        .size:           8
        .value_kind:     hidden_global_offset_x
      - .offset:         192
        .size:           8
        .value_kind:     hidden_global_offset_y
      - .offset:         200
        .size:           8
        .value_kind:     hidden_global_offset_z
      - .offset:         208
        .size:           2
        .value_kind:     hidden_grid_dims
      - .offset:         264
        .size:           4
        .value_kind:     hidden_dynamic_lds_size
    .group_segment_fixed_size: 176
    .kernarg_segment_align: 8
    .kernarg_segment_size: 400
    .language:       OpenCL C
    .language_version:
      - 2
      - 0
    .max_flat_workgroup_size: 1024
    .name:           _ZN4vllm25paged_attention_v2_kernelI14__hip_bfloat16hLi80ELi32ELi128ELNS_18Fp8KVCacheDataTypeE1ELb1ELi512EEEvPfS3_PT_PKS4_PKT0_SA_ifPKiSC_iPKfiiiSE_SE_iiiii
    .private_segment_fixed_size: 244
    .sgpr_count:     54
    .sgpr_spill_count: 0
    .symbol:         _ZN4vllm25paged_attention_v2_kernelI14__hip_bfloat16hLi80ELi32ELi128ELNS_18Fp8KVCacheDataTypeE1ELb1ELi512EEEvPfS3_PT_PKS4_PKT0_SA_ifPKiSC_iPKfiiiSE_SE_iiiii.kd
    .uniform_work_group_size: 1
    .uses_dynamic_stack: false
    .vgpr_count:     128
    .vgpr_spill_count: 0
    .wavefront_size: 64
  - .agpr_count:     64
    .args:
      - .actual_access:  write_only
        .address_space:  global
        .offset:         0
        .size:           8
        .value_kind:     global_buffer
      - .actual_access:  write_only
        .address_space:  global
        .offset:         8
        .size:           8
        .value_kind:     global_buffer
      - .actual_access:  write_only
        .address_space:  global
        .offset:         16
        .size:           8
        .value_kind:     global_buffer
      - .actual_access:  read_only
        .address_space:  global
        .offset:         24
        .size:           8
        .value_kind:     global_buffer
      - .actual_access:  read_only
        .address_space:  global
        .offset:         32
        .size:           8
        .value_kind:     global_buffer
      - .actual_access:  read_only
        .address_space:  global
        .offset:         40
        .size:           8
        .value_kind:     global_buffer
      - .offset:         48
        .size:           4
        .value_kind:     by_value
      - .offset:         52
        .size:           4
        .value_kind:     by_value
      - .actual_access:  read_only
        .address_space:  global
        .offset:         56
        .size:           8
        .value_kind:     global_buffer
      - .actual_access:  read_only
        .address_space:  global
        .offset:         64
        .size:           8
        .value_kind:     global_buffer
      - .offset:         72
        .size:           4
        .value_kind:     by_value
      - .address_space:  global
        .offset:         80
        .size:           8
        .value_kind:     global_buffer
      - .offset:         88
        .size:           4
        .value_kind:     by_value
      - .offset:         92
        .size:           4
        .value_kind:     by_value
      - .offset:         96
        .size:           4
        .value_kind:     by_value
      - .address_space:  global
        .offset:         104
        .size:           8
        .value_kind:     global_buffer
      - .address_space:  global
        .offset:         112
        .size:           8
        .value_kind:     global_buffer
      - .offset:         120
        .size:           4
        .value_kind:     by_value
      - .offset:         124
        .size:           4
        .value_kind:     by_value
      - .offset:         128
        .size:           4
        .value_kind:     by_value
      - .offset:         132
        .size:           4
        .value_kind:     by_value
      - .offset:         136
        .size:           4
        .value_kind:     by_value
      - .offset:         144
        .size:           4
        .value_kind:     hidden_block_count_x
      - .offset:         148
        .size:           4
        .value_kind:     hidden_block_count_y
      - .offset:         152
        .size:           4
        .value_kind:     hidden_block_count_z
      - .offset:         156
        .size:           2
        .value_kind:     hidden_group_size_x
      - .offset:         158
        .size:           2
        .value_kind:     hidden_group_size_y
      - .offset:         160
        .size:           2
        .value_kind:     hidden_group_size_z
      - .offset:         162
        .size:           2
        .value_kind:     hidden_remainder_x
      - .offset:         164
        .size:           2
        .value_kind:     hidden_remainder_y
      - .offset:         166
        .size:           2
        .value_kind:     hidden_remainder_z
      - .offset:         184
        .size:           8
        .value_kind:     hidden_global_offset_x
      - .offset:         192
        .size:           8
        .value_kind:     hidden_global_offset_y
      - .offset:         200
        .size:           8
        .value_kind:     hidden_global_offset_z
      - .offset:         208
        .size:           2
        .value_kind:     hidden_grid_dims
      - .offset:         264
        .size:           4
        .value_kind:     hidden_dynamic_lds_size
    .group_segment_fixed_size: 208
    .kernarg_segment_align: 8
    .kernarg_segment_size: 400
    .language:       OpenCL C
    .language_version:
      - 2
      - 0
    .max_flat_workgroup_size: 1024
    .name:           _ZN4vllm25paged_attention_v2_kernelI14__hip_bfloat16hLi96ELi32ELi128ELNS_18Fp8KVCacheDataTypeE1ELb1ELi512EEEvPfS3_PT_PKS4_PKT0_SA_ifPKiSC_iPKfiiiSE_SE_iiiii
    .private_segment_fixed_size: 308
    .sgpr_count:     54
    .sgpr_spill_count: 0
    .symbol:         _ZN4vllm25paged_attention_v2_kernelI14__hip_bfloat16hLi96ELi32ELi128ELNS_18Fp8KVCacheDataTypeE1ELb1ELi512EEEvPfS3_PT_PKS4_PKT0_SA_ifPKiSC_iPKfiiiSE_SE_iiiii.kd
    .uniform_work_group_size: 1
    .uses_dynamic_stack: false
    .vgpr_count:     128
    .vgpr_spill_count: 0
    .wavefront_size: 64
  - .agpr_count:     64
    .args:
      - .actual_access:  write_only
        .address_space:  global
        .offset:         0
        .size:           8
        .value_kind:     global_buffer
      - .actual_access:  write_only
        .address_space:  global
        .offset:         8
        .size:           8
        .value_kind:     global_buffer
      - .actual_access:  write_only
        .address_space:  global
        .offset:         16
        .size:           8
        .value_kind:     global_buffer
      - .actual_access:  read_only
        .address_space:  global
        .offset:         24
        .size:           8
        .value_kind:     global_buffer
      - .actual_access:  read_only
        .address_space:  global
        .offset:         32
        .size:           8
        .value_kind:     global_buffer
      - .actual_access:  read_only
        .address_space:  global
        .offset:         40
        .size:           8
        .value_kind:     global_buffer
      - .offset:         48
        .size:           4
        .value_kind:     by_value
      - .offset:         52
        .size:           4
        .value_kind:     by_value
      - .actual_access:  read_only
        .address_space:  global
        .offset:         56
        .size:           8
        .value_kind:     global_buffer
      - .actual_access:  read_only
        .address_space:  global
        .offset:         64
        .size:           8
        .value_kind:     global_buffer
      - .offset:         72
        .size:           4
        .value_kind:     by_value
      - .address_space:  global
        .offset:         80
        .size:           8
        .value_kind:     global_buffer
      - .offset:         88
        .size:           4
        .value_kind:     by_value
      - .offset:         92
        .size:           4
        .value_kind:     by_value
      - .offset:         96
        .size:           4
        .value_kind:     by_value
      - .address_space:  global
        .offset:         104
        .size:           8
        .value_kind:     global_buffer
      - .address_space:  global
        .offset:         112
        .size:           8
        .value_kind:     global_buffer
      - .offset:         120
        .size:           4
        .value_kind:     by_value
      - .offset:         124
        .size:           4
        .value_kind:     by_value
      - .offset:         128
        .size:           4
        .value_kind:     by_value
      - .offset:         132
        .size:           4
        .value_kind:     by_value
      - .offset:         136
        .size:           4
        .value_kind:     by_value
      - .offset:         144
        .size:           4
        .value_kind:     hidden_block_count_x
      - .offset:         148
        .size:           4
        .value_kind:     hidden_block_count_y
      - .offset:         152
        .size:           4
        .value_kind:     hidden_block_count_z
      - .offset:         156
        .size:           2
        .value_kind:     hidden_group_size_x
      - .offset:         158
        .size:           2
        .value_kind:     hidden_group_size_y
      - .offset:         160
        .size:           2
        .value_kind:     hidden_group_size_z
      - .offset:         162
        .size:           2
        .value_kind:     hidden_remainder_x
      - .offset:         164
        .size:           2
        .value_kind:     hidden_remainder_y
      - .offset:         166
        .size:           2
        .value_kind:     hidden_remainder_z
      - .offset:         184
        .size:           8
        .value_kind:     hidden_global_offset_x
      - .offset:         192
        .size:           8
        .value_kind:     hidden_global_offset_y
      - .offset:         200
        .size:           8
        .value_kind:     hidden_global_offset_z
      - .offset:         208
        .size:           2
        .value_kind:     hidden_grid_dims
      - .offset:         264
        .size:           4
        .value_kind:     hidden_dynamic_lds_size
    .group_segment_fixed_size: 240
    .kernarg_segment_align: 8
    .kernarg_segment_size: 400
    .language:       OpenCL C
    .language_version:
      - 2
      - 0
    .max_flat_workgroup_size: 1024
    .name:           _ZN4vllm25paged_attention_v2_kernelI14__hip_bfloat16hLi112ELi32ELi128ELNS_18Fp8KVCacheDataTypeE1ELb1ELi512EEEvPfS3_PT_PKS4_PKT0_SA_ifPKiSC_iPKfiiiSE_SE_iiiii
    .private_segment_fixed_size: 352
    .sgpr_count:     54
    .sgpr_spill_count: 0
    .symbol:         _ZN4vllm25paged_attention_v2_kernelI14__hip_bfloat16hLi112ELi32ELi128ELNS_18Fp8KVCacheDataTypeE1ELb1ELi512EEEvPfS3_PT_PKS4_PKT0_SA_ifPKiSC_iPKfiiiSE_SE_iiiii.kd
    .uniform_work_group_size: 1
    .uses_dynamic_stack: false
    .vgpr_count:     128
    .vgpr_spill_count: 0
    .wavefront_size: 64
  - .agpr_count:     64
    .args:
      - .actual_access:  write_only
        .address_space:  global
        .offset:         0
        .size:           8
        .value_kind:     global_buffer
      - .actual_access:  write_only
        .address_space:  global
        .offset:         8
        .size:           8
        .value_kind:     global_buffer
      - .actual_access:  write_only
        .address_space:  global
        .offset:         16
        .size:           8
        .value_kind:     global_buffer
      - .actual_access:  read_only
        .address_space:  global
        .offset:         24
        .size:           8
        .value_kind:     global_buffer
      - .actual_access:  read_only
        .address_space:  global
        .offset:         32
        .size:           8
        .value_kind:     global_buffer
      - .actual_access:  read_only
        .address_space:  global
        .offset:         40
        .size:           8
        .value_kind:     global_buffer
      - .offset:         48
        .size:           4
        .value_kind:     by_value
      - .offset:         52
        .size:           4
        .value_kind:     by_value
      - .actual_access:  read_only
        .address_space:  global
        .offset:         56
        .size:           8
        .value_kind:     global_buffer
      - .actual_access:  read_only
        .address_space:  global
        .offset:         64
        .size:           8
        .value_kind:     global_buffer
      - .offset:         72
        .size:           4
        .value_kind:     by_value
      - .address_space:  global
        .offset:         80
        .size:           8
        .value_kind:     global_buffer
      - .offset:         88
        .size:           4
        .value_kind:     by_value
      - .offset:         92
        .size:           4
        .value_kind:     by_value
      - .offset:         96
        .size:           4
        .value_kind:     by_value
      - .address_space:  global
        .offset:         104
        .size:           8
        .value_kind:     global_buffer
      - .address_space:  global
        .offset:         112
        .size:           8
        .value_kind:     global_buffer
      - .offset:         120
        .size:           4
        .value_kind:     by_value
      - .offset:         124
        .size:           4
        .value_kind:     by_value
      - .offset:         128
        .size:           4
        .value_kind:     by_value
      - .offset:         132
        .size:           4
        .value_kind:     by_value
      - .offset:         136
        .size:           4
        .value_kind:     by_value
      - .offset:         144
        .size:           4
        .value_kind:     hidden_block_count_x
      - .offset:         148
        .size:           4
        .value_kind:     hidden_block_count_y
      - .offset:         152
        .size:           4
        .value_kind:     hidden_block_count_z
      - .offset:         156
        .size:           2
        .value_kind:     hidden_group_size_x
      - .offset:         158
        .size:           2
        .value_kind:     hidden_group_size_y
      - .offset:         160
        .size:           2
        .value_kind:     hidden_group_size_z
      - .offset:         162
        .size:           2
        .value_kind:     hidden_remainder_x
      - .offset:         164
        .size:           2
        .value_kind:     hidden_remainder_y
      - .offset:         166
        .size:           2
        .value_kind:     hidden_remainder_z
      - .offset:         184
        .size:           8
        .value_kind:     hidden_global_offset_x
      - .offset:         192
        .size:           8
        .value_kind:     hidden_global_offset_y
      - .offset:         200
        .size:           8
        .value_kind:     hidden_global_offset_z
      - .offset:         208
        .size:           2
        .value_kind:     hidden_grid_dims
      - .offset:         264
        .size:           4
        .value_kind:     hidden_dynamic_lds_size
    .group_segment_fixed_size: 256
    .kernarg_segment_align: 8
    .kernarg_segment_size: 400
    .language:       OpenCL C
    .language_version:
      - 2
      - 0
    .max_flat_workgroup_size: 1024
    .name:           _ZN4vllm25paged_attention_v2_kernelI14__hip_bfloat16hLi120ELi32ELi128ELNS_18Fp8KVCacheDataTypeE1ELb1ELi512EEEvPfS3_PT_PKS4_PKT0_SA_ifPKiSC_iPKfiiiSE_SE_iiiii
    .private_segment_fixed_size: 372
    .sgpr_count:     54
    .sgpr_spill_count: 0
    .symbol:         _ZN4vllm25paged_attention_v2_kernelI14__hip_bfloat16hLi120ELi32ELi128ELNS_18Fp8KVCacheDataTypeE1ELb1ELi512EEEvPfS3_PT_PKS4_PKT0_SA_ifPKiSC_iPKfiiiSE_SE_iiiii.kd
    .uniform_work_group_size: 1
    .uses_dynamic_stack: false
    .vgpr_count:     128
    .vgpr_spill_count: 0
    .wavefront_size: 64
  - .agpr_count:     64
    .args:
      - .actual_access:  write_only
        .address_space:  global
        .offset:         0
        .size:           8
        .value_kind:     global_buffer
      - .actual_access:  write_only
        .address_space:  global
        .offset:         8
        .size:           8
        .value_kind:     global_buffer
      - .actual_access:  write_only
        .address_space:  global
        .offset:         16
        .size:           8
        .value_kind:     global_buffer
      - .actual_access:  read_only
        .address_space:  global
        .offset:         24
        .size:           8
        .value_kind:     global_buffer
      - .actual_access:  read_only
        .address_space:  global
        .offset:         32
        .size:           8
        .value_kind:     global_buffer
      - .actual_access:  read_only
        .address_space:  global
        .offset:         40
        .size:           8
        .value_kind:     global_buffer
      - .offset:         48
        .size:           4
        .value_kind:     by_value
      - .offset:         52
        .size:           4
        .value_kind:     by_value
      - .actual_access:  read_only
        .address_space:  global
        .offset:         56
        .size:           8
        .value_kind:     global_buffer
      - .actual_access:  read_only
        .address_space:  global
        .offset:         64
        .size:           8
        .value_kind:     global_buffer
      - .offset:         72
        .size:           4
        .value_kind:     by_value
      - .address_space:  global
        .offset:         80
        .size:           8
        .value_kind:     global_buffer
      - .offset:         88
        .size:           4
        .value_kind:     by_value
      - .offset:         92
        .size:           4
        .value_kind:     by_value
      - .offset:         96
        .size:           4
        .value_kind:     by_value
      - .address_space:  global
        .offset:         104
        .size:           8
        .value_kind:     global_buffer
      - .address_space:  global
        .offset:         112
        .size:           8
        .value_kind:     global_buffer
      - .offset:         120
        .size:           4
        .value_kind:     by_value
      - .offset:         124
        .size:           4
        .value_kind:     by_value
      - .offset:         128
        .size:           4
        .value_kind:     by_value
      - .offset:         132
        .size:           4
        .value_kind:     by_value
      - .offset:         136
        .size:           4
        .value_kind:     by_value
      - .offset:         144
        .size:           4
        .value_kind:     hidden_block_count_x
      - .offset:         148
        .size:           4
        .value_kind:     hidden_block_count_y
      - .offset:         152
        .size:           4
        .value_kind:     hidden_block_count_z
      - .offset:         156
        .size:           2
        .value_kind:     hidden_group_size_x
      - .offset:         158
        .size:           2
        .value_kind:     hidden_group_size_y
      - .offset:         160
        .size:           2
        .value_kind:     hidden_group_size_z
      - .offset:         162
        .size:           2
        .value_kind:     hidden_remainder_x
      - .offset:         164
        .size:           2
        .value_kind:     hidden_remainder_y
      - .offset:         166
        .size:           2
        .value_kind:     hidden_remainder_z
      - .offset:         184
        .size:           8
        .value_kind:     hidden_global_offset_x
      - .offset:         192
        .size:           8
        .value_kind:     hidden_global_offset_y
      - .offset:         200
        .size:           8
        .value_kind:     hidden_global_offset_z
      - .offset:         208
        .size:           2
        .value_kind:     hidden_grid_dims
      - .offset:         264
        .size:           4
        .value_kind:     hidden_dynamic_lds_size
    .group_segment_fixed_size: 272
    .kernarg_segment_align: 8
    .kernarg_segment_size: 400
    .language:       OpenCL C
    .language_version:
      - 2
      - 0
    .max_flat_workgroup_size: 1024
    .name:           _ZN4vllm25paged_attention_v2_kernelI14__hip_bfloat16hLi128ELi32ELi128ELNS_18Fp8KVCacheDataTypeE1ELb1ELi512EEEvPfS3_PT_PKS4_PKT0_SA_ifPKiSC_iPKfiiiSE_SE_iiiii
    .private_segment_fixed_size: 420
    .sgpr_count:     54
    .sgpr_spill_count: 0
    .symbol:         _ZN4vllm25paged_attention_v2_kernelI14__hip_bfloat16hLi128ELi32ELi128ELNS_18Fp8KVCacheDataTypeE1ELb1ELi512EEEvPfS3_PT_PKS4_PKT0_SA_ifPKiSC_iPKfiiiSE_SE_iiiii.kd
    .uniform_work_group_size: 1
    .uses_dynamic_stack: false
    .vgpr_count:     128
    .vgpr_spill_count: 0
    .wavefront_size: 64
  - .agpr_count:     64
    .args:
      - .actual_access:  write_only
        .address_space:  global
        .offset:         0
        .size:           8
        .value_kind:     global_buffer
      - .actual_access:  write_only
        .address_space:  global
        .offset:         8
        .size:           8
        .value_kind:     global_buffer
      - .actual_access:  write_only
        .address_space:  global
        .offset:         16
        .size:           8
        .value_kind:     global_buffer
      - .actual_access:  read_only
        .address_space:  global
        .offset:         24
        .size:           8
        .value_kind:     global_buffer
      - .actual_access:  read_only
        .address_space:  global
        .offset:         32
        .size:           8
        .value_kind:     global_buffer
      - .actual_access:  read_only
        .address_space:  global
        .offset:         40
        .size:           8
        .value_kind:     global_buffer
      - .offset:         48
        .size:           4
        .value_kind:     by_value
      - .offset:         52
        .size:           4
        .value_kind:     by_value
      - .actual_access:  read_only
        .address_space:  global
        .offset:         56
        .size:           8
        .value_kind:     global_buffer
      - .actual_access:  read_only
        .address_space:  global
        .offset:         64
        .size:           8
        .value_kind:     global_buffer
      - .offset:         72
        .size:           4
        .value_kind:     by_value
      - .address_space:  global
        .offset:         80
        .size:           8
        .value_kind:     global_buffer
      - .offset:         88
        .size:           4
        .value_kind:     by_value
      - .offset:         92
        .size:           4
        .value_kind:     by_value
      - .offset:         96
        .size:           4
        .value_kind:     by_value
      - .address_space:  global
        .offset:         104
        .size:           8
        .value_kind:     global_buffer
      - .address_space:  global
        .offset:         112
        .size:           8
        .value_kind:     global_buffer
      - .offset:         120
        .size:           4
        .value_kind:     by_value
      - .offset:         124
        .size:           4
        .value_kind:     by_value
      - .offset:         128
        .size:           4
        .value_kind:     by_value
      - .offset:         132
        .size:           4
        .value_kind:     by_value
      - .offset:         136
        .size:           4
        .value_kind:     by_value
      - .offset:         144
        .size:           4
        .value_kind:     hidden_block_count_x
      - .offset:         148
        .size:           4
        .value_kind:     hidden_block_count_y
      - .offset:         152
        .size:           4
        .value_kind:     hidden_block_count_z
      - .offset:         156
        .size:           2
        .value_kind:     hidden_group_size_x
      - .offset:         158
        .size:           2
        .value_kind:     hidden_group_size_y
      - .offset:         160
        .size:           2
        .value_kind:     hidden_group_size_z
      - .offset:         162
        .size:           2
        .value_kind:     hidden_remainder_x
      - .offset:         164
        .size:           2
        .value_kind:     hidden_remainder_y
      - .offset:         166
        .size:           2
        .value_kind:     hidden_remainder_z
      - .offset:         184
        .size:           8
        .value_kind:     hidden_global_offset_x
      - .offset:         192
        .size:           8
        .value_kind:     hidden_global_offset_y
      - .offset:         200
        .size:           8
        .value_kind:     hidden_global_offset_z
      - .offset:         208
        .size:           2
        .value_kind:     hidden_grid_dims
      - .offset:         264
        .size:           4
        .value_kind:     hidden_dynamic_lds_size
    .group_segment_fixed_size: 400
    .kernarg_segment_align: 8
    .kernarg_segment_size: 400
    .language:       OpenCL C
    .language_version:
      - 2
      - 0
    .max_flat_workgroup_size: 1024
    .name:           _ZN4vllm25paged_attention_v2_kernelI14__hip_bfloat16hLi192ELi32ELi128ELNS_18Fp8KVCacheDataTypeE1ELb1ELi512EEEvPfS3_PT_PKS4_PKT0_SA_ifPKiSC_iPKfiiiSE_SE_iiiii
    .private_segment_fixed_size: 608
    .sgpr_count:     54
    .sgpr_spill_count: 0
    .symbol:         _ZN4vllm25paged_attention_v2_kernelI14__hip_bfloat16hLi192ELi32ELi128ELNS_18Fp8KVCacheDataTypeE1ELb1ELi512EEEvPfS3_PT_PKS4_PKT0_SA_ifPKiSC_iPKfiiiSE_SE_iiiii.kd
    .uniform_work_group_size: 1
    .uses_dynamic_stack: false
    .vgpr_count:     128
    .vgpr_spill_count: 0
    .wavefront_size: 64
  - .agpr_count:     64
    .args:
      - .actual_access:  write_only
        .address_space:  global
        .offset:         0
        .size:           8
        .value_kind:     global_buffer
      - .actual_access:  write_only
        .address_space:  global
        .offset:         8
        .size:           8
        .value_kind:     global_buffer
      - .actual_access:  write_only
        .address_space:  global
        .offset:         16
        .size:           8
        .value_kind:     global_buffer
      - .actual_access:  read_only
        .address_space:  global
        .offset:         24
        .size:           8
        .value_kind:     global_buffer
      - .actual_access:  read_only
        .address_space:  global
        .offset:         32
        .size:           8
        .value_kind:     global_buffer
      - .actual_access:  read_only
        .address_space:  global
        .offset:         40
        .size:           8
        .value_kind:     global_buffer
      - .offset:         48
        .size:           4
        .value_kind:     by_value
      - .offset:         52
        .size:           4
        .value_kind:     by_value
      - .actual_access:  read_only
        .address_space:  global
        .offset:         56
        .size:           8
        .value_kind:     global_buffer
      - .actual_access:  read_only
        .address_space:  global
        .offset:         64
        .size:           8
        .value_kind:     global_buffer
      - .offset:         72
        .size:           4
        .value_kind:     by_value
      - .address_space:  global
        .offset:         80
        .size:           8
        .value_kind:     global_buffer
      - .offset:         88
        .size:           4
        .value_kind:     by_value
      - .offset:         92
        .size:           4
        .value_kind:     by_value
      - .offset:         96
        .size:           4
        .value_kind:     by_value
      - .address_space:  global
        .offset:         104
        .size:           8
        .value_kind:     global_buffer
      - .address_space:  global
        .offset:         112
        .size:           8
        .value_kind:     global_buffer
      - .offset:         120
        .size:           4
        .value_kind:     by_value
      - .offset:         124
        .size:           4
        .value_kind:     by_value
      - .offset:         128
        .size:           4
        .value_kind:     by_value
      - .offset:         132
        .size:           4
        .value_kind:     by_value
      - .offset:         136
        .size:           4
        .value_kind:     by_value
      - .offset:         144
        .size:           4
        .value_kind:     hidden_block_count_x
      - .offset:         148
        .size:           4
        .value_kind:     hidden_block_count_y
      - .offset:         152
        .size:           4
        .value_kind:     hidden_block_count_z
      - .offset:         156
        .size:           2
        .value_kind:     hidden_group_size_x
      - .offset:         158
        .size:           2
        .value_kind:     hidden_group_size_y
      - .offset:         160
        .size:           2
        .value_kind:     hidden_group_size_z
      - .offset:         162
        .size:           2
        .value_kind:     hidden_remainder_x
      - .offset:         164
        .size:           2
        .value_kind:     hidden_remainder_y
      - .offset:         166
        .size:           2
        .value_kind:     hidden_remainder_z
      - .offset:         184
        .size:           8
        .value_kind:     hidden_global_offset_x
      - .offset:         192
        .size:           8
        .value_kind:     hidden_global_offset_y
      - .offset:         200
        .size:           8
        .value_kind:     hidden_global_offset_z
      - .offset:         208
        .size:           2
        .value_kind:     hidden_grid_dims
      - .offset:         264
        .size:           4
        .value_kind:     hidden_dynamic_lds_size
    .group_segment_fixed_size: 528
    .kernarg_segment_align: 8
    .kernarg_segment_size: 400
    .language:       OpenCL C
    .language_version:
      - 2
      - 0
    .max_flat_workgroup_size: 1024
    .name:           _ZN4vllm25paged_attention_v2_kernelI14__hip_bfloat16hLi256ELi32ELi128ELNS_18Fp8KVCacheDataTypeE1ELb1ELi512EEEvPfS3_PT_PKS4_PKT0_SA_ifPKiSC_iPKfiiiSE_SE_iiiii
    .private_segment_fixed_size: 1064
    .sgpr_count:     54
    .sgpr_spill_count: 0
    .symbol:         _ZN4vllm25paged_attention_v2_kernelI14__hip_bfloat16hLi256ELi32ELi128ELNS_18Fp8KVCacheDataTypeE1ELb1ELi512EEEvPfS3_PT_PKS4_PKT0_SA_ifPKiSC_iPKfiiiSE_SE_iiiii.kd
    .uniform_work_group_size: 1
    .uses_dynamic_stack: false
    .vgpr_count:     128
    .vgpr_spill_count: 0
    .wavefront_size: 64
  - .agpr_count:     0
    .args:
      - .actual_access:  write_only
        .address_space:  global
        .offset:         0
        .size:           8
        .value_kind:     global_buffer
      - .actual_access:  write_only
        .address_space:  global
        .offset:         8
        .size:           8
        .value_kind:     global_buffer
      - .actual_access:  write_only
        .address_space:  global
        .offset:         16
        .size:           8
        .value_kind:     global_buffer
      - .actual_access:  read_only
        .address_space:  global
        .offset:         24
        .size:           8
        .value_kind:     global_buffer
      - .actual_access:  read_only
        .address_space:  global
        .offset:         32
        .size:           8
        .value_kind:     global_buffer
      - .actual_access:  read_only
        .address_space:  global
        .offset:         40
        .size:           8
        .value_kind:     global_buffer
      - .offset:         48
        .size:           4
        .value_kind:     by_value
      - .offset:         52
        .size:           4
        .value_kind:     by_value
      - .actual_access:  read_only
        .address_space:  global
        .offset:         56
        .size:           8
        .value_kind:     global_buffer
      - .actual_access:  read_only
        .address_space:  global
        .offset:         64
        .size:           8
        .value_kind:     global_buffer
      - .offset:         72
        .size:           4
        .value_kind:     by_value
      - .actual_access:  read_only
        .address_space:  global
        .offset:         80
        .size:           8
        .value_kind:     global_buffer
      - .offset:         88
        .size:           4
        .value_kind:     by_value
      - .offset:         92
        .size:           4
        .value_kind:     by_value
      - .offset:         96
        .size:           4
        .value_kind:     by_value
      - .address_space:  global
        .offset:         104
        .size:           8
        .value_kind:     global_buffer
      - .address_space:  global
        .offset:         112
        .size:           8
        .value_kind:     global_buffer
      - .offset:         120
        .size:           4
        .value_kind:     by_value
      - .offset:         124
        .size:           4
        .value_kind:     by_value
      - .offset:         128
        .size:           4
        .value_kind:     by_value
      - .offset:         132
        .size:           4
        .value_kind:     by_value
      - .offset:         136
        .size:           4
        .value_kind:     by_value
      - .offset:         144
        .size:           4
        .value_kind:     hidden_block_count_x
      - .offset:         148
        .size:           4
        .value_kind:     hidden_block_count_y
      - .offset:         152
        .size:           4
        .value_kind:     hidden_block_count_z
      - .offset:         156
        .size:           2
        .value_kind:     hidden_group_size_x
      - .offset:         158
        .size:           2
        .value_kind:     hidden_group_size_y
      - .offset:         160
        .size:           2
        .value_kind:     hidden_group_size_z
      - .offset:         162
        .size:           2
        .value_kind:     hidden_remainder_x
      - .offset:         164
        .size:           2
        .value_kind:     hidden_remainder_y
      - .offset:         166
        .size:           2
        .value_kind:     hidden_remainder_z
      - .offset:         184
        .size:           8
        .value_kind:     hidden_global_offset_x
      - .offset:         192
        .size:           8
        .value_kind:     hidden_global_offset_y
      - .offset:         200
        .size:           8
        .value_kind:     hidden_global_offset_z
      - .offset:         208
        .size:           2
        .value_kind:     hidden_grid_dims
      - .offset:         264
        .size:           4
        .value_kind:     hidden_dynamic_lds_size
    .group_segment_fixed_size: 80
    .kernarg_segment_align: 8
    .kernarg_segment_size: 400
    .language:       OpenCL C
    .language_version:
      - 2
      - 0
    .max_flat_workgroup_size: 1024
    .name:           _ZN4vllm25paged_attention_v2_kernelI14__hip_bfloat16hLi32ELi32ELi128ELNS_18Fp8KVCacheDataTypeE1ELb0ELi512EEEvPfS3_PT_PKS4_PKT0_SA_ifPKiSC_iPKfiiiSE_SE_iiiii
    .private_segment_fixed_size: 0
    .sgpr_count:     58
    .sgpr_spill_count: 0
    .symbol:         _ZN4vllm25paged_attention_v2_kernelI14__hip_bfloat16hLi32ELi32ELi128ELNS_18Fp8KVCacheDataTypeE1ELb0ELi512EEEvPfS3_PT_PKS4_PKT0_SA_ifPKiSC_iPKfiiiSE_SE_iiiii.kd
    .uniform_work_group_size: 1
    .uses_dynamic_stack: false
    .vgpr_count:     57
    .vgpr_spill_count: 0
    .wavefront_size: 64
  - .agpr_count:     52
    .args:
      - .actual_access:  write_only
        .address_space:  global
        .offset:         0
        .size:           8
        .value_kind:     global_buffer
      - .actual_access:  write_only
        .address_space:  global
        .offset:         8
        .size:           8
        .value_kind:     global_buffer
      - .actual_access:  write_only
        .address_space:  global
        .offset:         16
        .size:           8
        .value_kind:     global_buffer
      - .actual_access:  read_only
        .address_space:  global
        .offset:         24
        .size:           8
        .value_kind:     global_buffer
      - .actual_access:  read_only
        .address_space:  global
        .offset:         32
        .size:           8
        .value_kind:     global_buffer
      - .actual_access:  read_only
        .address_space:  global
        .offset:         40
        .size:           8
        .value_kind:     global_buffer
      - .offset:         48
        .size:           4
        .value_kind:     by_value
      - .offset:         52
        .size:           4
        .value_kind:     by_value
      - .actual_access:  read_only
        .address_space:  global
        .offset:         56
        .size:           8
        .value_kind:     global_buffer
      - .actual_access:  read_only
        .address_space:  global
        .offset:         64
        .size:           8
        .value_kind:     global_buffer
      - .offset:         72
        .size:           4
        .value_kind:     by_value
      - .address_space:  global
        .offset:         80
        .size:           8
        .value_kind:     global_buffer
      - .offset:         88
        .size:           4
        .value_kind:     by_value
      - .offset:         92
        .size:           4
        .value_kind:     by_value
      - .offset:         96
        .size:           4
        .value_kind:     by_value
      - .address_space:  global
        .offset:         104
        .size:           8
        .value_kind:     global_buffer
      - .address_space:  global
        .offset:         112
        .size:           8
        .value_kind:     global_buffer
      - .offset:         120
        .size:           4
        .value_kind:     by_value
      - .offset:         124
        .size:           4
        .value_kind:     by_value
      - .offset:         128
        .size:           4
        .value_kind:     by_value
      - .offset:         132
        .size:           4
        .value_kind:     by_value
      - .offset:         136
        .size:           4
        .value_kind:     by_value
      - .offset:         144
        .size:           4
        .value_kind:     hidden_block_count_x
      - .offset:         148
        .size:           4
        .value_kind:     hidden_block_count_y
      - .offset:         152
        .size:           4
        .value_kind:     hidden_block_count_z
      - .offset:         156
        .size:           2
        .value_kind:     hidden_group_size_x
      - .offset:         158
        .size:           2
        .value_kind:     hidden_group_size_y
      - .offset:         160
        .size:           2
        .value_kind:     hidden_group_size_z
      - .offset:         162
        .size:           2
        .value_kind:     hidden_remainder_x
      - .offset:         164
        .size:           2
        .value_kind:     hidden_remainder_y
      - .offset:         166
        .size:           2
        .value_kind:     hidden_remainder_z
      - .offset:         184
        .size:           8
        .value_kind:     hidden_global_offset_x
      - .offset:         192
        .size:           8
        .value_kind:     hidden_global_offset_y
      - .offset:         200
        .size:           8
        .value_kind:     hidden_global_offset_z
      - .offset:         208
        .size:           2
        .value_kind:     hidden_grid_dims
      - .offset:         264
        .size:           4
        .value_kind:     hidden_dynamic_lds_size
    .group_segment_fixed_size: 144
    .kernarg_segment_align: 8
    .kernarg_segment_size: 400
    .language:       OpenCL C
    .language_version:
      - 2
      - 0
    .max_flat_workgroup_size: 1024
    .name:           _ZN4vllm25paged_attention_v2_kernelI14__hip_bfloat16hLi64ELi32ELi128ELNS_18Fp8KVCacheDataTypeE1ELb0ELi512EEEvPfS3_PT_PKS4_PKT0_SA_ifPKiSC_iPKfiiiSE_SE_iiiii
    .private_segment_fixed_size: 148
    .sgpr_count:     50
    .sgpr_spill_count: 0
    .symbol:         _ZN4vllm25paged_attention_v2_kernelI14__hip_bfloat16hLi64ELi32ELi128ELNS_18Fp8KVCacheDataTypeE1ELb0ELi512EEEvPfS3_PT_PKS4_PKT0_SA_ifPKiSC_iPKfiiiSE_SE_iiiii.kd
    .uniform_work_group_size: 1
    .uses_dynamic_stack: false
    .vgpr_count:     116
    .vgpr_spill_count: 0
    .wavefront_size: 64
  - .agpr_count:     64
    .args:
      - .actual_access:  write_only
        .address_space:  global
        .offset:         0
        .size:           8
        .value_kind:     global_buffer
      - .actual_access:  write_only
        .address_space:  global
        .offset:         8
        .size:           8
        .value_kind:     global_buffer
      - .actual_access:  write_only
        .address_space:  global
        .offset:         16
        .size:           8
        .value_kind:     global_buffer
      - .actual_access:  read_only
        .address_space:  global
        .offset:         24
        .size:           8
        .value_kind:     global_buffer
      - .actual_access:  read_only
        .address_space:  global
        .offset:         32
        .size:           8
        .value_kind:     global_buffer
      - .actual_access:  read_only
        .address_space:  global
        .offset:         40
        .size:           8
        .value_kind:     global_buffer
      - .offset:         48
        .size:           4
        .value_kind:     by_value
      - .offset:         52
        .size:           4
        .value_kind:     by_value
      - .actual_access:  read_only
        .address_space:  global
        .offset:         56
        .size:           8
        .value_kind:     global_buffer
      - .actual_access:  read_only
        .address_space:  global
        .offset:         64
        .size:           8
        .value_kind:     global_buffer
      - .offset:         72
        .size:           4
        .value_kind:     by_value
      - .address_space:  global
        .offset:         80
        .size:           8
        .value_kind:     global_buffer
      - .offset:         88
        .size:           4
        .value_kind:     by_value
      - .offset:         92
        .size:           4
        .value_kind:     by_value
      - .offset:         96
        .size:           4
        .value_kind:     by_value
      - .address_space:  global
        .offset:         104
        .size:           8
        .value_kind:     global_buffer
      - .address_space:  global
        .offset:         112
        .size:           8
        .value_kind:     global_buffer
      - .offset:         120
        .size:           4
        .value_kind:     by_value
      - .offset:         124
        .size:           4
        .value_kind:     by_value
      - .offset:         128
        .size:           4
        .value_kind:     by_value
      - .offset:         132
        .size:           4
        .value_kind:     by_value
      - .offset:         136
        .size:           4
        .value_kind:     by_value
      - .offset:         144
        .size:           4
        .value_kind:     hidden_block_count_x
      - .offset:         148
        .size:           4
        .value_kind:     hidden_block_count_y
      - .offset:         152
        .size:           4
        .value_kind:     hidden_block_count_z
      - .offset:         156
        .size:           2
        .value_kind:     hidden_group_size_x
      - .offset:         158
        .size:           2
        .value_kind:     hidden_group_size_y
      - .offset:         160
        .size:           2
        .value_kind:     hidden_group_size_z
      - .offset:         162
        .size:           2
        .value_kind:     hidden_remainder_x
      - .offset:         164
        .size:           2
        .value_kind:     hidden_remainder_y
      - .offset:         166
        .size:           2
        .value_kind:     hidden_remainder_z
      - .offset:         184
        .size:           8
        .value_kind:     hidden_global_offset_x
      - .offset:         192
        .size:           8
        .value_kind:     hidden_global_offset_y
      - .offset:         200
        .size:           8
        .value_kind:     hidden_global_offset_z
      - .offset:         208
        .size:           2
        .value_kind:     hidden_grid_dims
      - .offset:         264
        .size:           4
        .value_kind:     hidden_dynamic_lds_size
    .group_segment_fixed_size: 176
    .kernarg_segment_align: 8
    .kernarg_segment_size: 400
    .language:       OpenCL C
    .language_version:
      - 2
      - 0
    .max_flat_workgroup_size: 1024
    .name:           _ZN4vllm25paged_attention_v2_kernelI14__hip_bfloat16hLi80ELi32ELi128ELNS_18Fp8KVCacheDataTypeE1ELb0ELi512EEEvPfS3_PT_PKS4_PKT0_SA_ifPKiSC_iPKfiiiSE_SE_iiiii
    .private_segment_fixed_size: 208
    .sgpr_count:     50
    .sgpr_spill_count: 0
    .symbol:         _ZN4vllm25paged_attention_v2_kernelI14__hip_bfloat16hLi80ELi32ELi128ELNS_18Fp8KVCacheDataTypeE1ELb0ELi512EEEvPfS3_PT_PKS4_PKT0_SA_ifPKiSC_iPKfiiiSE_SE_iiiii.kd
    .uniform_work_group_size: 1
    .uses_dynamic_stack: false
    .vgpr_count:     128
    .vgpr_spill_count: 0
    .wavefront_size: 64
  - .agpr_count:     64
    .args:
      - .actual_access:  write_only
        .address_space:  global
        .offset:         0
        .size:           8
        .value_kind:     global_buffer
      - .actual_access:  write_only
        .address_space:  global
        .offset:         8
        .size:           8
        .value_kind:     global_buffer
      - .actual_access:  write_only
        .address_space:  global
        .offset:         16
        .size:           8
        .value_kind:     global_buffer
      - .actual_access:  read_only
        .address_space:  global
        .offset:         24
        .size:           8
        .value_kind:     global_buffer
      - .actual_access:  read_only
        .address_space:  global
        .offset:         32
        .size:           8
        .value_kind:     global_buffer
      - .actual_access:  read_only
        .address_space:  global
        .offset:         40
        .size:           8
        .value_kind:     global_buffer
      - .offset:         48
        .size:           4
        .value_kind:     by_value
      - .offset:         52
        .size:           4
        .value_kind:     by_value
      - .actual_access:  read_only
        .address_space:  global
        .offset:         56
        .size:           8
        .value_kind:     global_buffer
      - .actual_access:  read_only
        .address_space:  global
        .offset:         64
        .size:           8
        .value_kind:     global_buffer
      - .offset:         72
        .size:           4
        .value_kind:     by_value
      - .address_space:  global
        .offset:         80
        .size:           8
        .value_kind:     global_buffer
      - .offset:         88
        .size:           4
        .value_kind:     by_value
      - .offset:         92
        .size:           4
        .value_kind:     by_value
      - .offset:         96
        .size:           4
        .value_kind:     by_value
      - .address_space:  global
        .offset:         104
        .size:           8
        .value_kind:     global_buffer
      - .address_space:  global
        .offset:         112
        .size:           8
        .value_kind:     global_buffer
      - .offset:         120
        .size:           4
        .value_kind:     by_value
      - .offset:         124
        .size:           4
        .value_kind:     by_value
      - .offset:         128
        .size:           4
        .value_kind:     by_value
      - .offset:         132
        .size:           4
        .value_kind:     by_value
      - .offset:         136
        .size:           4
        .value_kind:     by_value
      - .offset:         144
        .size:           4
        .value_kind:     hidden_block_count_x
      - .offset:         148
        .size:           4
        .value_kind:     hidden_block_count_y
      - .offset:         152
        .size:           4
        .value_kind:     hidden_block_count_z
      - .offset:         156
        .size:           2
        .value_kind:     hidden_group_size_x
      - .offset:         158
        .size:           2
        .value_kind:     hidden_group_size_y
      - .offset:         160
        .size:           2
        .value_kind:     hidden_group_size_z
      - .offset:         162
        .size:           2
        .value_kind:     hidden_remainder_x
      - .offset:         164
        .size:           2
        .value_kind:     hidden_remainder_y
      - .offset:         166
        .size:           2
        .value_kind:     hidden_remainder_z
      - .offset:         184
        .size:           8
        .value_kind:     hidden_global_offset_x
      - .offset:         192
        .size:           8
        .value_kind:     hidden_global_offset_y
      - .offset:         200
        .size:           8
        .value_kind:     hidden_global_offset_z
      - .offset:         208
        .size:           2
        .value_kind:     hidden_grid_dims
      - .offset:         264
        .size:           4
        .value_kind:     hidden_dynamic_lds_size
    .group_segment_fixed_size: 208
    .kernarg_segment_align: 8
    .kernarg_segment_size: 400
    .language:       OpenCL C
    .language_version:
      - 2
      - 0
    .max_flat_workgroup_size: 1024
    .name:           _ZN4vllm25paged_attention_v2_kernelI14__hip_bfloat16hLi96ELi32ELi128ELNS_18Fp8KVCacheDataTypeE1ELb0ELi512EEEvPfS3_PT_PKS4_PKT0_SA_ifPKiSC_iPKfiiiSE_SE_iiiii
    .private_segment_fixed_size: 268
    .sgpr_count:     50
    .sgpr_spill_count: 0
    .symbol:         _ZN4vllm25paged_attention_v2_kernelI14__hip_bfloat16hLi96ELi32ELi128ELNS_18Fp8KVCacheDataTypeE1ELb0ELi512EEEvPfS3_PT_PKS4_PKT0_SA_ifPKiSC_iPKfiiiSE_SE_iiiii.kd
    .uniform_work_group_size: 1
    .uses_dynamic_stack: false
    .vgpr_count:     128
    .vgpr_spill_count: 0
    .wavefront_size: 64
  - .agpr_count:     64
    .args:
      - .actual_access:  write_only
        .address_space:  global
        .offset:         0
        .size:           8
        .value_kind:     global_buffer
      - .actual_access:  write_only
        .address_space:  global
        .offset:         8
        .size:           8
        .value_kind:     global_buffer
      - .actual_access:  write_only
        .address_space:  global
        .offset:         16
        .size:           8
        .value_kind:     global_buffer
      - .actual_access:  read_only
        .address_space:  global
        .offset:         24
        .size:           8
        .value_kind:     global_buffer
      - .actual_access:  read_only
        .address_space:  global
        .offset:         32
        .size:           8
        .value_kind:     global_buffer
      - .actual_access:  read_only
        .address_space:  global
        .offset:         40
        .size:           8
        .value_kind:     global_buffer
      - .offset:         48
        .size:           4
        .value_kind:     by_value
      - .offset:         52
        .size:           4
        .value_kind:     by_value
      - .actual_access:  read_only
        .address_space:  global
        .offset:         56
        .size:           8
        .value_kind:     global_buffer
      - .actual_access:  read_only
        .address_space:  global
        .offset:         64
        .size:           8
        .value_kind:     global_buffer
      - .offset:         72
        .size:           4
        .value_kind:     by_value
      - .address_space:  global
        .offset:         80
        .size:           8
        .value_kind:     global_buffer
      - .offset:         88
        .size:           4
        .value_kind:     by_value
      - .offset:         92
        .size:           4
        .value_kind:     by_value
      - .offset:         96
        .size:           4
        .value_kind:     by_value
      - .address_space:  global
        .offset:         104
        .size:           8
        .value_kind:     global_buffer
      - .address_space:  global
        .offset:         112
        .size:           8
        .value_kind:     global_buffer
      - .offset:         120
        .size:           4
        .value_kind:     by_value
      - .offset:         124
        .size:           4
        .value_kind:     by_value
      - .offset:         128
        .size:           4
        .value_kind:     by_value
      - .offset:         132
        .size:           4
        .value_kind:     by_value
      - .offset:         136
        .size:           4
        .value_kind:     by_value
      - .offset:         144
        .size:           4
        .value_kind:     hidden_block_count_x
      - .offset:         148
        .size:           4
        .value_kind:     hidden_block_count_y
      - .offset:         152
        .size:           4
        .value_kind:     hidden_block_count_z
      - .offset:         156
        .size:           2
        .value_kind:     hidden_group_size_x
      - .offset:         158
        .size:           2
        .value_kind:     hidden_group_size_y
      - .offset:         160
        .size:           2
        .value_kind:     hidden_group_size_z
      - .offset:         162
        .size:           2
        .value_kind:     hidden_remainder_x
      - .offset:         164
        .size:           2
        .value_kind:     hidden_remainder_y
      - .offset:         166
        .size:           2
        .value_kind:     hidden_remainder_z
      - .offset:         184
        .size:           8
        .value_kind:     hidden_global_offset_x
      - .offset:         192
        .size:           8
        .value_kind:     hidden_global_offset_y
      - .offset:         200
        .size:           8
        .value_kind:     hidden_global_offset_z
      - .offset:         208
        .size:           2
        .value_kind:     hidden_grid_dims
      - .offset:         264
        .size:           4
        .value_kind:     hidden_dynamic_lds_size
    .group_segment_fixed_size: 240
    .kernarg_segment_align: 8
    .kernarg_segment_size: 400
    .language:       OpenCL C
    .language_version:
      - 2
      - 0
    .max_flat_workgroup_size: 1024
    .name:           _ZN4vllm25paged_attention_v2_kernelI14__hip_bfloat16hLi112ELi32ELi128ELNS_18Fp8KVCacheDataTypeE1ELb0ELi512EEEvPfS3_PT_PKS4_PKT0_SA_ifPKiSC_iPKfiiiSE_SE_iiiii
    .private_segment_fixed_size: 332
    .sgpr_count:     50
    .sgpr_spill_count: 0
    .symbol:         _ZN4vllm25paged_attention_v2_kernelI14__hip_bfloat16hLi112ELi32ELi128ELNS_18Fp8KVCacheDataTypeE1ELb0ELi512EEEvPfS3_PT_PKS4_PKT0_SA_ifPKiSC_iPKfiiiSE_SE_iiiii.kd
    .uniform_work_group_size: 1
    .uses_dynamic_stack: false
    .vgpr_count:     128
    .vgpr_spill_count: 0
    .wavefront_size: 64
  - .agpr_count:     64
    .args:
      - .actual_access:  write_only
        .address_space:  global
        .offset:         0
        .size:           8
        .value_kind:     global_buffer
      - .actual_access:  write_only
        .address_space:  global
        .offset:         8
        .size:           8
        .value_kind:     global_buffer
      - .actual_access:  write_only
        .address_space:  global
        .offset:         16
        .size:           8
        .value_kind:     global_buffer
      - .actual_access:  read_only
        .address_space:  global
        .offset:         24
        .size:           8
        .value_kind:     global_buffer
      - .actual_access:  read_only
        .address_space:  global
        .offset:         32
        .size:           8
        .value_kind:     global_buffer
      - .actual_access:  read_only
        .address_space:  global
        .offset:         40
        .size:           8
        .value_kind:     global_buffer
      - .offset:         48
        .size:           4
        .value_kind:     by_value
      - .offset:         52
        .size:           4
        .value_kind:     by_value
      - .actual_access:  read_only
        .address_space:  global
        .offset:         56
        .size:           8
        .value_kind:     global_buffer
      - .actual_access:  read_only
        .address_space:  global
        .offset:         64
        .size:           8
        .value_kind:     global_buffer
      - .offset:         72
        .size:           4
        .value_kind:     by_value
      - .address_space:  global
        .offset:         80
        .size:           8
        .value_kind:     global_buffer
      - .offset:         88
        .size:           4
        .value_kind:     by_value
      - .offset:         92
        .size:           4
        .value_kind:     by_value
      - .offset:         96
        .size:           4
        .value_kind:     by_value
      - .address_space:  global
        .offset:         104
        .size:           8
        .value_kind:     global_buffer
      - .address_space:  global
        .offset:         112
        .size:           8
        .value_kind:     global_buffer
      - .offset:         120
        .size:           4
        .value_kind:     by_value
      - .offset:         124
        .size:           4
        .value_kind:     by_value
      - .offset:         128
        .size:           4
        .value_kind:     by_value
      - .offset:         132
        .size:           4
        .value_kind:     by_value
      - .offset:         136
        .size:           4
        .value_kind:     by_value
      - .offset:         144
        .size:           4
        .value_kind:     hidden_block_count_x
      - .offset:         148
        .size:           4
        .value_kind:     hidden_block_count_y
      - .offset:         152
        .size:           4
        .value_kind:     hidden_block_count_z
      - .offset:         156
        .size:           2
        .value_kind:     hidden_group_size_x
      - .offset:         158
        .size:           2
        .value_kind:     hidden_group_size_y
      - .offset:         160
        .size:           2
        .value_kind:     hidden_group_size_z
      - .offset:         162
        .size:           2
        .value_kind:     hidden_remainder_x
      - .offset:         164
        .size:           2
        .value_kind:     hidden_remainder_y
      - .offset:         166
        .size:           2
        .value_kind:     hidden_remainder_z
      - .offset:         184
        .size:           8
        .value_kind:     hidden_global_offset_x
      - .offset:         192
        .size:           8
        .value_kind:     hidden_global_offset_y
      - .offset:         200
        .size:           8
        .value_kind:     hidden_global_offset_z
      - .offset:         208
        .size:           2
        .value_kind:     hidden_grid_dims
      - .offset:         264
        .size:           4
        .value_kind:     hidden_dynamic_lds_size
    .group_segment_fixed_size: 256
    .kernarg_segment_align: 8
    .kernarg_segment_size: 400
    .language:       OpenCL C
    .language_version:
      - 2
      - 0
    .max_flat_workgroup_size: 1024
    .name:           _ZN4vllm25paged_attention_v2_kernelI14__hip_bfloat16hLi120ELi32ELi128ELNS_18Fp8KVCacheDataTypeE1ELb0ELi512EEEvPfS3_PT_PKS4_PKT0_SA_ifPKiSC_iPKfiiiSE_SE_iiiii
    .private_segment_fixed_size: 364
    .sgpr_count:     50
    .sgpr_spill_count: 0
    .symbol:         _ZN4vllm25paged_attention_v2_kernelI14__hip_bfloat16hLi120ELi32ELi128ELNS_18Fp8KVCacheDataTypeE1ELb0ELi512EEEvPfS3_PT_PKS4_PKT0_SA_ifPKiSC_iPKfiiiSE_SE_iiiii.kd
    .uniform_work_group_size: 1
    .uses_dynamic_stack: false
    .vgpr_count:     128
    .vgpr_spill_count: 0
    .wavefront_size: 64
  - .agpr_count:     64
    .args:
      - .actual_access:  write_only
        .address_space:  global
        .offset:         0
        .size:           8
        .value_kind:     global_buffer
      - .actual_access:  write_only
        .address_space:  global
        .offset:         8
        .size:           8
        .value_kind:     global_buffer
      - .actual_access:  write_only
        .address_space:  global
        .offset:         16
        .size:           8
        .value_kind:     global_buffer
      - .actual_access:  read_only
        .address_space:  global
        .offset:         24
        .size:           8
        .value_kind:     global_buffer
      - .actual_access:  read_only
        .address_space:  global
        .offset:         32
        .size:           8
        .value_kind:     global_buffer
      - .actual_access:  read_only
        .address_space:  global
        .offset:         40
        .size:           8
        .value_kind:     global_buffer
      - .offset:         48
        .size:           4
        .value_kind:     by_value
      - .offset:         52
        .size:           4
        .value_kind:     by_value
      - .actual_access:  read_only
        .address_space:  global
        .offset:         56
        .size:           8
        .value_kind:     global_buffer
      - .actual_access:  read_only
        .address_space:  global
        .offset:         64
        .size:           8
        .value_kind:     global_buffer
      - .offset:         72
        .size:           4
        .value_kind:     by_value
      - .address_space:  global
        .offset:         80
        .size:           8
        .value_kind:     global_buffer
      - .offset:         88
        .size:           4
        .value_kind:     by_value
      - .offset:         92
        .size:           4
        .value_kind:     by_value
      - .offset:         96
        .size:           4
        .value_kind:     by_value
      - .address_space:  global
        .offset:         104
        .size:           8
        .value_kind:     global_buffer
      - .address_space:  global
        .offset:         112
        .size:           8
        .value_kind:     global_buffer
      - .offset:         120
        .size:           4
        .value_kind:     by_value
      - .offset:         124
        .size:           4
        .value_kind:     by_value
      - .offset:         128
        .size:           4
        .value_kind:     by_value
      - .offset:         132
        .size:           4
        .value_kind:     by_value
      - .offset:         136
        .size:           4
        .value_kind:     by_value
      - .offset:         144
        .size:           4
        .value_kind:     hidden_block_count_x
      - .offset:         148
        .size:           4
        .value_kind:     hidden_block_count_y
      - .offset:         152
        .size:           4
        .value_kind:     hidden_block_count_z
      - .offset:         156
        .size:           2
        .value_kind:     hidden_group_size_x
      - .offset:         158
        .size:           2
        .value_kind:     hidden_group_size_y
      - .offset:         160
        .size:           2
        .value_kind:     hidden_group_size_z
      - .offset:         162
        .size:           2
        .value_kind:     hidden_remainder_x
      - .offset:         164
        .size:           2
        .value_kind:     hidden_remainder_y
      - .offset:         166
        .size:           2
        .value_kind:     hidden_remainder_z
      - .offset:         184
        .size:           8
        .value_kind:     hidden_global_offset_x
      - .offset:         192
        .size:           8
        .value_kind:     hidden_global_offset_y
      - .offset:         200
        .size:           8
        .value_kind:     hidden_global_offset_z
      - .offset:         208
        .size:           2
        .value_kind:     hidden_grid_dims
      - .offset:         264
        .size:           4
        .value_kind:     hidden_dynamic_lds_size
    .group_segment_fixed_size: 272
    .kernarg_segment_align: 8
    .kernarg_segment_size: 400
    .language:       OpenCL C
    .language_version:
      - 2
      - 0
    .max_flat_workgroup_size: 1024
    .name:           _ZN4vllm25paged_attention_v2_kernelI14__hip_bfloat16hLi128ELi32ELi128ELNS_18Fp8KVCacheDataTypeE1ELb0ELi512EEEvPfS3_PT_PKS4_PKT0_SA_ifPKiSC_iPKfiiiSE_SE_iiiii
    .private_segment_fixed_size: 392
    .sgpr_count:     50
    .sgpr_spill_count: 0
    .symbol:         _ZN4vllm25paged_attention_v2_kernelI14__hip_bfloat16hLi128ELi32ELi128ELNS_18Fp8KVCacheDataTypeE1ELb0ELi512EEEvPfS3_PT_PKS4_PKT0_SA_ifPKiSC_iPKfiiiSE_SE_iiiii.kd
    .uniform_work_group_size: 1
    .uses_dynamic_stack: false
    .vgpr_count:     128
    .vgpr_spill_count: 0
    .wavefront_size: 64
  - .agpr_count:     64
    .args:
      - .actual_access:  write_only
        .address_space:  global
        .offset:         0
        .size:           8
        .value_kind:     global_buffer
      - .actual_access:  write_only
        .address_space:  global
        .offset:         8
        .size:           8
        .value_kind:     global_buffer
      - .actual_access:  write_only
        .address_space:  global
        .offset:         16
        .size:           8
        .value_kind:     global_buffer
      - .actual_access:  read_only
        .address_space:  global
        .offset:         24
        .size:           8
        .value_kind:     global_buffer
      - .actual_access:  read_only
        .address_space:  global
        .offset:         32
        .size:           8
        .value_kind:     global_buffer
      - .actual_access:  read_only
        .address_space:  global
        .offset:         40
        .size:           8
        .value_kind:     global_buffer
      - .offset:         48
        .size:           4
        .value_kind:     by_value
      - .offset:         52
        .size:           4
        .value_kind:     by_value
      - .actual_access:  read_only
        .address_space:  global
        .offset:         56
        .size:           8
        .value_kind:     global_buffer
      - .actual_access:  read_only
        .address_space:  global
        .offset:         64
        .size:           8
        .value_kind:     global_buffer
      - .offset:         72
        .size:           4
        .value_kind:     by_value
      - .address_space:  global
        .offset:         80
        .size:           8
        .value_kind:     global_buffer
      - .offset:         88
        .size:           4
        .value_kind:     by_value
      - .offset:         92
        .size:           4
        .value_kind:     by_value
      - .offset:         96
        .size:           4
        .value_kind:     by_value
      - .address_space:  global
        .offset:         104
        .size:           8
        .value_kind:     global_buffer
      - .address_space:  global
        .offset:         112
        .size:           8
        .value_kind:     global_buffer
      - .offset:         120
        .size:           4
        .value_kind:     by_value
      - .offset:         124
        .size:           4
        .value_kind:     by_value
      - .offset:         128
        .size:           4
        .value_kind:     by_value
      - .offset:         132
        .size:           4
        .value_kind:     by_value
      - .offset:         136
        .size:           4
        .value_kind:     by_value
      - .offset:         144
        .size:           4
        .value_kind:     hidden_block_count_x
      - .offset:         148
        .size:           4
        .value_kind:     hidden_block_count_y
      - .offset:         152
        .size:           4
        .value_kind:     hidden_block_count_z
      - .offset:         156
        .size:           2
        .value_kind:     hidden_group_size_x
      - .offset:         158
        .size:           2
        .value_kind:     hidden_group_size_y
      - .offset:         160
        .size:           2
        .value_kind:     hidden_group_size_z
      - .offset:         162
        .size:           2
        .value_kind:     hidden_remainder_x
      - .offset:         164
        .size:           2
        .value_kind:     hidden_remainder_y
      - .offset:         166
        .size:           2
        .value_kind:     hidden_remainder_z
      - .offset:         184
        .size:           8
        .value_kind:     hidden_global_offset_x
      - .offset:         192
        .size:           8
        .value_kind:     hidden_global_offset_y
      - .offset:         200
        .size:           8
        .value_kind:     hidden_global_offset_z
      - .offset:         208
        .size:           2
        .value_kind:     hidden_grid_dims
      - .offset:         264
        .size:           4
        .value_kind:     hidden_dynamic_lds_size
    .group_segment_fixed_size: 400
    .kernarg_segment_align: 8
    .kernarg_segment_size: 400
    .language:       OpenCL C
    .language_version:
      - 2
      - 0
    .max_flat_workgroup_size: 1024
    .name:           _ZN4vllm25paged_attention_v2_kernelI14__hip_bfloat16hLi192ELi32ELi128ELNS_18Fp8KVCacheDataTypeE1ELb0ELi512EEEvPfS3_PT_PKS4_PKT0_SA_ifPKiSC_iPKfiiiSE_SE_iiiii
    .private_segment_fixed_size: 680
    .sgpr_count:     50
    .sgpr_spill_count: 0
    .symbol:         _ZN4vllm25paged_attention_v2_kernelI14__hip_bfloat16hLi192ELi32ELi128ELNS_18Fp8KVCacheDataTypeE1ELb0ELi512EEEvPfS3_PT_PKS4_PKT0_SA_ifPKiSC_iPKfiiiSE_SE_iiiii.kd
    .uniform_work_group_size: 1
    .uses_dynamic_stack: false
    .vgpr_count:     128
    .vgpr_spill_count: 0
    .wavefront_size: 64
  - .agpr_count:     64
    .args:
      - .actual_access:  write_only
        .address_space:  global
        .offset:         0
        .size:           8
        .value_kind:     global_buffer
      - .actual_access:  write_only
        .address_space:  global
        .offset:         8
        .size:           8
        .value_kind:     global_buffer
      - .actual_access:  write_only
        .address_space:  global
        .offset:         16
        .size:           8
        .value_kind:     global_buffer
      - .actual_access:  read_only
        .address_space:  global
        .offset:         24
        .size:           8
        .value_kind:     global_buffer
      - .actual_access:  read_only
        .address_space:  global
        .offset:         32
        .size:           8
        .value_kind:     global_buffer
      - .actual_access:  read_only
        .address_space:  global
        .offset:         40
        .size:           8
        .value_kind:     global_buffer
      - .offset:         48
        .size:           4
        .value_kind:     by_value
      - .offset:         52
        .size:           4
        .value_kind:     by_value
      - .actual_access:  read_only
        .address_space:  global
        .offset:         56
        .size:           8
        .value_kind:     global_buffer
      - .actual_access:  read_only
        .address_space:  global
        .offset:         64
        .size:           8
        .value_kind:     global_buffer
      - .offset:         72
        .size:           4
        .value_kind:     by_value
      - .address_space:  global
        .offset:         80
        .size:           8
        .value_kind:     global_buffer
      - .offset:         88
        .size:           4
        .value_kind:     by_value
      - .offset:         92
        .size:           4
        .value_kind:     by_value
      - .offset:         96
        .size:           4
        .value_kind:     by_value
      - .address_space:  global
        .offset:         104
        .size:           8
        .value_kind:     global_buffer
      - .address_space:  global
        .offset:         112
        .size:           8
        .value_kind:     global_buffer
      - .offset:         120
        .size:           4
        .value_kind:     by_value
      - .offset:         124
        .size:           4
        .value_kind:     by_value
      - .offset:         128
        .size:           4
        .value_kind:     by_value
      - .offset:         132
        .size:           4
        .value_kind:     by_value
      - .offset:         136
        .size:           4
        .value_kind:     by_value
      - .offset:         144
        .size:           4
        .value_kind:     hidden_block_count_x
      - .offset:         148
        .size:           4
        .value_kind:     hidden_block_count_y
      - .offset:         152
        .size:           4
        .value_kind:     hidden_block_count_z
      - .offset:         156
        .size:           2
        .value_kind:     hidden_group_size_x
      - .offset:         158
        .size:           2
        .value_kind:     hidden_group_size_y
      - .offset:         160
        .size:           2
        .value_kind:     hidden_group_size_z
      - .offset:         162
        .size:           2
        .value_kind:     hidden_remainder_x
      - .offset:         164
        .size:           2
        .value_kind:     hidden_remainder_y
      - .offset:         166
        .size:           2
        .value_kind:     hidden_remainder_z
      - .offset:         184
        .size:           8
        .value_kind:     hidden_global_offset_x
      - .offset:         192
        .size:           8
        .value_kind:     hidden_global_offset_y
      - .offset:         200
        .size:           8
        .value_kind:     hidden_global_offset_z
      - .offset:         208
        .size:           2
        .value_kind:     hidden_grid_dims
      - .offset:         264
        .size:           4
        .value_kind:     hidden_dynamic_lds_size
    .group_segment_fixed_size: 528
    .kernarg_segment_align: 8
    .kernarg_segment_size: 400
    .language:       OpenCL C
    .language_version:
      - 2
      - 0
    .max_flat_workgroup_size: 1024
    .name:           _ZN4vllm25paged_attention_v2_kernelI14__hip_bfloat16hLi256ELi32ELi128ELNS_18Fp8KVCacheDataTypeE1ELb0ELi512EEEvPfS3_PT_PKS4_PKT0_SA_ifPKiSC_iPKfiiiSE_SE_iiiii
    .private_segment_fixed_size: 960
    .sgpr_count:     51
    .sgpr_spill_count: 0
    .symbol:         _ZN4vllm25paged_attention_v2_kernelI14__hip_bfloat16hLi256ELi32ELi128ELNS_18Fp8KVCacheDataTypeE1ELb0ELi512EEEvPfS3_PT_PKS4_PKT0_SA_ifPKiSC_iPKfiiiSE_SE_iiiii.kd
    .uniform_work_group_size: 1
    .uses_dynamic_stack: false
    .vgpr_count:     128
    .vgpr_spill_count: 0
    .wavefront_size: 64
amdhsa.target:   amdgcn-amd-amdhsa--gfx90a
amdhsa.version:
  - 1
  - 2
...

	.end_amdgpu_metadata
